;; amdgpu-corpus repo=vllm-project/vllm kind=compiled arch=gfx1250 opt=O3
	.amdgcn_target "amdgcn-amd-amdhsa--gfx1250"
	.amdhsa_code_object_version 6
	.section	.text._ZL16dequantize_blockILi32ELi2EXadL_ZL15dequantize_q4_0PKviiR7__half2EEfEvS1_PT2_l,"axG",@progbits,_ZL16dequantize_blockILi32ELi2EXadL_ZL15dequantize_q4_0PKviiR7__half2EEfEvS1_PT2_l,comdat
	.globl	_ZL16dequantize_blockILi32ELi2EXadL_ZL15dequantize_q4_0PKviiR7__half2EEfEvS1_PT2_l ; -- Begin function _ZL16dequantize_blockILi32ELi2EXadL_ZL15dequantize_q4_0PKviiR7__half2EEfEvS1_PT2_l
	.p2align	8
	.type	_ZL16dequantize_blockILi32ELi2EXadL_ZL15dequantize_q4_0PKviiR7__half2EEfEvS1_PT2_l,@function
_ZL16dequantize_blockILi32ELi2EXadL_ZL15dequantize_q4_0PKviiR7__half2EEfEvS1_PT2_l: ; @_ZL16dequantize_blockILi32ELi2EXadL_ZL15dequantize_q4_0PKviiR7__half2EEfEvS1_PT2_l
; %bb.0:
	s_load_b32 s2, s[0:1], 0x24
	s_bfe_u32 s3, ttmp6, 0x4000c
	s_and_b32 s4, ttmp6, 15
	s_add_co_i32 s3, s3, 1
	s_getreg_b32 s5, hwreg(HW_REG_IB_STS2, 6, 4)
	s_mul_i32 s3, ttmp9, s3
	v_mov_b32_e32 v1, 0
	s_add_co_i32 s4, s4, s3
	s_wait_kmcnt 0x0
	s_and_b32 s6, s2, 0xffff
	s_cmp_eq_u32 s5, 0
	s_load_b64 s[2:3], s[0:1], 0x10
	s_cselect_b32 s4, ttmp9, s4
	s_delay_alu instid0(SALU_CYCLE_1) | instskip(NEXT) | instid1(VALU_DEP_1)
	v_mad_nc_u64_u32 v[4:5], s6, s4, v[0:1]
	v_lshlrev_b64_e32 v[2:3], 1, v[4:5]
	s_wait_kmcnt 0x0
	s_delay_alu instid0(VALU_DEP_1)
	v_cmp_gt_i64_e32 vcc_lo, s[2:3], v[2:3]
	s_and_saveexec_b32 s2, vcc_lo
	s_cbranch_execz .LBB0_2
; %bb.1:
	s_load_b128 s[0:3], s[0:1], 0x0
	v_alignbit_b32 v0, v5, v4, 4
	s_wait_kmcnt 0x0
	s_delay_alu instid0(VALU_DEP_1) | instskip(SKIP_1) | instid1(VALU_DEP_1)
	v_mad_nc_i64_i32 v[6:7], v0, 18, s[0:1]
	v_and_b32_e32 v0, 15, v4
	v_add_nc_u64_e32 v[4:5], v[6:7], v[0:1]
	s_clause 0x1
	global_load_u8 v3, v[4:5], off offset:2
	global_load_u16 v8, v[6:7], off
	s_wait_loadcnt 0x1
	s_wait_xcnt 0x1
	v_dual_lshrrev_b32 v3, 4, v3 :: v_dual_bitop2_b32 v4, 15, v3 bitop3:0x40
	v_and_or_b32 v5, 0xffffffe0, v2, v0
	s_delay_alu instid0(VALU_DEP_2) | instskip(NEXT) | instid1(VALU_DEP_3)
	v_cvt_f32_ubyte0_e32 v4, v4
	v_cvt_f32_ubyte0_e32 v3, v3
	s_delay_alu instid0(VALU_DEP_1) | instskip(SKIP_3) | instid1(VALU_DEP_3)
	v_cvt_pk_f16_f32 v3, v4, v3
	v_mov_b32_e32 v4, v1
	s_wait_loadcnt 0x0
	v_lshl_or_b32 v1, v8, 16, v8
	v_pk_add_f16 v3, 0xc800, v3 op_sel_hi:[0,1]
	s_delay_alu instid0(VALU_DEP_1) | instskip(SKIP_1) | instid1(VALU_DEP_2)
	v_pk_mul_f16 v2, v3, v1
	v_ashrrev_i64 v[0:1], 30, v[4:5]
	v_lshrrev_b32_e32 v3, 16, v2
	v_cvt_f32_f16_e32 v2, v2
	s_delay_alu instid0(VALU_DEP_3) | instskip(NEXT) | instid1(VALU_DEP_3)
	v_add_nc_u64_e32 v[0:1], s[2:3], v[0:1]
	v_cvt_f32_f16_e32 v3, v3
	s_clause 0x1
	global_store_b32 v[0:1], v2, off
	global_store_b32 v[0:1], v3, off offset:64
.LBB0_2:
	s_endpgm
	.section	.rodata,"a",@progbits
	.p2align	6, 0x0
	.amdhsa_kernel _ZL16dequantize_blockILi32ELi2EXadL_ZL15dequantize_q4_0PKviiR7__half2EEfEvS1_PT2_l
		.amdhsa_group_segment_fixed_size 0
		.amdhsa_private_segment_fixed_size 0
		.amdhsa_kernarg_size 280
		.amdhsa_user_sgpr_count 2
		.amdhsa_user_sgpr_dispatch_ptr 0
		.amdhsa_user_sgpr_queue_ptr 0
		.amdhsa_user_sgpr_kernarg_segment_ptr 1
		.amdhsa_user_sgpr_dispatch_id 0
		.amdhsa_user_sgpr_kernarg_preload_length 0
		.amdhsa_user_sgpr_kernarg_preload_offset 0
		.amdhsa_user_sgpr_private_segment_size 0
		.amdhsa_wavefront_size32 1
		.amdhsa_uses_dynamic_stack 0
		.amdhsa_enable_private_segment 0
		.amdhsa_system_sgpr_workgroup_id_x 1
		.amdhsa_system_sgpr_workgroup_id_y 0
		.amdhsa_system_sgpr_workgroup_id_z 0
		.amdhsa_system_sgpr_workgroup_info 0
		.amdhsa_system_vgpr_workitem_id 0
		.amdhsa_next_free_vgpr 9
		.amdhsa_next_free_sgpr 7
		.amdhsa_named_barrier_count 0
		.amdhsa_reserve_vcc 1
		.amdhsa_float_round_mode_32 0
		.amdhsa_float_round_mode_16_64 0
		.amdhsa_float_denorm_mode_32 3
		.amdhsa_float_denorm_mode_16_64 3
		.amdhsa_fp16_overflow 0
		.amdhsa_memory_ordered 1
		.amdhsa_forward_progress 1
		.amdhsa_inst_pref_size 3
		.amdhsa_round_robin_scheduling 0
		.amdhsa_exception_fp_ieee_invalid_op 0
		.amdhsa_exception_fp_denorm_src 0
		.amdhsa_exception_fp_ieee_div_zero 0
		.amdhsa_exception_fp_ieee_overflow 0
		.amdhsa_exception_fp_ieee_underflow 0
		.amdhsa_exception_fp_ieee_inexact 0
		.amdhsa_exception_int_div_zero 0
	.end_amdhsa_kernel
	.section	.text._ZL16dequantize_blockILi32ELi2EXadL_ZL15dequantize_q4_0PKviiR7__half2EEfEvS1_PT2_l,"axG",@progbits,_ZL16dequantize_blockILi32ELi2EXadL_ZL15dequantize_q4_0PKviiR7__half2EEfEvS1_PT2_l,comdat
.Lfunc_end0:
	.size	_ZL16dequantize_blockILi32ELi2EXadL_ZL15dequantize_q4_0PKviiR7__half2EEfEvS1_PT2_l, .Lfunc_end0-_ZL16dequantize_blockILi32ELi2EXadL_ZL15dequantize_q4_0PKviiR7__half2EEfEvS1_PT2_l
                                        ; -- End function
	.set _ZL16dequantize_blockILi32ELi2EXadL_ZL15dequantize_q4_0PKviiR7__half2EEfEvS1_PT2_l.num_vgpr, 9
	.set _ZL16dequantize_blockILi32ELi2EXadL_ZL15dequantize_q4_0PKviiR7__half2EEfEvS1_PT2_l.num_agpr, 0
	.set _ZL16dequantize_blockILi32ELi2EXadL_ZL15dequantize_q4_0PKviiR7__half2EEfEvS1_PT2_l.numbered_sgpr, 7
	.set _ZL16dequantize_blockILi32ELi2EXadL_ZL15dequantize_q4_0PKviiR7__half2EEfEvS1_PT2_l.num_named_barrier, 0
	.set _ZL16dequantize_blockILi32ELi2EXadL_ZL15dequantize_q4_0PKviiR7__half2EEfEvS1_PT2_l.private_seg_size, 0
	.set _ZL16dequantize_blockILi32ELi2EXadL_ZL15dequantize_q4_0PKviiR7__half2EEfEvS1_PT2_l.uses_vcc, 1
	.set _ZL16dequantize_blockILi32ELi2EXadL_ZL15dequantize_q4_0PKviiR7__half2EEfEvS1_PT2_l.uses_flat_scratch, 0
	.set _ZL16dequantize_blockILi32ELi2EXadL_ZL15dequantize_q4_0PKviiR7__half2EEfEvS1_PT2_l.has_dyn_sized_stack, 0
	.set _ZL16dequantize_blockILi32ELi2EXadL_ZL15dequantize_q4_0PKviiR7__half2EEfEvS1_PT2_l.has_recursion, 0
	.set _ZL16dequantize_blockILi32ELi2EXadL_ZL15dequantize_q4_0PKviiR7__half2EEfEvS1_PT2_l.has_indirect_call, 0
	.section	.AMDGPU.csdata,"",@progbits
; Kernel info:
; codeLenInByte = 328
; TotalNumSgprs: 9
; NumVgprs: 9
; ScratchSize: 0
; MemoryBound: 0
; FloatMode: 240
; IeeeMode: 1
; LDSByteSize: 0 bytes/workgroup (compile time only)
; SGPRBlocks: 0
; VGPRBlocks: 0
; NumSGPRsForWavesPerEU: 9
; NumVGPRsForWavesPerEU: 9
; NamedBarCnt: 0
; Occupancy: 16
; WaveLimiterHint : 0
; COMPUTE_PGM_RSRC2:SCRATCH_EN: 0
; COMPUTE_PGM_RSRC2:USER_SGPR: 2
; COMPUTE_PGM_RSRC2:TRAP_HANDLER: 0
; COMPUTE_PGM_RSRC2:TGID_X_EN: 1
; COMPUTE_PGM_RSRC2:TGID_Y_EN: 0
; COMPUTE_PGM_RSRC2:TGID_Z_EN: 0
; COMPUTE_PGM_RSRC2:TIDIG_COMP_CNT: 0
	.section	.text._ZL16dequantize_blockILi32ELi2EXadL_ZL15dequantize_q4_1PKviiR7__half2EEfEvS1_PT2_l,"axG",@progbits,_ZL16dequantize_blockILi32ELi2EXadL_ZL15dequantize_q4_1PKviiR7__half2EEfEvS1_PT2_l,comdat
	.globl	_ZL16dequantize_blockILi32ELi2EXadL_ZL15dequantize_q4_1PKviiR7__half2EEfEvS1_PT2_l ; -- Begin function _ZL16dequantize_blockILi32ELi2EXadL_ZL15dequantize_q4_1PKviiR7__half2EEfEvS1_PT2_l
	.p2align	8
	.type	_ZL16dequantize_blockILi32ELi2EXadL_ZL15dequantize_q4_1PKviiR7__half2EEfEvS1_PT2_l,@function
_ZL16dequantize_blockILi32ELi2EXadL_ZL15dequantize_q4_1PKviiR7__half2EEfEvS1_PT2_l: ; @_ZL16dequantize_blockILi32ELi2EXadL_ZL15dequantize_q4_1PKviiR7__half2EEfEvS1_PT2_l
; %bb.0:
	s_load_b32 s2, s[0:1], 0x24
	s_bfe_u32 s3, ttmp6, 0x4000c
	s_and_b32 s4, ttmp6, 15
	s_add_co_i32 s3, s3, 1
	s_getreg_b32 s5, hwreg(HW_REG_IB_STS2, 6, 4)
	s_mul_i32 s3, ttmp9, s3
	v_mov_b32_e32 v1, 0
	s_add_co_i32 s4, s4, s3
	s_wait_kmcnt 0x0
	s_and_b32 s6, s2, 0xffff
	s_cmp_eq_u32 s5, 0
	s_load_b64 s[2:3], s[0:1], 0x10
	s_cselect_b32 s4, ttmp9, s4
	s_delay_alu instid0(SALU_CYCLE_1) | instskip(NEXT) | instid1(VALU_DEP_1)
	v_mad_nc_u64_u32 v[4:5], s6, s4, v[0:1]
	v_lshlrev_b64_e32 v[2:3], 1, v[4:5]
	s_wait_kmcnt 0x0
	s_delay_alu instid0(VALU_DEP_1)
	v_cmp_gt_i64_e32 vcc_lo, s[2:3], v[2:3]
	s_and_saveexec_b32 s2, vcc_lo
	s_cbranch_execz .LBB1_2
; %bb.1:
	s_load_b128 s[0:3], s[0:1], 0x0
	v_alignbit_b32 v0, v5, v4, 4
	s_wait_kmcnt 0x0
	s_delay_alu instid0(VALU_DEP_1) | instskip(SKIP_1) | instid1(VALU_DEP_1)
	v_mad_nc_i64_i32 v[6:7], v0, 20, s[0:1]
	v_and_b32_e32 v0, 15, v4
	v_add_nc_u64_e32 v[4:5], v[6:7], v[0:1]
	s_clause 0x1
	global_load_u8 v3, v[4:5], off offset:4
	global_load_b32 v8, v[6:7], off
	s_wait_loadcnt 0x0
	v_dual_lshrrev_b32 v5, 16, v8 :: v_dual_bitop2_b32 v4, 15, v3 bitop3:0x40
	v_lshrrev_b32_e32 v3, 4, v3
	v_and_b32_e32 v6, 0xffff, v8
	s_delay_alu instid0(VALU_DEP_3) | instskip(SKIP_1) | instid1(VALU_DEP_4)
	v_cvt_f32_ubyte0_e32 v7, v4
	v_mov_b32_e32 v4, v1
	v_cvt_f32_ubyte0_e32 v3, v3
	s_delay_alu instid0(VALU_DEP_4) | instskip(SKIP_2) | instid1(VALU_DEP_4)
	v_mul_u32_u24_e32 v1, 0x10001, v6
	v_and_or_b32 v6, 0xffff0000, v8, v5
	v_and_or_b32 v5, 0xffffffe0, v2, v0
	v_cvt_pk_f16_f32 v3, v7, v3
	s_delay_alu instid0(VALU_DEP_1) | instskip(NEXT) | instid1(VALU_DEP_1)
	v_pk_fma_f16 v2, v3, v1, v6
	v_lshrrev_b32_e32 v3, 16, v2
	s_delay_alu instid0(VALU_DEP_4) | instskip(SKIP_1) | instid1(VALU_DEP_3)
	v_ashrrev_i64 v[0:1], 30, v[4:5]
	v_cvt_f32_f16_e32 v2, v2
	v_cvt_f32_f16_e32 v3, v3
	s_delay_alu instid0(VALU_DEP_3)
	v_add_nc_u64_e32 v[0:1], s[2:3], v[0:1]
	s_clause 0x1
	global_store_b32 v[0:1], v2, off
	global_store_b32 v[0:1], v3, off offset:64
.LBB1_2:
	s_endpgm
	.section	.rodata,"a",@progbits
	.p2align	6, 0x0
	.amdhsa_kernel _ZL16dequantize_blockILi32ELi2EXadL_ZL15dequantize_q4_1PKviiR7__half2EEfEvS1_PT2_l
		.amdhsa_group_segment_fixed_size 0
		.amdhsa_private_segment_fixed_size 0
		.amdhsa_kernarg_size 280
		.amdhsa_user_sgpr_count 2
		.amdhsa_user_sgpr_dispatch_ptr 0
		.amdhsa_user_sgpr_queue_ptr 0
		.amdhsa_user_sgpr_kernarg_segment_ptr 1
		.amdhsa_user_sgpr_dispatch_id 0
		.amdhsa_user_sgpr_kernarg_preload_length 0
		.amdhsa_user_sgpr_kernarg_preload_offset 0
		.amdhsa_user_sgpr_private_segment_size 0
		.amdhsa_wavefront_size32 1
		.amdhsa_uses_dynamic_stack 0
		.amdhsa_enable_private_segment 0
		.amdhsa_system_sgpr_workgroup_id_x 1
		.amdhsa_system_sgpr_workgroup_id_y 0
		.amdhsa_system_sgpr_workgroup_id_z 0
		.amdhsa_system_sgpr_workgroup_info 0
		.amdhsa_system_vgpr_workitem_id 0
		.amdhsa_next_free_vgpr 9
		.amdhsa_next_free_sgpr 7
		.amdhsa_named_barrier_count 0
		.amdhsa_reserve_vcc 1
		.amdhsa_float_round_mode_32 0
		.amdhsa_float_round_mode_16_64 0
		.amdhsa_float_denorm_mode_32 3
		.amdhsa_float_denorm_mode_16_64 3
		.amdhsa_fp16_overflow 0
		.amdhsa_memory_ordered 1
		.amdhsa_forward_progress 1
		.amdhsa_inst_pref_size 3
		.amdhsa_round_robin_scheduling 0
		.amdhsa_exception_fp_ieee_invalid_op 0
		.amdhsa_exception_fp_denorm_src 0
		.amdhsa_exception_fp_ieee_div_zero 0
		.amdhsa_exception_fp_ieee_overflow 0
		.amdhsa_exception_fp_ieee_underflow 0
		.amdhsa_exception_fp_ieee_inexact 0
		.amdhsa_exception_int_div_zero 0
	.end_amdhsa_kernel
	.section	.text._ZL16dequantize_blockILi32ELi2EXadL_ZL15dequantize_q4_1PKviiR7__half2EEfEvS1_PT2_l,"axG",@progbits,_ZL16dequantize_blockILi32ELi2EXadL_ZL15dequantize_q4_1PKviiR7__half2EEfEvS1_PT2_l,comdat
.Lfunc_end1:
	.size	_ZL16dequantize_blockILi32ELi2EXadL_ZL15dequantize_q4_1PKviiR7__half2EEfEvS1_PT2_l, .Lfunc_end1-_ZL16dequantize_blockILi32ELi2EXadL_ZL15dequantize_q4_1PKviiR7__half2EEfEvS1_PT2_l
                                        ; -- End function
	.set _ZL16dequantize_blockILi32ELi2EXadL_ZL15dequantize_q4_1PKviiR7__half2EEfEvS1_PT2_l.num_vgpr, 9
	.set _ZL16dequantize_blockILi32ELi2EXadL_ZL15dequantize_q4_1PKviiR7__half2EEfEvS1_PT2_l.num_agpr, 0
	.set _ZL16dequantize_blockILi32ELi2EXadL_ZL15dequantize_q4_1PKviiR7__half2EEfEvS1_PT2_l.numbered_sgpr, 7
	.set _ZL16dequantize_blockILi32ELi2EXadL_ZL15dequantize_q4_1PKviiR7__half2EEfEvS1_PT2_l.num_named_barrier, 0
	.set _ZL16dequantize_blockILi32ELi2EXadL_ZL15dequantize_q4_1PKviiR7__half2EEfEvS1_PT2_l.private_seg_size, 0
	.set _ZL16dequantize_blockILi32ELi2EXadL_ZL15dequantize_q4_1PKviiR7__half2EEfEvS1_PT2_l.uses_vcc, 1
	.set _ZL16dequantize_blockILi32ELi2EXadL_ZL15dequantize_q4_1PKviiR7__half2EEfEvS1_PT2_l.uses_flat_scratch, 0
	.set _ZL16dequantize_blockILi32ELi2EXadL_ZL15dequantize_q4_1PKviiR7__half2EEfEvS1_PT2_l.has_dyn_sized_stack, 0
	.set _ZL16dequantize_blockILi32ELi2EXadL_ZL15dequantize_q4_1PKviiR7__half2EEfEvS1_PT2_l.has_recursion, 0
	.set _ZL16dequantize_blockILi32ELi2EXadL_ZL15dequantize_q4_1PKviiR7__half2EEfEvS1_PT2_l.has_indirect_call, 0
	.section	.AMDGPU.csdata,"",@progbits
; Kernel info:
; codeLenInByte = 336
; TotalNumSgprs: 9
; NumVgprs: 9
; ScratchSize: 0
; MemoryBound: 0
; FloatMode: 240
; IeeeMode: 1
; LDSByteSize: 0 bytes/workgroup (compile time only)
; SGPRBlocks: 0
; VGPRBlocks: 0
; NumSGPRsForWavesPerEU: 9
; NumVGPRsForWavesPerEU: 9
; NamedBarCnt: 0
; Occupancy: 16
; WaveLimiterHint : 0
; COMPUTE_PGM_RSRC2:SCRATCH_EN: 0
; COMPUTE_PGM_RSRC2:USER_SGPR: 2
; COMPUTE_PGM_RSRC2:TRAP_HANDLER: 0
; COMPUTE_PGM_RSRC2:TGID_X_EN: 1
; COMPUTE_PGM_RSRC2:TGID_Y_EN: 0
; COMPUTE_PGM_RSRC2:TGID_Z_EN: 0
; COMPUTE_PGM_RSRC2:TIDIG_COMP_CNT: 0
	.section	.text._ZL16dequantize_blockILi32ELi2EXadL_ZL15dequantize_q5_0PKviiR7__half2EEfEvS1_PT2_l,"axG",@progbits,_ZL16dequantize_blockILi32ELi2EXadL_ZL15dequantize_q5_0PKviiR7__half2EEfEvS1_PT2_l,comdat
	.globl	_ZL16dequantize_blockILi32ELi2EXadL_ZL15dequantize_q5_0PKviiR7__half2EEfEvS1_PT2_l ; -- Begin function _ZL16dequantize_blockILi32ELi2EXadL_ZL15dequantize_q5_0PKviiR7__half2EEfEvS1_PT2_l
	.p2align	8
	.type	_ZL16dequantize_blockILi32ELi2EXadL_ZL15dequantize_q5_0PKviiR7__half2EEfEvS1_PT2_l,@function
_ZL16dequantize_blockILi32ELi2EXadL_ZL15dequantize_q5_0PKviiR7__half2EEfEvS1_PT2_l: ; @_ZL16dequantize_blockILi32ELi2EXadL_ZL15dequantize_q5_0PKviiR7__half2EEfEvS1_PT2_l
; %bb.0:
	s_load_b32 s2, s[0:1], 0x24
	s_bfe_u32 s3, ttmp6, 0x4000c
	s_and_b32 s4, ttmp6, 15
	s_add_co_i32 s3, s3, 1
	s_getreg_b32 s5, hwreg(HW_REG_IB_STS2, 6, 4)
	s_mul_i32 s3, ttmp9, s3
	v_mov_b32_e32 v1, 0
	s_add_co_i32 s4, s4, s3
	s_wait_kmcnt 0x0
	s_and_b32 s6, s2, 0xffff
	s_cmp_eq_u32 s5, 0
	s_load_b64 s[2:3], s[0:1], 0x10
	s_cselect_b32 s4, ttmp9, s4
	s_delay_alu instid0(SALU_CYCLE_1) | instskip(NEXT) | instid1(VALU_DEP_1)
	v_mad_nc_u64_u32 v[4:5], s6, s4, v[0:1]
	v_lshlrev_b64_e32 v[2:3], 1, v[4:5]
	s_wait_kmcnt 0x0
	s_delay_alu instid0(VALU_DEP_1)
	v_cmp_gt_i64_e32 vcc_lo, s[2:3], v[2:3]
	s_and_saveexec_b32 s2, vcc_lo
	s_cbranch_execz .LBB2_2
; %bb.1:
	s_load_b128 s[0:3], s[0:1], 0x0
	v_alignbit_b32 v0, v5, v4, 4
	s_wait_kmcnt 0x0
	s_delay_alu instid0(VALU_DEP_1)
	v_mad_nc_i64_i32 v[6:7], v0, 22, s[0:1]
	v_and_b32_e32 v0, 15, v4
	s_clause 0x1
	global_load_b32 v3, v[6:7], off
	global_load_u16 v8, v[6:7], off offset:4
	v_add_nc_u64_e32 v[4:5], v[6:7], v[0:1]
	global_load_u8 v1, v[4:5], off offset:6
	s_wait_loadcnt 0x1
	s_wait_xcnt 0x0
	v_perm_b32 v4, v3, v8, 0x1000706
	s_delay_alu instid0(VALU_DEP_1) | instskip(NEXT) | instid1(VALU_DEP_1)
	v_lshrrev_b32_e32 v6, v0, v4
	v_dual_add_nc_u32 v5, 12, v0 :: v_dual_lshlrev_b32 v6, 4, v6
	s_wait_loadcnt 0x0
	s_delay_alu instid0(VALU_DEP_1) | instskip(SKIP_2) | instid1(VALU_DEP_2)
	v_dual_lshrrev_b32 v4, v5, v4 :: v_dual_bitop2_b32 v5, 15, v1 bitop3:0x40
	v_lshrrev_b16 v1, 4, v1
	v_and_or_b32 v0, 0xffffffe0, v2, v0
	v_and_or_b32 v1, v4, 16, v1
	s_delay_alu instid0(VALU_DEP_4) | instskip(NEXT) | instid1(VALU_DEP_2)
	v_and_or_b32 v4, v6, 16, v5
	v_cvt_f32_ubyte0_e32 v1, v1
	s_delay_alu instid0(VALU_DEP_2) | instskip(NEXT) | instid1(VALU_DEP_1)
	v_cvt_f32_ubyte0_e32 v4, v4
	v_cvt_pk_f16_f32 v1, v4, v1
	v_and_b32_e32 v4, 0xffff, v3
	s_delay_alu instid0(VALU_DEP_2) | instskip(NEXT) | instid1(VALU_DEP_2)
	v_pk_add_f16 v1, 0xcc00, v1 op_sel_hi:[0,1]
	v_lshl_or_b32 v3, v3, 16, v4
	s_delay_alu instid0(VALU_DEP_1) | instskip(NEXT) | instid1(VALU_DEP_1)
	v_pk_mul_f16 v1, v1, v3
	v_lshrrev_b32_e32 v3, 16, v1
	v_cvt_f32_f16_e32 v1, v1
	s_delay_alu instid0(VALU_DEP_2)
	v_cvt_f32_f16_e32 v2, v3
	s_clause 0x1
	global_store_b32 v0, v1, s[2:3] scale_offset
	global_store_b32 v0, v2, s[2:3] offset:64 scale_offset
.LBB2_2:
	s_endpgm
	.section	.rodata,"a",@progbits
	.p2align	6, 0x0
	.amdhsa_kernel _ZL16dequantize_blockILi32ELi2EXadL_ZL15dequantize_q5_0PKviiR7__half2EEfEvS1_PT2_l
		.amdhsa_group_segment_fixed_size 0
		.amdhsa_private_segment_fixed_size 0
		.amdhsa_kernarg_size 280
		.amdhsa_user_sgpr_count 2
		.amdhsa_user_sgpr_dispatch_ptr 0
		.amdhsa_user_sgpr_queue_ptr 0
		.amdhsa_user_sgpr_kernarg_segment_ptr 1
		.amdhsa_user_sgpr_dispatch_id 0
		.amdhsa_user_sgpr_kernarg_preload_length 0
		.amdhsa_user_sgpr_kernarg_preload_offset 0
		.amdhsa_user_sgpr_private_segment_size 0
		.amdhsa_wavefront_size32 1
		.amdhsa_uses_dynamic_stack 0
		.amdhsa_enable_private_segment 0
		.amdhsa_system_sgpr_workgroup_id_x 1
		.amdhsa_system_sgpr_workgroup_id_y 0
		.amdhsa_system_sgpr_workgroup_id_z 0
		.amdhsa_system_sgpr_workgroup_info 0
		.amdhsa_system_vgpr_workitem_id 0
		.amdhsa_next_free_vgpr 9
		.amdhsa_next_free_sgpr 7
		.amdhsa_named_barrier_count 0
		.amdhsa_reserve_vcc 1
		.amdhsa_float_round_mode_32 0
		.amdhsa_float_round_mode_16_64 0
		.amdhsa_float_denorm_mode_32 3
		.amdhsa_float_denorm_mode_16_64 3
		.amdhsa_fp16_overflow 0
		.amdhsa_memory_ordered 1
		.amdhsa_forward_progress 1
		.amdhsa_inst_pref_size 4
		.amdhsa_round_robin_scheduling 0
		.amdhsa_exception_fp_ieee_invalid_op 0
		.amdhsa_exception_fp_denorm_src 0
		.amdhsa_exception_fp_ieee_div_zero 0
		.amdhsa_exception_fp_ieee_overflow 0
		.amdhsa_exception_fp_ieee_underflow 0
		.amdhsa_exception_fp_ieee_inexact 0
		.amdhsa_exception_int_div_zero 0
	.end_amdhsa_kernel
	.section	.text._ZL16dequantize_blockILi32ELi2EXadL_ZL15dequantize_q5_0PKviiR7__half2EEfEvS1_PT2_l,"axG",@progbits,_ZL16dequantize_blockILi32ELi2EXadL_ZL15dequantize_q5_0PKviiR7__half2EEfEvS1_PT2_l,comdat
.Lfunc_end2:
	.size	_ZL16dequantize_blockILi32ELi2EXadL_ZL15dequantize_q5_0PKviiR7__half2EEfEvS1_PT2_l, .Lfunc_end2-_ZL16dequantize_blockILi32ELi2EXadL_ZL15dequantize_q5_0PKviiR7__half2EEfEvS1_PT2_l
                                        ; -- End function
	.set _ZL16dequantize_blockILi32ELi2EXadL_ZL15dequantize_q5_0PKviiR7__half2EEfEvS1_PT2_l.num_vgpr, 9
	.set _ZL16dequantize_blockILi32ELi2EXadL_ZL15dequantize_q5_0PKviiR7__half2EEfEvS1_PT2_l.num_agpr, 0
	.set _ZL16dequantize_blockILi32ELi2EXadL_ZL15dequantize_q5_0PKviiR7__half2EEfEvS1_PT2_l.numbered_sgpr, 7
	.set _ZL16dequantize_blockILi32ELi2EXadL_ZL15dequantize_q5_0PKviiR7__half2EEfEvS1_PT2_l.num_named_barrier, 0
	.set _ZL16dequantize_blockILi32ELi2EXadL_ZL15dequantize_q5_0PKviiR7__half2EEfEvS1_PT2_l.private_seg_size, 0
	.set _ZL16dequantize_blockILi32ELi2EXadL_ZL15dequantize_q5_0PKviiR7__half2EEfEvS1_PT2_l.uses_vcc, 1
	.set _ZL16dequantize_blockILi32ELi2EXadL_ZL15dequantize_q5_0PKviiR7__half2EEfEvS1_PT2_l.uses_flat_scratch, 0
	.set _ZL16dequantize_blockILi32ELi2EXadL_ZL15dequantize_q5_0PKviiR7__half2EEfEvS1_PT2_l.has_dyn_sized_stack, 0
	.set _ZL16dequantize_blockILi32ELi2EXadL_ZL15dequantize_q5_0PKviiR7__half2EEfEvS1_PT2_l.has_recursion, 0
	.set _ZL16dequantize_blockILi32ELi2EXadL_ZL15dequantize_q5_0PKviiR7__half2EEfEvS1_PT2_l.has_indirect_call, 0
	.section	.AMDGPU.csdata,"",@progbits
; Kernel info:
; codeLenInByte = 396
; TotalNumSgprs: 9
; NumVgprs: 9
; ScratchSize: 0
; MemoryBound: 0
; FloatMode: 240
; IeeeMode: 1
; LDSByteSize: 0 bytes/workgroup (compile time only)
; SGPRBlocks: 0
; VGPRBlocks: 0
; NumSGPRsForWavesPerEU: 9
; NumVGPRsForWavesPerEU: 9
; NamedBarCnt: 0
; Occupancy: 16
; WaveLimiterHint : 0
; COMPUTE_PGM_RSRC2:SCRATCH_EN: 0
; COMPUTE_PGM_RSRC2:USER_SGPR: 2
; COMPUTE_PGM_RSRC2:TRAP_HANDLER: 0
; COMPUTE_PGM_RSRC2:TGID_X_EN: 1
; COMPUTE_PGM_RSRC2:TGID_Y_EN: 0
; COMPUTE_PGM_RSRC2:TGID_Z_EN: 0
; COMPUTE_PGM_RSRC2:TIDIG_COMP_CNT: 0
	.section	.text._ZL16dequantize_blockILi32ELi2EXadL_ZL15dequantize_q5_1PKviiR7__half2EEfEvS1_PT2_l,"axG",@progbits,_ZL16dequantize_blockILi32ELi2EXadL_ZL15dequantize_q5_1PKviiR7__half2EEfEvS1_PT2_l,comdat
	.globl	_ZL16dequantize_blockILi32ELi2EXadL_ZL15dequantize_q5_1PKviiR7__half2EEfEvS1_PT2_l ; -- Begin function _ZL16dequantize_blockILi32ELi2EXadL_ZL15dequantize_q5_1PKviiR7__half2EEfEvS1_PT2_l
	.p2align	8
	.type	_ZL16dequantize_blockILi32ELi2EXadL_ZL15dequantize_q5_1PKviiR7__half2EEfEvS1_PT2_l,@function
_ZL16dequantize_blockILi32ELi2EXadL_ZL15dequantize_q5_1PKviiR7__half2EEfEvS1_PT2_l: ; @_ZL16dequantize_blockILi32ELi2EXadL_ZL15dequantize_q5_1PKviiR7__half2EEfEvS1_PT2_l
; %bb.0:
	s_load_b32 s2, s[0:1], 0x24
	s_bfe_u32 s3, ttmp6, 0x4000c
	s_and_b32 s4, ttmp6, 15
	s_add_co_i32 s3, s3, 1
	s_getreg_b32 s5, hwreg(HW_REG_IB_STS2, 6, 4)
	s_mul_i32 s3, ttmp9, s3
	v_mov_b32_e32 v1, 0
	s_add_co_i32 s4, s4, s3
	s_wait_kmcnt 0x0
	s_and_b32 s6, s2, 0xffff
	s_cmp_eq_u32 s5, 0
	s_load_b64 s[2:3], s[0:1], 0x10
	s_cselect_b32 s4, ttmp9, s4
	s_delay_alu instid0(SALU_CYCLE_1) | instskip(NEXT) | instid1(VALU_DEP_1)
	v_mad_nc_u64_u32 v[4:5], s6, s4, v[0:1]
	v_lshlrev_b64_e32 v[2:3], 1, v[4:5]
	s_wait_kmcnt 0x0
	s_delay_alu instid0(VALU_DEP_1)
	v_cmp_gt_i64_e32 vcc_lo, s[2:3], v[2:3]
	s_and_saveexec_b32 s2, vcc_lo
	s_cbranch_execz .LBB3_2
; %bb.1:
	s_load_b128 s[0:3], s[0:1], 0x0
	v_alignbit_b32 v0, v5, v4, 4
	s_wait_kmcnt 0x0
	s_delay_alu instid0(VALU_DEP_1) | instskip(SKIP_1) | instid1(VALU_DEP_1)
	v_mad_nc_i64_i32 v[6:7], v0, 24, s[0:1]
	v_and_b32_e32 v0, 15, v4
	v_add_nc_u64_e32 v[4:5], v[6:7], v[0:1]
	s_clause 0x1
	global_load_b64 v[8:9], v[6:7], off
	global_load_u8 v1, v[4:5], off offset:8
	v_add_nc_u32_e32 v3, 12, v0
	s_wait_loadcnt 0x1
	s_wait_xcnt 0x0
	s_delay_alu instid0(VALU_DEP_1)
	v_dual_lshrrev_b32 v3, v3, v9 :: v_dual_lshrrev_b32 v4, v0, v9
	v_and_or_b32 v0, 0xffffffe0, v2, v0
	s_wait_loadcnt 0x0
	v_and_b32_e32 v5, 15, v1
	v_lshrrev_b16 v1, 4, v1
	v_lshlrev_b32_e32 v4, 4, v4
	s_delay_alu instid0(VALU_DEP_2) | instskip(SKIP_1) | instid1(VALU_DEP_3)
	v_and_or_b32 v1, v3, 16, v1
	v_and_b32_e32 v3, 0xffff, v8
	v_and_or_b32 v4, v4, 16, v5
	v_lshrrev_b32_e32 v5, 16, v8
	s_delay_alu instid0(VALU_DEP_4) | instskip(NEXT) | instid1(VALU_DEP_4)
	v_cvt_f32_ubyte0_e32 v1, v1
	v_mul_u32_u24_e32 v3, 0x10001, v3
	s_delay_alu instid0(VALU_DEP_4) | instskip(NEXT) | instid1(VALU_DEP_1)
	v_cvt_f32_ubyte0_e32 v4, v4
	v_cvt_pk_f16_f32 v1, v4, v1
	v_and_or_b32 v4, 0xffff0000, v8, v5
	s_delay_alu instid0(VALU_DEP_1) | instskip(NEXT) | instid1(VALU_DEP_1)
	v_pk_fma_f16 v1, v1, v3, v4
	v_lshrrev_b32_e32 v3, 16, v1
	v_cvt_f32_f16_e32 v1, v1
	s_delay_alu instid0(VALU_DEP_2)
	v_cvt_f32_f16_e32 v2, v3
	s_clause 0x1
	global_store_b32 v0, v1, s[2:3] scale_offset
	global_store_b32 v0, v2, s[2:3] offset:64 scale_offset
.LBB3_2:
	s_endpgm
	.section	.rodata,"a",@progbits
	.p2align	6, 0x0
	.amdhsa_kernel _ZL16dequantize_blockILi32ELi2EXadL_ZL15dequantize_q5_1PKviiR7__half2EEfEvS1_PT2_l
		.amdhsa_group_segment_fixed_size 0
		.amdhsa_private_segment_fixed_size 0
		.amdhsa_kernarg_size 280
		.amdhsa_user_sgpr_count 2
		.amdhsa_user_sgpr_dispatch_ptr 0
		.amdhsa_user_sgpr_queue_ptr 0
		.amdhsa_user_sgpr_kernarg_segment_ptr 1
		.amdhsa_user_sgpr_dispatch_id 0
		.amdhsa_user_sgpr_kernarg_preload_length 0
		.amdhsa_user_sgpr_kernarg_preload_offset 0
		.amdhsa_user_sgpr_private_segment_size 0
		.amdhsa_wavefront_size32 1
		.amdhsa_uses_dynamic_stack 0
		.amdhsa_enable_private_segment 0
		.amdhsa_system_sgpr_workgroup_id_x 1
		.amdhsa_system_sgpr_workgroup_id_y 0
		.amdhsa_system_sgpr_workgroup_id_z 0
		.amdhsa_system_sgpr_workgroup_info 0
		.amdhsa_system_vgpr_workitem_id 0
		.amdhsa_next_free_vgpr 10
		.amdhsa_next_free_sgpr 7
		.amdhsa_named_barrier_count 0
		.amdhsa_reserve_vcc 1
		.amdhsa_float_round_mode_32 0
		.amdhsa_float_round_mode_16_64 0
		.amdhsa_float_denorm_mode_32 3
		.amdhsa_float_denorm_mode_16_64 3
		.amdhsa_fp16_overflow 0
		.amdhsa_memory_ordered 1
		.amdhsa_forward_progress 1
		.amdhsa_inst_pref_size 3
		.amdhsa_round_robin_scheduling 0
		.amdhsa_exception_fp_ieee_invalid_op 0
		.amdhsa_exception_fp_denorm_src 0
		.amdhsa_exception_fp_ieee_div_zero 0
		.amdhsa_exception_fp_ieee_overflow 0
		.amdhsa_exception_fp_ieee_underflow 0
		.amdhsa_exception_fp_ieee_inexact 0
		.amdhsa_exception_int_div_zero 0
	.end_amdhsa_kernel
	.section	.text._ZL16dequantize_blockILi32ELi2EXadL_ZL15dequantize_q5_1PKviiR7__half2EEfEvS1_PT2_l,"axG",@progbits,_ZL16dequantize_blockILi32ELi2EXadL_ZL15dequantize_q5_1PKviiR7__half2EEfEvS1_PT2_l,comdat
.Lfunc_end3:
	.size	_ZL16dequantize_blockILi32ELi2EXadL_ZL15dequantize_q5_1PKviiR7__half2EEfEvS1_PT2_l, .Lfunc_end3-_ZL16dequantize_blockILi32ELi2EXadL_ZL15dequantize_q5_1PKviiR7__half2EEfEvS1_PT2_l
                                        ; -- End function
	.set _ZL16dequantize_blockILi32ELi2EXadL_ZL15dequantize_q5_1PKviiR7__half2EEfEvS1_PT2_l.num_vgpr, 10
	.set _ZL16dequantize_blockILi32ELi2EXadL_ZL15dequantize_q5_1PKviiR7__half2EEfEvS1_PT2_l.num_agpr, 0
	.set _ZL16dequantize_blockILi32ELi2EXadL_ZL15dequantize_q5_1PKviiR7__half2EEfEvS1_PT2_l.numbered_sgpr, 7
	.set _ZL16dequantize_blockILi32ELi2EXadL_ZL15dequantize_q5_1PKviiR7__half2EEfEvS1_PT2_l.num_named_barrier, 0
	.set _ZL16dequantize_blockILi32ELi2EXadL_ZL15dequantize_q5_1PKviiR7__half2EEfEvS1_PT2_l.private_seg_size, 0
	.set _ZL16dequantize_blockILi32ELi2EXadL_ZL15dequantize_q5_1PKviiR7__half2EEfEvS1_PT2_l.uses_vcc, 1
	.set _ZL16dequantize_blockILi32ELi2EXadL_ZL15dequantize_q5_1PKviiR7__half2EEfEvS1_PT2_l.uses_flat_scratch, 0
	.set _ZL16dequantize_blockILi32ELi2EXadL_ZL15dequantize_q5_1PKviiR7__half2EEfEvS1_PT2_l.has_dyn_sized_stack, 0
	.set _ZL16dequantize_blockILi32ELi2EXadL_ZL15dequantize_q5_1PKviiR7__half2EEfEvS1_PT2_l.has_recursion, 0
	.set _ZL16dequantize_blockILi32ELi2EXadL_ZL15dequantize_q5_1PKviiR7__half2EEfEvS1_PT2_l.has_indirect_call, 0
	.section	.AMDGPU.csdata,"",@progbits
; Kernel info:
; codeLenInByte = 368
; TotalNumSgprs: 9
; NumVgprs: 10
; ScratchSize: 0
; MemoryBound: 0
; FloatMode: 240
; IeeeMode: 1
; LDSByteSize: 0 bytes/workgroup (compile time only)
; SGPRBlocks: 0
; VGPRBlocks: 0
; NumSGPRsForWavesPerEU: 9
; NumVGPRsForWavesPerEU: 10
; NamedBarCnt: 0
; Occupancy: 16
; WaveLimiterHint : 0
; COMPUTE_PGM_RSRC2:SCRATCH_EN: 0
; COMPUTE_PGM_RSRC2:USER_SGPR: 2
; COMPUTE_PGM_RSRC2:TRAP_HANDLER: 0
; COMPUTE_PGM_RSRC2:TGID_X_EN: 1
; COMPUTE_PGM_RSRC2:TGID_Y_EN: 0
; COMPUTE_PGM_RSRC2:TGID_Z_EN: 0
; COMPUTE_PGM_RSRC2:TIDIG_COMP_CNT: 0
	.section	.text._ZL16dequantize_blockILi32ELi1EXadL_ZL15dequantize_q8_0PKviiR7__half2EEfEvS1_PT2_l,"axG",@progbits,_ZL16dequantize_blockILi32ELi1EXadL_ZL15dequantize_q8_0PKviiR7__half2EEfEvS1_PT2_l,comdat
	.globl	_ZL16dequantize_blockILi32ELi1EXadL_ZL15dequantize_q8_0PKviiR7__half2EEfEvS1_PT2_l ; -- Begin function _ZL16dequantize_blockILi32ELi1EXadL_ZL15dequantize_q8_0PKviiR7__half2EEfEvS1_PT2_l
	.p2align	8
	.type	_ZL16dequantize_blockILi32ELi1EXadL_ZL15dequantize_q8_0PKviiR7__half2EEfEvS1_PT2_l,@function
_ZL16dequantize_blockILi32ELi1EXadL_ZL15dequantize_q8_0PKviiR7__half2EEfEvS1_PT2_l: ; @_ZL16dequantize_blockILi32ELi1EXadL_ZL15dequantize_q8_0PKviiR7__half2EEfEvS1_PT2_l
; %bb.0:
	s_load_b32 s2, s[0:1], 0x24
	s_bfe_u32 s3, ttmp6, 0x4000c
	s_and_b32 s4, ttmp6, 15
	s_add_co_i32 s3, s3, 1
	s_getreg_b32 s5, hwreg(HW_REG_IB_STS2, 6, 4)
	s_mul_i32 s3, ttmp9, s3
	v_mov_b32_e32 v1, 0
	s_add_co_i32 s4, s4, s3
	s_wait_kmcnt 0x0
	s_and_b32 s6, s2, 0xffff
	s_cmp_eq_u32 s5, 0
	s_load_b64 s[2:3], s[0:1], 0x10
	s_cselect_b32 s4, ttmp9, s4
	s_delay_alu instid0(SALU_CYCLE_1) | instskip(NEXT) | instid1(VALU_DEP_1)
	v_mad_nc_u64_u32 v[2:3], s6, s4, v[0:1]
	v_lshlrev_b64_e32 v[4:5], 1, v[2:3]
	s_wait_kmcnt 0x0
	s_delay_alu instid0(VALU_DEP_1)
	v_cmp_gt_i64_e32 vcc_lo, s[2:3], v[4:5]
	s_and_saveexec_b32 s2, vcc_lo
	s_cbranch_execz .LBB4_2
; %bb.1:
	s_load_b128 s[0:3], s[0:1], 0x0
	v_alignbit_b32 v0, v3, v2, 4
	s_wait_kmcnt 0x0
	s_delay_alu instid0(VALU_DEP_1) | instskip(SKIP_1) | instid1(VALU_DEP_1)
	v_mad_nc_i64_i32 v[6:7], v0, 34, s[0:1]
	v_and_b32_e32 v0, 30, v4
	v_add_nc_u64_e32 v[4:5], v[6:7], v[0:1]
	s_clause 0x1
	global_load_u16 v0, v[4:5], off offset:2
	global_load_u16 v3, v[6:7], off
	s_wait_loadcnt 0x1
	s_wait_xcnt 0x1
	v_ashrrev_i16 v4, 8, v0
	v_bfe_i32 v0, v0, 0, 8
	s_wait_loadcnt 0x0
	v_lshl_or_b32 v5, v3, 16, v3
	v_lshlrev_b32_e32 v3, 1, v2
	v_cvt_f16_i16_e32 v4, v4
	v_cvt_f16_i16_e32 v0, v0
	s_delay_alu instid0(VALU_DEP_1) | instskip(NEXT) | instid1(VALU_DEP_1)
	v_pack_b32_f16 v0, v0, v4
	v_pk_mul_f16 v4, v0, v5
	v_mov_b32_e32 v2, v1
	s_delay_alu instid0(VALU_DEP_1) | instskip(NEXT) | instid1(VALU_DEP_3)
	v_ashrrev_i64 v[0:1], 30, v[2:3]
	v_lshrrev_b32_e32 v3, 16, v4
	v_cvt_f32_f16_e32 v2, v4
	s_delay_alu instid0(VALU_DEP_2) | instskip(NEXT) | instid1(VALU_DEP_4)
	v_cvt_f32_f16_e32 v3, v3
	v_add_nc_u64_e32 v[0:1], s[2:3], v[0:1]
	global_store_b64 v[0:1], v[2:3], off
.LBB4_2:
	s_endpgm
	.section	.rodata,"a",@progbits
	.p2align	6, 0x0
	.amdhsa_kernel _ZL16dequantize_blockILi32ELi1EXadL_ZL15dequantize_q8_0PKviiR7__half2EEfEvS1_PT2_l
		.amdhsa_group_segment_fixed_size 0
		.amdhsa_private_segment_fixed_size 0
		.amdhsa_kernarg_size 280
		.amdhsa_user_sgpr_count 2
		.amdhsa_user_sgpr_dispatch_ptr 0
		.amdhsa_user_sgpr_queue_ptr 0
		.amdhsa_user_sgpr_kernarg_segment_ptr 1
		.amdhsa_user_sgpr_dispatch_id 0
		.amdhsa_user_sgpr_kernarg_preload_length 0
		.amdhsa_user_sgpr_kernarg_preload_offset 0
		.amdhsa_user_sgpr_private_segment_size 0
		.amdhsa_wavefront_size32 1
		.amdhsa_uses_dynamic_stack 0
		.amdhsa_enable_private_segment 0
		.amdhsa_system_sgpr_workgroup_id_x 1
		.amdhsa_system_sgpr_workgroup_id_y 0
		.amdhsa_system_sgpr_workgroup_id_z 0
		.amdhsa_system_sgpr_workgroup_info 0
		.amdhsa_system_vgpr_workitem_id 0
		.amdhsa_next_free_vgpr 8
		.amdhsa_next_free_sgpr 7
		.amdhsa_named_barrier_count 0
		.amdhsa_reserve_vcc 1
		.amdhsa_float_round_mode_32 0
		.amdhsa_float_round_mode_16_64 0
		.amdhsa_float_denorm_mode_32 3
		.amdhsa_float_denorm_mode_16_64 3
		.amdhsa_fp16_overflow 0
		.amdhsa_memory_ordered 1
		.amdhsa_forward_progress 1
		.amdhsa_inst_pref_size 3
		.amdhsa_round_robin_scheduling 0
		.amdhsa_exception_fp_ieee_invalid_op 0
		.amdhsa_exception_fp_denorm_src 0
		.amdhsa_exception_fp_ieee_div_zero 0
		.amdhsa_exception_fp_ieee_overflow 0
		.amdhsa_exception_fp_ieee_underflow 0
		.amdhsa_exception_fp_ieee_inexact 0
		.amdhsa_exception_int_div_zero 0
	.end_amdhsa_kernel
	.section	.text._ZL16dequantize_blockILi32ELi1EXadL_ZL15dequantize_q8_0PKviiR7__half2EEfEvS1_PT2_l,"axG",@progbits,_ZL16dequantize_blockILi32ELi1EXadL_ZL15dequantize_q8_0PKviiR7__half2EEfEvS1_PT2_l,comdat
.Lfunc_end4:
	.size	_ZL16dequantize_blockILi32ELi1EXadL_ZL15dequantize_q8_0PKviiR7__half2EEfEvS1_PT2_l, .Lfunc_end4-_ZL16dequantize_blockILi32ELi1EXadL_ZL15dequantize_q8_0PKviiR7__half2EEfEvS1_PT2_l
                                        ; -- End function
	.set _ZL16dequantize_blockILi32ELi1EXadL_ZL15dequantize_q8_0PKviiR7__half2EEfEvS1_PT2_l.num_vgpr, 8
	.set _ZL16dequantize_blockILi32ELi1EXadL_ZL15dequantize_q8_0PKviiR7__half2EEfEvS1_PT2_l.num_agpr, 0
	.set _ZL16dequantize_blockILi32ELi1EXadL_ZL15dequantize_q8_0PKviiR7__half2EEfEvS1_PT2_l.numbered_sgpr, 7
	.set _ZL16dequantize_blockILi32ELi1EXadL_ZL15dequantize_q8_0PKviiR7__half2EEfEvS1_PT2_l.num_named_barrier, 0
	.set _ZL16dequantize_blockILi32ELi1EXadL_ZL15dequantize_q8_0PKviiR7__half2EEfEvS1_PT2_l.private_seg_size, 0
	.set _ZL16dequantize_blockILi32ELi1EXadL_ZL15dequantize_q8_0PKviiR7__half2EEfEvS1_PT2_l.uses_vcc, 1
	.set _ZL16dequantize_blockILi32ELi1EXadL_ZL15dequantize_q8_0PKviiR7__half2EEfEvS1_PT2_l.uses_flat_scratch, 0
	.set _ZL16dequantize_blockILi32ELi1EXadL_ZL15dequantize_q8_0PKviiR7__half2EEfEvS1_PT2_l.has_dyn_sized_stack, 0
	.set _ZL16dequantize_blockILi32ELi1EXadL_ZL15dequantize_q8_0PKviiR7__half2EEfEvS1_PT2_l.has_recursion, 0
	.set _ZL16dequantize_blockILi32ELi1EXadL_ZL15dequantize_q8_0PKviiR7__half2EEfEvS1_PT2_l.has_indirect_call, 0
	.section	.AMDGPU.csdata,"",@progbits
; Kernel info:
; codeLenInByte = 292
; TotalNumSgprs: 9
; NumVgprs: 8
; ScratchSize: 0
; MemoryBound: 0
; FloatMode: 240
; IeeeMode: 1
; LDSByteSize: 0 bytes/workgroup (compile time only)
; SGPRBlocks: 0
; VGPRBlocks: 0
; NumSGPRsForWavesPerEU: 9
; NumVGPRsForWavesPerEU: 8
; NamedBarCnt: 0
; Occupancy: 16
; WaveLimiterHint : 0
; COMPUTE_PGM_RSRC2:SCRATCH_EN: 0
; COMPUTE_PGM_RSRC2:USER_SGPR: 2
; COMPUTE_PGM_RSRC2:TRAP_HANDLER: 0
; COMPUTE_PGM_RSRC2:TGID_X_EN: 1
; COMPUTE_PGM_RSRC2:TGID_Y_EN: 0
; COMPUTE_PGM_RSRC2:TGID_Z_EN: 0
; COMPUTE_PGM_RSRC2:TIDIG_COMP_CNT: 0
	.section	.text._ZL21dequantize_block_q2_KIfEvPKvPT_,"axG",@progbits,_ZL21dequantize_block_q2_KIfEvPKvPT_,comdat
	.globl	_ZL21dequantize_block_q2_KIfEvPKvPT_ ; -- Begin function _ZL21dequantize_block_q2_KIfEvPKvPT_
	.p2align	8
	.type	_ZL21dequantize_block_q2_KIfEvPKvPT_,@function
_ZL21dequantize_block_q2_KIfEvPKvPT_:   ; @_ZL21dequantize_block_q2_KIfEvPKvPT_
; %bb.0:
	s_load_b128 s[0:3], s[0:1], 0x0
	s_bfe_u32 s4, ttmp6, 0x4000c
	s_and_b32 s5, ttmp6, 15
	s_add_co_i32 s4, s4, 1
	s_getreg_b32 s6, hwreg(HW_REG_IB_STS2, 6, 4)
	s_mul_i32 s4, ttmp9, s4
	v_dual_lshrrev_b32 v1, 5, v0 :: v_dual_mov_b32 v3, 0
	v_bfe_u32 v2, v0, 4, 1
	s_add_co_i32 s4, s5, s4
	s_cmp_eq_u32 s6, 0
	s_mov_b32 s5, 0
	s_cselect_b32 s4, ttmp9, s4
	v_lshl_or_b32 v2, v1, 3, v2
	s_mul_u64 s[6:7], s[4:5], 0x54
	s_lshl_b32 s4, s4, 8
	v_and_b32_e32 v9, 31, v0
	s_wait_kmcnt 0x0
	s_add_nc_u64 s[0:1], s[0:1], s[6:7]
	s_clause 0x4
	global_load_u8 v4, v2, s[0:1]
	global_load_u8 v5, v0, s[0:1] offset:16
	global_load_u8 v6, v2, s[0:1] offset:2
	;; [unrolled: 1-line block ×4, first 2 shown]
	s_wait_xcnt 0x0
	v_lshlrev_b32_e32 v2, 9, v1
	s_load_b32 s6, s[0:1], 0x50
	s_wait_xcnt 0x0
	s_lshl_b64 s[0:1], s[4:5], 2
	s_delay_alu instid0(SALU_CYCLE_1) | instskip(NEXT) | instid1(SALU_CYCLE_1)
	s_add_nc_u64 s[0:1], s[2:3], s[0:1]
	v_add_nc_u64_e32 v[0:1], s[0:1], v[2:3]
	s_wait_kmcnt 0x0
	s_lshr_b32 s0, s6, 16
	s_wait_loadcnt 0x4
	v_and_b32_e32 v2, 15, v4
	s_wait_loadcnt 0x3
	v_and_b32_e32 v10, 3, v5
	;; [unrolled: 2-line block ×5, first 2 shown]
	v_bfe_u32 v12, v5, 2, 2
	v_bfe_u32 v14, v5, 4, 2
	v_lshrrev_b32_e32 v5, 6, v5
	v_and_b32_e32 v2, 0xffff, v2
	v_and_b32_e32 v11, 0xffff, v11
	;; [unrolled: 1-line block ×4, first 2 shown]
	v_lshrrev_b16 v4, 4, v4
	v_mul_u32_u24_e32 v2, v10, v2
	v_lshrrev_b16 v6, 4, v6
	v_mul_u32_u24_e32 v10, v12, v11
	;; [unrolled: 2-line block ×4, first 2 shown]
	v_cvt_f16_u16_e32 v4, v4
	v_cvt_f32_ubyte0_e32 v2, v2
	v_cvt_f16_u16_e32 v6, v6
	v_cvt_f32_ubyte0_e32 v10, v10
	;; [unrolled: 2-line block ×4, first 2 shown]
	v_mul_f16_e32 v4, s0, v4
	v_cvt_f16_f32_e32 v12, v2
	v_mul_f16_e32 v6, s0, v6
	v_cvt_f16_f32_e32 v10, v10
	;; [unrolled: 2-line block ×4, first 2 shown]
	v_lshlrev_b32_e32 v2, 2, v9
	v_fma_f16 v4, s6, v12, -v4
	v_fma_f16 v6, s6, v10, -v6
	;; [unrolled: 1-line block ×4, first 2 shown]
	v_add_nc_u64_e32 v[0:1], v[0:1], v[2:3]
	v_cvt_f32_f16_e32 v2, v4
	v_cvt_f32_f16_e32 v3, v6
	;; [unrolled: 1-line block ×4, first 2 shown]
	s_clause 0x3
	global_store_b32 v[0:1], v2, off
	global_store_b32 v[0:1], v3, off offset:128
	global_store_b32 v[0:1], v4, off offset:256
	;; [unrolled: 1-line block ×3, first 2 shown]
	s_endpgm
	.section	.rodata,"a",@progbits
	.p2align	6, 0x0
	.amdhsa_kernel _ZL21dequantize_block_q2_KIfEvPKvPT_
		.amdhsa_group_segment_fixed_size 0
		.amdhsa_private_segment_fixed_size 0
		.amdhsa_kernarg_size 16
		.amdhsa_user_sgpr_count 2
		.amdhsa_user_sgpr_dispatch_ptr 0
		.amdhsa_user_sgpr_queue_ptr 0
		.amdhsa_user_sgpr_kernarg_segment_ptr 1
		.amdhsa_user_sgpr_dispatch_id 0
		.amdhsa_user_sgpr_kernarg_preload_length 0
		.amdhsa_user_sgpr_kernarg_preload_offset 0
		.amdhsa_user_sgpr_private_segment_size 0
		.amdhsa_wavefront_size32 1
		.amdhsa_uses_dynamic_stack 0
		.amdhsa_enable_private_segment 0
		.amdhsa_system_sgpr_workgroup_id_x 1
		.amdhsa_system_sgpr_workgroup_id_y 0
		.amdhsa_system_sgpr_workgroup_id_z 0
		.amdhsa_system_sgpr_workgroup_info 0
		.amdhsa_system_vgpr_workitem_id 0
		.amdhsa_next_free_vgpr 16
		.amdhsa_next_free_sgpr 8
		.amdhsa_named_barrier_count 0
		.amdhsa_reserve_vcc 0
		.amdhsa_float_round_mode_32 0
		.amdhsa_float_round_mode_16_64 0
		.amdhsa_float_denorm_mode_32 3
		.amdhsa_float_denorm_mode_16_64 3
		.amdhsa_fp16_overflow 0
		.amdhsa_memory_ordered 1
		.amdhsa_forward_progress 1
		.amdhsa_inst_pref_size 5
		.amdhsa_round_robin_scheduling 0
		.amdhsa_exception_fp_ieee_invalid_op 0
		.amdhsa_exception_fp_denorm_src 0
		.amdhsa_exception_fp_ieee_div_zero 0
		.amdhsa_exception_fp_ieee_overflow 0
		.amdhsa_exception_fp_ieee_underflow 0
		.amdhsa_exception_fp_ieee_inexact 0
		.amdhsa_exception_int_div_zero 0
	.end_amdhsa_kernel
	.section	.text._ZL21dequantize_block_q2_KIfEvPKvPT_,"axG",@progbits,_ZL21dequantize_block_q2_KIfEvPKvPT_,comdat
.Lfunc_end5:
	.size	_ZL21dequantize_block_q2_KIfEvPKvPT_, .Lfunc_end5-_ZL21dequantize_block_q2_KIfEvPKvPT_
                                        ; -- End function
	.set _ZL21dequantize_block_q2_KIfEvPKvPT_.num_vgpr, 16
	.set _ZL21dequantize_block_q2_KIfEvPKvPT_.num_agpr, 0
	.set _ZL21dequantize_block_q2_KIfEvPKvPT_.numbered_sgpr, 8
	.set _ZL21dequantize_block_q2_KIfEvPKvPT_.num_named_barrier, 0
	.set _ZL21dequantize_block_q2_KIfEvPKvPT_.private_seg_size, 0
	.set _ZL21dequantize_block_q2_KIfEvPKvPT_.uses_vcc, 0
	.set _ZL21dequantize_block_q2_KIfEvPKvPT_.uses_flat_scratch, 0
	.set _ZL21dequantize_block_q2_KIfEvPKvPT_.has_dyn_sized_stack, 0
	.set _ZL21dequantize_block_q2_KIfEvPKvPT_.has_recursion, 0
	.set _ZL21dequantize_block_q2_KIfEvPKvPT_.has_indirect_call, 0
	.section	.AMDGPU.csdata,"",@progbits
; Kernel info:
; codeLenInByte = 524
; TotalNumSgprs: 8
; NumVgprs: 16
; ScratchSize: 0
; MemoryBound: 0
; FloatMode: 240
; IeeeMode: 1
; LDSByteSize: 0 bytes/workgroup (compile time only)
; SGPRBlocks: 0
; VGPRBlocks: 0
; NumSGPRsForWavesPerEU: 8
; NumVGPRsForWavesPerEU: 16
; NamedBarCnt: 0
; Occupancy: 16
; WaveLimiterHint : 0
; COMPUTE_PGM_RSRC2:SCRATCH_EN: 0
; COMPUTE_PGM_RSRC2:USER_SGPR: 2
; COMPUTE_PGM_RSRC2:TRAP_HANDLER: 0
; COMPUTE_PGM_RSRC2:TGID_X_EN: 1
; COMPUTE_PGM_RSRC2:TGID_Y_EN: 0
; COMPUTE_PGM_RSRC2:TGID_Z_EN: 0
; COMPUTE_PGM_RSRC2:TIDIG_COMP_CNT: 0
	.section	.text._ZL21dequantize_block_q3_KIfEvPKvPT_,"axG",@progbits,_ZL21dequantize_block_q3_KIfEvPKvPT_,comdat
	.globl	_ZL21dequantize_block_q3_KIfEvPKvPT_ ; -- Begin function _ZL21dequantize_block_q3_KIfEvPKvPT_
	.p2align	8
	.type	_ZL21dequantize_block_q3_KIfEvPKvPT_,@function
_ZL21dequantize_block_q3_KIfEvPKvPT_:   ; @_ZL21dequantize_block_q3_KIfEvPKvPT_
; %bb.0:
	v_dual_lshrrev_b32 v9, 5, v0 :: v_dual_lshrrev_b32 v6, 3, v0
	v_bfe_u32 v8, v0, 2, 1
	s_bfe_u32 s4, ttmp6, 0x4000c
	s_load_b64 s[2:3], s[0:1], 0x0
	s_delay_alu instid0(VALU_DEP_2)
	v_lshlrev_b32_e32 v1, 2, v9
	s_add_co_i32 s4, s4, 1
	s_and_b32 s5, ttmp6, 15
	s_mul_i32 s4, ttmp9, s4
	s_getreg_b32 s6, hwreg(HW_REG_IB_STS2, 6, 4)
	v_sub_nc_u32_e32 v7, v6, v1
	s_add_co_i32 s5, s5, s4
	s_cmp_eq_u32 s6, 0
	s_mov_b32 s7, 0
	s_cselect_b32 s4, ttmp9, s5
	v_lshlrev_b32_e32 v1, 1, v7
	s_mov_b32 s6, s4
                                        ; implicit-def: $vgpr10
                                        ; implicit-def: $vgpr5
	s_mov_b32 s5, exec_lo
	v_mov_b64_e32 v[2:3], s[6:7]
	s_delay_alu instid0(VALU_DEP_2) | instskip(NEXT) | instid1(VALU_DEP_1)
	v_lshl_add_u32 v11, v9, 3, v1
	v_or_b32_e32 v4, v11, v8
	s_delay_alu instid0(VALU_DEP_1)
	v_cmpx_lt_i32_e32 3, v4
	s_xor_b32 s8, exec_lo, s5
	s_cbranch_execz .LBB6_10
; %bb.1:
	v_mov_b64_e32 v[2:3], s[6:7]
                                        ; implicit-def: $vgpr10
                                        ; implicit-def: $vgpr5
	s_mov_b32 s5, exec_lo
	v_cmpx_lt_u32_e32 7, v11
	s_xor_b32 s9, exec_lo, s5
	s_cbranch_execz .LBB6_7
; %bb.2:
	s_mov_b32 s5, 0
	v_mov_b32_e32 v5, 0
	s_mul_u64 s[10:11], s[4:5], 0x6e
	s_wait_kmcnt 0x0
	s_add_nc_u64 s[10:11], s[2:3], s[10:11]
	global_load_u8 v10, v4, s[10:11] offset:88
	v_add_nc_u64_e32 v[2:3], s[10:11], v[4:5]
	s_wait_xcnt 0x0
	s_mov_b32 s10, exec_lo
                                        ; implicit-def: $vgpr5
	v_cmpx_lt_u32_e32 11, v11
	s_xor_b32 s10, exec_lo, s10
	s_cbranch_execz .LBB6_4
; %bb.3:
	global_load_u8 v2, v[2:3], off offset:92
	s_wait_loadcnt 0x0
	v_lshrrev_b16 v5, 2, v2
                                        ; implicit-def: $vgpr2_vgpr3
.LBB6_4:
	s_and_not1_saveexec_b32 s10, s10
	s_cbranch_execz .LBB6_6
; %bb.5:
	global_load_u8 v5, v[2:3], off offset:96
.LBB6_6:
	s_wait_xcnt 0x0
	s_or_b32 exec_lo, exec_lo, s10
	s_wait_loadcnt 0x0
	v_lshrrev_b16 v10, 4, v10
	v_mov_b64_e32 v[2:3], s[4:5]
                                        ; implicit-def: $vgpr4
.LBB6_7:
	s_and_not1_saveexec_b32 s5, s9
	s_cbranch_execz .LBB6_9
; %bb.8:
	s_mul_u64 s[10:11], s[6:7], 0x6e
	s_wait_kmcnt 0x0
	s_add_nc_u64 s[10:11], s[2:3], s[10:11]
	s_clause 0x1
	global_load_u8 v3, v4, s[10:11] offset:96
	global_load_u8 v5, v4, s[10:11] offset:100
	s_wait_loadcnt 0x1
	v_and_b32_e32 v10, 15, v3
	s_wait_loadcnt 0x0
	v_lshlrev_b16 v5, 2, v5
.LBB6_9:
	s_or_b32 exec_lo, exec_lo, s5
                                        ; implicit-def: $vgpr4
.LBB6_10:
	s_or_saveexec_b32 s5, s8
	s_wait_xcnt 0x0
	s_load_b64 s[0:1], s[0:1], 0x8
	s_xor_b32 exec_lo, exec_lo, s5
	s_cbranch_execz .LBB6_12
; %bb.11:
	s_mul_u64 s[6:7], s[6:7], 0x6e
	s_wait_kmcnt 0x0
	s_add_nc_u64 s[6:7], s[2:3], s[6:7]
	s_clause 0x1
	global_load_u8 v3, v4, s[6:7] offset:96
	global_load_u8 v5, v4, s[6:7] offset:104
	s_wait_loadcnt 0x1
	v_and_b32_e32 v10, 15, v3
	s_wait_loadcnt 0x0
	v_lshlrev_b16 v5, 4, v5
.LBB6_12:
	s_or_b32 exec_lo, exec_lo, s5
	s_wait_kmcnt 0x0
	v_mad_nc_u64_u32 v[2:3], 0x6e, v2, s[2:3]
	s_lshl_b32 s2, s4, 8
	s_mov_b32 s3, 0
	v_dual_mov_b32 v13, 0 :: v_dual_lshlrev_b32 v12, 9, v9
	s_lshl_b64 s[2:3], s[2:3], 2
	v_lshlrev_b32_e32 v4, 2, v0
	s_add_nc_u64 s[0:1], s[0:1], s[2:3]
	s_delay_alu instid0(VALU_DEP_2) | instid1(SALU_CYCLE_1)
	v_add_nc_u64_e32 v[14:15], s[0:1], v[12:13]
	v_and_b32_e32 v12, 0x3e0, v0
	s_delay_alu instid0(VALU_DEP_3) | instskip(NEXT) | instid1(VALU_DEP_2)
	v_dual_mov_b32 v9, v13 :: v_dual_bitop2_b32 v0, 12, v4 bitop3:0x40
	v_add_nc_u64_e32 v[16:17], v[2:3], v[12:13]
	s_delay_alu instid0(VALU_DEP_2) | instskip(NEXT) | instid1(VALU_DEP_1)
	v_lshl_or_b32 v8, v8, 4, v0
	v_add_nc_u64_e32 v[16:17], v[16:17], v[8:9]
	v_add_nc_u64_e32 v[18:19], v[2:3], v[8:9]
	s_clause 0x2
	global_load_b32 v4, v[16:17], off offset:32
	global_load_b32 v9, v[18:19], off
	global_load_u16 v11, v[2:3], off offset:108
	s_wait_xcnt 0x0
	v_lshlrev_b32_e64 v3, v6, 1
	v_bitop3_b16 v2, v5, v10, 48 bitop3:0xec
	v_lshlrev_b32_e32 v0, 5, v7
	s_delay_alu instid0(VALU_DEP_2) | instskip(NEXT) | instid1(VALU_DEP_1)
	v_and_b32_e32 v2, 0xff, v2
	v_subrev_nc_u32_e32 v2, 32, v2
	s_delay_alu instid0(VALU_DEP_1) | instskip(NEXT) | instid1(VALU_DEP_1)
	v_cvt_f32_i32_e32 v2, v2
	v_cvt_f16_f32_e32 v2, v2
	s_wait_loadcnt 0x2
	v_lshrrev_b32_e32 v5, 24, v4
	s_wait_loadcnt 0x1
	v_bfe_u32 v16, v9, 8, 8
	v_and_b32_e32 v12, 0xff, v9
	v_and_b32_e32 v6, 0xff, v4
	v_bfe_u32 v7, v4, 8, 8
	s_delay_alu instid0(VALU_DEP_4)
	v_dual_lshrrev_b32 v10, 24, v9 :: v_dual_bitop2_b32 v16, v3, v16 bitop3:0x40
	v_lshrrev_b32_e32 v5, v1, v5
	v_bfe_u32 v4, v4, 16, 8
	v_bfe_u32 v9, v9, 16, 8
	v_and_b32_e32 v12, v3, v12
	v_cmp_eq_u32_e32 vcc_lo, 0, v16
	v_dual_lshrrev_b32 v7, v1, v7 :: v_dual_lshrrev_b32 v6, v1, v6
	v_dual_lshrrev_b32 v1, v1, v4 :: v_dual_bitop2_b32 v4, v3, v10 bitop3:0x40
	v_and_b32_e32 v3, v3, v9
	v_cndmask_b32_e64 v9, 0, -4, vcc_lo
	v_cmp_eq_u32_e32 vcc_lo, 0, v12
	v_dual_lshlrev_b32 v12, 2, v8 :: v_dual_bitop2_b32 v7, 3, v7 bitop3:0x40
	v_and_b32_e32 v6, 3, v6
	v_and_b32_e32 v5, 3, v5
	v_cndmask_b32_e64 v10, 0, -4, vcc_lo
	v_cmp_eq_u32_e32 vcc_lo, 0, v4
	v_and_b32_e32 v1, 3, v1
	v_or_b32_e32 v7, v9, v7
	s_wait_loadcnt 0x0
	v_mul_f16_e32 v2, v11, v2
	v_or_b32_e32 v6, v10, v6
	v_cndmask_b32_e64 v4, 0, -4, vcc_lo
	v_cmp_eq_u32_e32 vcc_lo, 0, v3
	s_delay_alu instid0(VALU_DEP_2) | instskip(SKIP_2) | instid1(VALU_DEP_3)
	v_or_b32_e32 v4, v4, v5
	v_cndmask_b32_e64 v3, 0, -4, vcc_lo
	v_cvt_f32_i32_e32 v5, v6
	v_cvt_f32_i32_e32 v4, v4
	s_delay_alu instid0(VALU_DEP_3) | instskip(SKIP_1) | instid1(VALU_DEP_4)
	v_or_b32_e32 v1, v3, v1
	v_cvt_f32_i32_e32 v3, v7
	v_cvt_f16_f32_e32 v5, v5
	s_delay_alu instid0(VALU_DEP_4) | instskip(NEXT) | instid1(VALU_DEP_4)
	v_cvt_f16_f32_e32 v4, v4
	v_cvt_f32_i32_e32 v1, v1
	s_delay_alu instid0(VALU_DEP_4) | instskip(NEXT) | instid1(VALU_DEP_2)
	v_cvt_f16_f32_e32 v3, v3
	v_cvt_f16_f32_e32 v6, v1
	s_delay_alu instid0(VALU_DEP_2) | instskip(SKIP_1) | instid1(VALU_DEP_3)
	v_pack_b32_f16 v3, v5, v3
	v_ashrrev_i32_e32 v1, 31, v0
	v_pack_b32_f16 v4, v6, v4
	s_delay_alu instid0(VALU_DEP_3) | instskip(NEXT) | instid1(VALU_DEP_3)
	v_pk_mul_f16 v3, v2, v3 op_sel_hi:[0,1]
	v_lshl_add_u64 v[0:1], v[0:1], 2, v[14:15]
	s_delay_alu instid0(VALU_DEP_3) | instskip(NEXT) | instid1(VALU_DEP_3)
	v_pk_mul_f16 v2, v2, v4 op_sel_hi:[0,1]
	v_lshrrev_b32_e32 v6, 16, v3
	s_delay_alu instid0(VALU_DEP_3) | instskip(SKIP_1) | instid1(VALU_DEP_4)
	v_add_nc_u64_e32 v[4:5], v[0:1], v[12:13]
	v_cvt_f32_f16_e32 v0, v3
	v_lshrrev_b32_e32 v7, 16, v2
	v_cvt_f32_f16_e32 v2, v2
	v_cvt_f32_f16_e32 v1, v6
	s_delay_alu instid0(VALU_DEP_3)
	v_cvt_f32_f16_e32 v3, v7
	global_store_b128 v[4:5], v[0:3], off
	s_endpgm
	.section	.rodata,"a",@progbits
	.p2align	6, 0x0
	.amdhsa_kernel _ZL21dequantize_block_q3_KIfEvPKvPT_
		.amdhsa_group_segment_fixed_size 0
		.amdhsa_private_segment_fixed_size 0
		.amdhsa_kernarg_size 16
		.amdhsa_user_sgpr_count 2
		.amdhsa_user_sgpr_dispatch_ptr 0
		.amdhsa_user_sgpr_queue_ptr 0
		.amdhsa_user_sgpr_kernarg_segment_ptr 1
		.amdhsa_user_sgpr_dispatch_id 0
		.amdhsa_user_sgpr_kernarg_preload_length 0
		.amdhsa_user_sgpr_kernarg_preload_offset 0
		.amdhsa_user_sgpr_private_segment_size 0
		.amdhsa_wavefront_size32 1
		.amdhsa_uses_dynamic_stack 0
		.amdhsa_enable_private_segment 0
		.amdhsa_system_sgpr_workgroup_id_x 1
		.amdhsa_system_sgpr_workgroup_id_y 0
		.amdhsa_system_sgpr_workgroup_id_z 0
		.amdhsa_system_sgpr_workgroup_info 0
		.amdhsa_system_vgpr_workitem_id 0
		.amdhsa_next_free_vgpr 20
		.amdhsa_next_free_sgpr 12
		.amdhsa_named_barrier_count 0
		.amdhsa_reserve_vcc 1
		.amdhsa_float_round_mode_32 0
		.amdhsa_float_round_mode_16_64 0
		.amdhsa_float_denorm_mode_32 3
		.amdhsa_float_denorm_mode_16_64 3
		.amdhsa_fp16_overflow 0
		.amdhsa_memory_ordered 1
		.amdhsa_forward_progress 1
		.amdhsa_inst_pref_size 8
		.amdhsa_round_robin_scheduling 0
		.amdhsa_exception_fp_ieee_invalid_op 0
		.amdhsa_exception_fp_denorm_src 0
		.amdhsa_exception_fp_ieee_div_zero 0
		.amdhsa_exception_fp_ieee_overflow 0
		.amdhsa_exception_fp_ieee_underflow 0
		.amdhsa_exception_fp_ieee_inexact 0
		.amdhsa_exception_int_div_zero 0
	.end_amdhsa_kernel
	.section	.text._ZL21dequantize_block_q3_KIfEvPKvPT_,"axG",@progbits,_ZL21dequantize_block_q3_KIfEvPKvPT_,comdat
.Lfunc_end6:
	.size	_ZL21dequantize_block_q3_KIfEvPKvPT_, .Lfunc_end6-_ZL21dequantize_block_q3_KIfEvPKvPT_
                                        ; -- End function
	.set _ZL21dequantize_block_q3_KIfEvPKvPT_.num_vgpr, 20
	.set _ZL21dequantize_block_q3_KIfEvPKvPT_.num_agpr, 0
	.set _ZL21dequantize_block_q3_KIfEvPKvPT_.numbered_sgpr, 12
	.set _ZL21dequantize_block_q3_KIfEvPKvPT_.num_named_barrier, 0
	.set _ZL21dequantize_block_q3_KIfEvPKvPT_.private_seg_size, 0
	.set _ZL21dequantize_block_q3_KIfEvPKvPT_.uses_vcc, 1
	.set _ZL21dequantize_block_q3_KIfEvPKvPT_.uses_flat_scratch, 0
	.set _ZL21dequantize_block_q3_KIfEvPKvPT_.has_dyn_sized_stack, 0
	.set _ZL21dequantize_block_q3_KIfEvPKvPT_.has_recursion, 0
	.set _ZL21dequantize_block_q3_KIfEvPKvPT_.has_indirect_call, 0
	.section	.AMDGPU.csdata,"",@progbits
; Kernel info:
; codeLenInByte = 1000
; TotalNumSgprs: 14
; NumVgprs: 20
; ScratchSize: 0
; MemoryBound: 0
; FloatMode: 240
; IeeeMode: 1
; LDSByteSize: 0 bytes/workgroup (compile time only)
; SGPRBlocks: 0
; VGPRBlocks: 1
; NumSGPRsForWavesPerEU: 14
; NumVGPRsForWavesPerEU: 20
; NamedBarCnt: 0
; Occupancy: 16
; WaveLimiterHint : 0
; COMPUTE_PGM_RSRC2:SCRATCH_EN: 0
; COMPUTE_PGM_RSRC2:USER_SGPR: 2
; COMPUTE_PGM_RSRC2:TRAP_HANDLER: 0
; COMPUTE_PGM_RSRC2:TGID_X_EN: 1
; COMPUTE_PGM_RSRC2:TGID_Y_EN: 0
; COMPUTE_PGM_RSRC2:TGID_Z_EN: 0
; COMPUTE_PGM_RSRC2:TIDIG_COMP_CNT: 0
	.section	.text._ZL21dequantize_block_q4_KIfEvPKvPT_,"axG",@progbits,_ZL21dequantize_block_q4_KIfEvPKvPT_,comdat
	.globl	_ZL21dequantize_block_q4_KIfEvPKvPT_ ; -- Begin function _ZL21dequantize_block_q4_KIfEvPKvPT_
	.p2align	8
	.type	_ZL21dequantize_block_q4_KIfEvPKvPT_,@function
_ZL21dequantize_block_q4_KIfEvPKvPT_:   ; @_ZL21dequantize_block_q4_KIfEvPKvPT_
; %bb.0:
	s_load_b64 s[4:5], s[0:1], 0x0
	s_bfe_u32 s2, ttmp6, 0x4000c
	s_and_b32 s3, ttmp6, 15
	s_add_co_i32 s2, s2, 1
	s_getreg_b32 s6, hwreg(HW_REG_IB_STS2, 6, 4)
	s_mul_i32 s2, ttmp9, s2
	v_dual_lshrrev_b32 v1, 3, v0 :: v_dual_mov_b32 v3, 0
	s_add_co_i32 s2, s3, s2
	s_cmp_eq_u32 s6, 0
	s_mov_b32 s3, 0
	s_cselect_b32 s2, ttmp9, s2
	v_lshlrev_b32_e32 v2, 1, v1
	s_mul_u64 s[6:7], s[2:3], 0x90
	v_cmp_lt_u32_e32 vcc_lo, 15, v0
                                        ; implicit-def: $vgpr5
                                        ; implicit-def: $vgpr4
	s_wait_kmcnt 0x0
	s_add_nc_u64 s[4:5], s[4:5], s[6:7]
	s_delay_alu instid0(SALU_CYCLE_1) | instskip(SKIP_1) | instid1(SALU_CYCLE_1)
	v_add_nc_u64_e32 v[2:3], s[4:5], v[2:3]
	s_and_saveexec_b32 s3, vcc_lo
	s_xor_b32 s3, exec_lo, s3
	s_cbranch_execz .LBB7_2
; %bb.1:
	s_clause 0x2
	global_load_u8 v4, v[2:3], off offset:8
	global_load_u8 v5, v[2:3], off
	global_load_u8 v6, v[2:3], off offset:4
	s_wait_loadcnt 0x2
	v_and_b32_e32 v7, 15, v4
	s_wait_loadcnt 0x1
	v_lshrrev_b16 v5, 2, v5
	v_lshrrev_b16 v8, 4, v4
	s_wait_loadcnt 0x0
	v_lshrrev_b16 v6, 2, v6
	s_delay_alu instid0(VALU_DEP_3) | instskip(NEXT) | instid1(VALU_DEP_2)
	v_bitop3_b16 v4, v5, v7, 48 bitop3:0xec
	v_bitop3_b16 v5, v6, v8, 48 bitop3:0xec
.LBB7_2:
	s_and_not1_saveexec_b32 s3, s3
	s_cbranch_execz .LBB7_4
; %bb.3:
	s_clause 0x1
	global_load_u8 v4, v[2:3], off offset:4
	global_load_u8 v5, v[2:3], off offset:8
	s_wait_loadcnt 0x1
	v_and_b32_e32 v4, 63, v4
	s_wait_loadcnt 0x0
	v_and_b32_e32 v5, 63, v5
.LBB7_4:
	s_or_b32 exec_lo, exec_lo, s3
	s_load_b32 s3, s[4:5], 0x0
                                        ; implicit-def: $vgpr6
                                        ; implicit-def: $vgpr7
	s_and_saveexec_b32 s6, vcc_lo
	s_delay_alu instid0(SALU_CYCLE_1)
	s_xor_b32 s6, exec_lo, s6
	s_cbranch_execz .LBB7_6
; %bb.5:
	s_clause 0x2
	global_load_u8 v6, v[2:3], off offset:9
	global_load_u8 v7, v[2:3], off offset:1
	;; [unrolled: 1-line block ×3, first 2 shown]
	s_wait_loadcnt 0x2
	s_wait_xcnt 0x0
	v_and_b32_e32 v2, 15, v6
	s_wait_loadcnt 0x1
	v_lshrrev_b16 v3, 2, v7
	v_lshrrev_b16 v6, 4, v6
	s_wait_loadcnt 0x0
	v_lshrrev_b16 v8, 2, v8
	s_delay_alu instid0(VALU_DEP_3) | instskip(NEXT) | instid1(VALU_DEP_2)
	v_bitop3_b16 v7, v3, v2, 48 bitop3:0xec
                                        ; implicit-def: $vgpr2_vgpr3
	v_bitop3_b16 v6, v8, v6, 48 bitop3:0xec
.LBB7_6:
	s_or_saveexec_b32 s6, s6
	s_load_b64 s[0:1], s[0:1], 0x8
	s_xor_b32 exec_lo, exec_lo, s6
	s_cbranch_execz .LBB7_8
; %bb.7:
	s_clause 0x1
	global_load_u8 v6, v[2:3], off offset:5
	global_load_u8 v8, v[2:3], off offset:9
	s_wait_loadcnt 0x1
	v_and_b32_e32 v7, 63, v6
	s_wait_loadcnt 0x0
	v_and_b32_e32 v6, 63, v8
.LBB7_8:
	s_or_b32 exec_lo, exec_lo, s6
	v_dual_mov_b32 v3, 0 :: v_dual_lshlrev_b32 v2, 5, v1
	v_lshlrev_b32_e32 v0, 2, v0
	v_and_b32_e32 v5, 0xff, v5
	v_and_b32_e32 v4, 0xff, v4
	s_wait_kmcnt 0x0
	s_lshr_b32 s6, s3, 16
	v_add_nc_u64_e32 v[8:9], s[4:5], v[2:3]
	v_dual_lshlrev_b32 v0, 8, v1 :: v_dual_bitop2_b32 v2, 28, v0 bitop3:0x40
	v_cvt_f16_u16_e32 v5, v5
	v_cvt_f16_u16_e32 v4, v4
	v_and_b32_e32 v7, 0xff, v7
	v_and_b32_e32 v6, 0xff, v6
	v_add_nc_u64_e32 v[8:9], v[8:9], v[2:3]
	v_mul_f16_e32 v5, s6, v5
	v_mul_f16_e32 v4, s3, v4
	s_mov_b32 s5, 0
	s_lshl_b32 s4, s2, 8
	v_mov_b32_e32 v1, v3
	s_lshl_b64 s[4:5], s[4:5], 2
	global_load_b32 v8, v[8:9], off offset:16
	s_add_nc_u64 s[0:1], s[0:1], s[4:5]
	v_cvt_f16_u16_e32 v7, v7
	v_cvt_f16_u16_e32 v6, v6
	v_add_nc_u64_e32 v[0:1], s[0:1], v[0:1]
	v_lshlrev_b32_e32 v2, 2, v2
	s_delay_alu instid0(VALU_DEP_4) | instskip(NEXT) | instid1(VALU_DEP_4)
	v_mul_f16_e32 v7, s3, v7
	v_mul_f16_e32 v6, s6, v6
	s_wait_loadcnt 0x0
	v_dual_lshrrev_b32 v9, 16, v8 :: v_dual_lshrrev_b32 v10, 8, v8
	v_dual_lshrrev_b32 v12, 24, v8 :: v_dual_bitop2_b32 v11, 15, v8 bitop3:0x40
	v_lshrrev_b16 v13, 4, v8
	s_delay_alu instid0(VALU_DEP_3) | instskip(NEXT) | instid1(VALU_DEP_3)
	v_dual_lshrrev_b32 v8, 20, v8 :: v_dual_bitop2_b32 v14, 15, v10 bitop3:0x40
	v_cvt_f16_u16_e32 v11, v11
	v_lshrrev_b16 v10, 4, v10
	v_and_b32_e32 v15, 15, v12
	v_and_b32_e32 v13, 15, v13
	v_cvt_f16_u16_e32 v14, v14
	v_and_b32_e32 v8, 15, v8
	v_lshrrev_b16 v12, 4, v12
	v_and_b32_e32 v10, 15, v10
	v_cvt_f16_u16_e32 v15, v15
	v_pack_b32_f16 v11, v11, v14
	v_cvt_f16_u16_e32 v13, v13
	v_cvt_f16_u16_e32 v12, v12
	v_cvt_f16_u16_e32 v8, v8
	v_cvt_f16_u16_e32 v10, v10
	v_pk_fma_f16 v11, v4, v11, v5 op_sel_hi:[0,1,0] neg_lo:[0,0,1] neg_hi:[0,0,1]
	v_and_b32_e32 v9, 15, v9
	s_delay_alu instid0(VALU_DEP_4) | instskip(NEXT) | instid1(VALU_DEP_4)
	v_pack_b32_f16 v12, v8, v12
	v_pack_b32_f16 v10, v13, v10
	s_delay_alu instid0(VALU_DEP_3) | instskip(NEXT) | instid1(VALU_DEP_1)
	v_cvt_f16_u16_e32 v9, v9
	v_pack_b32_f16 v14, v9, v15
	v_add_nc_u64_e32 v[8:9], v[0:1], v[2:3]
	v_pk_fma_f16 v3, v7, v12, v6 op_sel_hi:[0,1,0] neg_lo:[0,0,1] neg_hi:[0,0,1]
	v_cvt_f32_f16_e32 v0, v11
	s_delay_alu instid0(VALU_DEP_4) | instskip(SKIP_4) | instid1(VALU_DEP_4)
	v_pk_fma_f16 v1, v4, v14, v5 op_sel_hi:[0,1,0] neg_lo:[0,0,1] neg_hi:[0,0,1]
	v_pk_fma_f16 v4, v7, v10, v6 op_sel_hi:[0,1,0] neg_lo:[0,0,1] neg_hi:[0,0,1]
	v_lshrrev_b32_e32 v5, 16, v11
	v_lshrrev_b32_e32 v11, 16, v3
	v_cvt_f32_f16_e32 v6, v3
	v_dual_lshrrev_b32 v7, 16, v1 :: v_dual_lshrrev_b32 v10, 16, v4
	v_cvt_f32_f16_e32 v2, v1
	v_cvt_f32_f16_e32 v1, v5
	;; [unrolled: 1-line block ×3, first 2 shown]
	s_delay_alu instid0(VALU_DEP_4)
	v_cvt_f32_f16_e32 v3, v7
	v_cvt_f32_f16_e32 v5, v10
	v_cvt_f32_f16_e32 v7, v11
	s_clause 0x1
	global_store_b128 v[8:9], v[0:3], off
	global_store_b128 v[8:9], v[4:7], off offset:128
	s_endpgm
	.section	.rodata,"a",@progbits
	.p2align	6, 0x0
	.amdhsa_kernel _ZL21dequantize_block_q4_KIfEvPKvPT_
		.amdhsa_group_segment_fixed_size 0
		.amdhsa_private_segment_fixed_size 0
		.amdhsa_kernarg_size 16
		.amdhsa_user_sgpr_count 2
		.amdhsa_user_sgpr_dispatch_ptr 0
		.amdhsa_user_sgpr_queue_ptr 0
		.amdhsa_user_sgpr_kernarg_segment_ptr 1
		.amdhsa_user_sgpr_dispatch_id 0
		.amdhsa_user_sgpr_kernarg_preload_length 0
		.amdhsa_user_sgpr_kernarg_preload_offset 0
		.amdhsa_user_sgpr_private_segment_size 0
		.amdhsa_wavefront_size32 1
		.amdhsa_uses_dynamic_stack 0
		.amdhsa_enable_private_segment 0
		.amdhsa_system_sgpr_workgroup_id_x 1
		.amdhsa_system_sgpr_workgroup_id_y 0
		.amdhsa_system_sgpr_workgroup_id_z 0
		.amdhsa_system_sgpr_workgroup_info 0
		.amdhsa_system_vgpr_workitem_id 0
		.amdhsa_next_free_vgpr 16
		.amdhsa_next_free_sgpr 8
		.amdhsa_named_barrier_count 0
		.amdhsa_reserve_vcc 1
		.amdhsa_float_round_mode_32 0
		.amdhsa_float_round_mode_16_64 0
		.amdhsa_float_denorm_mode_32 3
		.amdhsa_float_denorm_mode_16_64 3
		.amdhsa_fp16_overflow 0
		.amdhsa_memory_ordered 1
		.amdhsa_forward_progress 1
		.amdhsa_inst_pref_size 7
		.amdhsa_round_robin_scheduling 0
		.amdhsa_exception_fp_ieee_invalid_op 0
		.amdhsa_exception_fp_denorm_src 0
		.amdhsa_exception_fp_ieee_div_zero 0
		.amdhsa_exception_fp_ieee_overflow 0
		.amdhsa_exception_fp_ieee_underflow 0
		.amdhsa_exception_fp_ieee_inexact 0
		.amdhsa_exception_int_div_zero 0
	.end_amdhsa_kernel
	.section	.text._ZL21dequantize_block_q4_KIfEvPKvPT_,"axG",@progbits,_ZL21dequantize_block_q4_KIfEvPKvPT_,comdat
.Lfunc_end7:
	.size	_ZL21dequantize_block_q4_KIfEvPKvPT_, .Lfunc_end7-_ZL21dequantize_block_q4_KIfEvPKvPT_
                                        ; -- End function
	.set _ZL21dequantize_block_q4_KIfEvPKvPT_.num_vgpr, 16
	.set _ZL21dequantize_block_q4_KIfEvPKvPT_.num_agpr, 0
	.set _ZL21dequantize_block_q4_KIfEvPKvPT_.numbered_sgpr, 8
	.set _ZL21dequantize_block_q4_KIfEvPKvPT_.num_named_barrier, 0
	.set _ZL21dequantize_block_q4_KIfEvPKvPT_.private_seg_size, 0
	.set _ZL21dequantize_block_q4_KIfEvPKvPT_.uses_vcc, 1
	.set _ZL21dequantize_block_q4_KIfEvPKvPT_.uses_flat_scratch, 0
	.set _ZL21dequantize_block_q4_KIfEvPKvPT_.has_dyn_sized_stack, 0
	.set _ZL21dequantize_block_q4_KIfEvPKvPT_.has_recursion, 0
	.set _ZL21dequantize_block_q4_KIfEvPKvPT_.has_indirect_call, 0
	.section	.AMDGPU.csdata,"",@progbits
; Kernel info:
; codeLenInByte = 892
; TotalNumSgprs: 10
; NumVgprs: 16
; ScratchSize: 0
; MemoryBound: 0
; FloatMode: 240
; IeeeMode: 1
; LDSByteSize: 0 bytes/workgroup (compile time only)
; SGPRBlocks: 0
; VGPRBlocks: 0
; NumSGPRsForWavesPerEU: 10
; NumVGPRsForWavesPerEU: 16
; NamedBarCnt: 0
; Occupancy: 16
; WaveLimiterHint : 1
; COMPUTE_PGM_RSRC2:SCRATCH_EN: 0
; COMPUTE_PGM_RSRC2:USER_SGPR: 2
; COMPUTE_PGM_RSRC2:TRAP_HANDLER: 0
; COMPUTE_PGM_RSRC2:TGID_X_EN: 1
; COMPUTE_PGM_RSRC2:TGID_Y_EN: 0
; COMPUTE_PGM_RSRC2:TGID_Z_EN: 0
; COMPUTE_PGM_RSRC2:TIDIG_COMP_CNT: 0
	.section	.text._ZL21dequantize_block_q5_KIfEvPKvPT_,"axG",@progbits,_ZL21dequantize_block_q5_KIfEvPKvPT_,comdat
	.globl	_ZL21dequantize_block_q5_KIfEvPKvPT_ ; -- Begin function _ZL21dequantize_block_q5_KIfEvPKvPT_
	.p2align	8
	.type	_ZL21dequantize_block_q5_KIfEvPKvPT_,@function
_ZL21dequantize_block_q5_KIfEvPKvPT_:   ; @_ZL21dequantize_block_q5_KIfEvPKvPT_
; %bb.0:
	s_load_b64 s[4:5], s[0:1], 0x0
	s_bfe_u32 s2, ttmp6, 0x4000c
	s_and_b32 s3, ttmp6, 15
	s_add_co_i32 s2, s2, 1
	s_getreg_b32 s6, hwreg(HW_REG_IB_STS2, 6, 4)
	s_mul_i32 s2, ttmp9, s2
	v_dual_lshrrev_b32 v1, 4, v0 :: v_dual_mov_b32 v3, 0
	s_add_co_i32 s2, s3, s2
	s_cmp_eq_u32 s6, 0
	s_mov_b32 s3, 0
	s_cselect_b32 s2, ttmp9, s2
	v_lshlrev_b32_e32 v2, 1, v1
	s_mul_u64 s[6:7], s[2:3], 0xb0
	v_cmp_lt_u32_e32 vcc_lo, 31, v0
                                        ; implicit-def: $vgpr6
	s_wait_kmcnt 0x0
	s_add_nc_u64 s[4:5], s[4:5], s[6:7]
	s_delay_alu instid0(SALU_CYCLE_1) | instskip(SKIP_1) | instid1(SALU_CYCLE_1)
	v_add_nc_u64_e32 v[4:5], s[4:5], v[2:3]
                                        ; implicit-def: $vgpr3
	s_and_saveexec_b32 s3, vcc_lo
	s_xor_b32 s3, exec_lo, s3
	s_cbranch_execz .LBB8_2
; %bb.1:
	s_clause 0x2
	global_load_u8 v3, v[4:5], off offset:8
	global_load_u8 v6, v[4:5], off
	global_load_u8 v7, v[4:5], off offset:4
	s_wait_loadcnt 0x2
	v_and_b32_e32 v8, 15, v3
	s_wait_loadcnt 0x1
	v_lshrrev_b16 v6, 2, v6
	v_lshrrev_b16 v9, 4, v3
	s_wait_loadcnt 0x0
	v_lshrrev_b16 v7, 2, v7
	s_delay_alu instid0(VALU_DEP_3) | instskip(NEXT) | instid1(VALU_DEP_2)
	v_bitop3_b16 v3, v6, v8, 48 bitop3:0xec
	v_bitop3_b16 v6, v7, v9, 48 bitop3:0xec
.LBB8_2:
	s_and_not1_saveexec_b32 s3, s3
	s_cbranch_execz .LBB8_4
; %bb.3:
	s_clause 0x1
	global_load_u8 v3, v[4:5], off offset:4
	global_load_u8 v6, v[4:5], off offset:8
	s_wait_loadcnt 0x1
	v_and_b32_e32 v3, 63, v3
	s_wait_loadcnt 0x0
	v_and_b32_e32 v6, 63, v6
.LBB8_4:
	s_or_b32 exec_lo, exec_lo, s3
	s_load_b32 s3, s[4:5], 0x0
                                        ; implicit-def: $vgpr8
                                        ; implicit-def: $vgpr7
	s_and_saveexec_b32 s6, vcc_lo
	s_delay_alu instid0(SALU_CYCLE_1)
	s_xor_b32 s6, exec_lo, s6
	s_cbranch_execz .LBB8_6
; %bb.5:
	s_clause 0x2
	global_load_u8 v7, v[4:5], off offset:9
	global_load_u8 v8, v[4:5], off offset:1
	;; [unrolled: 1-line block ×3, first 2 shown]
	s_wait_loadcnt 0x2
	s_wait_xcnt 0x0
	v_and_b32_e32 v4, 15, v7
	s_wait_loadcnt 0x1
	v_lshrrev_b16 v5, 2, v8
	v_lshrrev_b16 v8, 4, v7
	s_wait_loadcnt 0x0
	v_lshrrev_b16 v9, 2, v9
	s_delay_alu instid0(VALU_DEP_3) | instskip(NEXT) | instid1(VALU_DEP_2)
	v_bitop3_b16 v7, v5, v4, 48 bitop3:0xec
                                        ; implicit-def: $vgpr4_vgpr5
	v_bitop3_b16 v8, v9, v8, 48 bitop3:0xec
.LBB8_6:
	s_or_saveexec_b32 s6, s6
	s_load_b64 s[0:1], s[0:1], 0x8
	s_xor_b32 exec_lo, exec_lo, s6
	s_cbranch_execz .LBB8_8
; %bb.7:
	s_clause 0x1
	global_load_u8 v7, v[4:5], off offset:5
	global_load_u8 v8, v[4:5], off offset:9
	s_wait_loadcnt 0x1
	v_and_b32_e32 v7, 63, v7
	s_wait_loadcnt 0x0
	v_and_b32_e32 v8, 63, v8
.LBB8_8:
	s_or_b32 exec_lo, exec_lo, s6
	v_dual_mov_b32 v5, 0 :: v_dual_lshlrev_b32 v10, 5, v1
	v_and_b32_e32 v6, 0xff, v6
	v_and_b32_e32 v3, 0xff, v3
	;; [unrolled: 1-line block ×3, first 2 shown]
	s_delay_alu instid0(VALU_DEP_4) | instskip(SKIP_3) | instid1(VALU_DEP_4)
	v_dual_mov_b32 v11, v5 :: v_dual_lshlrev_b32 v0, 1, v0
	v_and_b32_e32 v8, 0xff, v8
	v_cvt_f16_u16_e32 v6, v6
	v_cvt_f16_u16_e32 v3, v3
	v_add_nc_u64_e32 v[10:11], s[4:5], v[10:11]
	v_dual_lshlrev_b32 v0, 8, v1 :: v_dual_bitop2_b32 v4, 30, v0 bitop3:0x40
	v_cvt_f16_u16_e32 v7, v7
	v_cvt_f16_u16_e32 v8, v8
	s_wait_kmcnt 0x0
	s_lshr_b32 s6, s3, 16
	v_mul_f16_e32 v3, s3, v3
	v_add_nc_u64_e32 v[10:11], v[10:11], v[4:5]
	v_mul_f16_e32 v6, s6, v6
	v_mul_f16_e32 v7, s3, v7
	;; [unrolled: 1-line block ×3, first 2 shown]
	s_clause 0x1
	global_load_u16 v9, v[10:11], off offset:48
	global_load_u16 v12, v4, s[4:5] offset:16
	s_wait_xcnt 0x1
	v_lshlrev_b32_e64 v10, v2, 1
	v_lshlrev_b32_e64 v2, v2, 2
	v_mov_b32_e32 v1, v5
	s_wait_xcnt 0x0
	s_mov_b32 s5, 0
	s_lshl_b32 s4, s2, 8
	v_lshlrev_b32_e32 v4, 2, v4
	s_lshl_b64 s[4:5], s[4:5], 2
	s_delay_alu instid0(SALU_CYCLE_1)
	s_add_nc_u64 s[0:1], s[0:1], s[4:5]
	s_wait_loadcnt 0x1
	v_lshrrev_b16 v11, 8, v9
	s_wait_loadcnt 0x0
	v_lshrrev_b16 v14, 8, v12
	v_and_b32_e32 v12, 0xff, v12
	v_lshrrev_b16 v15, 4, v9
	v_and_b32_e32 v13, 15, v9
	v_and_b32_e32 v11, 15, v11
	;; [unrolled: 1-line block ×5, first 2 shown]
	v_lshrrev_b16 v9, 12, v9
	v_and_b32_e32 v15, 15, v15
	v_and_b32_e32 v10, v10, v14
	v_cmp_eq_u32_e32 vcc_lo, 0, v16
	v_and_b32_e32 v2, v2, v14
	v_and_b32_e32 v13, 0xffff, v13
	;; [unrolled: 1-line block ×4, first 2 shown]
	v_cndmask_b32_e64 v16, 16, 0, vcc_lo
	v_cmp_eq_u32_e32 vcc_lo, 0, v12
	v_and_b32_e32 v15, 0xffff, v15
	v_add_nc_u64_e32 v[0:1], s[0:1], v[0:1]
	s_delay_alu instid0(VALU_DEP_4) | instskip(SKIP_2) | instid1(VALU_DEP_4)
	v_or_b32_e32 v13, v16, v13
	v_cndmask_b32_e64 v12, 16, 0, vcc_lo
	v_cmp_eq_u32_e32 vcc_lo, 0, v10
	v_add_nc_u64_e32 v[0:1], v[0:1], v[4:5]
	s_delay_alu instid0(VALU_DEP_3) | instskip(SKIP_2) | instid1(VALU_DEP_2)
	v_or_b32_e32 v12, v12, v15
	v_cndmask_b32_e64 v10, 16, 0, vcc_lo
	v_cmp_eq_u32_e32 vcc_lo, 0, v2
	v_or_b32_e32 v10, v10, v11
	v_cndmask_b32_e64 v2, 16, 0, vcc_lo
	v_cvt_f32_ubyte0_e32 v11, v12
	s_delay_alu instid0(VALU_DEP_3) | instskip(NEXT) | instid1(VALU_DEP_3)
	v_cvt_f32_ubyte0_e32 v10, v10
	v_or_b32_e32 v2, v2, v9
	v_cvt_f32_ubyte0_e32 v9, v13
	s_delay_alu instid0(VALU_DEP_2) | instskip(NEXT) | instid1(VALU_DEP_2)
	v_cvt_f32_ubyte0_e32 v2, v2
	v_cvt_pk_f16_f32 v9, v9, v10
	s_delay_alu instid0(VALU_DEP_2) | instskip(NEXT) | instid1(VALU_DEP_2)
	v_cvt_pk_f16_f32 v2, v11, v2
	v_pk_fma_f16 v3, v3, v9, v6 op_sel_hi:[0,1,0] neg_lo:[0,0,1] neg_hi:[0,0,1]
	s_delay_alu instid0(VALU_DEP_2) | instskip(NEXT) | instid1(VALU_DEP_2)
	v_pk_fma_f16 v6, v7, v2, v8 op_sel_hi:[0,1,0] neg_lo:[0,0,1] neg_hi:[0,0,1]
	v_lshrrev_b32_e32 v7, 16, v3
	v_cvt_f32_f16_e32 v2, v3
	s_delay_alu instid0(VALU_DEP_3) | instskip(NEXT) | instid1(VALU_DEP_3)
	v_lshrrev_b32_e32 v8, 16, v6
	v_cvt_f32_f16_e32 v3, v7
	v_cvt_f32_f16_e32 v4, v6
	s_delay_alu instid0(VALU_DEP_3)
	v_cvt_f32_f16_e32 v5, v8
	s_clause 0x1
	global_store_b64 v[0:1], v[2:3], off
	global_store_b64 v[0:1], v[4:5], off offset:128
	s_endpgm
	.section	.rodata,"a",@progbits
	.p2align	6, 0x0
	.amdhsa_kernel _ZL21dequantize_block_q5_KIfEvPKvPT_
		.amdhsa_group_segment_fixed_size 0
		.amdhsa_private_segment_fixed_size 0
		.amdhsa_kernarg_size 16
		.amdhsa_user_sgpr_count 2
		.amdhsa_user_sgpr_dispatch_ptr 0
		.amdhsa_user_sgpr_queue_ptr 0
		.amdhsa_user_sgpr_kernarg_segment_ptr 1
		.amdhsa_user_sgpr_dispatch_id 0
		.amdhsa_user_sgpr_kernarg_preload_length 0
		.amdhsa_user_sgpr_kernarg_preload_offset 0
		.amdhsa_user_sgpr_private_segment_size 0
		.amdhsa_wavefront_size32 1
		.amdhsa_uses_dynamic_stack 0
		.amdhsa_enable_private_segment 0
		.amdhsa_system_sgpr_workgroup_id_x 1
		.amdhsa_system_sgpr_workgroup_id_y 0
		.amdhsa_system_sgpr_workgroup_id_z 0
		.amdhsa_system_sgpr_workgroup_info 0
		.amdhsa_system_vgpr_workitem_id 0
		.amdhsa_next_free_vgpr 17
		.amdhsa_next_free_sgpr 8
		.amdhsa_named_barrier_count 0
		.amdhsa_reserve_vcc 1
		.amdhsa_float_round_mode_32 0
		.amdhsa_float_round_mode_16_64 0
		.amdhsa_float_denorm_mode_32 3
		.amdhsa_float_denorm_mode_16_64 3
		.amdhsa_fp16_overflow 0
		.amdhsa_memory_ordered 1
		.amdhsa_forward_progress 1
		.amdhsa_inst_pref_size 8
		.amdhsa_round_robin_scheduling 0
		.amdhsa_exception_fp_ieee_invalid_op 0
		.amdhsa_exception_fp_denorm_src 0
		.amdhsa_exception_fp_ieee_div_zero 0
		.amdhsa_exception_fp_ieee_overflow 0
		.amdhsa_exception_fp_ieee_underflow 0
		.amdhsa_exception_fp_ieee_inexact 0
		.amdhsa_exception_int_div_zero 0
	.end_amdhsa_kernel
	.section	.text._ZL21dequantize_block_q5_KIfEvPKvPT_,"axG",@progbits,_ZL21dequantize_block_q5_KIfEvPKvPT_,comdat
.Lfunc_end8:
	.size	_ZL21dequantize_block_q5_KIfEvPKvPT_, .Lfunc_end8-_ZL21dequantize_block_q5_KIfEvPKvPT_
                                        ; -- End function
	.set _ZL21dequantize_block_q5_KIfEvPKvPT_.num_vgpr, 17
	.set _ZL21dequantize_block_q5_KIfEvPKvPT_.num_agpr, 0
	.set _ZL21dequantize_block_q5_KIfEvPKvPT_.numbered_sgpr, 8
	.set _ZL21dequantize_block_q5_KIfEvPKvPT_.num_named_barrier, 0
	.set _ZL21dequantize_block_q5_KIfEvPKvPT_.private_seg_size, 0
	.set _ZL21dequantize_block_q5_KIfEvPKvPT_.uses_vcc, 1
	.set _ZL21dequantize_block_q5_KIfEvPKvPT_.uses_flat_scratch, 0
	.set _ZL21dequantize_block_q5_KIfEvPKvPT_.has_dyn_sized_stack, 0
	.set _ZL21dequantize_block_q5_KIfEvPKvPT_.has_recursion, 0
	.set _ZL21dequantize_block_q5_KIfEvPKvPT_.has_indirect_call, 0
	.section	.AMDGPU.csdata,"",@progbits
; Kernel info:
; codeLenInByte = 972
; TotalNumSgprs: 10
; NumVgprs: 17
; ScratchSize: 0
; MemoryBound: 0
; FloatMode: 240
; IeeeMode: 1
; LDSByteSize: 0 bytes/workgroup (compile time only)
; SGPRBlocks: 0
; VGPRBlocks: 1
; NumSGPRsForWavesPerEU: 10
; NumVGPRsForWavesPerEU: 17
; NamedBarCnt: 0
; Occupancy: 16
; WaveLimiterHint : 1
; COMPUTE_PGM_RSRC2:SCRATCH_EN: 0
; COMPUTE_PGM_RSRC2:USER_SGPR: 2
; COMPUTE_PGM_RSRC2:TRAP_HANDLER: 0
; COMPUTE_PGM_RSRC2:TGID_X_EN: 1
; COMPUTE_PGM_RSRC2:TGID_Y_EN: 0
; COMPUTE_PGM_RSRC2:TGID_Z_EN: 0
; COMPUTE_PGM_RSRC2:TIDIG_COMP_CNT: 0
	.section	.text._ZL21dequantize_block_q6_KIfEvPKvPT_,"axG",@progbits,_ZL21dequantize_block_q6_KIfEvPKvPT_,comdat
	.globl	_ZL21dequantize_block_q6_KIfEvPKvPT_ ; -- Begin function _ZL21dequantize_block_q6_KIfEvPKvPT_
	.p2align	8
	.type	_ZL21dequantize_block_q6_KIfEvPKvPT_,@function
_ZL21dequantize_block_q6_KIfEvPKvPT_:   ; @_ZL21dequantize_block_q6_KIfEvPKvPT_
; %bb.0:
	s_load_b128 s[0:3], s[0:1], 0x0
	s_bfe_u32 s4, ttmp6, 0x4000c
	s_and_b32 s5, ttmp6, 15
	s_add_co_i32 s4, s4, 1
	s_getreg_b32 s6, hwreg(HW_REG_IB_STS2, 6, 4)
	s_mul_i32 s4, ttmp9, s4
	v_dual_lshrrev_b32 v1, 5, v0 :: v_dual_mov_b32 v3, 0
	s_add_co_i32 s4, s5, s4
	s_cmp_eq_u32 s6, 0
	s_mov_b32 s5, 0
	s_cselect_b32 s6, ttmp9, s4
	v_dual_lshlrev_b32 v2, 9, v1 :: v_dual_bitop2_b32 v4, 31, v0 bitop3:0x40
	s_lshl_b32 s4, s6, 8
	s_mov_b32 s7, s5
	s_lshl_b64 s[8:9], s[4:5], 2
	v_mov_b32_e32 v5, v3
	s_wait_kmcnt 0x0
	s_add_nc_u64 s[2:3], s[2:3], s[8:9]
	s_delay_alu instid0(SALU_CYCLE_1) | instskip(SKIP_2) | instid1(SALU_CYCLE_1)
	v_add_nc_u64_e32 v[6:7], s[2:3], v[2:3]
	v_lshlrev_b32_e32 v2, 2, v4
	s_mul_u64 s[2:3], s[6:7], 0xd2
	s_add_nc_u64 s[0:1], s[0:1], s[2:3]
	s_delay_alu instid0(VALU_DEP_1) | instskip(SKIP_1) | instid1(VALU_DEP_1)
	v_add_nc_u64_e32 v[6:7], v[6:7], v[2:3]
	v_lshlrev_b32_e32 v2, 6, v1
	v_add_nc_u64_e32 v[8:9], s[0:1], v[2:3]
	s_delay_alu instid0(VALU_DEP_1)
	v_add_nc_u64_e32 v[4:5], v[8:9], v[4:5]
	s_clause 0x2
	global_load_u8 v2, v0, s[0:1] offset:128
	global_load_u8 v8, v[4:5], off
	global_load_u8 v9, v[4:5], off offset:32
	s_wait_xcnt 0x2
	v_bfe_u32 v0, v0, 4, 1
	s_delay_alu instid0(VALU_DEP_1)
	v_lshl_or_b32 v0, v1, 3, v0
	s_clause 0x4
	global_load_i8 v1, v0, s[0:1] offset:192
	global_load_i8 v4, v0, s[0:1] offset:194
	;; [unrolled: 1-line block ×4, first 2 shown]
	global_load_u16 v11, v3, s[0:1] offset:208
	s_wait_loadcnt 0x7
	s_wait_xcnt 0x1
	v_lshlrev_b16 v0, 4, v2
	s_wait_xcnt 0x0
	v_lshlrev_b16 v3, 2, v2
	s_wait_loadcnt 0x6
	v_lshrrev_b16 v13, 4, v8
	v_lshrrev_b16 v12, 2, v2
	s_wait_loadcnt 0x5
	v_lshrrev_b16 v14, 4, v9
	v_and_b32_e32 v0, 48, v0
	v_and_b32_e32 v3, 48, v3
	v_bitop3_b16 v2, v13, v2, 48 bitop3:0xf8
	s_delay_alu instid0(VALU_DEP_3) | instskip(NEXT) | instid1(VALU_DEP_3)
	v_bitop3_b16 v0, v8, v0, 15 bitop3:0xec
	v_bitop3_b16 v3, v9, v3, 15 bitop3:0xec
	;; [unrolled: 1-line block ×3, first 2 shown]
	s_delay_alu instid0(VALU_DEP_4) | instskip(NEXT) | instid1(VALU_DEP_4)
	v_and_b32_e32 v2, 0xffff, v2
	v_and_b32_e32 v0, 0xffff, v0
	s_delay_alu instid0(VALU_DEP_4) | instskip(NEXT) | instid1(VALU_DEP_4)
	v_and_b32_e32 v3, 0xffff, v3
	v_and_b32_e32 v8, 0xffff, v8
	s_delay_alu instid0(VALU_DEP_4) | instskip(NEXT) | instid1(VALU_DEP_4)
	v_subrev_nc_u32_e32 v2, 32, v2
	v_subrev_nc_u32_e32 v0, 32, v0
	s_delay_alu instid0(VALU_DEP_4) | instskip(NEXT) | instid1(VALU_DEP_4)
	v_subrev_nc_u32_e32 v3, 32, v3
	v_subrev_nc_u32_e32 v8, 32, v8
	s_wait_loadcnt 0x2
	v_mul_i32_i24_e32 v2, v2, v5
	v_mul_i32_i24_e32 v0, v0, v1
	;; [unrolled: 1-line block ×3, first 2 shown]
	s_wait_loadcnt 0x1
	v_mul_i32_i24_e32 v3, v8, v10
	v_cvt_f32_i32_e32 v2, v2
	v_cvt_f32_i32_e32 v0, v0
	;; [unrolled: 1-line block ×3, first 2 shown]
	s_delay_alu instid0(VALU_DEP_4) | instskip(NEXT) | instid1(VALU_DEP_4)
	v_cvt_f32_i32_e32 v3, v3
	v_cvt_f16_f32_e32 v2, v2
	s_delay_alu instid0(VALU_DEP_4) | instskip(NEXT) | instid1(VALU_DEP_4)
	v_cvt_f16_f32_e32 v0, v0
	v_cvt_f16_f32_e32 v1, v1
	s_delay_alu instid0(VALU_DEP_4)
	v_cvt_f16_f32_e32 v3, v3
	s_wait_loadcnt 0x0
	v_mul_f16_e32 v2, v11, v2
	v_mul_f16_e32 v0, v11, v0
	;; [unrolled: 1-line block ×4, first 2 shown]
	s_delay_alu instid0(VALU_DEP_4) | instskip(NEXT) | instid1(VALU_DEP_4)
	v_cvt_f32_f16_e32 v2, v2
	v_cvt_f32_f16_e32 v0, v0
	s_delay_alu instid0(VALU_DEP_4) | instskip(NEXT) | instid1(VALU_DEP_4)
	v_cvt_f32_f16_e32 v1, v1
	v_cvt_f32_f16_e32 v3, v3
	s_clause 0x3
	global_store_b32 v[6:7], v0, off
	global_store_b32 v[6:7], v1, off offset:128
	global_store_b32 v[6:7], v2, off offset:256
	;; [unrolled: 1-line block ×3, first 2 shown]
	s_endpgm
	.section	.rodata,"a",@progbits
	.p2align	6, 0x0
	.amdhsa_kernel _ZL21dequantize_block_q6_KIfEvPKvPT_
		.amdhsa_group_segment_fixed_size 0
		.amdhsa_private_segment_fixed_size 0
		.amdhsa_kernarg_size 16
		.amdhsa_user_sgpr_count 2
		.amdhsa_user_sgpr_dispatch_ptr 0
		.amdhsa_user_sgpr_queue_ptr 0
		.amdhsa_user_sgpr_kernarg_segment_ptr 1
		.amdhsa_user_sgpr_dispatch_id 0
		.amdhsa_user_sgpr_kernarg_preload_length 0
		.amdhsa_user_sgpr_kernarg_preload_offset 0
		.amdhsa_user_sgpr_private_segment_size 0
		.amdhsa_wavefront_size32 1
		.amdhsa_uses_dynamic_stack 0
		.amdhsa_enable_private_segment 0
		.amdhsa_system_sgpr_workgroup_id_x 1
		.amdhsa_system_sgpr_workgroup_id_y 0
		.amdhsa_system_sgpr_workgroup_id_z 0
		.amdhsa_system_sgpr_workgroup_info 0
		.amdhsa_system_vgpr_workitem_id 0
		.amdhsa_next_free_vgpr 15
		.amdhsa_next_free_sgpr 10
		.amdhsa_named_barrier_count 0
		.amdhsa_reserve_vcc 0
		.amdhsa_float_round_mode_32 0
		.amdhsa_float_round_mode_16_64 0
		.amdhsa_float_denorm_mode_32 3
		.amdhsa_float_denorm_mode_16_64 3
		.amdhsa_fp16_overflow 0
		.amdhsa_memory_ordered 1
		.amdhsa_forward_progress 1
		.amdhsa_inst_pref_size 5
		.amdhsa_round_robin_scheduling 0
		.amdhsa_exception_fp_ieee_invalid_op 0
		.amdhsa_exception_fp_denorm_src 0
		.amdhsa_exception_fp_ieee_div_zero 0
		.amdhsa_exception_fp_ieee_overflow 0
		.amdhsa_exception_fp_ieee_underflow 0
		.amdhsa_exception_fp_ieee_inexact 0
		.amdhsa_exception_int_div_zero 0
	.end_amdhsa_kernel
	.section	.text._ZL21dequantize_block_q6_KIfEvPKvPT_,"axG",@progbits,_ZL21dequantize_block_q6_KIfEvPKvPT_,comdat
.Lfunc_end9:
	.size	_ZL21dequantize_block_q6_KIfEvPKvPT_, .Lfunc_end9-_ZL21dequantize_block_q6_KIfEvPKvPT_
                                        ; -- End function
	.set _ZL21dequantize_block_q6_KIfEvPKvPT_.num_vgpr, 15
	.set _ZL21dequantize_block_q6_KIfEvPKvPT_.num_agpr, 0
	.set _ZL21dequantize_block_q6_KIfEvPKvPT_.numbered_sgpr, 10
	.set _ZL21dequantize_block_q6_KIfEvPKvPT_.num_named_barrier, 0
	.set _ZL21dequantize_block_q6_KIfEvPKvPT_.private_seg_size, 0
	.set _ZL21dequantize_block_q6_KIfEvPKvPT_.uses_vcc, 0
	.set _ZL21dequantize_block_q6_KIfEvPKvPT_.uses_flat_scratch, 0
	.set _ZL21dequantize_block_q6_KIfEvPKvPT_.has_dyn_sized_stack, 0
	.set _ZL21dequantize_block_q6_KIfEvPKvPT_.has_recursion, 0
	.set _ZL21dequantize_block_q6_KIfEvPKvPT_.has_indirect_call, 0
	.section	.AMDGPU.csdata,"",@progbits
; Kernel info:
; codeLenInByte = 608
; TotalNumSgprs: 10
; NumVgprs: 15
; ScratchSize: 0
; MemoryBound: 0
; FloatMode: 240
; IeeeMode: 1
; LDSByteSize: 0 bytes/workgroup (compile time only)
; SGPRBlocks: 0
; VGPRBlocks: 0
; NumSGPRsForWavesPerEU: 10
; NumVGPRsForWavesPerEU: 15
; NamedBarCnt: 0
; Occupancy: 16
; WaveLimiterHint : 0
; COMPUTE_PGM_RSRC2:SCRATCH_EN: 0
; COMPUTE_PGM_RSRC2:USER_SGPR: 2
; COMPUTE_PGM_RSRC2:TRAP_HANDLER: 0
; COMPUTE_PGM_RSRC2:TGID_X_EN: 1
; COMPUTE_PGM_RSRC2:TGID_Y_EN: 0
; COMPUTE_PGM_RSRC2:TGID_Z_EN: 0
; COMPUTE_PGM_RSRC2:TIDIG_COMP_CNT: 0
	.section	.text._ZL24dequantize_block_iq2_xxsIfEvPKvPT_,"axG",@progbits,_ZL24dequantize_block_iq2_xxsIfEvPKvPT_,comdat
	.globl	_ZL24dequantize_block_iq2_xxsIfEvPKvPT_ ; -- Begin function _ZL24dequantize_block_iq2_xxsIfEvPKvPT_
	.p2align	8
	.type	_ZL24dequantize_block_iq2_xxsIfEvPKvPT_,@function
_ZL24dequantize_block_iq2_xxsIfEvPKvPT_: ; @_ZL24dequantize_block_iq2_xxsIfEvPKvPT_
; %bb.0:
	s_load_b128 s[0:3], s[0:1], 0x0
	s_bfe_u32 s4, ttmp6, 0x4000c
	s_and_b32 s5, ttmp6, 15
	s_add_co_i32 s4, s4, 1
	s_getreg_b32 s6, hwreg(HW_REG_IB_STS2, 6, 4)
	s_mul_i32 s4, ttmp9, s4
	v_dual_mov_b32 v3, 0 :: v_dual_bitop2_b32 v1, 7, v0 bitop3:0x40
	s_add_co_i32 s4, s5, s4
	s_cmp_eq_u32 s6, 0
	s_mov_b32 s5, 0
	s_cselect_b32 s6, ttmp9, s4
	v_lshlrev_b32_e32 v2, 7, v1
	s_lshl_b32 s4, s6, 8
	v_and_b32_e32 v6, 0x3f8, v0
	s_lshl_b64 s[8:9], s[4:5], 2
	v_lshrrev_b32_e32 v0, 3, v0
	s_mov_b32 s7, s5
	s_wait_kmcnt 0x0
	s_add_nc_u64 s[2:3], s[2:3], s[8:9]
	s_delay_alu instid0(SALU_CYCLE_1) | instskip(SKIP_2) | instid1(SALU_CYCLE_1)
	v_add_nc_u64_e32 v[4:5], s[2:3], v[2:3]
	v_lshlrev_b32_e32 v2, 2, v6
	s_mul_u64 s[2:3], s[6:7], 0x42
	s_add_nc_u64 s[0:1], s[0:1], s[2:3]
	s_delay_alu instid0(VALU_DEP_1) | instskip(SKIP_1) | instid1(VALU_DEP_1)
	v_add_nc_u64_e32 v[8:9], v[4:5], v[2:3]
	v_dual_mov_b32 v1, v3 :: v_dual_lshlrev_b32 v2, 3, v1
	v_add_nc_u64_e32 v[4:5], s[0:1], v[2:3]
	global_load_b32 v2, v2, s[0:1] offset:6
	v_add_nc_u64_e32 v[4:5], v[4:5], v[0:1]
	v_mul_u32_u24_e32 v0, 7, v0
	s_clause 0x1
	global_load_u8 v1, v[4:5], off offset:2
	global_load_u16 v6, v3, s[0:1]
	s_wait_xcnt 0x0
	s_get_pc_i64 s[0:1]
	s_add_nc_u64 s[0:1], s[0:1], _ZL12ksigns_iq2xs@rel64+4
	s_wait_loadcnt 0x2
	v_bfe_u32 v12, v2, v0, 7
	global_load_u8 v3, v12, s[0:1]
	s_wait_xcnt 0x0
	s_get_pc_i64 s[0:1]
	s_add_nc_u64 s[0:1], s[0:1], _ZL11iq2xxs_grid@rel64+4
	v_lshrrev_b32_e32 v2, 28, v2
	s_wait_loadcnt 0x2
	global_load_b64 v[0:1], v1, s[0:1] scale_offset
	s_wait_loadcnt 0x2
	v_cvt_f32_f16_e32 v4, v6
	s_wait_loadcnt 0x1
	v_and_b32_e32 v15, 4, v3
	v_cvt_f32_ubyte0_e32 v2, v2
	v_bfe_i32 v13, v3, 0, 8
	v_and_b32_e32 v16, 2, v3
	v_and_b32_e32 v14, 8, v3
	s_delay_alu instid0(VALU_DEP_4)
	v_dual_add_f32 v2, 0.5, v2 :: v_dual_bitop2_b32 v17, 1, v3 bitop3:0x40
	s_wait_loadcnt 0x0
	v_cvt_f32_ubyte3_e32 v7, v0
	v_cvt_f32_ubyte2_e32 v6, v0
	v_cvt_f32_ubyte3_e32 v20, v1
	v_cvt_f32_ubyte1_e32 v5, v0
	v_mul_f32_e32 v2, v2, v4
	v_cvt_f32_ubyte0_e32 v4, v0
	v_cvt_f32_ubyte2_e32 v11, v1
	v_cvt_f32_ubyte1_e32 v10, v1
	v_cmp_eq_u16_e32 vcc_lo, 0, v14
	v_mul_f32_e32 v2, 0x3e800000, v2
	v_and_b32_e32 v18, 16, v3
	v_and_b32_e32 v19, 32, v3
	v_cvt_f32_ubyte0_e32 v3, v1
	s_delay_alu instid0(VALU_DEP_1) | instskip(SKIP_3) | instid1(VALU_DEP_4)
	v_pk_mul_f32 v[0:1], v[2:3], v[6:7] op_sel_hi:[0,1]
	v_pk_mul_f32 v[4:5], v[2:3], v[4:5] op_sel_hi:[0,1]
	v_mul_f32_e32 v6, v2, v3
	v_pk_mul_f32 v[10:11], v[2:3], v[10:11] op_sel_hi:[0,1]
	v_dual_mul_f32 v7, v2, v20 :: v_dual_cndmask_b32 v3, -v1, v1, vcc_lo
	v_cmp_eq_u16_e32 vcc_lo, 0, v15
	v_cndmask_b32_e64 v2, -v0, v0, vcc_lo
	v_cmp_eq_u16_e32 vcc_lo, 0, v16
	v_cndmask_b32_e64 v1, -v5, v5, vcc_lo
	;; [unrolled: 2-line block ×4, first 2 shown]
	v_cmp_gt_u32_e32 vcc_lo, 64, v12
	v_cndmask_b32_e64 v6, -v11, v11, vcc_lo
	v_cmp_eq_u16_e32 vcc_lo, 0, v19
	v_cndmask_b32_e64 v5, -v10, v10, vcc_lo
	v_cmp_gt_i16_e32 vcc_lo, 0, v13
	v_cndmask_b32_e64 v7, v7, -v7, vcc_lo
	s_clause 0x1
	global_store_b128 v[8:9], v[0:3], off
	global_store_b128 v[8:9], v[4:7], off offset:16
	s_endpgm
	.section	.rodata,"a",@progbits
	.p2align	6, 0x0
	.amdhsa_kernel _ZL24dequantize_block_iq2_xxsIfEvPKvPT_
		.amdhsa_group_segment_fixed_size 0
		.amdhsa_private_segment_fixed_size 0
		.amdhsa_kernarg_size 16
		.amdhsa_user_sgpr_count 2
		.amdhsa_user_sgpr_dispatch_ptr 0
		.amdhsa_user_sgpr_queue_ptr 0
		.amdhsa_user_sgpr_kernarg_segment_ptr 1
		.amdhsa_user_sgpr_dispatch_id 0
		.amdhsa_user_sgpr_kernarg_preload_length 0
		.amdhsa_user_sgpr_kernarg_preload_offset 0
		.amdhsa_user_sgpr_private_segment_size 0
		.amdhsa_wavefront_size32 1
		.amdhsa_uses_dynamic_stack 0
		.amdhsa_enable_private_segment 0
		.amdhsa_system_sgpr_workgroup_id_x 1
		.amdhsa_system_sgpr_workgroup_id_y 0
		.amdhsa_system_sgpr_workgroup_id_z 0
		.amdhsa_system_sgpr_workgroup_info 0
		.amdhsa_system_vgpr_workitem_id 0
		.amdhsa_next_free_vgpr 21
		.amdhsa_next_free_sgpr 10
		.amdhsa_named_barrier_count 0
		.amdhsa_reserve_vcc 1
		.amdhsa_float_round_mode_32 0
		.amdhsa_float_round_mode_16_64 0
		.amdhsa_float_denorm_mode_32 3
		.amdhsa_float_denorm_mode_16_64 3
		.amdhsa_fp16_overflow 0
		.amdhsa_memory_ordered 1
		.amdhsa_forward_progress 1
		.amdhsa_inst_pref_size 5
		.amdhsa_round_robin_scheduling 0
		.amdhsa_exception_fp_ieee_invalid_op 0
		.amdhsa_exception_fp_denorm_src 0
		.amdhsa_exception_fp_ieee_div_zero 0
		.amdhsa_exception_fp_ieee_overflow 0
		.amdhsa_exception_fp_ieee_underflow 0
		.amdhsa_exception_fp_ieee_inexact 0
		.amdhsa_exception_int_div_zero 0
	.end_amdhsa_kernel
	.section	.text._ZL24dequantize_block_iq2_xxsIfEvPKvPT_,"axG",@progbits,_ZL24dequantize_block_iq2_xxsIfEvPKvPT_,comdat
.Lfunc_end10:
	.size	_ZL24dequantize_block_iq2_xxsIfEvPKvPT_, .Lfunc_end10-_ZL24dequantize_block_iq2_xxsIfEvPKvPT_
                                        ; -- End function
	.set _ZL24dequantize_block_iq2_xxsIfEvPKvPT_.num_vgpr, 21
	.set _ZL24dequantize_block_iq2_xxsIfEvPKvPT_.num_agpr, 0
	.set _ZL24dequantize_block_iq2_xxsIfEvPKvPT_.numbered_sgpr, 10
	.set _ZL24dequantize_block_iq2_xxsIfEvPKvPT_.num_named_barrier, 0
	.set _ZL24dequantize_block_iq2_xxsIfEvPKvPT_.private_seg_size, 0
	.set _ZL24dequantize_block_iq2_xxsIfEvPKvPT_.uses_vcc, 1
	.set _ZL24dequantize_block_iq2_xxsIfEvPKvPT_.uses_flat_scratch, 0
	.set _ZL24dequantize_block_iq2_xxsIfEvPKvPT_.has_dyn_sized_stack, 0
	.set _ZL24dequantize_block_iq2_xxsIfEvPKvPT_.has_recursion, 0
	.set _ZL24dequantize_block_iq2_xxsIfEvPKvPT_.has_indirect_call, 0
	.section	.AMDGPU.csdata,"",@progbits
; Kernel info:
; codeLenInByte = 544
; TotalNumSgprs: 12
; NumVgprs: 21
; ScratchSize: 0
; MemoryBound: 0
; FloatMode: 240
; IeeeMode: 1
; LDSByteSize: 0 bytes/workgroup (compile time only)
; SGPRBlocks: 0
; VGPRBlocks: 1
; NumSGPRsForWavesPerEU: 12
; NumVGPRsForWavesPerEU: 21
; NamedBarCnt: 0
; Occupancy: 16
; WaveLimiterHint : 0
; COMPUTE_PGM_RSRC2:SCRATCH_EN: 0
; COMPUTE_PGM_RSRC2:USER_SGPR: 2
; COMPUTE_PGM_RSRC2:TRAP_HANDLER: 0
; COMPUTE_PGM_RSRC2:TGID_X_EN: 1
; COMPUTE_PGM_RSRC2:TGID_Y_EN: 0
; COMPUTE_PGM_RSRC2:TGID_Z_EN: 0
; COMPUTE_PGM_RSRC2:TIDIG_COMP_CNT: 0
	.section	.text._ZL23dequantize_block_iq2_xsIfEvPKvPT_,"axG",@progbits,_ZL23dequantize_block_iq2_xsIfEvPKvPT_,comdat
	.globl	_ZL23dequantize_block_iq2_xsIfEvPKvPT_ ; -- Begin function _ZL23dequantize_block_iq2_xsIfEvPKvPT_
	.p2align	8
	.type	_ZL23dequantize_block_iq2_xsIfEvPKvPT_,@function
_ZL23dequantize_block_iq2_xsIfEvPKvPT_: ; @_ZL23dequantize_block_iq2_xsIfEvPKvPT_
; %bb.0:
	s_load_b128 s[0:3], s[0:1], 0x0
	s_bfe_u32 s4, ttmp6, 0x4000c
	s_and_b32 s5, ttmp6, 15
	s_add_co_i32 s4, s4, 1
	s_getreg_b32 s6, hwreg(HW_REG_IB_STS2, 6, 4)
	s_mul_i32 s4, ttmp9, s4
	v_dual_mov_b32 v3, 0 :: v_dual_bitop2_b32 v6, 7, v0 bitop3:0x40
	s_add_co_i32 s4, s5, s4
	s_cmp_eq_u32 s6, 0
	s_mov_b32 s5, 0
	s_cselect_b32 s6, ttmp9, s4
	v_lshlrev_b32_e32 v2, 7, v6
	s_lshl_b32 s4, s6, 8
	v_and_b32_e32 v1, 0x3f8, v0
	s_lshl_b64 s[8:9], s[4:5], 2
	s_mov_b32 s7, s5
	s_wait_kmcnt 0x0
	s_add_nc_u64 s[2:3], s[2:3], s[8:9]
	s_delay_alu instid0(SALU_CYCLE_1) | instskip(SKIP_2) | instid1(SALU_CYCLE_1)
	v_add_nc_u64_e32 v[4:5], s[2:3], v[2:3]
	v_lshlrev_b32_e32 v2, 2, v1
	s_mul_u64 s[2:3], s[6:7], 0x4a
	s_add_nc_u64 s[0:1], s[0:1], s[2:3]
	s_get_pc_i64 s[2:3]
	s_add_nc_u64 s[2:3], s[2:3], _ZL12ksigns_iq2xs@rel64+4
	s_delay_alu instid0(VALU_DEP_2) | instskip(SKIP_1) | instid1(VALU_DEP_1)
	v_add_nc_u64_e32 v[8:9], v[4:5], v[2:3]
	v_dual_lshlrev_b32 v2, 3, v6 :: v_dual_lshrrev_b32 v4, 2, v0
	v_add_nc_u64_e32 v[0:1], s[0:1], v[2:3]
	s_delay_alu instid0(VALU_DEP_2) | instskip(NEXT) | instid1(VALU_DEP_1)
	v_and_b32_e32 v2, 0xfe, v4
	v_add_nc_u64_e32 v[0:1], v[0:1], v[2:3]
	s_clause 0x2
	global_load_u16 v12, v[0:1], off offset:2
	global_load_u16 v2, v3, s[0:1]
	global_load_u8 v5, v6, s[0:1] offset:66
	s_wait_xcnt 0x0
	s_get_pc_i64 s[0:1]
	s_add_nc_u64 s[0:1], s[0:1], _ZL10iq2xs_grid@rel64+4
	s_wait_loadcnt 0x2
	v_and_b32_e32 v0, 0xffff, v12
	v_and_b32_e32 v1, 0x1ff, v12
	s_wait_loadcnt 0x1
	v_cvt_f32_f16_e32 v2, v2
	s_delay_alu instid0(VALU_DEP_3) | instskip(NEXT) | instid1(VALU_DEP_3)
	v_lshrrev_b32_e32 v3, 9, v0
	v_and_b32_e32 v6, 0xffff, v1
	global_load_u8 v10, v3, s[2:3]
	global_load_b64 v[0:1], v6, s[0:1] scale_offset
	s_wait_xcnt 0x1
	v_and_b32_e32 v3, 0xfc, v4
	s_wait_loadcnt 0x2
	s_delay_alu instid0(VALU_DEP_1) | instskip(NEXT) | instid1(VALU_DEP_1)
	v_bfe_u32 v3, v5, v3, 4
	v_cvt_f32_ubyte0_e32 v3, v3
	s_delay_alu instid0(VALU_DEP_1) | instskip(NEXT) | instid1(VALU_DEP_1)
	v_add_f32_e32 v3, 0.5, v3
	v_mul_f32_e32 v2, v3, v2
	s_delay_alu instid0(VALU_DEP_1)
	v_mul_f32_e32 v2, 0x3e800000, v2
	s_wait_loadcnt 0x1
	v_bfe_i32 v13, v10, 0, 8
	s_wait_loadcnt 0x0
	v_cvt_f32_ubyte1_e32 v5, v0
	v_cvt_f32_ubyte0_e32 v4, v0
	v_cvt_f32_ubyte3_e32 v7, v0
	v_cvt_f32_ubyte2_e32 v6, v0
	v_cvt_f32_ubyte0_e32 v17, v1
	v_and_b32_e32 v3, 8, v10
	v_and_b32_e32 v15, 2, v10
	v_cvt_f32_ubyte1_e32 v19, v1
	v_and_b32_e32 v14, 4, v10
	v_cvt_f32_ubyte3_e32 v11, v1
	v_dual_mul_f32 v17, v2, v17 :: v_dual_bitop2_b32 v20, 32, v10 bitop3:0x40
	v_pk_mul_f32 v[4:5], v[2:3], v[4:5] op_sel_hi:[0,1]
	v_and_b32_e32 v16, 1, v10
	v_and_b32_e32 v18, 16, v10
	v_cvt_f32_ubyte2_e32 v10, v1
	v_pk_mul_f32 v[0:1], v[2:3], v[6:7] op_sel_hi:[0,1]
	v_cmp_eq_u16_e32 vcc_lo, 0, v3
	v_mul_f32_e32 v19, v2, v19
	s_delay_alu instid0(VALU_DEP_4) | instskip(NEXT) | instid1(VALU_DEP_4)
	v_pk_mul_f32 v[6:7], v[2:3], v[10:11] op_sel_hi:[0,1]
	v_cndmask_b32_e64 v3, -v1, v1, vcc_lo
	v_cmp_eq_u16_e32 vcc_lo, 0, v14
	v_cndmask_b32_e64 v2, -v0, v0, vcc_lo
	v_cmp_eq_u16_e32 vcc_lo, 0, v15
	;; [unrolled: 2-line block ×5, first 2 shown]
	v_cndmask_b32_e64 v5, -v19, v19, vcc_lo
	v_cmp_gt_i16_e32 vcc_lo, 0, v13
	v_cndmask_b32_e64 v7, v7, -v7, vcc_lo
	v_cmp_gt_i16_e32 vcc_lo, 0, v12
	v_cndmask_b32_e64 v6, v6, -v6, vcc_lo
	s_clause 0x1
	global_store_b128 v[8:9], v[0:3], off
	global_store_b128 v[8:9], v[4:7], off offset:16
	s_endpgm
	.section	.rodata,"a",@progbits
	.p2align	6, 0x0
	.amdhsa_kernel _ZL23dequantize_block_iq2_xsIfEvPKvPT_
		.amdhsa_group_segment_fixed_size 0
		.amdhsa_private_segment_fixed_size 0
		.amdhsa_kernarg_size 16
		.amdhsa_user_sgpr_count 2
		.amdhsa_user_sgpr_dispatch_ptr 0
		.amdhsa_user_sgpr_queue_ptr 0
		.amdhsa_user_sgpr_kernarg_segment_ptr 1
		.amdhsa_user_sgpr_dispatch_id 0
		.amdhsa_user_sgpr_kernarg_preload_length 0
		.amdhsa_user_sgpr_kernarg_preload_offset 0
		.amdhsa_user_sgpr_private_segment_size 0
		.amdhsa_wavefront_size32 1
		.amdhsa_uses_dynamic_stack 0
		.amdhsa_enable_private_segment 0
		.amdhsa_system_sgpr_workgroup_id_x 1
		.amdhsa_system_sgpr_workgroup_id_y 0
		.amdhsa_system_sgpr_workgroup_id_z 0
		.amdhsa_system_sgpr_workgroup_info 0
		.amdhsa_system_vgpr_workitem_id 0
		.amdhsa_next_free_vgpr 21
		.amdhsa_next_free_sgpr 10
		.amdhsa_named_barrier_count 0
		.amdhsa_reserve_vcc 1
		.amdhsa_float_round_mode_32 0
		.amdhsa_float_round_mode_16_64 0
		.amdhsa_float_denorm_mode_32 3
		.amdhsa_float_denorm_mode_16_64 3
		.amdhsa_fp16_overflow 0
		.amdhsa_memory_ordered 1
		.amdhsa_forward_progress 1
		.amdhsa_inst_pref_size 5
		.amdhsa_round_robin_scheduling 0
		.amdhsa_exception_fp_ieee_invalid_op 0
		.amdhsa_exception_fp_denorm_src 0
		.amdhsa_exception_fp_ieee_div_zero 0
		.amdhsa_exception_fp_ieee_overflow 0
		.amdhsa_exception_fp_ieee_underflow 0
		.amdhsa_exception_fp_ieee_inexact 0
		.amdhsa_exception_int_div_zero 0
	.end_amdhsa_kernel
	.section	.text._ZL23dequantize_block_iq2_xsIfEvPKvPT_,"axG",@progbits,_ZL23dequantize_block_iq2_xsIfEvPKvPT_,comdat
.Lfunc_end11:
	.size	_ZL23dequantize_block_iq2_xsIfEvPKvPT_, .Lfunc_end11-_ZL23dequantize_block_iq2_xsIfEvPKvPT_
                                        ; -- End function
	.set _ZL23dequantize_block_iq2_xsIfEvPKvPT_.num_vgpr, 21
	.set _ZL23dequantize_block_iq2_xsIfEvPKvPT_.num_agpr, 0
	.set _ZL23dequantize_block_iq2_xsIfEvPKvPT_.numbered_sgpr, 10
	.set _ZL23dequantize_block_iq2_xsIfEvPKvPT_.num_named_barrier, 0
	.set _ZL23dequantize_block_iq2_xsIfEvPKvPT_.private_seg_size, 0
	.set _ZL23dequantize_block_iq2_xsIfEvPKvPT_.uses_vcc, 1
	.set _ZL23dequantize_block_iq2_xsIfEvPKvPT_.uses_flat_scratch, 0
	.set _ZL23dequantize_block_iq2_xsIfEvPKvPT_.has_dyn_sized_stack, 0
	.set _ZL23dequantize_block_iq2_xsIfEvPKvPT_.has_recursion, 0
	.set _ZL23dequantize_block_iq2_xsIfEvPKvPT_.has_indirect_call, 0
	.section	.AMDGPU.csdata,"",@progbits
; Kernel info:
; codeLenInByte = 596
; TotalNumSgprs: 12
; NumVgprs: 21
; ScratchSize: 0
; MemoryBound: 0
; FloatMode: 240
; IeeeMode: 1
; LDSByteSize: 0 bytes/workgroup (compile time only)
; SGPRBlocks: 0
; VGPRBlocks: 1
; NumSGPRsForWavesPerEU: 12
; NumVGPRsForWavesPerEU: 21
; NamedBarCnt: 0
; Occupancy: 16
; WaveLimiterHint : 0
; COMPUTE_PGM_RSRC2:SCRATCH_EN: 0
; COMPUTE_PGM_RSRC2:USER_SGPR: 2
; COMPUTE_PGM_RSRC2:TRAP_HANDLER: 0
; COMPUTE_PGM_RSRC2:TGID_X_EN: 1
; COMPUTE_PGM_RSRC2:TGID_Y_EN: 0
; COMPUTE_PGM_RSRC2:TGID_Z_EN: 0
; COMPUTE_PGM_RSRC2:TIDIG_COMP_CNT: 0
	.section	.text._ZL24dequantize_block_iq3_xxsIfEvPKvPT_,"axG",@progbits,_ZL24dequantize_block_iq3_xxsIfEvPKvPT_,comdat
	.globl	_ZL24dequantize_block_iq3_xxsIfEvPKvPT_ ; -- Begin function _ZL24dequantize_block_iq3_xxsIfEvPKvPT_
	.p2align	8
	.type	_ZL24dequantize_block_iq3_xxsIfEvPKvPT_,@function
_ZL24dequantize_block_iq3_xxsIfEvPKvPT_: ; @_ZL24dequantize_block_iq3_xxsIfEvPKvPT_
; %bb.0:
	s_load_b128 s[0:3], s[0:1], 0x0
	s_bfe_u32 s4, ttmp6, 0x4000c
	s_and_b32 s5, ttmp6, 15
	s_add_co_i32 s4, s4, 1
	s_getreg_b32 s6, hwreg(HW_REG_IB_STS2, 6, 4)
	s_mul_i32 s4, ttmp9, s4
	v_dual_mov_b32 v5, 0 :: v_dual_bitop2_b32 v6, 7, v0 bitop3:0x40
	s_add_co_i32 s4, s5, s4
	s_cmp_eq_u32 s6, 0
	s_mov_b32 s5, 0
	s_cselect_b32 s6, ttmp9, s4
	v_dual_lshlrev_b32 v4, 7, v6 :: v_dual_lshrrev_b32 v7, 3, v0
	s_lshl_b32 s4, s6, 8
	v_and_b32_e32 v1, 0x3f8, v0
	s_lshl_b64 s[8:9], s[4:5], 2
	s_mov_b32 s7, s5
	s_wait_kmcnt 0x0
	s_add_nc_u64 s[2:3], s[2:3], s[8:9]
	s_delay_alu instid0(SALU_CYCLE_1) | instskip(SKIP_2) | instid1(SALU_CYCLE_1)
	v_add_nc_u64_e32 v[2:3], s[2:3], v[4:5]
	v_lshlrev_b32_e32 v4, 2, v1
	s_mul_u64 s[2:3], s[6:7], 0x62
	s_add_nc_u64 s[0:1], s[0:1], s[2:3]
	s_delay_alu instid0(VALU_DEP_1) | instskip(SKIP_1) | instid1(VALU_DEP_1)
	v_add_nc_u64_e32 v[2:3], v[2:3], v[4:5]
	v_lshlrev_b32_e32 v4, 3, v6
	v_add_nc_u64_e32 v[0:1], s[0:1], v[4:5]
	v_lshlrev_b32_e32 v4, 1, v7
	s_delay_alu instid0(VALU_DEP_1)
	v_add_nc_u64_e32 v[0:1], v[0:1], v[4:5]
	s_clause 0x2
	global_load_u16 v4, v5, s[0:1]
	global_load_b32 v8, v6, s[0:1] offset:66 scale_offset
	global_load_u16 v9, v[0:1], off offset:2
	s_wait_xcnt 0x0
	v_mul_u32_u24_e32 v0, 7, v7
	s_get_pc_i64 s[0:1]
	s_add_nc_u64 s[0:1], s[0:1], _ZL12ksigns_iq2xs@rel64+4
	s_wait_loadcnt 0x2
	v_cvt_f32_f16_e32 v4, v4
	s_wait_loadcnt 0x1
	v_bfe_u32 v1, v8, v0, 7
	s_wait_loadcnt 0x0
	v_lshrrev_b16 v0, 8, v9
	v_and_b32_e32 v6, 0xff, v9
	global_load_u8 v5, v1, s[0:1]
	v_and_b32_e32 v0, 0xffff, v0
	s_wait_xcnt 0x0
	s_get_pc_i64 s[0:1]
	s_add_nc_u64 s[0:1], s[0:1], _ZL11iq3xxs_grid@rel64+4
	s_clause 0x1
	global_load_b32 v10, v0, s[0:1] scale_offset
	global_load_b32 v11, v6, s[0:1] scale_offset
	s_wait_xcnt 0x1
	v_lshrrev_b32_e32 v0, 28, v8
	s_delay_alu instid0(VALU_DEP_1) | instskip(NEXT) | instid1(VALU_DEP_1)
	v_cvt_f32_ubyte0_e32 v0, v0
	v_add_f32_e32 v0, 0.5, v0
	s_wait_loadcnt 0x2
	s_delay_alu instid0(VALU_DEP_1) | instskip(NEXT) | instid1(VALU_DEP_1)
	v_dual_mul_f32 v0, v0, v4 :: v_dual_bitop2_b32 v15, 16, v5 bitop3:0x40
	v_mul_f32_e32 v0, 0.5, v0
	v_bfe_i32 v14, v5, 0, 8
	v_and_b32_e32 v18, 4, v5
	v_and_b32_e32 v19, 2, v5
	s_wait_loadcnt 0x1
	v_cvt_f32_ubyte0_e32 v12, v10
	s_wait_loadcnt 0x0
	v_cvt_f32_ubyte3_e32 v9, v11
	v_cvt_f32_ubyte2_e32 v8, v11
	v_and_b32_e32 v16, 32, v5
	v_cvt_f32_ubyte1_e32 v4, v10
	v_mul_f32_e32 v22, v0, v12
	v_cmp_eq_u16_e32 vcc_lo, 0, v15
	v_and_b32_e32 v17, 8, v5
	v_pk_mul_f32 v[8:9], v[0:1], v[8:9] op_sel_hi:[0,1]
	v_and_b32_e32 v20, 1, v5
	v_cvt_f32_ubyte2_e32 v5, v10
	v_cvt_f32_ubyte1_e32 v7, v11
	v_cvt_f32_ubyte0_e32 v6, v11
	v_cvt_f32_ubyte3_e32 v21, v10
	s_delay_alu instid0(VALU_DEP_4) | instskip(SKIP_3) | instid1(VALU_DEP_4)
	v_pk_mul_f32 v[10:11], v[0:1], v[4:5] op_sel_hi:[0,1]
	v_cndmask_b32_e64 v4, -v22, v22, vcc_lo
	v_cmp_gt_u32_e32 vcc_lo, 64, v1
	v_pk_mul_f32 v[12:13], v[0:1], v[6:7] op_sel_hi:[0,1]
	v_dual_mul_f32 v0, v0, v21 :: v_dual_cndmask_b32 v6, -v11, v11, vcc_lo
	v_cmp_eq_u16_e32 vcc_lo, 0, v16
	v_cndmask_b32_e64 v5, -v10, v10, vcc_lo
	v_cmp_eq_u16_e32 vcc_lo, 0, v17
	v_cndmask_b32_e64 v11, -v9, v9, vcc_lo
	;; [unrolled: 2-line block ×5, first 2 shown]
	v_cmp_gt_i16_e32 vcc_lo, 0, v14
	v_cndmask_b32_e64 v7, v0, -v0, vcc_lo
	s_clause 0x1
	global_store_b128 v[2:3], v[8:11], off
	global_store_b128 v[2:3], v[4:7], off offset:16
	s_endpgm
	.section	.rodata,"a",@progbits
	.p2align	6, 0x0
	.amdhsa_kernel _ZL24dequantize_block_iq3_xxsIfEvPKvPT_
		.amdhsa_group_segment_fixed_size 0
		.amdhsa_private_segment_fixed_size 0
		.amdhsa_kernarg_size 16
		.amdhsa_user_sgpr_count 2
		.amdhsa_user_sgpr_dispatch_ptr 0
		.amdhsa_user_sgpr_queue_ptr 0
		.amdhsa_user_sgpr_kernarg_segment_ptr 1
		.amdhsa_user_sgpr_dispatch_id 0
		.amdhsa_user_sgpr_kernarg_preload_length 0
		.amdhsa_user_sgpr_kernarg_preload_offset 0
		.amdhsa_user_sgpr_private_segment_size 0
		.amdhsa_wavefront_size32 1
		.amdhsa_uses_dynamic_stack 0
		.amdhsa_enable_private_segment 0
		.amdhsa_system_sgpr_workgroup_id_x 1
		.amdhsa_system_sgpr_workgroup_id_y 0
		.amdhsa_system_sgpr_workgroup_id_z 0
		.amdhsa_system_sgpr_workgroup_info 0
		.amdhsa_system_vgpr_workitem_id 0
		.amdhsa_next_free_vgpr 23
		.amdhsa_next_free_sgpr 10
		.amdhsa_named_barrier_count 0
		.amdhsa_reserve_vcc 1
		.amdhsa_float_round_mode_32 0
		.amdhsa_float_round_mode_16_64 0
		.amdhsa_float_denorm_mode_32 3
		.amdhsa_float_denorm_mode_16_64 3
		.amdhsa_fp16_overflow 0
		.amdhsa_memory_ordered 1
		.amdhsa_forward_progress 1
		.amdhsa_inst_pref_size 5
		.amdhsa_round_robin_scheduling 0
		.amdhsa_exception_fp_ieee_invalid_op 0
		.amdhsa_exception_fp_denorm_src 0
		.amdhsa_exception_fp_ieee_div_zero 0
		.amdhsa_exception_fp_ieee_overflow 0
		.amdhsa_exception_fp_ieee_underflow 0
		.amdhsa_exception_fp_ieee_inexact 0
		.amdhsa_exception_int_div_zero 0
	.end_amdhsa_kernel
	.section	.text._ZL24dequantize_block_iq3_xxsIfEvPKvPT_,"axG",@progbits,_ZL24dequantize_block_iq3_xxsIfEvPKvPT_,comdat
.Lfunc_end12:
	.size	_ZL24dequantize_block_iq3_xxsIfEvPKvPT_, .Lfunc_end12-_ZL24dequantize_block_iq3_xxsIfEvPKvPT_
                                        ; -- End function
	.set _ZL24dequantize_block_iq3_xxsIfEvPKvPT_.num_vgpr, 23
	.set _ZL24dequantize_block_iq3_xxsIfEvPKvPT_.num_agpr, 0
	.set _ZL24dequantize_block_iq3_xxsIfEvPKvPT_.numbered_sgpr, 10
	.set _ZL24dequantize_block_iq3_xxsIfEvPKvPT_.num_named_barrier, 0
	.set _ZL24dequantize_block_iq3_xxsIfEvPKvPT_.private_seg_size, 0
	.set _ZL24dequantize_block_iq3_xxsIfEvPKvPT_.uses_vcc, 1
	.set _ZL24dequantize_block_iq3_xxsIfEvPKvPT_.uses_flat_scratch, 0
	.set _ZL24dequantize_block_iq3_xxsIfEvPKvPT_.has_dyn_sized_stack, 0
	.set _ZL24dequantize_block_iq3_xxsIfEvPKvPT_.has_recursion, 0
	.set _ZL24dequantize_block_iq3_xxsIfEvPKvPT_.has_indirect_call, 0
	.section	.AMDGPU.csdata,"",@progbits
; Kernel info:
; codeLenInByte = 600
; TotalNumSgprs: 12
; NumVgprs: 23
; ScratchSize: 0
; MemoryBound: 0
; FloatMode: 240
; IeeeMode: 1
; LDSByteSize: 0 bytes/workgroup (compile time only)
; SGPRBlocks: 0
; VGPRBlocks: 1
; NumSGPRsForWavesPerEU: 12
; NumVGPRsForWavesPerEU: 23
; NamedBarCnt: 0
; Occupancy: 16
; WaveLimiterHint : 0
; COMPUTE_PGM_RSRC2:SCRATCH_EN: 0
; COMPUTE_PGM_RSRC2:USER_SGPR: 2
; COMPUTE_PGM_RSRC2:TRAP_HANDLER: 0
; COMPUTE_PGM_RSRC2:TGID_X_EN: 1
; COMPUTE_PGM_RSRC2:TGID_Y_EN: 0
; COMPUTE_PGM_RSRC2:TGID_Z_EN: 0
; COMPUTE_PGM_RSRC2:TIDIG_COMP_CNT: 0
	.section	.text._ZL22dequantize_block_iq1_sIfEvPKvPT_,"axG",@progbits,_ZL22dequantize_block_iq1_sIfEvPKvPT_,comdat
	.globl	_ZL22dequantize_block_iq1_sIfEvPKvPT_ ; -- Begin function _ZL22dequantize_block_iq1_sIfEvPKvPT_
	.p2align	8
	.type	_ZL22dequantize_block_iq1_sIfEvPKvPT_,@function
_ZL22dequantize_block_iq1_sIfEvPKvPT_:  ; @_ZL22dequantize_block_iq1_sIfEvPKvPT_
; %bb.0:
	s_load_b128 s[0:3], s[0:1], 0x0
	s_bfe_u32 s6, ttmp6, 0x4000c
	s_and_b32 s4, ttmp6, 15
	s_add_co_i32 s6, s6, 1
	s_getreg_b32 s7, hwreg(HW_REG_IB_STS2, 6, 4)
	s_mul_i32 s6, ttmp9, s6
	v_dual_mov_b32 v3, 0 :: v_dual_bitop2_b32 v8, 7, v0 bitop3:0x40
	s_add_co_i32 s4, s4, s6
	s_cmp_eq_u32 s7, 0
	s_mov_b32 s5, 0
	s_cselect_b32 s4, ttmp9, s4
	v_dual_mov_b32 v5, v3 :: v_dual_lshlrev_b32 v4, 1, v8
	s_mul_u64 s[6:7], s[4:5], 50
	v_lshrrev_b32_e32 v2, 3, v0
	s_wait_kmcnt 0x0
	s_add_nc_u64 s[0:1], s[0:1], s[6:7]
	s_get_pc_i64 s[6:7]
	s_add_nc_u64 s[6:7], s[6:7], _ZL13iq1s_grid_gpu@rel64+4
	v_add_nc_u64_e32 v[6:7], s[0:1], v[4:5]
	global_load_u16 v9, v8, s[0:1] offset:34 scale_offset
	v_add_nc_u64_e32 v[4:5], v[6:7], v[4:5]
	s_delay_alu instid0(VALU_DEP_1)
	v_add_nc_u64_e32 v[4:5], v[4:5], v[2:3]
	v_mul_u32_u24_e32 v2, 3, v2
	global_load_u8 v1, v[4:5], off offset:2
	s_wait_loadcnt 0x1
	s_wait_xcnt 0x0
	v_and_b32_e32 v4, 0xffff, v9
	v_lshrrev_b16 v7, 11, v9
	v_cmp_lt_i16_e32 vcc_lo, -1, v9
	s_delay_alu instid0(VALU_DEP_3) | instskip(NEXT) | instid1(VALU_DEP_3)
	v_lshrrev_b32_e32 v2, v2, v4
	v_bitop3_b16 v7, v7, 1, 14 bitop3:0xec
	s_delay_alu instid0(VALU_DEP_2) | instskip(NEXT) | instid1(VALU_DEP_2)
	v_lshlrev_b32_e32 v2, 8, v2
	v_cvt_f32_ubyte0_e32 v14, v7
	s_wait_loadcnt 0x0
	s_delay_alu instid0(VALU_DEP_2) | instskip(SKIP_1) | instid1(VALU_DEP_2)
	v_and_or_b32 v1, 0x700, v2, v1
	v_and_b32_e32 v2, 0x3f8, v0
	v_dual_lshlrev_b32 v0, 7, v8 :: v_dual_lshlrev_b32 v1, 3, v1
	s_delay_alu instid0(VALU_DEP_2)
	v_lshlrev_b32_e32 v2, 2, v2
	global_load_u16 v5, v3, s[0:1]
	global_load_b32 v6, v1, s[6:7]
	s_wait_xcnt 0x0
	v_dual_mov_b32 v4, 0xbf600000 :: v_dual_mov_b32 v1, v3
	s_lshl_b64 s[0:1], s[4:5], 10
	s_delay_alu instid0(SALU_CYCLE_1)
	s_add_nc_u64 s[0:1], s[2:3], s[0:1]
	s_delay_alu instid0(VALU_DEP_1) | instid1(SALU_CYCLE_1)
	v_add_nc_u64_e32 v[0:1], s[0:1], v[0:1]
	s_delay_alu instid0(VALU_DEP_1)
	v_add_nc_u64_e32 v[16:17], v[0:1], v[2:3]
	s_wait_loadcnt 0x1
	v_cvt_f32_f16_e32 v5, v5
	s_wait_loadcnt 0x0
	v_and_b32_e32 v8, 0xf0f0f0f, v6
	v_bfe_u32 v7, v6, 8, 4
	v_and_b32_e32 v9, 15, v6
	v_bfe_u32 v10, v6, 16, 4
	v_bfe_u32 v11, v6, 12, 4
	;; [unrolled: 1-line block ×3, first 2 shown]
	v_lshrrev_b32_e32 v13, 28, v6
	v_bfe_u32 v15, v6, 20, 4
	v_cndmask_b32_e32 v4, 0xbf900000, v4, vcc_lo
	v_cvt_f32_ubyte0_e32 v7, v7
	v_cvt_f32_ubyte0_e32 v6, v9
	v_cvt_f32_ubyte3_e32 v9, v8
	v_cvt_f32_ubyte0_e32 v8, v10
	v_cvt_f32_ubyte0_e32 v11, v11
	;; [unrolled: 1-line block ×5, first 2 shown]
	v_mul_f32_e32 v14, v5, v14
	v_pk_add_f32 v[6:7], v[4:5], v[6:7] op_sel_hi:[0,1]
	v_pk_add_f32 v[8:9], v[4:5], v[8:9] op_sel_hi:[0,1]
	;; [unrolled: 1-line block ×4, first 2 shown]
	s_delay_alu instid0(VALU_DEP_4) | instskip(NEXT) | instid1(VALU_DEP_4)
	v_pk_mul_f32 v[0:1], v[14:15], v[6:7] op_sel_hi:[0,1]
	v_pk_mul_f32 v[2:3], v[14:15], v[8:9] op_sel_hi:[0,1]
	s_delay_alu instid0(VALU_DEP_4) | instskip(NEXT) | instid1(VALU_DEP_4)
	v_pk_mul_f32 v[4:5], v[14:15], v[10:11] op_sel_hi:[0,1]
	v_pk_mul_f32 v[6:7], v[14:15], v[12:13] op_sel_hi:[0,1]
	s_clause 0x1
	global_store_b128 v[16:17], v[0:3], off
	global_store_b128 v[16:17], v[4:7], off offset:16
	s_endpgm
	.section	.rodata,"a",@progbits
	.p2align	6, 0x0
	.amdhsa_kernel _ZL22dequantize_block_iq1_sIfEvPKvPT_
		.amdhsa_group_segment_fixed_size 0
		.amdhsa_private_segment_fixed_size 0
		.amdhsa_kernarg_size 16
		.amdhsa_user_sgpr_count 2
		.amdhsa_user_sgpr_dispatch_ptr 0
		.amdhsa_user_sgpr_queue_ptr 0
		.amdhsa_user_sgpr_kernarg_segment_ptr 1
		.amdhsa_user_sgpr_dispatch_id 0
		.amdhsa_user_sgpr_kernarg_preload_length 0
		.amdhsa_user_sgpr_kernarg_preload_offset 0
		.amdhsa_user_sgpr_private_segment_size 0
		.amdhsa_wavefront_size32 1
		.amdhsa_uses_dynamic_stack 0
		.amdhsa_enable_private_segment 0
		.amdhsa_system_sgpr_workgroup_id_x 1
		.amdhsa_system_sgpr_workgroup_id_y 0
		.amdhsa_system_sgpr_workgroup_id_z 0
		.amdhsa_system_sgpr_workgroup_info 0
		.amdhsa_system_vgpr_workitem_id 0
		.amdhsa_next_free_vgpr 18
		.amdhsa_next_free_sgpr 8
		.amdhsa_named_barrier_count 0
		.amdhsa_reserve_vcc 1
		.amdhsa_float_round_mode_32 0
		.amdhsa_float_round_mode_16_64 0
		.amdhsa_float_denorm_mode_32 3
		.amdhsa_float_denorm_mode_16_64 3
		.amdhsa_fp16_overflow 0
		.amdhsa_memory_ordered 1
		.amdhsa_forward_progress 1
		.amdhsa_inst_pref_size 5
		.amdhsa_round_robin_scheduling 0
		.amdhsa_exception_fp_ieee_invalid_op 0
		.amdhsa_exception_fp_denorm_src 0
		.amdhsa_exception_fp_ieee_div_zero 0
		.amdhsa_exception_fp_ieee_overflow 0
		.amdhsa_exception_fp_ieee_underflow 0
		.amdhsa_exception_fp_ieee_inexact 0
		.amdhsa_exception_int_div_zero 0
	.end_amdhsa_kernel
	.section	.text._ZL22dequantize_block_iq1_sIfEvPKvPT_,"axG",@progbits,_ZL22dequantize_block_iq1_sIfEvPKvPT_,comdat
.Lfunc_end13:
	.size	_ZL22dequantize_block_iq1_sIfEvPKvPT_, .Lfunc_end13-_ZL22dequantize_block_iq1_sIfEvPKvPT_
                                        ; -- End function
	.set _ZL22dequantize_block_iq1_sIfEvPKvPT_.num_vgpr, 18
	.set _ZL22dequantize_block_iq1_sIfEvPKvPT_.num_agpr, 0
	.set _ZL22dequantize_block_iq1_sIfEvPKvPT_.numbered_sgpr, 8
	.set _ZL22dequantize_block_iq1_sIfEvPKvPT_.num_named_barrier, 0
	.set _ZL22dequantize_block_iq1_sIfEvPKvPT_.private_seg_size, 0
	.set _ZL22dequantize_block_iq1_sIfEvPKvPT_.uses_vcc, 1
	.set _ZL22dequantize_block_iq1_sIfEvPKvPT_.uses_flat_scratch, 0
	.set _ZL22dequantize_block_iq1_sIfEvPKvPT_.has_dyn_sized_stack, 0
	.set _ZL22dequantize_block_iq1_sIfEvPKvPT_.has_recursion, 0
	.set _ZL22dequantize_block_iq1_sIfEvPKvPT_.has_indirect_call, 0
	.section	.AMDGPU.csdata,"",@progbits
; Kernel info:
; codeLenInByte = 532
; TotalNumSgprs: 10
; NumVgprs: 18
; ScratchSize: 0
; MemoryBound: 0
; FloatMode: 240
; IeeeMode: 1
; LDSByteSize: 0 bytes/workgroup (compile time only)
; SGPRBlocks: 0
; VGPRBlocks: 1
; NumSGPRsForWavesPerEU: 10
; NumVGPRsForWavesPerEU: 18
; NamedBarCnt: 0
; Occupancy: 16
; WaveLimiterHint : 0
; COMPUTE_PGM_RSRC2:SCRATCH_EN: 0
; COMPUTE_PGM_RSRC2:USER_SGPR: 2
; COMPUTE_PGM_RSRC2:TRAP_HANDLER: 0
; COMPUTE_PGM_RSRC2:TGID_X_EN: 1
; COMPUTE_PGM_RSRC2:TGID_Y_EN: 0
; COMPUTE_PGM_RSRC2:TGID_Z_EN: 0
; COMPUTE_PGM_RSRC2:TIDIG_COMP_CNT: 0
	.section	.text._ZL23dequantize_block_iq4_nlIfEvPKvPT_,"axG",@progbits,_ZL23dequantize_block_iq4_nlIfEvPKvPT_,comdat
	.globl	_ZL23dequantize_block_iq4_nlIfEvPKvPT_ ; -- Begin function _ZL23dequantize_block_iq4_nlIfEvPKvPT_
	.p2align	8
	.type	_ZL23dequantize_block_iq4_nlIfEvPKvPT_,@function
_ZL23dequantize_block_iq4_nlIfEvPKvPT_: ; @_ZL23dequantize_block_iq4_nlIfEvPKvPT_
; %bb.0:
	s_load_b128 s[0:3], s[0:1], 0x0
	s_bfe_u32 s4, ttmp6, 0x4000c
	s_and_b32 s6, ttmp6, 15
	s_add_co_i32 s4, s4, 1
	s_getreg_b32 s7, hwreg(HW_REG_IB_STS2, 6, 4)
	s_mul_i32 s4, ttmp9, s4
	s_mov_b32 s5, 0
	s_add_co_i32 s6, s6, s4
	s_cmp_eq_u32 s7, 0
	v_dual_mov_b32 v1, 0 :: v_dual_bitop2_b32 v2, 7, v0 bitop3:0x40
	s_cselect_b32 s8, ttmp9, s6
	v_lshrrev_b32_e32 v6, 1, v0
	s_lshl_b32 s4, s8, 3
	s_delay_alu instid0(VALU_DEP_2) | instskip(SKIP_4) | instid1(SALU_CYCLE_1)
	v_lshlrev_b32_e32 v0, 7, v2
	s_mul_u64 s[6:7], s[4:5], 18
	s_lshl_b32 s4, s8, 8
	s_wait_kmcnt 0x0
	s_add_nc_u64 s[0:1], s[0:1], s[6:7]
	v_mad_nc_u64_u32 v[2:3], v2, 18, s[0:1]
	s_lshl_b64 s[0:1], s[4:5], 2
	s_delay_alu instid0(SALU_CYCLE_1) | instskip(NEXT) | instid1(SALU_CYCLE_1)
	s_add_nc_u64 s[0:1], s[2:3], s[0:1]
	v_add_nc_u64_e32 v[4:5], s[0:1], v[0:1]
	v_and_b32_e32 v0, 0x1fc, v6
	s_get_pc_i64 s[0:1]
	s_add_nc_u64 s[0:1], s[0:1], _ZL13kvalues_iq4nl@rel64+4
	s_delay_alu instid0(VALU_DEP_1)
	v_add_nc_u64_e32 v[6:7], v[2:3], v[0:1]
	v_lshlrev_b32_e32 v0, 2, v0
	s_clause 0x1
	global_load_b32 v8, v[6:7], off offset:2
	global_load_u16 v9, v[2:3], off
	s_wait_loadcnt 0x1
	s_wait_xcnt 0x1
	v_bfe_u32 v6, v8, 8, 4
	s_wait_xcnt 0x0
	v_and_b32_e32 v2, 15, v8
	v_bfe_u32 v11, v8, 24, 4
	v_bfe_u32 v10, v8, 16, 4
	;; [unrolled: 1-line block ×5, first 2 shown]
	v_lshrrev_b32_e32 v8, 28, v8
	s_clause 0x7
	global_load_i8 v13, v6, s[0:1]
	global_load_i8 v14, v2, s[0:1]
	;; [unrolled: 1-line block ×8, first 2 shown]
	s_wait_loadcnt 0x8
	s_wait_xcnt 0x2
	v_cvt_f32_f16_e32 v8, v9
	s_wait_loadcnt 0x7
	v_cvt_f32_i32_e32 v7, v13
	s_wait_loadcnt 0x6
	v_cvt_f32_i32_e32 v6, v14
	s_wait_loadcnt 0x5
	s_wait_xcnt 0x0
	v_cvt_f32_i32_e32 v3, v15
	s_wait_loadcnt 0x4
	v_cvt_f32_i32_e32 v2, v16
	s_wait_loadcnt 0x3
	;; [unrolled: 2-line block ×5, first 2 shown]
	v_cvt_f32_i32_e32 v10, v20
	v_add_nc_u64_e32 v[14:15], v[4:5], v[0:1]
	v_pk_mul_f32 v[2:3], v[8:9], v[2:3] op_sel_hi:[0,1]
	v_pk_mul_f32 v[0:1], v[8:9], v[6:7] op_sel_hi:[0,1]
	;; [unrolled: 1-line block ×4, first 2 shown]
	s_clause 0x1
	global_store_b128 v[14:15], v[0:3], off
	global_store_b128 v[14:15], v[4:7], off offset:64
	s_endpgm
	.section	.rodata,"a",@progbits
	.p2align	6, 0x0
	.amdhsa_kernel _ZL23dequantize_block_iq4_nlIfEvPKvPT_
		.amdhsa_group_segment_fixed_size 0
		.amdhsa_private_segment_fixed_size 0
		.amdhsa_kernarg_size 16
		.amdhsa_user_sgpr_count 2
		.amdhsa_user_sgpr_dispatch_ptr 0
		.amdhsa_user_sgpr_queue_ptr 0
		.amdhsa_user_sgpr_kernarg_segment_ptr 1
		.amdhsa_user_sgpr_dispatch_id 0
		.amdhsa_user_sgpr_kernarg_preload_length 0
		.amdhsa_user_sgpr_kernarg_preload_offset 0
		.amdhsa_user_sgpr_private_segment_size 0
		.amdhsa_wavefront_size32 1
		.amdhsa_uses_dynamic_stack 0
		.amdhsa_enable_private_segment 0
		.amdhsa_system_sgpr_workgroup_id_x 1
		.amdhsa_system_sgpr_workgroup_id_y 0
		.amdhsa_system_sgpr_workgroup_id_z 0
		.amdhsa_system_sgpr_workgroup_info 0
		.amdhsa_system_vgpr_workitem_id 0
		.amdhsa_next_free_vgpr 21
		.amdhsa_next_free_sgpr 9
		.amdhsa_named_barrier_count 0
		.amdhsa_reserve_vcc 0
		.amdhsa_float_round_mode_32 0
		.amdhsa_float_round_mode_16_64 0
		.amdhsa_float_denorm_mode_32 3
		.amdhsa_float_denorm_mode_16_64 3
		.amdhsa_fp16_overflow 0
		.amdhsa_memory_ordered 1
		.amdhsa_forward_progress 1
		.amdhsa_inst_pref_size 4
		.amdhsa_round_robin_scheduling 0
		.amdhsa_exception_fp_ieee_invalid_op 0
		.amdhsa_exception_fp_denorm_src 0
		.amdhsa_exception_fp_ieee_div_zero 0
		.amdhsa_exception_fp_ieee_overflow 0
		.amdhsa_exception_fp_ieee_underflow 0
		.amdhsa_exception_fp_ieee_inexact 0
		.amdhsa_exception_int_div_zero 0
	.end_amdhsa_kernel
	.section	.text._ZL23dequantize_block_iq4_nlIfEvPKvPT_,"axG",@progbits,_ZL23dequantize_block_iq4_nlIfEvPKvPT_,comdat
.Lfunc_end14:
	.size	_ZL23dequantize_block_iq4_nlIfEvPKvPT_, .Lfunc_end14-_ZL23dequantize_block_iq4_nlIfEvPKvPT_
                                        ; -- End function
	.set _ZL23dequantize_block_iq4_nlIfEvPKvPT_.num_vgpr, 21
	.set _ZL23dequantize_block_iq4_nlIfEvPKvPT_.num_agpr, 0
	.set _ZL23dequantize_block_iq4_nlIfEvPKvPT_.numbered_sgpr, 9
	.set _ZL23dequantize_block_iq4_nlIfEvPKvPT_.num_named_barrier, 0
	.set _ZL23dequantize_block_iq4_nlIfEvPKvPT_.private_seg_size, 0
	.set _ZL23dequantize_block_iq4_nlIfEvPKvPT_.uses_vcc, 0
	.set _ZL23dequantize_block_iq4_nlIfEvPKvPT_.uses_flat_scratch, 0
	.set _ZL23dequantize_block_iq4_nlIfEvPKvPT_.has_dyn_sized_stack, 0
	.set _ZL23dequantize_block_iq4_nlIfEvPKvPT_.has_recursion, 0
	.set _ZL23dequantize_block_iq4_nlIfEvPKvPT_.has_indirect_call, 0
	.section	.AMDGPU.csdata,"",@progbits
; Kernel info:
; codeLenInByte = 496
; TotalNumSgprs: 9
; NumVgprs: 21
; ScratchSize: 0
; MemoryBound: 0
; FloatMode: 240
; IeeeMode: 1
; LDSByteSize: 0 bytes/workgroup (compile time only)
; SGPRBlocks: 0
; VGPRBlocks: 1
; NumSGPRsForWavesPerEU: 9
; NumVGPRsForWavesPerEU: 21
; NamedBarCnt: 0
; Occupancy: 16
; WaveLimiterHint : 0
; COMPUTE_PGM_RSRC2:SCRATCH_EN: 0
; COMPUTE_PGM_RSRC2:USER_SGPR: 2
; COMPUTE_PGM_RSRC2:TRAP_HANDLER: 0
; COMPUTE_PGM_RSRC2:TGID_X_EN: 1
; COMPUTE_PGM_RSRC2:TGID_Y_EN: 0
; COMPUTE_PGM_RSRC2:TGID_Z_EN: 0
; COMPUTE_PGM_RSRC2:TIDIG_COMP_CNT: 0
	.section	.text._ZL22dequantize_block_iq3_sIfEvPKvPT_,"axG",@progbits,_ZL22dequantize_block_iq3_sIfEvPKvPT_,comdat
	.globl	_ZL22dequantize_block_iq3_sIfEvPKvPT_ ; -- Begin function _ZL22dequantize_block_iq3_sIfEvPKvPT_
	.p2align	8
	.type	_ZL22dequantize_block_iq3_sIfEvPKvPT_,@function
_ZL22dequantize_block_iq3_sIfEvPKvPT_:  ; @_ZL22dequantize_block_iq3_sIfEvPKvPT_
; %bb.0:
	s_load_b128 s[0:3], s[0:1], 0x0
	s_bfe_u32 s4, ttmp6, 0x4000c
	s_and_b32 s5, ttmp6, 15
	s_add_co_i32 s4, s4, 1
	s_getreg_b32 s6, hwreg(HW_REG_IB_STS2, 6, 4)
	s_mul_i32 s4, ttmp9, s4
	v_dual_mov_b32 v5, 0 :: v_dual_bitop2_b32 v1, 7, v0 bitop3:0x40
	s_add_co_i32 s4, s5, s4
	s_cmp_eq_u32 s6, 0
	s_mov_b32 s5, 0
	s_cselect_b32 s6, ttmp9, s4
	v_dual_lshlrev_b32 v4, 7, v1 :: v_dual_lshrrev_b32 v8, 3, v0
	s_lshl_b32 s4, s6, 8
	v_and_b32_e32 v6, 0x3f8, v0
	s_lshl_b64 s[8:9], s[4:5], 2
	s_mov_b32 s7, s5
	v_bfe_u32 v9, v0, 1, 2
	v_lshlrev_b32_e32 v0, 2, v0
	s_wait_kmcnt 0x0
	s_add_nc_u64 s[2:3], s[2:3], s[8:9]
	s_delay_alu instid0(SALU_CYCLE_1) | instskip(SKIP_4) | instid1(VALU_DEP_2)
	v_add_nc_u64_e32 v[2:3], s[2:3], v[4:5]
	v_lshlrev_b32_e32 v4, 2, v6
	s_mul_u64 s[2:3], s[6:7], 0x6e
	v_and_b32_e32 v0, 4, v0
	s_add_nc_u64 s[0:1], s[0:1], s[2:3]
	v_add_nc_u64_e32 v[2:3], v[2:3], v[4:5]
	v_lshlrev_b32_e32 v4, 3, v1
	s_delay_alu instid0(VALU_DEP_1) | instskip(SKIP_2) | instid1(VALU_DEP_2)
	v_add_nc_u64_e32 v[6:7], s[0:1], v[4:5]
	v_lshlrev_b32_e32 v4, 1, v8
	v_lshl_add_u32 v8, v1, 2, v8
	v_add_nc_u64_e32 v[6:7], v[6:7], v[4:5]
	s_clause 0x3
	global_load_u16 v10, v[6:7], off offset:2
	global_load_u8 v11, v9, s[0:1] offset:106
	global_load_u8 v12, v8, s[0:1] offset:74
	;; [unrolled: 1-line block ×3, first 2 shown]
	s_wait_xcnt 0x0
	v_dual_sub_nc_u32 v1, 7, v4 :: v_dual_sub_nc_u32 v4, 8, v4
	global_load_u16 v5, v5, s[0:1]
	s_wait_xcnt 0x0
	s_get_pc_i64 s[0:1]
	s_add_nc_u64 s[0:1], s[0:1], _ZL10iq3xs_grid@rel64+4
	s_wait_loadcnt 0x4
	v_lshrrev_b16 v6, 8, v10
	v_and_b32_e32 v7, 0xff, v10
	s_wait_loadcnt 0x2
	v_bfe_i32 v14, v12, 0, 8
	s_wait_loadcnt 0x1
	v_dual_lshlrev_b32 v1, v1, v13 :: v_dual_lshlrev_b32 v4, v4, v13
	v_and_b32_e32 v6, 0xffff, v6
	v_and_b32_e32 v17, 2, v12
	v_bfe_u32 v0, v11, v0, 4
	v_and_b32_e32 v18, 1, v12
	v_and_or_b32 v4, 0x100, v4, v7
	v_and_or_b32 v1, 0x100, v1, v6
	s_clause 0x1
	global_load_b32 v8, v1, s[0:1] scale_offset
	global_load_b32 v6, v4, s[0:1] scale_offset
	v_cvt_f32_ubyte0_e32 v0, v0
	s_wait_loadcnt 0x2
	s_wait_xcnt 0x1
	v_cvt_f32_f16_e32 v1, v5
	s_delay_alu instid0(VALU_DEP_2) | instskip(NEXT) | instid1(VALU_DEP_1)
	v_add_f32_e32 v0, 0.5, v0
	v_mul_f32_e32 v0, v0, v1
	s_delay_alu instid0(VALU_DEP_1)
	v_mul_f32_e32 v0, 0.5, v0
	v_and_b32_e32 v11, 32, v12
	s_wait_loadcnt 0x1
	v_cvt_f32_ubyte0_e32 v9, v8
	v_and_b32_e32 v10, 16, v12
	v_cvt_f32_ubyte2_e32 v13, v8
	v_and_b32_e32 v15, 64, v12
	s_wait_loadcnt 0x0
	v_cvt_f32_ubyte1_e32 v5, v6
	v_cvt_f32_ubyte0_e32 v4, v6
	v_cvt_f32_ubyte3_e32 v19, v8
	v_dual_mul_f32 v20, v0, v9 :: v_dual_bitop2_b32 v1, 8, v12 bitop3:0x40
	v_dual_mul_f32 v22, v0, v13 :: v_dual_bitop2_b32 v16, 4, v12 bitop3:0x40
	v_cvt_f32_ubyte1_e32 v12, v8
	v_cmp_eq_u16_e32 vcc_lo, 0, v10
	v_cvt_f32_ubyte3_e32 v7, v6
	v_cvt_f32_ubyte2_e32 v6, v6
	s_delay_alu instid0(VALU_DEP_4)
	v_mul_f32_e32 v21, v0, v12
	v_pk_mul_f32 v[12:13], v[0:1], v[4:5] op_sel_hi:[0,1]
	v_cndmask_b32_e64 v4, -v20, v20, vcc_lo
	v_cmp_eq_u16_e32 vcc_lo, 0, v11
	v_pk_mul_f32 v[8:9], v[0:1], v[6:7] op_sel_hi:[0,1]
	v_dual_mul_f32 v0, v0, v19 :: v_dual_cndmask_b32 v5, -v21, v21, vcc_lo
	v_cmp_eq_u16_e32 vcc_lo, 0, v15
	v_cndmask_b32_e64 v6, -v22, v22, vcc_lo
	v_cmp_eq_u16_e32 vcc_lo, 0, v1
	v_cndmask_b32_e64 v11, -v9, v9, vcc_lo
	;; [unrolled: 2-line block ×5, first 2 shown]
	v_cmp_gt_i16_e32 vcc_lo, 0, v14
	v_cndmask_b32_e64 v7, v0, -v0, vcc_lo
	s_clause 0x1
	global_store_b128 v[2:3], v[8:11], off
	global_store_b128 v[2:3], v[4:7], off offset:16
	s_endpgm
	.section	.rodata,"a",@progbits
	.p2align	6, 0x0
	.amdhsa_kernel _ZL22dequantize_block_iq3_sIfEvPKvPT_
		.amdhsa_group_segment_fixed_size 0
		.amdhsa_private_segment_fixed_size 0
		.amdhsa_kernarg_size 16
		.amdhsa_user_sgpr_count 2
		.amdhsa_user_sgpr_dispatch_ptr 0
		.amdhsa_user_sgpr_queue_ptr 0
		.amdhsa_user_sgpr_kernarg_segment_ptr 1
		.amdhsa_user_sgpr_dispatch_id 0
		.amdhsa_user_sgpr_kernarg_preload_length 0
		.amdhsa_user_sgpr_kernarg_preload_offset 0
		.amdhsa_user_sgpr_private_segment_size 0
		.amdhsa_wavefront_size32 1
		.amdhsa_uses_dynamic_stack 0
		.amdhsa_enable_private_segment 0
		.amdhsa_system_sgpr_workgroup_id_x 1
		.amdhsa_system_sgpr_workgroup_id_y 0
		.amdhsa_system_sgpr_workgroup_id_z 0
		.amdhsa_system_sgpr_workgroup_info 0
		.amdhsa_system_vgpr_workitem_id 0
		.amdhsa_next_free_vgpr 23
		.amdhsa_next_free_sgpr 10
		.amdhsa_named_barrier_count 0
		.amdhsa_reserve_vcc 1
		.amdhsa_float_round_mode_32 0
		.amdhsa_float_round_mode_16_64 0
		.amdhsa_float_denorm_mode_32 3
		.amdhsa_float_denorm_mode_16_64 3
		.amdhsa_fp16_overflow 0
		.amdhsa_memory_ordered 1
		.amdhsa_forward_progress 1
		.amdhsa_inst_pref_size 6
		.amdhsa_round_robin_scheduling 0
		.amdhsa_exception_fp_ieee_invalid_op 0
		.amdhsa_exception_fp_denorm_src 0
		.amdhsa_exception_fp_ieee_div_zero 0
		.amdhsa_exception_fp_ieee_overflow 0
		.amdhsa_exception_fp_ieee_underflow 0
		.amdhsa_exception_fp_ieee_inexact 0
		.amdhsa_exception_int_div_zero 0
	.end_amdhsa_kernel
	.section	.text._ZL22dequantize_block_iq3_sIfEvPKvPT_,"axG",@progbits,_ZL22dequantize_block_iq3_sIfEvPKvPT_,comdat
.Lfunc_end15:
	.size	_ZL22dequantize_block_iq3_sIfEvPKvPT_, .Lfunc_end15-_ZL22dequantize_block_iq3_sIfEvPKvPT_
                                        ; -- End function
	.set _ZL22dequantize_block_iq3_sIfEvPKvPT_.num_vgpr, 23
	.set _ZL22dequantize_block_iq3_sIfEvPKvPT_.num_agpr, 0
	.set _ZL22dequantize_block_iq3_sIfEvPKvPT_.numbered_sgpr, 10
	.set _ZL22dequantize_block_iq3_sIfEvPKvPT_.num_named_barrier, 0
	.set _ZL22dequantize_block_iq3_sIfEvPKvPT_.private_seg_size, 0
	.set _ZL22dequantize_block_iq3_sIfEvPKvPT_.uses_vcc, 1
	.set _ZL22dequantize_block_iq3_sIfEvPKvPT_.uses_flat_scratch, 0
	.set _ZL22dequantize_block_iq3_sIfEvPKvPT_.has_dyn_sized_stack, 0
	.set _ZL22dequantize_block_iq3_sIfEvPKvPT_.has_recursion, 0
	.set _ZL22dequantize_block_iq3_sIfEvPKvPT_.has_indirect_call, 0
	.section	.AMDGPU.csdata,"",@progbits
; Kernel info:
; codeLenInByte = 664
; TotalNumSgprs: 12
; NumVgprs: 23
; ScratchSize: 0
; MemoryBound: 0
; FloatMode: 240
; IeeeMode: 1
; LDSByteSize: 0 bytes/workgroup (compile time only)
; SGPRBlocks: 0
; VGPRBlocks: 1
; NumSGPRsForWavesPerEU: 12
; NumVGPRsForWavesPerEU: 23
; NamedBarCnt: 0
; Occupancy: 16
; WaveLimiterHint : 0
; COMPUTE_PGM_RSRC2:SCRATCH_EN: 0
; COMPUTE_PGM_RSRC2:USER_SGPR: 2
; COMPUTE_PGM_RSRC2:TRAP_HANDLER: 0
; COMPUTE_PGM_RSRC2:TGID_X_EN: 1
; COMPUTE_PGM_RSRC2:TGID_Y_EN: 0
; COMPUTE_PGM_RSRC2:TGID_Z_EN: 0
; COMPUTE_PGM_RSRC2:TIDIG_COMP_CNT: 0
	.section	.text._ZL22dequantize_block_iq2_sIfEvPKvPT_,"axG",@progbits,_ZL22dequantize_block_iq2_sIfEvPKvPT_,comdat
	.globl	_ZL22dequantize_block_iq2_sIfEvPKvPT_ ; -- Begin function _ZL22dequantize_block_iq2_sIfEvPKvPT_
	.p2align	8
	.type	_ZL22dequantize_block_iq2_sIfEvPKvPT_,@function
_ZL22dequantize_block_iq2_sIfEvPKvPT_:  ; @_ZL22dequantize_block_iq2_sIfEvPKvPT_
; %bb.0:
	s_load_b128 s[0:3], s[0:1], 0x0
	s_bfe_u32 s6, ttmp6, 0x4000c
	s_and_b32 s4, ttmp6, 15
	s_add_co_i32 s6, s6, 1
	s_getreg_b32 s8, hwreg(HW_REG_IB_STS2, 6, 4)
	s_mul_i32 s6, ttmp9, s6
	v_dual_lshrrev_b32 v1, 3, v0 :: v_dual_bitop2_b32 v2, 7, v0 bitop3:0x40
	s_add_co_i32 s4, s4, s6
	s_mov_b32 s5, 0
	s_cmp_eq_u32 s8, 0
	s_mov_b32 s7, s5
	s_cselect_b32 s6, ttmp9, s4
	v_lshl_add_u32 v3, v2, 2, v1
	s_mul_u64 s[8:9], s[6:7], 0x52
	v_lshlrev_b32_e32 v1, 1, v1
	s_lshl_b32 s4, s6, 8
	v_and_b32_e32 v8, 0x3f8, v0
	s_wait_kmcnt 0x0
	s_add_nc_u64 s[0:1], s[0:1], s[8:9]
	s_clause 0x3
	global_load_u8 v4, v2, s[0:1] offset:66
	global_load_u8 v5, v3, s[0:1] offset:2
	;; [unrolled: 1-line block ×4, first 2 shown]
	s_wait_xcnt 0x1
	v_dual_mov_b32 v3, 0 :: v_dual_sub_nc_u32 v1, 8, v1
	s_wait_xcnt 0x0
	v_lshlrev_b32_e32 v2, 7, v2
	global_load_u16 v10, v3, s[0:1]
	s_wait_xcnt 0x0
	s_get_pc_i64 s[0:1]
	s_add_nc_u64 s[0:1], s[0:1], _ZL9iq2s_grid@rel64+4
	s_wait_loadcnt 0x2
	v_dual_lshlrev_b32 v1, v1, v4 :: v_dual_bitop2_b32 v11, 8, v6 bitop3:0x40
	v_and_b32_e32 v12, 4, v6
	s_delay_alu instid0(VALU_DEP_2) | instskip(NEXT) | instid1(VALU_DEP_3)
	v_and_or_b32 v1, 0x300, v1, v5
	v_cmp_eq_u16_e32 vcc_lo, 0, v11
	v_and_b32_e32 v17, 64, v6
	global_load_b64 v[4:5], v1, s[0:1] scale_offset
	s_wait_xcnt 0x0
	v_lshrrev_b32_e32 v1, 2, v0
	s_lshl_b64 s[0:1], s[4:5], 2
	s_delay_alu instid0(SALU_CYCLE_1) | instskip(NEXT) | instid1(VALU_DEP_1)
	s_add_nc_u64 s[0:1], s[2:3], s[0:1]
	v_and_b32_e32 v1, 0xfc, v1
	s_wait_loadcnt 0x2
	s_delay_alu instid0(VALU_DEP_1) | instskip(SKIP_1) | instid1(VALU_DEP_2)
	v_bfe_u32 v7, v7, v1, 4
	v_add_nc_u64_e32 v[0:1], s[0:1], v[2:3]
	v_cvt_f32_ubyte0_e32 v7, v7
	v_lshlrev_b32_e32 v2, 2, v8
	s_delay_alu instid0(VALU_DEP_1) | instskip(SKIP_4) | instid1(VALU_DEP_2)
	v_add_nc_u64_e32 v[8:9], v[0:1], v[2:3]
	s_wait_loadcnt 0x1
	v_cvt_f32_f16_e32 v0, v10
	v_dual_add_f32 v1, 0.5, v7 :: v_dual_bitop2_b32 v13, 2, v6 bitop3:0x40
	v_bfe_i32 v10, v6, 0, 8
	v_mul_f32_e32 v0, v1, v0
	s_delay_alu instid0(VALU_DEP_1)
	v_mul_f32_e32 v0, 0x3e800000, v0
	s_wait_loadcnt 0x0
	v_cvt_f32_ubyte3_e32 v7, v4
	v_cvt_f32_ubyte0_e32 v1, v5
	v_and_b32_e32 v14, 1, v6
	v_cvt_f32_ubyte2_e32 v19, v5
	v_and_b32_e32 v15, 16, v6
	v_cvt_f32_ubyte3_e32 v20, v5
	v_and_b32_e32 v16, 32, v6
	v_cvt_f32_ubyte2_e32 v6, v4
	v_cvt_f32_ubyte1_e32 v3, v4
	v_cvt_f32_ubyte0_e32 v2, v4
	v_cvt_f32_ubyte1_e32 v18, v5
	v_mul_f32_e32 v21, v0, v1
	v_pk_mul_f32 v[4:5], v[0:1], v[6:7] op_sel_hi:[0,1]
	v_mul_f32_e32 v19, v0, v19
	v_pk_mul_f32 v[6:7], v[0:1], v[2:3] op_sel_hi:[0,1]
	s_delay_alu instid0(VALU_DEP_3)
	v_dual_mul_f32 v20, v0, v20 :: v_dual_cndmask_b32 v3, -v5, v5, vcc_lo
	v_cmp_eq_u16_e32 vcc_lo, 0, v12
	v_cndmask_b32_e64 v2, -v4, v4, vcc_lo
	v_cmp_eq_u16_e32 vcc_lo, 0, v13
	v_dual_mul_f32 v18, v0, v18 :: v_dual_cndmask_b32 v1, -v7, v7, vcc_lo
	v_cmp_eq_u16_e32 vcc_lo, 0, v14
	v_cndmask_b32_e64 v0, -v6, v6, vcc_lo
	v_cmp_eq_u16_e32 vcc_lo, 0, v15
	v_cndmask_b32_e64 v4, -v21, v21, vcc_lo
	;; [unrolled: 2-line block ×4, first 2 shown]
	v_cmp_gt_i16_e32 vcc_lo, 0, v10
	v_cndmask_b32_e64 v7, v20, -v20, vcc_lo
	s_clause 0x1
	global_store_b128 v[8:9], v[0:3], off
	global_store_b128 v[8:9], v[4:7], off offset:16
	s_endpgm
	.section	.rodata,"a",@progbits
	.p2align	6, 0x0
	.amdhsa_kernel _ZL22dequantize_block_iq2_sIfEvPKvPT_
		.amdhsa_group_segment_fixed_size 0
		.amdhsa_private_segment_fixed_size 0
		.amdhsa_kernarg_size 16
		.amdhsa_user_sgpr_count 2
		.amdhsa_user_sgpr_dispatch_ptr 0
		.amdhsa_user_sgpr_queue_ptr 0
		.amdhsa_user_sgpr_kernarg_segment_ptr 1
		.amdhsa_user_sgpr_dispatch_id 0
		.amdhsa_user_sgpr_kernarg_preload_length 0
		.amdhsa_user_sgpr_kernarg_preload_offset 0
		.amdhsa_user_sgpr_private_segment_size 0
		.amdhsa_wavefront_size32 1
		.amdhsa_uses_dynamic_stack 0
		.amdhsa_enable_private_segment 0
		.amdhsa_system_sgpr_workgroup_id_x 1
		.amdhsa_system_sgpr_workgroup_id_y 0
		.amdhsa_system_sgpr_workgroup_id_z 0
		.amdhsa_system_sgpr_workgroup_info 0
		.amdhsa_system_vgpr_workitem_id 0
		.amdhsa_next_free_vgpr 22
		.amdhsa_next_free_sgpr 10
		.amdhsa_named_barrier_count 0
		.amdhsa_reserve_vcc 1
		.amdhsa_float_round_mode_32 0
		.amdhsa_float_round_mode_16_64 0
		.amdhsa_float_denorm_mode_32 3
		.amdhsa_float_denorm_mode_16_64 3
		.amdhsa_fp16_overflow 0
		.amdhsa_memory_ordered 1
		.amdhsa_forward_progress 1
		.amdhsa_inst_pref_size 5
		.amdhsa_round_robin_scheduling 0
		.amdhsa_exception_fp_ieee_invalid_op 0
		.amdhsa_exception_fp_denorm_src 0
		.amdhsa_exception_fp_ieee_div_zero 0
		.amdhsa_exception_fp_ieee_overflow 0
		.amdhsa_exception_fp_ieee_underflow 0
		.amdhsa_exception_fp_ieee_inexact 0
		.amdhsa_exception_int_div_zero 0
	.end_amdhsa_kernel
	.section	.text._ZL22dequantize_block_iq2_sIfEvPKvPT_,"axG",@progbits,_ZL22dequantize_block_iq2_sIfEvPKvPT_,comdat
.Lfunc_end16:
	.size	_ZL22dequantize_block_iq2_sIfEvPKvPT_, .Lfunc_end16-_ZL22dequantize_block_iq2_sIfEvPKvPT_
                                        ; -- End function
	.set _ZL22dequantize_block_iq2_sIfEvPKvPT_.num_vgpr, 22
	.set _ZL22dequantize_block_iq2_sIfEvPKvPT_.num_agpr, 0
	.set _ZL22dequantize_block_iq2_sIfEvPKvPT_.numbered_sgpr, 10
	.set _ZL22dequantize_block_iq2_sIfEvPKvPT_.num_named_barrier, 0
	.set _ZL22dequantize_block_iq2_sIfEvPKvPT_.private_seg_size, 0
	.set _ZL22dequantize_block_iq2_sIfEvPKvPT_.uses_vcc, 1
	.set _ZL22dequantize_block_iq2_sIfEvPKvPT_.uses_flat_scratch, 0
	.set _ZL22dequantize_block_iq2_sIfEvPKvPT_.has_dyn_sized_stack, 0
	.set _ZL22dequantize_block_iq2_sIfEvPKvPT_.has_recursion, 0
	.set _ZL22dequantize_block_iq2_sIfEvPKvPT_.has_indirect_call, 0
	.section	.AMDGPU.csdata,"",@progbits
; Kernel info:
; codeLenInByte = 584
; TotalNumSgprs: 12
; NumVgprs: 22
; ScratchSize: 0
; MemoryBound: 0
; FloatMode: 240
; IeeeMode: 1
; LDSByteSize: 0 bytes/workgroup (compile time only)
; SGPRBlocks: 0
; VGPRBlocks: 1
; NumSGPRsForWavesPerEU: 12
; NumVGPRsForWavesPerEU: 22
; NamedBarCnt: 0
; Occupancy: 16
; WaveLimiterHint : 0
; COMPUTE_PGM_RSRC2:SCRATCH_EN: 0
; COMPUTE_PGM_RSRC2:USER_SGPR: 2
; COMPUTE_PGM_RSRC2:TRAP_HANDLER: 0
; COMPUTE_PGM_RSRC2:TGID_X_EN: 1
; COMPUTE_PGM_RSRC2:TGID_Y_EN: 0
; COMPUTE_PGM_RSRC2:TGID_Z_EN: 0
; COMPUTE_PGM_RSRC2:TIDIG_COMP_CNT: 0
	.section	.text._ZL23dequantize_block_iq4_xsIfEvPKvPT_,"axG",@progbits,_ZL23dequantize_block_iq4_xsIfEvPKvPT_,comdat
	.globl	_ZL23dequantize_block_iq4_xsIfEvPKvPT_ ; -- Begin function _ZL23dequantize_block_iq4_xsIfEvPKvPT_
	.p2align	8
	.type	_ZL23dequantize_block_iq4_xsIfEvPKvPT_,@function
_ZL23dequantize_block_iq4_xsIfEvPKvPT_: ; @_ZL23dequantize_block_iq4_xsIfEvPKvPT_
; %bb.0:
	s_load_b128 s[0:3], s[0:1], 0x0
	s_bfe_u32 s6, ttmp6, 0x4000c
	s_and_b32 s4, ttmp6, 15
	s_add_co_i32 s6, s6, 1
	s_getreg_b32 s8, hwreg(HW_REG_IB_STS2, 6, 4)
	s_mul_i32 s6, ttmp9, s6
	v_dual_mov_b32 v3, 0 :: v_dual_bitop2_b32 v1, 7, v0 bitop3:0x40
	s_add_co_i32 s4, s4, s6
	s_mov_b32 s5, 0
	s_cmp_eq_u32 s8, 0
	s_mov_b32 s7, s5
	s_cselect_b32 s6, ttmp9, s4
	v_dual_mov_b32 v5, v3 :: v_dual_lshrrev_b32 v8, 1, v0
	v_dual_lshlrev_b32 v2, 7, v1 :: v_dual_lshlrev_b32 v4, 4, v1
	s_lshl_b32 s4, s6, 8
	s_mul_u64 s[6:7], s[6:7], 0x88
	s_lshl_b64 s[4:5], s[4:5], 2
	s_wait_kmcnt 0x0
	s_add_nc_u64 s[0:1], s[0:1], s[6:7]
	s_add_nc_u64 s[2:3], s[2:3], s[4:5]
	v_add_nc_u64_e32 v[4:5], s[0:1], v[4:5]
	v_add_nc_u64_e32 v[6:7], s[2:3], v[2:3]
	v_and_b32_e32 v2, 0x1fc, v8
	v_lshlrev_b32_e32 v1, 1, v1
	s_delay_alu instid0(VALU_DEP_2)
	v_add_nc_u64_e32 v[4:5], v[4:5], v[2:3]
	s_clause 0x1
	global_load_b32 v8, v[4:5], off offset:8
	global_load_b32 v9, v3, s[0:1]
	s_wait_xcnt 0x1
	v_bfe_u32 v4, v0, 1, 2
	v_dual_lshlrev_b32 v0, 2, v0 :: v_dual_lshlrev_b32 v2, 2, v2
	global_load_u8 v4, v4, s[0:1] offset:4
	s_wait_xcnt 0x0
	s_get_pc_i64 s[0:1]
	s_add_nc_u64 s[0:1], s[0:1], _ZL13kvalues_iq4nl@rel64+4
	v_and_b32_e32 v0, 4, v0
	s_wait_loadcnt 0x2
	v_bfe_u32 v11, v8, 8, 4
	v_and_b32_e32 v5, 15, v8
	v_bfe_u32 v14, v8, 24, 4
	v_bfe_u32 v13, v8, 16, 4
	;; [unrolled: 1-line block ×5, first 2 shown]
	v_lshrrev_b32_e32 v8, 28, v8
	s_clause 0x7
	global_load_i8 v16, v11, s[0:1]
	global_load_i8 v17, v5, s[0:1]
	global_load_i8 v18, v14, s[0:1]
	global_load_i8 v19, v13, s[0:1]
	global_load_i8 v20, v12, s[0:1]
	global_load_i8 v21, v8, s[0:1]
	global_load_i8 v22, v15, s[0:1]
	global_load_i8 v23, v10, s[0:1]
	s_wait_loadcnt 0x9
	s_wait_xcnt 0x6
	v_lshrrev_b32_e32 v5, 16, v9
	s_wait_loadcnt 0x8
	v_bfe_u32 v0, v4, v0, 4
	s_wait_xcnt 0x1
	v_add_nc_u64_e32 v[14:15], v[6:7], v[2:3]
	v_lshrrev_b32_e32 v1, v1, v5
	s_delay_alu instid0(VALU_DEP_1) | instskip(NEXT) | instid1(VALU_DEP_1)
	v_lshlrev_b32_e32 v1, 4, v1
	v_and_or_b32 v0, v1, 48, v0
	v_cvt_f32_f16_e32 v1, v9
	s_delay_alu instid0(VALU_DEP_2) | instskip(NEXT) | instid1(VALU_DEP_1)
	v_subrev_nc_u32_e32 v0, 32, v0
	v_cvt_f32_i32_e32 v0, v0
	s_delay_alu instid0(VALU_DEP_1)
	v_mul_f32_e32 v4, v1, v0
	s_wait_loadcnt 0x7
	v_cvt_f32_i32_e32 v1, v16
	s_wait_loadcnt 0x6
	v_cvt_f32_i32_e32 v0, v17
	;; [unrolled: 2-line block ×8, first 2 shown]
	v_pk_mul_f32 v[2:3], v[4:5], v[8:9] op_sel_hi:[0,1]
	v_pk_mul_f32 v[0:1], v[4:5], v[0:1] op_sel_hi:[0,1]
	;; [unrolled: 1-line block ×3, first 2 shown]
	s_delay_alu instid0(VALU_DEP_4)
	v_pk_mul_f32 v[4:5], v[4:5], v[10:11] op_sel_hi:[0,1]
	s_clause 0x1
	global_store_b128 v[14:15], v[0:3], off
	global_store_b128 v[14:15], v[4:7], off offset:64
	s_endpgm
	.section	.rodata,"a",@progbits
	.p2align	6, 0x0
	.amdhsa_kernel _ZL23dequantize_block_iq4_xsIfEvPKvPT_
		.amdhsa_group_segment_fixed_size 0
		.amdhsa_private_segment_fixed_size 0
		.amdhsa_kernarg_size 16
		.amdhsa_user_sgpr_count 2
		.amdhsa_user_sgpr_dispatch_ptr 0
		.amdhsa_user_sgpr_queue_ptr 0
		.amdhsa_user_sgpr_kernarg_segment_ptr 1
		.amdhsa_user_sgpr_dispatch_id 0
		.amdhsa_user_sgpr_kernarg_preload_length 0
		.amdhsa_user_sgpr_kernarg_preload_offset 0
		.amdhsa_user_sgpr_private_segment_size 0
		.amdhsa_wavefront_size32 1
		.amdhsa_uses_dynamic_stack 0
		.amdhsa_enable_private_segment 0
		.amdhsa_system_sgpr_workgroup_id_x 1
		.amdhsa_system_sgpr_workgroup_id_y 0
		.amdhsa_system_sgpr_workgroup_id_z 0
		.amdhsa_system_sgpr_workgroup_info 0
		.amdhsa_system_vgpr_workitem_id 0
		.amdhsa_next_free_vgpr 24
		.amdhsa_next_free_sgpr 9
		.amdhsa_named_barrier_count 0
		.amdhsa_reserve_vcc 0
		.amdhsa_float_round_mode_32 0
		.amdhsa_float_round_mode_16_64 0
		.amdhsa_float_denorm_mode_32 3
		.amdhsa_float_denorm_mode_16_64 3
		.amdhsa_fp16_overflow 0
		.amdhsa_memory_ordered 1
		.amdhsa_forward_progress 1
		.amdhsa_inst_pref_size 5
		.amdhsa_round_robin_scheduling 0
		.amdhsa_exception_fp_ieee_invalid_op 0
		.amdhsa_exception_fp_denorm_src 0
		.amdhsa_exception_fp_ieee_div_zero 0
		.amdhsa_exception_fp_ieee_overflow 0
		.amdhsa_exception_fp_ieee_underflow 0
		.amdhsa_exception_fp_ieee_inexact 0
		.amdhsa_exception_int_div_zero 0
	.end_amdhsa_kernel
	.section	.text._ZL23dequantize_block_iq4_xsIfEvPKvPT_,"axG",@progbits,_ZL23dequantize_block_iq4_xsIfEvPKvPT_,comdat
.Lfunc_end17:
	.size	_ZL23dequantize_block_iq4_xsIfEvPKvPT_, .Lfunc_end17-_ZL23dequantize_block_iq4_xsIfEvPKvPT_
                                        ; -- End function
	.set _ZL23dequantize_block_iq4_xsIfEvPKvPT_.num_vgpr, 24
	.set _ZL23dequantize_block_iq4_xsIfEvPKvPT_.num_agpr, 0
	.set _ZL23dequantize_block_iq4_xsIfEvPKvPT_.numbered_sgpr, 9
	.set _ZL23dequantize_block_iq4_xsIfEvPKvPT_.num_named_barrier, 0
	.set _ZL23dequantize_block_iq4_xsIfEvPKvPT_.private_seg_size, 0
	.set _ZL23dequantize_block_iq4_xsIfEvPKvPT_.uses_vcc, 0
	.set _ZL23dequantize_block_iq4_xsIfEvPKvPT_.uses_flat_scratch, 0
	.set _ZL23dequantize_block_iq4_xsIfEvPKvPT_.has_dyn_sized_stack, 0
	.set _ZL23dequantize_block_iq4_xsIfEvPKvPT_.has_recursion, 0
	.set _ZL23dequantize_block_iq4_xsIfEvPKvPT_.has_indirect_call, 0
	.section	.AMDGPU.csdata,"",@progbits
; Kernel info:
; codeLenInByte = 596
; TotalNumSgprs: 9
; NumVgprs: 24
; ScratchSize: 0
; MemoryBound: 0
; FloatMode: 240
; IeeeMode: 1
; LDSByteSize: 0 bytes/workgroup (compile time only)
; SGPRBlocks: 0
; VGPRBlocks: 1
; NumSGPRsForWavesPerEU: 9
; NumVGPRsForWavesPerEU: 24
; NamedBarCnt: 0
; Occupancy: 16
; WaveLimiterHint : 0
; COMPUTE_PGM_RSRC2:SCRATCH_EN: 0
; COMPUTE_PGM_RSRC2:USER_SGPR: 2
; COMPUTE_PGM_RSRC2:TRAP_HANDLER: 0
; COMPUTE_PGM_RSRC2:TGID_X_EN: 1
; COMPUTE_PGM_RSRC2:TGID_Y_EN: 0
; COMPUTE_PGM_RSRC2:TGID_Z_EN: 0
; COMPUTE_PGM_RSRC2:TIDIG_COMP_CNT: 0
	.section	.text._ZL22dequantize_block_iq1_mIfEvPKvPT_,"axG",@progbits,_ZL22dequantize_block_iq1_mIfEvPKvPT_,comdat
	.globl	_ZL22dequantize_block_iq1_mIfEvPKvPT_ ; -- Begin function _ZL22dequantize_block_iq1_mIfEvPKvPT_
	.p2align	8
	.type	_ZL22dequantize_block_iq1_mIfEvPKvPT_,@function
_ZL22dequantize_block_iq1_mIfEvPKvPT_:  ; @_ZL22dequantize_block_iq1_mIfEvPKvPT_
; %bb.0:
	s_load_b128 s[0:3], s[0:1], 0x0
	s_bfe_u32 s6, ttmp6, 0x4000c
	s_and_b32 s4, ttmp6, 15
	s_add_co_i32 s6, s6, 1
	s_getreg_b32 s7, hwreg(HW_REG_IB_STS2, 6, 4)
	s_mul_i32 s6, ttmp9, s6
	v_dual_mov_b32 v3, 0 :: v_dual_bitop2_b32 v8, 7, v0 bitop3:0x40
	s_add_co_i32 s4, s4, s6
	s_cmp_eq_u32 s7, 0
	s_mov_b32 s5, 0
	s_cselect_b32 s4, ttmp9, s4
	v_dual_mov_b32 v5, v3 :: v_dual_lshlrev_b32 v4, 2, v8
	s_mul_u64 s[6:7], s[4:5], 56
	v_dual_lshrrev_b32 v2, 3, v0 :: v_dual_lshrrev_b32 v1, 4, v0
	v_dual_mov_b32 v7, v3 :: v_dual_lshlrev_b32 v6, 1, v8
	v_and_b32_e32 v12, 0x3f8, v0
	s_wait_kmcnt 0x0
	s_add_nc_u64 s[0:1], s[0:1], s[6:7]
	v_lshrrev_b32_e32 v11, 1, v0
	v_add_nc_u64_e32 v[4:5], s[0:1], v[4:5]
	v_lshlrev_b32_e32 v0, 7, v8
	s_delay_alu instid0(VALU_DEP_2)
	v_add_nc_u64_e32 v[4:5], v[4:5], v[2:3]
	v_add_nc_u32_e32 v2, v6, v1
	s_clause 0x2
	global_load_u8 v9, v[4:5], off
	global_load_u8 v10, v2, s[0:1] offset:32
	global_load_b64 v[4:5], v3, s[0:1] offset:48
	v_add_nc_u16 v1, v6, v1
	s_wait_xcnt 0x1
	v_and_b32_e32 v2, 3, v2
	s_delay_alu instid0(VALU_DEP_2) | instskip(NEXT) | instid1(VALU_DEP_2)
	v_lshrrev_b16 v1, 1, v1
	v_mul_u32_u24_e32 v2, 3, v2
	s_delay_alu instid0(VALU_DEP_2) | instskip(SKIP_2) | instid1(VALU_DEP_1)
	v_and_b32_e32 v6, 62, v1
	v_and_b32_e32 v1, 4, v11
	s_wait_loadcnt 0x1
	v_lshrrev_b32_e32 v10, v1, v10
	s_delay_alu instid0(VALU_DEP_3)
	v_add_nc_u64_e32 v[6:7], s[0:1], v[6:7]
	global_load_u16 v6, v[6:7], off offset:48
	s_wait_loadcnt 0x1
	v_pk_lshrrev_b16 v4, 0x8000c, v4
	v_lshlrev_b32_e32 v1, 8, v10
	s_get_pc_i64 s[0:1]
	s_add_nc_u64 s[0:1], s[0:1], _ZL13iq1s_grid_gpu@rel64+4
	v_mov_b32_e32 v11, 0xbf600000
	v_pk_lshrrev_b16 v5, 4, v5
	v_and_or_b32 v1, 0x700, v1, v9
	v_lshrrev_b32_e32 v9, 16, v4
	s_delay_alu instid0(VALU_DEP_3) | instskip(NEXT) | instid1(VALU_DEP_3)
	v_and_b32_e32 v5, 0xf0000f00, v5
	v_lshlrev_b32_e32 v1, 3, v1
	s_delay_alu instid0(VALU_DEP_3) | instskip(NEXT) | instid1(VALU_DEP_3)
	v_and_b32_e32 v9, 0xf0, v9
	v_lshrrev_b32_e32 v8, 16, v5
	global_load_b32 v7, v1, s[0:1]
	s_wait_xcnt 0x0
	v_dual_mov_b32 v1, v3 :: v_dual_bitop2_b32 v4, v9, v4 bitop3:0x54
	s_lshl_b64 s[0:1], s[4:5], 10
	s_delay_alu instid0(SALU_CYCLE_1) | instskip(NEXT) | instid1(VALU_DEP_1)
	s_add_nc_u64 s[0:1], s[2:3], s[0:1]
	v_or_b32_e32 v4, v4, v5
	v_and_b32_e32 v5, 8, v10
	v_add_nc_u64_e32 v[0:1], s[0:1], v[0:1]
	s_wait_loadcnt 0x1
	v_dual_lshrrev_b32 v6, v2, v6 :: v_dual_lshlrev_b32 v2, 2, v12
	s_delay_alu instid0(VALU_DEP_1) | instskip(NEXT) | instid1(VALU_DEP_2)
	v_lshlrev_b32_e32 v6, 1, v6
	v_add_nc_u64_e32 v[16:17], v[0:1], v[2:3]
	s_delay_alu instid0(VALU_DEP_2) | instskip(SKIP_3) | instid1(VALU_DEP_3)
	v_and_or_b32 v6, v6, 14, 1
	s_wait_loadcnt 0x0
	v_lshrrev_b32_e32 v13, 28, v7
	v_cmp_eq_u32_e32 vcc_lo, 0, v5
	v_cvt_f32_ubyte0_e32 v5, v6
	v_or_b32_e32 v8, v4, v8
	v_bfe_u32 v6, v7, 8, 4
	v_and_b32_e32 v9, 15, v7
	v_bfe_u32 v10, v7, 16, 4
	v_cndmask_b32_e32 v4, 0xbf900000, v11, vcc_lo
	v_cvt_f32_f16_e32 v14, v8
	v_and_b32_e32 v8, 0xf0f0f0f, v7
	v_bfe_u32 v11, v7, 12, 4
	v_bfe_u32 v12, v7, 4, 4
	v_bfe_u32 v15, v7, 20, 4
	v_cvt_f32_ubyte0_e32 v7, v6
	v_cvt_f32_ubyte0_e32 v6, v9
	v_cvt_f32_ubyte3_e32 v9, v8
	v_cvt_f32_ubyte0_e32 v8, v10
	v_cvt_f32_ubyte0_e32 v11, v11
	v_cvt_f32_ubyte0_e32 v10, v12
	v_cvt_f32_ubyte0_e32 v13, v13
	v_cvt_f32_ubyte0_e32 v12, v15
	v_mul_f32_e32 v14, v14, v5
	v_pk_add_f32 v[6:7], v[4:5], v[6:7] op_sel_hi:[0,1]
	v_pk_add_f32 v[8:9], v[4:5], v[8:9] op_sel_hi:[0,1]
	v_pk_add_f32 v[10:11], v[4:5], v[10:11] op_sel_hi:[0,1]
	v_pk_add_f32 v[12:13], v[4:5], v[12:13] op_sel_hi:[0,1]
	s_delay_alu instid0(VALU_DEP_4) | instskip(NEXT) | instid1(VALU_DEP_4)
	v_pk_mul_f32 v[0:1], v[14:15], v[6:7] op_sel_hi:[0,1]
	v_pk_mul_f32 v[2:3], v[14:15], v[8:9] op_sel_hi:[0,1]
	s_delay_alu instid0(VALU_DEP_4) | instskip(NEXT) | instid1(VALU_DEP_4)
	v_pk_mul_f32 v[4:5], v[14:15], v[10:11] op_sel_hi:[0,1]
	v_pk_mul_f32 v[6:7], v[14:15], v[12:13] op_sel_hi:[0,1]
	s_clause 0x1
	global_store_b128 v[16:17], v[0:3], off
	global_store_b128 v[16:17], v[4:7], off offset:16
	s_endpgm
	.section	.rodata,"a",@progbits
	.p2align	6, 0x0
	.amdhsa_kernel _ZL22dequantize_block_iq1_mIfEvPKvPT_
		.amdhsa_group_segment_fixed_size 0
		.amdhsa_private_segment_fixed_size 0
		.amdhsa_kernarg_size 16
		.amdhsa_user_sgpr_count 2
		.amdhsa_user_sgpr_dispatch_ptr 0
		.amdhsa_user_sgpr_queue_ptr 0
		.amdhsa_user_sgpr_kernarg_segment_ptr 1
		.amdhsa_user_sgpr_dispatch_id 0
		.amdhsa_user_sgpr_kernarg_preload_length 0
		.amdhsa_user_sgpr_kernarg_preload_offset 0
		.amdhsa_user_sgpr_private_segment_size 0
		.amdhsa_wavefront_size32 1
		.amdhsa_uses_dynamic_stack 0
		.amdhsa_enable_private_segment 0
		.amdhsa_system_sgpr_workgroup_id_x 1
		.amdhsa_system_sgpr_workgroup_id_y 0
		.amdhsa_system_sgpr_workgroup_id_z 0
		.amdhsa_system_sgpr_workgroup_info 0
		.amdhsa_system_vgpr_workitem_id 0
		.amdhsa_next_free_vgpr 18
		.amdhsa_next_free_sgpr 8
		.amdhsa_named_barrier_count 0
		.amdhsa_reserve_vcc 1
		.amdhsa_float_round_mode_32 0
		.amdhsa_float_round_mode_16_64 0
		.amdhsa_float_denorm_mode_32 3
		.amdhsa_float_denorm_mode_16_64 3
		.amdhsa_fp16_overflow 0
		.amdhsa_memory_ordered 1
		.amdhsa_forward_progress 1
		.amdhsa_inst_pref_size 6
		.amdhsa_round_robin_scheduling 0
		.amdhsa_exception_fp_ieee_invalid_op 0
		.amdhsa_exception_fp_denorm_src 0
		.amdhsa_exception_fp_ieee_div_zero 0
		.amdhsa_exception_fp_ieee_overflow 0
		.amdhsa_exception_fp_ieee_underflow 0
		.amdhsa_exception_fp_ieee_inexact 0
		.amdhsa_exception_int_div_zero 0
	.end_amdhsa_kernel
	.section	.text._ZL22dequantize_block_iq1_mIfEvPKvPT_,"axG",@progbits,_ZL22dequantize_block_iq1_mIfEvPKvPT_,comdat
.Lfunc_end18:
	.size	_ZL22dequantize_block_iq1_mIfEvPKvPT_, .Lfunc_end18-_ZL22dequantize_block_iq1_mIfEvPKvPT_
                                        ; -- End function
	.set _ZL22dequantize_block_iq1_mIfEvPKvPT_.num_vgpr, 18
	.set _ZL22dequantize_block_iq1_mIfEvPKvPT_.num_agpr, 0
	.set _ZL22dequantize_block_iq1_mIfEvPKvPT_.numbered_sgpr, 8
	.set _ZL22dequantize_block_iq1_mIfEvPKvPT_.num_named_barrier, 0
	.set _ZL22dequantize_block_iq1_mIfEvPKvPT_.private_seg_size, 0
	.set _ZL22dequantize_block_iq1_mIfEvPKvPT_.uses_vcc, 1
	.set _ZL22dequantize_block_iq1_mIfEvPKvPT_.uses_flat_scratch, 0
	.set _ZL22dequantize_block_iq1_mIfEvPKvPT_.has_dyn_sized_stack, 0
	.set _ZL22dequantize_block_iq1_mIfEvPKvPT_.has_recursion, 0
	.set _ZL22dequantize_block_iq1_mIfEvPKvPT_.has_indirect_call, 0
	.section	.AMDGPU.csdata,"",@progbits
; Kernel info:
; codeLenInByte = 660
; TotalNumSgprs: 10
; NumVgprs: 18
; ScratchSize: 0
; MemoryBound: 0
; FloatMode: 240
; IeeeMode: 1
; LDSByteSize: 0 bytes/workgroup (compile time only)
; SGPRBlocks: 0
; VGPRBlocks: 1
; NumSGPRsForWavesPerEU: 10
; NumVGPRsForWavesPerEU: 18
; NamedBarCnt: 0
; Occupancy: 16
; WaveLimiterHint : 0
; COMPUTE_PGM_RSRC2:SCRATCH_EN: 0
; COMPUTE_PGM_RSRC2:USER_SGPR: 2
; COMPUTE_PGM_RSRC2:TRAP_HANDLER: 0
; COMPUTE_PGM_RSRC2:TGID_X_EN: 1
; COMPUTE_PGM_RSRC2:TGID_Y_EN: 0
; COMPUTE_PGM_RSRC2:TGID_Z_EN: 0
; COMPUTE_PGM_RSRC2:TIDIG_COMP_CNT: 0
	.section	.text._ZL16dequantize_blockILi32ELi2EXadL_ZL15dequantize_q4_0PKviiR7__half2EEN3c104HalfEEvS1_PT2_l,"axG",@progbits,_ZL16dequantize_blockILi32ELi2EXadL_ZL15dequantize_q4_0PKviiR7__half2EEN3c104HalfEEvS1_PT2_l,comdat
	.globl	_ZL16dequantize_blockILi32ELi2EXadL_ZL15dequantize_q4_0PKviiR7__half2EEN3c104HalfEEvS1_PT2_l ; -- Begin function _ZL16dequantize_blockILi32ELi2EXadL_ZL15dequantize_q4_0PKviiR7__half2EEN3c104HalfEEvS1_PT2_l
	.p2align	8
	.type	_ZL16dequantize_blockILi32ELi2EXadL_ZL15dequantize_q4_0PKviiR7__half2EEN3c104HalfEEvS1_PT2_l,@function
_ZL16dequantize_blockILi32ELi2EXadL_ZL15dequantize_q4_0PKviiR7__half2EEN3c104HalfEEvS1_PT2_l: ; @_ZL16dequantize_blockILi32ELi2EXadL_ZL15dequantize_q4_0PKviiR7__half2EEN3c104HalfEEvS1_PT2_l
; %bb.0:
	s_load_b32 s2, s[0:1], 0x24
	s_bfe_u32 s3, ttmp6, 0x4000c
	s_and_b32 s4, ttmp6, 15
	s_add_co_i32 s3, s3, 1
	s_getreg_b32 s5, hwreg(HW_REG_IB_STS2, 6, 4)
	s_mul_i32 s3, ttmp9, s3
	v_mov_b32_e32 v1, 0
	s_add_co_i32 s4, s4, s3
	s_wait_kmcnt 0x0
	s_and_b32 s6, s2, 0xffff
	s_cmp_eq_u32 s5, 0
	s_load_b64 s[2:3], s[0:1], 0x10
	s_cselect_b32 s4, ttmp9, s4
	s_delay_alu instid0(SALU_CYCLE_1) | instskip(NEXT) | instid1(VALU_DEP_1)
	v_mad_nc_u64_u32 v[4:5], s6, s4, v[0:1]
	v_lshlrev_b64_e32 v[2:3], 1, v[4:5]
	s_wait_kmcnt 0x0
	s_delay_alu instid0(VALU_DEP_1)
	v_cmp_gt_i64_e32 vcc_lo, s[2:3], v[2:3]
	s_and_saveexec_b32 s2, vcc_lo
	s_cbranch_execz .LBB19_2
; %bb.1:
	s_load_b128 s[0:3], s[0:1], 0x0
	v_alignbit_b32 v0, v5, v4, 4
	s_wait_kmcnt 0x0
	s_delay_alu instid0(VALU_DEP_1) | instskip(SKIP_1) | instid1(VALU_DEP_1)
	v_mad_nc_i64_i32 v[6:7], v0, 18, s[0:1]
	v_and_b32_e32 v0, 15, v4
	v_add_nc_u64_e32 v[4:5], v[6:7], v[0:1]
	s_clause 0x1
	global_load_u8 v3, v[4:5], off offset:2
	global_load_u16 v8, v[6:7], off
	s_wait_loadcnt 0x1
	s_wait_xcnt 0x1
	v_dual_mov_b32 v4, v1 :: v_dual_bitop2_b32 v5, 15, v3 bitop3:0x40
	v_lshrrev_b32_e32 v3, 4, v3
	s_delay_alu instid0(VALU_DEP_2) | instskip(NEXT) | instid1(VALU_DEP_2)
	v_cvt_f32_ubyte0_e32 v1, v5
	v_cvt_f32_ubyte0_e32 v3, v3
	v_and_or_b32 v5, 0xffffffe0, v2, v0
	s_delay_alu instid0(VALU_DEP_2) | instskip(NEXT) | instid1(VALU_DEP_2)
	v_cvt_pk_f16_f32 v2, v1, v3
	v_ashrrev_i64 v[0:1], 31, v[4:5]
	s_wait_loadcnt 0x0
	v_lshl_or_b32 v3, v8, 16, v8
	s_delay_alu instid0(VALU_DEP_3) | instskip(NEXT) | instid1(VALU_DEP_3)
	v_pk_add_f16 v2, 0xc800, v2 op_sel_hi:[0,1]
	v_add_nc_u64_e32 v[0:1], s[2:3], v[0:1]
	s_delay_alu instid0(VALU_DEP_2)
	v_pk_mul_f16 v2, v2, v3
	s_clause 0x1
	global_store_b16 v[0:1], v2, off
	global_store_d16_hi_b16 v[0:1], v2, off offset:32
.LBB19_2:
	s_endpgm
	.section	.rodata,"a",@progbits
	.p2align	6, 0x0
	.amdhsa_kernel _ZL16dequantize_blockILi32ELi2EXadL_ZL15dequantize_q4_0PKviiR7__half2EEN3c104HalfEEvS1_PT2_l
		.amdhsa_group_segment_fixed_size 0
		.amdhsa_private_segment_fixed_size 0
		.amdhsa_kernarg_size 280
		.amdhsa_user_sgpr_count 2
		.amdhsa_user_sgpr_dispatch_ptr 0
		.amdhsa_user_sgpr_queue_ptr 0
		.amdhsa_user_sgpr_kernarg_segment_ptr 1
		.amdhsa_user_sgpr_dispatch_id 0
		.amdhsa_user_sgpr_kernarg_preload_length 0
		.amdhsa_user_sgpr_kernarg_preload_offset 0
		.amdhsa_user_sgpr_private_segment_size 0
		.amdhsa_wavefront_size32 1
		.amdhsa_uses_dynamic_stack 0
		.amdhsa_enable_private_segment 0
		.amdhsa_system_sgpr_workgroup_id_x 1
		.amdhsa_system_sgpr_workgroup_id_y 0
		.amdhsa_system_sgpr_workgroup_id_z 0
		.amdhsa_system_sgpr_workgroup_info 0
		.amdhsa_system_vgpr_workitem_id 0
		.amdhsa_next_free_vgpr 9
		.amdhsa_next_free_sgpr 7
		.amdhsa_named_barrier_count 0
		.amdhsa_reserve_vcc 1
		.amdhsa_float_round_mode_32 0
		.amdhsa_float_round_mode_16_64 0
		.amdhsa_float_denorm_mode_32 3
		.amdhsa_float_denorm_mode_16_64 3
		.amdhsa_fp16_overflow 0
		.amdhsa_memory_ordered 1
		.amdhsa_forward_progress 1
		.amdhsa_inst_pref_size 3
		.amdhsa_round_robin_scheduling 0
		.amdhsa_exception_fp_ieee_invalid_op 0
		.amdhsa_exception_fp_denorm_src 0
		.amdhsa_exception_fp_ieee_div_zero 0
		.amdhsa_exception_fp_ieee_overflow 0
		.amdhsa_exception_fp_ieee_underflow 0
		.amdhsa_exception_fp_ieee_inexact 0
		.amdhsa_exception_int_div_zero 0
	.end_amdhsa_kernel
	.section	.text._ZL16dequantize_blockILi32ELi2EXadL_ZL15dequantize_q4_0PKviiR7__half2EEN3c104HalfEEvS1_PT2_l,"axG",@progbits,_ZL16dequantize_blockILi32ELi2EXadL_ZL15dequantize_q4_0PKviiR7__half2EEN3c104HalfEEvS1_PT2_l,comdat
.Lfunc_end19:
	.size	_ZL16dequantize_blockILi32ELi2EXadL_ZL15dequantize_q4_0PKviiR7__half2EEN3c104HalfEEvS1_PT2_l, .Lfunc_end19-_ZL16dequantize_blockILi32ELi2EXadL_ZL15dequantize_q4_0PKviiR7__half2EEN3c104HalfEEvS1_PT2_l
                                        ; -- End function
	.set _ZL16dequantize_blockILi32ELi2EXadL_ZL15dequantize_q4_0PKviiR7__half2EEN3c104HalfEEvS1_PT2_l.num_vgpr, 9
	.set _ZL16dequantize_blockILi32ELi2EXadL_ZL15dequantize_q4_0PKviiR7__half2EEN3c104HalfEEvS1_PT2_l.num_agpr, 0
	.set _ZL16dequantize_blockILi32ELi2EXadL_ZL15dequantize_q4_0PKviiR7__half2EEN3c104HalfEEvS1_PT2_l.numbered_sgpr, 7
	.set _ZL16dequantize_blockILi32ELi2EXadL_ZL15dequantize_q4_0PKviiR7__half2EEN3c104HalfEEvS1_PT2_l.num_named_barrier, 0
	.set _ZL16dequantize_blockILi32ELi2EXadL_ZL15dequantize_q4_0PKviiR7__half2EEN3c104HalfEEvS1_PT2_l.private_seg_size, 0
	.set _ZL16dequantize_blockILi32ELi2EXadL_ZL15dequantize_q4_0PKviiR7__half2EEN3c104HalfEEvS1_PT2_l.uses_vcc, 1
	.set _ZL16dequantize_blockILi32ELi2EXadL_ZL15dequantize_q4_0PKviiR7__half2EEN3c104HalfEEvS1_PT2_l.uses_flat_scratch, 0
	.set _ZL16dequantize_blockILi32ELi2EXadL_ZL15dequantize_q4_0PKviiR7__half2EEN3c104HalfEEvS1_PT2_l.has_dyn_sized_stack, 0
	.set _ZL16dequantize_blockILi32ELi2EXadL_ZL15dequantize_q4_0PKviiR7__half2EEN3c104HalfEEvS1_PT2_l.has_recursion, 0
	.set _ZL16dequantize_blockILi32ELi2EXadL_ZL15dequantize_q4_0PKviiR7__half2EEN3c104HalfEEvS1_PT2_l.has_indirect_call, 0
	.section	.AMDGPU.csdata,"",@progbits
; Kernel info:
; codeLenInByte = 316
; TotalNumSgprs: 9
; NumVgprs: 9
; ScratchSize: 0
; MemoryBound: 0
; FloatMode: 240
; IeeeMode: 1
; LDSByteSize: 0 bytes/workgroup (compile time only)
; SGPRBlocks: 0
; VGPRBlocks: 0
; NumSGPRsForWavesPerEU: 9
; NumVGPRsForWavesPerEU: 9
; NamedBarCnt: 0
; Occupancy: 16
; WaveLimiterHint : 0
; COMPUTE_PGM_RSRC2:SCRATCH_EN: 0
; COMPUTE_PGM_RSRC2:USER_SGPR: 2
; COMPUTE_PGM_RSRC2:TRAP_HANDLER: 0
; COMPUTE_PGM_RSRC2:TGID_X_EN: 1
; COMPUTE_PGM_RSRC2:TGID_Y_EN: 0
; COMPUTE_PGM_RSRC2:TGID_Z_EN: 0
; COMPUTE_PGM_RSRC2:TIDIG_COMP_CNT: 0
	.section	.text._ZL16dequantize_blockILi32ELi2EXadL_ZL15dequantize_q4_1PKviiR7__half2EEN3c104HalfEEvS1_PT2_l,"axG",@progbits,_ZL16dequantize_blockILi32ELi2EXadL_ZL15dequantize_q4_1PKviiR7__half2EEN3c104HalfEEvS1_PT2_l,comdat
	.globl	_ZL16dequantize_blockILi32ELi2EXadL_ZL15dequantize_q4_1PKviiR7__half2EEN3c104HalfEEvS1_PT2_l ; -- Begin function _ZL16dequantize_blockILi32ELi2EXadL_ZL15dequantize_q4_1PKviiR7__half2EEN3c104HalfEEvS1_PT2_l
	.p2align	8
	.type	_ZL16dequantize_blockILi32ELi2EXadL_ZL15dequantize_q4_1PKviiR7__half2EEN3c104HalfEEvS1_PT2_l,@function
_ZL16dequantize_blockILi32ELi2EXadL_ZL15dequantize_q4_1PKviiR7__half2EEN3c104HalfEEvS1_PT2_l: ; @_ZL16dequantize_blockILi32ELi2EXadL_ZL15dequantize_q4_1PKviiR7__half2EEN3c104HalfEEvS1_PT2_l
; %bb.0:
	s_load_b32 s2, s[0:1], 0x24
	s_bfe_u32 s3, ttmp6, 0x4000c
	s_and_b32 s4, ttmp6, 15
	s_add_co_i32 s3, s3, 1
	s_getreg_b32 s5, hwreg(HW_REG_IB_STS2, 6, 4)
	s_mul_i32 s3, ttmp9, s3
	v_mov_b32_e32 v1, 0
	s_add_co_i32 s4, s4, s3
	s_wait_kmcnt 0x0
	s_and_b32 s6, s2, 0xffff
	s_cmp_eq_u32 s5, 0
	s_load_b64 s[2:3], s[0:1], 0x10
	s_cselect_b32 s4, ttmp9, s4
	s_delay_alu instid0(SALU_CYCLE_1) | instskip(NEXT) | instid1(VALU_DEP_1)
	v_mad_nc_u64_u32 v[4:5], s6, s4, v[0:1]
	v_lshlrev_b64_e32 v[2:3], 1, v[4:5]
	s_wait_kmcnt 0x0
	s_delay_alu instid0(VALU_DEP_1)
	v_cmp_gt_i64_e32 vcc_lo, s[2:3], v[2:3]
	s_and_saveexec_b32 s2, vcc_lo
	s_cbranch_execz .LBB20_2
; %bb.1:
	s_load_b128 s[0:3], s[0:1], 0x0
	v_alignbit_b32 v0, v5, v4, 4
	s_wait_kmcnt 0x0
	s_delay_alu instid0(VALU_DEP_1) | instskip(SKIP_1) | instid1(VALU_DEP_1)
	v_mad_nc_i64_i32 v[6:7], v0, 20, s[0:1]
	v_and_b32_e32 v0, 15, v4
	v_add_nc_u64_e32 v[4:5], v[6:7], v[0:1]
	s_clause 0x1
	global_load_u8 v3, v[4:5], off offset:4
	global_load_b32 v8, v[6:7], off
	s_wait_xcnt 0x1
	v_mov_b32_e32 v4, v1
	v_and_or_b32 v5, 0xffffffe0, v2, v0
	s_wait_loadcnt 0x1
	v_dual_lshrrev_b32 v3, 4, v3 :: v_dual_bitop2_b32 v1, 15, v3 bitop3:0x40
	s_wait_loadcnt 0x0
	v_lshrrev_b32_e32 v2, 16, v8
	v_and_b32_e32 v6, 0xffff, v8
	s_delay_alu instid0(VALU_DEP_3) | instskip(SKIP_2) | instid1(VALU_DEP_4)
	v_cvt_f32_ubyte0_e32 v7, v1
	v_cvt_f32_ubyte0_e32 v3, v3
	v_ashrrev_i64 v[0:1], 31, v[4:5]
	v_mul_u32_u24_e32 v4, 0x10001, v6
	v_and_or_b32 v2, 0xffff0000, v8, v2
	s_delay_alu instid0(VALU_DEP_4) | instskip(NEXT) | instid1(VALU_DEP_4)
	v_cvt_pk_f16_f32 v3, v7, v3
	v_add_nc_u64_e32 v[0:1], s[2:3], v[0:1]
	s_delay_alu instid0(VALU_DEP_2)
	v_pk_fma_f16 v2, v3, v4, v2
	s_clause 0x1
	global_store_b16 v[0:1], v2, off
	global_store_d16_hi_b16 v[0:1], v2, off offset:32
.LBB20_2:
	s_endpgm
	.section	.rodata,"a",@progbits
	.p2align	6, 0x0
	.amdhsa_kernel _ZL16dequantize_blockILi32ELi2EXadL_ZL15dequantize_q4_1PKviiR7__half2EEN3c104HalfEEvS1_PT2_l
		.amdhsa_group_segment_fixed_size 0
		.amdhsa_private_segment_fixed_size 0
		.amdhsa_kernarg_size 280
		.amdhsa_user_sgpr_count 2
		.amdhsa_user_sgpr_dispatch_ptr 0
		.amdhsa_user_sgpr_queue_ptr 0
		.amdhsa_user_sgpr_kernarg_segment_ptr 1
		.amdhsa_user_sgpr_dispatch_id 0
		.amdhsa_user_sgpr_kernarg_preload_length 0
		.amdhsa_user_sgpr_kernarg_preload_offset 0
		.amdhsa_user_sgpr_private_segment_size 0
		.amdhsa_wavefront_size32 1
		.amdhsa_uses_dynamic_stack 0
		.amdhsa_enable_private_segment 0
		.amdhsa_system_sgpr_workgroup_id_x 1
		.amdhsa_system_sgpr_workgroup_id_y 0
		.amdhsa_system_sgpr_workgroup_id_z 0
		.amdhsa_system_sgpr_workgroup_info 0
		.amdhsa_system_vgpr_workitem_id 0
		.amdhsa_next_free_vgpr 9
		.amdhsa_next_free_sgpr 7
		.amdhsa_named_barrier_count 0
		.amdhsa_reserve_vcc 1
		.amdhsa_float_round_mode_32 0
		.amdhsa_float_round_mode_16_64 0
		.amdhsa_float_denorm_mode_32 3
		.amdhsa_float_denorm_mode_16_64 3
		.amdhsa_fp16_overflow 0
		.amdhsa_memory_ordered 1
		.amdhsa_forward_progress 1
		.amdhsa_inst_pref_size 3
		.amdhsa_round_robin_scheduling 0
		.amdhsa_exception_fp_ieee_invalid_op 0
		.amdhsa_exception_fp_denorm_src 0
		.amdhsa_exception_fp_ieee_div_zero 0
		.amdhsa_exception_fp_ieee_overflow 0
		.amdhsa_exception_fp_ieee_underflow 0
		.amdhsa_exception_fp_ieee_inexact 0
		.amdhsa_exception_int_div_zero 0
	.end_amdhsa_kernel
	.section	.text._ZL16dequantize_blockILi32ELi2EXadL_ZL15dequantize_q4_1PKviiR7__half2EEN3c104HalfEEvS1_PT2_l,"axG",@progbits,_ZL16dequantize_blockILi32ELi2EXadL_ZL15dequantize_q4_1PKviiR7__half2EEN3c104HalfEEvS1_PT2_l,comdat
.Lfunc_end20:
	.size	_ZL16dequantize_blockILi32ELi2EXadL_ZL15dequantize_q4_1PKviiR7__half2EEN3c104HalfEEvS1_PT2_l, .Lfunc_end20-_ZL16dequantize_blockILi32ELi2EXadL_ZL15dequantize_q4_1PKviiR7__half2EEN3c104HalfEEvS1_PT2_l
                                        ; -- End function
	.set _ZL16dequantize_blockILi32ELi2EXadL_ZL15dequantize_q4_1PKviiR7__half2EEN3c104HalfEEvS1_PT2_l.num_vgpr, 9
	.set _ZL16dequantize_blockILi32ELi2EXadL_ZL15dequantize_q4_1PKviiR7__half2EEN3c104HalfEEvS1_PT2_l.num_agpr, 0
	.set _ZL16dequantize_blockILi32ELi2EXadL_ZL15dequantize_q4_1PKviiR7__half2EEN3c104HalfEEvS1_PT2_l.numbered_sgpr, 7
	.set _ZL16dequantize_blockILi32ELi2EXadL_ZL15dequantize_q4_1PKviiR7__half2EEN3c104HalfEEvS1_PT2_l.num_named_barrier, 0
	.set _ZL16dequantize_blockILi32ELi2EXadL_ZL15dequantize_q4_1PKviiR7__half2EEN3c104HalfEEvS1_PT2_l.private_seg_size, 0
	.set _ZL16dequantize_blockILi32ELi2EXadL_ZL15dequantize_q4_1PKviiR7__half2EEN3c104HalfEEvS1_PT2_l.uses_vcc, 1
	.set _ZL16dequantize_blockILi32ELi2EXadL_ZL15dequantize_q4_1PKviiR7__half2EEN3c104HalfEEvS1_PT2_l.uses_flat_scratch, 0
	.set _ZL16dequantize_blockILi32ELi2EXadL_ZL15dequantize_q4_1PKviiR7__half2EEN3c104HalfEEvS1_PT2_l.has_dyn_sized_stack, 0
	.set _ZL16dequantize_blockILi32ELi2EXadL_ZL15dequantize_q4_1PKviiR7__half2EEN3c104HalfEEvS1_PT2_l.has_recursion, 0
	.set _ZL16dequantize_blockILi32ELi2EXadL_ZL15dequantize_q4_1PKviiR7__half2EEN3c104HalfEEvS1_PT2_l.has_indirect_call, 0
	.section	.AMDGPU.csdata,"",@progbits
; Kernel info:
; codeLenInByte = 324
; TotalNumSgprs: 9
; NumVgprs: 9
; ScratchSize: 0
; MemoryBound: 0
; FloatMode: 240
; IeeeMode: 1
; LDSByteSize: 0 bytes/workgroup (compile time only)
; SGPRBlocks: 0
; VGPRBlocks: 0
; NumSGPRsForWavesPerEU: 9
; NumVGPRsForWavesPerEU: 9
; NamedBarCnt: 0
; Occupancy: 16
; WaveLimiterHint : 0
; COMPUTE_PGM_RSRC2:SCRATCH_EN: 0
; COMPUTE_PGM_RSRC2:USER_SGPR: 2
; COMPUTE_PGM_RSRC2:TRAP_HANDLER: 0
; COMPUTE_PGM_RSRC2:TGID_X_EN: 1
; COMPUTE_PGM_RSRC2:TGID_Y_EN: 0
; COMPUTE_PGM_RSRC2:TGID_Z_EN: 0
; COMPUTE_PGM_RSRC2:TIDIG_COMP_CNT: 0
	.section	.text._ZL16dequantize_blockILi32ELi2EXadL_ZL15dequantize_q5_0PKviiR7__half2EEN3c104HalfEEvS1_PT2_l,"axG",@progbits,_ZL16dequantize_blockILi32ELi2EXadL_ZL15dequantize_q5_0PKviiR7__half2EEN3c104HalfEEvS1_PT2_l,comdat
	.globl	_ZL16dequantize_blockILi32ELi2EXadL_ZL15dequantize_q5_0PKviiR7__half2EEN3c104HalfEEvS1_PT2_l ; -- Begin function _ZL16dequantize_blockILi32ELi2EXadL_ZL15dequantize_q5_0PKviiR7__half2EEN3c104HalfEEvS1_PT2_l
	.p2align	8
	.type	_ZL16dequantize_blockILi32ELi2EXadL_ZL15dequantize_q5_0PKviiR7__half2EEN3c104HalfEEvS1_PT2_l,@function
_ZL16dequantize_blockILi32ELi2EXadL_ZL15dequantize_q5_0PKviiR7__half2EEN3c104HalfEEvS1_PT2_l: ; @_ZL16dequantize_blockILi32ELi2EXadL_ZL15dequantize_q5_0PKviiR7__half2EEN3c104HalfEEvS1_PT2_l
; %bb.0:
	s_load_b32 s2, s[0:1], 0x24
	s_bfe_u32 s3, ttmp6, 0x4000c
	s_and_b32 s4, ttmp6, 15
	s_add_co_i32 s3, s3, 1
	s_getreg_b32 s5, hwreg(HW_REG_IB_STS2, 6, 4)
	s_mul_i32 s3, ttmp9, s3
	v_mov_b32_e32 v1, 0
	s_add_co_i32 s4, s4, s3
	s_wait_kmcnt 0x0
	s_and_b32 s6, s2, 0xffff
	s_cmp_eq_u32 s5, 0
	s_load_b64 s[2:3], s[0:1], 0x10
	s_cselect_b32 s4, ttmp9, s4
	s_delay_alu instid0(SALU_CYCLE_1) | instskip(NEXT) | instid1(VALU_DEP_1)
	v_mad_nc_u64_u32 v[4:5], s6, s4, v[0:1]
	v_lshlrev_b64_e32 v[2:3], 1, v[4:5]
	s_wait_kmcnt 0x0
	s_delay_alu instid0(VALU_DEP_1)
	v_cmp_gt_i64_e32 vcc_lo, s[2:3], v[2:3]
	s_and_saveexec_b32 s2, vcc_lo
	s_cbranch_execz .LBB21_2
; %bb.1:
	s_load_b128 s[0:3], s[0:1], 0x0
	v_alignbit_b32 v0, v5, v4, 4
	s_wait_kmcnt 0x0
	s_delay_alu instid0(VALU_DEP_1)
	v_mad_nc_i64_i32 v[6:7], v0, 22, s[0:1]
	v_and_b32_e32 v0, 15, v4
	s_clause 0x1
	global_load_b32 v3, v[6:7], off
	global_load_u16 v8, v[6:7], off offset:4
	v_add_nc_u64_e32 v[4:5], v[6:7], v[0:1]
	global_load_u8 v1, v[4:5], off offset:6
	s_wait_loadcnt 0x1
	s_wait_xcnt 0x0
	v_perm_b32 v4, v3, v8, 0x1000706
	s_delay_alu instid0(VALU_DEP_1) | instskip(NEXT) | instid1(VALU_DEP_1)
	v_lshrrev_b32_e32 v6, v0, v4
	v_dual_add_nc_u32 v5, 12, v0 :: v_dual_lshlrev_b32 v6, 4, v6
	s_wait_loadcnt 0x0
	s_delay_alu instid0(VALU_DEP_1) | instskip(SKIP_2) | instid1(VALU_DEP_2)
	v_dual_lshrrev_b32 v4, v5, v4 :: v_dual_bitop2_b32 v5, 15, v1 bitop3:0x40
	v_lshrrev_b16 v1, 4, v1
	v_and_or_b32 v0, 0xffffffe0, v2, v0
	v_and_or_b32 v1, v4, 16, v1
	s_delay_alu instid0(VALU_DEP_4) | instskip(SKIP_1) | instid1(VALU_DEP_3)
	v_and_or_b32 v4, v6, 16, v5
	v_and_b32_e32 v5, 0xffff, v3
	v_cvt_f32_ubyte0_e32 v1, v1
	s_delay_alu instid0(VALU_DEP_3) | instskip(NEXT) | instid1(VALU_DEP_3)
	v_cvt_f32_ubyte0_e32 v4, v4
	v_lshl_or_b32 v3, v3, 16, v5
	s_delay_alu instid0(VALU_DEP_2) | instskip(NEXT) | instid1(VALU_DEP_1)
	v_cvt_pk_f16_f32 v1, v4, v1
	v_pk_add_f16 v1, 0xcc00, v1 op_sel_hi:[0,1]
	s_delay_alu instid0(VALU_DEP_1)
	v_pk_mul_f16 v1, v1, v3
	s_clause 0x1
	global_store_b16 v0, v1, s[2:3] scale_offset
	global_store_d16_hi_b16 v0, v1, s[2:3] offset:32 scale_offset
.LBB21_2:
	s_endpgm
	.section	.rodata,"a",@progbits
	.p2align	6, 0x0
	.amdhsa_kernel _ZL16dequantize_blockILi32ELi2EXadL_ZL15dequantize_q5_0PKviiR7__half2EEN3c104HalfEEvS1_PT2_l
		.amdhsa_group_segment_fixed_size 0
		.amdhsa_private_segment_fixed_size 0
		.amdhsa_kernarg_size 280
		.amdhsa_user_sgpr_count 2
		.amdhsa_user_sgpr_dispatch_ptr 0
		.amdhsa_user_sgpr_queue_ptr 0
		.amdhsa_user_sgpr_kernarg_segment_ptr 1
		.amdhsa_user_sgpr_dispatch_id 0
		.amdhsa_user_sgpr_kernarg_preload_length 0
		.amdhsa_user_sgpr_kernarg_preload_offset 0
		.amdhsa_user_sgpr_private_segment_size 0
		.amdhsa_wavefront_size32 1
		.amdhsa_uses_dynamic_stack 0
		.amdhsa_enable_private_segment 0
		.amdhsa_system_sgpr_workgroup_id_x 1
		.amdhsa_system_sgpr_workgroup_id_y 0
		.amdhsa_system_sgpr_workgroup_id_z 0
		.amdhsa_system_sgpr_workgroup_info 0
		.amdhsa_system_vgpr_workitem_id 0
		.amdhsa_next_free_vgpr 9
		.amdhsa_next_free_sgpr 7
		.amdhsa_named_barrier_count 0
		.amdhsa_reserve_vcc 1
		.amdhsa_float_round_mode_32 0
		.amdhsa_float_round_mode_16_64 0
		.amdhsa_float_denorm_mode_32 3
		.amdhsa_float_denorm_mode_16_64 3
		.amdhsa_fp16_overflow 0
		.amdhsa_memory_ordered 1
		.amdhsa_forward_progress 1
		.amdhsa_inst_pref_size 3
		.amdhsa_round_robin_scheduling 0
		.amdhsa_exception_fp_ieee_invalid_op 0
		.amdhsa_exception_fp_denorm_src 0
		.amdhsa_exception_fp_ieee_div_zero 0
		.amdhsa_exception_fp_ieee_overflow 0
		.amdhsa_exception_fp_ieee_underflow 0
		.amdhsa_exception_fp_ieee_inexact 0
		.amdhsa_exception_int_div_zero 0
	.end_amdhsa_kernel
	.section	.text._ZL16dequantize_blockILi32ELi2EXadL_ZL15dequantize_q5_0PKviiR7__half2EEN3c104HalfEEvS1_PT2_l,"axG",@progbits,_ZL16dequantize_blockILi32ELi2EXadL_ZL15dequantize_q5_0PKviiR7__half2EEN3c104HalfEEvS1_PT2_l,comdat
.Lfunc_end21:
	.size	_ZL16dequantize_blockILi32ELi2EXadL_ZL15dequantize_q5_0PKviiR7__half2EEN3c104HalfEEvS1_PT2_l, .Lfunc_end21-_ZL16dequantize_blockILi32ELi2EXadL_ZL15dequantize_q5_0PKviiR7__half2EEN3c104HalfEEvS1_PT2_l
                                        ; -- End function
	.set _ZL16dequantize_blockILi32ELi2EXadL_ZL15dequantize_q5_0PKviiR7__half2EEN3c104HalfEEvS1_PT2_l.num_vgpr, 9
	.set _ZL16dequantize_blockILi32ELi2EXadL_ZL15dequantize_q5_0PKviiR7__half2EEN3c104HalfEEvS1_PT2_l.num_agpr, 0
	.set _ZL16dequantize_blockILi32ELi2EXadL_ZL15dequantize_q5_0PKviiR7__half2EEN3c104HalfEEvS1_PT2_l.numbered_sgpr, 7
	.set _ZL16dequantize_blockILi32ELi2EXadL_ZL15dequantize_q5_0PKviiR7__half2EEN3c104HalfEEvS1_PT2_l.num_named_barrier, 0
	.set _ZL16dequantize_blockILi32ELi2EXadL_ZL15dequantize_q5_0PKviiR7__half2EEN3c104HalfEEvS1_PT2_l.private_seg_size, 0
	.set _ZL16dequantize_blockILi32ELi2EXadL_ZL15dequantize_q5_0PKviiR7__half2EEN3c104HalfEEvS1_PT2_l.uses_vcc, 1
	.set _ZL16dequantize_blockILi32ELi2EXadL_ZL15dequantize_q5_0PKviiR7__half2EEN3c104HalfEEvS1_PT2_l.uses_flat_scratch, 0
	.set _ZL16dequantize_blockILi32ELi2EXadL_ZL15dequantize_q5_0PKviiR7__half2EEN3c104HalfEEvS1_PT2_l.has_dyn_sized_stack, 0
	.set _ZL16dequantize_blockILi32ELi2EXadL_ZL15dequantize_q5_0PKviiR7__half2EEN3c104HalfEEvS1_PT2_l.has_recursion, 0
	.set _ZL16dequantize_blockILi32ELi2EXadL_ZL15dequantize_q5_0PKviiR7__half2EEN3c104HalfEEvS1_PT2_l.has_indirect_call, 0
	.section	.AMDGPU.csdata,"",@progbits
; Kernel info:
; codeLenInByte = 380
; TotalNumSgprs: 9
; NumVgprs: 9
; ScratchSize: 0
; MemoryBound: 0
; FloatMode: 240
; IeeeMode: 1
; LDSByteSize: 0 bytes/workgroup (compile time only)
; SGPRBlocks: 0
; VGPRBlocks: 0
; NumSGPRsForWavesPerEU: 9
; NumVGPRsForWavesPerEU: 9
; NamedBarCnt: 0
; Occupancy: 16
; WaveLimiterHint : 0
; COMPUTE_PGM_RSRC2:SCRATCH_EN: 0
; COMPUTE_PGM_RSRC2:USER_SGPR: 2
; COMPUTE_PGM_RSRC2:TRAP_HANDLER: 0
; COMPUTE_PGM_RSRC2:TGID_X_EN: 1
; COMPUTE_PGM_RSRC2:TGID_Y_EN: 0
; COMPUTE_PGM_RSRC2:TGID_Z_EN: 0
; COMPUTE_PGM_RSRC2:TIDIG_COMP_CNT: 0
	.section	.text._ZL16dequantize_blockILi32ELi2EXadL_ZL15dequantize_q5_1PKviiR7__half2EEN3c104HalfEEvS1_PT2_l,"axG",@progbits,_ZL16dequantize_blockILi32ELi2EXadL_ZL15dequantize_q5_1PKviiR7__half2EEN3c104HalfEEvS1_PT2_l,comdat
	.globl	_ZL16dequantize_blockILi32ELi2EXadL_ZL15dequantize_q5_1PKviiR7__half2EEN3c104HalfEEvS1_PT2_l ; -- Begin function _ZL16dequantize_blockILi32ELi2EXadL_ZL15dequantize_q5_1PKviiR7__half2EEN3c104HalfEEvS1_PT2_l
	.p2align	8
	.type	_ZL16dequantize_blockILi32ELi2EXadL_ZL15dequantize_q5_1PKviiR7__half2EEN3c104HalfEEvS1_PT2_l,@function
_ZL16dequantize_blockILi32ELi2EXadL_ZL15dequantize_q5_1PKviiR7__half2EEN3c104HalfEEvS1_PT2_l: ; @_ZL16dequantize_blockILi32ELi2EXadL_ZL15dequantize_q5_1PKviiR7__half2EEN3c104HalfEEvS1_PT2_l
; %bb.0:
	s_load_b32 s2, s[0:1], 0x24
	s_bfe_u32 s3, ttmp6, 0x4000c
	s_and_b32 s4, ttmp6, 15
	s_add_co_i32 s3, s3, 1
	s_getreg_b32 s5, hwreg(HW_REG_IB_STS2, 6, 4)
	s_mul_i32 s3, ttmp9, s3
	v_mov_b32_e32 v1, 0
	s_add_co_i32 s4, s4, s3
	s_wait_kmcnt 0x0
	s_and_b32 s6, s2, 0xffff
	s_cmp_eq_u32 s5, 0
	s_load_b64 s[2:3], s[0:1], 0x10
	s_cselect_b32 s4, ttmp9, s4
	s_delay_alu instid0(SALU_CYCLE_1) | instskip(NEXT) | instid1(VALU_DEP_1)
	v_mad_nc_u64_u32 v[4:5], s6, s4, v[0:1]
	v_lshlrev_b64_e32 v[2:3], 1, v[4:5]
	s_wait_kmcnt 0x0
	s_delay_alu instid0(VALU_DEP_1)
	v_cmp_gt_i64_e32 vcc_lo, s[2:3], v[2:3]
	s_and_saveexec_b32 s2, vcc_lo
	s_cbranch_execz .LBB22_2
; %bb.1:
	s_load_b128 s[0:3], s[0:1], 0x0
	v_alignbit_b32 v0, v5, v4, 4
	s_wait_kmcnt 0x0
	s_delay_alu instid0(VALU_DEP_1) | instskip(SKIP_1) | instid1(VALU_DEP_1)
	v_mad_nc_i64_i32 v[6:7], v0, 24, s[0:1]
	v_and_b32_e32 v0, 15, v4
	v_add_nc_u64_e32 v[4:5], v[6:7], v[0:1]
	s_clause 0x1
	global_load_b64 v[8:9], v[6:7], off
	global_load_u8 v1, v[4:5], off offset:8
	v_add_nc_u32_e32 v3, 12, v0
	s_wait_loadcnt 0x1
	s_wait_xcnt 0x0
	s_delay_alu instid0(VALU_DEP_1)
	v_dual_lshrrev_b32 v3, v3, v9 :: v_dual_lshrrev_b32 v4, v0, v9
	v_and_or_b32 v0, 0xffffffe0, v2, v0
	s_wait_loadcnt 0x0
	v_and_b32_e32 v5, 15, v1
	v_lshrrev_b16 v1, 4, v1
	v_lshlrev_b32_e32 v4, 4, v4
	s_delay_alu instid0(VALU_DEP_2) | instskip(SKIP_1) | instid1(VALU_DEP_3)
	v_and_or_b32 v1, v3, 16, v1
	v_lshrrev_b32_e32 v3, 16, v8
	v_and_or_b32 v4, v4, 16, v5
	v_and_b32_e32 v5, 0xffff, v8
	s_delay_alu instid0(VALU_DEP_4) | instskip(NEXT) | instid1(VALU_DEP_4)
	v_cvt_f32_ubyte0_e32 v1, v1
	v_and_or_b32 v3, 0xffff0000, v8, v3
	s_delay_alu instid0(VALU_DEP_4) | instskip(NEXT) | instid1(VALU_DEP_4)
	v_cvt_f32_ubyte0_e32 v4, v4
	v_mul_u32_u24_e32 v5, 0x10001, v5
	s_delay_alu instid0(VALU_DEP_2) | instskip(NEXT) | instid1(VALU_DEP_1)
	v_cvt_pk_f16_f32 v1, v4, v1
	v_pk_fma_f16 v1, v1, v5, v3
	s_clause 0x1
	global_store_b16 v0, v1, s[2:3] scale_offset
	global_store_d16_hi_b16 v0, v1, s[2:3] offset:32 scale_offset
.LBB22_2:
	s_endpgm
	.section	.rodata,"a",@progbits
	.p2align	6, 0x0
	.amdhsa_kernel _ZL16dequantize_blockILi32ELi2EXadL_ZL15dequantize_q5_1PKviiR7__half2EEN3c104HalfEEvS1_PT2_l
		.amdhsa_group_segment_fixed_size 0
		.amdhsa_private_segment_fixed_size 0
		.amdhsa_kernarg_size 280
		.amdhsa_user_sgpr_count 2
		.amdhsa_user_sgpr_dispatch_ptr 0
		.amdhsa_user_sgpr_queue_ptr 0
		.amdhsa_user_sgpr_kernarg_segment_ptr 1
		.amdhsa_user_sgpr_dispatch_id 0
		.amdhsa_user_sgpr_kernarg_preload_length 0
		.amdhsa_user_sgpr_kernarg_preload_offset 0
		.amdhsa_user_sgpr_private_segment_size 0
		.amdhsa_wavefront_size32 1
		.amdhsa_uses_dynamic_stack 0
		.amdhsa_enable_private_segment 0
		.amdhsa_system_sgpr_workgroup_id_x 1
		.amdhsa_system_sgpr_workgroup_id_y 0
		.amdhsa_system_sgpr_workgroup_id_z 0
		.amdhsa_system_sgpr_workgroup_info 0
		.amdhsa_system_vgpr_workitem_id 0
		.amdhsa_next_free_vgpr 10
		.amdhsa_next_free_sgpr 7
		.amdhsa_named_barrier_count 0
		.amdhsa_reserve_vcc 1
		.amdhsa_float_round_mode_32 0
		.amdhsa_float_round_mode_16_64 0
		.amdhsa_float_denorm_mode_32 3
		.amdhsa_float_denorm_mode_16_64 3
		.amdhsa_fp16_overflow 0
		.amdhsa_memory_ordered 1
		.amdhsa_forward_progress 1
		.amdhsa_inst_pref_size 3
		.amdhsa_round_robin_scheduling 0
		.amdhsa_exception_fp_ieee_invalid_op 0
		.amdhsa_exception_fp_denorm_src 0
		.amdhsa_exception_fp_ieee_div_zero 0
		.amdhsa_exception_fp_ieee_overflow 0
		.amdhsa_exception_fp_ieee_underflow 0
		.amdhsa_exception_fp_ieee_inexact 0
		.amdhsa_exception_int_div_zero 0
	.end_amdhsa_kernel
	.section	.text._ZL16dequantize_blockILi32ELi2EXadL_ZL15dequantize_q5_1PKviiR7__half2EEN3c104HalfEEvS1_PT2_l,"axG",@progbits,_ZL16dequantize_blockILi32ELi2EXadL_ZL15dequantize_q5_1PKviiR7__half2EEN3c104HalfEEvS1_PT2_l,comdat
.Lfunc_end22:
	.size	_ZL16dequantize_blockILi32ELi2EXadL_ZL15dequantize_q5_1PKviiR7__half2EEN3c104HalfEEvS1_PT2_l, .Lfunc_end22-_ZL16dequantize_blockILi32ELi2EXadL_ZL15dequantize_q5_1PKviiR7__half2EEN3c104HalfEEvS1_PT2_l
                                        ; -- End function
	.set _ZL16dequantize_blockILi32ELi2EXadL_ZL15dequantize_q5_1PKviiR7__half2EEN3c104HalfEEvS1_PT2_l.num_vgpr, 10
	.set _ZL16dequantize_blockILi32ELi2EXadL_ZL15dequantize_q5_1PKviiR7__half2EEN3c104HalfEEvS1_PT2_l.num_agpr, 0
	.set _ZL16dequantize_blockILi32ELi2EXadL_ZL15dequantize_q5_1PKviiR7__half2EEN3c104HalfEEvS1_PT2_l.numbered_sgpr, 7
	.set _ZL16dequantize_blockILi32ELi2EXadL_ZL15dequantize_q5_1PKviiR7__half2EEN3c104HalfEEvS1_PT2_l.num_named_barrier, 0
	.set _ZL16dequantize_blockILi32ELi2EXadL_ZL15dequantize_q5_1PKviiR7__half2EEN3c104HalfEEvS1_PT2_l.private_seg_size, 0
	.set _ZL16dequantize_blockILi32ELi2EXadL_ZL15dequantize_q5_1PKviiR7__half2EEN3c104HalfEEvS1_PT2_l.uses_vcc, 1
	.set _ZL16dequantize_blockILi32ELi2EXadL_ZL15dequantize_q5_1PKviiR7__half2EEN3c104HalfEEvS1_PT2_l.uses_flat_scratch, 0
	.set _ZL16dequantize_blockILi32ELi2EXadL_ZL15dequantize_q5_1PKviiR7__half2EEN3c104HalfEEvS1_PT2_l.has_dyn_sized_stack, 0
	.set _ZL16dequantize_blockILi32ELi2EXadL_ZL15dequantize_q5_1PKviiR7__half2EEN3c104HalfEEvS1_PT2_l.has_recursion, 0
	.set _ZL16dequantize_blockILi32ELi2EXadL_ZL15dequantize_q5_1PKviiR7__half2EEN3c104HalfEEvS1_PT2_l.has_indirect_call, 0
	.section	.AMDGPU.csdata,"",@progbits
; Kernel info:
; codeLenInByte = 352
; TotalNumSgprs: 9
; NumVgprs: 10
; ScratchSize: 0
; MemoryBound: 0
; FloatMode: 240
; IeeeMode: 1
; LDSByteSize: 0 bytes/workgroup (compile time only)
; SGPRBlocks: 0
; VGPRBlocks: 0
; NumSGPRsForWavesPerEU: 9
; NumVGPRsForWavesPerEU: 10
; NamedBarCnt: 0
; Occupancy: 16
; WaveLimiterHint : 0
; COMPUTE_PGM_RSRC2:SCRATCH_EN: 0
; COMPUTE_PGM_RSRC2:USER_SGPR: 2
; COMPUTE_PGM_RSRC2:TRAP_HANDLER: 0
; COMPUTE_PGM_RSRC2:TGID_X_EN: 1
; COMPUTE_PGM_RSRC2:TGID_Y_EN: 0
; COMPUTE_PGM_RSRC2:TGID_Z_EN: 0
; COMPUTE_PGM_RSRC2:TIDIG_COMP_CNT: 0
	.section	.text._ZL16dequantize_blockILi32ELi1EXadL_ZL15dequantize_q8_0PKviiR7__half2EEN3c104HalfEEvS1_PT2_l,"axG",@progbits,_ZL16dequantize_blockILi32ELi1EXadL_ZL15dequantize_q8_0PKviiR7__half2EEN3c104HalfEEvS1_PT2_l,comdat
	.globl	_ZL16dequantize_blockILi32ELi1EXadL_ZL15dequantize_q8_0PKviiR7__half2EEN3c104HalfEEvS1_PT2_l ; -- Begin function _ZL16dequantize_blockILi32ELi1EXadL_ZL15dequantize_q8_0PKviiR7__half2EEN3c104HalfEEvS1_PT2_l
	.p2align	8
	.type	_ZL16dequantize_blockILi32ELi1EXadL_ZL15dequantize_q8_0PKviiR7__half2EEN3c104HalfEEvS1_PT2_l,@function
_ZL16dequantize_blockILi32ELi1EXadL_ZL15dequantize_q8_0PKviiR7__half2EEN3c104HalfEEvS1_PT2_l: ; @_ZL16dequantize_blockILi32ELi1EXadL_ZL15dequantize_q8_0PKviiR7__half2EEN3c104HalfEEvS1_PT2_l
; %bb.0:
	s_load_b32 s2, s[0:1], 0x24
	s_bfe_u32 s3, ttmp6, 0x4000c
	s_and_b32 s4, ttmp6, 15
	s_add_co_i32 s3, s3, 1
	s_getreg_b32 s5, hwreg(HW_REG_IB_STS2, 6, 4)
	s_mul_i32 s3, ttmp9, s3
	v_mov_b32_e32 v1, 0
	s_add_co_i32 s4, s4, s3
	s_wait_kmcnt 0x0
	s_and_b32 s6, s2, 0xffff
	s_cmp_eq_u32 s5, 0
	s_load_b64 s[2:3], s[0:1], 0x10
	s_cselect_b32 s4, ttmp9, s4
	s_delay_alu instid0(SALU_CYCLE_1) | instskip(NEXT) | instid1(VALU_DEP_1)
	v_mad_nc_u64_u32 v[2:3], s6, s4, v[0:1]
	v_lshlrev_b64_e32 v[4:5], 1, v[2:3]
	s_wait_kmcnt 0x0
	s_delay_alu instid0(VALU_DEP_1)
	v_cmp_gt_i64_e32 vcc_lo, s[2:3], v[4:5]
	s_and_saveexec_b32 s2, vcc_lo
	s_cbranch_execz .LBB23_2
; %bb.1:
	s_load_b128 s[0:3], s[0:1], 0x0
	v_alignbit_b32 v0, v3, v2, 4
	v_dual_mov_b32 v2, v1 :: v_dual_lshlrev_b32 v3, 1, v2
	s_wait_kmcnt 0x0
	s_delay_alu instid0(VALU_DEP_2) | instskip(SKIP_1) | instid1(VALU_DEP_1)
	v_mad_nc_i64_i32 v[6:7], v0, 34, s[0:1]
	v_and_b32_e32 v0, 30, v4
	v_add_nc_u64_e32 v[4:5], v[6:7], v[0:1]
	s_clause 0x1
	global_load_u16 v0, v[4:5], off offset:2
	global_load_u16 v8, v[6:7], off
	s_wait_loadcnt 0x1
	s_wait_xcnt 0x1
	v_ashrrev_i16 v4, 8, v0
	v_bfe_i32 v0, v0, 0, 8
	s_delay_alu instid0(VALU_DEP_2) | instskip(NEXT) | instid1(VALU_DEP_2)
	v_cvt_f16_i16_e32 v4, v4
	v_cvt_f16_i16_e32 v5, v0
	v_ashrrev_i64 v[0:1], 31, v[2:3]
	s_wait_loadcnt 0x0
	v_lshl_or_b32 v3, v8, 16, v8
	s_delay_alu instid0(VALU_DEP_3) | instskip(NEXT) | instid1(VALU_DEP_3)
	v_pack_b32_f16 v2, v5, v4
	v_add_nc_u64_e32 v[0:1], s[2:3], v[0:1]
	s_delay_alu instid0(VALU_DEP_2)
	v_pk_mul_f16 v2, v2, v3
	global_store_b32 v[0:1], v2, off
.LBB23_2:
	s_endpgm
	.section	.rodata,"a",@progbits
	.p2align	6, 0x0
	.amdhsa_kernel _ZL16dequantize_blockILi32ELi1EXadL_ZL15dequantize_q8_0PKviiR7__half2EEN3c104HalfEEvS1_PT2_l
		.amdhsa_group_segment_fixed_size 0
		.amdhsa_private_segment_fixed_size 0
		.amdhsa_kernarg_size 280
		.amdhsa_user_sgpr_count 2
		.amdhsa_user_sgpr_dispatch_ptr 0
		.amdhsa_user_sgpr_queue_ptr 0
		.amdhsa_user_sgpr_kernarg_segment_ptr 1
		.amdhsa_user_sgpr_dispatch_id 0
		.amdhsa_user_sgpr_kernarg_preload_length 0
		.amdhsa_user_sgpr_kernarg_preload_offset 0
		.amdhsa_user_sgpr_private_segment_size 0
		.amdhsa_wavefront_size32 1
		.amdhsa_uses_dynamic_stack 0
		.amdhsa_enable_private_segment 0
		.amdhsa_system_sgpr_workgroup_id_x 1
		.amdhsa_system_sgpr_workgroup_id_y 0
		.amdhsa_system_sgpr_workgroup_id_z 0
		.amdhsa_system_sgpr_workgroup_info 0
		.amdhsa_system_vgpr_workitem_id 0
		.amdhsa_next_free_vgpr 9
		.amdhsa_next_free_sgpr 7
		.amdhsa_named_barrier_count 0
		.amdhsa_reserve_vcc 1
		.amdhsa_float_round_mode_32 0
		.amdhsa_float_round_mode_16_64 0
		.amdhsa_float_denorm_mode_32 3
		.amdhsa_float_denorm_mode_16_64 3
		.amdhsa_fp16_overflow 0
		.amdhsa_memory_ordered 1
		.amdhsa_forward_progress 1
		.amdhsa_inst_pref_size 3
		.amdhsa_round_robin_scheduling 0
		.amdhsa_exception_fp_ieee_invalid_op 0
		.amdhsa_exception_fp_denorm_src 0
		.amdhsa_exception_fp_ieee_div_zero 0
		.amdhsa_exception_fp_ieee_overflow 0
		.amdhsa_exception_fp_ieee_underflow 0
		.amdhsa_exception_fp_ieee_inexact 0
		.amdhsa_exception_int_div_zero 0
	.end_amdhsa_kernel
	.section	.text._ZL16dequantize_blockILi32ELi1EXadL_ZL15dequantize_q8_0PKviiR7__half2EEN3c104HalfEEvS1_PT2_l,"axG",@progbits,_ZL16dequantize_blockILi32ELi1EXadL_ZL15dequantize_q8_0PKviiR7__half2EEN3c104HalfEEvS1_PT2_l,comdat
.Lfunc_end23:
	.size	_ZL16dequantize_blockILi32ELi1EXadL_ZL15dequantize_q8_0PKviiR7__half2EEN3c104HalfEEvS1_PT2_l, .Lfunc_end23-_ZL16dequantize_blockILi32ELi1EXadL_ZL15dequantize_q8_0PKviiR7__half2EEN3c104HalfEEvS1_PT2_l
                                        ; -- End function
	.set _ZL16dequantize_blockILi32ELi1EXadL_ZL15dequantize_q8_0PKviiR7__half2EEN3c104HalfEEvS1_PT2_l.num_vgpr, 9
	.set _ZL16dequantize_blockILi32ELi1EXadL_ZL15dequantize_q8_0PKviiR7__half2EEN3c104HalfEEvS1_PT2_l.num_agpr, 0
	.set _ZL16dequantize_blockILi32ELi1EXadL_ZL15dequantize_q8_0PKviiR7__half2EEN3c104HalfEEvS1_PT2_l.numbered_sgpr, 7
	.set _ZL16dequantize_blockILi32ELi1EXadL_ZL15dequantize_q8_0PKviiR7__half2EEN3c104HalfEEvS1_PT2_l.num_named_barrier, 0
	.set _ZL16dequantize_blockILi32ELi1EXadL_ZL15dequantize_q8_0PKviiR7__half2EEN3c104HalfEEvS1_PT2_l.private_seg_size, 0
	.set _ZL16dequantize_blockILi32ELi1EXadL_ZL15dequantize_q8_0PKviiR7__half2EEN3c104HalfEEvS1_PT2_l.uses_vcc, 1
	.set _ZL16dequantize_blockILi32ELi1EXadL_ZL15dequantize_q8_0PKviiR7__half2EEN3c104HalfEEvS1_PT2_l.uses_flat_scratch, 0
	.set _ZL16dequantize_blockILi32ELi1EXadL_ZL15dequantize_q8_0PKviiR7__half2EEN3c104HalfEEvS1_PT2_l.has_dyn_sized_stack, 0
	.set _ZL16dequantize_blockILi32ELi1EXadL_ZL15dequantize_q8_0PKviiR7__half2EEN3c104HalfEEvS1_PT2_l.has_recursion, 0
	.set _ZL16dequantize_blockILi32ELi1EXadL_ZL15dequantize_q8_0PKviiR7__half2EEN3c104HalfEEvS1_PT2_l.has_indirect_call, 0
	.section	.AMDGPU.csdata,"",@progbits
; Kernel info:
; codeLenInByte = 280
; TotalNumSgprs: 9
; NumVgprs: 9
; ScratchSize: 0
; MemoryBound: 0
; FloatMode: 240
; IeeeMode: 1
; LDSByteSize: 0 bytes/workgroup (compile time only)
; SGPRBlocks: 0
; VGPRBlocks: 0
; NumSGPRsForWavesPerEU: 9
; NumVGPRsForWavesPerEU: 9
; NamedBarCnt: 0
; Occupancy: 16
; WaveLimiterHint : 0
; COMPUTE_PGM_RSRC2:SCRATCH_EN: 0
; COMPUTE_PGM_RSRC2:USER_SGPR: 2
; COMPUTE_PGM_RSRC2:TRAP_HANDLER: 0
; COMPUTE_PGM_RSRC2:TGID_X_EN: 1
; COMPUTE_PGM_RSRC2:TGID_Y_EN: 0
; COMPUTE_PGM_RSRC2:TGID_Z_EN: 0
; COMPUTE_PGM_RSRC2:TIDIG_COMP_CNT: 0
	.section	.text._ZL21dequantize_block_q2_KIN3c104HalfEEvPKvPT_,"axG",@progbits,_ZL21dequantize_block_q2_KIN3c104HalfEEvPKvPT_,comdat
	.globl	_ZL21dequantize_block_q2_KIN3c104HalfEEvPKvPT_ ; -- Begin function _ZL21dequantize_block_q2_KIN3c104HalfEEvPKvPT_
	.p2align	8
	.type	_ZL21dequantize_block_q2_KIN3c104HalfEEvPKvPT_,@function
_ZL21dequantize_block_q2_KIN3c104HalfEEvPKvPT_: ; @_ZL21dequantize_block_q2_KIN3c104HalfEEvPKvPT_
; %bb.0:
	s_load_b128 s[0:3], s[0:1], 0x0
	s_bfe_u32 s4, ttmp6, 0x4000c
	s_and_b32 s5, ttmp6, 15
	s_add_co_i32 s4, s4, 1
	s_getreg_b32 s6, hwreg(HW_REG_IB_STS2, 6, 4)
	s_mul_i32 s4, ttmp9, s4
	v_lshrrev_b32_e32 v2, 5, v0
	v_bfe_u32 v1, v0, 4, 1
	s_add_co_i32 s4, s5, s4
	s_cmp_eq_u32 s6, 0
	s_mov_b32 s5, 0
	s_cselect_b32 s4, ttmp9, s4
	v_lshl_or_b32 v1, v2, 3, v1
	s_mul_u64 s[6:7], s[4:5], 0x54
	s_lshl_b32 s4, s4, 8
	s_wait_kmcnt 0x0
	s_add_nc_u64 s[0:1], s[0:1], s[6:7]
	s_clause 0x4
	global_load_u8 v4, v1, s[0:1]
	global_load_u8 v5, v0, s[0:1] offset:16
	global_load_u8 v6, v1, s[0:1] offset:2
	;; [unrolled: 1-line block ×4, first 2 shown]
	s_wait_xcnt 0x0
	v_dual_mov_b32 v1, 0 :: v_dual_bitop2_b32 v9, 31, v0 bitop3:0x40
	v_lshlrev_b32_e32 v0, 8, v2
	s_load_b32 s6, s[0:1], 0x50
	s_wait_xcnt 0x0
	s_lshl_b64 s[0:1], s[4:5], 1
	s_delay_alu instid0(SALU_CYCLE_1) | instskip(NEXT) | instid1(SALU_CYCLE_1)
	s_add_nc_u64 s[0:1], s[2:3], s[0:1]
	v_add_nc_u64_e32 v[2:3], s[0:1], v[0:1]
	v_lshlrev_b32_e32 v0, 1, v9
	s_wait_kmcnt 0x0
	s_lshr_b32 s0, s6, 16
	s_wait_loadcnt 0x4
	v_and_b32_e32 v9, 15, v4
	s_wait_loadcnt 0x3
	v_and_b32_e32 v10, 3, v5
	s_wait_loadcnt 0x2
	v_and_b32_e32 v11, 15, v6
	s_wait_loadcnt 0x1
	v_and_b32_e32 v13, 15, v7
	s_wait_loadcnt 0x0
	v_and_b32_e32 v15, 15, v8
	v_and_b32_e32 v9, 0xffff, v9
	v_bfe_u32 v12, v5, 2, 2
	v_and_b32_e32 v11, 0xffff, v11
	v_bfe_u32 v14, v5, 4, 2
	v_and_b32_e32 v13, 0xffff, v13
	v_lshrrev_b32_e32 v5, 6, v5
	v_and_b32_e32 v15, 0xffff, v15
	v_lshrrev_b16 v4, 4, v4
	v_mul_u32_u24_e32 v9, v10, v9
	v_lshrrev_b16 v6, 4, v6
	v_mul_u32_u24_e32 v10, v12, v11
	;; [unrolled: 2-line block ×4, first 2 shown]
	v_cvt_f16_u16_e32 v4, v4
	v_cvt_f32_ubyte0_e32 v9, v9
	v_cvt_f16_u16_e32 v6, v6
	v_cvt_f32_ubyte0_e32 v10, v10
	;; [unrolled: 2-line block ×4, first 2 shown]
	v_mul_f16_e32 v4, s0, v4
	v_cvt_f16_f32_e32 v9, v9
	v_mul_f16_e32 v6, s0, v6
	v_cvt_f16_f32_e32 v10, v10
	;; [unrolled: 2-line block ×4, first 2 shown]
	v_add_nc_u64_e32 v[0:1], v[2:3], v[0:1]
	v_fma_f16 v2, s6, v9, -v4
	v_fma_f16 v3, s6, v10, -v6
	;; [unrolled: 1-line block ×4, first 2 shown]
	s_clause 0x3
	global_store_b16 v[0:1], v2, off
	global_store_b16 v[0:1], v3, off offset:64
	global_store_b16 v[0:1], v4, off offset:128
	;; [unrolled: 1-line block ×3, first 2 shown]
	s_endpgm
	.section	.rodata,"a",@progbits
	.p2align	6, 0x0
	.amdhsa_kernel _ZL21dequantize_block_q2_KIN3c104HalfEEvPKvPT_
		.amdhsa_group_segment_fixed_size 0
		.amdhsa_private_segment_fixed_size 0
		.amdhsa_kernarg_size 16
		.amdhsa_user_sgpr_count 2
		.amdhsa_user_sgpr_dispatch_ptr 0
		.amdhsa_user_sgpr_queue_ptr 0
		.amdhsa_user_sgpr_kernarg_segment_ptr 1
		.amdhsa_user_sgpr_dispatch_id 0
		.amdhsa_user_sgpr_kernarg_preload_length 0
		.amdhsa_user_sgpr_kernarg_preload_offset 0
		.amdhsa_user_sgpr_private_segment_size 0
		.amdhsa_wavefront_size32 1
		.amdhsa_uses_dynamic_stack 0
		.amdhsa_enable_private_segment 0
		.amdhsa_system_sgpr_workgroup_id_x 1
		.amdhsa_system_sgpr_workgroup_id_y 0
		.amdhsa_system_sgpr_workgroup_id_z 0
		.amdhsa_system_sgpr_workgroup_info 0
		.amdhsa_system_vgpr_workitem_id 0
		.amdhsa_next_free_vgpr 16
		.amdhsa_next_free_sgpr 8
		.amdhsa_named_barrier_count 0
		.amdhsa_reserve_vcc 0
		.amdhsa_float_round_mode_32 0
		.amdhsa_float_round_mode_16_64 0
		.amdhsa_float_denorm_mode_32 3
		.amdhsa_float_denorm_mode_16_64 3
		.amdhsa_fp16_overflow 0
		.amdhsa_memory_ordered 1
		.amdhsa_forward_progress 1
		.amdhsa_inst_pref_size 4
		.amdhsa_round_robin_scheduling 0
		.amdhsa_exception_fp_ieee_invalid_op 0
		.amdhsa_exception_fp_denorm_src 0
		.amdhsa_exception_fp_ieee_div_zero 0
		.amdhsa_exception_fp_ieee_overflow 0
		.amdhsa_exception_fp_ieee_underflow 0
		.amdhsa_exception_fp_ieee_inexact 0
		.amdhsa_exception_int_div_zero 0
	.end_amdhsa_kernel
	.section	.text._ZL21dequantize_block_q2_KIN3c104HalfEEvPKvPT_,"axG",@progbits,_ZL21dequantize_block_q2_KIN3c104HalfEEvPKvPT_,comdat
.Lfunc_end24:
	.size	_ZL21dequantize_block_q2_KIN3c104HalfEEvPKvPT_, .Lfunc_end24-_ZL21dequantize_block_q2_KIN3c104HalfEEvPKvPT_
                                        ; -- End function
	.set _ZL21dequantize_block_q2_KIN3c104HalfEEvPKvPT_.num_vgpr, 16
	.set _ZL21dequantize_block_q2_KIN3c104HalfEEvPKvPT_.num_agpr, 0
	.set _ZL21dequantize_block_q2_KIN3c104HalfEEvPKvPT_.numbered_sgpr, 8
	.set _ZL21dequantize_block_q2_KIN3c104HalfEEvPKvPT_.num_named_barrier, 0
	.set _ZL21dequantize_block_q2_KIN3c104HalfEEvPKvPT_.private_seg_size, 0
	.set _ZL21dequantize_block_q2_KIN3c104HalfEEvPKvPT_.uses_vcc, 0
	.set _ZL21dequantize_block_q2_KIN3c104HalfEEvPKvPT_.uses_flat_scratch, 0
	.set _ZL21dequantize_block_q2_KIN3c104HalfEEvPKvPT_.has_dyn_sized_stack, 0
	.set _ZL21dequantize_block_q2_KIN3c104HalfEEvPKvPT_.has_recursion, 0
	.set _ZL21dequantize_block_q2_KIN3c104HalfEEvPKvPT_.has_indirect_call, 0
	.section	.AMDGPU.csdata,"",@progbits
; Kernel info:
; codeLenInByte = 508
; TotalNumSgprs: 8
; NumVgprs: 16
; ScratchSize: 0
; MemoryBound: 0
; FloatMode: 240
; IeeeMode: 1
; LDSByteSize: 0 bytes/workgroup (compile time only)
; SGPRBlocks: 0
; VGPRBlocks: 0
; NumSGPRsForWavesPerEU: 8
; NumVGPRsForWavesPerEU: 16
; NamedBarCnt: 0
; Occupancy: 16
; WaveLimiterHint : 0
; COMPUTE_PGM_RSRC2:SCRATCH_EN: 0
; COMPUTE_PGM_RSRC2:USER_SGPR: 2
; COMPUTE_PGM_RSRC2:TRAP_HANDLER: 0
; COMPUTE_PGM_RSRC2:TGID_X_EN: 1
; COMPUTE_PGM_RSRC2:TGID_Y_EN: 0
; COMPUTE_PGM_RSRC2:TGID_Z_EN: 0
; COMPUTE_PGM_RSRC2:TIDIG_COMP_CNT: 0
	.section	.text._ZL21dequantize_block_q3_KIN3c104HalfEEvPKvPT_,"axG",@progbits,_ZL21dequantize_block_q3_KIN3c104HalfEEvPKvPT_,comdat
	.globl	_ZL21dequantize_block_q3_KIN3c104HalfEEvPKvPT_ ; -- Begin function _ZL21dequantize_block_q3_KIN3c104HalfEEvPKvPT_
	.p2align	8
	.type	_ZL21dequantize_block_q3_KIN3c104HalfEEvPKvPT_,@function
_ZL21dequantize_block_q3_KIN3c104HalfEEvPKvPT_: ; @_ZL21dequantize_block_q3_KIN3c104HalfEEvPKvPT_
; %bb.0:
	v_dual_lshrrev_b32 v9, 5, v0 :: v_dual_lshrrev_b32 v6, 3, v0
	v_bfe_u32 v8, v0, 2, 1
	s_bfe_u32 s4, ttmp6, 0x4000c
	s_load_b64 s[2:3], s[0:1], 0x0
	s_delay_alu instid0(VALU_DEP_2)
	v_lshlrev_b32_e32 v1, 2, v9
	s_add_co_i32 s4, s4, 1
	s_and_b32 s5, ttmp6, 15
	s_mul_i32 s4, ttmp9, s4
	s_getreg_b32 s6, hwreg(HW_REG_IB_STS2, 6, 4)
	v_sub_nc_u32_e32 v7, v6, v1
	s_add_co_i32 s5, s5, s4
	s_cmp_eq_u32 s6, 0
	s_mov_b32 s7, 0
	s_cselect_b32 s4, ttmp9, s5
	v_lshlrev_b32_e32 v1, 1, v7
	s_mov_b32 s6, s4
                                        ; implicit-def: $vgpr10
                                        ; implicit-def: $vgpr5
	s_mov_b32 s5, exec_lo
	v_mov_b64_e32 v[2:3], s[6:7]
	s_delay_alu instid0(VALU_DEP_2) | instskip(NEXT) | instid1(VALU_DEP_1)
	v_lshl_add_u32 v11, v9, 3, v1
	v_or_b32_e32 v4, v11, v8
	s_delay_alu instid0(VALU_DEP_1)
	v_cmpx_lt_i32_e32 3, v4
	s_xor_b32 s8, exec_lo, s5
	s_cbranch_execz .LBB25_10
; %bb.1:
	v_mov_b64_e32 v[2:3], s[6:7]
                                        ; implicit-def: $vgpr10
                                        ; implicit-def: $vgpr5
	s_mov_b32 s5, exec_lo
	v_cmpx_lt_u32_e32 7, v11
	s_xor_b32 s9, exec_lo, s5
	s_cbranch_execz .LBB25_7
; %bb.2:
	s_mov_b32 s5, 0
	v_mov_b32_e32 v5, 0
	s_mul_u64 s[10:11], s[4:5], 0x6e
	s_wait_kmcnt 0x0
	s_add_nc_u64 s[10:11], s[2:3], s[10:11]
	global_load_u8 v10, v4, s[10:11] offset:88
	v_add_nc_u64_e32 v[2:3], s[10:11], v[4:5]
	s_wait_xcnt 0x0
	s_mov_b32 s10, exec_lo
                                        ; implicit-def: $vgpr5
	v_cmpx_lt_u32_e32 11, v11
	s_xor_b32 s10, exec_lo, s10
	s_cbranch_execz .LBB25_4
; %bb.3:
	global_load_u8 v2, v[2:3], off offset:92
	s_wait_loadcnt 0x0
	v_lshrrev_b16 v5, 2, v2
                                        ; implicit-def: $vgpr2_vgpr3
.LBB25_4:
	s_and_not1_saveexec_b32 s10, s10
	s_cbranch_execz .LBB25_6
; %bb.5:
	global_load_u8 v5, v[2:3], off offset:96
.LBB25_6:
	s_wait_xcnt 0x0
	s_or_b32 exec_lo, exec_lo, s10
	s_wait_loadcnt 0x0
	v_lshrrev_b16 v10, 4, v10
	v_mov_b64_e32 v[2:3], s[4:5]
                                        ; implicit-def: $vgpr4
.LBB25_7:
	s_and_not1_saveexec_b32 s5, s9
	s_cbranch_execz .LBB25_9
; %bb.8:
	s_mul_u64 s[10:11], s[6:7], 0x6e
	s_wait_kmcnt 0x0
	s_add_nc_u64 s[10:11], s[2:3], s[10:11]
	s_clause 0x1
	global_load_u8 v3, v4, s[10:11] offset:96
	global_load_u8 v5, v4, s[10:11] offset:100
	s_wait_loadcnt 0x1
	v_and_b32_e32 v10, 15, v3
	s_wait_loadcnt 0x0
	v_lshlrev_b16 v5, 2, v5
.LBB25_9:
	s_or_b32 exec_lo, exec_lo, s5
                                        ; implicit-def: $vgpr4
.LBB25_10:
	s_or_saveexec_b32 s5, s8
	s_wait_xcnt 0x0
	s_load_b64 s[0:1], s[0:1], 0x8
	s_xor_b32 exec_lo, exec_lo, s5
	s_cbranch_execz .LBB25_12
; %bb.11:
	s_mul_u64 s[6:7], s[6:7], 0x6e
	s_wait_kmcnt 0x0
	s_add_nc_u64 s[6:7], s[2:3], s[6:7]
	s_clause 0x1
	global_load_u8 v3, v4, s[6:7] offset:96
	global_load_u8 v5, v4, s[6:7] offset:104
	s_wait_loadcnt 0x1
	v_and_b32_e32 v10, 15, v3
	s_wait_loadcnt 0x0
	v_lshlrev_b16 v5, 4, v5
.LBB25_12:
	s_or_b32 exec_lo, exec_lo, s5
	s_wait_kmcnt 0x0
	v_mad_nc_u64_u32 v[2:3], 0x6e, v2, s[2:3]
	s_lshl_b32 s2, s4, 8
	s_mov_b32 s3, 0
	v_dual_mov_b32 v13, 0 :: v_dual_lshlrev_b32 v12, 8, v9
	s_lshl_b64 s[2:3], s[2:3], 1
	v_lshlrev_b32_e32 v4, 2, v0
	s_add_nc_u64 s[0:1], s[0:1], s[2:3]
	s_delay_alu instid0(VALU_DEP_2) | instid1(SALU_CYCLE_1)
	v_add_nc_u64_e32 v[14:15], s[0:1], v[12:13]
	v_and_b32_e32 v12, 0x3e0, v0
	s_delay_alu instid0(VALU_DEP_3) | instskip(NEXT) | instid1(VALU_DEP_2)
	v_dual_mov_b32 v9, v13 :: v_dual_bitop2_b32 v0, 12, v4 bitop3:0x40
	v_add_nc_u64_e32 v[16:17], v[2:3], v[12:13]
	s_delay_alu instid0(VALU_DEP_2) | instskip(NEXT) | instid1(VALU_DEP_1)
	v_lshl_or_b32 v8, v8, 4, v0
	v_add_nc_u64_e32 v[16:17], v[16:17], v[8:9]
	v_add_nc_u64_e32 v[18:19], v[2:3], v[8:9]
	s_clause 0x2
	global_load_b32 v0, v[16:17], off offset:32
	global_load_b32 v4, v[18:19], off
	global_load_u16 v9, v[2:3], off offset:108
	s_wait_xcnt 0x0
	v_bitop3_b16 v3, v5, v10, 48 bitop3:0xec
	v_lshlrev_b32_e32 v2, 5, v7
	v_lshlrev_b32_e64 v5, v6, 1
	s_delay_alu instid0(VALU_DEP_3) | instskip(NEXT) | instid1(VALU_DEP_3)
	v_and_b32_e32 v6, 0xff, v3
	v_ashrrev_i32_e32 v3, 31, v2
	s_delay_alu instid0(VALU_DEP_2)
	v_subrev_nc_u32_e32 v6, 32, v6
	s_wait_loadcnt 0x2
	v_lshrrev_b32_e32 v7, 24, v0
	s_wait_loadcnt 0x1
	v_lshrrev_b32_e32 v12, 24, v4
	v_lshrrev_b16 v10, 8, v0
	v_lshrrev_b16 v16, 8, v4
	v_and_b32_e32 v17, 0xff, v4
	v_bfe_u32 v4, v4, 16, 8
	v_lshrrev_b32_e32 v7, v1, v7
	v_and_b32_e32 v12, v5, v12
	v_bfe_u32 v11, v0, 16, 8
	v_and_b32_e32 v0, 0xff, v0
	v_and_b32_e32 v10, 0xffff, v10
	;; [unrolled: 1-line block ×4, first 2 shown]
	v_cmp_ne_u32_e32 vcc_lo, 0, v12
	v_dual_lshrrev_b32 v0, v1, v0 :: v_dual_lshrrev_b32 v11, v1, v11
	v_and_b32_e32 v17, v5, v17
	v_lshrrev_b32_e32 v1, v1, v10
	v_and_b32_e32 v5, v5, v16
	v_cndmask_b32_e64 v10, -4, 0, vcc_lo
	v_cmp_ne_u32_e32 vcc_lo, 0, v4
	s_delay_alu instid0(VALU_DEP_2) | instskip(SKIP_2) | instid1(VALU_DEP_2)
	v_and_or_b32 v7, v7, 3, v10
	v_cndmask_b32_e64 v4, -4, 0, vcc_lo
	v_cmp_ne_u32_e32 vcc_lo, 0, v5
	v_and_or_b32 v4, v11, 3, v4
	v_cndmask_b32_e64 v5, -4, 0, vcc_lo
	v_cmp_ne_u32_e32 vcc_lo, 0, v17
	s_delay_alu instid0(VALU_DEP_3) | instskip(NEXT) | instid1(VALU_DEP_3)
	v_cvt_f32_i32_e32 v4, v4
	v_and_or_b32 v1, v1, 3, v5
	v_cndmask_b32_e64 v12, -4, 0, vcc_lo
	v_cvt_f32_i32_e32 v5, v6
	v_cvt_f32_i32_e32 v6, v7
	v_cvt_f16_f32_e32 v4, v4
	v_cvt_f32_i32_e32 v1, v1
	v_and_or_b32 v0, v0, 3, v12
	v_cvt_f16_f32_e32 v5, v5
	v_cvt_f16_f32_e32 v6, v6
	v_lshlrev_b32_e32 v12, 1, v8
	v_cvt_f16_f32_e32 v7, v1
	v_cvt_f32_i32_e32 v0, v0
	s_wait_loadcnt 0x0
	v_mul_f16_e32 v5, v9, v5
	s_delay_alu instid0(VALU_DEP_2) | instskip(SKIP_2) | instid1(VALU_DEP_3)
	v_cvt_f16_f32_e32 v10, v0
	v_lshl_add_u64 v[0:1], v[2:3], 1, v[14:15]
	v_pack_b32_f16 v2, v4, v6
	v_pack_b32_f16 v4, v10, v7
	s_delay_alu instid0(VALU_DEP_3) | instskip(NEXT) | instid1(VALU_DEP_3)
	v_add_nc_u64_e32 v[0:1], v[0:1], v[12:13]
	v_pk_mul_f16 v3, v5, v2 op_sel_hi:[0,1]
	s_delay_alu instid0(VALU_DEP_3)
	v_pk_mul_f16 v2, v5, v4 op_sel_hi:[0,1]
	global_store_b64 v[0:1], v[2:3], off
	s_endpgm
	.section	.rodata,"a",@progbits
	.p2align	6, 0x0
	.amdhsa_kernel _ZL21dequantize_block_q3_KIN3c104HalfEEvPKvPT_
		.amdhsa_group_segment_fixed_size 0
		.amdhsa_private_segment_fixed_size 0
		.amdhsa_kernarg_size 16
		.amdhsa_user_sgpr_count 2
		.amdhsa_user_sgpr_dispatch_ptr 0
		.amdhsa_user_sgpr_queue_ptr 0
		.amdhsa_user_sgpr_kernarg_segment_ptr 1
		.amdhsa_user_sgpr_dispatch_id 0
		.amdhsa_user_sgpr_kernarg_preload_length 0
		.amdhsa_user_sgpr_kernarg_preload_offset 0
		.amdhsa_user_sgpr_private_segment_size 0
		.amdhsa_wavefront_size32 1
		.amdhsa_uses_dynamic_stack 0
		.amdhsa_enable_private_segment 0
		.amdhsa_system_sgpr_workgroup_id_x 1
		.amdhsa_system_sgpr_workgroup_id_y 0
		.amdhsa_system_sgpr_workgroup_id_z 0
		.amdhsa_system_sgpr_workgroup_info 0
		.amdhsa_system_vgpr_workitem_id 0
		.amdhsa_next_free_vgpr 20
		.amdhsa_next_free_sgpr 12
		.amdhsa_named_barrier_count 0
		.amdhsa_reserve_vcc 1
		.amdhsa_float_round_mode_32 0
		.amdhsa_float_round_mode_16_64 0
		.amdhsa_float_denorm_mode_32 3
		.amdhsa_float_denorm_mode_16_64 3
		.amdhsa_fp16_overflow 0
		.amdhsa_memory_ordered 1
		.amdhsa_forward_progress 1
		.amdhsa_inst_pref_size 8
		.amdhsa_round_robin_scheduling 0
		.amdhsa_exception_fp_ieee_invalid_op 0
		.amdhsa_exception_fp_denorm_src 0
		.amdhsa_exception_fp_ieee_div_zero 0
		.amdhsa_exception_fp_ieee_overflow 0
		.amdhsa_exception_fp_ieee_underflow 0
		.amdhsa_exception_fp_ieee_inexact 0
		.amdhsa_exception_int_div_zero 0
	.end_amdhsa_kernel
	.section	.text._ZL21dequantize_block_q3_KIN3c104HalfEEvPKvPT_,"axG",@progbits,_ZL21dequantize_block_q3_KIN3c104HalfEEvPKvPT_,comdat
.Lfunc_end25:
	.size	_ZL21dequantize_block_q3_KIN3c104HalfEEvPKvPT_, .Lfunc_end25-_ZL21dequantize_block_q3_KIN3c104HalfEEvPKvPT_
                                        ; -- End function
	.set _ZL21dequantize_block_q3_KIN3c104HalfEEvPKvPT_.num_vgpr, 20
	.set _ZL21dequantize_block_q3_KIN3c104HalfEEvPKvPT_.num_agpr, 0
	.set _ZL21dequantize_block_q3_KIN3c104HalfEEvPKvPT_.numbered_sgpr, 12
	.set _ZL21dequantize_block_q3_KIN3c104HalfEEvPKvPT_.num_named_barrier, 0
	.set _ZL21dequantize_block_q3_KIN3c104HalfEEvPKvPT_.private_seg_size, 0
	.set _ZL21dequantize_block_q3_KIN3c104HalfEEvPKvPT_.uses_vcc, 1
	.set _ZL21dequantize_block_q3_KIN3c104HalfEEvPKvPT_.uses_flat_scratch, 0
	.set _ZL21dequantize_block_q3_KIN3c104HalfEEvPKvPT_.has_dyn_sized_stack, 0
	.set _ZL21dequantize_block_q3_KIN3c104HalfEEvPKvPT_.has_recursion, 0
	.set _ZL21dequantize_block_q3_KIN3c104HalfEEvPKvPT_.has_indirect_call, 0
	.section	.AMDGPU.csdata,"",@progbits
; Kernel info:
; codeLenInByte = 960
; TotalNumSgprs: 14
; NumVgprs: 20
; ScratchSize: 0
; MemoryBound: 0
; FloatMode: 240
; IeeeMode: 1
; LDSByteSize: 0 bytes/workgroup (compile time only)
; SGPRBlocks: 0
; VGPRBlocks: 1
; NumSGPRsForWavesPerEU: 14
; NumVGPRsForWavesPerEU: 20
; NamedBarCnt: 0
; Occupancy: 16
; WaveLimiterHint : 0
; COMPUTE_PGM_RSRC2:SCRATCH_EN: 0
; COMPUTE_PGM_RSRC2:USER_SGPR: 2
; COMPUTE_PGM_RSRC2:TRAP_HANDLER: 0
; COMPUTE_PGM_RSRC2:TGID_X_EN: 1
; COMPUTE_PGM_RSRC2:TGID_Y_EN: 0
; COMPUTE_PGM_RSRC2:TGID_Z_EN: 0
; COMPUTE_PGM_RSRC2:TIDIG_COMP_CNT: 0
	.section	.text._ZL21dequantize_block_q4_KIN3c104HalfEEvPKvPT_,"axG",@progbits,_ZL21dequantize_block_q4_KIN3c104HalfEEvPKvPT_,comdat
	.globl	_ZL21dequantize_block_q4_KIN3c104HalfEEvPKvPT_ ; -- Begin function _ZL21dequantize_block_q4_KIN3c104HalfEEvPKvPT_
	.p2align	8
	.type	_ZL21dequantize_block_q4_KIN3c104HalfEEvPKvPT_,@function
_ZL21dequantize_block_q4_KIN3c104HalfEEvPKvPT_: ; @_ZL21dequantize_block_q4_KIN3c104HalfEEvPKvPT_
; %bb.0:
	s_load_b64 s[4:5], s[0:1], 0x0
	s_bfe_u32 s2, ttmp6, 0x4000c
	s_and_b32 s3, ttmp6, 15
	s_add_co_i32 s2, s2, 1
	s_getreg_b32 s6, hwreg(HW_REG_IB_STS2, 6, 4)
	s_mul_i32 s2, ttmp9, s2
	v_dual_lshrrev_b32 v1, 3, v0 :: v_dual_mov_b32 v3, 0
	s_add_co_i32 s2, s3, s2
	s_cmp_eq_u32 s6, 0
	s_mov_b32 s3, 0
	s_cselect_b32 s2, ttmp9, s2
	v_lshlrev_b32_e32 v2, 1, v1
	s_mul_u64 s[6:7], s[2:3], 0x90
	v_cmp_lt_u32_e32 vcc_lo, 15, v0
                                        ; implicit-def: $vgpr5
                                        ; implicit-def: $vgpr4
	s_wait_kmcnt 0x0
	s_add_nc_u64 s[4:5], s[4:5], s[6:7]
	s_delay_alu instid0(SALU_CYCLE_1) | instskip(SKIP_1) | instid1(SALU_CYCLE_1)
	v_add_nc_u64_e32 v[2:3], s[4:5], v[2:3]
	s_and_saveexec_b32 s3, vcc_lo
	s_xor_b32 s3, exec_lo, s3
	s_cbranch_execz .LBB26_2
; %bb.1:
	s_clause 0x2
	global_load_u8 v4, v[2:3], off offset:8
	global_load_u8 v5, v[2:3], off
	global_load_u8 v6, v[2:3], off offset:4
	s_wait_loadcnt 0x2
	v_and_b32_e32 v7, 15, v4
	s_wait_loadcnt 0x1
	v_lshrrev_b16 v5, 2, v5
	v_lshrrev_b16 v8, 4, v4
	s_wait_loadcnt 0x0
	v_lshrrev_b16 v6, 2, v6
	s_delay_alu instid0(VALU_DEP_3) | instskip(NEXT) | instid1(VALU_DEP_2)
	v_bitop3_b16 v4, v5, v7, 48 bitop3:0xec
	v_bitop3_b16 v5, v6, v8, 48 bitop3:0xec
.LBB26_2:
	s_and_not1_saveexec_b32 s3, s3
	s_cbranch_execz .LBB26_4
; %bb.3:
	s_clause 0x1
	global_load_u8 v4, v[2:3], off offset:4
	global_load_u8 v5, v[2:3], off offset:8
	s_wait_loadcnt 0x1
	v_and_b32_e32 v4, 63, v4
	s_wait_loadcnt 0x0
	v_and_b32_e32 v5, 63, v5
.LBB26_4:
	s_or_b32 exec_lo, exec_lo, s3
	s_load_b32 s3, s[4:5], 0x0
                                        ; implicit-def: $vgpr6
                                        ; implicit-def: $vgpr7
	s_and_saveexec_b32 s6, vcc_lo
	s_delay_alu instid0(SALU_CYCLE_1)
	s_xor_b32 s6, exec_lo, s6
	s_cbranch_execz .LBB26_6
; %bb.5:
	s_clause 0x2
	global_load_u8 v6, v[2:3], off offset:9
	global_load_u8 v7, v[2:3], off offset:1
	;; [unrolled: 1-line block ×3, first 2 shown]
	s_wait_loadcnt 0x2
	s_wait_xcnt 0x0
	v_and_b32_e32 v2, 15, v6
	s_wait_loadcnt 0x1
	v_lshrrev_b16 v3, 2, v7
	v_lshrrev_b16 v6, 4, v6
	s_wait_loadcnt 0x0
	v_lshrrev_b16 v8, 2, v8
	s_delay_alu instid0(VALU_DEP_3) | instskip(NEXT) | instid1(VALU_DEP_2)
	v_bitop3_b16 v7, v3, v2, 48 bitop3:0xec
                                        ; implicit-def: $vgpr2_vgpr3
	v_bitop3_b16 v6, v8, v6, 48 bitop3:0xec
.LBB26_6:
	s_or_saveexec_b32 s6, s6
	s_load_b64 s[0:1], s[0:1], 0x8
	s_xor_b32 exec_lo, exec_lo, s6
	s_cbranch_execz .LBB26_8
; %bb.7:
	s_clause 0x1
	global_load_u8 v6, v[2:3], off offset:5
	global_load_u8 v8, v[2:3], off offset:9
	s_wait_loadcnt 0x1
	v_and_b32_e32 v7, 63, v6
	s_wait_loadcnt 0x0
	v_and_b32_e32 v6, 63, v8
.LBB26_8:
	s_or_b32 exec_lo, exec_lo, s6
	v_dual_mov_b32 v3, 0 :: v_dual_lshlrev_b32 v2, 5, v1
	v_lshlrev_b32_e32 v0, 2, v0
	v_and_b32_e32 v5, 0xff, v5
	v_and_b32_e32 v4, 0xff, v4
	;; [unrolled: 1-line block ×3, first 2 shown]
	v_add_nc_u64_e32 v[8:9], s[4:5], v[2:3]
	v_dual_lshlrev_b32 v0, 7, v1 :: v_dual_bitop2_b32 v2, 28, v0 bitop3:0x40
	s_wait_xcnt 0x0
	s_mov_b32 s5, 0
	s_lshl_b32 s4, s2, 8
	v_and_b32_e32 v6, 0xff, v6
	v_mov_b32_e32 v1, v3
	v_add_nc_u64_e32 v[8:9], v[8:9], v[2:3]
	s_lshl_b64 s[4:5], s[4:5], 1
	v_cvt_f16_u16_e32 v5, v5
	s_wait_kmcnt 0x0
	s_add_nc_u64 s[0:1], s[0:1], s[4:5]
	v_cvt_f16_u16_e32 v4, v4
	v_cvt_f16_u16_e32 v7, v7
	;; [unrolled: 1-line block ×3, first 2 shown]
	global_load_b32 v8, v[8:9], off offset:16
	v_add_nc_u64_e32 v[0:1], s[0:1], v[0:1]
	s_lshr_b32 s6, s3, 16
	v_mul_f16_e32 v4, s3, v4
	v_mul_f16_e32 v5, s6, v5
	;; [unrolled: 1-line block ×4, first 2 shown]
	v_lshlrev_b32_e32 v2, 1, v2
	s_delay_alu instid0(VALU_DEP_1)
	v_add_nc_u64_e32 v[0:1], v[0:1], v[2:3]
	s_wait_loadcnt 0x0
	v_dual_lshrrev_b32 v9, 16, v8 :: v_dual_lshrrev_b32 v10, 8, v8
	v_dual_lshrrev_b32 v11, 24, v8 :: v_dual_bitop2_b32 v12, 15, v8 bitop3:0x40
	v_dual_lshrrev_b32 v13, 20, v8 :: v_dual_lshrrev_b32 v14, 28, v8
	v_lshrrev_b16 v15, 4, v8
	s_delay_alu instid0(VALU_DEP_4)
	v_and_b32_e32 v10, 15, v10
	v_and_b32_e32 v9, 15, v9
	;; [unrolled: 1-line block ×3, first 2 shown]
	v_lshrrev_b16 v8, 12, v8
	v_and_b32_e32 v13, 15, v13
	v_and_b32_e32 v15, 15, v15
	v_cvt_f16_u16_e32 v12, v12
	v_cvt_f16_u16_e32 v10, v10
	;; [unrolled: 1-line block ×8, first 2 shown]
	v_pack_b32_f16 v10, v12, v10
	v_pack_b32_f16 v9, v9, v11
	s_delay_alu instid0(VALU_DEP_4) | instskip(NEXT) | instid1(VALU_DEP_4)
	v_pack_b32_f16 v11, v13, v14
	v_pack_b32_f16 v8, v15, v8
	s_delay_alu instid0(VALU_DEP_4) | instskip(NEXT) | instid1(VALU_DEP_4)
	v_pk_fma_f16 v2, v4, v10, v5 op_sel_hi:[0,1,0] neg_lo:[0,0,1] neg_hi:[0,0,1]
	v_pk_fma_f16 v3, v4, v9, v5 op_sel_hi:[0,1,0] neg_lo:[0,0,1] neg_hi:[0,0,1]
	s_delay_alu instid0(VALU_DEP_4) | instskip(NEXT) | instid1(VALU_DEP_4)
	v_pk_fma_f16 v5, v7, v11, v6 op_sel_hi:[0,1,0] neg_lo:[0,0,1] neg_hi:[0,0,1]
	v_pk_fma_f16 v4, v7, v8, v6 op_sel_hi:[0,1,0] neg_lo:[0,0,1] neg_hi:[0,0,1]
	s_clause 0x1
	global_store_b64 v[0:1], v[2:3], off
	global_store_b64 v[0:1], v[4:5], off offset:64
	s_endpgm
	.section	.rodata,"a",@progbits
	.p2align	6, 0x0
	.amdhsa_kernel _ZL21dequantize_block_q4_KIN3c104HalfEEvPKvPT_
		.amdhsa_group_segment_fixed_size 0
		.amdhsa_private_segment_fixed_size 0
		.amdhsa_kernarg_size 16
		.amdhsa_user_sgpr_count 2
		.amdhsa_user_sgpr_dispatch_ptr 0
		.amdhsa_user_sgpr_queue_ptr 0
		.amdhsa_user_sgpr_kernarg_segment_ptr 1
		.amdhsa_user_sgpr_dispatch_id 0
		.amdhsa_user_sgpr_kernarg_preload_length 0
		.amdhsa_user_sgpr_kernarg_preload_offset 0
		.amdhsa_user_sgpr_private_segment_size 0
		.amdhsa_wavefront_size32 1
		.amdhsa_uses_dynamic_stack 0
		.amdhsa_enable_private_segment 0
		.amdhsa_system_sgpr_workgroup_id_x 1
		.amdhsa_system_sgpr_workgroup_id_y 0
		.amdhsa_system_sgpr_workgroup_id_z 0
		.amdhsa_system_sgpr_workgroup_info 0
		.amdhsa_system_vgpr_workitem_id 0
		.amdhsa_next_free_vgpr 16
		.amdhsa_next_free_sgpr 8
		.amdhsa_named_barrier_count 0
		.amdhsa_reserve_vcc 1
		.amdhsa_float_round_mode_32 0
		.amdhsa_float_round_mode_16_64 0
		.amdhsa_float_denorm_mode_32 3
		.amdhsa_float_denorm_mode_16_64 3
		.amdhsa_fp16_overflow 0
		.amdhsa_memory_ordered 1
		.amdhsa_forward_progress 1
		.amdhsa_inst_pref_size 7
		.amdhsa_round_robin_scheduling 0
		.amdhsa_exception_fp_ieee_invalid_op 0
		.amdhsa_exception_fp_denorm_src 0
		.amdhsa_exception_fp_ieee_div_zero 0
		.amdhsa_exception_fp_ieee_overflow 0
		.amdhsa_exception_fp_ieee_underflow 0
		.amdhsa_exception_fp_ieee_inexact 0
		.amdhsa_exception_int_div_zero 0
	.end_amdhsa_kernel
	.section	.text._ZL21dequantize_block_q4_KIN3c104HalfEEvPKvPT_,"axG",@progbits,_ZL21dequantize_block_q4_KIN3c104HalfEEvPKvPT_,comdat
.Lfunc_end26:
	.size	_ZL21dequantize_block_q4_KIN3c104HalfEEvPKvPT_, .Lfunc_end26-_ZL21dequantize_block_q4_KIN3c104HalfEEvPKvPT_
                                        ; -- End function
	.set _ZL21dequantize_block_q4_KIN3c104HalfEEvPKvPT_.num_vgpr, 16
	.set _ZL21dequantize_block_q4_KIN3c104HalfEEvPKvPT_.num_agpr, 0
	.set _ZL21dequantize_block_q4_KIN3c104HalfEEvPKvPT_.numbered_sgpr, 8
	.set _ZL21dequantize_block_q4_KIN3c104HalfEEvPKvPT_.num_named_barrier, 0
	.set _ZL21dequantize_block_q4_KIN3c104HalfEEvPKvPT_.private_seg_size, 0
	.set _ZL21dequantize_block_q4_KIN3c104HalfEEvPKvPT_.uses_vcc, 1
	.set _ZL21dequantize_block_q4_KIN3c104HalfEEvPKvPT_.uses_flat_scratch, 0
	.set _ZL21dequantize_block_q4_KIN3c104HalfEEvPKvPT_.has_dyn_sized_stack, 0
	.set _ZL21dequantize_block_q4_KIN3c104HalfEEvPKvPT_.has_recursion, 0
	.set _ZL21dequantize_block_q4_KIN3c104HalfEEvPKvPT_.has_indirect_call, 0
	.section	.AMDGPU.csdata,"",@progbits
; Kernel info:
; codeLenInByte = 832
; TotalNumSgprs: 10
; NumVgprs: 16
; ScratchSize: 0
; MemoryBound: 0
; FloatMode: 240
; IeeeMode: 1
; LDSByteSize: 0 bytes/workgroup (compile time only)
; SGPRBlocks: 0
; VGPRBlocks: 0
; NumSGPRsForWavesPerEU: 10
; NumVGPRsForWavesPerEU: 16
; NamedBarCnt: 0
; Occupancy: 16
; WaveLimiterHint : 0
; COMPUTE_PGM_RSRC2:SCRATCH_EN: 0
; COMPUTE_PGM_RSRC2:USER_SGPR: 2
; COMPUTE_PGM_RSRC2:TRAP_HANDLER: 0
; COMPUTE_PGM_RSRC2:TGID_X_EN: 1
; COMPUTE_PGM_RSRC2:TGID_Y_EN: 0
; COMPUTE_PGM_RSRC2:TGID_Z_EN: 0
; COMPUTE_PGM_RSRC2:TIDIG_COMP_CNT: 0
	.section	.text._ZL21dequantize_block_q5_KIN3c104HalfEEvPKvPT_,"axG",@progbits,_ZL21dequantize_block_q5_KIN3c104HalfEEvPKvPT_,comdat
	.globl	_ZL21dequantize_block_q5_KIN3c104HalfEEvPKvPT_ ; -- Begin function _ZL21dequantize_block_q5_KIN3c104HalfEEvPKvPT_
	.p2align	8
	.type	_ZL21dequantize_block_q5_KIN3c104HalfEEvPKvPT_,@function
_ZL21dequantize_block_q5_KIN3c104HalfEEvPKvPT_: ; @_ZL21dequantize_block_q5_KIN3c104HalfEEvPKvPT_
; %bb.0:
	s_load_b64 s[4:5], s[0:1], 0x0
	s_bfe_u32 s2, ttmp6, 0x4000c
	s_and_b32 s3, ttmp6, 15
	s_add_co_i32 s2, s2, 1
	s_getreg_b32 s6, hwreg(HW_REG_IB_STS2, 6, 4)
	s_mul_i32 s2, ttmp9, s2
	v_dual_lshrrev_b32 v1, 4, v0 :: v_dual_mov_b32 v3, 0
	s_add_co_i32 s2, s3, s2
	s_cmp_eq_u32 s6, 0
	s_mov_b32 s3, 0
	s_cselect_b32 s2, ttmp9, s2
	v_lshlrev_b32_e32 v2, 1, v1
	s_mul_u64 s[6:7], s[2:3], 0xb0
	v_cmp_lt_u32_e32 vcc_lo, 31, v0
                                        ; implicit-def: $vgpr6
	s_wait_kmcnt 0x0
	s_add_nc_u64 s[4:5], s[4:5], s[6:7]
	s_delay_alu instid0(SALU_CYCLE_1) | instskip(SKIP_1) | instid1(SALU_CYCLE_1)
	v_add_nc_u64_e32 v[4:5], s[4:5], v[2:3]
                                        ; implicit-def: $vgpr3
	s_and_saveexec_b32 s3, vcc_lo
	s_xor_b32 s3, exec_lo, s3
	s_cbranch_execz .LBB27_2
; %bb.1:
	s_clause 0x2
	global_load_u8 v3, v[4:5], off offset:8
	global_load_u8 v6, v[4:5], off
	global_load_u8 v7, v[4:5], off offset:4
	s_wait_loadcnt 0x2
	v_and_b32_e32 v8, 15, v3
	s_wait_loadcnt 0x1
	v_lshrrev_b16 v6, 2, v6
	v_lshrrev_b16 v9, 4, v3
	s_wait_loadcnt 0x0
	v_lshrrev_b16 v7, 2, v7
	s_delay_alu instid0(VALU_DEP_3) | instskip(NEXT) | instid1(VALU_DEP_2)
	v_bitop3_b16 v3, v6, v8, 48 bitop3:0xec
	v_bitop3_b16 v6, v7, v9, 48 bitop3:0xec
.LBB27_2:
	s_and_not1_saveexec_b32 s3, s3
	s_cbranch_execz .LBB27_4
; %bb.3:
	s_clause 0x1
	global_load_u8 v3, v[4:5], off offset:4
	global_load_u8 v6, v[4:5], off offset:8
	s_wait_loadcnt 0x1
	v_and_b32_e32 v3, 63, v3
	s_wait_loadcnt 0x0
	v_and_b32_e32 v6, 63, v6
.LBB27_4:
	s_or_b32 exec_lo, exec_lo, s3
	s_load_b32 s3, s[4:5], 0x0
                                        ; implicit-def: $vgpr8
                                        ; implicit-def: $vgpr7
	s_and_saveexec_b32 s6, vcc_lo
	s_delay_alu instid0(SALU_CYCLE_1)
	s_xor_b32 s6, exec_lo, s6
	s_cbranch_execz .LBB27_6
; %bb.5:
	s_clause 0x2
	global_load_u8 v7, v[4:5], off offset:9
	global_load_u8 v8, v[4:5], off offset:1
	;; [unrolled: 1-line block ×3, first 2 shown]
	s_wait_loadcnt 0x2
	s_wait_xcnt 0x0
	v_and_b32_e32 v4, 15, v7
	s_wait_loadcnt 0x1
	v_lshrrev_b16 v5, 2, v8
	v_lshrrev_b16 v8, 4, v7
	s_wait_loadcnt 0x0
	v_lshrrev_b16 v9, 2, v9
	s_delay_alu instid0(VALU_DEP_3) | instskip(NEXT) | instid1(VALU_DEP_2)
	v_bitop3_b16 v7, v5, v4, 48 bitop3:0xec
                                        ; implicit-def: $vgpr4_vgpr5
	v_bitop3_b16 v8, v9, v8, 48 bitop3:0xec
.LBB27_6:
	s_or_saveexec_b32 s6, s6
	s_load_b64 s[0:1], s[0:1], 0x8
	s_xor_b32 exec_lo, exec_lo, s6
	s_cbranch_execz .LBB27_8
; %bb.7:
	s_clause 0x1
	global_load_u8 v7, v[4:5], off offset:5
	global_load_u8 v8, v[4:5], off offset:9
	s_wait_loadcnt 0x1
	v_and_b32_e32 v7, 63, v7
	s_wait_loadcnt 0x0
	v_and_b32_e32 v8, 63, v8
.LBB27_8:
	s_or_b32 exec_lo, exec_lo, s6
	v_dual_mov_b32 v5, 0 :: v_dual_lshlrev_b32 v10, 5, v1
	v_and_b32_e32 v6, 0xff, v6
	v_and_b32_e32 v3, 0xff, v3
	;; [unrolled: 1-line block ×3, first 2 shown]
	s_delay_alu instid0(VALU_DEP_4) | instskip(SKIP_3) | instid1(VALU_DEP_4)
	v_dual_mov_b32 v11, v5 :: v_dual_lshlrev_b32 v0, 1, v0
	v_and_b32_e32 v8, 0xff, v8
	v_cvt_f16_u16_e32 v6, v6
	v_cvt_f16_u16_e32 v3, v3
	v_add_nc_u64_e32 v[10:11], s[4:5], v[10:11]
	v_dual_lshlrev_b32 v0, 7, v1 :: v_dual_bitop2_b32 v4, 30, v0 bitop3:0x40
	v_cvt_f16_u16_e32 v7, v7
	v_cvt_f16_u16_e32 v8, v8
	s_wait_kmcnt 0x0
	s_lshr_b32 s6, s3, 16
	v_mul_f16_e32 v3, s3, v3
	v_add_nc_u64_e32 v[10:11], v[10:11], v[4:5]
	v_mul_f16_e32 v6, s6, v6
	v_mul_f16_e32 v7, s3, v7
	;; [unrolled: 1-line block ×3, first 2 shown]
	s_clause 0x1
	global_load_u16 v9, v[10:11], off offset:48
	global_load_u16 v12, v4, s[4:5] offset:16
	s_wait_xcnt 0x1
	v_lshlrev_b32_e64 v10, v2, 1
	v_lshlrev_b32_e64 v2, v2, 2
	v_mov_b32_e32 v1, v5
	s_wait_xcnt 0x0
	s_mov_b32 s5, 0
	s_lshl_b32 s4, s2, 8
	v_lshlrev_b32_e32 v4, 1, v4
	s_lshl_b64 s[4:5], s[4:5], 1
	s_delay_alu instid0(SALU_CYCLE_1)
	s_add_nc_u64 s[0:1], s[0:1], s[4:5]
	s_wait_loadcnt 0x1
	v_lshrrev_b16 v11, 8, v9
	s_wait_loadcnt 0x0
	v_lshrrev_b16 v14, 8, v12
	v_and_b32_e32 v12, 0xff, v12
	v_lshrrev_b16 v15, 4, v9
	v_and_b32_e32 v13, 15, v9
	v_and_b32_e32 v11, 15, v11
	;; [unrolled: 1-line block ×5, first 2 shown]
	v_lshrrev_b16 v9, 12, v9
	v_and_b32_e32 v15, 15, v15
	v_and_b32_e32 v10, v10, v14
	v_cmp_eq_u32_e32 vcc_lo, 0, v16
	v_and_b32_e32 v2, v2, v14
	v_and_b32_e32 v13, 0xffff, v13
	;; [unrolled: 1-line block ×4, first 2 shown]
	v_cndmask_b32_e64 v16, 16, 0, vcc_lo
	v_cmp_eq_u32_e32 vcc_lo, 0, v12
	v_and_b32_e32 v15, 0xffff, v15
	v_add_nc_u64_e32 v[0:1], s[0:1], v[0:1]
	s_delay_alu instid0(VALU_DEP_4) | instskip(SKIP_2) | instid1(VALU_DEP_4)
	v_or_b32_e32 v13, v16, v13
	v_cndmask_b32_e64 v12, 16, 0, vcc_lo
	v_cmp_eq_u32_e32 vcc_lo, 0, v10
	v_add_nc_u64_e32 v[0:1], v[0:1], v[4:5]
	s_delay_alu instid0(VALU_DEP_3) | instskip(SKIP_2) | instid1(VALU_DEP_2)
	v_or_b32_e32 v12, v12, v15
	v_cndmask_b32_e64 v10, 16, 0, vcc_lo
	v_cmp_eq_u32_e32 vcc_lo, 0, v2
	v_or_b32_e32 v10, v10, v11
	v_cndmask_b32_e64 v2, 16, 0, vcc_lo
	v_cvt_f32_ubyte0_e32 v11, v12
	s_delay_alu instid0(VALU_DEP_3) | instskip(NEXT) | instid1(VALU_DEP_3)
	v_cvt_f32_ubyte0_e32 v10, v10
	v_or_b32_e32 v2, v2, v9
	v_cvt_f32_ubyte0_e32 v9, v13
	s_delay_alu instid0(VALU_DEP_2) | instskip(NEXT) | instid1(VALU_DEP_2)
	v_cvt_f32_ubyte0_e32 v2, v2
	v_cvt_pk_f16_f32 v9, v9, v10
	s_delay_alu instid0(VALU_DEP_2) | instskip(NEXT) | instid1(VALU_DEP_2)
	v_cvt_pk_f16_f32 v2, v11, v2
	v_pk_fma_f16 v3, v3, v9, v6 op_sel_hi:[0,1,0] neg_lo:[0,0,1] neg_hi:[0,0,1]
	s_delay_alu instid0(VALU_DEP_2)
	v_pk_fma_f16 v2, v7, v2, v8 op_sel_hi:[0,1,0] neg_lo:[0,0,1] neg_hi:[0,0,1]
	s_clause 0x1
	global_store_b32 v[0:1], v3, off
	global_store_b32 v[0:1], v2, off offset:64
	s_endpgm
	.section	.rodata,"a",@progbits
	.p2align	6, 0x0
	.amdhsa_kernel _ZL21dequantize_block_q5_KIN3c104HalfEEvPKvPT_
		.amdhsa_group_segment_fixed_size 0
		.amdhsa_private_segment_fixed_size 0
		.amdhsa_kernarg_size 16
		.amdhsa_user_sgpr_count 2
		.amdhsa_user_sgpr_dispatch_ptr 0
		.amdhsa_user_sgpr_queue_ptr 0
		.amdhsa_user_sgpr_kernarg_segment_ptr 1
		.amdhsa_user_sgpr_dispatch_id 0
		.amdhsa_user_sgpr_kernarg_preload_length 0
		.amdhsa_user_sgpr_kernarg_preload_offset 0
		.amdhsa_user_sgpr_private_segment_size 0
		.amdhsa_wavefront_size32 1
		.amdhsa_uses_dynamic_stack 0
		.amdhsa_enable_private_segment 0
		.amdhsa_system_sgpr_workgroup_id_x 1
		.amdhsa_system_sgpr_workgroup_id_y 0
		.amdhsa_system_sgpr_workgroup_id_z 0
		.amdhsa_system_sgpr_workgroup_info 0
		.amdhsa_system_vgpr_workitem_id 0
		.amdhsa_next_free_vgpr 17
		.amdhsa_next_free_sgpr 8
		.amdhsa_named_barrier_count 0
		.amdhsa_reserve_vcc 1
		.amdhsa_float_round_mode_32 0
		.amdhsa_float_round_mode_16_64 0
		.amdhsa_float_denorm_mode_32 3
		.amdhsa_float_denorm_mode_16_64 3
		.amdhsa_fp16_overflow 0
		.amdhsa_memory_ordered 1
		.amdhsa_forward_progress 1
		.amdhsa_inst_pref_size 8
		.amdhsa_round_robin_scheduling 0
		.amdhsa_exception_fp_ieee_invalid_op 0
		.amdhsa_exception_fp_denorm_src 0
		.amdhsa_exception_fp_ieee_div_zero 0
		.amdhsa_exception_fp_ieee_overflow 0
		.amdhsa_exception_fp_ieee_underflow 0
		.amdhsa_exception_fp_ieee_inexact 0
		.amdhsa_exception_int_div_zero 0
	.end_amdhsa_kernel
	.section	.text._ZL21dequantize_block_q5_KIN3c104HalfEEvPKvPT_,"axG",@progbits,_ZL21dequantize_block_q5_KIN3c104HalfEEvPKvPT_,comdat
.Lfunc_end27:
	.size	_ZL21dequantize_block_q5_KIN3c104HalfEEvPKvPT_, .Lfunc_end27-_ZL21dequantize_block_q5_KIN3c104HalfEEvPKvPT_
                                        ; -- End function
	.set _ZL21dequantize_block_q5_KIN3c104HalfEEvPKvPT_.num_vgpr, 17
	.set _ZL21dequantize_block_q5_KIN3c104HalfEEvPKvPT_.num_agpr, 0
	.set _ZL21dequantize_block_q5_KIN3c104HalfEEvPKvPT_.numbered_sgpr, 8
	.set _ZL21dequantize_block_q5_KIN3c104HalfEEvPKvPT_.num_named_barrier, 0
	.set _ZL21dequantize_block_q5_KIN3c104HalfEEvPKvPT_.private_seg_size, 0
	.set _ZL21dequantize_block_q5_KIN3c104HalfEEvPKvPT_.uses_vcc, 1
	.set _ZL21dequantize_block_q5_KIN3c104HalfEEvPKvPT_.uses_flat_scratch, 0
	.set _ZL21dequantize_block_q5_KIN3c104HalfEEvPKvPT_.has_dyn_sized_stack, 0
	.set _ZL21dequantize_block_q5_KIN3c104HalfEEvPKvPT_.has_recursion, 0
	.set _ZL21dequantize_block_q5_KIN3c104HalfEEvPKvPT_.has_indirect_call, 0
	.section	.AMDGPU.csdata,"",@progbits
; Kernel info:
; codeLenInByte = 940
; TotalNumSgprs: 10
; NumVgprs: 17
; ScratchSize: 0
; MemoryBound: 0
; FloatMode: 240
; IeeeMode: 1
; LDSByteSize: 0 bytes/workgroup (compile time only)
; SGPRBlocks: 0
; VGPRBlocks: 1
; NumSGPRsForWavesPerEU: 10
; NumVGPRsForWavesPerEU: 17
; NamedBarCnt: 0
; Occupancy: 16
; WaveLimiterHint : 0
; COMPUTE_PGM_RSRC2:SCRATCH_EN: 0
; COMPUTE_PGM_RSRC2:USER_SGPR: 2
; COMPUTE_PGM_RSRC2:TRAP_HANDLER: 0
; COMPUTE_PGM_RSRC2:TGID_X_EN: 1
; COMPUTE_PGM_RSRC2:TGID_Y_EN: 0
; COMPUTE_PGM_RSRC2:TGID_Z_EN: 0
; COMPUTE_PGM_RSRC2:TIDIG_COMP_CNT: 0
	.section	.text._ZL21dequantize_block_q6_KIN3c104HalfEEvPKvPT_,"axG",@progbits,_ZL21dequantize_block_q6_KIN3c104HalfEEvPKvPT_,comdat
	.globl	_ZL21dequantize_block_q6_KIN3c104HalfEEvPKvPT_ ; -- Begin function _ZL21dequantize_block_q6_KIN3c104HalfEEvPKvPT_
	.p2align	8
	.type	_ZL21dequantize_block_q6_KIN3c104HalfEEvPKvPT_,@function
_ZL21dequantize_block_q6_KIN3c104HalfEEvPKvPT_: ; @_ZL21dequantize_block_q6_KIN3c104HalfEEvPKvPT_
; %bb.0:
	s_load_b128 s[0:3], s[0:1], 0x0
	s_bfe_u32 s4, ttmp6, 0x4000c
	s_and_b32 s5, ttmp6, 15
	s_add_co_i32 s4, s4, 1
	s_getreg_b32 s6, hwreg(HW_REG_IB_STS2, 6, 4)
	s_mul_i32 s4, ttmp9, s4
	v_dual_lshrrev_b32 v1, 5, v0 :: v_dual_mov_b32 v3, 0
	s_add_co_i32 s4, s5, s4
	s_cmp_eq_u32 s6, 0
	s_mov_b32 s5, 0
	s_cselect_b32 s6, ttmp9, s4
	v_dual_lshlrev_b32 v2, 8, v1 :: v_dual_bitop2_b32 v4, 31, v0 bitop3:0x40
	s_lshl_b32 s4, s6, 8
	s_mov_b32 s7, s5
	s_lshl_b64 s[8:9], s[4:5], 1
	v_mov_b32_e32 v5, v3
	s_wait_kmcnt 0x0
	s_add_nc_u64 s[2:3], s[2:3], s[8:9]
	s_delay_alu instid0(SALU_CYCLE_1) | instskip(SKIP_2) | instid1(SALU_CYCLE_1)
	v_add_nc_u64_e32 v[6:7], s[2:3], v[2:3]
	v_lshlrev_b32_e32 v2, 1, v4
	s_mul_u64 s[2:3], s[6:7], 0xd2
	s_add_nc_u64 s[0:1], s[0:1], s[2:3]
	s_delay_alu instid0(VALU_DEP_1) | instskip(SKIP_1) | instid1(VALU_DEP_1)
	v_add_nc_u64_e32 v[6:7], v[6:7], v[2:3]
	v_lshlrev_b32_e32 v2, 6, v1
	v_add_nc_u64_e32 v[8:9], s[0:1], v[2:3]
	s_delay_alu instid0(VALU_DEP_1)
	v_add_nc_u64_e32 v[4:5], v[8:9], v[4:5]
	s_clause 0x2
	global_load_u8 v2, v0, s[0:1] offset:128
	global_load_u8 v8, v[4:5], off
	global_load_u8 v9, v[4:5], off offset:32
	s_wait_xcnt 0x2
	v_bfe_u32 v0, v0, 4, 1
	s_delay_alu instid0(VALU_DEP_1)
	v_lshl_or_b32 v0, v1, 3, v0
	s_clause 0x4
	global_load_i8 v1, v0, s[0:1] offset:192
	global_load_i8 v4, v0, s[0:1] offset:194
	;; [unrolled: 1-line block ×4, first 2 shown]
	global_load_u16 v11, v3, s[0:1] offset:208
	s_wait_loadcnt 0x7
	s_wait_xcnt 0x1
	v_lshlrev_b16 v0, 4, v2
	s_wait_xcnt 0x0
	v_lshlrev_b16 v3, 2, v2
	s_wait_loadcnt 0x6
	v_lshrrev_b16 v13, 4, v8
	v_lshrrev_b16 v12, 2, v2
	s_wait_loadcnt 0x5
	v_lshrrev_b16 v14, 4, v9
	v_and_b32_e32 v0, 48, v0
	v_and_b32_e32 v3, 48, v3
	v_bitop3_b16 v2, v13, v2, 48 bitop3:0xf8
	s_delay_alu instid0(VALU_DEP_3) | instskip(NEXT) | instid1(VALU_DEP_3)
	v_bitop3_b16 v0, v8, v0, 15 bitop3:0xec
	v_bitop3_b16 v3, v9, v3, 15 bitop3:0xec
	;; [unrolled: 1-line block ×3, first 2 shown]
	s_delay_alu instid0(VALU_DEP_4) | instskip(NEXT) | instid1(VALU_DEP_4)
	v_and_b32_e32 v2, 0xffff, v2
	v_and_b32_e32 v0, 0xffff, v0
	s_delay_alu instid0(VALU_DEP_4) | instskip(NEXT) | instid1(VALU_DEP_4)
	v_and_b32_e32 v3, 0xffff, v3
	v_and_b32_e32 v8, 0xffff, v8
	s_delay_alu instid0(VALU_DEP_4) | instskip(NEXT) | instid1(VALU_DEP_4)
	v_subrev_nc_u32_e32 v2, 32, v2
	v_subrev_nc_u32_e32 v0, 32, v0
	s_delay_alu instid0(VALU_DEP_4) | instskip(NEXT) | instid1(VALU_DEP_4)
	v_subrev_nc_u32_e32 v3, 32, v3
	v_subrev_nc_u32_e32 v8, 32, v8
	s_wait_loadcnt 0x2
	v_mul_i32_i24_e32 v2, v2, v5
	v_mul_i32_i24_e32 v0, v0, v1
	;; [unrolled: 1-line block ×3, first 2 shown]
	s_wait_loadcnt 0x1
	v_mul_i32_i24_e32 v3, v8, v10
	v_cvt_f32_i32_e32 v2, v2
	v_cvt_f32_i32_e32 v0, v0
	v_cvt_f32_i32_e32 v1, v1
	s_delay_alu instid0(VALU_DEP_4) | instskip(NEXT) | instid1(VALU_DEP_4)
	v_cvt_f32_i32_e32 v3, v3
	v_cvt_f16_f32_e32 v2, v2
	s_delay_alu instid0(VALU_DEP_4) | instskip(NEXT) | instid1(VALU_DEP_4)
	v_cvt_f16_f32_e32 v0, v0
	v_cvt_f16_f32_e32 v1, v1
	s_delay_alu instid0(VALU_DEP_4)
	v_cvt_f16_f32_e32 v3, v3
	s_wait_loadcnt 0x0
	v_mul_f16_e32 v2, v11, v2
	v_mul_f16_e32 v0, v11, v0
	;; [unrolled: 1-line block ×4, first 2 shown]
	s_clause 0x3
	global_store_b16 v[6:7], v0, off
	global_store_b16 v[6:7], v1, off offset:64
	global_store_b16 v[6:7], v2, off offset:128
	global_store_b16 v[6:7], v3, off offset:192
	s_endpgm
	.section	.rodata,"a",@progbits
	.p2align	6, 0x0
	.amdhsa_kernel _ZL21dequantize_block_q6_KIN3c104HalfEEvPKvPT_
		.amdhsa_group_segment_fixed_size 0
		.amdhsa_private_segment_fixed_size 0
		.amdhsa_kernarg_size 16
		.amdhsa_user_sgpr_count 2
		.amdhsa_user_sgpr_dispatch_ptr 0
		.amdhsa_user_sgpr_queue_ptr 0
		.amdhsa_user_sgpr_kernarg_segment_ptr 1
		.amdhsa_user_sgpr_dispatch_id 0
		.amdhsa_user_sgpr_kernarg_preload_length 0
		.amdhsa_user_sgpr_kernarg_preload_offset 0
		.amdhsa_user_sgpr_private_segment_size 0
		.amdhsa_wavefront_size32 1
		.amdhsa_uses_dynamic_stack 0
		.amdhsa_enable_private_segment 0
		.amdhsa_system_sgpr_workgroup_id_x 1
		.amdhsa_system_sgpr_workgroup_id_y 0
		.amdhsa_system_sgpr_workgroup_id_z 0
		.amdhsa_system_sgpr_workgroup_info 0
		.amdhsa_system_vgpr_workitem_id 0
		.amdhsa_next_free_vgpr 15
		.amdhsa_next_free_sgpr 10
		.amdhsa_named_barrier_count 0
		.amdhsa_reserve_vcc 0
		.amdhsa_float_round_mode_32 0
		.amdhsa_float_round_mode_16_64 0
		.amdhsa_float_denorm_mode_32 3
		.amdhsa_float_denorm_mode_16_64 3
		.amdhsa_fp16_overflow 0
		.amdhsa_memory_ordered 1
		.amdhsa_forward_progress 1
		.amdhsa_inst_pref_size 5
		.amdhsa_round_robin_scheduling 0
		.amdhsa_exception_fp_ieee_invalid_op 0
		.amdhsa_exception_fp_denorm_src 0
		.amdhsa_exception_fp_ieee_div_zero 0
		.amdhsa_exception_fp_ieee_overflow 0
		.amdhsa_exception_fp_ieee_underflow 0
		.amdhsa_exception_fp_ieee_inexact 0
		.amdhsa_exception_int_div_zero 0
	.end_amdhsa_kernel
	.section	.text._ZL21dequantize_block_q6_KIN3c104HalfEEvPKvPT_,"axG",@progbits,_ZL21dequantize_block_q6_KIN3c104HalfEEvPKvPT_,comdat
.Lfunc_end28:
	.size	_ZL21dequantize_block_q6_KIN3c104HalfEEvPKvPT_, .Lfunc_end28-_ZL21dequantize_block_q6_KIN3c104HalfEEvPKvPT_
                                        ; -- End function
	.set _ZL21dequantize_block_q6_KIN3c104HalfEEvPKvPT_.num_vgpr, 15
	.set _ZL21dequantize_block_q6_KIN3c104HalfEEvPKvPT_.num_agpr, 0
	.set _ZL21dequantize_block_q6_KIN3c104HalfEEvPKvPT_.numbered_sgpr, 10
	.set _ZL21dequantize_block_q6_KIN3c104HalfEEvPKvPT_.num_named_barrier, 0
	.set _ZL21dequantize_block_q6_KIN3c104HalfEEvPKvPT_.private_seg_size, 0
	.set _ZL21dequantize_block_q6_KIN3c104HalfEEvPKvPT_.uses_vcc, 0
	.set _ZL21dequantize_block_q6_KIN3c104HalfEEvPKvPT_.uses_flat_scratch, 0
	.set _ZL21dequantize_block_q6_KIN3c104HalfEEvPKvPT_.has_dyn_sized_stack, 0
	.set _ZL21dequantize_block_q6_KIN3c104HalfEEvPKvPT_.has_recursion, 0
	.set _ZL21dequantize_block_q6_KIN3c104HalfEEvPKvPT_.has_indirect_call, 0
	.section	.AMDGPU.csdata,"",@progbits
; Kernel info:
; codeLenInByte = 584
; TotalNumSgprs: 10
; NumVgprs: 15
; ScratchSize: 0
; MemoryBound: 0
; FloatMode: 240
; IeeeMode: 1
; LDSByteSize: 0 bytes/workgroup (compile time only)
; SGPRBlocks: 0
; VGPRBlocks: 0
; NumSGPRsForWavesPerEU: 10
; NumVGPRsForWavesPerEU: 15
; NamedBarCnt: 0
; Occupancy: 16
; WaveLimiterHint : 0
; COMPUTE_PGM_RSRC2:SCRATCH_EN: 0
; COMPUTE_PGM_RSRC2:USER_SGPR: 2
; COMPUTE_PGM_RSRC2:TRAP_HANDLER: 0
; COMPUTE_PGM_RSRC2:TGID_X_EN: 1
; COMPUTE_PGM_RSRC2:TGID_Y_EN: 0
; COMPUTE_PGM_RSRC2:TGID_Z_EN: 0
; COMPUTE_PGM_RSRC2:TIDIG_COMP_CNT: 0
	.section	.text._ZL24dequantize_block_iq2_xxsIN3c104HalfEEvPKvPT_,"axG",@progbits,_ZL24dequantize_block_iq2_xxsIN3c104HalfEEvPKvPT_,comdat
	.globl	_ZL24dequantize_block_iq2_xxsIN3c104HalfEEvPKvPT_ ; -- Begin function _ZL24dequantize_block_iq2_xxsIN3c104HalfEEvPKvPT_
	.p2align	8
	.type	_ZL24dequantize_block_iq2_xxsIN3c104HalfEEvPKvPT_,@function
_ZL24dequantize_block_iq2_xxsIN3c104HalfEEvPKvPT_: ; @_ZL24dequantize_block_iq2_xxsIN3c104HalfEEvPKvPT_
; %bb.0:
	s_load_b128 s[0:3], s[0:1], 0x0
	s_bfe_u32 s4, ttmp6, 0x4000c
	s_and_b32 s5, ttmp6, 15
	s_add_co_i32 s4, s4, 1
	s_getreg_b32 s6, hwreg(HW_REG_IB_STS2, 6, 4)
	s_mul_i32 s4, ttmp9, s4
	v_dual_mov_b32 v3, 0 :: v_dual_bitop2_b32 v1, 7, v0 bitop3:0x40
	s_add_co_i32 s4, s5, s4
	s_cmp_eq_u32 s6, 0
	s_mov_b32 s5, 0
	s_cselect_b32 s6, ttmp9, s4
	v_lshlrev_b32_e32 v2, 6, v1
	s_lshl_b32 s4, s6, 8
	v_and_b32_e32 v6, 0x3f8, v0
	s_lshl_b64 s[8:9], s[4:5], 1
	v_lshrrev_b32_e32 v0, 3, v0
	s_mov_b32 s7, s5
	s_wait_kmcnt 0x0
	s_add_nc_u64 s[2:3], s[2:3], s[8:9]
	s_delay_alu instid0(SALU_CYCLE_1) | instskip(SKIP_2) | instid1(SALU_CYCLE_1)
	v_add_nc_u64_e32 v[4:5], s[2:3], v[2:3]
	v_lshlrev_b32_e32 v2, 1, v6
	s_mul_u64 s[2:3], s[6:7], 0x42
	s_add_nc_u64 s[0:1], s[0:1], s[2:3]
	s_delay_alu instid0(VALU_DEP_1) | instskip(SKIP_1) | instid1(VALU_DEP_1)
	v_add_nc_u64_e32 v[4:5], v[4:5], v[2:3]
	v_dual_mov_b32 v1, v3 :: v_dual_lshlrev_b32 v2, 3, v1
	v_add_nc_u64_e32 v[6:7], s[0:1], v[2:3]
	global_load_b32 v2, v2, s[0:1] offset:6
	v_add_nc_u64_e32 v[6:7], v[6:7], v[0:1]
	v_mul_u32_u24_e32 v0, 7, v0
	s_clause 0x1
	global_load_u8 v1, v[6:7], off offset:2
	global_load_u16 v8, v3, s[0:1]
	s_wait_xcnt 0x0
	s_get_pc_i64 s[0:1]
	s_add_nc_u64 s[0:1], s[0:1], _ZL12ksigns_iq2xs@rel64+4
	s_wait_loadcnt 0x2
	v_bfe_u32 v3, v2, v0, 7
	v_lshrrev_b32_e32 v2, 28, v2
	global_load_i8 v6, v3, s[0:1]
	s_wait_xcnt 0x0
	s_get_pc_i64 s[0:1]
	s_add_nc_u64 s[0:1], s[0:1], _ZL11iq2xxs_grid@rel64+4
	v_cvt_f32_ubyte0_e32 v2, v2
	s_delay_alu instid0(VALU_DEP_1)
	v_add_f32_e32 v2, 0.5, v2
	s_wait_loadcnt 0x2
	global_load_b64 v[0:1], v1, s[0:1] scale_offset
	s_wait_loadcnt 0x2
	v_cvt_f32_f16_e32 v7, v8
	s_wait_loadcnt 0x1
	s_delay_alu instid0(VALU_DEP_1) | instskip(NEXT) | instid1(VALU_DEP_1)
	v_dual_mul_f32 v2, v2, v7 :: v_dual_bitop2_b32 v8, 2, v6 bitop3:0x40
	v_mul_f32_e32 v2, 0x3e800000, v2
	v_and_b32_e32 v7, 1, v6
	s_delay_alu instid0(VALU_DEP_1)
	v_cmp_eq_u16_e32 vcc_lo, 0, v7
	s_wait_loadcnt 0x0
	v_cvt_f32_ubyte0_e32 v13, v0
	v_and_b32_e32 v9, 4, v6
	v_cvt_f32_ubyte2_e32 v15, v0
	v_and_b32_e32 v10, 8, v6
	v_cvt_f32_ubyte1_e32 v14, v0
	v_mul_f32_e32 v13, v2, v13
	v_cvt_f32_ubyte3_e32 v0, v0
	v_dual_mul_f32 v15, v2, v15 :: v_dual_bitop2_b32 v11, 16, v6 bitop3:0x40
	v_cvt_f32_ubyte0_e32 v16, v1
	s_delay_alu instid0(VALU_DEP_4)
	v_cndmask_b32_e64 v7, -v13, v13, vcc_lo
	v_cmp_eq_u16_e32 vcc_lo, 0, v9
	v_cvt_f32_ubyte1_e32 v17, v1
	v_cvt_f32_ubyte2_e32 v18, v1
	v_cvt_f32_ubyte3_e32 v1, v1
	v_dual_mul_f32 v0, v2, v0 :: v_dual_cndmask_b32 v9, -v15, v15, vcc_lo
	v_cmp_eq_u16_e32 vcc_lo, 0, v10
	v_dual_mul_f32 v16, v2, v16 :: v_dual_bitop2_b32 v12, 32, v6 bitop3:0x40
	s_delay_alu instid0(VALU_DEP_4) | instskip(NEXT) | instid1(VALU_DEP_4)
	v_dual_mul_f32 v18, v2, v18 :: v_dual_mul_f32 v1, v2, v1
	v_cndmask_b32_e64 v0, -v0, v0, vcc_lo
	v_cmp_eq_u16_e32 vcc_lo, 0, v11
	v_dual_mul_f32 v14, v2, v14 :: v_dual_mul_f32 v17, v2, v17
	v_cndmask_b32_e64 v2, -v16, v16, vcc_lo
	v_cmp_gt_u32_e32 vcc_lo, 64, v3
	v_cndmask_b32_e64 v3, -v18, v18, vcc_lo
	v_cmp_gt_i16_e32 vcc_lo, 0, v6
	v_cndmask_b32_e64 v1, v1, -v1, vcc_lo
	v_cmp_eq_u16_e32 vcc_lo, 0, v12
	s_delay_alu instid0(VALU_DEP_2) | instskip(SKIP_4) | instid1(VALU_DEP_4)
	v_cvt_pk_f16_f32 v3, v3, v1
	v_cndmask_b32_e64 v6, -v17, v17, vcc_lo
	v_cmp_eq_u16_e32 vcc_lo, 0, v8
	v_cvt_pk_f16_f32 v1, v9, v0
	v_cndmask_b32_e64 v8, -v14, v14, vcc_lo
	v_cvt_pk_f16_f32 v2, v2, v6
	s_delay_alu instid0(VALU_DEP_2)
	v_cvt_pk_f16_f32 v0, v7, v8
	global_store_b128 v[4:5], v[0:3], off
	s_endpgm
	.section	.rodata,"a",@progbits
	.p2align	6, 0x0
	.amdhsa_kernel _ZL24dequantize_block_iq2_xxsIN3c104HalfEEvPKvPT_
		.amdhsa_group_segment_fixed_size 0
		.amdhsa_private_segment_fixed_size 0
		.amdhsa_kernarg_size 16
		.amdhsa_user_sgpr_count 2
		.amdhsa_user_sgpr_dispatch_ptr 0
		.amdhsa_user_sgpr_queue_ptr 0
		.amdhsa_user_sgpr_kernarg_segment_ptr 1
		.amdhsa_user_sgpr_dispatch_id 0
		.amdhsa_user_sgpr_kernarg_preload_length 0
		.amdhsa_user_sgpr_kernarg_preload_offset 0
		.amdhsa_user_sgpr_private_segment_size 0
		.amdhsa_wavefront_size32 1
		.amdhsa_uses_dynamic_stack 0
		.amdhsa_enable_private_segment 0
		.amdhsa_system_sgpr_workgroup_id_x 1
		.amdhsa_system_sgpr_workgroup_id_y 0
		.amdhsa_system_sgpr_workgroup_id_z 0
		.amdhsa_system_sgpr_workgroup_info 0
		.amdhsa_system_vgpr_workitem_id 0
		.amdhsa_next_free_vgpr 19
		.amdhsa_next_free_sgpr 10
		.amdhsa_named_barrier_count 0
		.amdhsa_reserve_vcc 1
		.amdhsa_float_round_mode_32 0
		.amdhsa_float_round_mode_16_64 0
		.amdhsa_float_denorm_mode_32 3
		.amdhsa_float_denorm_mode_16_64 3
		.amdhsa_fp16_overflow 0
		.amdhsa_memory_ordered 1
		.amdhsa_forward_progress 1
		.amdhsa_inst_pref_size 5
		.amdhsa_round_robin_scheduling 0
		.amdhsa_exception_fp_ieee_invalid_op 0
		.amdhsa_exception_fp_denorm_src 0
		.amdhsa_exception_fp_ieee_div_zero 0
		.amdhsa_exception_fp_ieee_overflow 0
		.amdhsa_exception_fp_ieee_underflow 0
		.amdhsa_exception_fp_ieee_inexact 0
		.amdhsa_exception_int_div_zero 0
	.end_amdhsa_kernel
	.section	.text._ZL24dequantize_block_iq2_xxsIN3c104HalfEEvPKvPT_,"axG",@progbits,_ZL24dequantize_block_iq2_xxsIN3c104HalfEEvPKvPT_,comdat
.Lfunc_end29:
	.size	_ZL24dequantize_block_iq2_xxsIN3c104HalfEEvPKvPT_, .Lfunc_end29-_ZL24dequantize_block_iq2_xxsIN3c104HalfEEvPKvPT_
                                        ; -- End function
	.set _ZL24dequantize_block_iq2_xxsIN3c104HalfEEvPKvPT_.num_vgpr, 19
	.set _ZL24dequantize_block_iq2_xxsIN3c104HalfEEvPKvPT_.num_agpr, 0
	.set _ZL24dequantize_block_iq2_xxsIN3c104HalfEEvPKvPT_.numbered_sgpr, 10
	.set _ZL24dequantize_block_iq2_xxsIN3c104HalfEEvPKvPT_.num_named_barrier, 0
	.set _ZL24dequantize_block_iq2_xxsIN3c104HalfEEvPKvPT_.private_seg_size, 0
	.set _ZL24dequantize_block_iq2_xxsIN3c104HalfEEvPKvPT_.uses_vcc, 1
	.set _ZL24dequantize_block_iq2_xxsIN3c104HalfEEvPKvPT_.uses_flat_scratch, 0
	.set _ZL24dequantize_block_iq2_xxsIN3c104HalfEEvPKvPT_.has_dyn_sized_stack, 0
	.set _ZL24dequantize_block_iq2_xxsIN3c104HalfEEvPKvPT_.has_recursion, 0
	.set _ZL24dequantize_block_iq2_xxsIN3c104HalfEEvPKvPT_.has_indirect_call, 0
	.section	.AMDGPU.csdata,"",@progbits
; Kernel info:
; codeLenInByte = 580
; TotalNumSgprs: 12
; NumVgprs: 19
; ScratchSize: 0
; MemoryBound: 0
; FloatMode: 240
; IeeeMode: 1
; LDSByteSize: 0 bytes/workgroup (compile time only)
; SGPRBlocks: 0
; VGPRBlocks: 1
; NumSGPRsForWavesPerEU: 12
; NumVGPRsForWavesPerEU: 19
; NamedBarCnt: 0
; Occupancy: 16
; WaveLimiterHint : 0
; COMPUTE_PGM_RSRC2:SCRATCH_EN: 0
; COMPUTE_PGM_RSRC2:USER_SGPR: 2
; COMPUTE_PGM_RSRC2:TRAP_HANDLER: 0
; COMPUTE_PGM_RSRC2:TGID_X_EN: 1
; COMPUTE_PGM_RSRC2:TGID_Y_EN: 0
; COMPUTE_PGM_RSRC2:TGID_Z_EN: 0
; COMPUTE_PGM_RSRC2:TIDIG_COMP_CNT: 0
	.section	.text._ZL23dequantize_block_iq2_xsIN3c104HalfEEvPKvPT_,"axG",@progbits,_ZL23dequantize_block_iq2_xsIN3c104HalfEEvPKvPT_,comdat
	.globl	_ZL23dequantize_block_iq2_xsIN3c104HalfEEvPKvPT_ ; -- Begin function _ZL23dequantize_block_iq2_xsIN3c104HalfEEvPKvPT_
	.p2align	8
	.type	_ZL23dequantize_block_iq2_xsIN3c104HalfEEvPKvPT_,@function
_ZL23dequantize_block_iq2_xsIN3c104HalfEEvPKvPT_: ; @_ZL23dequantize_block_iq2_xsIN3c104HalfEEvPKvPT_
; %bb.0:
	s_load_b128 s[0:3], s[0:1], 0x0
	s_bfe_u32 s4, ttmp6, 0x4000c
	s_and_b32 s5, ttmp6, 15
	s_add_co_i32 s4, s4, 1
	s_getreg_b32 s6, hwreg(HW_REG_IB_STS2, 6, 4)
	s_mul_i32 s4, ttmp9, s4
	v_dual_mov_b32 v3, 0 :: v_dual_bitop2_b32 v6, 7, v0 bitop3:0x40
	s_add_co_i32 s4, s5, s4
	s_cmp_eq_u32 s6, 0
	s_mov_b32 s5, 0
	s_cselect_b32 s6, ttmp9, s4
	v_dual_lshlrev_b32 v2, 6, v6 :: v_dual_lshrrev_b32 v7, 2, v0
	s_lshl_b32 s4, s6, 8
	v_and_b32_e32 v1, 0x3f8, v0
	s_lshl_b64 s[8:9], s[4:5], 1
	s_mov_b32 s7, s5
	s_wait_kmcnt 0x0
	s_add_nc_u64 s[2:3], s[2:3], s[8:9]
	s_delay_alu instid0(SALU_CYCLE_1) | instskip(SKIP_2) | instid1(SALU_CYCLE_1)
	v_add_nc_u64_e32 v[4:5], s[2:3], v[2:3]
	v_lshlrev_b32_e32 v2, 1, v1
	s_mul_u64 s[2:3], s[6:7], 0x4a
	s_add_nc_u64 s[0:1], s[0:1], s[2:3]
	s_get_pc_i64 s[2:3]
	s_add_nc_u64 s[2:3], s[2:3], _ZL12ksigns_iq2xs@rel64+4
	s_delay_alu instid0(VALU_DEP_2) | instskip(SKIP_1) | instid1(VALU_DEP_1)
	v_add_nc_u64_e32 v[4:5], v[4:5], v[2:3]
	v_lshlrev_b32_e32 v2, 3, v6
	v_add_nc_u64_e32 v[0:1], s[0:1], v[2:3]
	v_and_b32_e32 v2, 0xfe, v7
	s_delay_alu instid0(VALU_DEP_1)
	v_add_nc_u64_e32 v[0:1], v[0:1], v[2:3]
	s_clause 0x2
	global_load_u16 v2, v[0:1], off offset:2
	global_load_u16 v8, v3, s[0:1]
	global_load_u8 v9, v6, s[0:1] offset:66
	s_wait_xcnt 0x0
	s_get_pc_i64 s[0:1]
	s_add_nc_u64 s[0:1], s[0:1], _ZL10iq2xs_grid@rel64+4
	s_wait_loadcnt 0x2
	v_and_b32_e32 v0, 0x1ff, v2
	v_and_b32_e32 v1, 0xffff, v2
	s_delay_alu instid0(VALU_DEP_2) | instskip(NEXT) | instid1(VALU_DEP_2)
	v_and_b32_e32 v3, 0xffff, v0
	v_lshrrev_b32_e32 v6, 9, v1
	global_load_b64 v[0:1], v3, s[0:1] scale_offset
	global_load_i8 v10, v6, s[2:3]
	s_wait_xcnt 0x1
	v_and_b32_e32 v3, 0xfc, v7
	s_wait_loadcnt 0x3
	s_wait_xcnt 0x0
	v_cvt_f32_f16_e32 v6, v8
	s_wait_loadcnt 0x2
	v_bfe_u32 v3, v9, v3, 4
	s_delay_alu instid0(VALU_DEP_1) | instskip(NEXT) | instid1(VALU_DEP_1)
	v_cvt_f32_ubyte0_e32 v3, v3
	v_add_f32_e32 v3, 0.5, v3
	s_wait_loadcnt 0x1
	v_cvt_f32_ubyte1_e32 v8, v0
	s_wait_loadcnt 0x0
	v_and_b32_e32 v7, 1, v10
	v_cvt_f32_ubyte2_e32 v11, v0
	v_cvt_f32_ubyte1_e32 v16, v1
	v_cvt_f32_ubyte0_e32 v14, v1
	v_cvt_f32_ubyte2_e32 v18, v1
	v_cmp_eq_u16_e32 vcc_lo, 0, v7
	v_mul_f32_e32 v3, v3, v6
	v_cvt_f32_ubyte0_e32 v6, v0
	v_cvt_f32_ubyte3_e32 v0, v0
	v_cvt_f32_ubyte3_e32 v1, v1
	s_delay_alu instid0(VALU_DEP_4) | instskip(SKIP_3) | instid1(VALU_DEP_4)
	v_mul_f32_e32 v3, 0x3e800000, v3
	v_and_b32_e32 v12, 4, v10
	v_and_b32_e32 v9, 2, v10
	;; [unrolled: 1-line block ×3, first 2 shown]
	v_dual_mul_f32 v1, v3, v1 :: v_dual_bitop2_b32 v15, 16, v10 bitop3:0x40
	v_dual_mul_f32 v0, v3, v0 :: v_dual_mul_f32 v6, v3, v6
	v_dual_mul_f32 v11, v3, v11 :: v_dual_mul_f32 v16, v3, v16
	;; [unrolled: 1-line block ×3, first 2 shown]
	s_delay_alu instid0(VALU_DEP_3)
	v_cndmask_b32_e64 v6, -v6, v6, vcc_lo
	v_cmp_eq_u16_e32 vcc_lo, 0, v12
	v_and_b32_e32 v17, 32, v10
	v_mul_f32_e32 v18, v3, v18
	v_cndmask_b32_e64 v7, -v11, v11, vcc_lo
	v_cmp_eq_u16_e32 vcc_lo, 0, v13
	v_cndmask_b32_e64 v0, -v0, v0, vcc_lo
	v_cmp_eq_u16_e32 vcc_lo, 0, v15
	v_cndmask_b32_e64 v11, -v14, v14, vcc_lo
	v_cmp_gt_i16_e32 vcc_lo, 0, v2
	v_cndmask_b32_e64 v2, v18, -v18, vcc_lo
	v_cmp_gt_i16_e32 vcc_lo, 0, v10
	v_cndmask_b32_e64 v1, v1, -v1, vcc_lo
	v_cmp_eq_u16_e32 vcc_lo, 0, v17
	s_delay_alu instid0(VALU_DEP_2) | instskip(SKIP_4) | instid1(VALU_DEP_4)
	v_cvt_pk_f16_f32 v3, v2, v1
	v_cndmask_b32_e64 v10, -v16, v16, vcc_lo
	v_cmp_eq_u16_e32 vcc_lo, 0, v9
	v_cvt_pk_f16_f32 v1, v7, v0
	v_cndmask_b32_e64 v8, -v8, v8, vcc_lo
	v_cvt_pk_f16_f32 v2, v11, v10
	s_delay_alu instid0(VALU_DEP_2)
	v_cvt_pk_f16_f32 v0, v6, v8
	global_store_b128 v[4:5], v[0:3], off
	s_endpgm
	.section	.rodata,"a",@progbits
	.p2align	6, 0x0
	.amdhsa_kernel _ZL23dequantize_block_iq2_xsIN3c104HalfEEvPKvPT_
		.amdhsa_group_segment_fixed_size 0
		.amdhsa_private_segment_fixed_size 0
		.amdhsa_kernarg_size 16
		.amdhsa_user_sgpr_count 2
		.amdhsa_user_sgpr_dispatch_ptr 0
		.amdhsa_user_sgpr_queue_ptr 0
		.amdhsa_user_sgpr_kernarg_segment_ptr 1
		.amdhsa_user_sgpr_dispatch_id 0
		.amdhsa_user_sgpr_kernarg_preload_length 0
		.amdhsa_user_sgpr_kernarg_preload_offset 0
		.amdhsa_user_sgpr_private_segment_size 0
		.amdhsa_wavefront_size32 1
		.amdhsa_uses_dynamic_stack 0
		.amdhsa_enable_private_segment 0
		.amdhsa_system_sgpr_workgroup_id_x 1
		.amdhsa_system_sgpr_workgroup_id_y 0
		.amdhsa_system_sgpr_workgroup_id_z 0
		.amdhsa_system_sgpr_workgroup_info 0
		.amdhsa_system_vgpr_workitem_id 0
		.amdhsa_next_free_vgpr 19
		.amdhsa_next_free_sgpr 10
		.amdhsa_named_barrier_count 0
		.amdhsa_reserve_vcc 1
		.amdhsa_float_round_mode_32 0
		.amdhsa_float_round_mode_16_64 0
		.amdhsa_float_denorm_mode_32 3
		.amdhsa_float_denorm_mode_16_64 3
		.amdhsa_fp16_overflow 0
		.amdhsa_memory_ordered 1
		.amdhsa_forward_progress 1
		.amdhsa_inst_pref_size 5
		.amdhsa_round_robin_scheduling 0
		.amdhsa_exception_fp_ieee_invalid_op 0
		.amdhsa_exception_fp_denorm_src 0
		.amdhsa_exception_fp_ieee_div_zero 0
		.amdhsa_exception_fp_ieee_overflow 0
		.amdhsa_exception_fp_ieee_underflow 0
		.amdhsa_exception_fp_ieee_inexact 0
		.amdhsa_exception_int_div_zero 0
	.end_amdhsa_kernel
	.section	.text._ZL23dequantize_block_iq2_xsIN3c104HalfEEvPKvPT_,"axG",@progbits,_ZL23dequantize_block_iq2_xsIN3c104HalfEEvPKvPT_,comdat
.Lfunc_end30:
	.size	_ZL23dequantize_block_iq2_xsIN3c104HalfEEvPKvPT_, .Lfunc_end30-_ZL23dequantize_block_iq2_xsIN3c104HalfEEvPKvPT_
                                        ; -- End function
	.set _ZL23dequantize_block_iq2_xsIN3c104HalfEEvPKvPT_.num_vgpr, 19
	.set _ZL23dequantize_block_iq2_xsIN3c104HalfEEvPKvPT_.num_agpr, 0
	.set _ZL23dequantize_block_iq2_xsIN3c104HalfEEvPKvPT_.numbered_sgpr, 10
	.set _ZL23dequantize_block_iq2_xsIN3c104HalfEEvPKvPT_.num_named_barrier, 0
	.set _ZL23dequantize_block_iq2_xsIN3c104HalfEEvPKvPT_.private_seg_size, 0
	.set _ZL23dequantize_block_iq2_xsIN3c104HalfEEvPKvPT_.uses_vcc, 1
	.set _ZL23dequantize_block_iq2_xsIN3c104HalfEEvPKvPT_.uses_flat_scratch, 0
	.set _ZL23dequantize_block_iq2_xsIN3c104HalfEEvPKvPT_.has_dyn_sized_stack, 0
	.set _ZL23dequantize_block_iq2_xsIN3c104HalfEEvPKvPT_.has_recursion, 0
	.set _ZL23dequantize_block_iq2_xsIN3c104HalfEEvPKvPT_.has_indirect_call, 0
	.section	.AMDGPU.csdata,"",@progbits
; Kernel info:
; codeLenInByte = 620
; TotalNumSgprs: 12
; NumVgprs: 19
; ScratchSize: 0
; MemoryBound: 0
; FloatMode: 240
; IeeeMode: 1
; LDSByteSize: 0 bytes/workgroup (compile time only)
; SGPRBlocks: 0
; VGPRBlocks: 1
; NumSGPRsForWavesPerEU: 12
; NumVGPRsForWavesPerEU: 19
; NamedBarCnt: 0
; Occupancy: 16
; WaveLimiterHint : 0
; COMPUTE_PGM_RSRC2:SCRATCH_EN: 0
; COMPUTE_PGM_RSRC2:USER_SGPR: 2
; COMPUTE_PGM_RSRC2:TRAP_HANDLER: 0
; COMPUTE_PGM_RSRC2:TGID_X_EN: 1
; COMPUTE_PGM_RSRC2:TGID_Y_EN: 0
; COMPUTE_PGM_RSRC2:TGID_Z_EN: 0
; COMPUTE_PGM_RSRC2:TIDIG_COMP_CNT: 0
	.section	.text._ZL24dequantize_block_iq3_xxsIN3c104HalfEEvPKvPT_,"axG",@progbits,_ZL24dequantize_block_iq3_xxsIN3c104HalfEEvPKvPT_,comdat
	.globl	_ZL24dequantize_block_iq3_xxsIN3c104HalfEEvPKvPT_ ; -- Begin function _ZL24dequantize_block_iq3_xxsIN3c104HalfEEvPKvPT_
	.p2align	8
	.type	_ZL24dequantize_block_iq3_xxsIN3c104HalfEEvPKvPT_,@function
_ZL24dequantize_block_iq3_xxsIN3c104HalfEEvPKvPT_: ; @_ZL24dequantize_block_iq3_xxsIN3c104HalfEEvPKvPT_
; %bb.0:
	s_load_b128 s[0:3], s[0:1], 0x0
	s_bfe_u32 s4, ttmp6, 0x4000c
	s_and_b32 s5, ttmp6, 15
	s_add_co_i32 s4, s4, 1
	s_getreg_b32 s6, hwreg(HW_REG_IB_STS2, 6, 4)
	s_mul_i32 s4, ttmp9, s4
	v_dual_mov_b32 v3, 0 :: v_dual_bitop2_b32 v6, 7, v0 bitop3:0x40
	s_add_co_i32 s4, s5, s4
	s_cmp_eq_u32 s6, 0
	s_mov_b32 s5, 0
	s_cselect_b32 s6, ttmp9, s4
	v_dual_lshlrev_b32 v2, 6, v6 :: v_dual_lshrrev_b32 v7, 3, v0
	s_lshl_b32 s4, s6, 8
	v_and_b32_e32 v1, 0x3f8, v0
	s_lshl_b64 s[8:9], s[4:5], 1
	s_mov_b32 s7, s5
	s_wait_kmcnt 0x0
	s_add_nc_u64 s[2:3], s[2:3], s[8:9]
	s_delay_alu instid0(SALU_CYCLE_1) | instskip(SKIP_2) | instid1(SALU_CYCLE_1)
	v_add_nc_u64_e32 v[4:5], s[2:3], v[2:3]
	v_lshlrev_b32_e32 v2, 1, v1
	s_mul_u64 s[2:3], s[6:7], 0x62
	s_add_nc_u64 s[0:1], s[0:1], s[2:3]
	s_get_pc_i64 s[2:3]
	s_add_nc_u64 s[2:3], s[2:3], _ZL12ksigns_iq2xs@rel64+4
	s_delay_alu instid0(VALU_DEP_2) | instskip(SKIP_1) | instid1(VALU_DEP_1)
	v_add_nc_u64_e32 v[4:5], v[4:5], v[2:3]
	v_lshlrev_b32_e32 v2, 3, v6
	v_add_nc_u64_e32 v[0:1], s[0:1], v[2:3]
	v_lshlrev_b32_e32 v2, 1, v7
	s_delay_alu instid0(VALU_DEP_1)
	v_add_nc_u64_e32 v[0:1], v[0:1], v[2:3]
	s_clause 0x2
	global_load_u16 v2, v[0:1], off offset:2
	global_load_u16 v8, v3, s[0:1]
	global_load_b32 v9, v6, s[0:1] offset:66 scale_offset
	s_wait_xcnt 0x2
	v_mul_u32_u24_e32 v0, 7, v7
	s_wait_xcnt 0x0
	s_get_pc_i64 s[0:1]
	s_add_nc_u64 s[0:1], s[0:1], _ZL11iq3xxs_grid@rel64+4
	s_wait_loadcnt 0x2
	v_and_b32_e32 v1, 0xff, v2
	v_lshrrev_b16 v2, 8, v2
	s_wait_loadcnt 0x0
	v_bfe_u32 v0, v9, v0, 7
	v_cvt_f32_f16_e32 v7, v8
	global_load_b32 v3, v1, s[0:1] scale_offset
	global_load_i8 v6, v0, s[2:3]
	s_wait_xcnt 0x1
	v_and_b32_e32 v1, 0xffff, v2
	v_lshrrev_b32_e32 v2, 28, v9
	global_load_b32 v1, v1, s[0:1] scale_offset
	s_wait_loadcnt 0x2
	v_cvt_f32_ubyte2_e32 v13, v3
	s_wait_loadcnt 0x1
	v_and_b32_e32 v8, 1, v6
	v_and_b32_e32 v12, 32, v6
	v_cvt_f32_ubyte0_e32 v2, v2
	v_cvt_f32_ubyte1_e32 v10, v3
	v_and_b32_e32 v9, 16, v6
	v_cmp_eq_u16_e32 vcc_lo, 0, v8
	s_wait_loadcnt 0x0
	v_cvt_f32_ubyte0_e32 v16, v1
	v_add_f32_e32 v2, 0.5, v2
	v_cvt_f32_ubyte1_e32 v17, v1
	v_and_b32_e32 v14, 4, v6
	v_cvt_f32_ubyte2_e32 v18, v1
	v_cvt_f32_ubyte3_e32 v1, v1
	v_mul_f32_e32 v2, v2, v7
	v_cvt_f32_ubyte0_e32 v7, v3
	v_cvt_f32_ubyte3_e32 v3, v3
	v_and_b32_e32 v11, 2, v6
	s_delay_alu instid0(VALU_DEP_4) | instskip(NEXT) | instid1(VALU_DEP_1)
	v_mul_f32_e32 v2, 0.5, v2
	v_dual_mul_f32 v7, v2, v7 :: v_dual_bitop2_b32 v15, 8, v6 bitop3:0x40
	s_delay_alu instid0(VALU_DEP_1) | instskip(SKIP_1) | instid1(VALU_DEP_2)
	v_dual_mul_f32 v13, v2, v13 :: v_dual_cndmask_b32 v7, -v7, v7, vcc_lo
	v_cmp_eq_u16_e32 vcc_lo, 0, v14
	v_dual_cndmask_b32 v13, -v13, v13, vcc_lo :: v_dual_mul_f32 v10, v2, v10
	v_mul_f32_e32 v3, v2, v3
	v_cmp_eq_u16_e32 vcc_lo, 0, v15
	v_dual_mul_f32 v8, v2, v16 :: v_dual_mul_f32 v16, v2, v17
	v_dual_mul_f32 v14, v2, v18 :: v_dual_mul_f32 v1, v2, v1
	s_delay_alu instid0(VALU_DEP_4) | instskip(SKIP_1) | instid1(VALU_DEP_4)
	v_cndmask_b32_e64 v3, -v3, v3, vcc_lo
	v_cmp_eq_u16_e32 vcc_lo, 0, v9
	v_cndmask_b32_e64 v2, -v8, v8, vcc_lo
	v_cmp_eq_u16_e32 vcc_lo, 0, v12
	v_cndmask_b32_e64 v8, -v16, v16, vcc_lo
	v_cmp_gt_u32_e32 vcc_lo, 64, v0
	v_cndmask_b32_e64 v0, -v14, v14, vcc_lo
	v_cmp_gt_i16_e32 vcc_lo, 0, v6
	v_cndmask_b32_e64 v6, v1, -v1, vcc_lo
	v_cmp_eq_u16_e32 vcc_lo, 0, v11
	v_cvt_pk_f16_f32 v1, v13, v3
	v_cvt_pk_f16_f32 v2, v2, v8
	s_delay_alu instid0(VALU_DEP_4) | instskip(SKIP_1) | instid1(VALU_DEP_1)
	v_cvt_pk_f16_f32 v3, v0, v6
	v_cndmask_b32_e64 v9, -v10, v10, vcc_lo
	v_cvt_pk_f16_f32 v0, v7, v9
	global_store_b128 v[4:5], v[0:3], off
	s_endpgm
	.section	.rodata,"a",@progbits
	.p2align	6, 0x0
	.amdhsa_kernel _ZL24dequantize_block_iq3_xxsIN3c104HalfEEvPKvPT_
		.amdhsa_group_segment_fixed_size 0
		.amdhsa_private_segment_fixed_size 0
		.amdhsa_kernarg_size 16
		.amdhsa_user_sgpr_count 2
		.amdhsa_user_sgpr_dispatch_ptr 0
		.amdhsa_user_sgpr_queue_ptr 0
		.amdhsa_user_sgpr_kernarg_segment_ptr 1
		.amdhsa_user_sgpr_dispatch_id 0
		.amdhsa_user_sgpr_kernarg_preload_length 0
		.amdhsa_user_sgpr_kernarg_preload_offset 0
		.amdhsa_user_sgpr_private_segment_size 0
		.amdhsa_wavefront_size32 1
		.amdhsa_uses_dynamic_stack 0
		.amdhsa_enable_private_segment 0
		.amdhsa_system_sgpr_workgroup_id_x 1
		.amdhsa_system_sgpr_workgroup_id_y 0
		.amdhsa_system_sgpr_workgroup_id_z 0
		.amdhsa_system_sgpr_workgroup_info 0
		.amdhsa_system_vgpr_workitem_id 0
		.amdhsa_next_free_vgpr 19
		.amdhsa_next_free_sgpr 10
		.amdhsa_named_barrier_count 0
		.amdhsa_reserve_vcc 1
		.amdhsa_float_round_mode_32 0
		.amdhsa_float_round_mode_16_64 0
		.amdhsa_float_denorm_mode_32 3
		.amdhsa_float_denorm_mode_16_64 3
		.amdhsa_fp16_overflow 0
		.amdhsa_memory_ordered 1
		.amdhsa_forward_progress 1
		.amdhsa_inst_pref_size 5
		.amdhsa_round_robin_scheduling 0
		.amdhsa_exception_fp_ieee_invalid_op 0
		.amdhsa_exception_fp_denorm_src 0
		.amdhsa_exception_fp_ieee_div_zero 0
		.amdhsa_exception_fp_ieee_overflow 0
		.amdhsa_exception_fp_ieee_underflow 0
		.amdhsa_exception_fp_ieee_inexact 0
		.amdhsa_exception_int_div_zero 0
	.end_amdhsa_kernel
	.section	.text._ZL24dequantize_block_iq3_xxsIN3c104HalfEEvPKvPT_,"axG",@progbits,_ZL24dequantize_block_iq3_xxsIN3c104HalfEEvPKvPT_,comdat
.Lfunc_end31:
	.size	_ZL24dequantize_block_iq3_xxsIN3c104HalfEEvPKvPT_, .Lfunc_end31-_ZL24dequantize_block_iq3_xxsIN3c104HalfEEvPKvPT_
                                        ; -- End function
	.set _ZL24dequantize_block_iq3_xxsIN3c104HalfEEvPKvPT_.num_vgpr, 19
	.set _ZL24dequantize_block_iq3_xxsIN3c104HalfEEvPKvPT_.num_agpr, 0
	.set _ZL24dequantize_block_iq3_xxsIN3c104HalfEEvPKvPT_.numbered_sgpr, 10
	.set _ZL24dequantize_block_iq3_xxsIN3c104HalfEEvPKvPT_.num_named_barrier, 0
	.set _ZL24dequantize_block_iq3_xxsIN3c104HalfEEvPKvPT_.private_seg_size, 0
	.set _ZL24dequantize_block_iq3_xxsIN3c104HalfEEvPKvPT_.uses_vcc, 1
	.set _ZL24dequantize_block_iq3_xxsIN3c104HalfEEvPKvPT_.uses_flat_scratch, 0
	.set _ZL24dequantize_block_iq3_xxsIN3c104HalfEEvPKvPT_.has_dyn_sized_stack, 0
	.set _ZL24dequantize_block_iq3_xxsIN3c104HalfEEvPKvPT_.has_recursion, 0
	.set _ZL24dequantize_block_iq3_xxsIN3c104HalfEEvPKvPT_.has_indirect_call, 0
	.section	.AMDGPU.csdata,"",@progbits
; Kernel info:
; codeLenInByte = 608
; TotalNumSgprs: 12
; NumVgprs: 19
; ScratchSize: 0
; MemoryBound: 0
; FloatMode: 240
; IeeeMode: 1
; LDSByteSize: 0 bytes/workgroup (compile time only)
; SGPRBlocks: 0
; VGPRBlocks: 1
; NumSGPRsForWavesPerEU: 12
; NumVGPRsForWavesPerEU: 19
; NamedBarCnt: 0
; Occupancy: 16
; WaveLimiterHint : 0
; COMPUTE_PGM_RSRC2:SCRATCH_EN: 0
; COMPUTE_PGM_RSRC2:USER_SGPR: 2
; COMPUTE_PGM_RSRC2:TRAP_HANDLER: 0
; COMPUTE_PGM_RSRC2:TGID_X_EN: 1
; COMPUTE_PGM_RSRC2:TGID_Y_EN: 0
; COMPUTE_PGM_RSRC2:TGID_Z_EN: 0
; COMPUTE_PGM_RSRC2:TIDIG_COMP_CNT: 0
	.section	.text._ZL22dequantize_block_iq1_sIN3c104HalfEEvPKvPT_,"axG",@progbits,_ZL22dequantize_block_iq1_sIN3c104HalfEEvPKvPT_,comdat
	.globl	_ZL22dequantize_block_iq1_sIN3c104HalfEEvPKvPT_ ; -- Begin function _ZL22dequantize_block_iq1_sIN3c104HalfEEvPKvPT_
	.p2align	8
	.type	_ZL22dequantize_block_iq1_sIN3c104HalfEEvPKvPT_,@function
_ZL22dequantize_block_iq1_sIN3c104HalfEEvPKvPT_: ; @_ZL22dequantize_block_iq1_sIN3c104HalfEEvPKvPT_
; %bb.0:
	s_load_b128 s[0:3], s[0:1], 0x0
	s_bfe_u32 s6, ttmp6, 0x4000c
	s_and_b32 s4, ttmp6, 15
	s_add_co_i32 s6, s6, 1
	s_getreg_b32 s7, hwreg(HW_REG_IB_STS2, 6, 4)
	s_mul_i32 s6, ttmp9, s6
	v_dual_mov_b32 v3, 0 :: v_dual_bitop2_b32 v8, 7, v0 bitop3:0x40
	s_add_co_i32 s4, s4, s6
	s_cmp_eq_u32 s7, 0
	s_mov_b32 s5, 0
	s_cselect_b32 s4, ttmp9, s4
	v_dual_mov_b32 v5, v3 :: v_dual_lshlrev_b32 v4, 1, v8
	s_mul_u64 s[6:7], s[4:5], 50
	v_lshrrev_b32_e32 v2, 3, v0
	v_and_b32_e32 v10, 0x3f8, v0
	v_lshlrev_b32_e32 v0, 6, v8
	s_wait_kmcnt 0x0
	s_add_nc_u64 s[0:1], s[0:1], s[6:7]
	s_get_pc_i64 s[6:7]
	s_add_nc_u64 s[6:7], s[6:7], _ZL13iq1s_grid_gpu@rel64+4
	v_add_nc_u64_e32 v[6:7], s[0:1], v[4:5]
	global_load_u16 v9, v8, s[0:1] offset:34 scale_offset
	v_add_nc_u64_e32 v[4:5], v[6:7], v[4:5]
	s_delay_alu instid0(VALU_DEP_1)
	v_add_nc_u64_e32 v[4:5], v[4:5], v[2:3]
	v_mul_u32_u24_e32 v2, 3, v2
	global_load_u8 v1, v[4:5], off offset:2
	s_wait_xcnt 0x0
	v_mov_b32_e32 v5, v3
	s_wait_loadcnt 0x1
	v_and_b32_e32 v4, 0xffff, v9
	v_cmp_lt_i16_e32 vcc_lo, -1, v9
	s_delay_alu instid0(VALU_DEP_2) | instskip(SKIP_1) | instid1(VALU_DEP_2)
	v_lshrrev_b32_e32 v2, v2, v4
	v_lshrrev_b16 v4, 11, v9
	v_lshlrev_b32_e32 v2, 8, v2
	s_wait_loadcnt 0x0
	s_delay_alu instid0(VALU_DEP_1) | instskip(NEXT) | instid1(VALU_DEP_1)
	v_and_or_b32 v1, 0x700, v2, v1
	v_lshlrev_b32_e32 v1, 3, v1
	global_load_u16 v2, v3, s[0:1]
	global_load_b32 v7, v1, s[6:7]
	s_wait_xcnt 0x0
	v_mov_b32_e32 v1, v3
	v_bitop3_b16 v3, v4, 1, 14 bitop3:0xec
	v_mov_b32_e32 v6, 0xbf600000
	v_lshlrev_b32_e32 v4, 1, v10
	s_lshl_b64 s[0:1], s[4:5], 9
	s_delay_alu instid0(VALU_DEP_3) | instskip(SKIP_1) | instid1(SALU_CYCLE_1)
	v_cvt_f32_ubyte0_e32 v3, v3
	s_add_nc_u64 s[0:1], s[2:3], s[0:1]
	v_add_nc_u64_e32 v[0:1], s[0:1], v[0:1]
	s_delay_alu instid0(VALU_DEP_1)
	v_add_nc_u64_e32 v[4:5], v[0:1], v[4:5]
	s_wait_loadcnt 0x1
	v_cvt_f32_f16_e32 v8, v2
	s_wait_loadcnt 0x0
	v_bfe_u32 v9, v7, 20, 4
	v_bfe_u32 v10, v7, 12, 4
	v_cndmask_b32_e32 v2, 0xbf900000, v6, vcc_lo
	v_bfe_u32 v14, v7, 4, 4
	v_mul_f32_e32 v6, v8, v3
	v_and_b32_e32 v3, 0xf0f0f0f, v7
	v_cvt_f32_ubyte0_e32 v9, v9
	v_cvt_f32_ubyte0_e32 v8, v10
	v_bfe_u32 v11, v7, 8, 4
	v_and_b32_e32 v10, 15, v7
	v_bfe_u32 v12, v7, 16, 4
	v_lshrrev_b32_e32 v7, 28, v7
	v_pk_add_f32 v[8:9], v[2:3], v[8:9] op_sel_hi:[0,1]
	v_cvt_f32_ubyte3_e32 v13, v3
	v_cvt_f32_ubyte0_e32 v3, v14
	v_cvt_f32_ubyte0_e32 v11, v11
	v_cvt_f32_ubyte0_e32 v12, v12
	v_cvt_f32_ubyte0_e32 v10, v10
	s_delay_alu instid0(VALU_DEP_4) | instskip(SKIP_4) | instid1(VALU_DEP_4)
	v_add_f32_e32 v15, v2, v3
	v_pk_mul_f32 v[8:9], v[6:7], v[8:9] op_sel_hi:[0,1]
	v_cvt_f32_ubyte0_e32 v7, v7
	v_pk_add_f32 v[12:13], v[2:3], v[12:13] op_sel_hi:[0,1]
	v_pk_add_f32 v[10:11], v[2:3], v[10:11] op_sel_hi:[0,1]
	v_cvt_pk_f16_f32 v14, v8, v9
	s_delay_alu instid0(VALU_DEP_4) | instskip(NEXT) | instid1(VALU_DEP_4)
	v_add_f32_e32 v2, v2, v7
	v_pk_mul_f32 v[8:9], v[6:7], v[12:13] op_sel_hi:[0,1]
	s_delay_alu instid0(VALU_DEP_4) | instskip(SKIP_2) | instid1(VALU_DEP_4)
	v_pk_mul_f32 v[10:11], v[6:7], v[10:11] op_sel_hi:[0,1]
	v_fma_mixlo_f16 v7, v6, v15, 0
	v_lshrrev_b32_e32 v3, 16, v14
	v_cvt_pk_f16_f32 v1, v8, v9
	s_delay_alu instid0(VALU_DEP_4) | instskip(NEXT) | instid1(VALU_DEP_3)
	v_cvt_pk_f16_f32 v0, v10, v11
	v_fma_mixhi_f16 v3, v6, v2, 0
	v_pack_b32_f16 v2, v7, v14
	global_store_b128 v[4:5], v[0:3], off
	s_endpgm
	.section	.rodata,"a",@progbits
	.p2align	6, 0x0
	.amdhsa_kernel _ZL22dequantize_block_iq1_sIN3c104HalfEEvPKvPT_
		.amdhsa_group_segment_fixed_size 0
		.amdhsa_private_segment_fixed_size 0
		.amdhsa_kernarg_size 16
		.amdhsa_user_sgpr_count 2
		.amdhsa_user_sgpr_dispatch_ptr 0
		.amdhsa_user_sgpr_queue_ptr 0
		.amdhsa_user_sgpr_kernarg_segment_ptr 1
		.amdhsa_user_sgpr_dispatch_id 0
		.amdhsa_user_sgpr_kernarg_preload_length 0
		.amdhsa_user_sgpr_kernarg_preload_offset 0
		.amdhsa_user_sgpr_private_segment_size 0
		.amdhsa_wavefront_size32 1
		.amdhsa_uses_dynamic_stack 0
		.amdhsa_enable_private_segment 0
		.amdhsa_system_sgpr_workgroup_id_x 1
		.amdhsa_system_sgpr_workgroup_id_y 0
		.amdhsa_system_sgpr_workgroup_id_z 0
		.amdhsa_system_sgpr_workgroup_info 0
		.amdhsa_system_vgpr_workitem_id 0
		.amdhsa_next_free_vgpr 16
		.amdhsa_next_free_sgpr 8
		.amdhsa_named_barrier_count 0
		.amdhsa_reserve_vcc 1
		.amdhsa_float_round_mode_32 0
		.amdhsa_float_round_mode_16_64 0
		.amdhsa_float_denorm_mode_32 3
		.amdhsa_float_denorm_mode_16_64 3
		.amdhsa_fp16_overflow 0
		.amdhsa_memory_ordered 1
		.amdhsa_forward_progress 1
		.amdhsa_inst_pref_size 5
		.amdhsa_round_robin_scheduling 0
		.amdhsa_exception_fp_ieee_invalid_op 0
		.amdhsa_exception_fp_denorm_src 0
		.amdhsa_exception_fp_ieee_div_zero 0
		.amdhsa_exception_fp_ieee_overflow 0
		.amdhsa_exception_fp_ieee_underflow 0
		.amdhsa_exception_fp_ieee_inexact 0
		.amdhsa_exception_int_div_zero 0
	.end_amdhsa_kernel
	.section	.text._ZL22dequantize_block_iq1_sIN3c104HalfEEvPKvPT_,"axG",@progbits,_ZL22dequantize_block_iq1_sIN3c104HalfEEvPKvPT_,comdat
.Lfunc_end32:
	.size	_ZL22dequantize_block_iq1_sIN3c104HalfEEvPKvPT_, .Lfunc_end32-_ZL22dequantize_block_iq1_sIN3c104HalfEEvPKvPT_
                                        ; -- End function
	.set _ZL22dequantize_block_iq1_sIN3c104HalfEEvPKvPT_.num_vgpr, 16
	.set _ZL22dequantize_block_iq1_sIN3c104HalfEEvPKvPT_.num_agpr, 0
	.set _ZL22dequantize_block_iq1_sIN3c104HalfEEvPKvPT_.numbered_sgpr, 8
	.set _ZL22dequantize_block_iq1_sIN3c104HalfEEvPKvPT_.num_named_barrier, 0
	.set _ZL22dequantize_block_iq1_sIN3c104HalfEEvPKvPT_.private_seg_size, 0
	.set _ZL22dequantize_block_iq1_sIN3c104HalfEEvPKvPT_.uses_vcc, 1
	.set _ZL22dequantize_block_iq1_sIN3c104HalfEEvPKvPT_.uses_flat_scratch, 0
	.set _ZL22dequantize_block_iq1_sIN3c104HalfEEvPKvPT_.has_dyn_sized_stack, 0
	.set _ZL22dequantize_block_iq1_sIN3c104HalfEEvPKvPT_.has_recursion, 0
	.set _ZL22dequantize_block_iq1_sIN3c104HalfEEvPKvPT_.has_indirect_call, 0
	.section	.AMDGPU.csdata,"",@progbits
; Kernel info:
; codeLenInByte = 556
; TotalNumSgprs: 10
; NumVgprs: 16
; ScratchSize: 0
; MemoryBound: 0
; FloatMode: 240
; IeeeMode: 1
; LDSByteSize: 0 bytes/workgroup (compile time only)
; SGPRBlocks: 0
; VGPRBlocks: 0
; NumSGPRsForWavesPerEU: 10
; NumVGPRsForWavesPerEU: 16
; NamedBarCnt: 0
; Occupancy: 16
; WaveLimiterHint : 0
; COMPUTE_PGM_RSRC2:SCRATCH_EN: 0
; COMPUTE_PGM_RSRC2:USER_SGPR: 2
; COMPUTE_PGM_RSRC2:TRAP_HANDLER: 0
; COMPUTE_PGM_RSRC2:TGID_X_EN: 1
; COMPUTE_PGM_RSRC2:TGID_Y_EN: 0
; COMPUTE_PGM_RSRC2:TGID_Z_EN: 0
; COMPUTE_PGM_RSRC2:TIDIG_COMP_CNT: 0
	.section	.text._ZL23dequantize_block_iq4_nlIN3c104HalfEEvPKvPT_,"axG",@progbits,_ZL23dequantize_block_iq4_nlIN3c104HalfEEvPKvPT_,comdat
	.globl	_ZL23dequantize_block_iq4_nlIN3c104HalfEEvPKvPT_ ; -- Begin function _ZL23dequantize_block_iq4_nlIN3c104HalfEEvPKvPT_
	.p2align	8
	.type	_ZL23dequantize_block_iq4_nlIN3c104HalfEEvPKvPT_,@function
_ZL23dequantize_block_iq4_nlIN3c104HalfEEvPKvPT_: ; @_ZL23dequantize_block_iq4_nlIN3c104HalfEEvPKvPT_
; %bb.0:
	s_load_b128 s[0:3], s[0:1], 0x0
	s_bfe_u32 s4, ttmp6, 0x4000c
	s_and_b32 s6, ttmp6, 15
	s_add_co_i32 s4, s4, 1
	s_getreg_b32 s7, hwreg(HW_REG_IB_STS2, 6, 4)
	s_mul_i32 s4, ttmp9, s4
	s_mov_b32 s5, 0
	s_add_co_i32 s6, s6, s4
	s_cmp_eq_u32 s7, 0
	v_dual_mov_b32 v1, 0 :: v_dual_bitop2_b32 v2, 7, v0 bitop3:0x40
	s_cselect_b32 s8, ttmp9, s6
	v_lshrrev_b32_e32 v6, 1, v0
	s_lshl_b32 s4, s8, 3
	s_delay_alu instid0(VALU_DEP_2) | instskip(SKIP_4) | instid1(SALU_CYCLE_1)
	v_lshlrev_b32_e32 v0, 6, v2
	s_mul_u64 s[6:7], s[4:5], 18
	s_lshl_b32 s4, s8, 8
	s_wait_kmcnt 0x0
	s_add_nc_u64 s[0:1], s[0:1], s[6:7]
	v_mad_nc_u64_u32 v[2:3], v2, 18, s[0:1]
	s_lshl_b64 s[0:1], s[4:5], 1
	s_delay_alu instid0(SALU_CYCLE_1) | instskip(NEXT) | instid1(SALU_CYCLE_1)
	s_add_nc_u64 s[0:1], s[2:3], s[0:1]
	v_add_nc_u64_e32 v[4:5], s[0:1], v[0:1]
	v_and_b32_e32 v0, 0x1fc, v6
	s_get_pc_i64 s[0:1]
	s_add_nc_u64 s[0:1], s[0:1], _ZL13kvalues_iq4nl@rel64+4
	s_delay_alu instid0(VALU_DEP_1)
	v_add_nc_u64_e32 v[6:7], v[2:3], v[0:1]
	s_clause 0x1
	global_load_b32 v8, v[6:7], off offset:2
	global_load_u16 v9, v[2:3], off
	s_wait_loadcnt 0x1
	s_wait_xcnt 0x0
	v_and_b32_e32 v2, 15, v8
	v_bfe_u32 v3, v8, 4, 4
	v_bfe_u32 v6, v8, 8, 4
	;; [unrolled: 1-line block ×6, first 2 shown]
	v_lshrrev_b32_e32 v8, 28, v8
	s_clause 0x7
	global_load_i8 v13, v2, s[0:1]
	global_load_i8 v14, v3, s[0:1]
	;; [unrolled: 1-line block ×8, first 2 shown]
	s_wait_loadcnt 0x8
	s_wait_xcnt 0x7
	v_cvt_f32_f16_e32 v2, v9
	s_wait_loadcnt 0x7
	s_wait_xcnt 0x6
	v_cvt_f32_i32_e32 v3, v13
	s_wait_loadcnt 0x6
	s_wait_xcnt 0x5
	v_cvt_f32_i32_e32 v6, v14
	;; [unrolled: 3-line block ×4, first 2 shown]
	s_wait_loadcnt 0x3
	v_cvt_f32_i32_e32 v9, v17
	s_wait_loadcnt 0x2
	v_cvt_f32_i32_e32 v10, v18
	;; [unrolled: 2-line block ×4, first 2 shown]
	v_dual_mul_f32 v13, v2, v3 :: v_dual_lshlrev_b32 v0, 1, v0
	v_dual_mul_f32 v6, v2, v6 :: v_dual_mul_f32 v7, v2, v7
	v_dual_mul_f32 v3, v2, v9 :: v_dual_mul_f32 v9, v2, v11
	s_delay_alu instid0(VALU_DEP_4) | instskip(SKIP_2) | instid1(VALU_DEP_4)
	v_dual_mul_f32 v10, v2, v10 :: v_dual_mul_f32 v11, v2, v12
	v_mul_f32_e32 v8, v2, v8
	v_add_nc_u64_e32 v[0:1], v[4:5], v[0:1]
	v_cvt_pk_f16_f32 v3, v3, v9
	v_cvt_pk_f16_f32 v2, v13, v7
	;; [unrolled: 1-line block ×4, first 2 shown]
	s_clause 0x1
	global_store_b64 v[0:1], v[2:3], off
	global_store_b64 v[0:1], v[4:5], off offset:32
	s_endpgm
	.section	.rodata,"a",@progbits
	.p2align	6, 0x0
	.amdhsa_kernel _ZL23dequantize_block_iq4_nlIN3c104HalfEEvPKvPT_
		.amdhsa_group_segment_fixed_size 0
		.amdhsa_private_segment_fixed_size 0
		.amdhsa_kernarg_size 16
		.amdhsa_user_sgpr_count 2
		.amdhsa_user_sgpr_dispatch_ptr 0
		.amdhsa_user_sgpr_queue_ptr 0
		.amdhsa_user_sgpr_kernarg_segment_ptr 1
		.amdhsa_user_sgpr_dispatch_id 0
		.amdhsa_user_sgpr_kernarg_preload_length 0
		.amdhsa_user_sgpr_kernarg_preload_offset 0
		.amdhsa_user_sgpr_private_segment_size 0
		.amdhsa_wavefront_size32 1
		.amdhsa_uses_dynamic_stack 0
		.amdhsa_enable_private_segment 0
		.amdhsa_system_sgpr_workgroup_id_x 1
		.amdhsa_system_sgpr_workgroup_id_y 0
		.amdhsa_system_sgpr_workgroup_id_z 0
		.amdhsa_system_sgpr_workgroup_info 0
		.amdhsa_system_vgpr_workitem_id 0
		.amdhsa_next_free_vgpr 21
		.amdhsa_next_free_sgpr 9
		.amdhsa_named_barrier_count 0
		.amdhsa_reserve_vcc 0
		.amdhsa_float_round_mode_32 0
		.amdhsa_float_round_mode_16_64 0
		.amdhsa_float_denorm_mode_32 3
		.amdhsa_float_denorm_mode_16_64 3
		.amdhsa_fp16_overflow 0
		.amdhsa_memory_ordered 1
		.amdhsa_forward_progress 1
		.amdhsa_inst_pref_size 5
		.amdhsa_round_robin_scheduling 0
		.amdhsa_exception_fp_ieee_invalid_op 0
		.amdhsa_exception_fp_denorm_src 0
		.amdhsa_exception_fp_ieee_div_zero 0
		.amdhsa_exception_fp_ieee_overflow 0
		.amdhsa_exception_fp_ieee_underflow 0
		.amdhsa_exception_fp_ieee_inexact 0
		.amdhsa_exception_int_div_zero 0
	.end_amdhsa_kernel
	.section	.text._ZL23dequantize_block_iq4_nlIN3c104HalfEEvPKvPT_,"axG",@progbits,_ZL23dequantize_block_iq4_nlIN3c104HalfEEvPKvPT_,comdat
.Lfunc_end33:
	.size	_ZL23dequantize_block_iq4_nlIN3c104HalfEEvPKvPT_, .Lfunc_end33-_ZL23dequantize_block_iq4_nlIN3c104HalfEEvPKvPT_
                                        ; -- End function
	.set _ZL23dequantize_block_iq4_nlIN3c104HalfEEvPKvPT_.num_vgpr, 21
	.set _ZL23dequantize_block_iq4_nlIN3c104HalfEEvPKvPT_.num_agpr, 0
	.set _ZL23dequantize_block_iq4_nlIN3c104HalfEEvPKvPT_.numbered_sgpr, 9
	.set _ZL23dequantize_block_iq4_nlIN3c104HalfEEvPKvPT_.num_named_barrier, 0
	.set _ZL23dequantize_block_iq4_nlIN3c104HalfEEvPKvPT_.private_seg_size, 0
	.set _ZL23dequantize_block_iq4_nlIN3c104HalfEEvPKvPT_.uses_vcc, 0
	.set _ZL23dequantize_block_iq4_nlIN3c104HalfEEvPKvPT_.uses_flat_scratch, 0
	.set _ZL23dequantize_block_iq4_nlIN3c104HalfEEvPKvPT_.has_dyn_sized_stack, 0
	.set _ZL23dequantize_block_iq4_nlIN3c104HalfEEvPKvPT_.has_recursion, 0
	.set _ZL23dequantize_block_iq4_nlIN3c104HalfEEvPKvPT_.has_indirect_call, 0
	.section	.AMDGPU.csdata,"",@progbits
; Kernel info:
; codeLenInByte = 544
; TotalNumSgprs: 9
; NumVgprs: 21
; ScratchSize: 0
; MemoryBound: 0
; FloatMode: 240
; IeeeMode: 1
; LDSByteSize: 0 bytes/workgroup (compile time only)
; SGPRBlocks: 0
; VGPRBlocks: 1
; NumSGPRsForWavesPerEU: 9
; NumVGPRsForWavesPerEU: 21
; NamedBarCnt: 0
; Occupancy: 16
; WaveLimiterHint : 0
; COMPUTE_PGM_RSRC2:SCRATCH_EN: 0
; COMPUTE_PGM_RSRC2:USER_SGPR: 2
; COMPUTE_PGM_RSRC2:TRAP_HANDLER: 0
; COMPUTE_PGM_RSRC2:TGID_X_EN: 1
; COMPUTE_PGM_RSRC2:TGID_Y_EN: 0
; COMPUTE_PGM_RSRC2:TGID_Z_EN: 0
; COMPUTE_PGM_RSRC2:TIDIG_COMP_CNT: 0
	.section	.text._ZL22dequantize_block_iq3_sIN3c104HalfEEvPKvPT_,"axG",@progbits,_ZL22dequantize_block_iq3_sIN3c104HalfEEvPKvPT_,comdat
	.globl	_ZL22dequantize_block_iq3_sIN3c104HalfEEvPKvPT_ ; -- Begin function _ZL22dequantize_block_iq3_sIN3c104HalfEEvPKvPT_
	.p2align	8
	.type	_ZL22dequantize_block_iq3_sIN3c104HalfEEvPKvPT_,@function
_ZL22dequantize_block_iq3_sIN3c104HalfEEvPKvPT_: ; @_ZL22dequantize_block_iq3_sIN3c104HalfEEvPKvPT_
; %bb.0:
	s_load_b128 s[0:3], s[0:1], 0x0
	s_bfe_u32 s4, ttmp6, 0x4000c
	s_and_b32 s5, ttmp6, 15
	s_add_co_i32 s4, s4, 1
	s_getreg_b32 s6, hwreg(HW_REG_IB_STS2, 6, 4)
	s_mul_i32 s4, ttmp9, s4
	v_dual_mov_b32 v5, 0 :: v_dual_bitop2_b32 v1, 7, v0 bitop3:0x40
	s_add_co_i32 s4, s5, s4
	s_cmp_eq_u32 s6, 0
	s_mov_b32 s5, 0
	s_cselect_b32 s6, ttmp9, s4
	v_dual_lshlrev_b32 v4, 6, v1 :: v_dual_lshrrev_b32 v8, 3, v0
	s_lshl_b32 s4, s6, 8
	v_and_b32_e32 v6, 0x3f8, v0
	s_lshl_b64 s[8:9], s[4:5], 1
	s_mov_b32 s7, s5
	v_bfe_u32 v9, v0, 1, 2
	v_lshlrev_b32_e32 v0, 2, v0
	s_wait_kmcnt 0x0
	s_add_nc_u64 s[2:3], s[2:3], s[8:9]
	s_delay_alu instid0(SALU_CYCLE_1) | instskip(SKIP_4) | instid1(VALU_DEP_2)
	v_add_nc_u64_e32 v[2:3], s[2:3], v[4:5]
	v_lshlrev_b32_e32 v4, 1, v6
	s_mul_u64 s[2:3], s[6:7], 0x6e
	v_and_b32_e32 v0, 4, v0
	s_add_nc_u64 s[0:1], s[0:1], s[2:3]
	v_add_nc_u64_e32 v[2:3], v[2:3], v[4:5]
	v_lshlrev_b32_e32 v4, 3, v1
	s_delay_alu instid0(VALU_DEP_1) | instskip(SKIP_2) | instid1(VALU_DEP_2)
	v_add_nc_u64_e32 v[6:7], s[0:1], v[4:5]
	v_lshlrev_b32_e32 v4, 1, v8
	v_lshl_add_u32 v8, v1, 2, v8
	v_add_nc_u64_e32 v[6:7], v[6:7], v[4:5]
	s_clause 0x4
	global_load_u16 v10, v[6:7], off offset:2
	global_load_u8 v11, v9, s[0:1] offset:106
	global_load_i8 v12, v8, s[0:1] offset:74
	global_load_u8 v13, v1, s[0:1] offset:66
	global_load_u16 v5, v5, s[0:1]
	s_wait_xcnt 0x0
	s_get_pc_i64 s[0:1]
	s_add_nc_u64 s[0:1], s[0:1], _ZL10iq3xs_grid@rel64+4
	s_wait_loadcnt 0x4
	v_and_b32_e32 v6, 0xff, v10
	s_wait_loadcnt 0x3
	v_bfe_u32 v0, v11, v0, 4
	v_lshrrev_b16 v7, 8, v10
	s_wait_loadcnt 0x0
	v_cvt_f32_f16_e32 v5, v5
	s_delay_alu instid0(VALU_DEP_3) | instskip(NEXT) | instid1(VALU_DEP_1)
	v_cvt_f32_ubyte0_e32 v0, v0
	v_add_f32_e32 v0, 0.5, v0
	s_delay_alu instid0(VALU_DEP_1) | instskip(SKIP_1) | instid1(VALU_DEP_2)
	v_dual_mul_f32 v0, v0, v5 :: v_dual_sub_nc_u32 v1, 8, v4
	v_sub_nc_u32_e32 v4, 7, v4
	v_dual_mul_f32 v0, 0.5, v0 :: v_dual_lshlrev_b32 v1, v1, v13
	s_delay_alu instid0(VALU_DEP_2) | instskip(NEXT) | instid1(VALU_DEP_2)
	v_lshlrev_b32_e32 v4, v4, v13
	v_and_or_b32 v1, 0x100, v1, v6
	v_and_b32_e32 v6, 0xffff, v7
	global_load_b32 v1, v1, s[0:1] scale_offset
	v_and_or_b32 v4, 0x100, v4, v6
	v_and_b32_e32 v6, 1, v12
	global_load_b32 v4, v4, s[0:1] scale_offset
	v_cmp_eq_u16_e32 vcc_lo, 0, v6
	s_wait_loadcnt 0x1
	v_cvt_f32_ubyte0_e32 v11, v1
	v_and_b32_e32 v7, 16, v12
	v_cvt_f32_ubyte1_e32 v14, v1
	v_cvt_f32_ubyte2_e32 v15, v1
	v_cvt_f32_ubyte3_e32 v1, v1
	v_dual_mul_f32 v11, v0, v11 :: v_dual_bitop2_b32 v9, 4, v12 bitop3:0x40
	s_delay_alu instid0(VALU_DEP_3)
	v_dual_mul_f32 v15, v0, v15 :: v_dual_bitop2_b32 v8, 32, v12 bitop3:0x40
	s_wait_loadcnt 0x0
	v_cvt_f32_ubyte2_e32 v18, v4
	v_dual_mul_f32 v1, v0, v1 :: v_dual_bitop2_b32 v13, 8, v12 bitop3:0x40
	v_cndmask_b32_e64 v11, -v11, v11, vcc_lo
	v_cmp_eq_u16_e32 vcc_lo, 0, v9
	v_cvt_f32_ubyte0_e32 v16, v4
	v_cvt_f32_ubyte1_e32 v17, v4
	v_cvt_f32_ubyte3_e32 v4, v4
	v_cndmask_b32_e64 v9, -v15, v15, vcc_lo
	v_cmp_eq_u16_e32 vcc_lo, 0, v13
	v_dual_cndmask_b32 v1, -v1, v1, vcc_lo :: v_dual_mul_f32 v15, v0, v18
	v_mul_f32_e32 v6, v0, v16
	v_cmp_eq_u16_e32 vcc_lo, 0, v7
	v_dual_mul_f32 v14, v0, v14 :: v_dual_bitop2_b32 v5, 2, v12 bitop3:0x40
	v_dual_mul_f32 v16, v0, v17 :: v_dual_bitop2_b32 v10, 64, v12 bitop3:0x40
	s_delay_alu instid0(VALU_DEP_4) | instskip(SKIP_1) | instid1(VALU_DEP_3)
	v_dual_mul_f32 v0, v0, v4 :: v_dual_cndmask_b32 v4, -v6, v6, vcc_lo
	v_cmp_eq_u16_e32 vcc_lo, 0, v8
	v_cndmask_b32_e64 v6, -v16, v16, vcc_lo
	s_delay_alu instid0(VALU_DEP_4)
	v_cmp_eq_u16_e32 vcc_lo, 0, v10
	v_cndmask_b32_e64 v7, -v15, v15, vcc_lo
	v_cmp_gt_i16_e32 vcc_lo, 0, v12
	v_cndmask_b32_e64 v0, v0, -v0, vcc_lo
	v_cmp_eq_u16_e32 vcc_lo, 0, v5
	v_cvt_pk_f16_f32 v5, v9, v1
	s_delay_alu instid0(VALU_DEP_3) | instskip(SKIP_2) | instid1(VALU_DEP_2)
	v_cvt_pk_f16_f32 v7, v7, v0
	v_cndmask_b32_e64 v8, -v14, v14, vcc_lo
	v_cvt_pk_f16_f32 v6, v4, v6
	v_cvt_pk_f16_f32 v4, v11, v8
	global_store_b128 v[2:3], v[4:7], off
	s_endpgm
	.section	.rodata,"a",@progbits
	.p2align	6, 0x0
	.amdhsa_kernel _ZL22dequantize_block_iq3_sIN3c104HalfEEvPKvPT_
		.amdhsa_group_segment_fixed_size 0
		.amdhsa_private_segment_fixed_size 0
		.amdhsa_kernarg_size 16
		.amdhsa_user_sgpr_count 2
		.amdhsa_user_sgpr_dispatch_ptr 0
		.amdhsa_user_sgpr_queue_ptr 0
		.amdhsa_user_sgpr_kernarg_segment_ptr 1
		.amdhsa_user_sgpr_dispatch_id 0
		.amdhsa_user_sgpr_kernarg_preload_length 0
		.amdhsa_user_sgpr_kernarg_preload_offset 0
		.amdhsa_user_sgpr_private_segment_size 0
		.amdhsa_wavefront_size32 1
		.amdhsa_uses_dynamic_stack 0
		.amdhsa_enable_private_segment 0
		.amdhsa_system_sgpr_workgroup_id_x 1
		.amdhsa_system_sgpr_workgroup_id_y 0
		.amdhsa_system_sgpr_workgroup_id_z 0
		.amdhsa_system_sgpr_workgroup_info 0
		.amdhsa_system_vgpr_workitem_id 0
		.amdhsa_next_free_vgpr 19
		.amdhsa_next_free_sgpr 10
		.amdhsa_named_barrier_count 0
		.amdhsa_reserve_vcc 1
		.amdhsa_float_round_mode_32 0
		.amdhsa_float_round_mode_16_64 0
		.amdhsa_float_denorm_mode_32 3
		.amdhsa_float_denorm_mode_16_64 3
		.amdhsa_fp16_overflow 0
		.amdhsa_memory_ordered 1
		.amdhsa_forward_progress 1
		.amdhsa_inst_pref_size 6
		.amdhsa_round_robin_scheduling 0
		.amdhsa_exception_fp_ieee_invalid_op 0
		.amdhsa_exception_fp_denorm_src 0
		.amdhsa_exception_fp_ieee_div_zero 0
		.amdhsa_exception_fp_ieee_overflow 0
		.amdhsa_exception_fp_ieee_underflow 0
		.amdhsa_exception_fp_ieee_inexact 0
		.amdhsa_exception_int_div_zero 0
	.end_amdhsa_kernel
	.section	.text._ZL22dequantize_block_iq3_sIN3c104HalfEEvPKvPT_,"axG",@progbits,_ZL22dequantize_block_iq3_sIN3c104HalfEEvPKvPT_,comdat
.Lfunc_end34:
	.size	_ZL22dequantize_block_iq3_sIN3c104HalfEEvPKvPT_, .Lfunc_end34-_ZL22dequantize_block_iq3_sIN3c104HalfEEvPKvPT_
                                        ; -- End function
	.set _ZL22dequantize_block_iq3_sIN3c104HalfEEvPKvPT_.num_vgpr, 19
	.set _ZL22dequantize_block_iq3_sIN3c104HalfEEvPKvPT_.num_agpr, 0
	.set _ZL22dequantize_block_iq3_sIN3c104HalfEEvPKvPT_.numbered_sgpr, 10
	.set _ZL22dequantize_block_iq3_sIN3c104HalfEEvPKvPT_.num_named_barrier, 0
	.set _ZL22dequantize_block_iq3_sIN3c104HalfEEvPKvPT_.private_seg_size, 0
	.set _ZL22dequantize_block_iq3_sIN3c104HalfEEvPKvPT_.uses_vcc, 1
	.set _ZL22dequantize_block_iq3_sIN3c104HalfEEvPKvPT_.uses_flat_scratch, 0
	.set _ZL22dequantize_block_iq3_sIN3c104HalfEEvPKvPT_.has_dyn_sized_stack, 0
	.set _ZL22dequantize_block_iq3_sIN3c104HalfEEvPKvPT_.has_recursion, 0
	.set _ZL22dequantize_block_iq3_sIN3c104HalfEEvPKvPT_.has_indirect_call, 0
	.section	.AMDGPU.csdata,"",@progbits
; Kernel info:
; codeLenInByte = 676
; TotalNumSgprs: 12
; NumVgprs: 19
; ScratchSize: 0
; MemoryBound: 0
; FloatMode: 240
; IeeeMode: 1
; LDSByteSize: 0 bytes/workgroup (compile time only)
; SGPRBlocks: 0
; VGPRBlocks: 1
; NumSGPRsForWavesPerEU: 12
; NumVGPRsForWavesPerEU: 19
; NamedBarCnt: 0
; Occupancy: 16
; WaveLimiterHint : 0
; COMPUTE_PGM_RSRC2:SCRATCH_EN: 0
; COMPUTE_PGM_RSRC2:USER_SGPR: 2
; COMPUTE_PGM_RSRC2:TRAP_HANDLER: 0
; COMPUTE_PGM_RSRC2:TGID_X_EN: 1
; COMPUTE_PGM_RSRC2:TGID_Y_EN: 0
; COMPUTE_PGM_RSRC2:TGID_Z_EN: 0
; COMPUTE_PGM_RSRC2:TIDIG_COMP_CNT: 0
	.section	.text._ZL22dequantize_block_iq2_sIN3c104HalfEEvPKvPT_,"axG",@progbits,_ZL22dequantize_block_iq2_sIN3c104HalfEEvPKvPT_,comdat
	.globl	_ZL22dequantize_block_iq2_sIN3c104HalfEEvPKvPT_ ; -- Begin function _ZL22dequantize_block_iq2_sIN3c104HalfEEvPKvPT_
	.p2align	8
	.type	_ZL22dequantize_block_iq2_sIN3c104HalfEEvPKvPT_,@function
_ZL22dequantize_block_iq2_sIN3c104HalfEEvPKvPT_: ; @_ZL22dequantize_block_iq2_sIN3c104HalfEEvPKvPT_
; %bb.0:
	s_load_b128 s[0:3], s[0:1], 0x0
	s_bfe_u32 s6, ttmp6, 0x4000c
	s_and_b32 s4, ttmp6, 15
	s_add_co_i32 s6, s6, 1
	s_getreg_b32 s8, hwreg(HW_REG_IB_STS2, 6, 4)
	s_mul_i32 s6, ttmp9, s6
	v_dual_lshrrev_b32 v1, 3, v0 :: v_dual_bitop2_b32 v4, 7, v0 bitop3:0x40
	s_add_co_i32 s4, s4, s6
	s_mov_b32 s5, 0
	s_cmp_eq_u32 s8, 0
	s_mov_b32 s7, s5
	s_cselect_b32 s6, ttmp9, s4
	v_lshl_add_u32 v2, v4, 2, v1
	s_mul_u64 s[8:9], s[6:7], 0x52
	s_lshl_b32 s4, s6, 8
	s_wait_kmcnt 0x0
	s_add_nc_u64 s[0:1], s[0:1], s[8:9]
	s_clause 0x3
	global_load_u8 v3, v4, s[0:1] offset:66
	global_load_u8 v5, v2, s[0:1] offset:2
	global_load_i8 v6, v2, s[0:1] offset:34
	global_load_u8 v7, v4, s[0:1] offset:74
	s_wait_xcnt 0x1
	v_dual_mov_b32 v1, 0 :: v_dual_lshlrev_b32 v2, 1, v1
	s_delay_alu instid0(VALU_DEP_1)
	v_sub_nc_u32_e32 v2, 8, v2
	global_load_u16 v8, v1, s[0:1]
	s_wait_xcnt 0x0
	s_get_pc_i64 s[0:1]
	s_add_nc_u64 s[0:1], s[0:1], _ZL9iq2s_grid@rel64+4
	s_wait_loadcnt 0x4
	v_lshlrev_b32_e32 v2, v2, v3
	s_wait_loadcnt 0x3
	s_delay_alu instid0(VALU_DEP_1)
	v_and_or_b32 v2, 0x300, v2, v5
	v_lshrrev_b32_e32 v5, 2, v0
	s_wait_loadcnt 0x0
	v_cvt_f32_f16_e32 v8, v8
	global_load_b64 v[2:3], v2, s[0:1] scale_offset
	v_and_b32_e32 v5, 0xfc, v5
	s_wait_xcnt 0x0
	s_lshl_b64 s[0:1], s[4:5], 1
	s_delay_alu instid0(SALU_CYCLE_1) | instskip(NEXT) | instid1(VALU_DEP_1)
	s_add_nc_u64 s[0:1], s[2:3], s[0:1]
	v_bfe_u32 v5, v7, v5, 4
	v_and_b32_e32 v7, 0x3f8, v0
	v_lshlrev_b32_e32 v0, 6, v4
	s_delay_alu instid0(VALU_DEP_3) | instskip(NEXT) | instid1(VALU_DEP_2)
	v_cvt_f32_ubyte0_e32 v9, v5
	v_add_nc_u64_e32 v[4:5], s[0:1], v[0:1]
	s_delay_alu instid0(VALU_DEP_2) | instskip(SKIP_1) | instid1(VALU_DEP_2)
	v_dual_add_f32 v9, 0.5, v9 :: v_dual_lshlrev_b32 v0, 1, v7
	v_and_b32_e32 v7, 1, v6
	v_add_nc_u64_e32 v[4:5], v[4:5], v[0:1]
	s_delay_alu instid0(VALU_DEP_3) | instskip(NEXT) | instid1(VALU_DEP_3)
	v_mul_f32_e32 v8, v9, v8
	v_cmp_eq_u16_e32 vcc_lo, 0, v7
	s_delay_alu instid0(VALU_DEP_2)
	v_mul_f32_e32 v8, 0x3e800000, v8
	s_wait_loadcnt 0x0
	v_cvt_f32_ubyte0_e32 v15, v2
	v_and_b32_e32 v10, 2, v6
	v_cvt_f32_ubyte1_e32 v16, v2
	v_and_b32_e32 v11, 4, v6
	v_cvt_f32_ubyte2_e32 v17, v2
	v_cvt_f32_ubyte3_e32 v2, v2
	v_dual_mul_f32 v15, v8, v15 :: v_dual_bitop2_b32 v9, 8, v6 bitop3:0x40
	v_cvt_f32_ubyte0_e32 v18, v3
	v_cvt_f32_ubyte1_e32 v19, v3
	v_cvt_f32_ubyte2_e32 v20, v3
	v_cvt_f32_ubyte3_e32 v3, v3
	v_dual_mul_f32 v16, v8, v16 :: v_dual_mul_f32 v17, v8, v17
	v_dual_mul_f32 v2, v8, v2 :: v_dual_cndmask_b32 v7, -v15, v15, vcc_lo
	v_cmp_eq_u16_e32 vcc_lo, 0, v11
	v_dual_mul_f32 v19, v8, v19 :: v_dual_bitop2_b32 v12, 16, v6 bitop3:0x40
	v_dual_mul_f32 v20, v8, v20 :: v_dual_bitop2_b32 v13, 32, v6 bitop3:0x40
	;; [unrolled: 1-line block ×3, first 2 shown]
	v_dual_mul_f32 v18, v8, v18 :: v_dual_cndmask_b32 v8, -v17, v17, vcc_lo
	v_cmp_eq_u16_e32 vcc_lo, 0, v9
	v_cndmask_b32_e64 v9, -v2, v2, vcc_lo
	v_cmp_eq_u16_e32 vcc_lo, 0, v12
	s_delay_alu instid0(VALU_DEP_4)
	v_cndmask_b32_e64 v2, -v18, v18, vcc_lo
	v_cmp_eq_u16_e32 vcc_lo, 0, v14
	v_cndmask_b32_e64 v11, -v20, v20, vcc_lo
	v_cmp_gt_i16_e32 vcc_lo, 0, v6
	v_cvt_pk_f16_f32 v1, v8, v9
	v_cndmask_b32_e64 v3, v3, -v3, vcc_lo
	v_cmp_eq_u16_e32 vcc_lo, 0, v13
	s_delay_alu instid0(VALU_DEP_2) | instskip(SKIP_3) | instid1(VALU_DEP_3)
	v_cvt_pk_f16_f32 v3, v11, v3
	v_cndmask_b32_e64 v6, -v19, v19, vcc_lo
	v_cmp_eq_u16_e32 vcc_lo, 0, v10
	v_cndmask_b32_e64 v10, -v16, v16, vcc_lo
	v_cvt_pk_f16_f32 v2, v2, v6
	s_delay_alu instid0(VALU_DEP_2)
	v_cvt_pk_f16_f32 v0, v7, v10
	global_store_b128 v[4:5], v[0:3], off
	s_endpgm
	.section	.rodata,"a",@progbits
	.p2align	6, 0x0
	.amdhsa_kernel _ZL22dequantize_block_iq2_sIN3c104HalfEEvPKvPT_
		.amdhsa_group_segment_fixed_size 0
		.amdhsa_private_segment_fixed_size 0
		.amdhsa_kernarg_size 16
		.amdhsa_user_sgpr_count 2
		.amdhsa_user_sgpr_dispatch_ptr 0
		.amdhsa_user_sgpr_queue_ptr 0
		.amdhsa_user_sgpr_kernarg_segment_ptr 1
		.amdhsa_user_sgpr_dispatch_id 0
		.amdhsa_user_sgpr_kernarg_preload_length 0
		.amdhsa_user_sgpr_kernarg_preload_offset 0
		.amdhsa_user_sgpr_private_segment_size 0
		.amdhsa_wavefront_size32 1
		.amdhsa_uses_dynamic_stack 0
		.amdhsa_enable_private_segment 0
		.amdhsa_system_sgpr_workgroup_id_x 1
		.amdhsa_system_sgpr_workgroup_id_y 0
		.amdhsa_system_sgpr_workgroup_id_z 0
		.amdhsa_system_sgpr_workgroup_info 0
		.amdhsa_system_vgpr_workitem_id 0
		.amdhsa_next_free_vgpr 21
		.amdhsa_next_free_sgpr 10
		.amdhsa_named_barrier_count 0
		.amdhsa_reserve_vcc 1
		.amdhsa_float_round_mode_32 0
		.amdhsa_float_round_mode_16_64 0
		.amdhsa_float_denorm_mode_32 3
		.amdhsa_float_denorm_mode_16_64 3
		.amdhsa_fp16_overflow 0
		.amdhsa_memory_ordered 1
		.amdhsa_forward_progress 1
		.amdhsa_inst_pref_size 5
		.amdhsa_round_robin_scheduling 0
		.amdhsa_exception_fp_ieee_invalid_op 0
		.amdhsa_exception_fp_denorm_src 0
		.amdhsa_exception_fp_ieee_div_zero 0
		.amdhsa_exception_fp_ieee_overflow 0
		.amdhsa_exception_fp_ieee_underflow 0
		.amdhsa_exception_fp_ieee_inexact 0
		.amdhsa_exception_int_div_zero 0
	.end_amdhsa_kernel
	.section	.text._ZL22dequantize_block_iq2_sIN3c104HalfEEvPKvPT_,"axG",@progbits,_ZL22dequantize_block_iq2_sIN3c104HalfEEvPKvPT_,comdat
.Lfunc_end35:
	.size	_ZL22dequantize_block_iq2_sIN3c104HalfEEvPKvPT_, .Lfunc_end35-_ZL22dequantize_block_iq2_sIN3c104HalfEEvPKvPT_
                                        ; -- End function
	.set _ZL22dequantize_block_iq2_sIN3c104HalfEEvPKvPT_.num_vgpr, 21
	.set _ZL22dequantize_block_iq2_sIN3c104HalfEEvPKvPT_.num_agpr, 0
	.set _ZL22dequantize_block_iq2_sIN3c104HalfEEvPKvPT_.numbered_sgpr, 10
	.set _ZL22dequantize_block_iq2_sIN3c104HalfEEvPKvPT_.num_named_barrier, 0
	.set _ZL22dequantize_block_iq2_sIN3c104HalfEEvPKvPT_.private_seg_size, 0
	.set _ZL22dequantize_block_iq2_sIN3c104HalfEEvPKvPT_.uses_vcc, 1
	.set _ZL22dequantize_block_iq2_sIN3c104HalfEEvPKvPT_.uses_flat_scratch, 0
	.set _ZL22dequantize_block_iq2_sIN3c104HalfEEvPKvPT_.has_dyn_sized_stack, 0
	.set _ZL22dequantize_block_iq2_sIN3c104HalfEEvPKvPT_.has_recursion, 0
	.set _ZL22dequantize_block_iq2_sIN3c104HalfEEvPKvPT_.has_indirect_call, 0
	.section	.AMDGPU.csdata,"",@progbits
; Kernel info:
; codeLenInByte = 608
; TotalNumSgprs: 12
; NumVgprs: 21
; ScratchSize: 0
; MemoryBound: 0
; FloatMode: 240
; IeeeMode: 1
; LDSByteSize: 0 bytes/workgroup (compile time only)
; SGPRBlocks: 0
; VGPRBlocks: 1
; NumSGPRsForWavesPerEU: 12
; NumVGPRsForWavesPerEU: 21
; NamedBarCnt: 0
; Occupancy: 16
; WaveLimiterHint : 0
; COMPUTE_PGM_RSRC2:SCRATCH_EN: 0
; COMPUTE_PGM_RSRC2:USER_SGPR: 2
; COMPUTE_PGM_RSRC2:TRAP_HANDLER: 0
; COMPUTE_PGM_RSRC2:TGID_X_EN: 1
; COMPUTE_PGM_RSRC2:TGID_Y_EN: 0
; COMPUTE_PGM_RSRC2:TGID_Z_EN: 0
; COMPUTE_PGM_RSRC2:TIDIG_COMP_CNT: 0
	.section	.text._ZL23dequantize_block_iq4_xsIN3c104HalfEEvPKvPT_,"axG",@progbits,_ZL23dequantize_block_iq4_xsIN3c104HalfEEvPKvPT_,comdat
	.globl	_ZL23dequantize_block_iq4_xsIN3c104HalfEEvPKvPT_ ; -- Begin function _ZL23dequantize_block_iq4_xsIN3c104HalfEEvPKvPT_
	.p2align	8
	.type	_ZL23dequantize_block_iq4_xsIN3c104HalfEEvPKvPT_,@function
_ZL23dequantize_block_iq4_xsIN3c104HalfEEvPKvPT_: ; @_ZL23dequantize_block_iq4_xsIN3c104HalfEEvPKvPT_
; %bb.0:
	s_load_b128 s[0:3], s[0:1], 0x0
	s_bfe_u32 s6, ttmp6, 0x4000c
	s_and_b32 s4, ttmp6, 15
	s_add_co_i32 s6, s6, 1
	s_getreg_b32 s8, hwreg(HW_REG_IB_STS2, 6, 4)
	s_mul_i32 s6, ttmp9, s6
	v_dual_mov_b32 v3, 0 :: v_dual_bitop2_b32 v1, 7, v0 bitop3:0x40
	s_add_co_i32 s4, s4, s6
	s_mov_b32 s5, 0
	s_cmp_eq_u32 s8, 0
	s_mov_b32 s7, s5
	s_cselect_b32 s6, ttmp9, s4
	v_dual_mov_b32 v5, v3 :: v_dual_lshrrev_b32 v8, 1, v0
	v_dual_lshlrev_b32 v2, 6, v1 :: v_dual_lshlrev_b32 v4, 4, v1
	s_lshl_b32 s4, s6, 8
	s_mul_u64 s[6:7], s[6:7], 0x88
	s_lshl_b64 s[4:5], s[4:5], 1
	s_wait_kmcnt 0x0
	s_add_nc_u64 s[0:1], s[0:1], s[6:7]
	s_add_nc_u64 s[2:3], s[2:3], s[4:5]
	v_add_nc_u64_e32 v[4:5], s[0:1], v[4:5]
	v_add_nc_u64_e32 v[6:7], s[2:3], v[2:3]
	v_and_b32_e32 v2, 0x1fc, v8
	v_lshlrev_b32_e32 v1, 1, v1
	s_delay_alu instid0(VALU_DEP_2)
	v_add_nc_u64_e32 v[4:5], v[4:5], v[2:3]
	s_clause 0x1
	global_load_b32 v8, v[4:5], off offset:8
	global_load_b32 v9, v3, s[0:1]
	s_wait_xcnt 0x1
	v_bfe_u32 v4, v0, 1, 2
	v_dual_lshlrev_b32 v0, 2, v0 :: v_dual_lshlrev_b32 v2, 1, v2
	global_load_u8 v4, v4, s[0:1] offset:4
	s_wait_xcnt 0x0
	s_get_pc_i64 s[0:1]
	s_add_nc_u64 s[0:1], s[0:1], _ZL13kvalues_iq4nl@rel64+4
	v_and_b32_e32 v0, 4, v0
	s_wait_loadcnt 0x2
	v_and_b32_e32 v5, 15, v8
	v_bfe_u32 v10, v8, 4, 4
	v_bfe_u32 v11, v8, 8, 4
	;; [unrolled: 1-line block ×6, first 2 shown]
	v_lshrrev_b32_e32 v8, 28, v8
	s_clause 0x7
	global_load_i8 v16, v5, s[0:1]
	global_load_i8 v17, v10, s[0:1]
	;; [unrolled: 1-line block ×8, first 2 shown]
	s_wait_loadcnt 0x9
	s_wait_xcnt 0x7
	v_lshrrev_b32_e32 v5, 16, v9
	s_wait_loadcnt 0x8
	v_bfe_u32 v0, v4, v0, 4
	s_delay_alu instid0(VALU_DEP_2) | instskip(SKIP_2) | instid1(VALU_DEP_2)
	v_lshrrev_b32_e32 v1, v1, v5
	s_wait_loadcnt 0x6
	v_cvt_f32_i32_e32 v4, v17
	v_lshlrev_b32_e32 v1, 4, v1
	s_wait_loadcnt 0x5
	v_cvt_f32_i32_e32 v5, v18
	s_wait_loadcnt 0x4
	s_wait_xcnt 0x0
	v_cvt_f32_i32_e32 v8, v19
	s_wait_loadcnt 0x2
	v_cvt_f32_i32_e32 v10, v21
	s_wait_loadcnt 0x1
	v_cvt_f32_i32_e32 v11, v22
	v_and_or_b32 v0, v1, 48, v0
	v_cvt_f32_f16_e32 v1, v9
	v_cvt_f32_i32_e32 v9, v20
	s_wait_loadcnt 0x0
	v_cvt_f32_i32_e32 v12, v23
	v_subrev_nc_u32_e32 v0, 32, v0
	s_delay_alu instid0(VALU_DEP_1) | instskip(NEXT) | instid1(VALU_DEP_1)
	v_cvt_f32_i32_e32 v0, v0
	v_mul_f32_e32 v0, v1, v0
	v_cvt_f32_i32_e32 v1, v16
	s_delay_alu instid0(VALU_DEP_2) | instskip(NEXT) | instid1(VALU_DEP_2)
	v_dual_mul_f32 v5, v0, v5 :: v_dual_mul_f32 v10, v0, v10
	v_dual_mul_f32 v13, v0, v1 :: v_dual_mul_f32 v11, v0, v11
	;; [unrolled: 1-line block ×3, first 2 shown]
	v_mul_f32_e32 v4, v0, v4
	v_mul_f32_e32 v8, v0, v8
	v_add_nc_u64_e32 v[0:1], v[6:7], v[2:3]
	s_delay_alu instid0(VALU_DEP_4)
	v_cvt_pk_f16_f32 v3, v9, v11
	v_cvt_pk_f16_f32 v2, v13, v5
	;; [unrolled: 1-line block ×4, first 2 shown]
	s_clause 0x1
	global_store_b64 v[0:1], v[2:3], off
	global_store_b64 v[0:1], v[4:5], off offset:32
	s_endpgm
	.section	.rodata,"a",@progbits
	.p2align	6, 0x0
	.amdhsa_kernel _ZL23dequantize_block_iq4_xsIN3c104HalfEEvPKvPT_
		.amdhsa_group_segment_fixed_size 0
		.amdhsa_private_segment_fixed_size 0
		.amdhsa_kernarg_size 16
		.amdhsa_user_sgpr_count 2
		.amdhsa_user_sgpr_dispatch_ptr 0
		.amdhsa_user_sgpr_queue_ptr 0
		.amdhsa_user_sgpr_kernarg_segment_ptr 1
		.amdhsa_user_sgpr_dispatch_id 0
		.amdhsa_user_sgpr_kernarg_preload_length 0
		.amdhsa_user_sgpr_kernarg_preload_offset 0
		.amdhsa_user_sgpr_private_segment_size 0
		.amdhsa_wavefront_size32 1
		.amdhsa_uses_dynamic_stack 0
		.amdhsa_enable_private_segment 0
		.amdhsa_system_sgpr_workgroup_id_x 1
		.amdhsa_system_sgpr_workgroup_id_y 0
		.amdhsa_system_sgpr_workgroup_id_z 0
		.amdhsa_system_sgpr_workgroup_info 0
		.amdhsa_system_vgpr_workitem_id 0
		.amdhsa_next_free_vgpr 24
		.amdhsa_next_free_sgpr 9
		.amdhsa_named_barrier_count 0
		.amdhsa_reserve_vcc 0
		.amdhsa_float_round_mode_32 0
		.amdhsa_float_round_mode_16_64 0
		.amdhsa_float_denorm_mode_32 3
		.amdhsa_float_denorm_mode_16_64 3
		.amdhsa_fp16_overflow 0
		.amdhsa_memory_ordered 1
		.amdhsa_forward_progress 1
		.amdhsa_inst_pref_size 5
		.amdhsa_round_robin_scheduling 0
		.amdhsa_exception_fp_ieee_invalid_op 0
		.amdhsa_exception_fp_denorm_src 0
		.amdhsa_exception_fp_ieee_div_zero 0
		.amdhsa_exception_fp_ieee_overflow 0
		.amdhsa_exception_fp_ieee_underflow 0
		.amdhsa_exception_fp_ieee_inexact 0
		.amdhsa_exception_int_div_zero 0
	.end_amdhsa_kernel
	.section	.text._ZL23dequantize_block_iq4_xsIN3c104HalfEEvPKvPT_,"axG",@progbits,_ZL23dequantize_block_iq4_xsIN3c104HalfEEvPKvPT_,comdat
.Lfunc_end36:
	.size	_ZL23dequantize_block_iq4_xsIN3c104HalfEEvPKvPT_, .Lfunc_end36-_ZL23dequantize_block_iq4_xsIN3c104HalfEEvPKvPT_
                                        ; -- End function
	.set _ZL23dequantize_block_iq4_xsIN3c104HalfEEvPKvPT_.num_vgpr, 24
	.set _ZL23dequantize_block_iq4_xsIN3c104HalfEEvPKvPT_.num_agpr, 0
	.set _ZL23dequantize_block_iq4_xsIN3c104HalfEEvPKvPT_.numbered_sgpr, 9
	.set _ZL23dequantize_block_iq4_xsIN3c104HalfEEvPKvPT_.num_named_barrier, 0
	.set _ZL23dequantize_block_iq4_xsIN3c104HalfEEvPKvPT_.private_seg_size, 0
	.set _ZL23dequantize_block_iq4_xsIN3c104HalfEEvPKvPT_.uses_vcc, 0
	.set _ZL23dequantize_block_iq4_xsIN3c104HalfEEvPKvPT_.uses_flat_scratch, 0
	.set _ZL23dequantize_block_iq4_xsIN3c104HalfEEvPKvPT_.has_dyn_sized_stack, 0
	.set _ZL23dequantize_block_iq4_xsIN3c104HalfEEvPKvPT_.has_recursion, 0
	.set _ZL23dequantize_block_iq4_xsIN3c104HalfEEvPKvPT_.has_indirect_call, 0
	.section	.AMDGPU.csdata,"",@progbits
; Kernel info:
; codeLenInByte = 624
; TotalNumSgprs: 9
; NumVgprs: 24
; ScratchSize: 0
; MemoryBound: 0
; FloatMode: 240
; IeeeMode: 1
; LDSByteSize: 0 bytes/workgroup (compile time only)
; SGPRBlocks: 0
; VGPRBlocks: 1
; NumSGPRsForWavesPerEU: 9
; NumVGPRsForWavesPerEU: 24
; NamedBarCnt: 0
; Occupancy: 16
; WaveLimiterHint : 0
; COMPUTE_PGM_RSRC2:SCRATCH_EN: 0
; COMPUTE_PGM_RSRC2:USER_SGPR: 2
; COMPUTE_PGM_RSRC2:TRAP_HANDLER: 0
; COMPUTE_PGM_RSRC2:TGID_X_EN: 1
; COMPUTE_PGM_RSRC2:TGID_Y_EN: 0
; COMPUTE_PGM_RSRC2:TGID_Z_EN: 0
; COMPUTE_PGM_RSRC2:TIDIG_COMP_CNT: 0
	.section	.text._ZL22dequantize_block_iq1_mIN3c104HalfEEvPKvPT_,"axG",@progbits,_ZL22dequantize_block_iq1_mIN3c104HalfEEvPKvPT_,comdat
	.globl	_ZL22dequantize_block_iq1_mIN3c104HalfEEvPKvPT_ ; -- Begin function _ZL22dequantize_block_iq1_mIN3c104HalfEEvPKvPT_
	.p2align	8
	.type	_ZL22dequantize_block_iq1_mIN3c104HalfEEvPKvPT_,@function
_ZL22dequantize_block_iq1_mIN3c104HalfEEvPKvPT_: ; @_ZL22dequantize_block_iq1_mIN3c104HalfEEvPKvPT_
; %bb.0:
	s_load_b128 s[0:3], s[0:1], 0x0
	s_bfe_u32 s4, ttmp6, 0x4000c
	s_and_b32 s6, ttmp6, 15
	s_add_co_i32 s4, s4, 1
	v_dual_mov_b32 v3, 0 :: v_dual_bitop2_b32 v8, 7, v0 bitop3:0x40
	s_mul_i32 s4, ttmp9, s4
	s_getreg_b32 s7, hwreg(HW_REG_IB_STS2, 6, 4)
	s_add_co_i32 s6, s6, s4
	s_cmp_eq_u32 s7, 0
	s_mov_b32 s5, 0
	s_cselect_b32 s4, ttmp9, s6
	v_dual_mov_b32 v5, v3 :: v_dual_lshlrev_b32 v4, 2, v8
	s_mul_u64 s[6:7], s[4:5], 56
	v_dual_lshrrev_b32 v2, 3, v0 :: v_dual_lshrrev_b32 v1, 4, v0
	v_dual_mov_b32 v7, v3 :: v_dual_lshlrev_b32 v6, 1, v8
	s_wait_kmcnt 0x0
	s_add_nc_u64 s[0:1], s[0:1], s[6:7]
	s_delay_alu instid0(SALU_CYCLE_1) | instskip(NEXT) | instid1(VALU_DEP_1)
	v_add_nc_u64_e32 v[4:5], s[0:1], v[4:5]
	v_add_nc_u64_e32 v[4:5], v[4:5], v[2:3]
	v_add_nc_u32_e32 v2, v6, v1
	v_add_nc_u16 v1, v6, v1
	s_delay_alu instid0(VALU_DEP_1) | instskip(NEXT) | instid1(VALU_DEP_1)
	v_lshrrev_b16 v1, 1, v1
	v_and_b32_e32 v6, 62, v1
	s_clause 0x2
	global_load_u8 v9, v[4:5], off
	global_load_u8 v10, v2, s[0:1] offset:32
	global_load_b64 v[4:5], v3, s[0:1] offset:48
	v_add_nc_u64_e32 v[6:7], s[0:1], v[6:7]
	global_load_u16 v6, v[6:7], off offset:48
	v_lshrrev_b32_e32 v1, 1, v0
	s_wait_xcnt 0x1
	s_get_pc_i64 s[0:1]
	s_add_nc_u64 s[0:1], s[0:1], _ZL13iq1s_grid_gpu@rel64+4
	s_wait_loadcnt 0x1
	v_pk_lshrrev_b16 v4, 0x8000c, v4
	v_and_b32_e32 v1, 4, v1
	v_pk_lshrrev_b16 v5, 4, v5
	s_delay_alu instid0(VALU_DEP_2) | instskip(NEXT) | instid1(VALU_DEP_2)
	v_lshrrev_b32_e32 v10, v1, v10
	v_and_b32_e32 v12, 0xf0000f00, v5
	s_delay_alu instid0(VALU_DEP_2) | instskip(NEXT) | instid1(VALU_DEP_1)
	v_dual_mov_b32 v5, v3 :: v_dual_lshlrev_b32 v1, 8, v10
	v_and_or_b32 v1, 0x700, v1, v9
	s_delay_alu instid0(VALU_DEP_1) | instskip(SKIP_4) | instid1(SALU_CYCLE_1)
	v_lshlrev_b32_e32 v1, 3, v1
	global_load_b32 v7, v1, s[0:1]
	s_wait_xcnt 0x0
	v_dual_lshrrev_b32 v2, 16, v4 :: v_dual_bitop2_b32 v1, 3, v2 bitop3:0x40
	s_lshl_b64 s[0:1], s[4:5], 9
	s_add_nc_u64 s[0:1], s[2:3], s[0:1]
	s_delay_alu instid0(VALU_DEP_1) | instskip(NEXT) | instid1(VALU_DEP_2)
	v_mul_u32_u24_e32 v9, 3, v1
	v_and_b32_e32 v2, 0xf0, v2
	v_dual_mov_b32 v1, v3 :: v_dual_lshrrev_b32 v3, 16, v12
	s_wait_loadcnt 0x1
	s_delay_alu instid0(VALU_DEP_3) | instskip(NEXT) | instid1(VALU_DEP_3)
	v_dual_mov_b32 v11, 0xbf600000 :: v_dual_lshrrev_b32 v6, v9, v6
	v_or_b32_e32 v2, v2, v4
	v_and_b32_e32 v4, 0x3f8, v0
	s_delay_alu instid0(VALU_DEP_1) | instskip(NEXT) | instid1(VALU_DEP_1)
	v_dual_lshlrev_b32 v6, 1, v6 :: v_dual_lshlrev_b32 v4, 1, v4
	v_and_or_b32 v6, v6, 14, 1
	s_delay_alu instid0(VALU_DEP_1) | instskip(SKIP_1) | instid1(VALU_DEP_1)
	v_cvt_f32_ubyte0_e32 v6, v6
	v_or_b32_e32 v2, v2, v12
	v_dual_lshlrev_b32 v0, 6, v8 :: v_dual_bitop2_b32 v2, v2, v3 bitop3:0x54
	v_and_b32_e32 v3, 8, v10
	s_delay_alu instid0(VALU_DEP_2) | instskip(NEXT) | instid1(VALU_DEP_3)
	v_add_nc_u64_e32 v[0:1], s[0:1], v[0:1]
	v_cvt_f32_f16_e32 v8, v2
	s_delay_alu instid0(VALU_DEP_3) | instskip(NEXT) | instid1(VALU_DEP_3)
	v_cmp_eq_u32_e32 vcc_lo, 0, v3
	v_add_nc_u64_e32 v[4:5], v[0:1], v[4:5]
	s_delay_alu instid0(VALU_DEP_3)
	v_mul_f32_e32 v6, v8, v6
	v_cndmask_b32_e32 v2, 0xbf900000, v11, vcc_lo
	s_wait_loadcnt 0x0
	v_bfe_u32 v3, v7, 20, 4
	v_bfe_u32 v10, v7, 12, 4
	v_and_b32_e32 v12, 0xf0f0f0f, v7
	v_bfe_u32 v11, v7, 8, 4
	v_bfe_u32 v14, v7, 4, 4
	v_cvt_f32_ubyte0_e32 v9, v3
	v_cvt_f32_ubyte0_e32 v8, v10
	v_and_b32_e32 v3, 15, v7
	v_bfe_u32 v10, v7, 16, 4
	v_lshrrev_b32_e32 v7, 28, v7
	v_cvt_f32_ubyte0_e32 v11, v11
	v_cvt_f32_ubyte3_e32 v13, v12
	v_pk_add_f32 v[8:9], v[2:3], v[8:9] op_sel_hi:[0,1]
	v_cvt_f32_ubyte0_e32 v12, v10
	v_cvt_f32_ubyte0_e32 v10, v3
	;; [unrolled: 1-line block ×3, first 2 shown]
	s_delay_alu instid0(VALU_DEP_4) | instskip(SKIP_1) | instid1(VALU_DEP_3)
	v_pk_mul_f32 v[8:9], v[6:7], v[8:9] op_sel_hi:[0,1]
	v_cvt_f32_ubyte0_e32 v7, v7
	v_pk_add_f32 v[12:13], v[2:3], v[12:13] op_sel_hi:[0,1]
	v_pk_add_f32 v[10:11], v[2:3], v[10:11] op_sel_hi:[0,1]
	s_delay_alu instid0(VALU_DEP_4) | instskip(SKIP_1) | instid1(VALU_DEP_4)
	v_cvt_pk_f16_f32 v14, v8, v9
	v_add_f32_e32 v15, v2, v3
	v_pk_mul_f32 v[8:9], v[6:7], v[12:13] op_sel_hi:[0,1]
	s_delay_alu instid0(VALU_DEP_4) | instskip(NEXT) | instid1(VALU_DEP_4)
	v_pk_mul_f32 v[10:11], v[6:7], v[10:11] op_sel_hi:[0,1]
	v_dual_add_f32 v2, v2, v7 :: v_dual_lshrrev_b32 v3, 16, v14
	s_delay_alu instid0(VALU_DEP_4) | instskip(NEXT) | instid1(VALU_DEP_4)
	v_fma_mixlo_f16 v7, v6, v15, 0
	v_cvt_pk_f16_f32 v1, v8, v9
	s_delay_alu instid0(VALU_DEP_4) | instskip(NEXT) | instid1(VALU_DEP_4)
	v_cvt_pk_f16_f32 v0, v10, v11
	v_fma_mixhi_f16 v3, v6, v2, 0
	s_delay_alu instid0(VALU_DEP_4)
	v_pack_b32_f16 v2, v7, v14
	global_store_b128 v[4:5], v[0:3], off
	s_endpgm
	.section	.rodata,"a",@progbits
	.p2align	6, 0x0
	.amdhsa_kernel _ZL22dequantize_block_iq1_mIN3c104HalfEEvPKvPT_
		.amdhsa_group_segment_fixed_size 0
		.amdhsa_private_segment_fixed_size 0
		.amdhsa_kernarg_size 16
		.amdhsa_user_sgpr_count 2
		.amdhsa_user_sgpr_dispatch_ptr 0
		.amdhsa_user_sgpr_queue_ptr 0
		.amdhsa_user_sgpr_kernarg_segment_ptr 1
		.amdhsa_user_sgpr_dispatch_id 0
		.amdhsa_user_sgpr_kernarg_preload_length 0
		.amdhsa_user_sgpr_kernarg_preload_offset 0
		.amdhsa_user_sgpr_private_segment_size 0
		.amdhsa_wavefront_size32 1
		.amdhsa_uses_dynamic_stack 0
		.amdhsa_enable_private_segment 0
		.amdhsa_system_sgpr_workgroup_id_x 1
		.amdhsa_system_sgpr_workgroup_id_y 0
		.amdhsa_system_sgpr_workgroup_id_z 0
		.amdhsa_system_sgpr_workgroup_info 0
		.amdhsa_system_vgpr_workitem_id 0
		.amdhsa_next_free_vgpr 16
		.amdhsa_next_free_sgpr 8
		.amdhsa_named_barrier_count 0
		.amdhsa_reserve_vcc 1
		.amdhsa_float_round_mode_32 0
		.amdhsa_float_round_mode_16_64 0
		.amdhsa_float_denorm_mode_32 3
		.amdhsa_float_denorm_mode_16_64 3
		.amdhsa_fp16_overflow 0
		.amdhsa_memory_ordered 1
		.amdhsa_forward_progress 1
		.amdhsa_inst_pref_size 6
		.amdhsa_round_robin_scheduling 0
		.amdhsa_exception_fp_ieee_invalid_op 0
		.amdhsa_exception_fp_denorm_src 0
		.amdhsa_exception_fp_ieee_div_zero 0
		.amdhsa_exception_fp_ieee_overflow 0
		.amdhsa_exception_fp_ieee_underflow 0
		.amdhsa_exception_fp_ieee_inexact 0
		.amdhsa_exception_int_div_zero 0
	.end_amdhsa_kernel
	.section	.text._ZL22dequantize_block_iq1_mIN3c104HalfEEvPKvPT_,"axG",@progbits,_ZL22dequantize_block_iq1_mIN3c104HalfEEvPKvPT_,comdat
.Lfunc_end37:
	.size	_ZL22dequantize_block_iq1_mIN3c104HalfEEvPKvPT_, .Lfunc_end37-_ZL22dequantize_block_iq1_mIN3c104HalfEEvPKvPT_
                                        ; -- End function
	.set _ZL22dequantize_block_iq1_mIN3c104HalfEEvPKvPT_.num_vgpr, 16
	.set _ZL22dequantize_block_iq1_mIN3c104HalfEEvPKvPT_.num_agpr, 0
	.set _ZL22dequantize_block_iq1_mIN3c104HalfEEvPKvPT_.numbered_sgpr, 8
	.set _ZL22dequantize_block_iq1_mIN3c104HalfEEvPKvPT_.num_named_barrier, 0
	.set _ZL22dequantize_block_iq1_mIN3c104HalfEEvPKvPT_.private_seg_size, 0
	.set _ZL22dequantize_block_iq1_mIN3c104HalfEEvPKvPT_.uses_vcc, 1
	.set _ZL22dequantize_block_iq1_mIN3c104HalfEEvPKvPT_.uses_flat_scratch, 0
	.set _ZL22dequantize_block_iq1_mIN3c104HalfEEvPKvPT_.has_dyn_sized_stack, 0
	.set _ZL22dequantize_block_iq1_mIN3c104HalfEEvPKvPT_.has_recursion, 0
	.set _ZL22dequantize_block_iq1_mIN3c104HalfEEvPKvPT_.has_indirect_call, 0
	.section	.AMDGPU.csdata,"",@progbits
; Kernel info:
; codeLenInByte = 728
; TotalNumSgprs: 10
; NumVgprs: 16
; ScratchSize: 0
; MemoryBound: 0
; FloatMode: 240
; IeeeMode: 1
; LDSByteSize: 0 bytes/workgroup (compile time only)
; SGPRBlocks: 0
; VGPRBlocks: 0
; NumSGPRsForWavesPerEU: 10
; NumVGPRsForWavesPerEU: 16
; NamedBarCnt: 0
; Occupancy: 16
; WaveLimiterHint : 0
; COMPUTE_PGM_RSRC2:SCRATCH_EN: 0
; COMPUTE_PGM_RSRC2:USER_SGPR: 2
; COMPUTE_PGM_RSRC2:TRAP_HANDLER: 0
; COMPUTE_PGM_RSRC2:TGID_X_EN: 1
; COMPUTE_PGM_RSRC2:TGID_Y_EN: 0
; COMPUTE_PGM_RSRC2:TGID_Z_EN: 0
; COMPUTE_PGM_RSRC2:TIDIG_COMP_CNT: 0
	.section	.text._ZL16dequantize_blockILi32ELi2EXadL_ZL15dequantize_q4_0PKviiR7__half2EEN3c108BFloat16EEvS1_PT2_l,"axG",@progbits,_ZL16dequantize_blockILi32ELi2EXadL_ZL15dequantize_q4_0PKviiR7__half2EEN3c108BFloat16EEvS1_PT2_l,comdat
	.globl	_ZL16dequantize_blockILi32ELi2EXadL_ZL15dequantize_q4_0PKviiR7__half2EEN3c108BFloat16EEvS1_PT2_l ; -- Begin function _ZL16dequantize_blockILi32ELi2EXadL_ZL15dequantize_q4_0PKviiR7__half2EEN3c108BFloat16EEvS1_PT2_l
	.p2align	8
	.type	_ZL16dequantize_blockILi32ELi2EXadL_ZL15dequantize_q4_0PKviiR7__half2EEN3c108BFloat16EEvS1_PT2_l,@function
_ZL16dequantize_blockILi32ELi2EXadL_ZL15dequantize_q4_0PKviiR7__half2EEN3c108BFloat16EEvS1_PT2_l: ; @_ZL16dequantize_blockILi32ELi2EXadL_ZL15dequantize_q4_0PKviiR7__half2EEN3c108BFloat16EEvS1_PT2_l
; %bb.0:
	s_load_b32 s2, s[0:1], 0x24
	s_bfe_u32 s3, ttmp6, 0x4000c
	s_and_b32 s4, ttmp6, 15
	s_add_co_i32 s3, s3, 1
	s_getreg_b32 s5, hwreg(HW_REG_IB_STS2, 6, 4)
	s_mul_i32 s3, ttmp9, s3
	v_mov_b32_e32 v1, 0
	s_add_co_i32 s4, s4, s3
	s_wait_kmcnt 0x0
	s_and_b32 s6, s2, 0xffff
	s_cmp_eq_u32 s5, 0
	s_load_b64 s[2:3], s[0:1], 0x10
	s_cselect_b32 s4, ttmp9, s4
	s_delay_alu instid0(SALU_CYCLE_1) | instskip(NEXT) | instid1(VALU_DEP_1)
	v_mad_nc_u64_u32 v[4:5], s6, s4, v[0:1]
	v_lshlrev_b64_e32 v[2:3], 1, v[4:5]
	s_wait_kmcnt 0x0
	s_delay_alu instid0(VALU_DEP_1)
	v_cmp_gt_i64_e32 vcc_lo, s[2:3], v[2:3]
	s_and_saveexec_b32 s2, vcc_lo
	s_cbranch_execz .LBB38_2
; %bb.1:
	s_load_b128 s[0:3], s[0:1], 0x0
	v_alignbit_b32 v0, v5, v4, 4
	s_wait_kmcnt 0x0
	s_delay_alu instid0(VALU_DEP_1) | instskip(SKIP_1) | instid1(VALU_DEP_1)
	v_mad_nc_i64_i32 v[6:7], v0, 18, s[0:1]
	v_and_b32_e32 v0, 15, v4
	v_add_nc_u64_e32 v[4:5], v[6:7], v[0:1]
	s_clause 0x1
	global_load_u8 v3, v[4:5], off offset:2
	global_load_u16 v8, v[6:7], off
	s_wait_loadcnt 0x1
	s_wait_xcnt 0x1
	v_dual_lshrrev_b32 v3, 4, v3 :: v_dual_bitop2_b32 v4, 15, v3 bitop3:0x40
	s_delay_alu instid0(VALU_DEP_1) | instskip(NEXT) | instid1(VALU_DEP_2)
	v_cvt_f32_ubyte0_e32 v4, v4
	v_cvt_f32_ubyte0_e32 v3, v3
	s_delay_alu instid0(VALU_DEP_1) | instskip(SKIP_2) | instid1(VALU_DEP_2)
	v_cvt_pk_f16_f32 v3, v4, v3
	s_wait_loadcnt 0x0
	v_lshl_or_b32 v4, v8, 16, v8
	v_pk_add_f16 v3, 0xc800, v3 op_sel_hi:[0,1]
	s_delay_alu instid0(VALU_DEP_1) | instskip(SKIP_2) | instid1(VALU_DEP_3)
	v_pk_mul_f16 v4, v3, v4
	v_and_or_b32 v3, 0xffffffe0, v2, v0
	v_mov_b32_e32 v2, v1
	v_cvt_f32_f16_e32 v6, v4
	v_cmp_o_f16_e32 vcc_lo, v4, v4
	s_delay_alu instid0(VALU_DEP_3) | instskip(NEXT) | instid1(VALU_DEP_3)
	v_ashrrev_i64 v[0:1], 31, v[2:3]
	v_bfe_u32 v8, v6, 16, 1
	s_delay_alu instid0(VALU_DEP_2) | instskip(NEXT) | instid1(VALU_DEP_2)
	v_add_nc_u64_e32 v[0:1], s[2:3], v[0:1]
	v_add3_u32 v6, v6, v8, 0x7fff
	s_delay_alu instid0(VALU_DEP_1) | instskip(NEXT) | instid1(VALU_DEP_1)
	v_dual_lshrrev_b32 v5, 16, v4 :: v_dual_lshrrev_b32 v3, 16, v6
	v_cvt_f32_f16_e32 v7, v5
	s_delay_alu instid0(VALU_DEP_2) | instskip(NEXT) | instid1(VALU_DEP_2)
	v_cndmask_b32_e32 v3, 0x7fc0, v3, vcc_lo
	v_bfe_u32 v9, v7, 16, 1
	v_cmp_o_f16_e32 vcc_lo, v5, v5
	s_delay_alu instid0(VALU_DEP_2) | instskip(NEXT) | instid1(VALU_DEP_1)
	v_add3_u32 v2, v7, v9, 0x7fff
	v_lshrrev_b32_e32 v2, 16, v2
	s_delay_alu instid0(VALU_DEP_1)
	v_cndmask_b32_e32 v2, 0x7fc0, v2, vcc_lo
	s_clause 0x1
	global_store_b16 v[0:1], v3, off
	global_store_b16 v[0:1], v2, off offset:32
.LBB38_2:
	s_endpgm
	.section	.rodata,"a",@progbits
	.p2align	6, 0x0
	.amdhsa_kernel _ZL16dequantize_blockILi32ELi2EXadL_ZL15dequantize_q4_0PKviiR7__half2EEN3c108BFloat16EEvS1_PT2_l
		.amdhsa_group_segment_fixed_size 0
		.amdhsa_private_segment_fixed_size 0
		.amdhsa_kernarg_size 280
		.amdhsa_user_sgpr_count 2
		.amdhsa_user_sgpr_dispatch_ptr 0
		.amdhsa_user_sgpr_queue_ptr 0
		.amdhsa_user_sgpr_kernarg_segment_ptr 1
		.amdhsa_user_sgpr_dispatch_id 0
		.amdhsa_user_sgpr_kernarg_preload_length 0
		.amdhsa_user_sgpr_kernarg_preload_offset 0
		.amdhsa_user_sgpr_private_segment_size 0
		.amdhsa_wavefront_size32 1
		.amdhsa_uses_dynamic_stack 0
		.amdhsa_enable_private_segment 0
		.amdhsa_system_sgpr_workgroup_id_x 1
		.amdhsa_system_sgpr_workgroup_id_y 0
		.amdhsa_system_sgpr_workgroup_id_z 0
		.amdhsa_system_sgpr_workgroup_info 0
		.amdhsa_system_vgpr_workitem_id 0
		.amdhsa_next_free_vgpr 10
		.amdhsa_next_free_sgpr 7
		.amdhsa_named_barrier_count 0
		.amdhsa_reserve_vcc 1
		.amdhsa_float_round_mode_32 0
		.amdhsa_float_round_mode_16_64 0
		.amdhsa_float_denorm_mode_32 3
		.amdhsa_float_denorm_mode_16_64 3
		.amdhsa_fp16_overflow 0
		.amdhsa_memory_ordered 1
		.amdhsa_forward_progress 1
		.amdhsa_inst_pref_size 4
		.amdhsa_round_robin_scheduling 0
		.amdhsa_exception_fp_ieee_invalid_op 0
		.amdhsa_exception_fp_denorm_src 0
		.amdhsa_exception_fp_ieee_div_zero 0
		.amdhsa_exception_fp_ieee_overflow 0
		.amdhsa_exception_fp_ieee_underflow 0
		.amdhsa_exception_fp_ieee_inexact 0
		.amdhsa_exception_int_div_zero 0
	.end_amdhsa_kernel
	.section	.text._ZL16dequantize_blockILi32ELi2EXadL_ZL15dequantize_q4_0PKviiR7__half2EEN3c108BFloat16EEvS1_PT2_l,"axG",@progbits,_ZL16dequantize_blockILi32ELi2EXadL_ZL15dequantize_q4_0PKviiR7__half2EEN3c108BFloat16EEvS1_PT2_l,comdat
.Lfunc_end38:
	.size	_ZL16dequantize_blockILi32ELi2EXadL_ZL15dequantize_q4_0PKviiR7__half2EEN3c108BFloat16EEvS1_PT2_l, .Lfunc_end38-_ZL16dequantize_blockILi32ELi2EXadL_ZL15dequantize_q4_0PKviiR7__half2EEN3c108BFloat16EEvS1_PT2_l
                                        ; -- End function
	.set _ZL16dequantize_blockILi32ELi2EXadL_ZL15dequantize_q4_0PKviiR7__half2EEN3c108BFloat16EEvS1_PT2_l.num_vgpr, 10
	.set _ZL16dequantize_blockILi32ELi2EXadL_ZL15dequantize_q4_0PKviiR7__half2EEN3c108BFloat16EEvS1_PT2_l.num_agpr, 0
	.set _ZL16dequantize_blockILi32ELi2EXadL_ZL15dequantize_q4_0PKviiR7__half2EEN3c108BFloat16EEvS1_PT2_l.numbered_sgpr, 7
	.set _ZL16dequantize_blockILi32ELi2EXadL_ZL15dequantize_q4_0PKviiR7__half2EEN3c108BFloat16EEvS1_PT2_l.num_named_barrier, 0
	.set _ZL16dequantize_blockILi32ELi2EXadL_ZL15dequantize_q4_0PKviiR7__half2EEN3c108BFloat16EEvS1_PT2_l.private_seg_size, 0
	.set _ZL16dequantize_blockILi32ELi2EXadL_ZL15dequantize_q4_0PKviiR7__half2EEN3c108BFloat16EEvS1_PT2_l.uses_vcc, 1
	.set _ZL16dequantize_blockILi32ELi2EXadL_ZL15dequantize_q4_0PKviiR7__half2EEN3c108BFloat16EEvS1_PT2_l.uses_flat_scratch, 0
	.set _ZL16dequantize_blockILi32ELi2EXadL_ZL15dequantize_q4_0PKviiR7__half2EEN3c108BFloat16EEvS1_PT2_l.has_dyn_sized_stack, 0
	.set _ZL16dequantize_blockILi32ELi2EXadL_ZL15dequantize_q4_0PKviiR7__half2EEN3c108BFloat16EEvS1_PT2_l.has_recursion, 0
	.set _ZL16dequantize_blockILi32ELi2EXadL_ZL15dequantize_q4_0PKviiR7__half2EEN3c108BFloat16EEvS1_PT2_l.has_indirect_call, 0
	.section	.AMDGPU.csdata,"",@progbits
; Kernel info:
; codeLenInByte = 424
; TotalNumSgprs: 9
; NumVgprs: 10
; ScratchSize: 0
; MemoryBound: 0
; FloatMode: 240
; IeeeMode: 1
; LDSByteSize: 0 bytes/workgroup (compile time only)
; SGPRBlocks: 0
; VGPRBlocks: 0
; NumSGPRsForWavesPerEU: 9
; NumVGPRsForWavesPerEU: 10
; NamedBarCnt: 0
; Occupancy: 16
; WaveLimiterHint : 0
; COMPUTE_PGM_RSRC2:SCRATCH_EN: 0
; COMPUTE_PGM_RSRC2:USER_SGPR: 2
; COMPUTE_PGM_RSRC2:TRAP_HANDLER: 0
; COMPUTE_PGM_RSRC2:TGID_X_EN: 1
; COMPUTE_PGM_RSRC2:TGID_Y_EN: 0
; COMPUTE_PGM_RSRC2:TGID_Z_EN: 0
; COMPUTE_PGM_RSRC2:TIDIG_COMP_CNT: 0
	.section	.text._ZL16dequantize_blockILi32ELi2EXadL_ZL15dequantize_q4_1PKviiR7__half2EEN3c108BFloat16EEvS1_PT2_l,"axG",@progbits,_ZL16dequantize_blockILi32ELi2EXadL_ZL15dequantize_q4_1PKviiR7__half2EEN3c108BFloat16EEvS1_PT2_l,comdat
	.globl	_ZL16dequantize_blockILi32ELi2EXadL_ZL15dequantize_q4_1PKviiR7__half2EEN3c108BFloat16EEvS1_PT2_l ; -- Begin function _ZL16dequantize_blockILi32ELi2EXadL_ZL15dequantize_q4_1PKviiR7__half2EEN3c108BFloat16EEvS1_PT2_l
	.p2align	8
	.type	_ZL16dequantize_blockILi32ELi2EXadL_ZL15dequantize_q4_1PKviiR7__half2EEN3c108BFloat16EEvS1_PT2_l,@function
_ZL16dequantize_blockILi32ELi2EXadL_ZL15dequantize_q4_1PKviiR7__half2EEN3c108BFloat16EEvS1_PT2_l: ; @_ZL16dequantize_blockILi32ELi2EXadL_ZL15dequantize_q4_1PKviiR7__half2EEN3c108BFloat16EEvS1_PT2_l
; %bb.0:
	s_load_b32 s2, s[0:1], 0x24
	s_bfe_u32 s3, ttmp6, 0x4000c
	s_and_b32 s4, ttmp6, 15
	s_add_co_i32 s3, s3, 1
	s_getreg_b32 s5, hwreg(HW_REG_IB_STS2, 6, 4)
	s_mul_i32 s3, ttmp9, s3
	v_mov_b32_e32 v1, 0
	s_add_co_i32 s4, s4, s3
	s_wait_kmcnt 0x0
	s_and_b32 s6, s2, 0xffff
	s_cmp_eq_u32 s5, 0
	s_load_b64 s[2:3], s[0:1], 0x10
	s_cselect_b32 s4, ttmp9, s4
	s_delay_alu instid0(SALU_CYCLE_1) | instskip(NEXT) | instid1(VALU_DEP_1)
	v_mad_nc_u64_u32 v[4:5], s6, s4, v[0:1]
	v_lshlrev_b64_e32 v[2:3], 1, v[4:5]
	s_wait_kmcnt 0x0
	s_delay_alu instid0(VALU_DEP_1)
	v_cmp_gt_i64_e32 vcc_lo, s[2:3], v[2:3]
	s_and_saveexec_b32 s2, vcc_lo
	s_cbranch_execz .LBB39_2
; %bb.1:
	s_load_b128 s[0:3], s[0:1], 0x0
	v_alignbit_b32 v0, v5, v4, 4
	s_wait_kmcnt 0x0
	s_delay_alu instid0(VALU_DEP_1) | instskip(SKIP_1) | instid1(VALU_DEP_1)
	v_mad_nc_i64_i32 v[6:7], v0, 20, s[0:1]
	v_and_b32_e32 v0, 15, v4
	v_add_nc_u64_e32 v[4:5], v[6:7], v[0:1]
	s_clause 0x1
	global_load_u8 v3, v[4:5], off offset:4
	global_load_b32 v8, v[6:7], off
	s_wait_loadcnt 0x0
	v_dual_lshrrev_b32 v6, 16, v8 :: v_dual_bitop2_b32 v4, 15, v3 bitop3:0x40
	v_lshrrev_b32_e32 v3, 4, v3
	v_and_b32_e32 v5, 0xffff, v8
	s_delay_alu instid0(VALU_DEP_3) | instskip(NEXT) | instid1(VALU_DEP_3)
	v_cvt_f32_ubyte0_e32 v4, v4
	v_cvt_f32_ubyte0_e32 v3, v3
	s_delay_alu instid0(VALU_DEP_3) | instskip(NEXT) | instid1(VALU_DEP_2)
	v_mul_u32_u24_e32 v5, 0x10001, v5
	v_cvt_pk_f16_f32 v3, v4, v3
	v_and_or_b32 v4, 0xffff0000, v8, v6
	s_delay_alu instid0(VALU_DEP_1) | instskip(SKIP_1) | instid1(VALU_DEP_2)
	v_pk_fma_f16 v4, v3, v5, v4
	v_and_or_b32 v3, 0xffffffe0, v2, v0
	v_dual_mov_b32 v2, v1 :: v_dual_lshrrev_b32 v5, 16, v4
	v_cvt_f32_f16_e32 v6, v4
	s_delay_alu instid0(VALU_DEP_2) | instskip(SKIP_1) | instid1(VALU_DEP_4)
	v_ashrrev_i64 v[0:1], 31, v[2:3]
	v_cmp_o_f16_e32 vcc_lo, v4, v4
	v_cvt_f32_f16_e32 v7, v5
	s_delay_alu instid0(VALU_DEP_4) | instskip(NEXT) | instid1(VALU_DEP_4)
	v_bfe_u32 v8, v6, 16, 1
	v_add_nc_u64_e32 v[0:1], s[2:3], v[0:1]
	s_delay_alu instid0(VALU_DEP_3) | instskip(NEXT) | instid1(VALU_DEP_3)
	v_bfe_u32 v9, v7, 16, 1
	v_add3_u32 v6, v6, v8, 0x7fff
	s_delay_alu instid0(VALU_DEP_2) | instskip(NEXT) | instid1(VALU_DEP_2)
	v_add3_u32 v2, v7, v9, 0x7fff
	v_lshrrev_b32_e32 v3, 16, v6
	s_delay_alu instid0(VALU_DEP_1) | instskip(SKIP_1) | instid1(VALU_DEP_2)
	v_dual_cndmask_b32 v3, 0x7fc0, v3 :: v_dual_lshrrev_b32 v2, 16, v2
	v_cmp_o_f16_e32 vcc_lo, v5, v5
	v_cndmask_b32_e32 v2, 0x7fc0, v2, vcc_lo
	s_clause 0x1
	global_store_b16 v[0:1], v3, off
	global_store_b16 v[0:1], v2, off offset:32
.LBB39_2:
	s_endpgm
	.section	.rodata,"a",@progbits
	.p2align	6, 0x0
	.amdhsa_kernel _ZL16dequantize_blockILi32ELi2EXadL_ZL15dequantize_q4_1PKviiR7__half2EEN3c108BFloat16EEvS1_PT2_l
		.amdhsa_group_segment_fixed_size 0
		.amdhsa_private_segment_fixed_size 0
		.amdhsa_kernarg_size 280
		.amdhsa_user_sgpr_count 2
		.amdhsa_user_sgpr_dispatch_ptr 0
		.amdhsa_user_sgpr_queue_ptr 0
		.amdhsa_user_sgpr_kernarg_segment_ptr 1
		.amdhsa_user_sgpr_dispatch_id 0
		.amdhsa_user_sgpr_kernarg_preload_length 0
		.amdhsa_user_sgpr_kernarg_preload_offset 0
		.amdhsa_user_sgpr_private_segment_size 0
		.amdhsa_wavefront_size32 1
		.amdhsa_uses_dynamic_stack 0
		.amdhsa_enable_private_segment 0
		.amdhsa_system_sgpr_workgroup_id_x 1
		.amdhsa_system_sgpr_workgroup_id_y 0
		.amdhsa_system_sgpr_workgroup_id_z 0
		.amdhsa_system_sgpr_workgroup_info 0
		.amdhsa_system_vgpr_workitem_id 0
		.amdhsa_next_free_vgpr 10
		.amdhsa_next_free_sgpr 7
		.amdhsa_named_barrier_count 0
		.amdhsa_reserve_vcc 1
		.amdhsa_float_round_mode_32 0
		.amdhsa_float_round_mode_16_64 0
		.amdhsa_float_denorm_mode_32 3
		.amdhsa_float_denorm_mode_16_64 3
		.amdhsa_fp16_overflow 0
		.amdhsa_memory_ordered 1
		.amdhsa_forward_progress 1
		.amdhsa_inst_pref_size 4
		.amdhsa_round_robin_scheduling 0
		.amdhsa_exception_fp_ieee_invalid_op 0
		.amdhsa_exception_fp_denorm_src 0
		.amdhsa_exception_fp_ieee_div_zero 0
		.amdhsa_exception_fp_ieee_overflow 0
		.amdhsa_exception_fp_ieee_underflow 0
		.amdhsa_exception_fp_ieee_inexact 0
		.amdhsa_exception_int_div_zero 0
	.end_amdhsa_kernel
	.section	.text._ZL16dequantize_blockILi32ELi2EXadL_ZL15dequantize_q4_1PKviiR7__half2EEN3c108BFloat16EEvS1_PT2_l,"axG",@progbits,_ZL16dequantize_blockILi32ELi2EXadL_ZL15dequantize_q4_1PKviiR7__half2EEN3c108BFloat16EEvS1_PT2_l,comdat
.Lfunc_end39:
	.size	_ZL16dequantize_blockILi32ELi2EXadL_ZL15dequantize_q4_1PKviiR7__half2EEN3c108BFloat16EEvS1_PT2_l, .Lfunc_end39-_ZL16dequantize_blockILi32ELi2EXadL_ZL15dequantize_q4_1PKviiR7__half2EEN3c108BFloat16EEvS1_PT2_l
                                        ; -- End function
	.set _ZL16dequantize_blockILi32ELi2EXadL_ZL15dequantize_q4_1PKviiR7__half2EEN3c108BFloat16EEvS1_PT2_l.num_vgpr, 10
	.set _ZL16dequantize_blockILi32ELi2EXadL_ZL15dequantize_q4_1PKviiR7__half2EEN3c108BFloat16EEvS1_PT2_l.num_agpr, 0
	.set _ZL16dequantize_blockILi32ELi2EXadL_ZL15dequantize_q4_1PKviiR7__half2EEN3c108BFloat16EEvS1_PT2_l.numbered_sgpr, 7
	.set _ZL16dequantize_blockILi32ELi2EXadL_ZL15dequantize_q4_1PKviiR7__half2EEN3c108BFloat16EEvS1_PT2_l.num_named_barrier, 0
	.set _ZL16dequantize_blockILi32ELi2EXadL_ZL15dequantize_q4_1PKviiR7__half2EEN3c108BFloat16EEvS1_PT2_l.private_seg_size, 0
	.set _ZL16dequantize_blockILi32ELi2EXadL_ZL15dequantize_q4_1PKviiR7__half2EEN3c108BFloat16EEvS1_PT2_l.uses_vcc, 1
	.set _ZL16dequantize_blockILi32ELi2EXadL_ZL15dequantize_q4_1PKviiR7__half2EEN3c108BFloat16EEvS1_PT2_l.uses_flat_scratch, 0
	.set _ZL16dequantize_blockILi32ELi2EXadL_ZL15dequantize_q4_1PKviiR7__half2EEN3c108BFloat16EEvS1_PT2_l.has_dyn_sized_stack, 0
	.set _ZL16dequantize_blockILi32ELi2EXadL_ZL15dequantize_q4_1PKviiR7__half2EEN3c108BFloat16EEvS1_PT2_l.has_recursion, 0
	.set _ZL16dequantize_blockILi32ELi2EXadL_ZL15dequantize_q4_1PKviiR7__half2EEN3c108BFloat16EEvS1_PT2_l.has_indirect_call, 0
	.section	.AMDGPU.csdata,"",@progbits
; Kernel info:
; codeLenInByte = 420
; TotalNumSgprs: 9
; NumVgprs: 10
; ScratchSize: 0
; MemoryBound: 0
; FloatMode: 240
; IeeeMode: 1
; LDSByteSize: 0 bytes/workgroup (compile time only)
; SGPRBlocks: 0
; VGPRBlocks: 0
; NumSGPRsForWavesPerEU: 9
; NumVGPRsForWavesPerEU: 10
; NamedBarCnt: 0
; Occupancy: 16
; WaveLimiterHint : 0
; COMPUTE_PGM_RSRC2:SCRATCH_EN: 0
; COMPUTE_PGM_RSRC2:USER_SGPR: 2
; COMPUTE_PGM_RSRC2:TRAP_HANDLER: 0
; COMPUTE_PGM_RSRC2:TGID_X_EN: 1
; COMPUTE_PGM_RSRC2:TGID_Y_EN: 0
; COMPUTE_PGM_RSRC2:TGID_Z_EN: 0
; COMPUTE_PGM_RSRC2:TIDIG_COMP_CNT: 0
	.section	.text._ZL16dequantize_blockILi32ELi2EXadL_ZL15dequantize_q5_0PKviiR7__half2EEN3c108BFloat16EEvS1_PT2_l,"axG",@progbits,_ZL16dequantize_blockILi32ELi2EXadL_ZL15dequantize_q5_0PKviiR7__half2EEN3c108BFloat16EEvS1_PT2_l,comdat
	.globl	_ZL16dequantize_blockILi32ELi2EXadL_ZL15dequantize_q5_0PKviiR7__half2EEN3c108BFloat16EEvS1_PT2_l ; -- Begin function _ZL16dequantize_blockILi32ELi2EXadL_ZL15dequantize_q5_0PKviiR7__half2EEN3c108BFloat16EEvS1_PT2_l
	.p2align	8
	.type	_ZL16dequantize_blockILi32ELi2EXadL_ZL15dequantize_q5_0PKviiR7__half2EEN3c108BFloat16EEvS1_PT2_l,@function
_ZL16dequantize_blockILi32ELi2EXadL_ZL15dequantize_q5_0PKviiR7__half2EEN3c108BFloat16EEvS1_PT2_l: ; @_ZL16dequantize_blockILi32ELi2EXadL_ZL15dequantize_q5_0PKviiR7__half2EEN3c108BFloat16EEvS1_PT2_l
; %bb.0:
	s_load_b32 s2, s[0:1], 0x24
	s_bfe_u32 s3, ttmp6, 0x4000c
	s_and_b32 s4, ttmp6, 15
	s_add_co_i32 s3, s3, 1
	s_getreg_b32 s5, hwreg(HW_REG_IB_STS2, 6, 4)
	s_mul_i32 s3, ttmp9, s3
	v_mov_b32_e32 v1, 0
	s_add_co_i32 s4, s4, s3
	s_wait_kmcnt 0x0
	s_and_b32 s6, s2, 0xffff
	s_cmp_eq_u32 s5, 0
	s_load_b64 s[2:3], s[0:1], 0x10
	s_cselect_b32 s4, ttmp9, s4
	s_delay_alu instid0(SALU_CYCLE_1) | instskip(NEXT) | instid1(VALU_DEP_1)
	v_mad_nc_u64_u32 v[4:5], s6, s4, v[0:1]
	v_lshlrev_b64_e32 v[2:3], 1, v[4:5]
	s_wait_kmcnt 0x0
	s_delay_alu instid0(VALU_DEP_1)
	v_cmp_gt_i64_e32 vcc_lo, s[2:3], v[2:3]
	s_and_saveexec_b32 s2, vcc_lo
	s_cbranch_execz .LBB40_2
; %bb.1:
	s_load_b128 s[0:3], s[0:1], 0x0
	v_alignbit_b32 v0, v5, v4, 4
	s_wait_kmcnt 0x0
	s_delay_alu instid0(VALU_DEP_1)
	v_mad_nc_i64_i32 v[6:7], v0, 22, s[0:1]
	v_and_b32_e32 v0, 15, v4
	s_clause 0x1
	global_load_b32 v3, v[6:7], off
	global_load_u16 v8, v[6:7], off offset:4
	v_add_nc_u64_e32 v[4:5], v[6:7], v[0:1]
	global_load_u8 v1, v[4:5], off offset:6
	s_wait_loadcnt 0x1
	s_wait_xcnt 0x0
	v_perm_b32 v4, v3, v8, 0x1000706
	s_delay_alu instid0(VALU_DEP_1) | instskip(NEXT) | instid1(VALU_DEP_1)
	v_lshrrev_b32_e32 v6, v0, v4
	v_dual_add_nc_u32 v5, 12, v0 :: v_dual_lshlrev_b32 v6, 4, v6
	s_wait_loadcnt 0x0
	s_delay_alu instid0(VALU_DEP_1) | instskip(SKIP_2) | instid1(VALU_DEP_2)
	v_dual_lshrrev_b32 v4, v5, v4 :: v_dual_bitop2_b32 v5, 15, v1 bitop3:0x40
	v_lshrrev_b16 v1, 4, v1
	v_and_or_b32 v0, 0xffffffe0, v2, v0
	v_and_or_b32 v1, v4, 16, v1
	s_delay_alu instid0(VALU_DEP_4) | instskip(NEXT) | instid1(VALU_DEP_2)
	v_and_or_b32 v4, v6, 16, v5
	v_cvt_f32_ubyte0_e32 v1, v1
	s_delay_alu instid0(VALU_DEP_2) | instskip(NEXT) | instid1(VALU_DEP_1)
	v_cvt_f32_ubyte0_e32 v4, v4
	v_cvt_pk_f16_f32 v1, v4, v1
	v_and_b32_e32 v4, 0xffff, v3
	s_delay_alu instid0(VALU_DEP_2) | instskip(NEXT) | instid1(VALU_DEP_2)
	v_pk_add_f16 v1, 0xcc00, v1 op_sel_hi:[0,1]
	v_lshl_or_b32 v3, v3, 16, v4
	s_delay_alu instid0(VALU_DEP_1) | instskip(NEXT) | instid1(VALU_DEP_1)
	v_pk_mul_f16 v1, v1, v3
	v_cvt_f32_f16_e32 v4, v1
	v_cmp_o_f16_e32 vcc_lo, v1, v1
	s_delay_alu instid0(VALU_DEP_2) | instskip(NEXT) | instid1(VALU_DEP_1)
	v_bfe_u32 v6, v4, 16, 1
	v_add3_u32 v4, v4, v6, 0x7fff
	s_delay_alu instid0(VALU_DEP_1) | instskip(NEXT) | instid1(VALU_DEP_1)
	v_dual_lshrrev_b32 v3, 16, v1 :: v_dual_lshrrev_b32 v4, 16, v4
	v_cvt_f32_f16_e32 v5, v3
	s_delay_alu instid0(VALU_DEP_2) | instskip(NEXT) | instid1(VALU_DEP_2)
	v_cndmask_b32_e32 v1, 0x7fc0, v4, vcc_lo
	v_bfe_u32 v7, v5, 16, 1
	v_cmp_o_f16_e32 vcc_lo, v3, v3
	s_delay_alu instid0(VALU_DEP_2) | instskip(NEXT) | instid1(VALU_DEP_1)
	v_add3_u32 v5, v5, v7, 0x7fff
	v_lshrrev_b32_e32 v5, 16, v5
	s_delay_alu instid0(VALU_DEP_1)
	v_cndmask_b32_e32 v2, 0x7fc0, v5, vcc_lo
	s_clause 0x1
	global_store_b16 v0, v1, s[2:3] scale_offset
	global_store_b16 v0, v2, s[2:3] offset:32 scale_offset
.LBB40_2:
	s_endpgm
	.section	.rodata,"a",@progbits
	.p2align	6, 0x0
	.amdhsa_kernel _ZL16dequantize_blockILi32ELi2EXadL_ZL15dequantize_q5_0PKviiR7__half2EEN3c108BFloat16EEvS1_PT2_l
		.amdhsa_group_segment_fixed_size 0
		.amdhsa_private_segment_fixed_size 0
		.amdhsa_kernarg_size 280
		.amdhsa_user_sgpr_count 2
		.amdhsa_user_sgpr_dispatch_ptr 0
		.amdhsa_user_sgpr_queue_ptr 0
		.amdhsa_user_sgpr_kernarg_segment_ptr 1
		.amdhsa_user_sgpr_dispatch_id 0
		.amdhsa_user_sgpr_kernarg_preload_length 0
		.amdhsa_user_sgpr_kernarg_preload_offset 0
		.amdhsa_user_sgpr_private_segment_size 0
		.amdhsa_wavefront_size32 1
		.amdhsa_uses_dynamic_stack 0
		.amdhsa_enable_private_segment 0
		.amdhsa_system_sgpr_workgroup_id_x 1
		.amdhsa_system_sgpr_workgroup_id_y 0
		.amdhsa_system_sgpr_workgroup_id_z 0
		.amdhsa_system_sgpr_workgroup_info 0
		.amdhsa_system_vgpr_workitem_id 0
		.amdhsa_next_free_vgpr 9
		.amdhsa_next_free_sgpr 7
		.amdhsa_named_barrier_count 0
		.amdhsa_reserve_vcc 1
		.amdhsa_float_round_mode_32 0
		.amdhsa_float_round_mode_16_64 0
		.amdhsa_float_denorm_mode_32 3
		.amdhsa_float_denorm_mode_16_64 3
		.amdhsa_fp16_overflow 0
		.amdhsa_memory_ordered 1
		.amdhsa_forward_progress 1
		.amdhsa_inst_pref_size 4
		.amdhsa_round_robin_scheduling 0
		.amdhsa_exception_fp_ieee_invalid_op 0
		.amdhsa_exception_fp_denorm_src 0
		.amdhsa_exception_fp_ieee_div_zero 0
		.amdhsa_exception_fp_ieee_overflow 0
		.amdhsa_exception_fp_ieee_underflow 0
		.amdhsa_exception_fp_ieee_inexact 0
		.amdhsa_exception_int_div_zero 0
	.end_amdhsa_kernel
	.section	.text._ZL16dequantize_blockILi32ELi2EXadL_ZL15dequantize_q5_0PKviiR7__half2EEN3c108BFloat16EEvS1_PT2_l,"axG",@progbits,_ZL16dequantize_blockILi32ELi2EXadL_ZL15dequantize_q5_0PKviiR7__half2EEN3c108BFloat16EEvS1_PT2_l,comdat
.Lfunc_end40:
	.size	_ZL16dequantize_blockILi32ELi2EXadL_ZL15dequantize_q5_0PKviiR7__half2EEN3c108BFloat16EEvS1_PT2_l, .Lfunc_end40-_ZL16dequantize_blockILi32ELi2EXadL_ZL15dequantize_q5_0PKviiR7__half2EEN3c108BFloat16EEvS1_PT2_l
                                        ; -- End function
	.set _ZL16dequantize_blockILi32ELi2EXadL_ZL15dequantize_q5_0PKviiR7__half2EEN3c108BFloat16EEvS1_PT2_l.num_vgpr, 9
	.set _ZL16dequantize_blockILi32ELi2EXadL_ZL15dequantize_q5_0PKviiR7__half2EEN3c108BFloat16EEvS1_PT2_l.num_agpr, 0
	.set _ZL16dequantize_blockILi32ELi2EXadL_ZL15dequantize_q5_0PKviiR7__half2EEN3c108BFloat16EEvS1_PT2_l.numbered_sgpr, 7
	.set _ZL16dequantize_blockILi32ELi2EXadL_ZL15dequantize_q5_0PKviiR7__half2EEN3c108BFloat16EEvS1_PT2_l.num_named_barrier, 0
	.set _ZL16dequantize_blockILi32ELi2EXadL_ZL15dequantize_q5_0PKviiR7__half2EEN3c108BFloat16EEvS1_PT2_l.private_seg_size, 0
	.set _ZL16dequantize_blockILi32ELi2EXadL_ZL15dequantize_q5_0PKviiR7__half2EEN3c108BFloat16EEvS1_PT2_l.uses_vcc, 1
	.set _ZL16dequantize_blockILi32ELi2EXadL_ZL15dequantize_q5_0PKviiR7__half2EEN3c108BFloat16EEvS1_PT2_l.uses_flat_scratch, 0
	.set _ZL16dequantize_blockILi32ELi2EXadL_ZL15dequantize_q5_0PKviiR7__half2EEN3c108BFloat16EEvS1_PT2_l.has_dyn_sized_stack, 0
	.set _ZL16dequantize_blockILi32ELi2EXadL_ZL15dequantize_q5_0PKviiR7__half2EEN3c108BFloat16EEvS1_PT2_l.has_recursion, 0
	.set _ZL16dequantize_blockILi32ELi2EXadL_ZL15dequantize_q5_0PKviiR7__half2EEN3c108BFloat16EEvS1_PT2_l.has_indirect_call, 0
	.section	.AMDGPU.csdata,"",@progbits
; Kernel info:
; codeLenInByte = 488
; TotalNumSgprs: 9
; NumVgprs: 9
; ScratchSize: 0
; MemoryBound: 0
; FloatMode: 240
; IeeeMode: 1
; LDSByteSize: 0 bytes/workgroup (compile time only)
; SGPRBlocks: 0
; VGPRBlocks: 0
; NumSGPRsForWavesPerEU: 9
; NumVGPRsForWavesPerEU: 9
; NamedBarCnt: 0
; Occupancy: 16
; WaveLimiterHint : 0
; COMPUTE_PGM_RSRC2:SCRATCH_EN: 0
; COMPUTE_PGM_RSRC2:USER_SGPR: 2
; COMPUTE_PGM_RSRC2:TRAP_HANDLER: 0
; COMPUTE_PGM_RSRC2:TGID_X_EN: 1
; COMPUTE_PGM_RSRC2:TGID_Y_EN: 0
; COMPUTE_PGM_RSRC2:TGID_Z_EN: 0
; COMPUTE_PGM_RSRC2:TIDIG_COMP_CNT: 0
	.section	.text._ZL16dequantize_blockILi32ELi2EXadL_ZL15dequantize_q5_1PKviiR7__half2EEN3c108BFloat16EEvS1_PT2_l,"axG",@progbits,_ZL16dequantize_blockILi32ELi2EXadL_ZL15dequantize_q5_1PKviiR7__half2EEN3c108BFloat16EEvS1_PT2_l,comdat
	.globl	_ZL16dequantize_blockILi32ELi2EXadL_ZL15dequantize_q5_1PKviiR7__half2EEN3c108BFloat16EEvS1_PT2_l ; -- Begin function _ZL16dequantize_blockILi32ELi2EXadL_ZL15dequantize_q5_1PKviiR7__half2EEN3c108BFloat16EEvS1_PT2_l
	.p2align	8
	.type	_ZL16dequantize_blockILi32ELi2EXadL_ZL15dequantize_q5_1PKviiR7__half2EEN3c108BFloat16EEvS1_PT2_l,@function
_ZL16dequantize_blockILi32ELi2EXadL_ZL15dequantize_q5_1PKviiR7__half2EEN3c108BFloat16EEvS1_PT2_l: ; @_ZL16dequantize_blockILi32ELi2EXadL_ZL15dequantize_q5_1PKviiR7__half2EEN3c108BFloat16EEvS1_PT2_l
; %bb.0:
	s_load_b32 s2, s[0:1], 0x24
	s_bfe_u32 s3, ttmp6, 0x4000c
	s_and_b32 s4, ttmp6, 15
	s_add_co_i32 s3, s3, 1
	s_getreg_b32 s5, hwreg(HW_REG_IB_STS2, 6, 4)
	s_mul_i32 s3, ttmp9, s3
	v_mov_b32_e32 v1, 0
	s_add_co_i32 s4, s4, s3
	s_wait_kmcnt 0x0
	s_and_b32 s6, s2, 0xffff
	s_cmp_eq_u32 s5, 0
	s_load_b64 s[2:3], s[0:1], 0x10
	s_cselect_b32 s4, ttmp9, s4
	s_delay_alu instid0(SALU_CYCLE_1) | instskip(NEXT) | instid1(VALU_DEP_1)
	v_mad_nc_u64_u32 v[4:5], s6, s4, v[0:1]
	v_lshlrev_b64_e32 v[2:3], 1, v[4:5]
	s_wait_kmcnt 0x0
	s_delay_alu instid0(VALU_DEP_1)
	v_cmp_gt_i64_e32 vcc_lo, s[2:3], v[2:3]
	s_and_saveexec_b32 s2, vcc_lo
	s_cbranch_execz .LBB41_2
; %bb.1:
	s_load_b128 s[0:3], s[0:1], 0x0
	v_alignbit_b32 v0, v5, v4, 4
	s_wait_kmcnt 0x0
	s_delay_alu instid0(VALU_DEP_1) | instskip(SKIP_1) | instid1(VALU_DEP_1)
	v_mad_nc_i64_i32 v[6:7], v0, 24, s[0:1]
	v_and_b32_e32 v0, 15, v4
	v_add_nc_u64_e32 v[4:5], v[6:7], v[0:1]
	s_clause 0x1
	global_load_b64 v[8:9], v[6:7], off
	global_load_u8 v1, v[4:5], off offset:8
	v_add_nc_u32_e32 v3, 12, v0
	s_wait_loadcnt 0x1
	s_wait_xcnt 0x0
	s_delay_alu instid0(VALU_DEP_1)
	v_dual_lshrrev_b32 v3, v3, v9 :: v_dual_lshrrev_b32 v4, v0, v9
	v_and_or_b32 v0, 0xffffffe0, v2, v0
	s_wait_loadcnt 0x0
	v_and_b32_e32 v5, 15, v1
	v_lshrrev_b16 v1, 4, v1
	v_lshlrev_b32_e32 v4, 4, v4
	s_delay_alu instid0(VALU_DEP_2) | instskip(SKIP_1) | instid1(VALU_DEP_3)
	v_and_or_b32 v1, v3, 16, v1
	v_and_b32_e32 v3, 0xffff, v8
	v_and_or_b32 v4, v4, 16, v5
	v_lshrrev_b32_e32 v5, 16, v8
	s_delay_alu instid0(VALU_DEP_4) | instskip(NEXT) | instid1(VALU_DEP_4)
	v_cvt_f32_ubyte0_e32 v1, v1
	v_mul_u32_u24_e32 v3, 0x10001, v3
	s_delay_alu instid0(VALU_DEP_4) | instskip(NEXT) | instid1(VALU_DEP_1)
	v_cvt_f32_ubyte0_e32 v4, v4
	v_cvt_pk_f16_f32 v1, v4, v1
	v_and_or_b32 v4, 0xffff0000, v8, v5
	s_delay_alu instid0(VALU_DEP_1) | instskip(NEXT) | instid1(VALU_DEP_1)
	v_pk_fma_f16 v1, v1, v3, v4
	v_lshrrev_b32_e32 v3, 16, v1
	v_cvt_f32_f16_e32 v4, v1
	v_cmp_o_f16_e32 vcc_lo, v1, v1
	s_delay_alu instid0(VALU_DEP_3) | instskip(NEXT) | instid1(VALU_DEP_3)
	v_cvt_f32_f16_e32 v5, v3
	v_bfe_u32 v6, v4, 16, 1
	s_delay_alu instid0(VALU_DEP_2) | instskip(NEXT) | instid1(VALU_DEP_2)
	v_bfe_u32 v7, v5, 16, 1
	v_add3_u32 v4, v4, v6, 0x7fff
	s_delay_alu instid0(VALU_DEP_2) | instskip(NEXT) | instid1(VALU_DEP_1)
	v_add3_u32 v5, v5, v7, 0x7fff
	v_dual_lshrrev_b32 v4, 16, v4 :: v_dual_lshrrev_b32 v5, 16, v5
	s_delay_alu instid0(VALU_DEP_1) | instskip(SKIP_1) | instid1(VALU_DEP_3)
	v_cndmask_b32_e32 v1, 0x7fc0, v4, vcc_lo
	v_cmp_o_f16_e32 vcc_lo, v3, v3
	v_cndmask_b32_e32 v2, 0x7fc0, v5, vcc_lo
	s_clause 0x1
	global_store_b16 v0, v1, s[2:3] scale_offset
	global_store_b16 v0, v2, s[2:3] offset:32 scale_offset
.LBB41_2:
	s_endpgm
	.section	.rodata,"a",@progbits
	.p2align	6, 0x0
	.amdhsa_kernel _ZL16dequantize_blockILi32ELi2EXadL_ZL15dequantize_q5_1PKviiR7__half2EEN3c108BFloat16EEvS1_PT2_l
		.amdhsa_group_segment_fixed_size 0
		.amdhsa_private_segment_fixed_size 0
		.amdhsa_kernarg_size 280
		.amdhsa_user_sgpr_count 2
		.amdhsa_user_sgpr_dispatch_ptr 0
		.amdhsa_user_sgpr_queue_ptr 0
		.amdhsa_user_sgpr_kernarg_segment_ptr 1
		.amdhsa_user_sgpr_dispatch_id 0
		.amdhsa_user_sgpr_kernarg_preload_length 0
		.amdhsa_user_sgpr_kernarg_preload_offset 0
		.amdhsa_user_sgpr_private_segment_size 0
		.amdhsa_wavefront_size32 1
		.amdhsa_uses_dynamic_stack 0
		.amdhsa_enable_private_segment 0
		.amdhsa_system_sgpr_workgroup_id_x 1
		.amdhsa_system_sgpr_workgroup_id_y 0
		.amdhsa_system_sgpr_workgroup_id_z 0
		.amdhsa_system_sgpr_workgroup_info 0
		.amdhsa_system_vgpr_workitem_id 0
		.amdhsa_next_free_vgpr 10
		.amdhsa_next_free_sgpr 7
		.amdhsa_named_barrier_count 0
		.amdhsa_reserve_vcc 1
		.amdhsa_float_round_mode_32 0
		.amdhsa_float_round_mode_16_64 0
		.amdhsa_float_denorm_mode_32 3
		.amdhsa_float_denorm_mode_16_64 3
		.amdhsa_fp16_overflow 0
		.amdhsa_memory_ordered 1
		.amdhsa_forward_progress 1
		.amdhsa_inst_pref_size 4
		.amdhsa_round_robin_scheduling 0
		.amdhsa_exception_fp_ieee_invalid_op 0
		.amdhsa_exception_fp_denorm_src 0
		.amdhsa_exception_fp_ieee_div_zero 0
		.amdhsa_exception_fp_ieee_overflow 0
		.amdhsa_exception_fp_ieee_underflow 0
		.amdhsa_exception_fp_ieee_inexact 0
		.amdhsa_exception_int_div_zero 0
	.end_amdhsa_kernel
	.section	.text._ZL16dequantize_blockILi32ELi2EXadL_ZL15dequantize_q5_1PKviiR7__half2EEN3c108BFloat16EEvS1_PT2_l,"axG",@progbits,_ZL16dequantize_blockILi32ELi2EXadL_ZL15dequantize_q5_1PKviiR7__half2EEN3c108BFloat16EEvS1_PT2_l,comdat
.Lfunc_end41:
	.size	_ZL16dequantize_blockILi32ELi2EXadL_ZL15dequantize_q5_1PKviiR7__half2EEN3c108BFloat16EEvS1_PT2_l, .Lfunc_end41-_ZL16dequantize_blockILi32ELi2EXadL_ZL15dequantize_q5_1PKviiR7__half2EEN3c108BFloat16EEvS1_PT2_l
                                        ; -- End function
	.set _ZL16dequantize_blockILi32ELi2EXadL_ZL15dequantize_q5_1PKviiR7__half2EEN3c108BFloat16EEvS1_PT2_l.num_vgpr, 10
	.set _ZL16dequantize_blockILi32ELi2EXadL_ZL15dequantize_q5_1PKviiR7__half2EEN3c108BFloat16EEvS1_PT2_l.num_agpr, 0
	.set _ZL16dequantize_blockILi32ELi2EXadL_ZL15dequantize_q5_1PKviiR7__half2EEN3c108BFloat16EEvS1_PT2_l.numbered_sgpr, 7
	.set _ZL16dequantize_blockILi32ELi2EXadL_ZL15dequantize_q5_1PKviiR7__half2EEN3c108BFloat16EEvS1_PT2_l.num_named_barrier, 0
	.set _ZL16dequantize_blockILi32ELi2EXadL_ZL15dequantize_q5_1PKviiR7__half2EEN3c108BFloat16EEvS1_PT2_l.private_seg_size, 0
	.set _ZL16dequantize_blockILi32ELi2EXadL_ZL15dequantize_q5_1PKviiR7__half2EEN3c108BFloat16EEvS1_PT2_l.uses_vcc, 1
	.set _ZL16dequantize_blockILi32ELi2EXadL_ZL15dequantize_q5_1PKviiR7__half2EEN3c108BFloat16EEvS1_PT2_l.uses_flat_scratch, 0
	.set _ZL16dequantize_blockILi32ELi2EXadL_ZL15dequantize_q5_1PKviiR7__half2EEN3c108BFloat16EEvS1_PT2_l.has_dyn_sized_stack, 0
	.set _ZL16dequantize_blockILi32ELi2EXadL_ZL15dequantize_q5_1PKviiR7__half2EEN3c108BFloat16EEvS1_PT2_l.has_recursion, 0
	.set _ZL16dequantize_blockILi32ELi2EXadL_ZL15dequantize_q5_1PKviiR7__half2EEN3c108BFloat16EEvS1_PT2_l.has_indirect_call, 0
	.section	.AMDGPU.csdata,"",@progbits
; Kernel info:
; codeLenInByte = 456
; TotalNumSgprs: 9
; NumVgprs: 10
; ScratchSize: 0
; MemoryBound: 0
; FloatMode: 240
; IeeeMode: 1
; LDSByteSize: 0 bytes/workgroup (compile time only)
; SGPRBlocks: 0
; VGPRBlocks: 0
; NumSGPRsForWavesPerEU: 9
; NumVGPRsForWavesPerEU: 10
; NamedBarCnt: 0
; Occupancy: 16
; WaveLimiterHint : 0
; COMPUTE_PGM_RSRC2:SCRATCH_EN: 0
; COMPUTE_PGM_RSRC2:USER_SGPR: 2
; COMPUTE_PGM_RSRC2:TRAP_HANDLER: 0
; COMPUTE_PGM_RSRC2:TGID_X_EN: 1
; COMPUTE_PGM_RSRC2:TGID_Y_EN: 0
; COMPUTE_PGM_RSRC2:TGID_Z_EN: 0
; COMPUTE_PGM_RSRC2:TIDIG_COMP_CNT: 0
	.section	.text._ZL16dequantize_blockILi32ELi1EXadL_ZL15dequantize_q8_0PKviiR7__half2EEN3c108BFloat16EEvS1_PT2_l,"axG",@progbits,_ZL16dequantize_blockILi32ELi1EXadL_ZL15dequantize_q8_0PKviiR7__half2EEN3c108BFloat16EEvS1_PT2_l,comdat
	.globl	_ZL16dequantize_blockILi32ELi1EXadL_ZL15dequantize_q8_0PKviiR7__half2EEN3c108BFloat16EEvS1_PT2_l ; -- Begin function _ZL16dequantize_blockILi32ELi1EXadL_ZL15dequantize_q8_0PKviiR7__half2EEN3c108BFloat16EEvS1_PT2_l
	.p2align	8
	.type	_ZL16dequantize_blockILi32ELi1EXadL_ZL15dequantize_q8_0PKviiR7__half2EEN3c108BFloat16EEvS1_PT2_l,@function
_ZL16dequantize_blockILi32ELi1EXadL_ZL15dequantize_q8_0PKviiR7__half2EEN3c108BFloat16EEvS1_PT2_l: ; @_ZL16dequantize_blockILi32ELi1EXadL_ZL15dequantize_q8_0PKviiR7__half2EEN3c108BFloat16EEvS1_PT2_l
; %bb.0:
	s_load_b32 s2, s[0:1], 0x24
	s_bfe_u32 s3, ttmp6, 0x4000c
	s_and_b32 s4, ttmp6, 15
	s_add_co_i32 s3, s3, 1
	s_getreg_b32 s5, hwreg(HW_REG_IB_STS2, 6, 4)
	s_mul_i32 s3, ttmp9, s3
	v_mov_b32_e32 v1, 0
	s_add_co_i32 s4, s4, s3
	s_wait_kmcnt 0x0
	s_and_b32 s6, s2, 0xffff
	s_cmp_eq_u32 s5, 0
	s_load_b64 s[2:3], s[0:1], 0x10
	s_cselect_b32 s4, ttmp9, s4
	s_delay_alu instid0(SALU_CYCLE_1) | instskip(NEXT) | instid1(VALU_DEP_1)
	v_mad_nc_u64_u32 v[2:3], s6, s4, v[0:1]
	v_lshlrev_b64_e32 v[4:5], 1, v[2:3]
	s_wait_kmcnt 0x0
	s_delay_alu instid0(VALU_DEP_1)
	v_cmp_gt_i64_e32 vcc_lo, s[2:3], v[4:5]
	s_and_saveexec_b32 s2, vcc_lo
	s_cbranch_execz .LBB42_2
; %bb.1:
	s_load_b128 s[0:3], s[0:1], 0x0
	v_alignbit_b32 v0, v3, v2, 4
	s_wait_kmcnt 0x0
	s_delay_alu instid0(VALU_DEP_1) | instskip(SKIP_1) | instid1(VALU_DEP_1)
	v_mad_nc_i64_i32 v[6:7], v0, 34, s[0:1]
	v_and_b32_e32 v0, 30, v4
	v_add_nc_u64_e32 v[4:5], v[6:7], v[0:1]
	s_clause 0x1
	global_load_u16 v0, v[4:5], off offset:2
	global_load_u16 v3, v[6:7], off
	s_wait_loadcnt 0x1
	s_wait_xcnt 0x1
	v_ashrrev_i16 v4, 8, v0
	v_bfe_i32 v0, v0, 0, 8
	s_wait_loadcnt 0x0
	v_lshl_or_b32 v3, v3, 16, v3
	s_delay_alu instid0(VALU_DEP_3) | instskip(NEXT) | instid1(VALU_DEP_3)
	v_cvt_f16_i16_e32 v4, v4
	v_cvt_f16_i16_e32 v0, v0
	s_delay_alu instid0(VALU_DEP_1) | instskip(NEXT) | instid1(VALU_DEP_1)
	v_pack_b32_f16 v0, v0, v4
	v_pk_mul_f16 v4, v0, v3
	s_delay_alu instid0(VALU_DEP_1) | instskip(SKIP_2) | instid1(VALU_DEP_3)
	v_lshrrev_b32_e32 v5, 16, v4
	v_cvt_f32_f16_e32 v0, v4
	v_cmp_o_f16_e32 vcc_lo, v4, v4
	v_cvt_f32_f16_e32 v6, v5
	s_delay_alu instid0(VALU_DEP_1) | instskip(NEXT) | instid1(VALU_DEP_1)
	v_dual_lshrrev_b32 v3, 16, v0 :: v_dual_lshrrev_b32 v7, 16, v6
	v_and_b32_e32 v3, 1, v3
	s_delay_alu instid0(VALU_DEP_2) | instskip(NEXT) | instid1(VALU_DEP_2)
	v_and_b32_e32 v7, 1, v7
	v_add3_u32 v0, v0, v3, 0x7fff
	v_dual_mov_b32 v2, v1 :: v_dual_lshlrev_b32 v3, 1, v2
	s_delay_alu instid0(VALU_DEP_3) | instskip(NEXT) | instid1(VALU_DEP_3)
	v_add3_u32 v6, v6, v7, 0x7fff
	v_lshrrev_b32_e32 v7, 16, v0
	s_delay_alu instid0(VALU_DEP_3) | instskip(NEXT) | instid1(VALU_DEP_3)
	v_ashrrev_i64 v[0:1], 31, v[2:3]
	v_lshrrev_b32_e32 v6, 16, v6
	s_delay_alu instid0(VALU_DEP_3) | instskip(SKIP_1) | instid1(VALU_DEP_4)
	v_cndmask_b32_e32 v2, 0x7fc0, v7, vcc_lo
	v_cmp_o_f16_e32 vcc_lo, v5, v5
	v_add_nc_u64_e32 v[0:1], s[2:3], v[0:1]
	s_delay_alu instid0(VALU_DEP_4) | instskip(NEXT) | instid1(VALU_DEP_1)
	v_cndmask_b32_e32 v3, 0x7fc0, v6, vcc_lo
	v_perm_b32 v2, v3, v2, 0x5040100
	global_store_b32 v[0:1], v2, off
.LBB42_2:
	s_endpgm
	.section	.rodata,"a",@progbits
	.p2align	6, 0x0
	.amdhsa_kernel _ZL16dequantize_blockILi32ELi1EXadL_ZL15dequantize_q8_0PKviiR7__half2EEN3c108BFloat16EEvS1_PT2_l
		.amdhsa_group_segment_fixed_size 0
		.amdhsa_private_segment_fixed_size 0
		.amdhsa_kernarg_size 280
		.amdhsa_user_sgpr_count 2
		.amdhsa_user_sgpr_dispatch_ptr 0
		.amdhsa_user_sgpr_queue_ptr 0
		.amdhsa_user_sgpr_kernarg_segment_ptr 1
		.amdhsa_user_sgpr_dispatch_id 0
		.amdhsa_user_sgpr_kernarg_preload_length 0
		.amdhsa_user_sgpr_kernarg_preload_offset 0
		.amdhsa_user_sgpr_private_segment_size 0
		.amdhsa_wavefront_size32 1
		.amdhsa_uses_dynamic_stack 0
		.amdhsa_enable_private_segment 0
		.amdhsa_system_sgpr_workgroup_id_x 1
		.amdhsa_system_sgpr_workgroup_id_y 0
		.amdhsa_system_sgpr_workgroup_id_z 0
		.amdhsa_system_sgpr_workgroup_info 0
		.amdhsa_system_vgpr_workitem_id 0
		.amdhsa_next_free_vgpr 8
		.amdhsa_next_free_sgpr 7
		.amdhsa_named_barrier_count 0
		.amdhsa_reserve_vcc 1
		.amdhsa_float_round_mode_32 0
		.amdhsa_float_round_mode_16_64 0
		.amdhsa_float_denorm_mode_32 3
		.amdhsa_float_denorm_mode_16_64 3
		.amdhsa_fp16_overflow 0
		.amdhsa_memory_ordered 1
		.amdhsa_forward_progress 1
		.amdhsa_inst_pref_size 4
		.amdhsa_round_robin_scheduling 0
		.amdhsa_exception_fp_ieee_invalid_op 0
		.amdhsa_exception_fp_denorm_src 0
		.amdhsa_exception_fp_ieee_div_zero 0
		.amdhsa_exception_fp_ieee_overflow 0
		.amdhsa_exception_fp_ieee_underflow 0
		.amdhsa_exception_fp_ieee_inexact 0
		.amdhsa_exception_int_div_zero 0
	.end_amdhsa_kernel
	.section	.text._ZL16dequantize_blockILi32ELi1EXadL_ZL15dequantize_q8_0PKviiR7__half2EEN3c108BFloat16EEvS1_PT2_l,"axG",@progbits,_ZL16dequantize_blockILi32ELi1EXadL_ZL15dequantize_q8_0PKviiR7__half2EEN3c108BFloat16EEvS1_PT2_l,comdat
.Lfunc_end42:
	.size	_ZL16dequantize_blockILi32ELi1EXadL_ZL15dequantize_q8_0PKviiR7__half2EEN3c108BFloat16EEvS1_PT2_l, .Lfunc_end42-_ZL16dequantize_blockILi32ELi1EXadL_ZL15dequantize_q8_0PKviiR7__half2EEN3c108BFloat16EEvS1_PT2_l
                                        ; -- End function
	.set _ZL16dequantize_blockILi32ELi1EXadL_ZL15dequantize_q8_0PKviiR7__half2EEN3c108BFloat16EEvS1_PT2_l.num_vgpr, 8
	.set _ZL16dequantize_blockILi32ELi1EXadL_ZL15dequantize_q8_0PKviiR7__half2EEN3c108BFloat16EEvS1_PT2_l.num_agpr, 0
	.set _ZL16dequantize_blockILi32ELi1EXadL_ZL15dequantize_q8_0PKviiR7__half2EEN3c108BFloat16EEvS1_PT2_l.numbered_sgpr, 7
	.set _ZL16dequantize_blockILi32ELi1EXadL_ZL15dequantize_q8_0PKviiR7__half2EEN3c108BFloat16EEvS1_PT2_l.num_named_barrier, 0
	.set _ZL16dequantize_blockILi32ELi1EXadL_ZL15dequantize_q8_0PKviiR7__half2EEN3c108BFloat16EEvS1_PT2_l.private_seg_size, 0
	.set _ZL16dequantize_blockILi32ELi1EXadL_ZL15dequantize_q8_0PKviiR7__half2EEN3c108BFloat16EEvS1_PT2_l.uses_vcc, 1
	.set _ZL16dequantize_blockILi32ELi1EXadL_ZL15dequantize_q8_0PKviiR7__half2EEN3c108BFloat16EEvS1_PT2_l.uses_flat_scratch, 0
	.set _ZL16dequantize_blockILi32ELi1EXadL_ZL15dequantize_q8_0PKviiR7__half2EEN3c108BFloat16EEvS1_PT2_l.has_dyn_sized_stack, 0
	.set _ZL16dequantize_blockILi32ELi1EXadL_ZL15dequantize_q8_0PKviiR7__half2EEN3c108BFloat16EEvS1_PT2_l.has_recursion, 0
	.set _ZL16dequantize_blockILi32ELi1EXadL_ZL15dequantize_q8_0PKviiR7__half2EEN3c108BFloat16EEvS1_PT2_l.has_indirect_call, 0
	.section	.AMDGPU.csdata,"",@progbits
; Kernel info:
; codeLenInByte = 404
; TotalNumSgprs: 9
; NumVgprs: 8
; ScratchSize: 0
; MemoryBound: 0
; FloatMode: 240
; IeeeMode: 1
; LDSByteSize: 0 bytes/workgroup (compile time only)
; SGPRBlocks: 0
; VGPRBlocks: 0
; NumSGPRsForWavesPerEU: 9
; NumVGPRsForWavesPerEU: 8
; NamedBarCnt: 0
; Occupancy: 16
; WaveLimiterHint : 0
; COMPUTE_PGM_RSRC2:SCRATCH_EN: 0
; COMPUTE_PGM_RSRC2:USER_SGPR: 2
; COMPUTE_PGM_RSRC2:TRAP_HANDLER: 0
; COMPUTE_PGM_RSRC2:TGID_X_EN: 1
; COMPUTE_PGM_RSRC2:TGID_Y_EN: 0
; COMPUTE_PGM_RSRC2:TGID_Z_EN: 0
; COMPUTE_PGM_RSRC2:TIDIG_COMP_CNT: 0
	.section	.text._ZL21dequantize_block_q2_KIN3c108BFloat16EEvPKvPT_,"axG",@progbits,_ZL21dequantize_block_q2_KIN3c108BFloat16EEvPKvPT_,comdat
	.globl	_ZL21dequantize_block_q2_KIN3c108BFloat16EEvPKvPT_ ; -- Begin function _ZL21dequantize_block_q2_KIN3c108BFloat16EEvPKvPT_
	.p2align	8
	.type	_ZL21dequantize_block_q2_KIN3c108BFloat16EEvPKvPT_,@function
_ZL21dequantize_block_q2_KIN3c108BFloat16EEvPKvPT_: ; @_ZL21dequantize_block_q2_KIN3c108BFloat16EEvPKvPT_
; %bb.0:
	s_load_b128 s[0:3], s[0:1], 0x0
	s_bfe_u32 s4, ttmp6, 0x4000c
	s_and_b32 s5, ttmp6, 15
	s_add_co_i32 s4, s4, 1
	s_getreg_b32 s6, hwreg(HW_REG_IB_STS2, 6, 4)
	s_mul_i32 s4, ttmp9, s4
	v_lshrrev_b32_e32 v2, 5, v0
	v_bfe_u32 v1, v0, 4, 1
	s_add_co_i32 s4, s5, s4
	s_cmp_eq_u32 s6, 0
	s_mov_b32 s5, 0
	s_cselect_b32 s4, ttmp9, s4
	v_lshl_or_b32 v1, v2, 3, v1
	s_mul_u64 s[6:7], s[4:5], 0x54
	s_lshl_b32 s4, s4, 8
	s_wait_kmcnt 0x0
	s_add_nc_u64 s[0:1], s[0:1], s[6:7]
	s_clause 0x4
	global_load_u8 v3, v1, s[0:1]
	global_load_u8 v4, v0, s[0:1] offset:16
	global_load_u8 v5, v1, s[0:1] offset:2
	;; [unrolled: 1-line block ×4, first 2 shown]
	s_load_b32 s6, s[0:1], 0x50
	v_dual_mov_b32 v1, 0 :: v_dual_bitop2_b32 v8, 31, v0 bitop3:0x40
	v_lshlrev_b32_e32 v0, 8, v2
	s_wait_kmcnt 0x0
	s_lshr_b32 s0, s6, 16
	s_wait_loadcnt 0x4
	v_and_b32_e32 v2, 15, v3
	s_wait_loadcnt 0x3
	v_and_b32_e32 v9, 3, v4
	;; [unrolled: 2-line block ×3, first 2 shown]
	v_bfe_u32 v11, v4, 2, 2
	v_bfe_u32 v13, v4, 4, 2
	v_lshrrev_b32_e32 v4, 6, v4
	v_and_b32_e32 v2, 0xffff, v2
	v_and_b32_e32 v10, 0xffff, v10
	v_lshrrev_b16 v5, 4, v5
	v_lshrrev_b16 v3, 4, v3
	s_wait_loadcnt 0x1
	v_and_b32_e32 v12, 15, v6
	v_mul_u32_u24_e32 v2, v9, v2
	v_mul_u32_u24_e32 v9, v11, v10
	v_cvt_f16_u16_e32 v5, v5
	v_lshrrev_b16 v6, 4, v6
	s_wait_loadcnt 0x0
	v_and_b32_e32 v14, 15, v7
	v_lshrrev_b16 v7, 4, v7
	v_cvt_f32_ubyte0_e32 v9, v9
	v_mul_f16_e32 v5, s0, v5
	v_cvt_f16_u16_e32 v3, v3
	v_cvt_f32_ubyte0_e32 v2, v2
	v_cvt_f16_u16_e32 v6, v6
	v_cvt_f16_f32_e32 v9, v9
	v_cvt_f16_u16_e32 v7, v7
	v_and_b32_e32 v14, 0xffff, v14
	v_mul_f16_e32 v3, s0, v3
	v_cvt_f16_f32_e32 v2, v2
	v_fma_f16 v5, s6, v9, -v5
	v_mul_f16_e32 v6, s0, v6
	v_mul_f16_e32 v7, s0, v7
	s_lshl_b64 s[0:1], s[4:5], 1
	v_mul_u32_u24_e32 v4, v4, v14
	v_cvt_f32_f16_e32 v9, v5
	s_add_nc_u64 s[0:1], s[2:3], s[0:1]
	v_fma_f16 v11, s6, v2, -v3
	v_add_nc_u64_e32 v[2:3], s[0:1], v[0:1]
	v_lshlrev_b32_e32 v0, 1, v8
	v_bfe_u32 v14, v9, 16, 1
	v_cvt_f32_ubyte0_e32 v4, v4
	v_cmp_o_f16_e32 vcc_lo, v11, v11
	s_delay_alu instid0(VALU_DEP_4) | instskip(NEXT) | instid1(VALU_DEP_4)
	v_add_nc_u64_e32 v[0:1], v[2:3], v[0:1]
	v_add3_u32 v8, v9, v14, 0x7fff
	s_delay_alu instid0(VALU_DEP_4) | instskip(NEXT) | instid1(VALU_DEP_2)
	v_cvt_f16_f32_e32 v4, v4
	v_lshrrev_b32_e32 v3, 16, v8
	v_and_b32_e32 v12, 0xffff, v12
	s_delay_alu instid0(VALU_DEP_3) | instskip(SKIP_1) | instid1(VALU_DEP_3)
	v_fma_f16 v4, s6, v4, -v7
	v_cvt_f32_f16_e32 v7, v11
	v_mul_u32_u24_e32 v10, v13, v12
	s_delay_alu instid0(VALU_DEP_3) | instskip(NEXT) | instid1(VALU_DEP_3)
	v_cvt_f32_f16_e32 v12, v4
	v_bfe_u32 v13, v7, 16, 1
	s_delay_alu instid0(VALU_DEP_3) | instskip(NEXT) | instid1(VALU_DEP_3)
	v_cvt_f32_ubyte0_e32 v10, v10
	v_bfe_u32 v16, v12, 16, 1
	s_delay_alu instid0(VALU_DEP_3) | instskip(NEXT) | instid1(VALU_DEP_3)
	v_add3_u32 v7, v7, v13, 0x7fff
	v_cvt_f16_f32_e32 v10, v10
	s_delay_alu instid0(VALU_DEP_2) | instskip(NEXT) | instid1(VALU_DEP_2)
	v_lshrrev_b32_e32 v2, 16, v7
	v_fma_f16 v6, s6, v10, -v6
	s_delay_alu instid0(VALU_DEP_2) | instskip(SKIP_1) | instid1(VALU_DEP_3)
	v_cndmask_b32_e32 v2, 0x7fc0, v2, vcc_lo
	v_cmp_o_f16_e32 vcc_lo, v5, v5
	v_cvt_f32_f16_e32 v10, v6
	v_cndmask_b32_e32 v3, 0x7fc0, v3, vcc_lo
	v_cmp_o_f16_e32 vcc_lo, v6, v6
	s_delay_alu instid0(VALU_DEP_3) | instskip(NEXT) | instid1(VALU_DEP_1)
	v_bfe_u32 v15, v10, 16, 1
	v_add3_u32 v9, v10, v15, 0x7fff
	v_add3_u32 v10, v12, v16, 0x7fff
	s_delay_alu instid0(VALU_DEP_1) | instskip(NEXT) | instid1(VALU_DEP_1)
	v_dual_lshrrev_b32 v7, 16, v9 :: v_dual_lshrrev_b32 v8, 16, v10
	v_cndmask_b32_e32 v5, 0x7fc0, v7, vcc_lo
	v_cmp_o_f16_e32 vcc_lo, v4, v4
	s_delay_alu instid0(VALU_DEP_3)
	v_cndmask_b32_e32 v4, 0x7fc0, v8, vcc_lo
	s_clause 0x3
	global_store_b16 v[0:1], v2, off
	global_store_b16 v[0:1], v3, off offset:64
	global_store_b16 v[0:1], v5, off offset:128
	;; [unrolled: 1-line block ×3, first 2 shown]
	s_endpgm
	.section	.rodata,"a",@progbits
	.p2align	6, 0x0
	.amdhsa_kernel _ZL21dequantize_block_q2_KIN3c108BFloat16EEvPKvPT_
		.amdhsa_group_segment_fixed_size 0
		.amdhsa_private_segment_fixed_size 0
		.amdhsa_kernarg_size 16
		.amdhsa_user_sgpr_count 2
		.amdhsa_user_sgpr_dispatch_ptr 0
		.amdhsa_user_sgpr_queue_ptr 0
		.amdhsa_user_sgpr_kernarg_segment_ptr 1
		.amdhsa_user_sgpr_dispatch_id 0
		.amdhsa_user_sgpr_kernarg_preload_length 0
		.amdhsa_user_sgpr_kernarg_preload_offset 0
		.amdhsa_user_sgpr_private_segment_size 0
		.amdhsa_wavefront_size32 1
		.amdhsa_uses_dynamic_stack 0
		.amdhsa_enable_private_segment 0
		.amdhsa_system_sgpr_workgroup_id_x 1
		.amdhsa_system_sgpr_workgroup_id_y 0
		.amdhsa_system_sgpr_workgroup_id_z 0
		.amdhsa_system_sgpr_workgroup_info 0
		.amdhsa_system_vgpr_workitem_id 0
		.amdhsa_next_free_vgpr 17
		.amdhsa_next_free_sgpr 8
		.amdhsa_named_barrier_count 0
		.amdhsa_reserve_vcc 1
		.amdhsa_float_round_mode_32 0
		.amdhsa_float_round_mode_16_64 0
		.amdhsa_float_denorm_mode_32 3
		.amdhsa_float_denorm_mode_16_64 3
		.amdhsa_fp16_overflow 0
		.amdhsa_memory_ordered 1
		.amdhsa_forward_progress 1
		.amdhsa_inst_pref_size 6
		.amdhsa_round_robin_scheduling 0
		.amdhsa_exception_fp_ieee_invalid_op 0
		.amdhsa_exception_fp_denorm_src 0
		.amdhsa_exception_fp_ieee_div_zero 0
		.amdhsa_exception_fp_ieee_overflow 0
		.amdhsa_exception_fp_ieee_underflow 0
		.amdhsa_exception_fp_ieee_inexact 0
		.amdhsa_exception_int_div_zero 0
	.end_amdhsa_kernel
	.section	.text._ZL21dequantize_block_q2_KIN3c108BFloat16EEvPKvPT_,"axG",@progbits,_ZL21dequantize_block_q2_KIN3c108BFloat16EEvPKvPT_,comdat
.Lfunc_end43:
	.size	_ZL21dequantize_block_q2_KIN3c108BFloat16EEvPKvPT_, .Lfunc_end43-_ZL21dequantize_block_q2_KIN3c108BFloat16EEvPKvPT_
                                        ; -- End function
	.set _ZL21dequantize_block_q2_KIN3c108BFloat16EEvPKvPT_.num_vgpr, 17
	.set _ZL21dequantize_block_q2_KIN3c108BFloat16EEvPKvPT_.num_agpr, 0
	.set _ZL21dequantize_block_q2_KIN3c108BFloat16EEvPKvPT_.numbered_sgpr, 8
	.set _ZL21dequantize_block_q2_KIN3c108BFloat16EEvPKvPT_.num_named_barrier, 0
	.set _ZL21dequantize_block_q2_KIN3c108BFloat16EEvPKvPT_.private_seg_size, 0
	.set _ZL21dequantize_block_q2_KIN3c108BFloat16EEvPKvPT_.uses_vcc, 1
	.set _ZL21dequantize_block_q2_KIN3c108BFloat16EEvPKvPT_.uses_flat_scratch, 0
	.set _ZL21dequantize_block_q2_KIN3c108BFloat16EEvPKvPT_.has_dyn_sized_stack, 0
	.set _ZL21dequantize_block_q2_KIN3c108BFloat16EEvPKvPT_.has_recursion, 0
	.set _ZL21dequantize_block_q2_KIN3c108BFloat16EEvPKvPT_.has_indirect_call, 0
	.section	.AMDGPU.csdata,"",@progbits
; Kernel info:
; codeLenInByte = 704
; TotalNumSgprs: 10
; NumVgprs: 17
; ScratchSize: 0
; MemoryBound: 0
; FloatMode: 240
; IeeeMode: 1
; LDSByteSize: 0 bytes/workgroup (compile time only)
; SGPRBlocks: 0
; VGPRBlocks: 1
; NumSGPRsForWavesPerEU: 10
; NumVGPRsForWavesPerEU: 17
; NamedBarCnt: 0
; Occupancy: 16
; WaveLimiterHint : 0
; COMPUTE_PGM_RSRC2:SCRATCH_EN: 0
; COMPUTE_PGM_RSRC2:USER_SGPR: 2
; COMPUTE_PGM_RSRC2:TRAP_HANDLER: 0
; COMPUTE_PGM_RSRC2:TGID_X_EN: 1
; COMPUTE_PGM_RSRC2:TGID_Y_EN: 0
; COMPUTE_PGM_RSRC2:TGID_Z_EN: 0
; COMPUTE_PGM_RSRC2:TIDIG_COMP_CNT: 0
	.section	.text._ZL21dequantize_block_q3_KIN3c108BFloat16EEvPKvPT_,"axG",@progbits,_ZL21dequantize_block_q3_KIN3c108BFloat16EEvPKvPT_,comdat
	.globl	_ZL21dequantize_block_q3_KIN3c108BFloat16EEvPKvPT_ ; -- Begin function _ZL21dequantize_block_q3_KIN3c108BFloat16EEvPKvPT_
	.p2align	8
	.type	_ZL21dequantize_block_q3_KIN3c108BFloat16EEvPKvPT_,@function
_ZL21dequantize_block_q3_KIN3c108BFloat16EEvPKvPT_: ; @_ZL21dequantize_block_q3_KIN3c108BFloat16EEvPKvPT_
; %bb.0:
	v_dual_lshrrev_b32 v9, 5, v0 :: v_dual_lshrrev_b32 v7, 3, v0
	v_bfe_u32 v8, v0, 2, 1
	s_bfe_u32 s4, ttmp6, 0x4000c
	s_load_b64 s[2:3], s[0:1], 0x0
	s_delay_alu instid0(VALU_DEP_2)
	v_lshlrev_b32_e32 v1, 2, v9
	s_add_co_i32 s4, s4, 1
	s_and_b32 s5, ttmp6, 15
	s_mul_i32 s4, ttmp9, s4
	s_getreg_b32 s6, hwreg(HW_REG_IB_STS2, 6, 4)
	v_sub_nc_u32_e32 v1, v7, v1
	s_add_co_i32 s5, s5, s4
	s_cmp_eq_u32 s6, 0
	s_mov_b32 s7, 0
	s_cselect_b32 s4, ttmp9, s5
	v_lshlrev_b32_e32 v6, 1, v1
	s_mov_b32 s6, s4
                                        ; implicit-def: $vgpr10
                                        ; implicit-def: $vgpr5
	s_mov_b32 s5, exec_lo
	v_mov_b64_e32 v[2:3], s[6:7]
	s_delay_alu instid0(VALU_DEP_2) | instskip(NEXT) | instid1(VALU_DEP_1)
	v_lshl_add_u32 v11, v9, 3, v6
	v_or_b32_e32 v4, v11, v8
	s_delay_alu instid0(VALU_DEP_1)
	v_cmpx_lt_i32_e32 3, v4
	s_xor_b32 s8, exec_lo, s5
	s_cbranch_execz .LBB44_10
; %bb.1:
	v_mov_b64_e32 v[2:3], s[6:7]
                                        ; implicit-def: $vgpr10
                                        ; implicit-def: $vgpr5
	s_mov_b32 s5, exec_lo
	v_cmpx_lt_u32_e32 7, v11
	s_xor_b32 s9, exec_lo, s5
	s_cbranch_execz .LBB44_7
; %bb.2:
	s_mov_b32 s5, 0
	v_mov_b32_e32 v5, 0
	s_mul_u64 s[10:11], s[4:5], 0x6e
	s_wait_kmcnt 0x0
	s_add_nc_u64 s[10:11], s[2:3], s[10:11]
	global_load_u8 v10, v4, s[10:11] offset:88
	v_add_nc_u64_e32 v[2:3], s[10:11], v[4:5]
	s_wait_xcnt 0x0
	s_mov_b32 s10, exec_lo
                                        ; implicit-def: $vgpr5
	v_cmpx_lt_u32_e32 11, v11
	s_xor_b32 s10, exec_lo, s10
	s_cbranch_execz .LBB44_4
; %bb.3:
	global_load_u8 v2, v[2:3], off offset:92
	s_wait_loadcnt 0x0
	v_lshrrev_b16 v5, 2, v2
                                        ; implicit-def: $vgpr2_vgpr3
.LBB44_4:
	s_and_not1_saveexec_b32 s10, s10
	s_cbranch_execz .LBB44_6
; %bb.5:
	global_load_u8 v5, v[2:3], off offset:96
.LBB44_6:
	s_wait_xcnt 0x0
	s_or_b32 exec_lo, exec_lo, s10
	s_wait_loadcnt 0x0
	v_lshrrev_b16 v10, 4, v10
	v_mov_b64_e32 v[2:3], s[4:5]
                                        ; implicit-def: $vgpr4
.LBB44_7:
	s_and_not1_saveexec_b32 s5, s9
	s_cbranch_execz .LBB44_9
; %bb.8:
	s_mul_u64 s[10:11], s[6:7], 0x6e
	s_wait_kmcnt 0x0
	s_add_nc_u64 s[10:11], s[2:3], s[10:11]
	s_clause 0x1
	global_load_u8 v3, v4, s[10:11] offset:96
	global_load_u8 v5, v4, s[10:11] offset:100
	s_wait_loadcnt 0x1
	v_and_b32_e32 v10, 15, v3
	s_wait_loadcnt 0x0
	v_lshlrev_b16 v5, 2, v5
.LBB44_9:
	s_or_b32 exec_lo, exec_lo, s5
                                        ; implicit-def: $vgpr4
.LBB44_10:
	s_or_saveexec_b32 s5, s8
	s_wait_xcnt 0x0
	s_load_b64 s[0:1], s[0:1], 0x8
	s_xor_b32 exec_lo, exec_lo, s5
	s_cbranch_execz .LBB44_12
; %bb.11:
	s_mul_u64 s[6:7], s[6:7], 0x6e
	s_wait_kmcnt 0x0
	s_add_nc_u64 s[6:7], s[2:3], s[6:7]
	s_clause 0x1
	global_load_u8 v3, v4, s[6:7] offset:96
	global_load_u8 v5, v4, s[6:7] offset:104
	s_wait_loadcnt 0x1
	v_and_b32_e32 v10, 15, v3
	s_wait_loadcnt 0x0
	v_lshlrev_b16 v5, 4, v5
.LBB44_12:
	s_or_b32 exec_lo, exec_lo, s5
	s_wait_kmcnt 0x0
	v_mad_nc_u64_u32 v[12:13], 0x6e, v2, s[2:3]
	s_lshl_b32 s2, s4, 8
	s_mov_b32 s3, 0
	v_dual_mov_b32 v3, 0 :: v_dual_lshlrev_b32 v2, 8, v9
	s_lshl_b64 s[2:3], s[2:3], 1
	v_lshlrev_b32_e32 v4, 2, v0
	s_add_nc_u64 s[0:1], s[0:1], s[2:3]
	v_bitop3_b16 v5, v5, v10, 48 bitop3:0xec
	v_add_nc_u64_e32 v[14:15], s[0:1], v[2:3]
	v_and_b32_e32 v2, 0x3e0, v0
	v_dual_mov_b32 v9, v3 :: v_dual_bitop2_b32 v0, 12, v4 bitop3:0x40
	v_lshlrev_b32_e64 v7, v7, 1
	v_and_b32_e32 v5, 0xff, v5
	s_delay_alu instid0(VALU_DEP_4) | instskip(NEXT) | instid1(VALU_DEP_4)
	v_add_nc_u64_e32 v[16:17], v[12:13], v[2:3]
	v_lshl_or_b32 v8, v8, 4, v0
	s_delay_alu instid0(VALU_DEP_3) | instskip(NEXT) | instid1(VALU_DEP_2)
	v_subrev_nc_u32_e32 v5, 32, v5
	v_add_nc_u64_e32 v[16:17], v[16:17], v[8:9]
	v_add_nc_u64_e32 v[18:19], v[12:13], v[8:9]
	s_delay_alu instid0(VALU_DEP_3)
	v_cvt_f32_i32_e32 v5, v5
	s_clause 0x2
	global_load_b32 v0, v[16:17], off offset:32
	global_load_b32 v2, v[18:19], off
	global_load_u16 v4, v[12:13], off offset:108
	v_cvt_f16_f32_e32 v5, v5
	s_wait_loadcnt 0x2
	v_lshrrev_b16 v10, 8, v0
	s_wait_loadcnt 0x1
	s_wait_xcnt 0x0
	v_dual_lshrrev_b32 v12, 24, v2 :: v_dual_lshrrev_b32 v9, 24, v0
	v_bfe_u32 v11, v0, 16, 8
	v_and_b32_e32 v0, 0xff, v0
	v_lshrrev_b16 v13, 8, v2
	v_and_b32_e32 v16, 0xff, v2
	v_bfe_u32 v2, v2, 16, 8
	v_and_b32_e32 v10, 0xffff, v10
	v_and_b32_e32 v12, v7, v12
	v_dual_lshrrev_b32 v0, v6, v0 :: v_dual_lshrrev_b32 v9, v6, v9
	s_delay_alu instid0(VALU_DEP_4) | instskip(NEXT) | instid1(VALU_DEP_4)
	v_dual_lshrrev_b32 v11, v6, v11 :: v_dual_bitop2_b32 v2, v7, v2 bitop3:0x40
	v_lshrrev_b32_e32 v6, v6, v10
	s_delay_alu instid0(VALU_DEP_4)
	v_cmp_ne_u32_e32 vcc_lo, 0, v12
	v_and_b32_e32 v13, 0xffff, v13
	v_and_b32_e32 v16, v7, v16
	s_wait_loadcnt 0x0
	v_mul_f16_e32 v4, v4, v5
	v_cndmask_b32_e64 v10, -4, 0, vcc_lo
	v_cmp_ne_u32_e32 vcc_lo, 0, v2
	v_and_b32_e32 v7, v7, v13
	s_delay_alu instid0(VALU_DEP_3) | instskip(SKIP_2) | instid1(VALU_DEP_2)
	v_and_or_b32 v9, v9, 3, v10
	v_cndmask_b32_e64 v2, -4, 0, vcc_lo
	v_cmp_ne_u32_e32 vcc_lo, 0, v16
	v_and_or_b32 v2, v11, 3, v2
	v_cndmask_b32_e64 v12, -4, 0, vcc_lo
	v_cmp_ne_u32_e32 vcc_lo, 0, v7
	s_delay_alu instid0(VALU_DEP_3) | instskip(NEXT) | instid1(VALU_DEP_3)
	v_cvt_f32_i32_e32 v2, v2
	v_and_or_b32 v0, v0, 3, v12
	v_cndmask_b32_e64 v7, -4, 0, vcc_lo
	s_delay_alu instid0(VALU_DEP_3) | instskip(NEXT) | instid1(VALU_DEP_3)
	v_cvt_f16_f32_e32 v2, v2
	v_cvt_f32_i32_e32 v0, v0
	s_delay_alu instid0(VALU_DEP_3) | instskip(SKIP_1) | instid1(VALU_DEP_3)
	v_and_or_b32 v6, v6, 3, v7
	v_cvt_f32_i32_e32 v7, v9
	v_cvt_f16_f32_e32 v0, v0
	s_delay_alu instid0(VALU_DEP_3) | instskip(NEXT) | instid1(VALU_DEP_3)
	v_cvt_f32_i32_e32 v6, v6
	v_cvt_f16_f32_e32 v7, v7
	s_delay_alu instid0(VALU_DEP_2) | instskip(NEXT) | instid1(VALU_DEP_2)
	v_cvt_f16_f32_e32 v5, v6
	v_pack_b32_f16 v2, v2, v7
	s_delay_alu instid0(VALU_DEP_2) | instskip(NEXT) | instid1(VALU_DEP_2)
	v_pack_b32_f16 v0, v0, v5
	v_pk_mul_f16 v5, v4, v2 op_sel_hi:[0,1]
	s_delay_alu instid0(VALU_DEP_2) | instskip(NEXT) | instid1(VALU_DEP_2)
	v_pk_mul_f16 v4, v4, v0 op_sel_hi:[0,1]
	v_lshrrev_b32_e32 v6, 16, v5
	v_cvt_f32_f16_e32 v2, v5
	v_lshlrev_b32_e32 v0, 5, v1
	v_cmp_o_f16_e32 vcc_lo, v5, v5
	v_cvt_f32_f16_e32 v10, v4
	v_cvt_f32_f16_e32 v9, v6
	v_bfe_u32 v11, v2, 16, 1
	v_ashrrev_i32_e32 v1, 31, v0
	s_delay_alu instid0(VALU_DEP_4) | instskip(NEXT) | instid1(VALU_DEP_4)
	v_bfe_u32 v16, v10, 16, 1
	v_bfe_u32 v13, v9, 16, 1
	s_delay_alu instid0(VALU_DEP_4)
	v_add3_u32 v11, v2, v11, 0x7fff
	v_lshrrev_b32_e32 v7, 16, v4
	v_lshl_add_u64 v[0:1], v[0:1], 1, v[14:15]
	v_add3_u32 v10, v10, v16, 0x7fff
	v_add3_u32 v9, v9, v13, 0x7fff
	v_dual_lshlrev_b32 v2, 1, v8 :: v_dual_lshrrev_b32 v8, 16, v11
	v_cvt_f32_f16_e32 v12, v7
	s_delay_alu instid0(VALU_DEP_3) | instskip(NEXT) | instid1(VALU_DEP_3)
	v_dual_lshrrev_b32 v10, 16, v10 :: v_dual_lshrrev_b32 v9, 16, v9
	v_add_nc_u64_e32 v[0:1], v[0:1], v[2:3]
	s_delay_alu instid0(VALU_DEP_4) | instskip(NEXT) | instid1(VALU_DEP_4)
	v_cndmask_b32_e32 v5, 0x7fc0, v8, vcc_lo
	v_bfe_u32 v14, v12, 16, 1
	v_cmp_o_f16_e32 vcc_lo, v6, v6
	s_delay_alu instid0(VALU_DEP_2) | instskip(SKIP_2) | instid1(VALU_DEP_3)
	v_add3_u32 v11, v12, v14, 0x7fff
	v_cndmask_b32_e32 v6, 0x7fc0, v9, vcc_lo
	v_cmp_o_f16_e32 vcc_lo, v4, v4
	v_lshrrev_b32_e32 v8, 16, v11
	s_delay_alu instid0(VALU_DEP_3) | instskip(SKIP_2) | instid1(VALU_DEP_4)
	v_perm_b32 v3, v6, v5, 0x5040100
	v_cndmask_b32_e32 v4, 0x7fc0, v10, vcc_lo
	v_cmp_o_f16_e32 vcc_lo, v7, v7
	v_cndmask_b32_e32 v7, 0x7fc0, v8, vcc_lo
	s_delay_alu instid0(VALU_DEP_1)
	v_perm_b32 v2, v7, v4, 0x5040100
	global_store_b64 v[0:1], v[2:3], off
	s_endpgm
	.section	.rodata,"a",@progbits
	.p2align	6, 0x0
	.amdhsa_kernel _ZL21dequantize_block_q3_KIN3c108BFloat16EEvPKvPT_
		.amdhsa_group_segment_fixed_size 0
		.amdhsa_private_segment_fixed_size 0
		.amdhsa_kernarg_size 16
		.amdhsa_user_sgpr_count 2
		.amdhsa_user_sgpr_dispatch_ptr 0
		.amdhsa_user_sgpr_queue_ptr 0
		.amdhsa_user_sgpr_kernarg_segment_ptr 1
		.amdhsa_user_sgpr_dispatch_id 0
		.amdhsa_user_sgpr_kernarg_preload_length 0
		.amdhsa_user_sgpr_kernarg_preload_offset 0
		.amdhsa_user_sgpr_private_segment_size 0
		.amdhsa_wavefront_size32 1
		.amdhsa_uses_dynamic_stack 0
		.amdhsa_enable_private_segment 0
		.amdhsa_system_sgpr_workgroup_id_x 1
		.amdhsa_system_sgpr_workgroup_id_y 0
		.amdhsa_system_sgpr_workgroup_id_z 0
		.amdhsa_system_sgpr_workgroup_info 0
		.amdhsa_system_vgpr_workitem_id 0
		.amdhsa_next_free_vgpr 20
		.amdhsa_next_free_sgpr 12
		.amdhsa_named_barrier_count 0
		.amdhsa_reserve_vcc 1
		.amdhsa_float_round_mode_32 0
		.amdhsa_float_round_mode_16_64 0
		.amdhsa_float_denorm_mode_32 3
		.amdhsa_float_denorm_mode_16_64 3
		.amdhsa_fp16_overflow 0
		.amdhsa_memory_ordered 1
		.amdhsa_forward_progress 1
		.amdhsa_inst_pref_size 10
		.amdhsa_round_robin_scheduling 0
		.amdhsa_exception_fp_ieee_invalid_op 0
		.amdhsa_exception_fp_denorm_src 0
		.amdhsa_exception_fp_ieee_div_zero 0
		.amdhsa_exception_fp_ieee_overflow 0
		.amdhsa_exception_fp_ieee_underflow 0
		.amdhsa_exception_fp_ieee_inexact 0
		.amdhsa_exception_int_div_zero 0
	.end_amdhsa_kernel
	.section	.text._ZL21dequantize_block_q3_KIN3c108BFloat16EEvPKvPT_,"axG",@progbits,_ZL21dequantize_block_q3_KIN3c108BFloat16EEvPKvPT_,comdat
.Lfunc_end44:
	.size	_ZL21dequantize_block_q3_KIN3c108BFloat16EEvPKvPT_, .Lfunc_end44-_ZL21dequantize_block_q3_KIN3c108BFloat16EEvPKvPT_
                                        ; -- End function
	.set _ZL21dequantize_block_q3_KIN3c108BFloat16EEvPKvPT_.num_vgpr, 20
	.set _ZL21dequantize_block_q3_KIN3c108BFloat16EEvPKvPT_.num_agpr, 0
	.set _ZL21dequantize_block_q3_KIN3c108BFloat16EEvPKvPT_.numbered_sgpr, 12
	.set _ZL21dequantize_block_q3_KIN3c108BFloat16EEvPKvPT_.num_named_barrier, 0
	.set _ZL21dequantize_block_q3_KIN3c108BFloat16EEvPKvPT_.private_seg_size, 0
	.set _ZL21dequantize_block_q3_KIN3c108BFloat16EEvPKvPT_.uses_vcc, 1
	.set _ZL21dequantize_block_q3_KIN3c108BFloat16EEvPKvPT_.uses_flat_scratch, 0
	.set _ZL21dequantize_block_q3_KIN3c108BFloat16EEvPKvPT_.has_dyn_sized_stack, 0
	.set _ZL21dequantize_block_q3_KIN3c108BFloat16EEvPKvPT_.has_recursion, 0
	.set _ZL21dequantize_block_q3_KIN3c108BFloat16EEvPKvPT_.has_indirect_call, 0
	.section	.AMDGPU.csdata,"",@progbits
; Kernel info:
; codeLenInByte = 1208
; TotalNumSgprs: 14
; NumVgprs: 20
; ScratchSize: 0
; MemoryBound: 0
; FloatMode: 240
; IeeeMode: 1
; LDSByteSize: 0 bytes/workgroup (compile time only)
; SGPRBlocks: 0
; VGPRBlocks: 1
; NumSGPRsForWavesPerEU: 14
; NumVGPRsForWavesPerEU: 20
; NamedBarCnt: 0
; Occupancy: 16
; WaveLimiterHint : 0
; COMPUTE_PGM_RSRC2:SCRATCH_EN: 0
; COMPUTE_PGM_RSRC2:USER_SGPR: 2
; COMPUTE_PGM_RSRC2:TRAP_HANDLER: 0
; COMPUTE_PGM_RSRC2:TGID_X_EN: 1
; COMPUTE_PGM_RSRC2:TGID_Y_EN: 0
; COMPUTE_PGM_RSRC2:TGID_Z_EN: 0
; COMPUTE_PGM_RSRC2:TIDIG_COMP_CNT: 0
	.section	.text._ZL21dequantize_block_q4_KIN3c108BFloat16EEvPKvPT_,"axG",@progbits,_ZL21dequantize_block_q4_KIN3c108BFloat16EEvPKvPT_,comdat
	.globl	_ZL21dequantize_block_q4_KIN3c108BFloat16EEvPKvPT_ ; -- Begin function _ZL21dequantize_block_q4_KIN3c108BFloat16EEvPKvPT_
	.p2align	8
	.type	_ZL21dequantize_block_q4_KIN3c108BFloat16EEvPKvPT_,@function
_ZL21dequantize_block_q4_KIN3c108BFloat16EEvPKvPT_: ; @_ZL21dequantize_block_q4_KIN3c108BFloat16EEvPKvPT_
; %bb.0:
	s_load_b64 s[4:5], s[0:1], 0x0
	s_bfe_u32 s2, ttmp6, 0x4000c
	s_and_b32 s3, ttmp6, 15
	s_add_co_i32 s2, s2, 1
	s_getreg_b32 s6, hwreg(HW_REG_IB_STS2, 6, 4)
	s_mul_i32 s2, ttmp9, s2
	v_dual_lshrrev_b32 v1, 3, v0 :: v_dual_mov_b32 v3, 0
	s_add_co_i32 s2, s3, s2
	s_cmp_eq_u32 s6, 0
	s_mov_b32 s3, 0
	s_cselect_b32 s2, ttmp9, s2
	v_lshlrev_b32_e32 v2, 1, v1
	s_mul_u64 s[6:7], s[2:3], 0x90
	v_cmp_lt_u32_e32 vcc_lo, 15, v0
                                        ; implicit-def: $vgpr5
                                        ; implicit-def: $vgpr4
	s_wait_kmcnt 0x0
	s_add_nc_u64 s[4:5], s[4:5], s[6:7]
	s_delay_alu instid0(SALU_CYCLE_1) | instskip(SKIP_1) | instid1(SALU_CYCLE_1)
	v_add_nc_u64_e32 v[2:3], s[4:5], v[2:3]
	s_and_saveexec_b32 s3, vcc_lo
	s_xor_b32 s3, exec_lo, s3
	s_cbranch_execz .LBB45_2
; %bb.1:
	s_clause 0x2
	global_load_u8 v4, v[2:3], off offset:8
	global_load_u8 v5, v[2:3], off
	global_load_u8 v6, v[2:3], off offset:4
	s_wait_loadcnt 0x2
	v_and_b32_e32 v7, 15, v4
	s_wait_loadcnt 0x1
	v_lshrrev_b16 v5, 2, v5
	v_lshrrev_b16 v8, 4, v4
	s_wait_loadcnt 0x0
	v_lshrrev_b16 v6, 2, v6
	s_delay_alu instid0(VALU_DEP_3) | instskip(NEXT) | instid1(VALU_DEP_2)
	v_bitop3_b16 v4, v5, v7, 48 bitop3:0xec
	v_bitop3_b16 v5, v6, v8, 48 bitop3:0xec
.LBB45_2:
	s_and_not1_saveexec_b32 s3, s3
	s_cbranch_execz .LBB45_4
; %bb.3:
	s_clause 0x1
	global_load_u8 v4, v[2:3], off offset:4
	global_load_u8 v5, v[2:3], off offset:8
	s_wait_loadcnt 0x1
	v_and_b32_e32 v4, 63, v4
	s_wait_loadcnt 0x0
	v_and_b32_e32 v5, 63, v5
.LBB45_4:
	s_or_b32 exec_lo, exec_lo, s3
	s_load_b32 s3, s[4:5], 0x0
                                        ; implicit-def: $vgpr6
                                        ; implicit-def: $vgpr7
	s_and_saveexec_b32 s6, vcc_lo
	s_delay_alu instid0(SALU_CYCLE_1)
	s_xor_b32 s6, exec_lo, s6
	s_cbranch_execz .LBB45_6
; %bb.5:
	s_clause 0x2
	global_load_u8 v6, v[2:3], off offset:9
	global_load_u8 v7, v[2:3], off offset:1
	;; [unrolled: 1-line block ×3, first 2 shown]
	s_wait_loadcnt 0x2
	s_wait_xcnt 0x0
	v_and_b32_e32 v2, 15, v6
	s_wait_loadcnt 0x1
	v_lshrrev_b16 v3, 2, v7
	v_lshrrev_b16 v6, 4, v6
	s_wait_loadcnt 0x0
	v_lshrrev_b16 v8, 2, v8
	s_delay_alu instid0(VALU_DEP_3) | instskip(NEXT) | instid1(VALU_DEP_2)
	v_bitop3_b16 v7, v3, v2, 48 bitop3:0xec
                                        ; implicit-def: $vgpr2_vgpr3
	v_bitop3_b16 v6, v8, v6, 48 bitop3:0xec
.LBB45_6:
	s_or_saveexec_b32 s6, s6
	s_load_b64 s[0:1], s[0:1], 0x8
	s_xor_b32 exec_lo, exec_lo, s6
	s_cbranch_execz .LBB45_8
; %bb.7:
	s_clause 0x1
	global_load_u8 v6, v[2:3], off offset:5
	global_load_u8 v8, v[2:3], off offset:9
	s_wait_loadcnt 0x1
	v_and_b32_e32 v7, 63, v6
	s_wait_loadcnt 0x0
	v_and_b32_e32 v6, 63, v8
.LBB45_8:
	s_or_b32 exec_lo, exec_lo, s6
	v_dual_mov_b32 v3, 0 :: v_dual_lshlrev_b32 v2, 5, v1
	v_lshlrev_b32_e32 v0, 2, v0
	v_and_b32_e32 v5, 0xff, v5
	v_and_b32_e32 v4, 0xff, v4
	s_wait_kmcnt 0x0
	s_lshr_b32 s6, s3, 16
	v_add_nc_u64_e32 v[8:9], s[4:5], v[2:3]
	v_dual_lshlrev_b32 v0, 7, v1 :: v_dual_bitop2_b32 v2, 28, v0 bitop3:0x40
	v_cvt_f16_u16_e32 v5, v5
	v_cvt_f16_u16_e32 v4, v4
	v_and_b32_e32 v7, 0xff, v7
	v_and_b32_e32 v6, 0xff, v6
	v_add_nc_u64_e32 v[8:9], v[8:9], v[2:3]
	v_mul_f16_e32 v5, s6, v5
	v_mul_f16_e32 v4, s3, v4
	v_cvt_f16_u16_e32 v7, v7
	v_cvt_f16_u16_e32 v6, v6
	s_mov_b32 s5, 0
	s_lshl_b32 s4, s2, 8
	global_load_b32 v8, v[8:9], off offset:16
	v_mul_f16_e32 v7, s3, v7
	v_mul_f16_e32 v6, s6, v6
	v_mov_b32_e32 v1, v3
	s_lshl_b64 s[4:5], s[4:5], 1
	v_lshlrev_b32_e32 v2, 1, v2
	s_add_nc_u64 s[0:1], s[0:1], s[4:5]
	s_delay_alu instid0(VALU_DEP_2) | instid1(SALU_CYCLE_1)
	v_add_nc_u64_e32 v[0:1], s[0:1], v[0:1]
	s_delay_alu instid0(VALU_DEP_1) | instskip(SKIP_4) | instid1(VALU_DEP_3)
	v_add_nc_u64_e32 v[0:1], v[0:1], v[2:3]
	s_wait_loadcnt 0x0
	v_lshrrev_b16 v9, 8, v8
	v_dual_lshrrev_b32 v13, 20, v8 :: v_dual_bitop2_b32 v12, 15, v8 bitop3:0x40
	v_dual_lshrrev_b32 v10, 24, v8 :: v_dual_lshrrev_b32 v11, 16, v8
	v_and_b32_e32 v9, 15, v9
	s_delay_alu instid0(VALU_DEP_3)
	v_cvt_f16_u16_e32 v12, v12
	v_lshrrev_b32_e32 v14, 28, v8
	v_lshrrev_b16 v15, 4, v8
	v_and_b32_e32 v11, 15, v11
	v_cvt_f16_u16_e32 v9, v9
	v_lshrrev_b16 v8, 12, v8
	v_cvt_f16_u16_e32 v14, v14
	v_and_b32_e32 v15, 15, v15
	v_cvt_f16_u16_e32 v11, v11
	v_pack_b32_f16 v9, v12, v9
	v_cvt_f16_u16_e32 v8, v8
	s_delay_alu instid0(VALU_DEP_4) | instskip(NEXT) | instid1(VALU_DEP_3)
	v_cvt_f16_u16_e32 v15, v15
	v_pk_fma_f16 v9, v4, v9, v5 op_sel_hi:[0,1,0] neg_lo:[0,0,1] neg_hi:[0,0,1]
	v_and_b32_e32 v10, 15, v10
	s_delay_alu instid0(VALU_DEP_3) | instskip(NEXT) | instid1(VALU_DEP_2)
	v_pack_b32_f16 v8, v15, v8
	v_cvt_f16_u16_e32 v10, v10
	s_delay_alu instid0(VALU_DEP_1) | instskip(NEXT) | instid1(VALU_DEP_1)
	v_pack_b32_f16 v10, v11, v10
	v_pk_fma_f16 v4, v4, v10, v5 op_sel_hi:[0,1,0] neg_lo:[0,0,1] neg_hi:[0,0,1]
	s_delay_alu instid0(VALU_DEP_1) | instskip(NEXT) | instid1(VALU_DEP_1)
	v_dual_lshrrev_b32 v10, 16, v4 :: v_dual_bitop2_b32 v13, 15, v13 bitop3:0x40
	v_cvt_f16_u16_e32 v13, v13
	v_cmp_o_f16_e32 vcc_lo, v4, v4
	s_delay_alu instid0(VALU_DEP_3) | instskip(NEXT) | instid1(VALU_DEP_3)
	v_cvt_f32_f16_e32 v17, v10
	v_pack_b32_f16 v11, v13, v14
	s_delay_alu instid0(VALU_DEP_2) | instskip(NEXT) | instid1(VALU_DEP_2)
	v_bfe_u32 v24, v17, 16, 1
	v_pk_fma_f16 v5, v7, v11, v6 op_sel_hi:[0,1,0] neg_lo:[0,0,1] neg_hi:[0,0,1]
	v_cvt_f32_f16_e32 v11, v4
	v_pk_fma_f16 v6, v7, v8, v6 op_sel_hi:[0,1,0] neg_lo:[0,0,1] neg_hi:[0,0,1]
	v_cvt_f32_f16_e32 v8, v9
	v_lshrrev_b32_e32 v7, 16, v9
	v_cvt_f32_f16_e32 v15, v5
	v_bfe_u32 v18, v11, 16, 1
	v_lshrrev_b32_e32 v12, 16, v6
	v_bfe_u32 v19, v8, 16, 1
	v_cvt_f32_f16_e32 v13, v6
	v_bfe_u32 v22, v15, 16, 1
	v_add3_u32 v11, v11, v18, 0x7fff
	v_lshrrev_b32_e32 v14, 16, v5
	v_add3_u32 v8, v8, v19, 0x7fff
	v_add3_u32 v17, v17, v24, 0x7fff
	v_cvt_f32_f16_e32 v16, v7
	v_lshrrev_b32_e32 v11, 16, v11
	v_cvt_f32_f16_e32 v21, v14
	v_cvt_f32_f16_e32 v20, v12
	v_bfe_u32 v23, v13, 16, 1
	v_add3_u32 v15, v15, v22, 0x7fff
	v_lshrrev_b32_e32 v8, 16, v8
	v_bfe_u32 v18, v21, 16, 1
	v_dual_cndmask_b32 v4, 0x7fc0, v11 :: v_dual_lshrrev_b32 v17, 16, v17
	v_cmp_o_f16_e32 vcc_lo, v9, v9
	v_bfe_u32 v25, v16, 16, 1
	v_bfe_u32 v19, v20, 16, 1
	v_add3_u32 v13, v13, v23, 0x7fff
	v_add3_u32 v18, v21, v18, 0x7fff
	v_dual_cndmask_b32 v8, 0x7fc0, v8 :: v_dual_lshrrev_b32 v15, 16, v15
	v_cmp_o_f16_e32 vcc_lo, v5, v5
	v_add3_u32 v16, v16, v25, 0x7fff
	v_add3_u32 v19, v20, v19, 0x7fff
	v_dual_lshrrev_b32 v13, 16, v13 :: v_dual_lshrrev_b32 v9, 16, v18
	v_cndmask_b32_e32 v5, 0x7fc0, v15, vcc_lo
	v_cmp_o_f16_e32 vcc_lo, v6, v6
	s_delay_alu instid0(VALU_DEP_4) | instskip(NEXT) | instid1(VALU_DEP_4)
	v_dual_lshrrev_b32 v16, 16, v16 :: v_dual_lshrrev_b32 v11, 16, v19
	v_cndmask_b32_e32 v6, 0x7fc0, v13, vcc_lo
	v_cmp_o_f16_e32 vcc_lo, v10, v10
	v_cndmask_b32_e32 v10, 0x7fc0, v17, vcc_lo
	v_cmp_o_f16_e32 vcc_lo, v7, v7
	s_delay_alu instid0(VALU_DEP_2) | instskip(SKIP_2) | instid1(VALU_DEP_2)
	v_perm_b32 v3, v10, v4, 0x5040100
	v_cndmask_b32_e32 v7, 0x7fc0, v16, vcc_lo
	v_cmp_o_f16_e32 vcc_lo, v14, v14
	v_perm_b32 v2, v7, v8, 0x5040100
	v_cndmask_b32_e32 v9, 0x7fc0, v9, vcc_lo
	v_cmp_o_f16_e32 vcc_lo, v12, v12
	s_delay_alu instid0(VALU_DEP_2) | instskip(SKIP_1) | instid1(VALU_DEP_1)
	v_perm_b32 v5, v9, v5, 0x5040100
	v_cndmask_b32_e32 v11, 0x7fc0, v11, vcc_lo
	v_perm_b32 v4, v11, v6, 0x5040100
	s_clause 0x1
	global_store_b64 v[0:1], v[2:3], off
	global_store_b64 v[0:1], v[4:5], off offset:64
	s_endpgm
	.section	.rodata,"a",@progbits
	.p2align	6, 0x0
	.amdhsa_kernel _ZL21dequantize_block_q4_KIN3c108BFloat16EEvPKvPT_
		.amdhsa_group_segment_fixed_size 0
		.amdhsa_private_segment_fixed_size 0
		.amdhsa_kernarg_size 16
		.amdhsa_user_sgpr_count 2
		.amdhsa_user_sgpr_dispatch_ptr 0
		.amdhsa_user_sgpr_queue_ptr 0
		.amdhsa_user_sgpr_kernarg_segment_ptr 1
		.amdhsa_user_sgpr_dispatch_id 0
		.amdhsa_user_sgpr_kernarg_preload_length 0
		.amdhsa_user_sgpr_kernarg_preload_offset 0
		.amdhsa_user_sgpr_private_segment_size 0
		.amdhsa_wavefront_size32 1
		.amdhsa_uses_dynamic_stack 0
		.amdhsa_enable_private_segment 0
		.amdhsa_system_sgpr_workgroup_id_x 1
		.amdhsa_system_sgpr_workgroup_id_y 0
		.amdhsa_system_sgpr_workgroup_id_z 0
		.amdhsa_system_sgpr_workgroup_info 0
		.amdhsa_system_vgpr_workitem_id 0
		.amdhsa_next_free_vgpr 26
		.amdhsa_next_free_sgpr 8
		.amdhsa_named_barrier_count 0
		.amdhsa_reserve_vcc 1
		.amdhsa_float_round_mode_32 0
		.amdhsa_float_round_mode_16_64 0
		.amdhsa_float_denorm_mode_32 3
		.amdhsa_float_denorm_mode_16_64 3
		.amdhsa_fp16_overflow 0
		.amdhsa_memory_ordered 1
		.amdhsa_forward_progress 1
		.amdhsa_inst_pref_size 10
		.amdhsa_round_robin_scheduling 0
		.amdhsa_exception_fp_ieee_invalid_op 0
		.amdhsa_exception_fp_denorm_src 0
		.amdhsa_exception_fp_ieee_div_zero 0
		.amdhsa_exception_fp_ieee_overflow 0
		.amdhsa_exception_fp_ieee_underflow 0
		.amdhsa_exception_fp_ieee_inexact 0
		.amdhsa_exception_int_div_zero 0
	.end_amdhsa_kernel
	.section	.text._ZL21dequantize_block_q4_KIN3c108BFloat16EEvPKvPT_,"axG",@progbits,_ZL21dequantize_block_q4_KIN3c108BFloat16EEvPKvPT_,comdat
.Lfunc_end45:
	.size	_ZL21dequantize_block_q4_KIN3c108BFloat16EEvPKvPT_, .Lfunc_end45-_ZL21dequantize_block_q4_KIN3c108BFloat16EEvPKvPT_
                                        ; -- End function
	.set _ZL21dequantize_block_q4_KIN3c108BFloat16EEvPKvPT_.num_vgpr, 26
	.set _ZL21dequantize_block_q4_KIN3c108BFloat16EEvPKvPT_.num_agpr, 0
	.set _ZL21dequantize_block_q4_KIN3c108BFloat16EEvPKvPT_.numbered_sgpr, 8
	.set _ZL21dequantize_block_q4_KIN3c108BFloat16EEvPKvPT_.num_named_barrier, 0
	.set _ZL21dequantize_block_q4_KIN3c108BFloat16EEvPKvPT_.private_seg_size, 0
	.set _ZL21dequantize_block_q4_KIN3c108BFloat16EEvPKvPT_.uses_vcc, 1
	.set _ZL21dequantize_block_q4_KIN3c108BFloat16EEvPKvPT_.uses_flat_scratch, 0
	.set _ZL21dequantize_block_q4_KIN3c108BFloat16EEvPKvPT_.has_dyn_sized_stack, 0
	.set _ZL21dequantize_block_q4_KIN3c108BFloat16EEvPKvPT_.has_recursion, 0
	.set _ZL21dequantize_block_q4_KIN3c108BFloat16EEvPKvPT_.has_indirect_call, 0
	.section	.AMDGPU.csdata,"",@progbits
; Kernel info:
; codeLenInByte = 1252
; TotalNumSgprs: 10
; NumVgprs: 26
; ScratchSize: 0
; MemoryBound: 0
; FloatMode: 240
; IeeeMode: 1
; LDSByteSize: 0 bytes/workgroup (compile time only)
; SGPRBlocks: 0
; VGPRBlocks: 1
; NumSGPRsForWavesPerEU: 10
; NumVGPRsForWavesPerEU: 26
; NamedBarCnt: 0
; Occupancy: 16
; WaveLimiterHint : 0
; COMPUTE_PGM_RSRC2:SCRATCH_EN: 0
; COMPUTE_PGM_RSRC2:USER_SGPR: 2
; COMPUTE_PGM_RSRC2:TRAP_HANDLER: 0
; COMPUTE_PGM_RSRC2:TGID_X_EN: 1
; COMPUTE_PGM_RSRC2:TGID_Y_EN: 0
; COMPUTE_PGM_RSRC2:TGID_Z_EN: 0
; COMPUTE_PGM_RSRC2:TIDIG_COMP_CNT: 0
	.section	.text._ZL21dequantize_block_q5_KIN3c108BFloat16EEvPKvPT_,"axG",@progbits,_ZL21dequantize_block_q5_KIN3c108BFloat16EEvPKvPT_,comdat
	.globl	_ZL21dequantize_block_q5_KIN3c108BFloat16EEvPKvPT_ ; -- Begin function _ZL21dequantize_block_q5_KIN3c108BFloat16EEvPKvPT_
	.p2align	8
	.type	_ZL21dequantize_block_q5_KIN3c108BFloat16EEvPKvPT_,@function
_ZL21dequantize_block_q5_KIN3c108BFloat16EEvPKvPT_: ; @_ZL21dequantize_block_q5_KIN3c108BFloat16EEvPKvPT_
; %bb.0:
	s_load_b64 s[4:5], s[0:1], 0x0
	s_bfe_u32 s2, ttmp6, 0x4000c
	s_and_b32 s3, ttmp6, 15
	s_add_co_i32 s2, s2, 1
	s_getreg_b32 s6, hwreg(HW_REG_IB_STS2, 6, 4)
	s_mul_i32 s2, ttmp9, s2
	v_dual_mov_b32 v3, 0 :: v_dual_lshrrev_b32 v6, 4, v0
	s_add_co_i32 s2, s3, s2
	s_cmp_eq_u32 s6, 0
	s_mov_b32 s3, 0
	s_cselect_b32 s2, ttmp9, s2
	v_lshlrev_b32_e32 v2, 1, v6
	s_mul_u64 s[6:7], s[2:3], 0xb0
	v_cmp_lt_u32_e32 vcc_lo, 31, v0
                                        ; implicit-def: $vgpr7
	s_wait_kmcnt 0x0
	s_add_nc_u64 s[4:5], s[4:5], s[6:7]
	s_delay_alu instid0(SALU_CYCLE_1) | instskip(SKIP_1) | instid1(SALU_CYCLE_1)
	v_add_nc_u64_e32 v[4:5], s[4:5], v[2:3]
                                        ; implicit-def: $vgpr3
	s_and_saveexec_b32 s3, vcc_lo
	s_xor_b32 s3, exec_lo, s3
	s_cbranch_execz .LBB46_2
; %bb.1:
	s_clause 0x2
	global_load_u8 v1, v[4:5], off offset:8
	global_load_u8 v3, v[4:5], off
	global_load_u8 v7, v[4:5], off offset:4
	s_wait_loadcnt 0x2
	v_and_b32_e32 v8, 15, v1
	s_wait_loadcnt 0x1
	v_lshrrev_b16 v3, 2, v3
	v_lshrrev_b16 v1, 4, v1
	s_wait_loadcnt 0x0
	v_lshrrev_b16 v7, 2, v7
	s_delay_alu instid0(VALU_DEP_3) | instskip(NEXT) | instid1(VALU_DEP_2)
	v_bitop3_b16 v3, v3, v8, 48 bitop3:0xec
	v_bitop3_b16 v7, v7, v1, 48 bitop3:0xec
.LBB46_2:
	s_and_not1_saveexec_b32 s3, s3
	s_cbranch_execz .LBB46_4
; %bb.3:
	s_clause 0x1
	global_load_u8 v1, v[4:5], off offset:4
	global_load_u8 v7, v[4:5], off offset:8
	s_wait_loadcnt 0x1
	v_and_b32_e32 v3, 63, v1
	s_wait_loadcnt 0x0
	v_and_b32_e32 v7, 63, v7
.LBB46_4:
	s_or_b32 exec_lo, exec_lo, s3
	s_load_b32 s3, s[4:5], 0x0
                                        ; implicit-def: $vgpr9
                                        ; implicit-def: $vgpr8
	s_and_saveexec_b32 s6, vcc_lo
	s_delay_alu instid0(SALU_CYCLE_1)
	s_xor_b32 s6, exec_lo, s6
	s_cbranch_execz .LBB46_6
; %bb.5:
	s_clause 0x2
	global_load_u8 v1, v[4:5], off offset:9
	global_load_u8 v8, v[4:5], off offset:1
	;; [unrolled: 1-line block ×3, first 2 shown]
	s_wait_loadcnt 0x2
	s_wait_xcnt 0x0
	v_and_b32_e32 v4, 15, v1
	s_wait_loadcnt 0x1
	v_lshrrev_b16 v5, 2, v8
	v_lshrrev_b16 v1, 4, v1
	s_wait_loadcnt 0x0
	v_lshrrev_b16 v9, 2, v9
	s_delay_alu instid0(VALU_DEP_3) | instskip(NEXT) | instid1(VALU_DEP_2)
	v_bitop3_b16 v8, v5, v4, 48 bitop3:0xec
                                        ; implicit-def: $vgpr4_vgpr5
	v_bitop3_b16 v9, v9, v1, 48 bitop3:0xec
.LBB46_6:
	s_or_saveexec_b32 s6, s6
	s_load_b64 s[0:1], s[0:1], 0x8
	s_xor_b32 exec_lo, exec_lo, s6
	s_cbranch_execz .LBB46_8
; %bb.7:
	s_clause 0x1
	global_load_u8 v1, v[4:5], off offset:5
	global_load_u8 v9, v[4:5], off offset:9
	s_wait_loadcnt 0x1
	v_and_b32_e32 v8, 63, v1
	s_wait_loadcnt 0x0
	v_and_b32_e32 v9, 63, v9
.LBB46_8:
	s_or_b32 exec_lo, exec_lo, s6
	v_dual_mov_b32 v1, 0 :: v_dual_lshlrev_b32 v4, 5, v6
	v_and_b32_e32 v3, 0xff, v3
	s_lshl_b32 s2, s2, 8
	s_delay_alu instid0(VALU_DEP_2) | instskip(NEXT) | instid1(VALU_DEP_2)
	v_dual_mov_b32 v5, v1 :: v_dual_lshlrev_b32 v0, 1, v0
	v_cvt_f16_u16_e32 v3, v3
	s_delay_alu instid0(VALU_DEP_2) | instskip(NEXT) | instid1(VALU_DEP_3)
	v_and_b32_e32 v0, 30, v0
	v_add_nc_u64_e32 v[4:5], s[4:5], v[4:5]
	s_wait_kmcnt 0x0
	s_delay_alu instid0(VALU_DEP_3) | instskip(NEXT) | instid1(VALU_DEP_2)
	v_mul_f16_e32 v3, s3, v3
	v_add_nc_u64_e32 v[4:5], v[4:5], v[0:1]
	s_clause 0x1
	global_load_u16 v10, v[4:5], off offset:48
	global_load_u16 v11, v0, s[4:5] offset:16
	s_wait_xcnt 0x1
	v_and_b32_e32 v5, 0xff, v8
	v_lshlrev_b32_e64 v8, v2, 1
	v_lshlrev_b32_e64 v2, v2, 2
	v_and_b32_e32 v4, 0xff, v7
	v_and_b32_e32 v7, 0xff, v9
	s_wait_xcnt 0x0
	s_lshr_b32 s4, s3, 16
	v_cvt_f16_u16_e32 v5, v5
	v_cvt_f16_u16_e32 v4, v4
	;; [unrolled: 1-line block ×3, first 2 shown]
	s_delay_alu instid0(VALU_DEP_3) | instskip(SKIP_1) | instid1(VALU_DEP_3)
	v_mul_f16_e32 v5, s3, v5
	s_mov_b32 s3, 0
	v_mul_f16_e32 v4, s4, v4
	s_delay_alu instid0(VALU_DEP_3) | instskip(SKIP_1) | instid1(SALU_CYCLE_1)
	v_mul_f16_e32 v7, s4, v7
	s_lshl_b64 s[2:3], s[2:3], 1
	s_add_nc_u64 s[0:1], s[0:1], s[2:3]
	s_wait_loadcnt 0x1
	v_lshrrev_b16 v9, 8, v10
	s_wait_loadcnt 0x0
	v_lshrrev_b16 v13, 8, v11
	v_and_b32_e32 v11, 0xff, v11
	v_lshrrev_b16 v14, 4, v10
	v_and_b32_e32 v12, 15, v10
	;; [unrolled: 2-line block ×3, first 2 shown]
	v_and_b32_e32 v15, v8, v11
	v_and_b32_e32 v11, v2, v11
	v_and_b32_e32 v9, 15, v9
	v_and_b32_e32 v14, 15, v14
	v_and_b32_e32 v8, v8, v13
	v_cmp_eq_u32_e32 vcc_lo, 0, v15
	v_and_b32_e32 v2, v2, v13
	v_and_b32_e32 v10, 0xffff, v10
	;; [unrolled: 1-line block ×4, first 2 shown]
	v_cndmask_b32_e64 v15, 16, 0, vcc_lo
	v_cmp_eq_u32_e32 vcc_lo, 0, v8
	v_and_b32_e32 v12, 0xffff, v12
	v_cndmask_b32_e64 v8, 16, 0, vcc_lo
	v_cmp_eq_u32_e32 vcc_lo, 0, v11
	s_delay_alu instid0(VALU_DEP_3) | instskip(NEXT) | instid1(VALU_DEP_3)
	v_or_b32_e32 v12, v15, v12
	v_or_b32_e32 v8, v8, v9
	v_cndmask_b32_e64 v11, 16, 0, vcc_lo
	v_cmp_eq_u32_e32 vcc_lo, 0, v2
	s_delay_alu instid0(VALU_DEP_2) | instskip(SKIP_1) | instid1(VALU_DEP_2)
	v_or_b32_e32 v9, v11, v14
	v_cndmask_b32_e64 v2, 16, 0, vcc_lo
	v_cvt_f32_ubyte0_e32 v9, v9
	s_delay_alu instid0(VALU_DEP_2) | instskip(SKIP_1) | instid1(VALU_DEP_2)
	v_or_b32_e32 v2, v2, v10
	v_cvt_f32_ubyte0_e32 v10, v12
	v_cvt_f32_ubyte0_e32 v2, v2
	s_delay_alu instid0(VALU_DEP_1) | instskip(SKIP_2) | instid1(VALU_DEP_3)
	v_cvt_pk_f16_f32 v9, v9, v2
	v_dual_lshlrev_b32 v2, 7, v6 :: v_dual_lshlrev_b32 v0, 1, v0
	v_cvt_f32_ubyte0_e32 v8, v8
	v_pk_fma_f16 v5, v5, v9, v7 op_sel_hi:[0,1,0] neg_lo:[0,0,1] neg_hi:[0,0,1]
	s_delay_alu instid0(VALU_DEP_2) | instskip(NEXT) | instid1(VALU_DEP_2)
	v_cvt_pk_f16_f32 v8, v10, v8
	v_cvt_f32_f16_e32 v9, v5
	s_delay_alu instid0(VALU_DEP_2) | instskip(SKIP_1) | instid1(VALU_DEP_3)
	v_pk_fma_f16 v4, v3, v8, v4 op_sel_hi:[0,1,0] neg_lo:[0,0,1] neg_hi:[0,0,1]
	v_lshrrev_b32_e32 v8, 16, v5
	v_dual_lshrrev_b32 v13, 16, v9 :: v_dual_mov_b32 v3, v1
	s_delay_alu instid0(VALU_DEP_3) | instskip(SKIP_1) | instid1(VALU_DEP_4)
	v_lshrrev_b32_e32 v6, 16, v4
	v_cvt_f32_f16_e32 v7, v4
	v_cvt_f32_f16_e32 v12, v8
	s_delay_alu instid0(VALU_DEP_4) | instskip(SKIP_2) | instid1(VALU_DEP_4)
	v_and_b32_e32 v13, 1, v13
	v_cmp_o_f16_e32 vcc_lo, v4, v4
	v_cvt_f32_f16_e32 v10, v6
	v_dual_lshrrev_b32 v11, 16, v7 :: v_dual_lshrrev_b32 v15, 16, v12
	s_delay_alu instid0(VALU_DEP_4) | instskip(SKIP_1) | instid1(VALU_DEP_2)
	v_add3_u32 v9, v9, v13, 0x7fff
	v_add_nc_u64_e32 v[2:3], s[0:1], v[2:3]
	v_dual_lshrrev_b32 v14, 16, v10 :: v_dual_lshrrev_b32 v9, 16, v9
	s_delay_alu instid0(VALU_DEP_1) | instskip(NEXT) | instid1(VALU_DEP_3)
	v_and_b32_e32 v14, 1, v14
	v_add_nc_u64_e32 v[0:1], v[2:3], v[0:1]
	s_delay_alu instid0(VALU_DEP_2) | instskip(NEXT) | instid1(VALU_DEP_1)
	v_add3_u32 v10, v10, v14, 0x7fff
	v_dual_lshrrev_b32 v10, 16, v10 :: v_dual_bitop2_b32 v11, 1, v11 bitop3:0x40
	s_delay_alu instid0(VALU_DEP_1) | instskip(SKIP_1) | instid1(VALU_DEP_2)
	v_add3_u32 v7, v7, v11, 0x7fff
	v_and_b32_e32 v11, 1, v15
	v_lshrrev_b32_e32 v7, 16, v7
	s_delay_alu instid0(VALU_DEP_2) | instskip(NEXT) | instid1(VALU_DEP_2)
	v_add3_u32 v11, v12, v11, 0x7fff
	v_cndmask_b32_e32 v4, 0x7fc0, v7, vcc_lo
	v_cmp_o_f16_e32 vcc_lo, v5, v5
	s_delay_alu instid0(VALU_DEP_3) | instskip(SKIP_4) | instid1(VALU_DEP_2)
	v_lshrrev_b32_e32 v7, 16, v11
	v_cndmask_b32_e32 v5, 0x7fc0, v9, vcc_lo
	v_cmp_o_f16_e32 vcc_lo, v6, v6
	v_cndmask_b32_e32 v6, 0x7fc0, v10, vcc_lo
	v_cmp_o_f16_e32 vcc_lo, v8, v8
	v_perm_b32 v2, v6, v4, 0x5040100
	v_cndmask_b32_e32 v7, 0x7fc0, v7, vcc_lo
	s_delay_alu instid0(VALU_DEP_1)
	v_perm_b32 v3, v7, v5, 0x5040100
	s_clause 0x1
	global_store_b32 v[0:1], v2, off
	global_store_b32 v[0:1], v3, off offset:64
	s_endpgm
	.section	.rodata,"a",@progbits
	.p2align	6, 0x0
	.amdhsa_kernel _ZL21dequantize_block_q5_KIN3c108BFloat16EEvPKvPT_
		.amdhsa_group_segment_fixed_size 0
		.amdhsa_private_segment_fixed_size 0
		.amdhsa_kernarg_size 16
		.amdhsa_user_sgpr_count 2
		.amdhsa_user_sgpr_dispatch_ptr 0
		.amdhsa_user_sgpr_queue_ptr 0
		.amdhsa_user_sgpr_kernarg_segment_ptr 1
		.amdhsa_user_sgpr_dispatch_id 0
		.amdhsa_user_sgpr_kernarg_preload_length 0
		.amdhsa_user_sgpr_kernarg_preload_offset 0
		.amdhsa_user_sgpr_private_segment_size 0
		.amdhsa_wavefront_size32 1
		.amdhsa_uses_dynamic_stack 0
		.amdhsa_enable_private_segment 0
		.amdhsa_system_sgpr_workgroup_id_x 1
		.amdhsa_system_sgpr_workgroup_id_y 0
		.amdhsa_system_sgpr_workgroup_id_z 0
		.amdhsa_system_sgpr_workgroup_info 0
		.amdhsa_system_vgpr_workitem_id 0
		.amdhsa_next_free_vgpr 16
		.amdhsa_next_free_sgpr 8
		.amdhsa_named_barrier_count 0
		.amdhsa_reserve_vcc 1
		.amdhsa_float_round_mode_32 0
		.amdhsa_float_round_mode_16_64 0
		.amdhsa_float_denorm_mode_32 3
		.amdhsa_float_denorm_mode_16_64 3
		.amdhsa_fp16_overflow 0
		.amdhsa_memory_ordered 1
		.amdhsa_forward_progress 1
		.amdhsa_inst_pref_size 10
		.amdhsa_round_robin_scheduling 0
		.amdhsa_exception_fp_ieee_invalid_op 0
		.amdhsa_exception_fp_denorm_src 0
		.amdhsa_exception_fp_ieee_div_zero 0
		.amdhsa_exception_fp_ieee_overflow 0
		.amdhsa_exception_fp_ieee_underflow 0
		.amdhsa_exception_fp_ieee_inexact 0
		.amdhsa_exception_int_div_zero 0
	.end_amdhsa_kernel
	.section	.text._ZL21dequantize_block_q5_KIN3c108BFloat16EEvPKvPT_,"axG",@progbits,_ZL21dequantize_block_q5_KIN3c108BFloat16EEvPKvPT_,comdat
.Lfunc_end46:
	.size	_ZL21dequantize_block_q5_KIN3c108BFloat16EEvPKvPT_, .Lfunc_end46-_ZL21dequantize_block_q5_KIN3c108BFloat16EEvPKvPT_
                                        ; -- End function
	.set _ZL21dequantize_block_q5_KIN3c108BFloat16EEvPKvPT_.num_vgpr, 16
	.set _ZL21dequantize_block_q5_KIN3c108BFloat16EEvPKvPT_.num_agpr, 0
	.set _ZL21dequantize_block_q5_KIN3c108BFloat16EEvPKvPT_.numbered_sgpr, 8
	.set _ZL21dequantize_block_q5_KIN3c108BFloat16EEvPKvPT_.num_named_barrier, 0
	.set _ZL21dequantize_block_q5_KIN3c108BFloat16EEvPKvPT_.private_seg_size, 0
	.set _ZL21dequantize_block_q5_KIN3c108BFloat16EEvPKvPT_.uses_vcc, 1
	.set _ZL21dequantize_block_q5_KIN3c108BFloat16EEvPKvPT_.uses_flat_scratch, 0
	.set _ZL21dequantize_block_q5_KIN3c108BFloat16EEvPKvPT_.has_dyn_sized_stack, 0
	.set _ZL21dequantize_block_q5_KIN3c108BFloat16EEvPKvPT_.has_recursion, 0
	.set _ZL21dequantize_block_q5_KIN3c108BFloat16EEvPKvPT_.has_indirect_call, 0
	.section	.AMDGPU.csdata,"",@progbits
; Kernel info:
; codeLenInByte = 1192
; TotalNumSgprs: 10
; NumVgprs: 16
; ScratchSize: 0
; MemoryBound: 0
; FloatMode: 240
; IeeeMode: 1
; LDSByteSize: 0 bytes/workgroup (compile time only)
; SGPRBlocks: 0
; VGPRBlocks: 0
; NumSGPRsForWavesPerEU: 10
; NumVGPRsForWavesPerEU: 16
; NamedBarCnt: 0
; Occupancy: 16
; WaveLimiterHint : 0
; COMPUTE_PGM_RSRC2:SCRATCH_EN: 0
; COMPUTE_PGM_RSRC2:USER_SGPR: 2
; COMPUTE_PGM_RSRC2:TRAP_HANDLER: 0
; COMPUTE_PGM_RSRC2:TGID_X_EN: 1
; COMPUTE_PGM_RSRC2:TGID_Y_EN: 0
; COMPUTE_PGM_RSRC2:TGID_Z_EN: 0
; COMPUTE_PGM_RSRC2:TIDIG_COMP_CNT: 0
	.section	.text._ZL21dequantize_block_q6_KIN3c108BFloat16EEvPKvPT_,"axG",@progbits,_ZL21dequantize_block_q6_KIN3c108BFloat16EEvPKvPT_,comdat
	.globl	_ZL21dequantize_block_q6_KIN3c108BFloat16EEvPKvPT_ ; -- Begin function _ZL21dequantize_block_q6_KIN3c108BFloat16EEvPKvPT_
	.p2align	8
	.type	_ZL21dequantize_block_q6_KIN3c108BFloat16EEvPKvPT_,@function
_ZL21dequantize_block_q6_KIN3c108BFloat16EEvPKvPT_: ; @_ZL21dequantize_block_q6_KIN3c108BFloat16EEvPKvPT_
; %bb.0:
	s_load_b128 s[0:3], s[0:1], 0x0
	s_bfe_u32 s4, ttmp6, 0x4000c
	s_and_b32 s5, ttmp6, 15
	s_add_co_i32 s4, s4, 1
	s_getreg_b32 s6, hwreg(HW_REG_IB_STS2, 6, 4)
	s_mul_i32 s4, ttmp9, s4
	v_dual_lshrrev_b32 v1, 5, v0 :: v_dual_mov_b32 v5, 0
	s_add_co_i32 s4, s5, s4
	s_cmp_eq_u32 s6, 0
	s_mov_b32 s5, 0
	s_cselect_b32 s6, ttmp9, s4
	v_dual_lshlrev_b32 v4, 8, v1 :: v_dual_bitop2_b32 v6, 31, v0 bitop3:0x40
	s_lshl_b32 s4, s6, 8
	s_mov_b32 s7, s5
	s_lshl_b64 s[8:9], s[4:5], 1
	v_mov_b32_e32 v7, v5
	s_wait_kmcnt 0x0
	s_add_nc_u64 s[2:3], s[2:3], s[8:9]
	s_delay_alu instid0(SALU_CYCLE_1) | instskip(SKIP_2) | instid1(SALU_CYCLE_1)
	v_add_nc_u64_e32 v[2:3], s[2:3], v[4:5]
	v_lshlrev_b32_e32 v4, 1, v6
	s_mul_u64 s[2:3], s[6:7], 0xd2
	s_add_nc_u64 s[0:1], s[0:1], s[2:3]
	s_delay_alu instid0(VALU_DEP_1) | instskip(SKIP_1) | instid1(VALU_DEP_1)
	v_add_nc_u64_e32 v[2:3], v[2:3], v[4:5]
	v_lshlrev_b32_e32 v4, 6, v1
	v_add_nc_u64_e32 v[8:9], s[0:1], v[4:5]
	global_load_u8 v4, v0, s[0:1] offset:128
	s_wait_xcnt 0x0
	v_bfe_u32 v0, v0, 4, 1
	s_delay_alu instid0(VALU_DEP_1)
	v_lshl_or_b32 v0, v1, 3, v0
	v_add_nc_u64_e32 v[6:7], v[8:9], v[6:7]
	s_clause 0x6
	global_load_u8 v8, v[6:7], off
	global_load_u8 v9, v[6:7], off offset:32
	global_load_i8 v1, v0, s[0:1] offset:192
	global_load_i8 v6, v0, s[0:1] offset:194
	;; [unrolled: 1-line block ×4, first 2 shown]
	global_load_u16 v11, v5, s[0:1] offset:208
	s_wait_loadcnt 0x7
	s_wait_xcnt 0x1
	v_lshlrev_b16 v0, 4, v4
	s_wait_xcnt 0x0
	v_lshlrev_b16 v5, 2, v4
	v_lshrrev_b16 v12, 2, v4
	s_delay_alu instid0(VALU_DEP_3) | instskip(NEXT) | instid1(VALU_DEP_3)
	v_and_b32_e32 v0, 48, v0
	v_and_b32_e32 v5, 48, v5
	s_wait_loadcnt 0x6
	s_delay_alu instid0(VALU_DEP_2)
	v_bitop3_b16 v0, v8, v0, 15 bitop3:0xec
	v_lshrrev_b16 v8, 4, v8
	s_wait_loadcnt 0x5
	v_bitop3_b16 v5, v9, v5, 15 bitop3:0xec
	v_lshrrev_b16 v13, 4, v9
	v_and_b32_e32 v0, 0xffff, v0
	v_bitop3_b16 v4, v8, v4, 48 bitop3:0xf8
	s_delay_alu instid0(VALU_DEP_4) | instskip(NEXT) | instid1(VALU_DEP_4)
	v_and_b32_e32 v5, 0xffff, v5
	v_bitop3_b16 v8, v13, v12, 48 bitop3:0xf8
	s_delay_alu instid0(VALU_DEP_4) | instskip(NEXT) | instid1(VALU_DEP_4)
	v_subrev_nc_u32_e32 v0, 32, v0
	v_and_b32_e32 v4, 0xffff, v4
	s_delay_alu instid0(VALU_DEP_4) | instskip(NEXT) | instid1(VALU_DEP_4)
	v_subrev_nc_u32_e32 v5, 32, v5
	v_and_b32_e32 v8, 0xffff, v8
	s_wait_loadcnt 0x4
	v_mul_i32_i24_e32 v0, v0, v1
	v_subrev_nc_u32_e32 v1, 32, v4
	s_wait_loadcnt 0x3
	v_mul_i32_i24_e32 v5, v5, v6
	v_subrev_nc_u32_e32 v4, 32, v8
	v_cvt_f32_i32_e32 v0, v0
	s_wait_loadcnt 0x2
	v_mul_i32_i24_e32 v1, v1, v7
	v_cvt_f32_i32_e32 v5, v5
	s_wait_loadcnt 0x1
	v_mul_i32_i24_e32 v4, v4, v10
	v_cvt_f16_f32_e32 v0, v0
	v_cvt_f32_i32_e32 v1, v1
	v_cvt_f16_f32_e32 v5, v5
	s_delay_alu instid0(VALU_DEP_4)
	v_cvt_f32_i32_e32 v4, v4
	s_wait_loadcnt 0x0
	v_mul_f16_e32 v0, v11, v0
	v_cvt_f16_f32_e32 v1, v1
	v_mul_f16_e32 v5, v11, v5
	v_cvt_f16_f32_e32 v4, v4
	s_delay_alu instid0(VALU_DEP_4) | instskip(NEXT) | instid1(VALU_DEP_4)
	v_cvt_f32_f16_e32 v6, v0
	v_mul_f16_e32 v1, v11, v1
	s_delay_alu instid0(VALU_DEP_4) | instskip(NEXT) | instid1(VALU_DEP_4)
	v_cvt_f32_f16_e32 v7, v5
	v_mul_f16_e32 v4, v11, v4
	v_cmp_o_f16_e32 vcc_lo, v0, v0
	v_bfe_u32 v8, v6, 16, 1
	v_cvt_f32_f16_e32 v9, v1
	v_bfe_u32 v11, v7, 16, 1
	v_cvt_f32_f16_e32 v10, v4
	s_delay_alu instid0(VALU_DEP_4) | instskip(NEXT) | instid1(VALU_DEP_4)
	v_add3_u32 v6, v6, v8, 0x7fff
	v_bfe_u32 v8, v9, 16, 1
	s_delay_alu instid0(VALU_DEP_4) | instskip(NEXT) | instid1(VALU_DEP_4)
	v_add3_u32 v7, v7, v11, 0x7fff
	v_bfe_u32 v12, v10, 16, 1
	s_delay_alu instid0(VALU_DEP_4) | instskip(NEXT) | instid1(VALU_DEP_4)
	v_lshrrev_b32_e32 v6, 16, v6
	v_add3_u32 v8, v9, v8, 0x7fff
	s_delay_alu instid0(VALU_DEP_4) | instskip(NEXT) | instid1(VALU_DEP_4)
	v_lshrrev_b32_e32 v7, 16, v7
	v_add3_u32 v9, v10, v12, 0x7fff
	s_delay_alu instid0(VALU_DEP_4) | instskip(SKIP_1) | instid1(VALU_DEP_3)
	v_cndmask_b32_e32 v0, 0x7fc0, v6, vcc_lo
	v_cmp_o_f16_e32 vcc_lo, v5, v5
	v_dual_lshrrev_b32 v6, 16, v8 :: v_dual_lshrrev_b32 v8, 16, v9
	v_cndmask_b32_e32 v5, 0x7fc0, v7, vcc_lo
	v_cmp_o_f16_e32 vcc_lo, v1, v1
	s_delay_alu instid0(VALU_DEP_3)
	v_cndmask_b32_e32 v1, 0x7fc0, v6, vcc_lo
	v_cmp_o_f16_e32 vcc_lo, v4, v4
	v_cndmask_b32_e32 v4, 0x7fc0, v8, vcc_lo
	s_clause 0x3
	global_store_b16 v[2:3], v0, off
	global_store_b16 v[2:3], v5, off offset:64
	global_store_b16 v[2:3], v1, off offset:128
	global_store_b16 v[2:3], v4, off offset:192
	s_endpgm
	.section	.rodata,"a",@progbits
	.p2align	6, 0x0
	.amdhsa_kernel _ZL21dequantize_block_q6_KIN3c108BFloat16EEvPKvPT_
		.amdhsa_group_segment_fixed_size 0
		.amdhsa_private_segment_fixed_size 0
		.amdhsa_kernarg_size 16
		.amdhsa_user_sgpr_count 2
		.amdhsa_user_sgpr_dispatch_ptr 0
		.amdhsa_user_sgpr_queue_ptr 0
		.amdhsa_user_sgpr_kernarg_segment_ptr 1
		.amdhsa_user_sgpr_dispatch_id 0
		.amdhsa_user_sgpr_kernarg_preload_length 0
		.amdhsa_user_sgpr_kernarg_preload_offset 0
		.amdhsa_user_sgpr_private_segment_size 0
		.amdhsa_wavefront_size32 1
		.amdhsa_uses_dynamic_stack 0
		.amdhsa_enable_private_segment 0
		.amdhsa_system_sgpr_workgroup_id_x 1
		.amdhsa_system_sgpr_workgroup_id_y 0
		.amdhsa_system_sgpr_workgroup_id_z 0
		.amdhsa_system_sgpr_workgroup_info 0
		.amdhsa_system_vgpr_workitem_id 0
		.amdhsa_next_free_vgpr 14
		.amdhsa_next_free_sgpr 10
		.amdhsa_named_barrier_count 0
		.amdhsa_reserve_vcc 1
		.amdhsa_float_round_mode_32 0
		.amdhsa_float_round_mode_16_64 0
		.amdhsa_float_denorm_mode_32 3
		.amdhsa_float_denorm_mode_16_64 3
		.amdhsa_fp16_overflow 0
		.amdhsa_memory_ordered 1
		.amdhsa_forward_progress 1
		.amdhsa_inst_pref_size 7
		.amdhsa_round_robin_scheduling 0
		.amdhsa_exception_fp_ieee_invalid_op 0
		.amdhsa_exception_fp_denorm_src 0
		.amdhsa_exception_fp_ieee_div_zero 0
		.amdhsa_exception_fp_ieee_overflow 0
		.amdhsa_exception_fp_ieee_underflow 0
		.amdhsa_exception_fp_ieee_inexact 0
		.amdhsa_exception_int_div_zero 0
	.end_amdhsa_kernel
	.section	.text._ZL21dequantize_block_q6_KIN3c108BFloat16EEvPKvPT_,"axG",@progbits,_ZL21dequantize_block_q6_KIN3c108BFloat16EEvPKvPT_,comdat
.Lfunc_end47:
	.size	_ZL21dequantize_block_q6_KIN3c108BFloat16EEvPKvPT_, .Lfunc_end47-_ZL21dequantize_block_q6_KIN3c108BFloat16EEvPKvPT_
                                        ; -- End function
	.set _ZL21dequantize_block_q6_KIN3c108BFloat16EEvPKvPT_.num_vgpr, 14
	.set _ZL21dequantize_block_q6_KIN3c108BFloat16EEvPKvPT_.num_agpr, 0
	.set _ZL21dequantize_block_q6_KIN3c108BFloat16EEvPKvPT_.numbered_sgpr, 10
	.set _ZL21dequantize_block_q6_KIN3c108BFloat16EEvPKvPT_.num_named_barrier, 0
	.set _ZL21dequantize_block_q6_KIN3c108BFloat16EEvPKvPT_.private_seg_size, 0
	.set _ZL21dequantize_block_q6_KIN3c108BFloat16EEvPKvPT_.uses_vcc, 1
	.set _ZL21dequantize_block_q6_KIN3c108BFloat16EEvPKvPT_.uses_flat_scratch, 0
	.set _ZL21dequantize_block_q6_KIN3c108BFloat16EEvPKvPT_.has_dyn_sized_stack, 0
	.set _ZL21dequantize_block_q6_KIN3c108BFloat16EEvPKvPT_.has_recursion, 0
	.set _ZL21dequantize_block_q6_KIN3c108BFloat16EEvPKvPT_.has_indirect_call, 0
	.section	.AMDGPU.csdata,"",@progbits
; Kernel info:
; codeLenInByte = 772
; TotalNumSgprs: 12
; NumVgprs: 14
; ScratchSize: 0
; MemoryBound: 0
; FloatMode: 240
; IeeeMode: 1
; LDSByteSize: 0 bytes/workgroup (compile time only)
; SGPRBlocks: 0
; VGPRBlocks: 0
; NumSGPRsForWavesPerEU: 12
; NumVGPRsForWavesPerEU: 14
; NamedBarCnt: 0
; Occupancy: 16
; WaveLimiterHint : 0
; COMPUTE_PGM_RSRC2:SCRATCH_EN: 0
; COMPUTE_PGM_RSRC2:USER_SGPR: 2
; COMPUTE_PGM_RSRC2:TRAP_HANDLER: 0
; COMPUTE_PGM_RSRC2:TGID_X_EN: 1
; COMPUTE_PGM_RSRC2:TGID_Y_EN: 0
; COMPUTE_PGM_RSRC2:TGID_Z_EN: 0
; COMPUTE_PGM_RSRC2:TIDIG_COMP_CNT: 0
	.section	.text._ZL24dequantize_block_iq2_xxsIN3c108BFloat16EEvPKvPT_,"axG",@progbits,_ZL24dequantize_block_iq2_xxsIN3c108BFloat16EEvPKvPT_,comdat
	.globl	_ZL24dequantize_block_iq2_xxsIN3c108BFloat16EEvPKvPT_ ; -- Begin function _ZL24dequantize_block_iq2_xxsIN3c108BFloat16EEvPKvPT_
	.p2align	8
	.type	_ZL24dequantize_block_iq2_xxsIN3c108BFloat16EEvPKvPT_,@function
_ZL24dequantize_block_iq2_xxsIN3c108BFloat16EEvPKvPT_: ; @_ZL24dequantize_block_iq2_xxsIN3c108BFloat16EEvPKvPT_
; %bb.0:
	s_load_b128 s[0:3], s[0:1], 0x0
	s_bfe_u32 s4, ttmp6, 0x4000c
	s_and_b32 s5, ttmp6, 15
	s_add_co_i32 s4, s4, 1
	s_getreg_b32 s6, hwreg(HW_REG_IB_STS2, 6, 4)
	s_mul_i32 s4, ttmp9, s4
	v_dual_mov_b32 v5, 0 :: v_dual_bitop2_b32 v1, 7, v0 bitop3:0x40
	s_add_co_i32 s4, s5, s4
	s_cmp_eq_u32 s6, 0
	s_mov_b32 s5, 0
	s_cselect_b32 s6, ttmp9, s4
	v_lshlrev_b32_e32 v4, 6, v1
	s_lshl_b32 s4, s6, 8
	v_and_b32_e32 v6, 0x3f8, v0
	s_lshl_b64 s[8:9], s[4:5], 1
	v_lshrrev_b32_e32 v0, 3, v0
	s_mov_b32 s7, s5
	s_wait_kmcnt 0x0
	s_add_nc_u64 s[2:3], s[2:3], s[8:9]
	s_delay_alu instid0(SALU_CYCLE_1) | instskip(SKIP_2) | instid1(SALU_CYCLE_1)
	v_add_nc_u64_e32 v[2:3], s[2:3], v[4:5]
	v_lshlrev_b32_e32 v4, 1, v6
	s_mul_u64 s[2:3], s[6:7], 0x42
	s_add_nc_u64 s[0:1], s[0:1], s[2:3]
	s_delay_alu instid0(VALU_DEP_1) | instskip(SKIP_1) | instid1(VALU_DEP_1)
	v_add_nc_u64_e32 v[2:3], v[2:3], v[4:5]
	v_dual_mov_b32 v1, v5 :: v_dual_lshlrev_b32 v4, 3, v1
	v_add_nc_u64_e32 v[6:7], s[0:1], v[4:5]
	global_load_b32 v4, v4, s[0:1] offset:6
	v_add_nc_u64_e32 v[6:7], v[6:7], v[0:1]
	v_mul_u32_u24_e32 v0, 7, v0
	s_clause 0x1
	global_load_u8 v1, v[6:7], off offset:2
	global_load_u16 v8, v5, s[0:1]
	s_wait_xcnt 0x0
	s_get_pc_i64 s[0:1]
	s_add_nc_u64 s[0:1], s[0:1], _ZL12ksigns_iq2xs@rel64+4
	s_wait_loadcnt 0x2
	v_bfe_u32 v5, v4, v0, 7
	global_load_u8 v6, v5, s[0:1]
	s_wait_xcnt 0x0
	s_get_pc_i64 s[0:1]
	s_add_nc_u64 s[0:1], s[0:1], _ZL11iq2xxs_grid@rel64+4
	v_lshrrev_b32_e32 v4, 28, v4
	s_wait_loadcnt 0x2
	global_load_b64 v[0:1], v1, s[0:1] scale_offset
	s_wait_loadcnt 0x2
	v_cvt_f32_f16_e32 v7, v8
	s_wait_loadcnt 0x1
	v_and_b32_e32 v14, 4, v6
	v_cvt_f32_ubyte0_e32 v4, v4
	v_and_b32_e32 v13, 8, v6
	v_and_b32_e32 v15, 2, v6
	v_bfe_i32 v12, v6, 0, 8
	s_delay_alu instid0(VALU_DEP_4)
	v_dual_add_f32 v4, 0.5, v4 :: v_dual_bitop2_b32 v16, 1, v6 bitop3:0x40
	s_wait_loadcnt 0x0
	v_cvt_f32_ubyte3_e32 v9, v0
	v_cvt_f32_ubyte2_e32 v8, v0
	v_cvt_f32_ubyte1_e32 v11, v1
	v_cvt_f32_ubyte0_e32 v10, v1
	v_mul_f32_e32 v4, v4, v7
	v_cvt_f32_ubyte1_e32 v7, v0
	v_cvt_f32_ubyte2_e32 v19, v1
	v_cvt_f32_ubyte3_e32 v20, v1
	v_cmp_eq_u16_e32 vcc_lo, 0, v13
	v_mul_f32_e32 v4, 0x3e800000, v4
	v_and_b32_e32 v17, 16, v6
	v_and_b32_e32 v18, 32, v6
	v_cvt_f32_ubyte0_e32 v6, v0
	s_delay_alu instid0(VALU_DEP_4) | instskip(SKIP_2) | instid1(VALU_DEP_4)
	v_pk_mul_f32 v[0:1], v[4:5], v[8:9] op_sel_hi:[0,1]
	v_pk_mul_f32 v[8:9], v[4:5], v[10:11] op_sel_hi:[0,1]
	v_mul_f32_e32 v10, v4, v19
	v_pk_mul_f32 v[6:7], v[4:5], v[6:7] op_sel_hi:[0,1]
	s_delay_alu instid0(VALU_DEP_4) | instskip(SKIP_3) | instid1(VALU_DEP_4)
	v_cndmask_b32_e64 v1, -v1, v1, vcc_lo
	v_cmp_eq_u16_e32 vcc_lo, 0, v14
	v_cndmask_b32_e64 v0, -v0, v0, vcc_lo
	v_cmp_eq_u16_e32 vcc_lo, 0, v15
	v_bfe_u32 v13, v1, 16, 1
	v_cndmask_b32_e64 v7, -v7, v7, vcc_lo
	v_cmp_eq_u16_e32 vcc_lo, 0, v16
	s_delay_alu instid0(VALU_DEP_3)
	v_add3_u32 v13, v1, v13, 0x7fff
	v_cndmask_b32_e64 v6, -v6, v6, vcc_lo
	v_cmp_eq_u16_e32 vcc_lo, 0, v17
	v_bfe_u32 v11, v7, 16, 1
	v_cndmask_b32_e64 v8, -v8, v8, vcc_lo
	v_cmp_eq_u16_e32 vcc_lo, 0, v18
	s_delay_alu instid0(VALU_DEP_3) | instskip(SKIP_2) | instid1(VALU_DEP_3)
	v_add3_u32 v11, v7, v11, 0x7fff
	v_cndmask_b32_e64 v9, -v9, v9, vcc_lo
	v_cmp_gt_u32_e32 vcc_lo, 64, v5
	v_dual_lshrrev_b32 v15, 16, v8 :: v_dual_lshrrev_b32 v11, 16, v11
	s_delay_alu instid0(VALU_DEP_3) | instskip(SKIP_3) | instid1(VALU_DEP_4)
	v_dual_lshrrev_b32 v14, 16, v9 :: v_dual_cndmask_b32 v5, -v10, v10, vcc_lo
	v_cmp_gt_i16_e32 vcc_lo, 0, v12
	v_bfe_u32 v10, v6, 16, 1
	v_bfe_u32 v12, v0, 16, 1
	v_dual_lshrrev_b32 v17, 16, v5 :: v_dual_bitop2_b32 v14, 1, v14 bitop3:0x40
	v_mul_f32_e32 v4, v4, v20
	s_delay_alu instid0(VALU_DEP_4) | instskip(SKIP_2) | instid1(VALU_DEP_4)
	v_add3_u32 v10, v6, v10, 0x7fff
	v_and_b32_e32 v15, 1, v15
	v_add3_u32 v12, v0, v12, 0x7fff
	v_dual_cndmask_b32 v4, v4, -v4, vcc_lo :: v_dual_bitop2_b32 v17, 1, v17 bitop3:0x40
	s_delay_alu instid0(VALU_DEP_4) | instskip(SKIP_1) | instid1(VALU_DEP_4)
	v_lshrrev_b32_e32 v10, 16, v10
	v_cmp_o_f32_e32 vcc_lo, v6, v6
	v_dual_lshrrev_b32 v13, 16, v13 :: v_dual_lshrrev_b32 v12, 16, v12
	s_delay_alu instid0(VALU_DEP_4)
	v_lshrrev_b32_e32 v16, 16, v4
	v_add3_u32 v17, v5, v17, 0x7fff
	v_cndmask_b32_e32 v6, 0x7fc0, v10, vcc_lo
	v_cmp_o_f32_e32 vcc_lo, v7, v7
	v_add3_u32 v14, v9, v14, 0x7fff
	v_and_b32_e32 v16, 1, v16
	v_add3_u32 v15, v8, v15, 0x7fff
	v_cndmask_b32_e32 v7, 0x7fc0, v11, vcc_lo
	v_cmp_o_f32_e32 vcc_lo, v0, v0
	s_delay_alu instid0(VALU_DEP_4) | instskip(NEXT) | instid1(VALU_DEP_4)
	v_add3_u32 v16, v4, v16, 0x7fff
	v_dual_lshrrev_b32 v10, 16, v15 :: v_dual_lshrrev_b32 v11, 16, v14
	v_cndmask_b32_e32 v0, 0x7fc0, v12, vcc_lo
	v_cmp_o_f32_e32 vcc_lo, v1, v1
	v_lshrrev_b32_e32 v12, 16, v17
	v_cndmask_b32_e32 v1, 0x7fc0, v13, vcc_lo
	v_cmp_o_f32_e32 vcc_lo, v8, v8
	v_dual_cndmask_b32 v8, 0x7fc0, v10 :: v_dual_lshrrev_b32 v13, 16, v16
	v_cmp_o_f32_e32 vcc_lo, v9, v9
	v_cndmask_b32_e32 v9, 0x7fc0, v11, vcc_lo
	v_cmp_o_f32_e32 vcc_lo, v5, v5
	v_perm_b32 v5, v1, v0, 0x5040100
	v_cndmask_b32_e32 v10, 0x7fc0, v12, vcc_lo
	v_cmp_o_f32_e32 vcc_lo, v4, v4
	v_perm_b32 v4, v7, v6, 0x5040100
	v_perm_b32 v6, v9, v8, 0x5040100
	v_cndmask_b32_e32 v11, 0x7fc0, v13, vcc_lo
	s_delay_alu instid0(VALU_DEP_1)
	v_perm_b32 v7, v11, v10, 0x5040100
	global_store_b128 v[2:3], v[4:7], off
	s_endpgm
	.section	.rodata,"a",@progbits
	.p2align	6, 0x0
	.amdhsa_kernel _ZL24dequantize_block_iq2_xxsIN3c108BFloat16EEvPKvPT_
		.amdhsa_group_segment_fixed_size 0
		.amdhsa_private_segment_fixed_size 0
		.amdhsa_kernarg_size 16
		.amdhsa_user_sgpr_count 2
		.amdhsa_user_sgpr_dispatch_ptr 0
		.amdhsa_user_sgpr_queue_ptr 0
		.amdhsa_user_sgpr_kernarg_segment_ptr 1
		.amdhsa_user_sgpr_dispatch_id 0
		.amdhsa_user_sgpr_kernarg_preload_length 0
		.amdhsa_user_sgpr_kernarg_preload_offset 0
		.amdhsa_user_sgpr_private_segment_size 0
		.amdhsa_wavefront_size32 1
		.amdhsa_uses_dynamic_stack 0
		.amdhsa_enable_private_segment 0
		.amdhsa_system_sgpr_workgroup_id_x 1
		.amdhsa_system_sgpr_workgroup_id_y 0
		.amdhsa_system_sgpr_workgroup_id_z 0
		.amdhsa_system_sgpr_workgroup_info 0
		.amdhsa_system_vgpr_workitem_id 0
		.amdhsa_next_free_vgpr 21
		.amdhsa_next_free_sgpr 10
		.amdhsa_named_barrier_count 0
		.amdhsa_reserve_vcc 1
		.amdhsa_float_round_mode_32 0
		.amdhsa_float_round_mode_16_64 0
		.amdhsa_float_denorm_mode_32 3
		.amdhsa_float_denorm_mode_16_64 3
		.amdhsa_fp16_overflow 0
		.amdhsa_memory_ordered 1
		.amdhsa_forward_progress 1
		.amdhsa_inst_pref_size 8
		.amdhsa_round_robin_scheduling 0
		.amdhsa_exception_fp_ieee_invalid_op 0
		.amdhsa_exception_fp_denorm_src 0
		.amdhsa_exception_fp_ieee_div_zero 0
		.amdhsa_exception_fp_ieee_overflow 0
		.amdhsa_exception_fp_ieee_underflow 0
		.amdhsa_exception_fp_ieee_inexact 0
		.amdhsa_exception_int_div_zero 0
	.end_amdhsa_kernel
	.section	.text._ZL24dequantize_block_iq2_xxsIN3c108BFloat16EEvPKvPT_,"axG",@progbits,_ZL24dequantize_block_iq2_xxsIN3c108BFloat16EEvPKvPT_,comdat
.Lfunc_end48:
	.size	_ZL24dequantize_block_iq2_xxsIN3c108BFloat16EEvPKvPT_, .Lfunc_end48-_ZL24dequantize_block_iq2_xxsIN3c108BFloat16EEvPKvPT_
                                        ; -- End function
	.set _ZL24dequantize_block_iq2_xxsIN3c108BFloat16EEvPKvPT_.num_vgpr, 21
	.set _ZL24dequantize_block_iq2_xxsIN3c108BFloat16EEvPKvPT_.num_agpr, 0
	.set _ZL24dequantize_block_iq2_xxsIN3c108BFloat16EEvPKvPT_.numbered_sgpr, 10
	.set _ZL24dequantize_block_iq2_xxsIN3c108BFloat16EEvPKvPT_.num_named_barrier, 0
	.set _ZL24dequantize_block_iq2_xxsIN3c108BFloat16EEvPKvPT_.private_seg_size, 0
	.set _ZL24dequantize_block_iq2_xxsIN3c108BFloat16EEvPKvPT_.uses_vcc, 1
	.set _ZL24dequantize_block_iq2_xxsIN3c108BFloat16EEvPKvPT_.uses_flat_scratch, 0
	.set _ZL24dequantize_block_iq2_xxsIN3c108BFloat16EEvPKvPT_.has_dyn_sized_stack, 0
	.set _ZL24dequantize_block_iq2_xxsIN3c108BFloat16EEvPKvPT_.has_recursion, 0
	.set _ZL24dequantize_block_iq2_xxsIN3c108BFloat16EEvPKvPT_.has_indirect_call, 0
	.section	.AMDGPU.csdata,"",@progbits
; Kernel info:
; codeLenInByte = 916
; TotalNumSgprs: 12
; NumVgprs: 21
; ScratchSize: 0
; MemoryBound: 0
; FloatMode: 240
; IeeeMode: 1
; LDSByteSize: 0 bytes/workgroup (compile time only)
; SGPRBlocks: 0
; VGPRBlocks: 1
; NumSGPRsForWavesPerEU: 12
; NumVGPRsForWavesPerEU: 21
; NamedBarCnt: 0
; Occupancy: 16
; WaveLimiterHint : 0
; COMPUTE_PGM_RSRC2:SCRATCH_EN: 0
; COMPUTE_PGM_RSRC2:USER_SGPR: 2
; COMPUTE_PGM_RSRC2:TRAP_HANDLER: 0
; COMPUTE_PGM_RSRC2:TGID_X_EN: 1
; COMPUTE_PGM_RSRC2:TGID_Y_EN: 0
; COMPUTE_PGM_RSRC2:TGID_Z_EN: 0
; COMPUTE_PGM_RSRC2:TIDIG_COMP_CNT: 0
	.section	.text._ZL23dequantize_block_iq2_xsIN3c108BFloat16EEvPKvPT_,"axG",@progbits,_ZL23dequantize_block_iq2_xsIN3c108BFloat16EEvPKvPT_,comdat
	.globl	_ZL23dequantize_block_iq2_xsIN3c108BFloat16EEvPKvPT_ ; -- Begin function _ZL23dequantize_block_iq2_xsIN3c108BFloat16EEvPKvPT_
	.p2align	8
	.type	_ZL23dequantize_block_iq2_xsIN3c108BFloat16EEvPKvPT_,@function
_ZL23dequantize_block_iq2_xsIN3c108BFloat16EEvPKvPT_: ; @_ZL23dequantize_block_iq2_xsIN3c108BFloat16EEvPKvPT_
; %bb.0:
	s_load_b128 s[0:3], s[0:1], 0x0
	s_bfe_u32 s4, ttmp6, 0x4000c
	s_and_b32 s5, ttmp6, 15
	s_add_co_i32 s4, s4, 1
	s_getreg_b32 s6, hwreg(HW_REG_IB_STS2, 6, 4)
	s_mul_i32 s4, ttmp9, s4
	v_dual_mov_b32 v5, 0 :: v_dual_bitop2_b32 v6, 7, v0 bitop3:0x40
	s_add_co_i32 s4, s5, s4
	s_cmp_eq_u32 s6, 0
	s_mov_b32 s5, 0
	s_cselect_b32 s6, ttmp9, s4
	v_dual_lshlrev_b32 v4, 6, v6 :: v_dual_lshrrev_b32 v7, 2, v0
	s_lshl_b32 s4, s6, 8
	v_and_b32_e32 v1, 0x3f8, v0
	s_lshl_b64 s[8:9], s[4:5], 1
	s_mov_b32 s7, s5
	s_wait_kmcnt 0x0
	s_add_nc_u64 s[2:3], s[2:3], s[8:9]
	s_delay_alu instid0(SALU_CYCLE_1) | instskip(SKIP_2) | instid1(SALU_CYCLE_1)
	v_add_nc_u64_e32 v[2:3], s[2:3], v[4:5]
	v_lshlrev_b32_e32 v4, 1, v1
	s_mul_u64 s[2:3], s[6:7], 0x4a
	s_add_nc_u64 s[0:1], s[0:1], s[2:3]
	s_get_pc_i64 s[2:3]
	s_add_nc_u64 s[2:3], s[2:3], _ZL12ksigns_iq2xs@rel64+4
	s_delay_alu instid0(VALU_DEP_2) | instskip(SKIP_1) | instid1(VALU_DEP_1)
	v_add_nc_u64_e32 v[2:3], v[2:3], v[4:5]
	v_lshlrev_b32_e32 v4, 3, v6
	v_add_nc_u64_e32 v[0:1], s[0:1], v[4:5]
	v_and_b32_e32 v4, 0xfe, v7
	s_delay_alu instid0(VALU_DEP_1)
	v_add_nc_u64_e32 v[0:1], v[0:1], v[4:5]
	s_clause 0x2
	global_load_u16 v14, v[0:1], off offset:2
	global_load_u16 v4, v5, s[0:1]
	global_load_u8 v8, v6, s[0:1] offset:66
	s_wait_xcnt 0x0
	s_get_pc_i64 s[0:1]
	s_add_nc_u64 s[0:1], s[0:1], _ZL10iq2xs_grid@rel64+4
	s_wait_loadcnt 0x2
	v_and_b32_e32 v0, 0xffff, v14
	v_and_b32_e32 v1, 0x1ff, v14
	s_wait_loadcnt 0x1
	v_cvt_f32_f16_e32 v4, v4
	s_delay_alu instid0(VALU_DEP_3) | instskip(NEXT) | instid1(VALU_DEP_3)
	v_lshrrev_b32_e32 v5, 9, v0
	v_and_b32_e32 v6, 0xffff, v1
	global_load_u8 v15, v5, s[2:3]
	global_load_b64 v[0:1], v6, s[0:1] scale_offset
	s_wait_xcnt 0x1
	v_and_b32_e32 v5, 0xfc, v7
	s_wait_loadcnt 0x2
	s_delay_alu instid0(VALU_DEP_1) | instskip(NEXT) | instid1(VALU_DEP_1)
	v_bfe_u32 v5, v8, v5, 4
	v_cvt_f32_ubyte0_e32 v5, v5
	s_delay_alu instid0(VALU_DEP_1) | instskip(SKIP_1) | instid1(VALU_DEP_1)
	v_add_f32_e32 v5, 0.5, v5
	s_wait_loadcnt 0x1
	v_dual_mul_f32 v4, v5, v4 :: v_dual_bitop2_b32 v17, 8, v15 bitop3:0x40
	s_delay_alu instid0(VALU_DEP_1)
	v_mul_f32_e32 v4, 0x3e800000, v4
	s_wait_loadcnt 0x0
	v_cvt_f32_ubyte3_e32 v9, v0
	v_cvt_f32_ubyte2_e32 v8, v0
	v_cvt_f32_ubyte1_e32 v7, v0
	v_cvt_f32_ubyte0_e32 v6, v0
	v_cvt_f32_ubyte1_e32 v11, v1
	v_cvt_f32_ubyte0_e32 v10, v1
	v_cvt_f32_ubyte3_e32 v13, v1
	v_cvt_f32_ubyte2_e32 v12, v1
	v_pk_mul_f32 v[0:1], v[4:5], v[8:9] op_sel_hi:[0,1]
	v_cmp_eq_u16_e32 vcc_lo, 0, v17
	v_and_b32_e32 v18, 4, v15
	v_pk_mul_f32 v[6:7], v[4:5], v[6:7] op_sel_hi:[0,1]
	v_pk_mul_f32 v[8:9], v[4:5], v[10:11] op_sel_hi:[0,1]
	v_dual_cndmask_b32 v1, -v1, v1, vcc_lo :: v_dual_bitop2_b32 v20, 1, v15 bitop3:0x40
	s_delay_alu instid0(VALU_DEP_4) | instskip(SKIP_3) | instid1(VALU_DEP_3)
	v_cmp_eq_u16_e32 vcc_lo, 0, v18
	v_and_b32_e32 v19, 2, v15
	v_bfe_i32 v16, v15, 0, 8
	v_cndmask_b32_e64 v0, -v0, v0, vcc_lo
	v_cmp_eq_u16_e32 vcc_lo, 0, v19
	v_cndmask_b32_e64 v7, -v7, v7, vcc_lo
	v_cmp_eq_u16_e32 vcc_lo, 0, v20
	s_delay_alu instid0(VALU_DEP_2) | instskip(SKIP_2) | instid1(VALU_DEP_3)
	v_bfe_u32 v11, v7, 16, 1
	v_cndmask_b32_e64 v6, -v6, v6, vcc_lo
	v_cmp_gt_i16_e32 vcc_lo, 0, v16
	v_add3_u32 v11, v7, v11, 0x7fff
	s_delay_alu instid0(VALU_DEP_3) | instskip(NEXT) | instid1(VALU_DEP_2)
	v_bfe_u32 v10, v6, 16, 1
	v_lshrrev_b32_e32 v11, 16, v11
	v_pk_mul_f32 v[4:5], v[4:5], v[12:13] op_sel_hi:[0,1]
	v_and_b32_e32 v21, 32, v15
	v_bfe_u32 v12, v0, 16, 1
	v_add3_u32 v10, v6, v10, 0x7fff
	v_bfe_u32 v13, v1, 16, 1
	v_cndmask_b32_e64 v5, v5, -v5, vcc_lo
	v_cmp_gt_i16_e32 vcc_lo, 0, v14
	v_and_b32_e32 v15, 16, v15
	v_add3_u32 v12, v0, v12, 0x7fff
	v_add3_u32 v13, v1, v13, 0x7fff
	v_bfe_u32 v17, v5, 16, 1
	v_cndmask_b32_e64 v4, v4, -v4, vcc_lo
	v_cmp_eq_u16_e32 vcc_lo, 0, v21
	v_dual_lshrrev_b32 v10, 16, v10 :: v_dual_lshrrev_b32 v12, 16, v12
	v_lshrrev_b32_e32 v13, 16, v13
	s_delay_alu instid0(VALU_DEP_4) | instskip(SKIP_3) | instid1(VALU_DEP_4)
	v_bfe_u32 v16, v4, 16, 1
	v_cndmask_b32_e64 v9, -v9, v9, vcc_lo
	v_cmp_eq_u16_e32 vcc_lo, 0, v15
	v_add3_u32 v17, v5, v17, 0x7fff
	v_add3_u32 v16, v4, v16, 0x7fff
	s_delay_alu instid0(VALU_DEP_4) | instskip(SKIP_2) | instid1(VALU_DEP_4)
	v_bfe_u32 v15, v9, 16, 1
	v_cndmask_b32_e64 v8, -v8, v8, vcc_lo
	v_cmp_o_f32_e32 vcc_lo, v6, v6
	v_dual_lshrrev_b32 v17, 16, v17 :: v_dual_lshrrev_b32 v16, 16, v16
	s_delay_alu instid0(VALU_DEP_4) | instskip(NEXT) | instid1(VALU_DEP_4)
	v_add3_u32 v15, v9, v15, 0x7fff
	v_bfe_u32 v14, v8, 16, 1
	v_cndmask_b32_e32 v10, 0x7fc0, v10, vcc_lo
	v_cmp_o_f32_e32 vcc_lo, v0, v0
	s_delay_alu instid0(VALU_DEP_4) | instskip(NEXT) | instid1(VALU_DEP_4)
	v_lshrrev_b32_e32 v15, 16, v15
	v_add3_u32 v14, v8, v14, 0x7fff
	v_cndmask_b32_e32 v0, 0x7fc0, v12, vcc_lo
	v_cmp_o_f32_e32 vcc_lo, v1, v1
	s_delay_alu instid0(VALU_DEP_3) | instskip(SKIP_1) | instid1(VALU_DEP_2)
	v_dual_cndmask_b32 v1, 0x7fc0, v13 :: v_dual_lshrrev_b32 v14, 16, v14
	v_cmp_o_f32_e32 vcc_lo, v8, v8
	v_cndmask_b32_e32 v6, 0x7fc0, v14, vcc_lo
	v_cmp_o_f32_e32 vcc_lo, v4, v4
	v_cndmask_b32_e32 v4, 0x7fc0, v16, vcc_lo
	;; [unrolled: 2-line block ×4, first 2 shown]
	v_cmp_o_f32_e32 vcc_lo, v7, v7
	s_delay_alu instid0(VALU_DEP_4) | instskip(SKIP_1) | instid1(VALU_DEP_4)
	v_perm_b32 v7, v5, v4, 0x5040100
	v_perm_b32 v5, v1, v0, 0x5040100
	;; [unrolled: 1-line block ×3, first 2 shown]
	v_cndmask_b32_e32 v9, 0x7fc0, v11, vcc_lo
	s_delay_alu instid0(VALU_DEP_1)
	v_perm_b32 v4, v9, v10, 0x5040100
	global_store_b128 v[2:3], v[4:7], off
	s_endpgm
	.section	.rodata,"a",@progbits
	.p2align	6, 0x0
	.amdhsa_kernel _ZL23dequantize_block_iq2_xsIN3c108BFloat16EEvPKvPT_
		.amdhsa_group_segment_fixed_size 0
		.amdhsa_private_segment_fixed_size 0
		.amdhsa_kernarg_size 16
		.amdhsa_user_sgpr_count 2
		.amdhsa_user_sgpr_dispatch_ptr 0
		.amdhsa_user_sgpr_queue_ptr 0
		.amdhsa_user_sgpr_kernarg_segment_ptr 1
		.amdhsa_user_sgpr_dispatch_id 0
		.amdhsa_user_sgpr_kernarg_preload_length 0
		.amdhsa_user_sgpr_kernarg_preload_offset 0
		.amdhsa_user_sgpr_private_segment_size 0
		.amdhsa_wavefront_size32 1
		.amdhsa_uses_dynamic_stack 0
		.amdhsa_enable_private_segment 0
		.amdhsa_system_sgpr_workgroup_id_x 1
		.amdhsa_system_sgpr_workgroup_id_y 0
		.amdhsa_system_sgpr_workgroup_id_z 0
		.amdhsa_system_sgpr_workgroup_info 0
		.amdhsa_system_vgpr_workitem_id 0
		.amdhsa_next_free_vgpr 22
		.amdhsa_next_free_sgpr 10
		.amdhsa_named_barrier_count 0
		.amdhsa_reserve_vcc 1
		.amdhsa_float_round_mode_32 0
		.amdhsa_float_round_mode_16_64 0
		.amdhsa_float_denorm_mode_32 3
		.amdhsa_float_denorm_mode_16_64 3
		.amdhsa_fp16_overflow 0
		.amdhsa_memory_ordered 1
		.amdhsa_forward_progress 1
		.amdhsa_inst_pref_size 8
		.amdhsa_round_robin_scheduling 0
		.amdhsa_exception_fp_ieee_invalid_op 0
		.amdhsa_exception_fp_denorm_src 0
		.amdhsa_exception_fp_ieee_div_zero 0
		.amdhsa_exception_fp_ieee_overflow 0
		.amdhsa_exception_fp_ieee_underflow 0
		.amdhsa_exception_fp_ieee_inexact 0
		.amdhsa_exception_int_div_zero 0
	.end_amdhsa_kernel
	.section	.text._ZL23dequantize_block_iq2_xsIN3c108BFloat16EEvPKvPT_,"axG",@progbits,_ZL23dequantize_block_iq2_xsIN3c108BFloat16EEvPKvPT_,comdat
.Lfunc_end49:
	.size	_ZL23dequantize_block_iq2_xsIN3c108BFloat16EEvPKvPT_, .Lfunc_end49-_ZL23dequantize_block_iq2_xsIN3c108BFloat16EEvPKvPT_
                                        ; -- End function
	.set _ZL23dequantize_block_iq2_xsIN3c108BFloat16EEvPKvPT_.num_vgpr, 22
	.set _ZL23dequantize_block_iq2_xsIN3c108BFloat16EEvPKvPT_.num_agpr, 0
	.set _ZL23dequantize_block_iq2_xsIN3c108BFloat16EEvPKvPT_.numbered_sgpr, 10
	.set _ZL23dequantize_block_iq2_xsIN3c108BFloat16EEvPKvPT_.num_named_barrier, 0
	.set _ZL23dequantize_block_iq2_xsIN3c108BFloat16EEvPKvPT_.private_seg_size, 0
	.set _ZL23dequantize_block_iq2_xsIN3c108BFloat16EEvPKvPT_.uses_vcc, 1
	.set _ZL23dequantize_block_iq2_xsIN3c108BFloat16EEvPKvPT_.uses_flat_scratch, 0
	.set _ZL23dequantize_block_iq2_xsIN3c108BFloat16EEvPKvPT_.has_dyn_sized_stack, 0
	.set _ZL23dequantize_block_iq2_xsIN3c108BFloat16EEvPKvPT_.has_recursion, 0
	.set _ZL23dequantize_block_iq2_xsIN3c108BFloat16EEvPKvPT_.has_indirect_call, 0
	.section	.AMDGPU.csdata,"",@progbits
; Kernel info:
; codeLenInByte = 960
; TotalNumSgprs: 12
; NumVgprs: 22
; ScratchSize: 0
; MemoryBound: 0
; FloatMode: 240
; IeeeMode: 1
; LDSByteSize: 0 bytes/workgroup (compile time only)
; SGPRBlocks: 0
; VGPRBlocks: 1
; NumSGPRsForWavesPerEU: 12
; NumVGPRsForWavesPerEU: 22
; NamedBarCnt: 0
; Occupancy: 16
; WaveLimiterHint : 0
; COMPUTE_PGM_RSRC2:SCRATCH_EN: 0
; COMPUTE_PGM_RSRC2:USER_SGPR: 2
; COMPUTE_PGM_RSRC2:TRAP_HANDLER: 0
; COMPUTE_PGM_RSRC2:TGID_X_EN: 1
; COMPUTE_PGM_RSRC2:TGID_Y_EN: 0
; COMPUTE_PGM_RSRC2:TGID_Z_EN: 0
; COMPUTE_PGM_RSRC2:TIDIG_COMP_CNT: 0
	.section	.text._ZL24dequantize_block_iq3_xxsIN3c108BFloat16EEvPKvPT_,"axG",@progbits,_ZL24dequantize_block_iq3_xxsIN3c108BFloat16EEvPKvPT_,comdat
	.globl	_ZL24dequantize_block_iq3_xxsIN3c108BFloat16EEvPKvPT_ ; -- Begin function _ZL24dequantize_block_iq3_xxsIN3c108BFloat16EEvPKvPT_
	.p2align	8
	.type	_ZL24dequantize_block_iq3_xxsIN3c108BFloat16EEvPKvPT_,@function
_ZL24dequantize_block_iq3_xxsIN3c108BFloat16EEvPKvPT_: ; @_ZL24dequantize_block_iq3_xxsIN3c108BFloat16EEvPKvPT_
; %bb.0:
	s_load_b128 s[0:3], s[0:1], 0x0
	s_bfe_u32 s4, ttmp6, 0x4000c
	s_and_b32 s5, ttmp6, 15
	s_add_co_i32 s4, s4, 1
	s_getreg_b32 s6, hwreg(HW_REG_IB_STS2, 6, 4)
	s_mul_i32 s4, ttmp9, s4
	v_dual_mov_b32 v5, 0 :: v_dual_bitop2_b32 v6, 7, v0 bitop3:0x40
	s_add_co_i32 s4, s5, s4
	s_cmp_eq_u32 s6, 0
	s_mov_b32 s5, 0
	s_cselect_b32 s6, ttmp9, s4
	v_dual_lshlrev_b32 v4, 6, v6 :: v_dual_lshrrev_b32 v7, 3, v0
	s_lshl_b32 s4, s6, 8
	v_and_b32_e32 v1, 0x3f8, v0
	s_lshl_b64 s[8:9], s[4:5], 1
	s_mov_b32 s7, s5
	s_wait_kmcnt 0x0
	s_add_nc_u64 s[2:3], s[2:3], s[8:9]
	s_delay_alu instid0(SALU_CYCLE_1) | instskip(SKIP_2) | instid1(SALU_CYCLE_1)
	v_add_nc_u64_e32 v[2:3], s[2:3], v[4:5]
	v_lshlrev_b32_e32 v4, 1, v1
	s_mul_u64 s[2:3], s[6:7], 0x62
	s_add_nc_u64 s[0:1], s[0:1], s[2:3]
	s_delay_alu instid0(VALU_DEP_1) | instskip(SKIP_1) | instid1(VALU_DEP_1)
	v_add_nc_u64_e32 v[2:3], v[2:3], v[4:5]
	v_lshlrev_b32_e32 v4, 3, v6
	v_add_nc_u64_e32 v[0:1], s[0:1], v[4:5]
	v_lshlrev_b32_e32 v4, 1, v7
	s_delay_alu instid0(VALU_DEP_1)
	v_add_nc_u64_e32 v[0:1], v[0:1], v[4:5]
	s_clause 0x2
	global_load_u16 v4, v5, s[0:1]
	global_load_b32 v8, v6, s[0:1] offset:66 scale_offset
	global_load_u16 v9, v[0:1], off offset:2
	s_wait_xcnt 0x0
	v_mul_u32_u24_e32 v0, 7, v7
	s_get_pc_i64 s[0:1]
	s_add_nc_u64 s[0:1], s[0:1], _ZL12ksigns_iq2xs@rel64+4
	s_wait_loadcnt 0x2
	v_cvt_f32_f16_e32 v4, v4
	s_wait_loadcnt 0x1
	v_bfe_u32 v1, v8, v0, 7
	s_wait_loadcnt 0x0
	v_lshrrev_b16 v0, 8, v9
	v_and_b32_e32 v6, 0xff, v9
	global_load_u8 v5, v1, s[0:1]
	v_and_b32_e32 v0, 0xffff, v0
	s_wait_xcnt 0x0
	s_get_pc_i64 s[0:1]
	s_add_nc_u64 s[0:1], s[0:1], _ZL11iq3xxs_grid@rel64+4
	s_clause 0x1
	global_load_b32 v10, v0, s[0:1] scale_offset
	global_load_b32 v11, v6, s[0:1] scale_offset
	s_wait_xcnt 0x1
	v_lshrrev_b32_e32 v0, 28, v8
	s_delay_alu instid0(VALU_DEP_1) | instskip(NEXT) | instid1(VALU_DEP_1)
	v_cvt_f32_ubyte0_e32 v0, v0
	v_add_f32_e32 v0, 0.5, v0
	s_wait_loadcnt 0x2
	s_delay_alu instid0(VALU_DEP_1) | instskip(NEXT) | instid1(VALU_DEP_1)
	v_dual_mul_f32 v0, v0, v4 :: v_dual_bitop2_b32 v13, 16, v5 bitop3:0x40
	v_mul_f32_e32 v0, 0.5, v0
	v_bfe_i32 v12, v5, 0, 8
	v_and_b32_e32 v15, 8, v5
	v_and_b32_e32 v17, 2, v5
	s_wait_loadcnt 0x1
	v_cvt_f32_ubyte0_e32 v4, v10
	s_wait_loadcnt 0x0
	v_cvt_f32_ubyte3_e32 v9, v11
	v_cvt_f32_ubyte2_e32 v8, v11
	v_cvt_f32_ubyte2_e32 v19, v10
	v_and_b32_e32 v14, 32, v5
	v_cmp_eq_u16_e32 vcc_lo, 0, v13
	v_and_b32_e32 v16, 4, v5
	v_pk_mul_f32 v[8:9], v[0:1], v[8:9] op_sel_hi:[0,1]
	v_and_b32_e32 v18, 1, v5
	v_cvt_f32_ubyte1_e32 v5, v10
	v_cvt_f32_ubyte1_e32 v7, v11
	v_cvt_f32_ubyte0_e32 v6, v11
	v_cvt_f32_ubyte3_e32 v10, v10
	v_mul_f32_e32 v11, v0, v19
	v_pk_mul_f32 v[4:5], v[0:1], v[4:5] op_sel_hi:[0,1]
	s_delay_alu instid0(VALU_DEP_4) | instskip(NEXT) | instid1(VALU_DEP_4)
	v_pk_mul_f32 v[6:7], v[0:1], v[6:7] op_sel_hi:[0,1]
	v_mul_f32_e32 v0, v0, v10
	s_delay_alu instid0(VALU_DEP_3) | instskip(SKIP_3) | instid1(VALU_DEP_2)
	v_cndmask_b32_e64 v4, -v4, v4, vcc_lo
	v_cmp_eq_u16_e32 vcc_lo, 0, v14
	v_cndmask_b32_e64 v5, -v5, v5, vcc_lo
	v_cmp_eq_u16_e32 vcc_lo, 0, v15
	v_lshrrev_b32_e32 v10, 16, v5
	v_cndmask_b32_e64 v9, -v9, v9, vcc_lo
	v_cmp_eq_u16_e32 vcc_lo, 0, v16
	s_delay_alu instid0(VALU_DEP_3) | instskip(SKIP_1) | instid1(VALU_DEP_2)
	v_dual_cndmask_b32 v8, -v8, v8, vcc_lo :: v_dual_bitop2_b32 v10, 1, v10 bitop3:0x40
	v_cmp_eq_u16_e32 vcc_lo, 0, v17
	v_add3_u32 v10, v5, v10, 0x7fff
	s_delay_alu instid0(VALU_DEP_3)
	v_bfe_u32 v14, v8, 16, 1
	v_cndmask_b32_e64 v7, -v7, v7, vcc_lo
	v_cmp_eq_u16_e32 vcc_lo, 0, v18
	v_bfe_u32 v15, v9, 16, 1
	v_lshrrev_b32_e32 v10, 16, v10
	v_add3_u32 v14, v8, v14, 0x7fff
	v_bfe_u32 v13, v7, 16, 1
	v_cndmask_b32_e64 v6, -v6, v6, vcc_lo
	v_cmp_gt_u32_e32 vcc_lo, 64, v1
	v_add3_u32 v15, v9, v15, 0x7fff
	v_lshrrev_b32_e32 v14, 16, v14
	v_add3_u32 v13, v7, v13, 0x7fff
	v_cndmask_b32_e64 v1, -v11, v11, vcc_lo
	v_cmp_gt_i16_e32 vcc_lo, 0, v12
	v_lshrrev_b32_e32 v11, 16, v4
	v_bfe_u32 v12, v6, 16, 1
	v_lshrrev_b32_e32 v13, 16, v13
	v_dual_lshrrev_b32 v17, 16, v1 :: v_dual_cndmask_b32 v0, v0, -v0, vcc_lo
	v_cmp_o_f32_e32 vcc_lo, v6, v6
	s_delay_alu instid0(VALU_DEP_4) | instskip(SKIP_1) | instid1(VALU_DEP_4)
	v_add3_u32 v12, v6, v12, 0x7fff
	v_and_b32_e32 v11, 1, v11
	v_dual_lshrrev_b32 v16, 16, v0 :: v_dual_bitop2_b32 v17, 1, v17 bitop3:0x40
	s_delay_alu instid0(VALU_DEP_3) | instskip(NEXT) | instid1(VALU_DEP_3)
	v_dual_lshrrev_b32 v15, 16, v15 :: v_dual_lshrrev_b32 v12, 16, v12
	v_add3_u32 v11, v4, v11, 0x7fff
	s_delay_alu instid0(VALU_DEP_3) | instskip(NEXT) | instid1(VALU_DEP_4)
	v_add3_u32 v17, v1, v17, 0x7fff
	v_and_b32_e32 v16, 1, v16
	s_delay_alu instid0(VALU_DEP_3) | instskip(SKIP_1) | instid1(VALU_DEP_3)
	v_dual_cndmask_b32 v6, 0x7fc0, v12 :: v_dual_lshrrev_b32 v11, 16, v11
	v_cmp_o_f32_e32 vcc_lo, v7, v7
	v_add3_u32 v16, v0, v16, 0x7fff
	v_lshrrev_b32_e32 v12, 16, v17
	v_cndmask_b32_e32 v7, 0x7fc0, v13, vcc_lo
	v_cmp_o_f32_e32 vcc_lo, v8, v8
	s_delay_alu instid0(VALU_DEP_4)
	v_dual_cndmask_b32 v8, 0x7fc0, v14 :: v_dual_lshrrev_b32 v13, 16, v16
	v_cmp_o_f32_e32 vcc_lo, v9, v9
	v_cndmask_b32_e32 v9, 0x7fc0, v15, vcc_lo
	v_cmp_o_f32_e32 vcc_lo, v4, v4
	v_perm_b32 v4, v7, v6, 0x5040100
	v_cndmask_b32_e32 v11, 0x7fc0, v11, vcc_lo
	v_cmp_o_f32_e32 vcc_lo, v5, v5
	v_perm_b32 v5, v9, v8, 0x5040100
	v_cndmask_b32_e32 v10, 0x7fc0, v10, vcc_lo
	v_cmp_o_f32_e32 vcc_lo, v1, v1
	s_delay_alu instid0(VALU_DEP_2) | instskip(SKIP_3) | instid1(VALU_DEP_1)
	v_perm_b32 v6, v10, v11, 0x5040100
	v_cndmask_b32_e32 v1, 0x7fc0, v12, vcc_lo
	v_cmp_o_f32_e32 vcc_lo, v0, v0
	v_cndmask_b32_e32 v0, 0x7fc0, v13, vcc_lo
	v_perm_b32 v7, v0, v1, 0x5040100
	global_store_b128 v[2:3], v[4:7], off
	s_endpgm
	.section	.rodata,"a",@progbits
	.p2align	6, 0x0
	.amdhsa_kernel _ZL24dequantize_block_iq3_xxsIN3c108BFloat16EEvPKvPT_
		.amdhsa_group_segment_fixed_size 0
		.amdhsa_private_segment_fixed_size 0
		.amdhsa_kernarg_size 16
		.amdhsa_user_sgpr_count 2
		.amdhsa_user_sgpr_dispatch_ptr 0
		.amdhsa_user_sgpr_queue_ptr 0
		.amdhsa_user_sgpr_kernarg_segment_ptr 1
		.amdhsa_user_sgpr_dispatch_id 0
		.amdhsa_user_sgpr_kernarg_preload_length 0
		.amdhsa_user_sgpr_kernarg_preload_offset 0
		.amdhsa_user_sgpr_private_segment_size 0
		.amdhsa_wavefront_size32 1
		.amdhsa_uses_dynamic_stack 0
		.amdhsa_enable_private_segment 0
		.amdhsa_system_sgpr_workgroup_id_x 1
		.amdhsa_system_sgpr_workgroup_id_y 0
		.amdhsa_system_sgpr_workgroup_id_z 0
		.amdhsa_system_sgpr_workgroup_info 0
		.amdhsa_system_vgpr_workitem_id 0
		.amdhsa_next_free_vgpr 20
		.amdhsa_next_free_sgpr 10
		.amdhsa_named_barrier_count 0
		.amdhsa_reserve_vcc 1
		.amdhsa_float_round_mode_32 0
		.amdhsa_float_round_mode_16_64 0
		.amdhsa_float_denorm_mode_32 3
		.amdhsa_float_denorm_mode_16_64 3
		.amdhsa_fp16_overflow 0
		.amdhsa_memory_ordered 1
		.amdhsa_forward_progress 1
		.amdhsa_inst_pref_size 8
		.amdhsa_round_robin_scheduling 0
		.amdhsa_exception_fp_ieee_invalid_op 0
		.amdhsa_exception_fp_denorm_src 0
		.amdhsa_exception_fp_ieee_div_zero 0
		.amdhsa_exception_fp_ieee_overflow 0
		.amdhsa_exception_fp_ieee_underflow 0
		.amdhsa_exception_fp_ieee_inexact 0
		.amdhsa_exception_int_div_zero 0
	.end_amdhsa_kernel
	.section	.text._ZL24dequantize_block_iq3_xxsIN3c108BFloat16EEvPKvPT_,"axG",@progbits,_ZL24dequantize_block_iq3_xxsIN3c108BFloat16EEvPKvPT_,comdat
.Lfunc_end50:
	.size	_ZL24dequantize_block_iq3_xxsIN3c108BFloat16EEvPKvPT_, .Lfunc_end50-_ZL24dequantize_block_iq3_xxsIN3c108BFloat16EEvPKvPT_
                                        ; -- End function
	.set _ZL24dequantize_block_iq3_xxsIN3c108BFloat16EEvPKvPT_.num_vgpr, 20
	.set _ZL24dequantize_block_iq3_xxsIN3c108BFloat16EEvPKvPT_.num_agpr, 0
	.set _ZL24dequantize_block_iq3_xxsIN3c108BFloat16EEvPKvPT_.numbered_sgpr, 10
	.set _ZL24dequantize_block_iq3_xxsIN3c108BFloat16EEvPKvPT_.num_named_barrier, 0
	.set _ZL24dequantize_block_iq3_xxsIN3c108BFloat16EEvPKvPT_.private_seg_size, 0
	.set _ZL24dequantize_block_iq3_xxsIN3c108BFloat16EEvPKvPT_.uses_vcc, 1
	.set _ZL24dequantize_block_iq3_xxsIN3c108BFloat16EEvPKvPT_.uses_flat_scratch, 0
	.set _ZL24dequantize_block_iq3_xxsIN3c108BFloat16EEvPKvPT_.has_dyn_sized_stack, 0
	.set _ZL24dequantize_block_iq3_xxsIN3c108BFloat16EEvPKvPT_.has_recursion, 0
	.set _ZL24dequantize_block_iq3_xxsIN3c108BFloat16EEvPKvPT_.has_indirect_call, 0
	.section	.AMDGPU.csdata,"",@progbits
; Kernel info:
; codeLenInByte = 964
; TotalNumSgprs: 12
; NumVgprs: 20
; ScratchSize: 0
; MemoryBound: 0
; FloatMode: 240
; IeeeMode: 1
; LDSByteSize: 0 bytes/workgroup (compile time only)
; SGPRBlocks: 0
; VGPRBlocks: 1
; NumSGPRsForWavesPerEU: 12
; NumVGPRsForWavesPerEU: 20
; NamedBarCnt: 0
; Occupancy: 16
; WaveLimiterHint : 0
; COMPUTE_PGM_RSRC2:SCRATCH_EN: 0
; COMPUTE_PGM_RSRC2:USER_SGPR: 2
; COMPUTE_PGM_RSRC2:TRAP_HANDLER: 0
; COMPUTE_PGM_RSRC2:TGID_X_EN: 1
; COMPUTE_PGM_RSRC2:TGID_Y_EN: 0
; COMPUTE_PGM_RSRC2:TGID_Z_EN: 0
; COMPUTE_PGM_RSRC2:TIDIG_COMP_CNT: 0
	.section	.text._ZL22dequantize_block_iq1_sIN3c108BFloat16EEvPKvPT_,"axG",@progbits,_ZL22dequantize_block_iq1_sIN3c108BFloat16EEvPKvPT_,comdat
	.globl	_ZL22dequantize_block_iq1_sIN3c108BFloat16EEvPKvPT_ ; -- Begin function _ZL22dequantize_block_iq1_sIN3c108BFloat16EEvPKvPT_
	.p2align	8
	.type	_ZL22dequantize_block_iq1_sIN3c108BFloat16EEvPKvPT_,@function
_ZL22dequantize_block_iq1_sIN3c108BFloat16EEvPKvPT_: ; @_ZL22dequantize_block_iq1_sIN3c108BFloat16EEvPKvPT_
; %bb.0:
	s_load_b128 s[0:3], s[0:1], 0x0
	s_bfe_u32 s6, ttmp6, 0x4000c
	s_and_b32 s4, ttmp6, 15
	s_add_co_i32 s6, s6, 1
	s_getreg_b32 s7, hwreg(HW_REG_IB_STS2, 6, 4)
	s_mul_i32 s6, ttmp9, s6
	v_dual_mov_b32 v3, 0 :: v_dual_bitop2_b32 v8, 7, v0 bitop3:0x40
	s_add_co_i32 s4, s4, s6
	s_cmp_eq_u32 s7, 0
	s_mov_b32 s5, 0
	s_cselect_b32 s4, ttmp9, s4
	v_dual_mov_b32 v5, v3 :: v_dual_lshlrev_b32 v4, 1, v8
	s_mul_u64 s[6:7], s[4:5], 50
	v_lshrrev_b32_e32 v2, 3, v0
	s_wait_kmcnt 0x0
	s_add_nc_u64 s[0:1], s[0:1], s[6:7]
	s_delay_alu instid0(SALU_CYCLE_1)
	v_add_nc_u64_e32 v[6:7], s[0:1], v[4:5]
	global_load_u16 v9, v8, s[0:1] offset:34 scale_offset
	v_add_nc_u64_e32 v[4:5], v[6:7], v[4:5]
	v_and_b32_e32 v7, 0x3f8, v0
	v_mov_b32_e32 v6, 0xbf600000
	v_lshlrev_b32_e32 v0, 6, v8
	s_delay_alu instid0(VALU_DEP_4)
	v_add_nc_u64_e32 v[4:5], v[4:5], v[2:3]
	v_mul_u32_u24_e32 v2, 3, v2
	global_load_u8 v1, v[4:5], off offset:2
	s_wait_loadcnt 0x1
	s_wait_xcnt 0x0
	v_and_b32_e32 v4, 0xffff, v9
	v_cmp_lt_i16_e32 vcc_lo, -1, v9
	s_delay_alu instid0(VALU_DEP_2) | instskip(SKIP_1) | instid1(VALU_DEP_2)
	v_lshrrev_b32_e32 v2, v2, v4
	v_lshrrev_b16 v4, 11, v9
	v_lshlrev_b32_e32 v2, 8, v2
	s_delay_alu instid0(VALU_DEP_2) | instskip(NEXT) | instid1(VALU_DEP_1)
	v_bitop3_b16 v4, v4, 1, 14 bitop3:0xec
	v_cvt_f32_ubyte0_e32 v10, v4
	v_cndmask_b32_e32 v4, 0xbf900000, v6, vcc_lo
	s_wait_loadcnt 0x0
	v_and_or_b32 v1, 0x700, v2, v1
	global_load_u16 v2, v3, s[0:1]
	s_wait_xcnt 0x0
	s_get_pc_i64 s[0:1]
	s_add_nc_u64 s[0:1], s[0:1], _ZL13iq1s_grid_gpu@rel64+4
	v_lshlrev_b32_e32 v1, 3, v1
	global_load_b32 v5, v1, s[0:1]
	s_wait_xcnt 0x0
	v_mov_b32_e32 v1, v3
	s_lshl_b64 s[0:1], s[4:5], 9
	s_delay_alu instid0(SALU_CYCLE_1)
	s_add_nc_u64 s[0:1], s[2:3], s[0:1]
	s_delay_alu instid0(VALU_DEP_1) | instid1(SALU_CYCLE_1)
	v_add_nc_u64_e32 v[0:1], s[0:1], v[0:1]
	s_wait_loadcnt 0x1
	v_cvt_f32_f16_e32 v8, v2
	s_delay_alu instid0(VALU_DEP_1)
	v_dual_lshlrev_b32 v2, 1, v7 :: v_dual_mul_f32 v6, v8, v10
	s_wait_loadcnt 0x0
	v_bfe_u32 v8, v5, 8, 4
	v_dual_lshrrev_b32 v14, 28, v5 :: v_dual_bitop2_b32 v10, 15, v5 bitop3:0x40
	v_and_b32_e32 v7, 0xf0f0f0f, v5
	v_bfe_u32 v12, v5, 16, 4
	v_bfe_u32 v13, v5, 12, 4
	;; [unrolled: 1-line block ×4, first 2 shown]
	v_cvt_f32_ubyte0_e32 v9, v8
	v_cvt_f32_ubyte0_e32 v8, v10
	v_cvt_f32_ubyte3_e32 v11, v7
	v_cvt_f32_ubyte0_e32 v10, v12
	v_cvt_f32_ubyte0_e32 v13, v13
	;; [unrolled: 1-line block ×5, first 2 shown]
	v_pk_add_f32 v[8:9], v[4:5], v[8:9] op_sel_hi:[0,1]
	v_pk_add_f32 v[10:11], v[4:5], v[10:11] op_sel_hi:[0,1]
	;; [unrolled: 1-line block ×3, first 2 shown]
	s_delay_alu instid0(VALU_DEP_4) | instskip(NEXT) | instid1(VALU_DEP_4)
	v_pk_add_f32 v[4:5], v[4:5], v[14:15] op_sel_hi:[0,1]
	v_pk_mul_f32 v[8:9], v[6:7], v[8:9] op_sel_hi:[0,1]
	s_delay_alu instid0(VALU_DEP_4) | instskip(NEXT) | instid1(VALU_DEP_4)
	v_pk_mul_f32 v[10:11], v[6:7], v[10:11] op_sel_hi:[0,1]
	v_pk_mul_f32 v[12:13], v[6:7], v[12:13] op_sel_hi:[0,1]
	s_delay_alu instid0(VALU_DEP_4) | instskip(NEXT) | instid1(VALU_DEP_4)
	v_pk_mul_f32 v[4:5], v[6:7], v[4:5] op_sel_hi:[0,1]
	v_bfe_u32 v6, v8, 16, 1
	s_delay_alu instid0(VALU_DEP_4) | instskip(NEXT) | instid1(VALU_DEP_4)
	v_bfe_u32 v14, v10, 16, 1
	v_bfe_u32 v16, v12, 16, 1
	;; [unrolled: 1-line block ×4, first 2 shown]
	v_add3_u32 v6, v8, v6, 0x7fff
	v_add3_u32 v14, v10, v14, 0x7fff
	;; [unrolled: 1-line block ×3, first 2 shown]
	v_cmp_o_f32_e32 vcc_lo, v8, v8
	v_add3_u32 v15, v11, v15, 0x7fff
	v_lshrrev_b32_e32 v6, 16, v6
	v_add3_u32 v17, v13, v17, 0x7fff
	v_dual_lshrrev_b32 v14, 16, v14 :: v_dual_lshrrev_b32 v16, 16, v16
	v_bfe_u32 v18, v4, 16, 1
	s_delay_alu instid0(VALU_DEP_4)
	v_cndmask_b32_e32 v6, 0x7fc0, v6, vcc_lo
	v_cmp_o_f32_e32 vcc_lo, v10, v10
	v_dual_lshrrev_b32 v15, 16, v15 :: v_dual_lshrrev_b32 v17, 16, v17
	v_bfe_u32 v19, v5, 16, 1
	v_add3_u32 v18, v4, v18, 0x7fff
	v_cndmask_b32_e32 v8, 0x7fc0, v14, vcc_lo
	v_cmp_o_f32_e32 vcc_lo, v11, v11
	v_bfe_u32 v7, v9, 16, 1
	v_add3_u32 v19, v5, v19, 0x7fff
	v_lshrrev_b32_e32 v18, 16, v18
	v_cndmask_b32_e32 v10, 0x7fc0, v15, vcc_lo
	v_cmp_o_f32_e32 vcc_lo, v12, v12
	s_delay_alu instid0(VALU_DEP_4) | instskip(SKIP_3) | instid1(VALU_DEP_3)
	v_lshrrev_b32_e32 v19, 16, v19
	v_add3_u32 v7, v9, v7, 0x7fff
	v_cndmask_b32_e32 v11, 0x7fc0, v16, vcc_lo
	v_cmp_o_f32_e32 vcc_lo, v4, v4
	v_dual_cndmask_b32 v12, 0x7fc0, v18 :: v_dual_lshrrev_b32 v7, 16, v7
	v_cmp_o_f32_e32 vcc_lo, v5, v5
	v_add_nc_u64_e32 v[4:5], v[0:1], v[2:3]
	v_perm_b32 v1, v10, v8, 0x5040100
	v_cndmask_b32_e32 v14, 0x7fc0, v19, vcc_lo
	v_cmp_o_f32_e32 vcc_lo, v13, v13
	s_delay_alu instid0(VALU_DEP_2) | instskip(SKIP_2) | instid1(VALU_DEP_2)
	v_perm_b32 v3, v14, v12, 0x5040100
	v_cndmask_b32_e32 v13, 0x7fc0, v17, vcc_lo
	v_cmp_o_f32_e32 vcc_lo, v9, v9
	v_perm_b32 v2, v13, v11, 0x5040100
	v_cndmask_b32_e32 v7, 0x7fc0, v7, vcc_lo
	s_delay_alu instid0(VALU_DEP_1)
	v_perm_b32 v0, v7, v6, 0x5040100
	global_store_b128 v[4:5], v[0:3], off
	s_endpgm
	.section	.rodata,"a",@progbits
	.p2align	6, 0x0
	.amdhsa_kernel _ZL22dequantize_block_iq1_sIN3c108BFloat16EEvPKvPT_
		.amdhsa_group_segment_fixed_size 0
		.amdhsa_private_segment_fixed_size 0
		.amdhsa_kernarg_size 16
		.amdhsa_user_sgpr_count 2
		.amdhsa_user_sgpr_dispatch_ptr 0
		.amdhsa_user_sgpr_queue_ptr 0
		.amdhsa_user_sgpr_kernarg_segment_ptr 1
		.amdhsa_user_sgpr_dispatch_id 0
		.amdhsa_user_sgpr_kernarg_preload_length 0
		.amdhsa_user_sgpr_kernarg_preload_offset 0
		.amdhsa_user_sgpr_private_segment_size 0
		.amdhsa_wavefront_size32 1
		.amdhsa_uses_dynamic_stack 0
		.amdhsa_enable_private_segment 0
		.amdhsa_system_sgpr_workgroup_id_x 1
		.amdhsa_system_sgpr_workgroup_id_y 0
		.amdhsa_system_sgpr_workgroup_id_z 0
		.amdhsa_system_sgpr_workgroup_info 0
		.amdhsa_system_vgpr_workitem_id 0
		.amdhsa_next_free_vgpr 20
		.amdhsa_next_free_sgpr 8
		.amdhsa_named_barrier_count 0
		.amdhsa_reserve_vcc 1
		.amdhsa_float_round_mode_32 0
		.amdhsa_float_round_mode_16_64 0
		.amdhsa_float_denorm_mode_32 3
		.amdhsa_float_denorm_mode_16_64 3
		.amdhsa_fp16_overflow 0
		.amdhsa_memory_ordered 1
		.amdhsa_forward_progress 1
		.amdhsa_inst_pref_size 7
		.amdhsa_round_robin_scheduling 0
		.amdhsa_exception_fp_ieee_invalid_op 0
		.amdhsa_exception_fp_denorm_src 0
		.amdhsa_exception_fp_ieee_div_zero 0
		.amdhsa_exception_fp_ieee_overflow 0
		.amdhsa_exception_fp_ieee_underflow 0
		.amdhsa_exception_fp_ieee_inexact 0
		.amdhsa_exception_int_div_zero 0
	.end_amdhsa_kernel
	.section	.text._ZL22dequantize_block_iq1_sIN3c108BFloat16EEvPKvPT_,"axG",@progbits,_ZL22dequantize_block_iq1_sIN3c108BFloat16EEvPKvPT_,comdat
.Lfunc_end51:
	.size	_ZL22dequantize_block_iq1_sIN3c108BFloat16EEvPKvPT_, .Lfunc_end51-_ZL22dequantize_block_iq1_sIN3c108BFloat16EEvPKvPT_
                                        ; -- End function
	.set _ZL22dequantize_block_iq1_sIN3c108BFloat16EEvPKvPT_.num_vgpr, 20
	.set _ZL22dequantize_block_iq1_sIN3c108BFloat16EEvPKvPT_.num_agpr, 0
	.set _ZL22dequantize_block_iq1_sIN3c108BFloat16EEvPKvPT_.numbered_sgpr, 8
	.set _ZL22dequantize_block_iq1_sIN3c108BFloat16EEvPKvPT_.num_named_barrier, 0
	.set _ZL22dequantize_block_iq1_sIN3c108BFloat16EEvPKvPT_.private_seg_size, 0
	.set _ZL22dequantize_block_iq1_sIN3c108BFloat16EEvPKvPT_.uses_vcc, 1
	.set _ZL22dequantize_block_iq1_sIN3c108BFloat16EEvPKvPT_.uses_flat_scratch, 0
	.set _ZL22dequantize_block_iq1_sIN3c108BFloat16EEvPKvPT_.has_dyn_sized_stack, 0
	.set _ZL22dequantize_block_iq1_sIN3c108BFloat16EEvPKvPT_.has_recursion, 0
	.set _ZL22dequantize_block_iq1_sIN3c108BFloat16EEvPKvPT_.has_indirect_call, 0
	.section	.AMDGPU.csdata,"",@progbits
; Kernel info:
; codeLenInByte = 888
; TotalNumSgprs: 10
; NumVgprs: 20
; ScratchSize: 0
; MemoryBound: 0
; FloatMode: 240
; IeeeMode: 1
; LDSByteSize: 0 bytes/workgroup (compile time only)
; SGPRBlocks: 0
; VGPRBlocks: 1
; NumSGPRsForWavesPerEU: 10
; NumVGPRsForWavesPerEU: 20
; NamedBarCnt: 0
; Occupancy: 16
; WaveLimiterHint : 0
; COMPUTE_PGM_RSRC2:SCRATCH_EN: 0
; COMPUTE_PGM_RSRC2:USER_SGPR: 2
; COMPUTE_PGM_RSRC2:TRAP_HANDLER: 0
; COMPUTE_PGM_RSRC2:TGID_X_EN: 1
; COMPUTE_PGM_RSRC2:TGID_Y_EN: 0
; COMPUTE_PGM_RSRC2:TGID_Z_EN: 0
; COMPUTE_PGM_RSRC2:TIDIG_COMP_CNT: 0
	.section	.text._ZL23dequantize_block_iq4_nlIN3c108BFloat16EEvPKvPT_,"axG",@progbits,_ZL23dequantize_block_iq4_nlIN3c108BFloat16EEvPKvPT_,comdat
	.globl	_ZL23dequantize_block_iq4_nlIN3c108BFloat16EEvPKvPT_ ; -- Begin function _ZL23dequantize_block_iq4_nlIN3c108BFloat16EEvPKvPT_
	.p2align	8
	.type	_ZL23dequantize_block_iq4_nlIN3c108BFloat16EEvPKvPT_,@function
_ZL23dequantize_block_iq4_nlIN3c108BFloat16EEvPKvPT_: ; @_ZL23dequantize_block_iq4_nlIN3c108BFloat16EEvPKvPT_
; %bb.0:
	s_load_b128 s[0:3], s[0:1], 0x0
	s_bfe_u32 s4, ttmp6, 0x4000c
	s_and_b32 s6, ttmp6, 15
	s_add_co_i32 s4, s4, 1
	s_getreg_b32 s7, hwreg(HW_REG_IB_STS2, 6, 4)
	s_mul_i32 s4, ttmp9, s4
	s_mov_b32 s5, 0
	s_add_co_i32 s6, s6, s4
	s_cmp_eq_u32 s7, 0
	v_dual_mov_b32 v3, 0 :: v_dual_bitop2_b32 v1, 7, v0 bitop3:0x40
	s_cselect_b32 s8, ttmp9, s6
	v_lshrrev_b32_e32 v6, 1, v0
	s_lshl_b32 s4, s8, 3
	s_delay_alu instid0(VALU_DEP_2) | instskip(SKIP_4) | instid1(SALU_CYCLE_1)
	v_lshlrev_b32_e32 v2, 6, v1
	s_mul_u64 s[6:7], s[4:5], 18
	s_lshl_b32 s4, s8, 8
	s_wait_kmcnt 0x0
	s_add_nc_u64 s[0:1], s[0:1], s[6:7]
	v_mad_nc_u64_u32 v[4:5], v1, 18, s[0:1]
	s_lshl_b64 s[0:1], s[4:5], 1
	s_delay_alu instid0(SALU_CYCLE_1) | instskip(NEXT) | instid1(SALU_CYCLE_1)
	s_add_nc_u64 s[0:1], s[2:3], s[0:1]
	v_add_nc_u64_e32 v[0:1], s[0:1], v[2:3]
	v_and_b32_e32 v2, 0x1fc, v6
	s_get_pc_i64 s[0:1]
	s_add_nc_u64 s[0:1], s[0:1], _ZL13kvalues_iq4nl@rel64+4
	s_delay_alu instid0(VALU_DEP_1)
	v_add_nc_u64_e32 v[6:7], v[4:5], v[2:3]
	s_clause 0x1
	global_load_b32 v8, v[6:7], off offset:2
	global_load_u16 v9, v[4:5], off
	s_wait_loadcnt 0x1
	s_wait_xcnt 0x1
	v_bfe_u32 v6, v8, 8, 4
	s_wait_xcnt 0x0
	v_and_b32_e32 v4, 15, v8
	v_bfe_u32 v11, v8, 24, 4
	v_bfe_u32 v10, v8, 16, 4
	;; [unrolled: 1-line block ×5, first 2 shown]
	v_lshrrev_b32_e32 v8, 28, v8
	s_clause 0x7
	global_load_i8 v13, v6, s[0:1]
	global_load_i8 v14, v4, s[0:1]
	;; [unrolled: 1-line block ×8, first 2 shown]
	s_wait_loadcnt 0x8
	s_wait_xcnt 0x6
	v_cvt_f32_f16_e32 v4, v9
	s_wait_loadcnt 0x7
	s_wait_xcnt 0x3
	v_cvt_f32_i32_e32 v7, v13
	s_wait_loadcnt 0x6
	v_cvt_f32_i32_e32 v6, v14
	s_wait_loadcnt 0x5
	;; [unrolled: 2-line block ×3, first 2 shown]
	s_wait_xcnt 0x2
	v_cvt_f32_i32_e32 v8, v16
	s_wait_loadcnt 0x3
	v_cvt_f32_i32_e32 v11, v17
	s_wait_loadcnt 0x2
	;; [unrolled: 2-line block ×3, first 2 shown]
	s_wait_xcnt 0x1
	v_cvt_f32_i32_e32 v12, v19
	s_wait_loadcnt 0x0
	v_cvt_f32_i32_e32 v10, v20
	v_pk_mul_f32 v[8:9], v[4:5], v[8:9] op_sel_hi:[0,1]
	v_pk_mul_f32 v[6:7], v[4:5], v[6:7] op_sel_hi:[0,1]
	;; [unrolled: 1-line block ×3, first 2 shown]
	s_delay_alu instid0(VALU_DEP_4) | instskip(NEXT) | instid1(VALU_DEP_4)
	v_pk_mul_f32 v[4:5], v[4:5], v[10:11] op_sel_hi:[0,1]
	v_bfe_u32 v10, v8, 16, 1
	v_bfe_u32 v11, v9, 16, 1
	v_bfe_u32 v15, v7, 16, 1
	v_bfe_u32 v14, v6, 16, 1
	v_bfe_u32 v19, v5, 16, 1
	v_add3_u32 v10, v8, v10, 0x7fff
	v_add3_u32 v11, v9, v11, 0x7fff
	;; [unrolled: 1-line block ×3, first 2 shown]
	v_cmp_o_f32_e32 vcc_lo, v8, v8
	v_add3_u32 v19, v5, v19, 0x7fff
	v_lshrrev_b32_e32 v10, 16, v10
	v_dual_lshlrev_b32 v2, 1, v2 :: v_dual_lshrrev_b32 v11, 16, v11
	v_bfe_u32 v16, v12, 16, 1
	v_add3_u32 v14, v6, v14, 0x7fff
	v_lshrrev_b32_e32 v15, 16, v15
	v_dual_cndmask_b32 v8, 0x7fc0, v10 :: v_dual_lshrrev_b32 v19, 16, v19
	v_cmp_o_f32_e32 vcc_lo, v9, v9
	v_add3_u32 v16, v12, v16, 0x7fff
	v_lshrrev_b32_e32 v14, 16, v14
	v_bfe_u32 v17, v13, 16, 1
	v_bfe_u32 v18, v4, 16, 1
	v_cndmask_b32_e32 v9, 0x7fc0, v11, vcc_lo
	v_cmp_o_f32_e32 vcc_lo, v6, v6
	v_lshrrev_b32_e32 v16, 16, v16
	v_add3_u32 v17, v13, v17, 0x7fff
	v_add3_u32 v18, v4, v18, 0x7fff
	v_add_nc_u64_e32 v[0:1], v[0:1], v[2:3]
	v_cndmask_b32_e32 v6, 0x7fc0, v14, vcc_lo
	v_cmp_o_f32_e32 vcc_lo, v7, v7
	s_delay_alu instid0(VALU_DEP_4) | instskip(SKIP_3) | instid1(VALU_DEP_2)
	v_dual_lshrrev_b32 v17, 16, v17 :: v_dual_lshrrev_b32 v18, 16, v18
	v_perm_b32 v3, v9, v8, 0x5040100
	v_cndmask_b32_e32 v7, 0x7fc0, v15, vcc_lo
	v_cmp_o_f32_e32 vcc_lo, v12, v12
	v_perm_b32 v2, v7, v6, 0x5040100
	v_cndmask_b32_e32 v10, 0x7fc0, v16, vcc_lo
	v_cmp_o_f32_e32 vcc_lo, v13, v13
	v_cndmask_b32_e32 v11, 0x7fc0, v17, vcc_lo
	v_cmp_o_f32_e32 vcc_lo, v4, v4
	v_cndmask_b32_e32 v4, 0x7fc0, v18, vcc_lo
	v_cmp_o_f32_e32 vcc_lo, v5, v5
	s_delay_alu instid0(VALU_DEP_4) | instskip(SKIP_1) | instid1(VALU_DEP_1)
	v_perm_b32 v5, v11, v10, 0x5040100
	v_cndmask_b32_e32 v12, 0x7fc0, v19, vcc_lo
	v_perm_b32 v4, v12, v4, 0x5040100
	s_clause 0x1
	global_store_b64 v[0:1], v[2:3], off
	global_store_b64 v[0:1], v[4:5], off offset:32
	s_endpgm
	.section	.rodata,"a",@progbits
	.p2align	6, 0x0
	.amdhsa_kernel _ZL23dequantize_block_iq4_nlIN3c108BFloat16EEvPKvPT_
		.amdhsa_group_segment_fixed_size 0
		.amdhsa_private_segment_fixed_size 0
		.amdhsa_kernarg_size 16
		.amdhsa_user_sgpr_count 2
		.amdhsa_user_sgpr_dispatch_ptr 0
		.amdhsa_user_sgpr_queue_ptr 0
		.amdhsa_user_sgpr_kernarg_segment_ptr 1
		.amdhsa_user_sgpr_dispatch_id 0
		.amdhsa_user_sgpr_kernarg_preload_length 0
		.amdhsa_user_sgpr_kernarg_preload_offset 0
		.amdhsa_user_sgpr_private_segment_size 0
		.amdhsa_wavefront_size32 1
		.amdhsa_uses_dynamic_stack 0
		.amdhsa_enable_private_segment 0
		.amdhsa_system_sgpr_workgroup_id_x 1
		.amdhsa_system_sgpr_workgroup_id_y 0
		.amdhsa_system_sgpr_workgroup_id_z 0
		.amdhsa_system_sgpr_workgroup_info 0
		.amdhsa_system_vgpr_workitem_id 0
		.amdhsa_next_free_vgpr 21
		.amdhsa_next_free_sgpr 9
		.amdhsa_named_barrier_count 0
		.amdhsa_reserve_vcc 1
		.amdhsa_float_round_mode_32 0
		.amdhsa_float_round_mode_16_64 0
		.amdhsa_float_denorm_mode_32 3
		.amdhsa_float_denorm_mode_16_64 3
		.amdhsa_fp16_overflow 0
		.amdhsa_memory_ordered 1
		.amdhsa_forward_progress 1
		.amdhsa_inst_pref_size 7
		.amdhsa_round_robin_scheduling 0
		.amdhsa_exception_fp_ieee_invalid_op 0
		.amdhsa_exception_fp_denorm_src 0
		.amdhsa_exception_fp_ieee_div_zero 0
		.amdhsa_exception_fp_ieee_overflow 0
		.amdhsa_exception_fp_ieee_underflow 0
		.amdhsa_exception_fp_ieee_inexact 0
		.amdhsa_exception_int_div_zero 0
	.end_amdhsa_kernel
	.section	.text._ZL23dequantize_block_iq4_nlIN3c108BFloat16EEvPKvPT_,"axG",@progbits,_ZL23dequantize_block_iq4_nlIN3c108BFloat16EEvPKvPT_,comdat
.Lfunc_end52:
	.size	_ZL23dequantize_block_iq4_nlIN3c108BFloat16EEvPKvPT_, .Lfunc_end52-_ZL23dequantize_block_iq4_nlIN3c108BFloat16EEvPKvPT_
                                        ; -- End function
	.set _ZL23dequantize_block_iq4_nlIN3c108BFloat16EEvPKvPT_.num_vgpr, 21
	.set _ZL23dequantize_block_iq4_nlIN3c108BFloat16EEvPKvPT_.num_agpr, 0
	.set _ZL23dequantize_block_iq4_nlIN3c108BFloat16EEvPKvPT_.numbered_sgpr, 9
	.set _ZL23dequantize_block_iq4_nlIN3c108BFloat16EEvPKvPT_.num_named_barrier, 0
	.set _ZL23dequantize_block_iq4_nlIN3c108BFloat16EEvPKvPT_.private_seg_size, 0
	.set _ZL23dequantize_block_iq4_nlIN3c108BFloat16EEvPKvPT_.uses_vcc, 1
	.set _ZL23dequantize_block_iq4_nlIN3c108BFloat16EEvPKvPT_.uses_flat_scratch, 0
	.set _ZL23dequantize_block_iq4_nlIN3c108BFloat16EEvPKvPT_.has_dyn_sized_stack, 0
	.set _ZL23dequantize_block_iq4_nlIN3c108BFloat16EEvPKvPT_.has_recursion, 0
	.set _ZL23dequantize_block_iq4_nlIN3c108BFloat16EEvPKvPT_.has_indirect_call, 0
	.section	.AMDGPU.csdata,"",@progbits
; Kernel info:
; codeLenInByte = 860
; TotalNumSgprs: 11
; NumVgprs: 21
; ScratchSize: 0
; MemoryBound: 0
; FloatMode: 240
; IeeeMode: 1
; LDSByteSize: 0 bytes/workgroup (compile time only)
; SGPRBlocks: 0
; VGPRBlocks: 1
; NumSGPRsForWavesPerEU: 11
; NumVGPRsForWavesPerEU: 21
; NamedBarCnt: 0
; Occupancy: 16
; WaveLimiterHint : 0
; COMPUTE_PGM_RSRC2:SCRATCH_EN: 0
; COMPUTE_PGM_RSRC2:USER_SGPR: 2
; COMPUTE_PGM_RSRC2:TRAP_HANDLER: 0
; COMPUTE_PGM_RSRC2:TGID_X_EN: 1
; COMPUTE_PGM_RSRC2:TGID_Y_EN: 0
; COMPUTE_PGM_RSRC2:TGID_Z_EN: 0
; COMPUTE_PGM_RSRC2:TIDIG_COMP_CNT: 0
	.section	.text._ZL22dequantize_block_iq3_sIN3c108BFloat16EEvPKvPT_,"axG",@progbits,_ZL22dequantize_block_iq3_sIN3c108BFloat16EEvPKvPT_,comdat
	.globl	_ZL22dequantize_block_iq3_sIN3c108BFloat16EEvPKvPT_ ; -- Begin function _ZL22dequantize_block_iq3_sIN3c108BFloat16EEvPKvPT_
	.p2align	8
	.type	_ZL22dequantize_block_iq3_sIN3c108BFloat16EEvPKvPT_,@function
_ZL22dequantize_block_iq3_sIN3c108BFloat16EEvPKvPT_: ; @_ZL22dequantize_block_iq3_sIN3c108BFloat16EEvPKvPT_
; %bb.0:
	s_load_b128 s[0:3], s[0:1], 0x0
	s_bfe_u32 s4, ttmp6, 0x4000c
	s_and_b32 s5, ttmp6, 15
	s_add_co_i32 s4, s4, 1
	s_getreg_b32 s6, hwreg(HW_REG_IB_STS2, 6, 4)
	s_mul_i32 s4, ttmp9, s4
	v_dual_mov_b32 v5, 0 :: v_dual_bitop2_b32 v1, 7, v0 bitop3:0x40
	s_add_co_i32 s4, s5, s4
	s_cmp_eq_u32 s6, 0
	s_mov_b32 s5, 0
	s_cselect_b32 s6, ttmp9, s4
	v_dual_lshlrev_b32 v4, 6, v1 :: v_dual_lshrrev_b32 v8, 3, v0
	s_lshl_b32 s4, s6, 8
	v_and_b32_e32 v6, 0x3f8, v0
	s_lshl_b64 s[8:9], s[4:5], 1
	s_mov_b32 s7, s5
	v_bfe_u32 v9, v0, 1, 2
	v_lshlrev_b32_e32 v0, 2, v0
	s_wait_kmcnt 0x0
	s_add_nc_u64 s[2:3], s[2:3], s[8:9]
	s_delay_alu instid0(SALU_CYCLE_1) | instskip(SKIP_4) | instid1(VALU_DEP_2)
	v_add_nc_u64_e32 v[2:3], s[2:3], v[4:5]
	v_lshlrev_b32_e32 v4, 1, v6
	s_mul_u64 s[2:3], s[6:7], 0x6e
	v_and_b32_e32 v0, 4, v0
	s_add_nc_u64 s[0:1], s[0:1], s[2:3]
	v_add_nc_u64_e32 v[2:3], v[2:3], v[4:5]
	v_lshlrev_b32_e32 v4, 3, v1
	s_delay_alu instid0(VALU_DEP_1) | instskip(SKIP_2) | instid1(VALU_DEP_2)
	v_add_nc_u64_e32 v[6:7], s[0:1], v[4:5]
	v_lshlrev_b32_e32 v4, 1, v8
	v_lshl_add_u32 v8, v1, 2, v8
	v_add_nc_u64_e32 v[6:7], v[6:7], v[4:5]
	s_clause 0x3
	global_load_u16 v10, v[6:7], off offset:2
	global_load_u8 v11, v9, s[0:1] offset:106
	global_load_u8 v12, v8, s[0:1] offset:74
	;; [unrolled: 1-line block ×3, first 2 shown]
	s_wait_xcnt 0x0
	v_dual_sub_nc_u32 v1, 7, v4 :: v_dual_sub_nc_u32 v4, 8, v4
	global_load_u16 v5, v5, s[0:1]
	s_wait_xcnt 0x0
	s_get_pc_i64 s[0:1]
	s_add_nc_u64 s[0:1], s[0:1], _ZL10iq3xs_grid@rel64+4
	s_wait_loadcnt 0x4
	v_lshrrev_b16 v6, 8, v10
	v_and_b32_e32 v7, 0xff, v10
	s_wait_loadcnt 0x3
	v_bfe_u32 v0, v11, v0, 4
	s_wait_loadcnt 0x1
	v_dual_lshlrev_b32 v1, v1, v13 :: v_dual_lshlrev_b32 v4, v4, v13
	v_and_b32_e32 v6, 0xffff, v6
	v_bfe_i32 v11, v12, 0, 8
	v_cvt_f32_ubyte0_e32 v0, v0
	s_delay_alu instid0(VALU_DEP_4) | instskip(NEXT) | instid1(VALU_DEP_4)
	v_and_or_b32 v4, 0x100, v4, v7
	v_and_or_b32 v1, 0x100, v1, v6
	s_clause 0x1
	global_load_b32 v10, v1, s[0:1] scale_offset
	global_load_b32 v6, v4, s[0:1] scale_offset
	s_wait_loadcnt 0x2
	s_wait_xcnt 0x1
	v_cvt_f32_f16_e32 v1, v5
	v_add_f32_e32 v0, 0.5, v0
	s_delay_alu instid0(VALU_DEP_1) | instskip(NEXT) | instid1(VALU_DEP_1)
	v_dual_mul_f32 v0, v0, v1 :: v_dual_bitop2_b32 v1, 8, v12 bitop3:0x40
	v_mul_f32_e32 v0, 0.5, v0
	s_wait_loadcnt 0x1
	v_cvt_f32_ubyte1_e32 v5, v10
	s_wait_xcnt 0x0
	v_cvt_f32_ubyte0_e32 v4, v10
	v_cvt_f32_ubyte2_e32 v18, v10
	v_and_b32_e32 v13, 16, v12
	s_wait_loadcnt 0x0
	v_cvt_f32_ubyte1_e32 v7, v6
	v_cvt_f32_ubyte3_e32 v9, v6
	v_cvt_f32_ubyte2_e32 v8, v6
	v_cvt_f32_ubyte0_e32 v6, v6
	v_cvt_f32_ubyte3_e32 v10, v10
	v_and_b32_e32 v14, 32, v12
	v_pk_mul_f32 v[4:5], v[0:1], v[4:5] op_sel_hi:[0,1]
	v_mul_f32_e32 v18, v0, v18
	v_cmp_eq_u16_e32 vcc_lo, 0, v13
	v_pk_mul_f32 v[8:9], v[0:1], v[8:9] op_sel_hi:[0,1]
	v_pk_mul_f32 v[6:7], v[0:1], v[6:7] op_sel_hi:[0,1]
	v_dual_mul_f32 v0, v0, v10 :: v_dual_bitop2_b32 v16, 4, v12 bitop3:0x40
	v_cndmask_b32_e64 v4, -v4, v4, vcc_lo
	v_cmp_eq_u16_e32 vcc_lo, 0, v14
	v_dual_cndmask_b32 v5, -v5, v5, vcc_lo :: v_dual_bitop2_b32 v17, 2, v12 bitop3:0x40
	v_cmp_eq_u16_e32 vcc_lo, 0, v1
	v_and_b32_e32 v15, 64, v12
	s_delay_alu instid0(VALU_DEP_3) | instskip(SKIP_2) | instid1(VALU_DEP_3)
	v_dual_lshrrev_b32 v10, 16, v5 :: v_dual_bitop2_b32 v12, 1, v12 bitop3:0x40
	v_cndmask_b32_e64 v1, -v9, v9, vcc_lo
	v_cmp_eq_u16_e32 vcc_lo, 0, v16
	v_dual_cndmask_b32 v8, -v8, v8, vcc_lo :: v_dual_bitop2_b32 v10, 1, v10 bitop3:0x40
	v_cmp_eq_u16_e32 vcc_lo, 0, v17
	s_delay_alu instid0(VALU_DEP_2) | instskip(SKIP_2) | instid1(VALU_DEP_2)
	v_add3_u32 v10, v5, v10, 0x7fff
	v_cndmask_b32_e64 v7, -v7, v7, vcc_lo
	v_cmp_eq_u16_e32 vcc_lo, 0, v12
	v_bfe_u32 v13, v7, 16, 1
	v_cndmask_b32_e64 v6, -v6, v6, vcc_lo
	v_cmp_eq_u16_e32 vcc_lo, 0, v15
	v_bfe_u32 v15, v1, 16, 1
	s_delay_alu instid0(VALU_DEP_4) | instskip(NEXT) | instid1(VALU_DEP_4)
	v_add3_u32 v13, v7, v13, 0x7fff
	v_bfe_u32 v12, v6, 16, 1
	v_cndmask_b32_e64 v9, -v18, v18, vcc_lo
	v_cmp_gt_i16_e32 vcc_lo, 0, v11
	s_delay_alu instid0(VALU_DEP_4) | instskip(NEXT) | instid1(VALU_DEP_4)
	v_dual_lshrrev_b32 v11, 16, v4 :: v_dual_lshrrev_b32 v13, 16, v13
	v_add3_u32 v12, v6, v12, 0x7fff
	s_delay_alu instid0(VALU_DEP_4) | instskip(NEXT) | instid1(VALU_DEP_3)
	v_dual_lshrrev_b32 v17, 16, v9 :: v_dual_cndmask_b32 v0, v0, -v0, vcc_lo
	v_and_b32_e32 v11, 1, v11
	v_bfe_u32 v14, v8, 16, 1
	v_cmp_o_f32_e32 vcc_lo, v6, v6
	v_add3_u32 v15, v1, v15, 0x7fff
	v_and_b32_e32 v17, 1, v17
	v_add3_u32 v11, v4, v11, 0x7fff
	v_add3_u32 v14, v8, v14, 0x7fff
	v_lshrrev_b32_e32 v12, 16, v12
	v_dual_lshrrev_b32 v16, 16, v0 :: v_dual_lshrrev_b32 v15, 16, v15
	s_delay_alu instid0(VALU_DEP_3) | instskip(NEXT) | instid1(VALU_DEP_3)
	v_dual_lshrrev_b32 v11, 16, v11 :: v_dual_lshrrev_b32 v14, 16, v14
	v_cndmask_b32_e32 v12, 0x7fc0, v12, vcc_lo
	v_cmp_o_f32_e32 vcc_lo, v8, v8
	s_delay_alu instid0(VALU_DEP_4)
	v_and_b32_e32 v16, 1, v16
	v_add3_u32 v17, v9, v17, 0x7fff
	v_cndmask_b32_e32 v6, 0x7fc0, v14, vcc_lo
	v_cmp_o_f32_e32 vcc_lo, v1, v1
	v_lshrrev_b32_e32 v10, 16, v10
	v_add3_u32 v16, v0, v16, 0x7fff
	v_dual_cndmask_b32 v1, 0x7fc0, v15 :: v_dual_lshrrev_b32 v8, 16, v17
	v_cmp_o_f32_e32 vcc_lo, v4, v4
	s_delay_alu instid0(VALU_DEP_3)
	v_lshrrev_b32_e32 v14, 16, v16
	v_cndmask_b32_e32 v4, 0x7fc0, v11, vcc_lo
	v_cmp_o_f32_e32 vcc_lo, v5, v5
	v_perm_b32 v5, v1, v6, 0x5040100
	v_cndmask_b32_e32 v10, 0x7fc0, v10, vcc_lo
	v_cmp_o_f32_e32 vcc_lo, v9, v9
	s_delay_alu instid0(VALU_DEP_2) | instskip(SKIP_4) | instid1(VALU_DEP_2)
	v_perm_b32 v6, v10, v4, 0x5040100
	v_cndmask_b32_e32 v8, 0x7fc0, v8, vcc_lo
	v_cmp_o_f32_e32 vcc_lo, v0, v0
	v_cndmask_b32_e32 v0, 0x7fc0, v14, vcc_lo
	v_cmp_o_f32_e32 vcc_lo, v7, v7
	v_perm_b32 v7, v0, v8, 0x5040100
	v_cndmask_b32_e32 v9, 0x7fc0, v13, vcc_lo
	s_delay_alu instid0(VALU_DEP_1)
	v_perm_b32 v4, v9, v12, 0x5040100
	global_store_b128 v[2:3], v[4:7], off
	s_endpgm
	.section	.rodata,"a",@progbits
	.p2align	6, 0x0
	.amdhsa_kernel _ZL22dequantize_block_iq3_sIN3c108BFloat16EEvPKvPT_
		.amdhsa_group_segment_fixed_size 0
		.amdhsa_private_segment_fixed_size 0
		.amdhsa_kernarg_size 16
		.amdhsa_user_sgpr_count 2
		.amdhsa_user_sgpr_dispatch_ptr 0
		.amdhsa_user_sgpr_queue_ptr 0
		.amdhsa_user_sgpr_kernarg_segment_ptr 1
		.amdhsa_user_sgpr_dispatch_id 0
		.amdhsa_user_sgpr_kernarg_preload_length 0
		.amdhsa_user_sgpr_kernarg_preload_offset 0
		.amdhsa_user_sgpr_private_segment_size 0
		.amdhsa_wavefront_size32 1
		.amdhsa_uses_dynamic_stack 0
		.amdhsa_enable_private_segment 0
		.amdhsa_system_sgpr_workgroup_id_x 1
		.amdhsa_system_sgpr_workgroup_id_y 0
		.amdhsa_system_sgpr_workgroup_id_z 0
		.amdhsa_system_sgpr_workgroup_info 0
		.amdhsa_system_vgpr_workitem_id 0
		.amdhsa_next_free_vgpr 19
		.amdhsa_next_free_sgpr 10
		.amdhsa_named_barrier_count 0
		.amdhsa_reserve_vcc 1
		.amdhsa_float_round_mode_32 0
		.amdhsa_float_round_mode_16_64 0
		.amdhsa_float_denorm_mode_32 3
		.amdhsa_float_denorm_mode_16_64 3
		.amdhsa_fp16_overflow 0
		.amdhsa_memory_ordered 1
		.amdhsa_forward_progress 1
		.amdhsa_inst_pref_size 9
		.amdhsa_round_robin_scheduling 0
		.amdhsa_exception_fp_ieee_invalid_op 0
		.amdhsa_exception_fp_denorm_src 0
		.amdhsa_exception_fp_ieee_div_zero 0
		.amdhsa_exception_fp_ieee_overflow 0
		.amdhsa_exception_fp_ieee_underflow 0
		.amdhsa_exception_fp_ieee_inexact 0
		.amdhsa_exception_int_div_zero 0
	.end_amdhsa_kernel
	.section	.text._ZL22dequantize_block_iq3_sIN3c108BFloat16EEvPKvPT_,"axG",@progbits,_ZL22dequantize_block_iq3_sIN3c108BFloat16EEvPKvPT_,comdat
.Lfunc_end53:
	.size	_ZL22dequantize_block_iq3_sIN3c108BFloat16EEvPKvPT_, .Lfunc_end53-_ZL22dequantize_block_iq3_sIN3c108BFloat16EEvPKvPT_
                                        ; -- End function
	.set _ZL22dequantize_block_iq3_sIN3c108BFloat16EEvPKvPT_.num_vgpr, 19
	.set _ZL22dequantize_block_iq3_sIN3c108BFloat16EEvPKvPT_.num_agpr, 0
	.set _ZL22dequantize_block_iq3_sIN3c108BFloat16EEvPKvPT_.numbered_sgpr, 10
	.set _ZL22dequantize_block_iq3_sIN3c108BFloat16EEvPKvPT_.num_named_barrier, 0
	.set _ZL22dequantize_block_iq3_sIN3c108BFloat16EEvPKvPT_.private_seg_size, 0
	.set _ZL22dequantize_block_iq3_sIN3c108BFloat16EEvPKvPT_.uses_vcc, 1
	.set _ZL22dequantize_block_iq3_sIN3c108BFloat16EEvPKvPT_.uses_flat_scratch, 0
	.set _ZL22dequantize_block_iq3_sIN3c108BFloat16EEvPKvPT_.has_dyn_sized_stack, 0
	.set _ZL22dequantize_block_iq3_sIN3c108BFloat16EEvPKvPT_.has_recursion, 0
	.set _ZL22dequantize_block_iq3_sIN3c108BFloat16EEvPKvPT_.has_indirect_call, 0
	.section	.AMDGPU.csdata,"",@progbits
; Kernel info:
; codeLenInByte = 1040
; TotalNumSgprs: 12
; NumVgprs: 19
; ScratchSize: 0
; MemoryBound: 0
; FloatMode: 240
; IeeeMode: 1
; LDSByteSize: 0 bytes/workgroup (compile time only)
; SGPRBlocks: 0
; VGPRBlocks: 1
; NumSGPRsForWavesPerEU: 12
; NumVGPRsForWavesPerEU: 19
; NamedBarCnt: 0
; Occupancy: 16
; WaveLimiterHint : 0
; COMPUTE_PGM_RSRC2:SCRATCH_EN: 0
; COMPUTE_PGM_RSRC2:USER_SGPR: 2
; COMPUTE_PGM_RSRC2:TRAP_HANDLER: 0
; COMPUTE_PGM_RSRC2:TGID_X_EN: 1
; COMPUTE_PGM_RSRC2:TGID_Y_EN: 0
; COMPUTE_PGM_RSRC2:TGID_Z_EN: 0
; COMPUTE_PGM_RSRC2:TIDIG_COMP_CNT: 0
	.section	.text._ZL22dequantize_block_iq2_sIN3c108BFloat16EEvPKvPT_,"axG",@progbits,_ZL22dequantize_block_iq2_sIN3c108BFloat16EEvPKvPT_,comdat
	.globl	_ZL22dequantize_block_iq2_sIN3c108BFloat16EEvPKvPT_ ; -- Begin function _ZL22dequantize_block_iq2_sIN3c108BFloat16EEvPKvPT_
	.p2align	8
	.type	_ZL22dequantize_block_iq2_sIN3c108BFloat16EEvPKvPT_,@function
_ZL22dequantize_block_iq2_sIN3c108BFloat16EEvPKvPT_: ; @_ZL22dequantize_block_iq2_sIN3c108BFloat16EEvPKvPT_
; %bb.0:
	s_load_b128 s[0:3], s[0:1], 0x0
	s_bfe_u32 s6, ttmp6, 0x4000c
	s_and_b32 s4, ttmp6, 15
	s_add_co_i32 s6, s6, 1
	s_getreg_b32 s8, hwreg(HW_REG_IB_STS2, 6, 4)
	s_mul_i32 s6, ttmp9, s6
	v_dual_lshrrev_b32 v1, 3, v0 :: v_dual_bitop2_b32 v2, 7, v0 bitop3:0x40
	s_add_co_i32 s4, s4, s6
	s_mov_b32 s5, 0
	s_cmp_eq_u32 s8, 0
	s_mov_b32 s7, s5
	s_cselect_b32 s6, ttmp9, s4
	v_lshl_add_u32 v3, v2, 2, v1
	s_mul_u64 s[8:9], s[6:7], 0x52
	v_lshlrev_b32_e32 v1, 1, v1
	s_lshl_b32 s4, s6, 8
	s_wait_kmcnt 0x0
	s_add_nc_u64 s[0:1], s[0:1], s[8:9]
	s_clause 0x3
	global_load_u8 v4, v2, s[0:1] offset:66
	global_load_u8 v5, v3, s[0:1] offset:2
	;; [unrolled: 1-line block ×4, first 2 shown]
	s_wait_xcnt 0x1
	v_dual_mov_b32 v3, 0 :: v_dual_sub_nc_u32 v1, 8, v1
	s_wait_xcnt 0x0
	v_lshlrev_b32_e32 v2, 6, v2
	global_load_u16 v8, v3, s[0:1]
	s_wait_xcnt 0x0
	s_get_pc_i64 s[0:1]
	s_add_nc_u64 s[0:1], s[0:1], _ZL9iq2s_grid@rel64+4
	s_wait_loadcnt 0x4
	v_lshlrev_b32_e32 v1, v1, v4
	s_wait_loadcnt 0x2
	v_bfe_i32 v14, v6, 0, 8
	v_and_b32_e32 v16, 4, v6
	v_and_b32_e32 v18, 1, v6
	v_and_or_b32 v1, 0x300, v1, v5
	v_and_b32_e32 v19, 16, v6
	v_and_b32_e32 v20, 32, v6
	;; [unrolled: 1-line block ×3, first 2 shown]
	global_load_b64 v[4:5], v1, s[0:1] scale_offset
	s_wait_xcnt 0x0
	v_lshrrev_b32_e32 v1, 2, v0
	s_lshl_b64 s[0:1], s[4:5], 1
	s_delay_alu instid0(SALU_CYCLE_1) | instskip(NEXT) | instid1(VALU_DEP_1)
	s_add_nc_u64 s[0:1], s[2:3], s[0:1]
	v_and_b32_e32 v1, 0xfc, v1
	s_wait_loadcnt 0x2
	s_delay_alu instid0(VALU_DEP_1) | instskip(SKIP_1) | instid1(VALU_DEP_2)
	v_bfe_u32 v1, v7, v1, 4
	v_and_b32_e32 v7, 0x3f8, v0
	v_cvt_f32_ubyte0_e32 v9, v1
	v_add_nc_u64_e32 v[0:1], s[0:1], v[2:3]
	s_delay_alu instid0(VALU_DEP_3) | instskip(SKIP_3) | instid1(VALU_DEP_1)
	v_lshlrev_b32_e32 v2, 1, v7
	s_wait_loadcnt 0x1
	v_cvt_f32_f16_e32 v7, v8
	v_dual_add_f32 v8, 0.5, v9 :: v_dual_bitop2_b32 v15, 8, v6 bitop3:0x40
	v_mul_f32_e32 v7, v8, v7
	s_delay_alu instid0(VALU_DEP_2) | instskip(SKIP_1) | instid1(VALU_DEP_3)
	v_cmp_eq_u16_e32 vcc_lo, 0, v15
	v_and_b32_e32 v17, 2, v6
	v_mul_f32_e32 v6, 0x3e800000, v7
	s_wait_loadcnt 0x0
	v_cvt_f32_ubyte3_e32 v11, v4
	v_cvt_f32_ubyte2_e32 v10, v4
	v_cvt_f32_ubyte2_e32 v7, v5
	v_cvt_f32_ubyte1_e32 v9, v4
	v_cvt_f32_ubyte0_e32 v8, v4
	v_cvt_f32_ubyte1_e32 v13, v5
	v_cvt_f32_ubyte0_e32 v12, v5
	v_cvt_f32_ubyte3_e32 v22, v5
	v_pk_mul_f32 v[4:5], v[6:7], v[10:11] op_sel_hi:[0,1]
	v_pk_mul_f32 v[8:9], v[6:7], v[8:9] op_sel_hi:[0,1]
	s_delay_alu instid0(VALU_DEP_4) | instskip(NEXT) | instid1(VALU_DEP_3)
	v_pk_mul_f32 v[10:11], v[6:7], v[12:13] op_sel_hi:[0,1]
	v_dual_mul_f32 v7, v6, v7 :: v_dual_cndmask_b32 v5, -v5, v5, vcc_lo
	v_cmp_eq_u16_e32 vcc_lo, 0, v16
	s_delay_alu instid0(VALU_DEP_2) | instskip(SKIP_2) | instid1(VALU_DEP_3)
	v_bfe_u32 v15, v5, 16, 1
	v_cndmask_b32_e64 v4, -v4, v4, vcc_lo
	v_cmp_eq_u16_e32 vcc_lo, 0, v17
	v_add3_u32 v15, v5, v15, 0x7fff
	v_cndmask_b32_e64 v9, -v9, v9, vcc_lo
	v_cmp_eq_u16_e32 vcc_lo, 0, v18
	s_delay_alu instid0(VALU_DEP_2) | instskip(SKIP_2) | instid1(VALU_DEP_3)
	v_bfe_u32 v13, v9, 16, 1
	v_cndmask_b32_e64 v8, -v8, v8, vcc_lo
	v_cmp_eq_u16_e32 vcc_lo, 0, v19
	v_add3_u32 v13, v9, v13, 0x7fff
	s_delay_alu instid0(VALU_DEP_3) | instskip(SKIP_2) | instid1(VALU_DEP_4)
	v_bfe_u32 v12, v8, 16, 1
	v_cndmask_b32_e64 v10, -v10, v10, vcc_lo
	v_cmp_eq_u16_e32 vcc_lo, 0, v20
	v_lshrrev_b32_e32 v13, 16, v13
	s_delay_alu instid0(VALU_DEP_4) | instskip(SKIP_2) | instid1(VALU_DEP_2)
	v_add3_u32 v12, v8, v12, 0x7fff
	v_cndmask_b32_e64 v11, -v11, v11, vcc_lo
	v_cmp_eq_u16_e32 vcc_lo, 0, v21
	v_dual_lshrrev_b32 v12, 16, v12 :: v_dual_lshrrev_b32 v16, 16, v11
	v_cndmask_b32_e64 v7, -v7, v7, vcc_lo
	v_cmp_gt_i16_e32 vcc_lo, 0, v14
	v_bfe_u32 v14, v4, 16, 1
	v_lshrrev_b32_e32 v17, 16, v10
	s_delay_alu instid0(VALU_DEP_4) | instskip(SKIP_1) | instid1(VALU_DEP_4)
	v_dual_mul_f32 v6, v6, v22 :: v_dual_lshrrev_b32 v19, 16, v7
	v_and_b32_e32 v16, 1, v16
	v_add3_u32 v14, v4, v14, 0x7fff
	s_delay_alu instid0(VALU_DEP_3) | instskip(SKIP_1) | instid1(VALU_DEP_3)
	v_dual_cndmask_b32 v6, v6, -v6, vcc_lo :: v_dual_bitop2_b32 v17, 1, v17 bitop3:0x40
	v_cmp_o_f32_e32 vcc_lo, v8, v8
	v_dual_lshrrev_b32 v14, 16, v14 :: v_dual_bitop2_b32 v19, 1, v19 bitop3:0x40
	s_delay_alu instid0(VALU_DEP_3)
	v_dual_lshrrev_b32 v15, 16, v15 :: v_dual_lshrrev_b32 v18, 16, v6
	v_cndmask_b32_e32 v8, 0x7fc0, v12, vcc_lo
	v_cmp_o_f32_e32 vcc_lo, v4, v4
	v_add3_u32 v16, v11, v16, 0x7fff
	v_add3_u32 v17, v10, v17, 0x7fff
	v_and_b32_e32 v18, 1, v18
	v_add3_u32 v19, v7, v19, 0x7fff
	v_cndmask_b32_e32 v12, 0x7fc0, v14, vcc_lo
	v_cmp_o_f32_e32 vcc_lo, v5, v5
	v_lshrrev_b32_e32 v4, 16, v17
	v_add3_u32 v18, v6, v18, 0x7fff
	v_dual_cndmask_b32 v14, 0x7fc0, v15 :: v_dual_lshrrev_b32 v5, 16, v16
	v_cmp_o_f32_e32 vcc_lo, v10, v10
	s_delay_alu instid0(VALU_DEP_4) | instskip(SKIP_1) | instid1(VALU_DEP_4)
	v_dual_cndmask_b32 v10, 0x7fc0, v4 :: v_dual_lshrrev_b32 v15, 16, v19
	v_cmp_o_f32_e32 vcc_lo, v11, v11
	v_dual_cndmask_b32 v11, 0x7fc0, v5 :: v_dual_lshrrev_b32 v16, 16, v18
	v_cmp_o_f32_e32 vcc_lo, v7, v7
	v_add_nc_u64_e32 v[4:5], v[0:1], v[2:3]
	v_perm_b32 v1, v14, v12, 0x5040100
	s_delay_alu instid0(VALU_DEP_4) | instskip(SKIP_4) | instid1(VALU_DEP_2)
	v_perm_b32 v2, v11, v10, 0x5040100
	v_cndmask_b32_e32 v7, 0x7fc0, v15, vcc_lo
	v_cmp_o_f32_e32 vcc_lo, v6, v6
	v_cndmask_b32_e32 v6, 0x7fc0, v16, vcc_lo
	v_cmp_o_f32_e32 vcc_lo, v9, v9
	v_perm_b32 v3, v6, v7, 0x5040100
	v_cndmask_b32_e32 v9, 0x7fc0, v13, vcc_lo
	s_delay_alu instid0(VALU_DEP_1)
	v_perm_b32 v0, v9, v8, 0x5040100
	global_store_b128 v[4:5], v[0:3], off
	s_endpgm
	.section	.rodata,"a",@progbits
	.p2align	6, 0x0
	.amdhsa_kernel _ZL22dequantize_block_iq2_sIN3c108BFloat16EEvPKvPT_
		.amdhsa_group_segment_fixed_size 0
		.amdhsa_private_segment_fixed_size 0
		.amdhsa_kernarg_size 16
		.amdhsa_user_sgpr_count 2
		.amdhsa_user_sgpr_dispatch_ptr 0
		.amdhsa_user_sgpr_queue_ptr 0
		.amdhsa_user_sgpr_kernarg_segment_ptr 1
		.amdhsa_user_sgpr_dispatch_id 0
		.amdhsa_user_sgpr_kernarg_preload_length 0
		.amdhsa_user_sgpr_kernarg_preload_offset 0
		.amdhsa_user_sgpr_private_segment_size 0
		.amdhsa_wavefront_size32 1
		.amdhsa_uses_dynamic_stack 0
		.amdhsa_enable_private_segment 0
		.amdhsa_system_sgpr_workgroup_id_x 1
		.amdhsa_system_sgpr_workgroup_id_y 0
		.amdhsa_system_sgpr_workgroup_id_z 0
		.amdhsa_system_sgpr_workgroup_info 0
		.amdhsa_system_vgpr_workitem_id 0
		.amdhsa_next_free_vgpr 23
		.amdhsa_next_free_sgpr 10
		.amdhsa_named_barrier_count 0
		.amdhsa_reserve_vcc 1
		.amdhsa_float_round_mode_32 0
		.amdhsa_float_round_mode_16_64 0
		.amdhsa_float_denorm_mode_32 3
		.amdhsa_float_denorm_mode_16_64 3
		.amdhsa_fp16_overflow 0
		.amdhsa_memory_ordered 1
		.amdhsa_forward_progress 1
		.amdhsa_inst_pref_size 8
		.amdhsa_round_robin_scheduling 0
		.amdhsa_exception_fp_ieee_invalid_op 0
		.amdhsa_exception_fp_denorm_src 0
		.amdhsa_exception_fp_ieee_div_zero 0
		.amdhsa_exception_fp_ieee_overflow 0
		.amdhsa_exception_fp_ieee_underflow 0
		.amdhsa_exception_fp_ieee_inexact 0
		.amdhsa_exception_int_div_zero 0
	.end_amdhsa_kernel
	.section	.text._ZL22dequantize_block_iq2_sIN3c108BFloat16EEvPKvPT_,"axG",@progbits,_ZL22dequantize_block_iq2_sIN3c108BFloat16EEvPKvPT_,comdat
.Lfunc_end54:
	.size	_ZL22dequantize_block_iq2_sIN3c108BFloat16EEvPKvPT_, .Lfunc_end54-_ZL22dequantize_block_iq2_sIN3c108BFloat16EEvPKvPT_
                                        ; -- End function
	.set _ZL22dequantize_block_iq2_sIN3c108BFloat16EEvPKvPT_.num_vgpr, 23
	.set _ZL22dequantize_block_iq2_sIN3c108BFloat16EEvPKvPT_.num_agpr, 0
	.set _ZL22dequantize_block_iq2_sIN3c108BFloat16EEvPKvPT_.numbered_sgpr, 10
	.set _ZL22dequantize_block_iq2_sIN3c108BFloat16EEvPKvPT_.num_named_barrier, 0
	.set _ZL22dequantize_block_iq2_sIN3c108BFloat16EEvPKvPT_.private_seg_size, 0
	.set _ZL22dequantize_block_iq2_sIN3c108BFloat16EEvPKvPT_.uses_vcc, 1
	.set _ZL22dequantize_block_iq2_sIN3c108BFloat16EEvPKvPT_.uses_flat_scratch, 0
	.set _ZL22dequantize_block_iq2_sIN3c108BFloat16EEvPKvPT_.has_dyn_sized_stack, 0
	.set _ZL22dequantize_block_iq2_sIN3c108BFloat16EEvPKvPT_.has_recursion, 0
	.set _ZL22dequantize_block_iq2_sIN3c108BFloat16EEvPKvPT_.has_indirect_call, 0
	.section	.AMDGPU.csdata,"",@progbits
; Kernel info:
; codeLenInByte = 952
; TotalNumSgprs: 12
; NumVgprs: 23
; ScratchSize: 0
; MemoryBound: 0
; FloatMode: 240
; IeeeMode: 1
; LDSByteSize: 0 bytes/workgroup (compile time only)
; SGPRBlocks: 0
; VGPRBlocks: 1
; NumSGPRsForWavesPerEU: 12
; NumVGPRsForWavesPerEU: 23
; NamedBarCnt: 0
; Occupancy: 16
; WaveLimiterHint : 0
; COMPUTE_PGM_RSRC2:SCRATCH_EN: 0
; COMPUTE_PGM_RSRC2:USER_SGPR: 2
; COMPUTE_PGM_RSRC2:TRAP_HANDLER: 0
; COMPUTE_PGM_RSRC2:TGID_X_EN: 1
; COMPUTE_PGM_RSRC2:TGID_Y_EN: 0
; COMPUTE_PGM_RSRC2:TGID_Z_EN: 0
; COMPUTE_PGM_RSRC2:TIDIG_COMP_CNT: 0
	.section	.text._ZL23dequantize_block_iq4_xsIN3c108BFloat16EEvPKvPT_,"axG",@progbits,_ZL23dequantize_block_iq4_xsIN3c108BFloat16EEvPKvPT_,comdat
	.globl	_ZL23dequantize_block_iq4_xsIN3c108BFloat16EEvPKvPT_ ; -- Begin function _ZL23dequantize_block_iq4_xsIN3c108BFloat16EEvPKvPT_
	.p2align	8
	.type	_ZL23dequantize_block_iq4_xsIN3c108BFloat16EEvPKvPT_,@function
_ZL23dequantize_block_iq4_xsIN3c108BFloat16EEvPKvPT_: ; @_ZL23dequantize_block_iq4_xsIN3c108BFloat16EEvPKvPT_
; %bb.0:
	s_load_b128 s[0:3], s[0:1], 0x0
	s_bfe_u32 s6, ttmp6, 0x4000c
	s_and_b32 s4, ttmp6, 15
	s_add_co_i32 s6, s6, 1
	s_getreg_b32 s8, hwreg(HW_REG_IB_STS2, 6, 4)
	s_mul_i32 s6, ttmp9, s6
	v_dual_mov_b32 v5, 0 :: v_dual_bitop2_b32 v1, 7, v0 bitop3:0x40
	s_add_co_i32 s4, s4, s6
	s_mov_b32 s5, 0
	s_cmp_eq_u32 s8, 0
	s_mov_b32 s7, s5
	s_cselect_b32 s6, ttmp9, s4
	v_dual_mov_b32 v3, v5 :: v_dual_lshrrev_b32 v8, 1, v0
	v_dual_lshlrev_b32 v4, 6, v1 :: v_dual_lshlrev_b32 v2, 4, v1
	s_lshl_b32 s4, s6, 8
	s_mul_u64 s[6:7], s[6:7], 0x88
	s_lshl_b64 s[4:5], s[4:5], 1
	s_wait_kmcnt 0x0
	s_add_nc_u64 s[0:1], s[0:1], s[6:7]
	s_add_nc_u64 s[2:3], s[2:3], s[4:5]
	v_add_nc_u64_e32 v[6:7], s[0:1], v[2:3]
	v_add_nc_u64_e32 v[2:3], s[2:3], v[4:5]
	v_and_b32_e32 v4, 0x1fc, v8
	v_lshlrev_b32_e32 v1, 1, v1
	s_delay_alu instid0(VALU_DEP_2)
	v_add_nc_u64_e32 v[6:7], v[6:7], v[4:5]
	s_clause 0x1
	global_load_b32 v8, v[6:7], off offset:8
	global_load_b32 v9, v5, s[0:1]
	s_wait_xcnt 0x1
	v_bfe_u32 v6, v0, 1, 2
	v_lshlrev_b32_e32 v0, 2, v0
	v_lshlrev_b32_e32 v4, 1, v4
	global_load_u8 v6, v6, s[0:1] offset:4
	s_wait_xcnt 0x0
	s_get_pc_i64 s[0:1]
	s_add_nc_u64 s[0:1], s[0:1], _ZL13kvalues_iq4nl@rel64+4
	v_and_b32_e32 v0, 4, v0
	s_wait_loadcnt 0x2
	v_bfe_u32 v11, v8, 8, 4
	v_and_b32_e32 v7, 15, v8
	v_bfe_u32 v14, v8, 24, 4
	v_bfe_u32 v13, v8, 16, 4
	;; [unrolled: 1-line block ×5, first 2 shown]
	v_lshrrev_b32_e32 v8, 28, v8
	s_clause 0x7
	global_load_i8 v16, v11, s[0:1]
	global_load_i8 v17, v7, s[0:1]
	;; [unrolled: 1-line block ×8, first 2 shown]
	s_wait_loadcnt 0x9
	s_wait_xcnt 0x6
	v_lshrrev_b32_e32 v7, 16, v9
	s_wait_loadcnt 0x8
	v_bfe_u32 v0, v6, v0, 4
	s_delay_alu instid0(VALU_DEP_2) | instskip(NEXT) | instid1(VALU_DEP_1)
	v_lshrrev_b32_e32 v1, v1, v7
	v_lshlrev_b32_e32 v1, 4, v1
	s_delay_alu instid0(VALU_DEP_1) | instskip(SKIP_1) | instid1(VALU_DEP_2)
	v_and_or_b32 v0, v1, 48, v0
	v_cvt_f32_f16_e32 v1, v9
	v_subrev_nc_u32_e32 v0, 32, v0
	s_delay_alu instid0(VALU_DEP_1) | instskip(NEXT) | instid1(VALU_DEP_1)
	v_cvt_f32_i32_e32 v0, v0
	v_mul_f32_e32 v0, v1, v0
	s_wait_loadcnt 0x7
	v_cvt_f32_i32_e32 v7, v16
	s_wait_loadcnt 0x6
	v_cvt_f32_i32_e32 v6, v17
	;; [unrolled: 2-line block ×3, first 2 shown]
	s_wait_loadcnt 0x4
	s_wait_xcnt 0x2
	v_cvt_f32_i32_e32 v8, v19
	s_wait_loadcnt 0x3
	v_cvt_f32_i32_e32 v11, v20
	s_wait_loadcnt 0x2
	;; [unrolled: 2-line block ×4, first 2 shown]
	v_cvt_f32_i32_e32 v10, v23
	v_pk_mul_f32 v[8:9], v[0:1], v[8:9] op_sel_hi:[0,1]
	v_pk_mul_f32 v[6:7], v[0:1], v[6:7] op_sel_hi:[0,1]
	;; [unrolled: 1-line block ×3, first 2 shown]
	s_delay_alu instid0(VALU_DEP_4) | instskip(NEXT) | instid1(VALU_DEP_4)
	v_pk_mul_f32 v[0:1], v[0:1], v[10:11] op_sel_hi:[0,1]
	v_bfe_u32 v10, v8, 16, 1
	v_bfe_u32 v11, v9, 16, 1
	;; [unrolled: 1-line block ×3, first 2 shown]
	v_cmp_o_f32_e32 vcc_lo, v8, v8
	v_bfe_u32 v15, v7, 16, 1
	v_add3_u32 v10, v8, v10, 0x7fff
	v_add3_u32 v11, v9, v11, 0x7fff
	;; [unrolled: 1-line block ×3, first 2 shown]
	v_bfe_u32 v16, v12, 16, 1
	v_add3_u32 v15, v7, v15, 0x7fff
	s_delay_alu instid0(VALU_DEP_4) | instskip(NEXT) | instid1(VALU_DEP_4)
	v_dual_lshrrev_b32 v10, 16, v10 :: v_dual_lshrrev_b32 v11, 16, v11
	v_lshrrev_b32_e32 v14, 16, v14
	v_bfe_u32 v17, v13, 16, 1
	v_add3_u32 v16, v12, v16, 0x7fff
	s_delay_alu instid0(VALU_DEP_4)
	v_cndmask_b32_e32 v8, 0x7fc0, v10, vcc_lo
	v_cmp_o_f32_e32 vcc_lo, v9, v9
	v_lshrrev_b32_e32 v15, 16, v15
	v_bfe_u32 v18, v0, 16, 1
	v_add3_u32 v17, v13, v17, 0x7fff
	v_dual_cndmask_b32 v9, 0x7fc0, v11 :: v_dual_lshrrev_b32 v16, 16, v16
	v_cmp_o_f32_e32 vcc_lo, v6, v6
	v_bfe_u32 v19, v1, 16, 1
	v_add3_u32 v18, v0, v18, 0x7fff
	v_dual_cndmask_b32 v6, 0x7fc0, v14 :: v_dual_lshrrev_b32 v17, 16, v17
	v_cmp_o_f32_e32 vcc_lo, v7, v7
	s_delay_alu instid0(VALU_DEP_4) | instskip(NEXT) | instid1(VALU_DEP_4)
	v_add3_u32 v19, v1, v19, 0x7fff
	v_dual_cndmask_b32 v7, 0x7fc0, v15 :: v_dual_lshrrev_b32 v18, 16, v18
	v_cmp_o_f32_e32 vcc_lo, v12, v12
	s_delay_alu instid0(VALU_DEP_3)
	v_dual_cndmask_b32 v10, 0x7fc0, v16 :: v_dual_lshrrev_b32 v19, 16, v19
	v_cmp_o_f32_e32 vcc_lo, v13, v13
	v_cndmask_b32_e32 v11, 0x7fc0, v17, vcc_lo
	v_cmp_o_f32_e32 vcc_lo, v0, v0
	v_cndmask_b32_e32 v12, 0x7fc0, v18, vcc_lo
	v_cmp_o_f32_e32 vcc_lo, v1, v1
	v_add_nc_u64_e32 v[0:1], v[2:3], v[4:5]
	v_perm_b32 v3, v9, v8, 0x5040100
	v_perm_b32 v2, v7, v6, 0x5040100
	;; [unrolled: 1-line block ×3, first 2 shown]
	v_cndmask_b32_e32 v13, 0x7fc0, v19, vcc_lo
	s_delay_alu instid0(VALU_DEP_1)
	v_perm_b32 v4, v13, v12, 0x5040100
	s_clause 0x1
	global_store_b64 v[0:1], v[2:3], off
	global_store_b64 v[0:1], v[4:5], off offset:32
	s_endpgm
	.section	.rodata,"a",@progbits
	.p2align	6, 0x0
	.amdhsa_kernel _ZL23dequantize_block_iq4_xsIN3c108BFloat16EEvPKvPT_
		.amdhsa_group_segment_fixed_size 0
		.amdhsa_private_segment_fixed_size 0
		.amdhsa_kernarg_size 16
		.amdhsa_user_sgpr_count 2
		.amdhsa_user_sgpr_dispatch_ptr 0
		.amdhsa_user_sgpr_queue_ptr 0
		.amdhsa_user_sgpr_kernarg_segment_ptr 1
		.amdhsa_user_sgpr_dispatch_id 0
		.amdhsa_user_sgpr_kernarg_preload_length 0
		.amdhsa_user_sgpr_kernarg_preload_offset 0
		.amdhsa_user_sgpr_private_segment_size 0
		.amdhsa_wavefront_size32 1
		.amdhsa_uses_dynamic_stack 0
		.amdhsa_enable_private_segment 0
		.amdhsa_system_sgpr_workgroup_id_x 1
		.amdhsa_system_sgpr_workgroup_id_y 0
		.amdhsa_system_sgpr_workgroup_id_z 0
		.amdhsa_system_sgpr_workgroup_info 0
		.amdhsa_system_vgpr_workitem_id 0
		.amdhsa_next_free_vgpr 24
		.amdhsa_next_free_sgpr 9
		.amdhsa_named_barrier_count 0
		.amdhsa_reserve_vcc 1
		.amdhsa_float_round_mode_32 0
		.amdhsa_float_round_mode_16_64 0
		.amdhsa_float_denorm_mode_32 3
		.amdhsa_float_denorm_mode_16_64 3
		.amdhsa_fp16_overflow 0
		.amdhsa_memory_ordered 1
		.amdhsa_forward_progress 1
		.amdhsa_inst_pref_size 8
		.amdhsa_round_robin_scheduling 0
		.amdhsa_exception_fp_ieee_invalid_op 0
		.amdhsa_exception_fp_denorm_src 0
		.amdhsa_exception_fp_ieee_div_zero 0
		.amdhsa_exception_fp_ieee_overflow 0
		.amdhsa_exception_fp_ieee_underflow 0
		.amdhsa_exception_fp_ieee_inexact 0
		.amdhsa_exception_int_div_zero 0
	.end_amdhsa_kernel
	.section	.text._ZL23dequantize_block_iq4_xsIN3c108BFloat16EEvPKvPT_,"axG",@progbits,_ZL23dequantize_block_iq4_xsIN3c108BFloat16EEvPKvPT_,comdat
.Lfunc_end55:
	.size	_ZL23dequantize_block_iq4_xsIN3c108BFloat16EEvPKvPT_, .Lfunc_end55-_ZL23dequantize_block_iq4_xsIN3c108BFloat16EEvPKvPT_
                                        ; -- End function
	.set _ZL23dequantize_block_iq4_xsIN3c108BFloat16EEvPKvPT_.num_vgpr, 24
	.set _ZL23dequantize_block_iq4_xsIN3c108BFloat16EEvPKvPT_.num_agpr, 0
	.set _ZL23dequantize_block_iq4_xsIN3c108BFloat16EEvPKvPT_.numbered_sgpr, 9
	.set _ZL23dequantize_block_iq4_xsIN3c108BFloat16EEvPKvPT_.num_named_barrier, 0
	.set _ZL23dequantize_block_iq4_xsIN3c108BFloat16EEvPKvPT_.private_seg_size, 0
	.set _ZL23dequantize_block_iq4_xsIN3c108BFloat16EEvPKvPT_.uses_vcc, 1
	.set _ZL23dequantize_block_iq4_xsIN3c108BFloat16EEvPKvPT_.uses_flat_scratch, 0
	.set _ZL23dequantize_block_iq4_xsIN3c108BFloat16EEvPKvPT_.has_dyn_sized_stack, 0
	.set _ZL23dequantize_block_iq4_xsIN3c108BFloat16EEvPKvPT_.has_recursion, 0
	.set _ZL23dequantize_block_iq4_xsIN3c108BFloat16EEvPKvPT_.has_indirect_call, 0
	.section	.AMDGPU.csdata,"",@progbits
; Kernel info:
; codeLenInByte = 952
; TotalNumSgprs: 11
; NumVgprs: 24
; ScratchSize: 0
; MemoryBound: 0
; FloatMode: 240
; IeeeMode: 1
; LDSByteSize: 0 bytes/workgroup (compile time only)
; SGPRBlocks: 0
; VGPRBlocks: 1
; NumSGPRsForWavesPerEU: 11
; NumVGPRsForWavesPerEU: 24
; NamedBarCnt: 0
; Occupancy: 16
; WaveLimiterHint : 0
; COMPUTE_PGM_RSRC2:SCRATCH_EN: 0
; COMPUTE_PGM_RSRC2:USER_SGPR: 2
; COMPUTE_PGM_RSRC2:TRAP_HANDLER: 0
; COMPUTE_PGM_RSRC2:TGID_X_EN: 1
; COMPUTE_PGM_RSRC2:TGID_Y_EN: 0
; COMPUTE_PGM_RSRC2:TGID_Z_EN: 0
; COMPUTE_PGM_RSRC2:TIDIG_COMP_CNT: 0
	.section	.text._ZL22dequantize_block_iq1_mIN3c108BFloat16EEvPKvPT_,"axG",@progbits,_ZL22dequantize_block_iq1_mIN3c108BFloat16EEvPKvPT_,comdat
	.globl	_ZL22dequantize_block_iq1_mIN3c108BFloat16EEvPKvPT_ ; -- Begin function _ZL22dequantize_block_iq1_mIN3c108BFloat16EEvPKvPT_
	.p2align	8
	.type	_ZL22dequantize_block_iq1_mIN3c108BFloat16EEvPKvPT_,@function
_ZL22dequantize_block_iq1_mIN3c108BFloat16EEvPKvPT_: ; @_ZL22dequantize_block_iq1_mIN3c108BFloat16EEvPKvPT_
; %bb.0:
	s_load_b128 s[0:3], s[0:1], 0x0
	s_bfe_u32 s6, ttmp6, 0x4000c
	s_and_b32 s4, ttmp6, 15
	s_add_co_i32 s6, s6, 1
	s_getreg_b32 s7, hwreg(HW_REG_IB_STS2, 6, 4)
	s_mul_i32 s6, ttmp9, s6
	v_dual_mov_b32 v3, 0 :: v_dual_bitop2_b32 v8, 7, v0 bitop3:0x40
	s_add_co_i32 s4, s4, s6
	s_cmp_eq_u32 s7, 0
	s_mov_b32 s5, 0
	s_cselect_b32 s4, ttmp9, s4
	v_dual_mov_b32 v5, v3 :: v_dual_lshlrev_b32 v4, 2, v8
	s_mul_u64 s[6:7], s[4:5], 56
	v_dual_lshrrev_b32 v2, 3, v0 :: v_dual_lshrrev_b32 v1, 4, v0
	v_dual_mov_b32 v7, v3 :: v_dual_lshlrev_b32 v6, 1, v8
	s_wait_kmcnt 0x0
	s_add_nc_u64 s[0:1], s[0:1], s[6:7]
	s_delay_alu instid0(SALU_CYCLE_1) | instskip(NEXT) | instid1(VALU_DEP_1)
	v_add_nc_u64_e32 v[4:5], s[0:1], v[4:5]
	v_add_nc_u64_e32 v[4:5], v[4:5], v[2:3]
	v_add_nc_u32_e32 v2, v6, v1
	v_add_nc_u16 v1, v6, v1
	s_delay_alu instid0(VALU_DEP_1) | instskip(NEXT) | instid1(VALU_DEP_1)
	v_lshrrev_b16 v1, 1, v1
	v_and_b32_e32 v6, 62, v1
	s_clause 0x2
	global_load_u8 v9, v[4:5], off
	global_load_u8 v10, v2, s[0:1] offset:32
	global_load_b64 v[4:5], v3, s[0:1] offset:48
	s_wait_xcnt 0x1
	v_dual_lshrrev_b32 v1, 1, v0 :: v_dual_bitop2_b32 v2, 3, v2 bitop3:0x40
	v_add_nc_u64_e32 v[6:7], s[0:1], v[6:7]
	s_delay_alu instid0(VALU_DEP_2)
	v_mul_u32_u24_e32 v2, 3, v2
	global_load_u16 v6, v[6:7], off offset:48
	v_and_b32_e32 v1, 4, v1
	s_wait_xcnt 0x1
	s_get_pc_i64 s[0:1]
	s_add_nc_u64 s[0:1], s[0:1], _ZL13iq1s_grid_gpu@rel64+4
	s_wait_loadcnt 0x1
	v_pk_lshrrev_b16 v5, 4, v5
	s_delay_alu instid0(VALU_DEP_1)
	v_and_b32_e32 v5, 0xf0000f00, v5
	s_wait_loadcnt 0x0
	v_lshrrev_b32_e32 v2, v2, v6
	v_lshrrev_b32_e32 v7, v1, v10
	v_and_b32_e32 v10, 0x3f8, v0
	v_mov_b32_e32 v6, 0xbf600000
	s_delay_alu instid0(VALU_DEP_4) | instskip(NEXT) | instid1(VALU_DEP_4)
	v_dual_lshlrev_b32 v0, 6, v8 :: v_dual_lshlrev_b32 v2, 1, v2
	v_lshlrev_b32_e32 v1, 8, v7
	s_delay_alu instid0(VALU_DEP_2) | instskip(NEXT) | instid1(VALU_DEP_2)
	v_and_or_b32 v2, v2, 14, 1
	v_and_or_b32 v1, 0x700, v1, v9
	s_delay_alu instid0(VALU_DEP_1) | instskip(SKIP_4) | instid1(SALU_CYCLE_1)
	v_lshlrev_b32_e32 v1, 3, v1
	global_load_b32 v9, v1, s[0:1]
	s_wait_xcnt 0x0
	v_pk_lshrrev_b16 v1, 0x8000c, v4
	s_lshl_b64 s[0:1], s[4:5], 9
	s_add_nc_u64 s[0:1], s[2:3], s[0:1]
	s_delay_alu instid0(VALU_DEP_1) | instskip(NEXT) | instid1(VALU_DEP_1)
	v_lshrrev_b32_e32 v4, 16, v1
	v_and_b32_e32 v4, 0xf0, v4
	s_delay_alu instid0(VALU_DEP_1) | instskip(NEXT) | instid1(VALU_DEP_1)
	v_or_b32_e32 v1, v4, v1
	v_dual_lshrrev_b32 v4, 16, v5 :: v_dual_bitop2_b32 v5, v1, v5 bitop3:0x54
	s_delay_alu instid0(VALU_DEP_1) | instskip(SKIP_3) | instid1(VALU_DEP_4)
	v_dual_mov_b32 v1, v3 :: v_dual_bitop2_b32 v4, v5, v4 bitop3:0x54
	v_and_b32_e32 v5, 8, v7
	v_cvt_f32_ubyte0_e32 v7, v2
	v_lshlrev_b32_e32 v2, 1, v10
	v_add_nc_u64_e32 v[0:1], s[0:1], v[0:1]
	v_cvt_f32_f16_e32 v8, v4
	v_cmp_eq_u32_e32 vcc_lo, 0, v5
	v_cndmask_b32_e32 v4, 0xbf900000, v6, vcc_lo
	s_delay_alu instid0(VALU_DEP_3)
	v_mul_f32_e32 v6, v8, v7
	s_wait_loadcnt 0x0
	v_bfe_u32 v7, v9, 8, 4
	v_dual_lshrrev_b32 v14, 28, v9 :: v_dual_bitop2_b32 v8, 15, v9 bitop3:0x40
	v_and_b32_e32 v5, 0xf0f0f0f, v9
	v_bfe_u32 v10, v9, 16, 4
	v_bfe_u32 v12, v9, 12, 4
	;; [unrolled: 1-line block ×4, first 2 shown]
	v_cvt_f32_ubyte0_e32 v9, v7
	v_cvt_f32_ubyte0_e32 v8, v8
	v_cvt_f32_ubyte3_e32 v11, v5
	v_cvt_f32_ubyte0_e32 v10, v10
	v_cvt_f32_ubyte0_e32 v13, v12
	;; [unrolled: 1-line block ×5, first 2 shown]
	v_pk_add_f32 v[8:9], v[4:5], v[8:9] op_sel_hi:[0,1]
	v_pk_add_f32 v[10:11], v[4:5], v[10:11] op_sel_hi:[0,1]
	;; [unrolled: 1-line block ×3, first 2 shown]
	s_delay_alu instid0(VALU_DEP_4) | instskip(NEXT) | instid1(VALU_DEP_4)
	v_pk_add_f32 v[4:5], v[4:5], v[14:15] op_sel_hi:[0,1]
	v_pk_mul_f32 v[8:9], v[6:7], v[8:9] op_sel_hi:[0,1]
	s_delay_alu instid0(VALU_DEP_4) | instskip(NEXT) | instid1(VALU_DEP_4)
	v_pk_mul_f32 v[10:11], v[6:7], v[10:11] op_sel_hi:[0,1]
	v_pk_mul_f32 v[12:13], v[6:7], v[12:13] op_sel_hi:[0,1]
	s_delay_alu instid0(VALU_DEP_4) | instskip(NEXT) | instid1(VALU_DEP_4)
	v_pk_mul_f32 v[4:5], v[6:7], v[4:5] op_sel_hi:[0,1]
	v_bfe_u32 v6, v8, 16, 1
	s_delay_alu instid0(VALU_DEP_4) | instskip(NEXT) | instid1(VALU_DEP_4)
	v_bfe_u32 v14, v10, 16, 1
	v_bfe_u32 v16, v12, 16, 1
	;; [unrolled: 1-line block ×4, first 2 shown]
	v_add3_u32 v6, v8, v6, 0x7fff
	v_add3_u32 v14, v10, v14, 0x7fff
	;; [unrolled: 1-line block ×3, first 2 shown]
	v_cmp_o_f32_e32 vcc_lo, v8, v8
	v_add3_u32 v15, v11, v15, 0x7fff
	v_lshrrev_b32_e32 v6, 16, v6
	v_add3_u32 v17, v13, v17, 0x7fff
	v_dual_lshrrev_b32 v14, 16, v14 :: v_dual_lshrrev_b32 v16, 16, v16
	v_bfe_u32 v18, v4, 16, 1
	s_delay_alu instid0(VALU_DEP_4)
	v_cndmask_b32_e32 v6, 0x7fc0, v6, vcc_lo
	v_cmp_o_f32_e32 vcc_lo, v10, v10
	v_dual_lshrrev_b32 v15, 16, v15 :: v_dual_lshrrev_b32 v17, 16, v17
	v_bfe_u32 v19, v5, 16, 1
	v_add3_u32 v18, v4, v18, 0x7fff
	v_cndmask_b32_e32 v8, 0x7fc0, v14, vcc_lo
	v_cmp_o_f32_e32 vcc_lo, v11, v11
	v_bfe_u32 v7, v9, 16, 1
	v_add3_u32 v19, v5, v19, 0x7fff
	v_lshrrev_b32_e32 v18, 16, v18
	v_cndmask_b32_e32 v10, 0x7fc0, v15, vcc_lo
	v_cmp_o_f32_e32 vcc_lo, v12, v12
	s_delay_alu instid0(VALU_DEP_4) | instskip(SKIP_3) | instid1(VALU_DEP_3)
	v_lshrrev_b32_e32 v19, 16, v19
	v_add3_u32 v7, v9, v7, 0x7fff
	v_cndmask_b32_e32 v11, 0x7fc0, v16, vcc_lo
	v_cmp_o_f32_e32 vcc_lo, v4, v4
	v_dual_cndmask_b32 v12, 0x7fc0, v18 :: v_dual_lshrrev_b32 v7, 16, v7
	v_cmp_o_f32_e32 vcc_lo, v5, v5
	v_add_nc_u64_e32 v[4:5], v[0:1], v[2:3]
	v_perm_b32 v1, v10, v8, 0x5040100
	v_cndmask_b32_e32 v14, 0x7fc0, v19, vcc_lo
	v_cmp_o_f32_e32 vcc_lo, v13, v13
	s_delay_alu instid0(VALU_DEP_2) | instskip(SKIP_2) | instid1(VALU_DEP_2)
	v_perm_b32 v3, v14, v12, 0x5040100
	v_cndmask_b32_e32 v13, 0x7fc0, v17, vcc_lo
	v_cmp_o_f32_e32 vcc_lo, v9, v9
	v_perm_b32 v2, v13, v11, 0x5040100
	v_cndmask_b32_e32 v7, 0x7fc0, v7, vcc_lo
	s_delay_alu instid0(VALU_DEP_1)
	v_perm_b32 v0, v7, v6, 0x5040100
	global_store_b128 v[4:5], v[0:3], off
	s_endpgm
	.section	.rodata,"a",@progbits
	.p2align	6, 0x0
	.amdhsa_kernel _ZL22dequantize_block_iq1_mIN3c108BFloat16EEvPKvPT_
		.amdhsa_group_segment_fixed_size 0
		.amdhsa_private_segment_fixed_size 0
		.amdhsa_kernarg_size 16
		.amdhsa_user_sgpr_count 2
		.amdhsa_user_sgpr_dispatch_ptr 0
		.amdhsa_user_sgpr_queue_ptr 0
		.amdhsa_user_sgpr_kernarg_segment_ptr 1
		.amdhsa_user_sgpr_dispatch_id 0
		.amdhsa_user_sgpr_kernarg_preload_length 0
		.amdhsa_user_sgpr_kernarg_preload_offset 0
		.amdhsa_user_sgpr_private_segment_size 0
		.amdhsa_wavefront_size32 1
		.amdhsa_uses_dynamic_stack 0
		.amdhsa_enable_private_segment 0
		.amdhsa_system_sgpr_workgroup_id_x 1
		.amdhsa_system_sgpr_workgroup_id_y 0
		.amdhsa_system_sgpr_workgroup_id_z 0
		.amdhsa_system_sgpr_workgroup_info 0
		.amdhsa_system_vgpr_workitem_id 0
		.amdhsa_next_free_vgpr 20
		.amdhsa_next_free_sgpr 8
		.amdhsa_named_barrier_count 0
		.amdhsa_reserve_vcc 1
		.amdhsa_float_round_mode_32 0
		.amdhsa_float_round_mode_16_64 0
		.amdhsa_float_denorm_mode_32 3
		.amdhsa_float_denorm_mode_16_64 3
		.amdhsa_fp16_overflow 0
		.amdhsa_memory_ordered 1
		.amdhsa_forward_progress 1
		.amdhsa_inst_pref_size 9
		.amdhsa_round_robin_scheduling 0
		.amdhsa_exception_fp_ieee_invalid_op 0
		.amdhsa_exception_fp_denorm_src 0
		.amdhsa_exception_fp_ieee_div_zero 0
		.amdhsa_exception_fp_ieee_overflow 0
		.amdhsa_exception_fp_ieee_underflow 0
		.amdhsa_exception_fp_ieee_inexact 0
		.amdhsa_exception_int_div_zero 0
	.end_amdhsa_kernel
	.section	.text._ZL22dequantize_block_iq1_mIN3c108BFloat16EEvPKvPT_,"axG",@progbits,_ZL22dequantize_block_iq1_mIN3c108BFloat16EEvPKvPT_,comdat
.Lfunc_end56:
	.size	_ZL22dequantize_block_iq1_mIN3c108BFloat16EEvPKvPT_, .Lfunc_end56-_ZL22dequantize_block_iq1_mIN3c108BFloat16EEvPKvPT_
                                        ; -- End function
	.set _ZL22dequantize_block_iq1_mIN3c108BFloat16EEvPKvPT_.num_vgpr, 20
	.set _ZL22dequantize_block_iq1_mIN3c108BFloat16EEvPKvPT_.num_agpr, 0
	.set _ZL22dequantize_block_iq1_mIN3c108BFloat16EEvPKvPT_.numbered_sgpr, 8
	.set _ZL22dequantize_block_iq1_mIN3c108BFloat16EEvPKvPT_.num_named_barrier, 0
	.set _ZL22dequantize_block_iq1_mIN3c108BFloat16EEvPKvPT_.private_seg_size, 0
	.set _ZL22dequantize_block_iq1_mIN3c108BFloat16EEvPKvPT_.uses_vcc, 1
	.set _ZL22dequantize_block_iq1_mIN3c108BFloat16EEvPKvPT_.uses_flat_scratch, 0
	.set _ZL22dequantize_block_iq1_mIN3c108BFloat16EEvPKvPT_.has_dyn_sized_stack, 0
	.set _ZL22dequantize_block_iq1_mIN3c108BFloat16EEvPKvPT_.has_recursion, 0
	.set _ZL22dequantize_block_iq1_mIN3c108BFloat16EEvPKvPT_.has_indirect_call, 0
	.section	.AMDGPU.csdata,"",@progbits
; Kernel info:
; codeLenInByte = 1032
; TotalNumSgprs: 10
; NumVgprs: 20
; ScratchSize: 0
; MemoryBound: 0
; FloatMode: 240
; IeeeMode: 1
; LDSByteSize: 0 bytes/workgroup (compile time only)
; SGPRBlocks: 0
; VGPRBlocks: 1
; NumSGPRsForWavesPerEU: 10
; NumVGPRsForWavesPerEU: 20
; NamedBarCnt: 0
; Occupancy: 16
; WaveLimiterHint : 0
; COMPUTE_PGM_RSRC2:SCRATCH_EN: 0
; COMPUTE_PGM_RSRC2:USER_SGPR: 2
; COMPUTE_PGM_RSRC2:TRAP_HANDLER: 0
; COMPUTE_PGM_RSRC2:TGID_X_EN: 1
; COMPUTE_PGM_RSRC2:TGID_Y_EN: 0
; COMPUTE_PGM_RSRC2:TGID_Z_EN: 0
; COMPUTE_PGM_RSRC2:TIDIG_COMP_CNT: 0
	.section	.text._ZL13quantize_q8_1IfEvPKT_Pvii,"axG",@progbits,_ZL13quantize_q8_1IfEvPKT_Pvii,comdat
	.globl	_ZL13quantize_q8_1IfEvPKT_Pvii  ; -- Begin function _ZL13quantize_q8_1IfEvPKT_Pvii
	.p2align	8
	.type	_ZL13quantize_q8_1IfEvPKT_Pvii,@function
_ZL13quantize_q8_1IfEvPKT_Pvii:         ; @_ZL13quantize_q8_1IfEvPKT_Pvii
; %bb.0:
	s_clause 0x1
	s_load_b32 s5, s[0:1], 0x24
	s_load_b64 s[2:3], s[0:1], 0x10
	s_bfe_u32 s4, ttmp6, 0x4000c
	s_and_b32 s6, ttmp6, 15
	s_add_co_i32 s4, s4, 1
	v_and_b32_e32 v1, 0x3ff, v0
	s_mul_i32 s7, ttmp9, s4
	s_getreg_b32 s4, hwreg(HW_REG_IB_STS2, 6, 4)
	s_add_co_i32 s6, s6, s7
	s_wait_kmcnt 0x0
	s_and_b32 s5, s5, 0xffff
	s_cmp_eq_u32 s4, 0
	s_cselect_b32 s6, ttmp9, s6
	s_delay_alu instid0(SALU_CYCLE_1) | instskip(SKIP_1) | instid1(VALU_DEP_1)
	v_mad_u32 v1, s6, s5, v1
	s_mov_b32 s5, exec_lo
	v_cmpx_gt_u32_e64 s3, v1
	s_cbranch_execz .LBB57_7
; %bb.1:
	s_add_nc_u64 s[6:7], s[0:1], 24
	v_bfe_u32 v0, v0, 10, 10
	s_load_u16 s5, s[6:7], 0xe
	s_wait_xcnt 0x0
	s_bfe_u32 s6, ttmp6, 0x40010
	s_bfe_u32 s7, ttmp6, 0x40004
	s_add_co_i32 s6, s6, 1
	v_dual_mov_b32 v2, 0 :: v_dual_mov_b32 v3, 0
	s_mul_i32 s6, ttmp7, s6
	s_delay_alu instid0(SALU_CYCLE_1)
	s_add_co_i32 s7, s7, s6
	s_cmp_eq_u32 s4, 0
	s_cselect_b32 s4, ttmp7, s7
	s_wait_kmcnt 0x0
	v_mad_u32 v0, s4, s5, v0
	s_mov_b32 s4, exec_lo
	v_cmpx_gt_u32_e64 s2, v1
	s_cbranch_execz .LBB57_3
; %bb.2:
	s_load_b64 s[6:7], s[0:1], 0x0
	s_delay_alu instid0(VALU_DEP_2)
	v_mad_u32 v3, v0, s2, v1
	s_wait_kmcnt 0x0
	global_load_b32 v3, v3, s[6:7] scale_offset
.LBB57_3:
	s_wait_xcnt 0x0
	s_or_b32 exec_lo, exec_lo, s4
	v_mbcnt_lo_u32_b32 v4, -1, 0
	s_wait_loadcnt 0x0
	v_max_num_f32_e64 v8, |v3|, |v3|
	v_and_b32_e32 v6, 0x7fffffff, v3
	s_load_b64 s[0:1], s[0:1], 0x8
	s_mov_b32 s2, exec_lo
	v_xor_b32_e32 v7, 8, v4
	v_xor_b32_e32 v5, 16, v4
	s_delay_alu instid0(VALU_DEP_1) | instskip(SKIP_1) | instid1(VALU_DEP_4)
	v_cmp_gt_i32_e32 vcc_lo, 32, v5
	v_cndmask_b32_e32 v5, v4, v5, vcc_lo
	v_cmp_gt_i32_e32 vcc_lo, 32, v7
	s_delay_alu instid0(VALU_DEP_2) | instskip(NEXT) | instid1(VALU_DEP_1)
	v_dual_cndmask_b32 v7, v4, v7, vcc_lo :: v_dual_lshlrev_b32 v5, 2, v5
	v_lshlrev_b32_e32 v7, 2, v7
	ds_bpermute_b32 v6, v5, v6
	ds_bpermute_b32 v5, v5, v3
	s_wait_dscnt 0x1
	v_dual_max_num_f32 v6, v6, v6 :: v_dual_bitop2_b32 v10, 2, v4 bitop3:0x14
	s_wait_dscnt 0x0
	v_dual_add_f32 v5, v3, v5 :: v_dual_bitop2_b32 v9, 4, v4 bitop3:0x14
	s_delay_alu instid0(VALU_DEP_2) | instskip(NEXT) | instid1(VALU_DEP_2)
	v_max_num_f32_e32 v6, v8, v6
	v_cmp_gt_i32_e32 vcc_lo, 32, v9
	ds_bpermute_b32 v8, v7, v6
	ds_bpermute_b32 v7, v7, v5
	v_xor_b32_e32 v11, 1, v4
	s_wait_dscnt 0x1
	v_max_num_f32_e32 v8, v8, v8
	v_cndmask_b32_e32 v9, v4, v9, vcc_lo
	v_cmp_gt_i32_e32 vcc_lo, 32, v10
	s_wait_dscnt 0x0
	s_delay_alu instid0(VALU_DEP_3) | instskip(NEXT) | instid1(VALU_DEP_3)
	v_dual_add_f32 v5, v5, v7 :: v_dual_max_num_f32 v6, v6, v8
	v_dual_cndmask_b32 v10, v4, v10 :: v_dual_lshlrev_b32 v9, 2, v9
	v_cmp_gt_i32_e32 vcc_lo, 32, v11
	ds_bpermute_b32 v8, v9, v6
	ds_bpermute_b32 v7, v9, v5
	v_dual_lshlrev_b32 v10, 2, v10 :: v_dual_cndmask_b32 v4, v4, v11, vcc_lo
	s_delay_alu instid0(VALU_DEP_1) | instskip(SKIP_2) | instid1(VALU_DEP_1)
	v_lshlrev_b32_e32 v11, 2, v4
	s_wait_dscnt 0x1
	v_max_num_f32_e32 v8, v8, v8
	v_max_num_f32_e32 v6, v6, v8
	ds_bpermute_b32 v8, v10, v6
	s_wait_dscnt 0x0
	v_max_num_f32_e32 v8, v8, v8
	s_delay_alu instid0(VALU_DEP_1) | instskip(SKIP_3) | instid1(VALU_DEP_1)
	v_max_num_f32_e32 v4, v6, v8
	ds_bpermute_b32 v6, v11, v4
	s_wait_dscnt 0x0
	v_max_num_f32_e32 v6, v6, v6
	v_dual_max_num_f32 v8, v4, v6 :: v_dual_add_f32 v4, v5, v7
	s_delay_alu instid0(VALU_DEP_1) | instskip(SKIP_4) | instid1(TRANS32_DEP_1)
	v_div_scale_f32 v6, null, 0x42fe0000, 0x42fe0000, v8
	ds_bpermute_b32 v5, v10, v4
	v_div_scale_f32 v10, vcc_lo, v8, 0x42fe0000, v8
	v_rcp_f32_e32 v7, v6
	v_nop
	v_fma_f32 v9, -v6, v7, 1.0
	s_delay_alu instid0(VALU_DEP_1) | instskip(SKIP_1) | instid1(VALU_DEP_1)
	v_fmac_f32_e32 v7, v9, v7
	s_wait_dscnt 0x0
	v_dual_mul_f32 v9, v10, v7 :: v_dual_add_f32 v4, v4, v5
	s_delay_alu instid0(VALU_DEP_1) | instskip(SKIP_2) | instid1(VALU_DEP_1)
	v_fma_f32 v12, -v6, v9, v10
	ds_bpermute_b32 v5, v11, v4
	v_fmac_f32_e32 v9, v12, v7
	v_fma_f32 v6, -v6, v9, v10
	s_delay_alu instid0(VALU_DEP_1) | instskip(NEXT) | instid1(VALU_DEP_1)
	v_div_fmas_f32 v6, v6, v7, v9
	v_div_fixup_f32 v6, v6, 0x42fe0000, v8
	v_cmpx_neq_f32_e32 0, v8
	s_cbranch_execz .LBB57_5
; %bb.4:
	s_delay_alu instid0(VALU_DEP_2) | instskip(SKIP_1) | instid1(VALU_DEP_2)
	v_div_scale_f32 v2, null, v6, v6, v3
	v_div_scale_f32 v9, vcc_lo, v3, v6, v3
	v_rcp_f32_e32 v7, v2
	v_nop
	s_delay_alu instid0(TRANS32_DEP_1) | instskip(NEXT) | instid1(VALU_DEP_1)
	v_fma_f32 v8, -v2, v7, 1.0
	v_fmac_f32_e32 v7, v8, v7
	s_delay_alu instid0(VALU_DEP_1) | instskip(NEXT) | instid1(VALU_DEP_1)
	v_mul_f32_e32 v8, v9, v7
	v_fma_f32 v10, -v2, v8, v9
	s_delay_alu instid0(VALU_DEP_1) | instskip(NEXT) | instid1(VALU_DEP_1)
	v_fmac_f32_e32 v8, v10, v7
	v_fma_f32 v2, -v2, v8, v9
	s_delay_alu instid0(VALU_DEP_1) | instskip(NEXT) | instid1(VALU_DEP_1)
	v_div_fmas_f32 v2, v2, v7, v8
	v_div_fixup_f32 v2, v2, v6, v3
	s_delay_alu instid0(VALU_DEP_1) | instskip(NEXT) | instid1(VALU_DEP_1)
	v_trunc_f32_e32 v3, v2
	v_sub_f32_e32 v7, v2, v3
	s_delay_alu instid0(VALU_DEP_1) | instskip(NEXT) | instid1(VALU_DEP_1)
	v_cmp_ge_f32_e64 s4, |v7|, 0.5
	v_cndmask_b32_e64 v7, 0, 1.0, s4
	s_delay_alu instid0(VALU_DEP_1) | instskip(NEXT) | instid1(VALU_DEP_1)
	v_bfi_b32 v2, 0x7fffffff, v7, v2
	v_add_f32_e32 v2, v3, v2
	s_delay_alu instid0(VALU_DEP_1)
	v_cvt_i32_f32_e32 v2, v2
.LBB57_5:
	s_or_b32 exec_lo, exec_lo, s2
	v_mad_u32 v3, v0, s3, v1
	s_delay_alu instid0(VALU_DEP_1) | instskip(NEXT) | instid1(VALU_DEP_1)
	v_ashrrev_i32_e32 v0, 31, v3
	v_lshrrev_b32_e32 v0, 27, v0
	s_delay_alu instid0(VALU_DEP_1) | instskip(NEXT) | instid1(VALU_DEP_1)
	v_add_nc_u32_e32 v0, v3, v0
	v_ashrrev_i32_e32 v1, 5, v0
	v_and_b32_e32 v7, 0xffffffe0, v0
	s_wait_kmcnt 0x0
	s_delay_alu instid0(VALU_DEP_2) | instskip(NEXT) | instid1(VALU_DEP_2)
	v_mad_nc_i64_i32 v[0:1], v1, 36, s[0:1]
	v_sub_nc_u32_e32 v8, v3, v7
	s_delay_alu instid0(VALU_DEP_1) | instskip(SKIP_1) | instid1(VALU_DEP_2)
	v_ashrrev_i32_e32 v9, 31, v8
	v_cmp_gt_i32_e32 vcc_lo, 1, v8
	v_add_nc_u64_e32 v[10:11], v[0:1], v[8:9]
	global_store_b8 v[10:11], v2, off offset:4
	s_wait_xcnt 0x0
	s_and_b32 exec_lo, exec_lo, vcc_lo
	s_cbranch_execz .LBB57_7
; %bb.6:
	s_wait_dscnt 0x0
	v_add_f32_e32 v2, v4, v5
	s_delay_alu instid0(VALU_DEP_1)
	v_cvt_pk_f16_f32 v2, v6, v2
	global_store_b32 v[0:1], v2, off
.LBB57_7:
	s_endpgm
	.section	.rodata,"a",@progbits
	.p2align	6, 0x0
	.amdhsa_kernel _ZL13quantize_q8_1IfEvPKT_Pvii
		.amdhsa_group_segment_fixed_size 0
		.amdhsa_private_segment_fixed_size 0
		.amdhsa_kernarg_size 280
		.amdhsa_user_sgpr_count 2
		.amdhsa_user_sgpr_dispatch_ptr 0
		.amdhsa_user_sgpr_queue_ptr 0
		.amdhsa_user_sgpr_kernarg_segment_ptr 1
		.amdhsa_user_sgpr_dispatch_id 0
		.amdhsa_user_sgpr_kernarg_preload_length 0
		.amdhsa_user_sgpr_kernarg_preload_offset 0
		.amdhsa_user_sgpr_private_segment_size 0
		.amdhsa_wavefront_size32 1
		.amdhsa_uses_dynamic_stack 0
		.amdhsa_enable_private_segment 0
		.amdhsa_system_sgpr_workgroup_id_x 1
		.amdhsa_system_sgpr_workgroup_id_y 1
		.amdhsa_system_sgpr_workgroup_id_z 0
		.amdhsa_system_sgpr_workgroup_info 0
		.amdhsa_system_vgpr_workitem_id 1
		.amdhsa_next_free_vgpr 13
		.amdhsa_next_free_sgpr 8
		.amdhsa_named_barrier_count 0
		.amdhsa_reserve_vcc 1
		.amdhsa_float_round_mode_32 0
		.amdhsa_float_round_mode_16_64 0
		.amdhsa_float_denorm_mode_32 3
		.amdhsa_float_denorm_mode_16_64 3
		.amdhsa_fp16_overflow 0
		.amdhsa_memory_ordered 1
		.amdhsa_forward_progress 1
		.amdhsa_inst_pref_size 8
		.amdhsa_round_robin_scheduling 0
		.amdhsa_exception_fp_ieee_invalid_op 0
		.amdhsa_exception_fp_denorm_src 0
		.amdhsa_exception_fp_ieee_div_zero 0
		.amdhsa_exception_fp_ieee_overflow 0
		.amdhsa_exception_fp_ieee_underflow 0
		.amdhsa_exception_fp_ieee_inexact 0
		.amdhsa_exception_int_div_zero 0
	.end_amdhsa_kernel
	.section	.text._ZL13quantize_q8_1IfEvPKT_Pvii,"axG",@progbits,_ZL13quantize_q8_1IfEvPKT_Pvii,comdat
.Lfunc_end57:
	.size	_ZL13quantize_q8_1IfEvPKT_Pvii, .Lfunc_end57-_ZL13quantize_q8_1IfEvPKT_Pvii
                                        ; -- End function
	.set _ZL13quantize_q8_1IfEvPKT_Pvii.num_vgpr, 13
	.set _ZL13quantize_q8_1IfEvPKT_Pvii.num_agpr, 0
	.set _ZL13quantize_q8_1IfEvPKT_Pvii.numbered_sgpr, 8
	.set _ZL13quantize_q8_1IfEvPKT_Pvii.num_named_barrier, 0
	.set _ZL13quantize_q8_1IfEvPKT_Pvii.private_seg_size, 0
	.set _ZL13quantize_q8_1IfEvPKT_Pvii.uses_vcc, 1
	.set _ZL13quantize_q8_1IfEvPKT_Pvii.uses_flat_scratch, 0
	.set _ZL13quantize_q8_1IfEvPKT_Pvii.has_dyn_sized_stack, 0
	.set _ZL13quantize_q8_1IfEvPKT_Pvii.has_recursion, 0
	.set _ZL13quantize_q8_1IfEvPKT_Pvii.has_indirect_call, 0
	.section	.AMDGPU.csdata,"",@progbits
; Kernel info:
; codeLenInByte = 988
; TotalNumSgprs: 10
; NumVgprs: 13
; ScratchSize: 0
; MemoryBound: 0
; FloatMode: 240
; IeeeMode: 1
; LDSByteSize: 0 bytes/workgroup (compile time only)
; SGPRBlocks: 0
; VGPRBlocks: 0
; NumSGPRsForWavesPerEU: 10
; NumVGPRsForWavesPerEU: 13
; NamedBarCnt: 0
; Occupancy: 16
; WaveLimiterHint : 0
; COMPUTE_PGM_RSRC2:SCRATCH_EN: 0
; COMPUTE_PGM_RSRC2:USER_SGPR: 2
; COMPUTE_PGM_RSRC2:TRAP_HANDLER: 0
; COMPUTE_PGM_RSRC2:TGID_X_EN: 1
; COMPUTE_PGM_RSRC2:TGID_Y_EN: 1
; COMPUTE_PGM_RSRC2:TGID_Z_EN: 0
; COMPUTE_PGM_RSRC2:TIDIG_COMP_CNT: 1
	.section	.text._ZL13mul_mat_vec_qIfLi32ELi4E10block_q4_0Li2EXadL_ZL17vec_dot_q4_0_q8_1PKvPK10block_q8_1RKiEEEvS2_S2_PT_iii,"axG",@progbits,_ZL13mul_mat_vec_qIfLi32ELi4E10block_q4_0Li2EXadL_ZL17vec_dot_q4_0_q8_1PKvPK10block_q8_1RKiEEEvS2_S2_PT_iii,comdat
	.globl	_ZL13mul_mat_vec_qIfLi32ELi4E10block_q4_0Li2EXadL_ZL17vec_dot_q4_0_q8_1PKvPK10block_q8_1RKiEEEvS2_S2_PT_iii ; -- Begin function _ZL13mul_mat_vec_qIfLi32ELi4E10block_q4_0Li2EXadL_ZL17vec_dot_q4_0_q8_1PKvPK10block_q8_1RKiEEEvS2_S2_PT_iii
	.p2align	8
	.type	_ZL13mul_mat_vec_qIfLi32ELi4E10block_q4_0Li2EXadL_ZL17vec_dot_q4_0_q8_1PKvPK10block_q8_1RKiEEEvS2_S2_PT_iii,@function
_ZL13mul_mat_vec_qIfLi32ELi4E10block_q4_0Li2EXadL_ZL17vec_dot_q4_0_q8_1PKvPK10block_q8_1RKiEEEvS2_S2_PT_iii: ; @_ZL13mul_mat_vec_qIfLi32ELi4E10block_q4_0Li2EXadL_ZL17vec_dot_q4_0_q8_1PKvPK10block_q8_1RKiEEEvS2_S2_PT_iii
; %bb.0:
	s_clause 0x1
	s_load_u16 s2, s[0:1], 0x36
	s_load_b96 s[4:6], s[0:1], 0x18
	s_bfe_u32 s7, ttmp6, 0x4000c
	s_bfe_u32 s8, ttmp6, 0x40010
	s_add_co_i32 s7, s7, 1
	s_add_co_i32 s8, s8, 1
	s_and_b32 s3, ttmp6, 15
	s_mul_i32 s7, ttmp9, s7
	s_mul_i32 s8, ttmp7, s8
	s_bfe_u32 s9, ttmp6, 0x40004
	s_add_co_i32 s3, s3, s7
	s_getreg_b32 s7, hwreg(HW_REG_IB_STS2, 6, 4)
	s_add_co_i32 s9, s9, s8
	v_bfe_u32 v1, v0, 10, 10
	s_cmp_eq_u32 s7, 0
	s_cselect_b32 s3, ttmp9, s3
	s_cselect_b32 s8, ttmp7, s9
	s_wait_kmcnt 0x0
	v_mad_u32 v4, s3, s2, v1
	s_cmp_lt_u32 s8, s6
	s_cselect_b32 s2, -1, 0
	s_delay_alu instid0(VALU_DEP_1) | instskip(SKIP_1) | instid1(SALU_CYCLE_1)
	v_cmp_gt_u32_e32 vcc_lo, s5, v4
	s_and_b32 s2, s2, vcc_lo
	s_and_saveexec_b32 s3, s2
	s_cbranch_execz .LBB58_7
; %bb.1:
	s_load_b64 s[6:7], s[0:1], 0x10
	s_ashr_i32 s2, s4, 31
	v_bfe_u32 v6, v0, 1, 9
	s_lshr_b32 s2, s2, 27
	v_and_b32_e32 v5, 0x3ff, v0
	v_mov_b32_e32 v7, 0
	s_add_co_i32 s2, s4, s2
	s_mov_b32 s9, exec_lo
	s_ashr_i32 s10, s2, 5
	s_delay_alu instid0(SALU_CYCLE_1)
	v_cmpx_gt_u32_e64 s10, v6
	s_cbranch_execz .LBB58_5
; %bb.2:
	s_wait_xcnt 0x0
	s_load_b128 s[0:3], s[0:1], 0x0
	s_addk_co_i32 s4, 0x1ff
	v_mul_lo_u32 v8, v4, s10
	s_ashr_i32 s11, s4, 31
	v_dual_mov_b32 v1, 0 :: v_dual_lshlrev_b32 v0, 3, v5
	s_lshr_b32 s11, s11, 23
	v_mov_b32_e32 v3, 4.0
	s_add_co_i32 s4, s4, s11
	s_delay_alu instid0(VALU_DEP_2) | instskip(SKIP_3) | instid1(SALU_CYCLE_1)
	v_and_b32_e32 v0, 8, v0
	s_ashr_i32 s4, s4, 9
	v_mov_b32_e32 v7, v1
	s_mul_i32 s4, s8, s4
	s_lshl_b32 s11, s4, 4
	s_mov_b32 s4, 0
.LBB58_3:                               ; =>This Inner Loop Header: Depth=1
	v_dual_add_nc_u32 v2, v8, v6 :: v_dual_add_nc_u32 v9, s11, v6
	v_add_nc_u32_e32 v6, 16, v6
	s_wait_kmcnt 0x0
	s_delay_alu instid0(VALU_DEP_2) | instskip(NEXT) | instid1(VALU_DEP_3)
	v_mad_nc_i64_i32 v[10:11], v2, 18, s[0:1]
	v_mad_nc_i64_i32 v[12:13], v9, 36, s[2:3]
	s_delay_alu instid0(VALU_DEP_3) | instskip(SKIP_1) | instid1(VALU_DEP_3)
	v_cmp_le_u32_e32 vcc_lo, s10, v6
	s_or_b32 s4, vcc_lo, s4
	v_add_nc_u64_e32 v[14:15], v[10:11], v[0:1]
	s_delay_alu instid0(VALU_DEP_3)
	v_add_nc_u64_e32 v[16:17], v[12:13], v[0:1]
	global_load_b64 v[18:19], v[14:15], off offset:2
	s_clause 0x2
	global_load_b64 v[20:21], v[16:17], off offset:4
	global_load_b64 v[22:23], v[16:17], off offset:20
	global_load_b32 v2, v[12:13], off
	global_load_u16 v9, v[10:11], off
	s_wait_loadcnt 0x4
	s_wait_xcnt 0x4
	v_dual_lshrrev_b32 v14, 4, v18 :: v_dual_lshrrev_b32 v15, 28, v18
	s_wait_loadcnt 0x2
	s_wait_xcnt 0x0
	v_lshrrev_b16 v11, 8, v22
	v_bfe_u32 v12, v18, 24, 4
	v_and_b32_e32 v13, 0xf0f0f0f, v18
	v_bfe_u32 v16, v18, 16, 4
	v_and_b32_e32 v17, 15, v18
	v_bfe_u32 v26, v18, 20, 4
	v_bfe_u32 v18, v18, 4, 4
	v_dual_ashrrev_i32 v27, 24, v22 :: v_dual_lshrrev_b32 v31, 4, v19
	v_bfe_i32 v28, v22, 16, 8
	v_bfe_i32 v22, v22, 0, 8
	v_and_b32_e32 v30, 0xf0f0f0f, v19
	v_lshrrev_b16 v14, 8, v14
	v_lshrrev_b16 v10, 8, v20
	v_lshrrev_b16 v13, 8, v13
	v_mul_i32_i24_e32 v18, v18, v22
	v_mul_i32_i24_e32 v22, v26, v28
	;; [unrolled: 1-line block ×3, first 2 shown]
	v_lshrrev_b16 v26, 8, v30
	v_lshrrev_b16 v27, 8, v31
	v_and_b32_e32 v14, 15, v14
	v_bfe_i32 v24, v20, 16, 8
	v_bfe_i32 v25, v20, 0, 8
	v_ashrrev_i32_e32 v20, 24, v20
	v_bfe_u32 v29, v19, 24, 4
	v_dual_lshrrev_b32 v32, 28, v19 :: v_dual_bitop2_b32 v34, 15, v19 bitop3:0x40
	v_dual_ashrrev_i32 v35, 24, v21 :: v_dual_ashrrev_i32 v39, 24, v23
	v_bfe_i32 v37, v21, 8, 8
	v_bfe_i32 v10, v10, 0, 8
	;; [unrolled: 1-line block ×3, first 2 shown]
	v_and_b32_e32 v13, 0xffff, v13
	v_and_b32_e32 v26, 0xffff, v26
	;; [unrolled: 1-line block ×4, first 2 shown]
	v_bfe_u32 v33, v19, 16, 4
	v_bfe_i32 v36, v21, 16, 8
	v_bfe_i32 v21, v21, 0, 8
	v_bfe_u32 v38, v19, 20, 4
	v_bfe_u32 v19, v19, 4, 4
	v_bfe_i32 v40, v23, 16, 8
	v_bfe_i32 v41, v23, 8, 8
	v_bfe_i32 v23, v23, 0, 8
	v_mul_i32_i24_e32 v29, v35, v29
	v_mul_i32_i24_e32 v30, v39, v32
	v_mad_i32_i24 v12, v12, v20, v15
	v_mul_i32_i24_e32 v10, v13, v10
	v_mul_i32_i24_e32 v13, v37, v26
	v_and_b32_e32 v15, 0xffff, v27
	v_mul_i32_i24_e32 v11, v14, v11
	v_mul_i32_i24_e32 v21, v21, v34
	;; [unrolled: 1-line block ×5, first 2 shown]
	v_mad_i32_i24 v14, v17, v25, v18
	v_mad_i32_i24 v16, v16, v24, v22
	v_add3_u32 v12, v12, v29, v30
	v_mul_i32_i24_e32 v15, v41, v15
	v_add3_u32 v10, v10, v11, v13
	v_add3_u32 v13, v14, v21, v19
	;; [unrolled: 1-line block ×3, first 2 shown]
	s_delay_alu instid0(VALU_DEP_3) | instskip(SKIP_2) | instid1(VALU_DEP_2)
	v_add3_u32 v10, v10, v15, v12
	s_wait_loadcnt 0x1
	v_lshrrev_b32_e32 v12, 16, v2
	v_add3_u32 v13, v13, v11, v10
	v_cvt_f32_f16_e32 v10, v2
	s_delay_alu instid0(VALU_DEP_3) | instskip(NEXT) | instid1(VALU_DEP_3)
	v_cvt_f32_f16_e32 v11, v12
	v_cvt_f32_i32_e32 v2, v13
	s_delay_alu instid0(VALU_DEP_1) | instskip(NEXT) | instid1(VALU_DEP_1)
	v_pk_mul_f32 v[10:11], v[2:3], v[10:11]
	v_sub_f32_e32 v2, v10, v11
	s_wait_loadcnt 0x0
	s_delay_alu instid0(VALU_DEP_1)
	v_fma_mix_f32 v7, v2, v9, v7 op_sel_hi:[0,1,0]
	s_and_not1_b32 exec_lo, exec_lo, s4
	s_cbranch_execnz .LBB58_3
; %bb.4:
	s_or_b32 exec_lo, exec_lo, s4
.LBB58_5:
	s_delay_alu instid0(SALU_CYCLE_1) | instskip(SKIP_1) | instid1(VALU_DEP_1)
	s_or_b32 exec_lo, exec_lo, s9
	v_mbcnt_lo_u32_b32 v0, -1, 0
	v_xor_b32_e32 v2, 8, v0
	v_xor_b32_e32 v1, 16, v0
	;; [unrolled: 1-line block ×3, first 2 shown]
	s_delay_alu instid0(VALU_DEP_2) | instskip(SKIP_4) | instid1(VALU_DEP_2)
	v_cmp_gt_i32_e32 vcc_lo, 32, v1
	v_cndmask_b32_e32 v1, v0, v1, vcc_lo
	v_cmp_gt_i32_e32 vcc_lo, 32, v2
	v_cndmask_b32_e32 v2, v0, v2, vcc_lo
	v_cmp_gt_i32_e32 vcc_lo, 32, v3
	v_dual_lshlrev_b32 v2, 2, v2 :: v_dual_lshlrev_b32 v1, 2, v1
	ds_bpermute_b32 v1, v1, v7
	s_wait_dscnt 0x0
	v_add_f32_e32 v1, v7, v1
	ds_bpermute_b32 v2, v2, v1
	s_wait_dscnt 0x0
	v_dual_cndmask_b32 v3, v0, v3, vcc_lo :: v_dual_add_f32 v1, v1, v2
	s_delay_alu instid0(VALU_DEP_1) | instskip(SKIP_3) | instid1(VALU_DEP_1)
	v_lshlrev_b32_e32 v3, 2, v3
	ds_bpermute_b32 v2, v3, v1
	s_wait_dscnt 0x0
	v_dual_add_f32 v1, v1, v2 :: v_dual_bitop2_b32 v3, 2, v0 bitop3:0x14
	v_cmp_gt_i32_e32 vcc_lo, 32, v3
	v_cndmask_b32_e32 v3, v0, v3, vcc_lo
	s_delay_alu instid0(VALU_DEP_1) | instskip(SKIP_2) | instid1(VALU_DEP_1)
	v_lshlrev_b32_e32 v3, 2, v3
	ds_bpermute_b32 v2, v3, v1
	v_xor_b32_e32 v3, 1, v0
	v_cmp_gt_i32_e32 vcc_lo, 32, v3
	v_cndmask_b32_e32 v3, v0, v3, vcc_lo
	v_cmp_eq_u32_e32 vcc_lo, 0, v5
	s_wait_dscnt 0x0
	s_delay_alu instid0(VALU_DEP_2)
	v_dual_add_f32 v0, v1, v2 :: v_dual_lshlrev_b32 v1, 2, v3
	ds_bpermute_b32 v1, v1, v0
	s_and_b32 exec_lo, exec_lo, vcc_lo
	s_cbranch_execz .LBB58_7
; %bb.6:
	v_mad_u32 v2, s5, s8, v4
	s_wait_dscnt 0x0
	v_add_f32_e32 v0, v0, v1
	s_wait_kmcnt 0x0
	global_store_b32 v2, v0, s[6:7] scale_offset
.LBB58_7:
	s_endpgm
	.section	.rodata,"a",@progbits
	.p2align	6, 0x0
	.amdhsa_kernel _ZL13mul_mat_vec_qIfLi32ELi4E10block_q4_0Li2EXadL_ZL17vec_dot_q4_0_q8_1PKvPK10block_q8_1RKiEEEvS2_S2_PT_iii
		.amdhsa_group_segment_fixed_size 0
		.amdhsa_private_segment_fixed_size 0
		.amdhsa_kernarg_size 296
		.amdhsa_user_sgpr_count 2
		.amdhsa_user_sgpr_dispatch_ptr 0
		.amdhsa_user_sgpr_queue_ptr 0
		.amdhsa_user_sgpr_kernarg_segment_ptr 1
		.amdhsa_user_sgpr_dispatch_id 0
		.amdhsa_user_sgpr_kernarg_preload_length 0
		.amdhsa_user_sgpr_kernarg_preload_offset 0
		.amdhsa_user_sgpr_private_segment_size 0
		.amdhsa_wavefront_size32 1
		.amdhsa_uses_dynamic_stack 0
		.amdhsa_enable_private_segment 0
		.amdhsa_system_sgpr_workgroup_id_x 1
		.amdhsa_system_sgpr_workgroup_id_y 1
		.amdhsa_system_sgpr_workgroup_id_z 0
		.amdhsa_system_sgpr_workgroup_info 0
		.amdhsa_system_vgpr_workitem_id 1
		.amdhsa_next_free_vgpr 42
		.amdhsa_next_free_sgpr 12
		.amdhsa_named_barrier_count 0
		.amdhsa_reserve_vcc 1
		.amdhsa_float_round_mode_32 0
		.amdhsa_float_round_mode_16_64 0
		.amdhsa_float_denorm_mode_32 3
		.amdhsa_float_denorm_mode_16_64 3
		.amdhsa_fp16_overflow 0
		.amdhsa_memory_ordered 1
		.amdhsa_forward_progress 1
		.amdhsa_inst_pref_size 10
		.amdhsa_round_robin_scheduling 0
		.amdhsa_exception_fp_ieee_invalid_op 0
		.amdhsa_exception_fp_denorm_src 0
		.amdhsa_exception_fp_ieee_div_zero 0
		.amdhsa_exception_fp_ieee_overflow 0
		.amdhsa_exception_fp_ieee_underflow 0
		.amdhsa_exception_fp_ieee_inexact 0
		.amdhsa_exception_int_div_zero 0
	.end_amdhsa_kernel
	.section	.text._ZL13mul_mat_vec_qIfLi32ELi4E10block_q4_0Li2EXadL_ZL17vec_dot_q4_0_q8_1PKvPK10block_q8_1RKiEEEvS2_S2_PT_iii,"axG",@progbits,_ZL13mul_mat_vec_qIfLi32ELi4E10block_q4_0Li2EXadL_ZL17vec_dot_q4_0_q8_1PKvPK10block_q8_1RKiEEEvS2_S2_PT_iii,comdat
.Lfunc_end58:
	.size	_ZL13mul_mat_vec_qIfLi32ELi4E10block_q4_0Li2EXadL_ZL17vec_dot_q4_0_q8_1PKvPK10block_q8_1RKiEEEvS2_S2_PT_iii, .Lfunc_end58-_ZL13mul_mat_vec_qIfLi32ELi4E10block_q4_0Li2EXadL_ZL17vec_dot_q4_0_q8_1PKvPK10block_q8_1RKiEEEvS2_S2_PT_iii
                                        ; -- End function
	.set _ZL13mul_mat_vec_qIfLi32ELi4E10block_q4_0Li2EXadL_ZL17vec_dot_q4_0_q8_1PKvPK10block_q8_1RKiEEEvS2_S2_PT_iii.num_vgpr, 42
	.set _ZL13mul_mat_vec_qIfLi32ELi4E10block_q4_0Li2EXadL_ZL17vec_dot_q4_0_q8_1PKvPK10block_q8_1RKiEEEvS2_S2_PT_iii.num_agpr, 0
	.set _ZL13mul_mat_vec_qIfLi32ELi4E10block_q4_0Li2EXadL_ZL17vec_dot_q4_0_q8_1PKvPK10block_q8_1RKiEEEvS2_S2_PT_iii.numbered_sgpr, 12
	.set _ZL13mul_mat_vec_qIfLi32ELi4E10block_q4_0Li2EXadL_ZL17vec_dot_q4_0_q8_1PKvPK10block_q8_1RKiEEEvS2_S2_PT_iii.num_named_barrier, 0
	.set _ZL13mul_mat_vec_qIfLi32ELi4E10block_q4_0Li2EXadL_ZL17vec_dot_q4_0_q8_1PKvPK10block_q8_1RKiEEEvS2_S2_PT_iii.private_seg_size, 0
	.set _ZL13mul_mat_vec_qIfLi32ELi4E10block_q4_0Li2EXadL_ZL17vec_dot_q4_0_q8_1PKvPK10block_q8_1RKiEEEvS2_S2_PT_iii.uses_vcc, 1
	.set _ZL13mul_mat_vec_qIfLi32ELi4E10block_q4_0Li2EXadL_ZL17vec_dot_q4_0_q8_1PKvPK10block_q8_1RKiEEEvS2_S2_PT_iii.uses_flat_scratch, 0
	.set _ZL13mul_mat_vec_qIfLi32ELi4E10block_q4_0Li2EXadL_ZL17vec_dot_q4_0_q8_1PKvPK10block_q8_1RKiEEEvS2_S2_PT_iii.has_dyn_sized_stack, 0
	.set _ZL13mul_mat_vec_qIfLi32ELi4E10block_q4_0Li2EXadL_ZL17vec_dot_q4_0_q8_1PKvPK10block_q8_1RKiEEEvS2_S2_PT_iii.has_recursion, 0
	.set _ZL13mul_mat_vec_qIfLi32ELi4E10block_q4_0Li2EXadL_ZL17vec_dot_q4_0_q8_1PKvPK10block_q8_1RKiEEEvS2_S2_PT_iii.has_indirect_call, 0
	.section	.AMDGPU.csdata,"",@progbits
; Kernel info:
; codeLenInByte = 1180
; TotalNumSgprs: 14
; NumVgprs: 42
; ScratchSize: 0
; MemoryBound: 0
; FloatMode: 240
; IeeeMode: 1
; LDSByteSize: 0 bytes/workgroup (compile time only)
; SGPRBlocks: 0
; VGPRBlocks: 2
; NumSGPRsForWavesPerEU: 14
; NumVGPRsForWavesPerEU: 42
; NamedBarCnt: 0
; Occupancy: 16
; WaveLimiterHint : 0
; COMPUTE_PGM_RSRC2:SCRATCH_EN: 0
; COMPUTE_PGM_RSRC2:USER_SGPR: 2
; COMPUTE_PGM_RSRC2:TRAP_HANDLER: 0
; COMPUTE_PGM_RSRC2:TGID_X_EN: 1
; COMPUTE_PGM_RSRC2:TGID_Y_EN: 1
; COMPUTE_PGM_RSRC2:TGID_Z_EN: 0
; COMPUTE_PGM_RSRC2:TIDIG_COMP_CNT: 1
	.section	.text._ZL13mul_mat_vec_qIfLi32ELi4E10block_q4_1Li2EXadL_ZL17vec_dot_q4_1_q8_1PKvPK10block_q8_1RKiEEEvS2_S2_PT_iii,"axG",@progbits,_ZL13mul_mat_vec_qIfLi32ELi4E10block_q4_1Li2EXadL_ZL17vec_dot_q4_1_q8_1PKvPK10block_q8_1RKiEEEvS2_S2_PT_iii,comdat
	.globl	_ZL13mul_mat_vec_qIfLi32ELi4E10block_q4_1Li2EXadL_ZL17vec_dot_q4_1_q8_1PKvPK10block_q8_1RKiEEEvS2_S2_PT_iii ; -- Begin function _ZL13mul_mat_vec_qIfLi32ELi4E10block_q4_1Li2EXadL_ZL17vec_dot_q4_1_q8_1PKvPK10block_q8_1RKiEEEvS2_S2_PT_iii
	.p2align	8
	.type	_ZL13mul_mat_vec_qIfLi32ELi4E10block_q4_1Li2EXadL_ZL17vec_dot_q4_1_q8_1PKvPK10block_q8_1RKiEEEvS2_S2_PT_iii,@function
_ZL13mul_mat_vec_qIfLi32ELi4E10block_q4_1Li2EXadL_ZL17vec_dot_q4_1_q8_1PKvPK10block_q8_1RKiEEEvS2_S2_PT_iii: ; @_ZL13mul_mat_vec_qIfLi32ELi4E10block_q4_1Li2EXadL_ZL17vec_dot_q4_1_q8_1PKvPK10block_q8_1RKiEEEvS2_S2_PT_iii
; %bb.0:
	s_clause 0x1
	s_load_u16 s2, s[0:1], 0x36
	s_load_b96 s[4:6], s[0:1], 0x18
	s_bfe_u32 s7, ttmp6, 0x4000c
	s_bfe_u32 s8, ttmp6, 0x40010
	s_add_co_i32 s7, s7, 1
	s_add_co_i32 s8, s8, 1
	s_and_b32 s3, ttmp6, 15
	s_mul_i32 s7, ttmp9, s7
	s_mul_i32 s8, ttmp7, s8
	s_bfe_u32 s9, ttmp6, 0x40004
	s_add_co_i32 s3, s3, s7
	s_getreg_b32 s7, hwreg(HW_REG_IB_STS2, 6, 4)
	s_add_co_i32 s9, s9, s8
	v_bfe_u32 v1, v0, 10, 10
	s_cmp_eq_u32 s7, 0
	s_cselect_b32 s3, ttmp9, s3
	s_cselect_b32 s8, ttmp7, s9
	s_wait_kmcnt 0x0
	v_mad_u32 v4, s3, s2, v1
	s_cmp_lt_u32 s8, s6
	s_cselect_b32 s2, -1, 0
	s_delay_alu instid0(VALU_DEP_1) | instskip(SKIP_1) | instid1(SALU_CYCLE_1)
	v_cmp_gt_u32_e32 vcc_lo, s5, v4
	s_and_b32 s2, s2, vcc_lo
	s_and_saveexec_b32 s3, s2
	s_cbranch_execz .LBB59_7
; %bb.1:
	s_load_b64 s[6:7], s[0:1], 0x10
	s_ashr_i32 s2, s4, 31
	v_bfe_u32 v6, v0, 1, 9
	s_lshr_b32 s2, s2, 27
	v_and_b32_e32 v5, 0x3ff, v0
	v_mov_b32_e32 v7, 0
	s_add_co_i32 s2, s4, s2
	s_mov_b32 s9, exec_lo
	s_ashr_i32 s10, s2, 5
	s_delay_alu instid0(SALU_CYCLE_1)
	v_cmpx_gt_u32_e64 s10, v6
	s_cbranch_execz .LBB59_5
; %bb.2:
	s_wait_xcnt 0x0
	s_load_b128 s[0:3], s[0:1], 0x0
	s_addk_co_i32 s4, 0x1ff
	v_mul_lo_u32 v8, v4, s10
	s_ashr_i32 s11, s4, 31
	v_dual_mov_b32 v1, 0 :: v_dual_lshlrev_b32 v0, 3, v5
	s_lshr_b32 s11, s11, 23
	v_mov_b32_e32 v3, 0.5
	s_add_co_i32 s4, s4, s11
	s_delay_alu instid0(VALU_DEP_2) | instskip(SKIP_3) | instid1(SALU_CYCLE_1)
	v_and_b32_e32 v0, 8, v0
	s_ashr_i32 s4, s4, 9
	v_mov_b32_e32 v7, v1
	s_mul_i32 s4, s8, s4
	s_lshl_b32 s11, s4, 4
	s_mov_b32 s4, 0
.LBB59_3:                               ; =>This Inner Loop Header: Depth=1
	v_dual_add_nc_u32 v2, v8, v6 :: v_dual_add_nc_u32 v9, s11, v6
	v_add_nc_u32_e32 v6, 16, v6
	s_wait_kmcnt 0x0
	s_delay_alu instid0(VALU_DEP_2) | instskip(NEXT) | instid1(VALU_DEP_3)
	v_mad_nc_i64_i32 v[10:11], v2, 20, s[0:1]
	v_mad_nc_i64_i32 v[12:13], v9, 36, s[2:3]
	s_delay_alu instid0(VALU_DEP_3) | instskip(SKIP_1) | instid1(VALU_DEP_3)
	v_cmp_le_u32_e32 vcc_lo, s10, v6
	s_or_b32 s4, vcc_lo, s4
	v_add_nc_u64_e32 v[14:15], v[10:11], v[0:1]
	s_delay_alu instid0(VALU_DEP_3)
	v_add_nc_u64_e32 v[16:17], v[12:13], v[0:1]
	global_load_b64 v[18:19], v[14:15], off offset:4
	s_clause 0x1
	global_load_b64 v[20:21], v[16:17], off offset:4
	global_load_b64 v[22:23], v[16:17], off offset:20
	global_load_b32 v2, v[10:11], off
	global_load_b32 v9, v[12:13], off
	s_wait_loadcnt 0x4
	s_wait_xcnt 0x4
	v_dual_lshrrev_b32 v14, 4, v18 :: v_dual_lshrrev_b32 v15, 28, v18
	s_wait_loadcnt 0x2
	s_wait_xcnt 0x1
	v_lshrrev_b16 v11, 8, v22
	s_wait_xcnt 0x0
	v_bfe_u32 v12, v18, 24, 4
	v_and_b32_e32 v13, 0xf0f0f0f, v18
	v_bfe_u32 v16, v18, 16, 4
	v_and_b32_e32 v17, 15, v18
	v_bfe_u32 v26, v18, 20, 4
	v_bfe_u32 v18, v18, 4, 4
	v_dual_ashrrev_i32 v27, 24, v22 :: v_dual_lshrrev_b32 v31, 4, v19
	v_bfe_i32 v28, v22, 16, 8
	v_bfe_i32 v22, v22, 0, 8
	v_and_b32_e32 v30, 0xf0f0f0f, v19
	v_lshrrev_b16 v14, 8, v14
	v_lshrrev_b16 v10, 8, v20
	;; [unrolled: 1-line block ×3, first 2 shown]
	v_mul_i32_i24_e32 v18, v18, v22
	v_mul_i32_i24_e32 v22, v26, v28
	;; [unrolled: 1-line block ×3, first 2 shown]
	v_lshrrev_b16 v26, 8, v30
	v_lshrrev_b16 v27, 8, v31
	v_and_b32_e32 v14, 15, v14
	v_bfe_i32 v24, v20, 16, 8
	v_bfe_i32 v25, v20, 0, 8
	v_ashrrev_i32_e32 v20, 24, v20
	v_bfe_u32 v29, v19, 24, 4
	v_dual_lshrrev_b32 v32, 28, v19 :: v_dual_bitop2_b32 v34, 15, v19 bitop3:0x40
	v_dual_ashrrev_i32 v35, 24, v21 :: v_dual_ashrrev_i32 v39, 24, v23
	v_bfe_i32 v37, v21, 8, 8
	v_bfe_i32 v10, v10, 0, 8
	;; [unrolled: 1-line block ×3, first 2 shown]
	v_and_b32_e32 v13, 0xffff, v13
	v_and_b32_e32 v26, 0xffff, v26
	;; [unrolled: 1-line block ×3, first 2 shown]
	s_wait_loadcnt 0x0
	v_pk_mul_f16 v2, v2, v9
	v_and_b32_e32 v27, 15, v27
	v_bfe_u32 v33, v19, 16, 4
	v_bfe_i32 v36, v21, 16, 8
	v_bfe_i32 v21, v21, 0, 8
	v_bfe_u32 v38, v19, 20, 4
	v_bfe_u32 v19, v19, 4, 4
	v_bfe_i32 v40, v23, 16, 8
	v_bfe_i32 v41, v23, 8, 8
	;; [unrolled: 1-line block ×3, first 2 shown]
	v_mul_i32_i24_e32 v29, v35, v29
	v_mul_i32_i24_e32 v30, v39, v32
	v_mad_i32_i24 v12, v12, v20, v15
	v_mul_i32_i24_e32 v10, v13, v10
	v_mul_i32_i24_e32 v13, v37, v26
	v_and_b32_e32 v15, 0xffff, v27
	v_mul_i32_i24_e32 v11, v14, v11
	v_mul_i32_i24_e32 v21, v21, v34
	;; [unrolled: 1-line block ×5, first 2 shown]
	v_mad_i32_i24 v14, v17, v25, v18
	v_mad_i32_i24 v16, v16, v24, v22
	v_add3_u32 v12, v12, v29, v30
	v_mul_i32_i24_e32 v15, v41, v15
	v_add3_u32 v10, v10, v11, v13
	v_add3_u32 v11, v14, v21, v19
	;; [unrolled: 1-line block ×3, first 2 shown]
	s_delay_alu instid0(VALU_DEP_3) | instskip(SKIP_1) | instid1(VALU_DEP_2)
	v_add3_u32 v10, v10, v15, v12
	v_lshrrev_b32_e32 v12, 16, v2
	v_add3_u32 v9, v11, v9, v10
	v_cvt_f32_f16_e32 v10, v2
	s_delay_alu instid0(VALU_DEP_3) | instskip(NEXT) | instid1(VALU_DEP_3)
	v_cvt_f32_f16_e32 v11, v12
	v_cvt_f32_i32_e32 v2, v9
	s_delay_alu instid0(VALU_DEP_1) | instskip(NEXT) | instid1(VALU_DEP_1)
	v_pk_mul_f32 v[10:11], v[2:3], v[10:11]
	v_add_f32_e32 v2, v11, v10
	s_delay_alu instid0(VALU_DEP_1)
	v_add_f32_e32 v7, v7, v2
	s_and_not1_b32 exec_lo, exec_lo, s4
	s_cbranch_execnz .LBB59_3
; %bb.4:
	s_or_b32 exec_lo, exec_lo, s4
.LBB59_5:
	s_delay_alu instid0(SALU_CYCLE_1) | instskip(SKIP_1) | instid1(VALU_DEP_1)
	s_or_b32 exec_lo, exec_lo, s9
	v_mbcnt_lo_u32_b32 v0, -1, 0
	v_xor_b32_e32 v2, 8, v0
	v_xor_b32_e32 v1, 16, v0
	;; [unrolled: 1-line block ×3, first 2 shown]
	s_delay_alu instid0(VALU_DEP_2) | instskip(SKIP_4) | instid1(VALU_DEP_2)
	v_cmp_gt_i32_e32 vcc_lo, 32, v1
	v_cndmask_b32_e32 v1, v0, v1, vcc_lo
	v_cmp_gt_i32_e32 vcc_lo, 32, v2
	v_cndmask_b32_e32 v2, v0, v2, vcc_lo
	v_cmp_gt_i32_e32 vcc_lo, 32, v3
	v_dual_lshlrev_b32 v2, 2, v2 :: v_dual_lshlrev_b32 v1, 2, v1
	ds_bpermute_b32 v1, v1, v7
	s_wait_dscnt 0x0
	v_add_f32_e32 v1, v7, v1
	ds_bpermute_b32 v2, v2, v1
	s_wait_dscnt 0x0
	v_dual_cndmask_b32 v3, v0, v3, vcc_lo :: v_dual_add_f32 v1, v1, v2
	s_delay_alu instid0(VALU_DEP_1) | instskip(SKIP_3) | instid1(VALU_DEP_1)
	v_lshlrev_b32_e32 v3, 2, v3
	ds_bpermute_b32 v2, v3, v1
	s_wait_dscnt 0x0
	v_dual_add_f32 v1, v1, v2 :: v_dual_bitop2_b32 v3, 2, v0 bitop3:0x14
	v_cmp_gt_i32_e32 vcc_lo, 32, v3
	v_cndmask_b32_e32 v3, v0, v3, vcc_lo
	s_delay_alu instid0(VALU_DEP_1) | instskip(SKIP_2) | instid1(VALU_DEP_1)
	v_lshlrev_b32_e32 v3, 2, v3
	ds_bpermute_b32 v2, v3, v1
	v_xor_b32_e32 v3, 1, v0
	v_cmp_gt_i32_e32 vcc_lo, 32, v3
	v_cndmask_b32_e32 v3, v0, v3, vcc_lo
	v_cmp_eq_u32_e32 vcc_lo, 0, v5
	s_wait_dscnt 0x0
	s_delay_alu instid0(VALU_DEP_2)
	v_dual_add_f32 v0, v1, v2 :: v_dual_lshlrev_b32 v1, 2, v3
	ds_bpermute_b32 v1, v1, v0
	s_and_b32 exec_lo, exec_lo, vcc_lo
	s_cbranch_execz .LBB59_7
; %bb.6:
	v_mad_u32 v2, s5, s8, v4
	s_wait_dscnt 0x0
	v_add_f32_e32 v0, v0, v1
	s_wait_kmcnt 0x0
	global_store_b32 v2, v0, s[6:7] scale_offset
.LBB59_7:
	s_endpgm
	.section	.rodata,"a",@progbits
	.p2align	6, 0x0
	.amdhsa_kernel _ZL13mul_mat_vec_qIfLi32ELi4E10block_q4_1Li2EXadL_ZL17vec_dot_q4_1_q8_1PKvPK10block_q8_1RKiEEEvS2_S2_PT_iii
		.amdhsa_group_segment_fixed_size 0
		.amdhsa_private_segment_fixed_size 0
		.amdhsa_kernarg_size 296
		.amdhsa_user_sgpr_count 2
		.amdhsa_user_sgpr_dispatch_ptr 0
		.amdhsa_user_sgpr_queue_ptr 0
		.amdhsa_user_sgpr_kernarg_segment_ptr 1
		.amdhsa_user_sgpr_dispatch_id 0
		.amdhsa_user_sgpr_kernarg_preload_length 0
		.amdhsa_user_sgpr_kernarg_preload_offset 0
		.amdhsa_user_sgpr_private_segment_size 0
		.amdhsa_wavefront_size32 1
		.amdhsa_uses_dynamic_stack 0
		.amdhsa_enable_private_segment 0
		.amdhsa_system_sgpr_workgroup_id_x 1
		.amdhsa_system_sgpr_workgroup_id_y 1
		.amdhsa_system_sgpr_workgroup_id_z 0
		.amdhsa_system_sgpr_workgroup_info 0
		.amdhsa_system_vgpr_workitem_id 1
		.amdhsa_next_free_vgpr 42
		.amdhsa_next_free_sgpr 12
		.amdhsa_named_barrier_count 0
		.amdhsa_reserve_vcc 1
		.amdhsa_float_round_mode_32 0
		.amdhsa_float_round_mode_16_64 0
		.amdhsa_float_denorm_mode_32 3
		.amdhsa_float_denorm_mode_16_64 3
		.amdhsa_fp16_overflow 0
		.amdhsa_memory_ordered 1
		.amdhsa_forward_progress 1
		.amdhsa_inst_pref_size 10
		.amdhsa_round_robin_scheduling 0
		.amdhsa_exception_fp_ieee_invalid_op 0
		.amdhsa_exception_fp_denorm_src 0
		.amdhsa_exception_fp_ieee_div_zero 0
		.amdhsa_exception_fp_ieee_overflow 0
		.amdhsa_exception_fp_ieee_underflow 0
		.amdhsa_exception_fp_ieee_inexact 0
		.amdhsa_exception_int_div_zero 0
	.end_amdhsa_kernel
	.section	.text._ZL13mul_mat_vec_qIfLi32ELi4E10block_q4_1Li2EXadL_ZL17vec_dot_q4_1_q8_1PKvPK10block_q8_1RKiEEEvS2_S2_PT_iii,"axG",@progbits,_ZL13mul_mat_vec_qIfLi32ELi4E10block_q4_1Li2EXadL_ZL17vec_dot_q4_1_q8_1PKvPK10block_q8_1RKiEEEvS2_S2_PT_iii,comdat
.Lfunc_end59:
	.size	_ZL13mul_mat_vec_qIfLi32ELi4E10block_q4_1Li2EXadL_ZL17vec_dot_q4_1_q8_1PKvPK10block_q8_1RKiEEEvS2_S2_PT_iii, .Lfunc_end59-_ZL13mul_mat_vec_qIfLi32ELi4E10block_q4_1Li2EXadL_ZL17vec_dot_q4_1_q8_1PKvPK10block_q8_1RKiEEEvS2_S2_PT_iii
                                        ; -- End function
	.set _ZL13mul_mat_vec_qIfLi32ELi4E10block_q4_1Li2EXadL_ZL17vec_dot_q4_1_q8_1PKvPK10block_q8_1RKiEEEvS2_S2_PT_iii.num_vgpr, 42
	.set _ZL13mul_mat_vec_qIfLi32ELi4E10block_q4_1Li2EXadL_ZL17vec_dot_q4_1_q8_1PKvPK10block_q8_1RKiEEEvS2_S2_PT_iii.num_agpr, 0
	.set _ZL13mul_mat_vec_qIfLi32ELi4E10block_q4_1Li2EXadL_ZL17vec_dot_q4_1_q8_1PKvPK10block_q8_1RKiEEEvS2_S2_PT_iii.numbered_sgpr, 12
	.set _ZL13mul_mat_vec_qIfLi32ELi4E10block_q4_1Li2EXadL_ZL17vec_dot_q4_1_q8_1PKvPK10block_q8_1RKiEEEvS2_S2_PT_iii.num_named_barrier, 0
	.set _ZL13mul_mat_vec_qIfLi32ELi4E10block_q4_1Li2EXadL_ZL17vec_dot_q4_1_q8_1PKvPK10block_q8_1RKiEEEvS2_S2_PT_iii.private_seg_size, 0
	.set _ZL13mul_mat_vec_qIfLi32ELi4E10block_q4_1Li2EXadL_ZL17vec_dot_q4_1_q8_1PKvPK10block_q8_1RKiEEEvS2_S2_PT_iii.uses_vcc, 1
	.set _ZL13mul_mat_vec_qIfLi32ELi4E10block_q4_1Li2EXadL_ZL17vec_dot_q4_1_q8_1PKvPK10block_q8_1RKiEEEvS2_S2_PT_iii.uses_flat_scratch, 0
	.set _ZL13mul_mat_vec_qIfLi32ELi4E10block_q4_1Li2EXadL_ZL17vec_dot_q4_1_q8_1PKvPK10block_q8_1RKiEEEvS2_S2_PT_iii.has_dyn_sized_stack, 0
	.set _ZL13mul_mat_vec_qIfLi32ELi4E10block_q4_1Li2EXadL_ZL17vec_dot_q4_1_q8_1PKvPK10block_q8_1RKiEEEvS2_S2_PT_iii.has_recursion, 0
	.set _ZL13mul_mat_vec_qIfLi32ELi4E10block_q4_1Li2EXadL_ZL17vec_dot_q4_1_q8_1PKvPK10block_q8_1RKiEEEvS2_S2_PT_iii.has_indirect_call, 0
	.section	.AMDGPU.csdata,"",@progbits
; Kernel info:
; codeLenInByte = 1184
; TotalNumSgprs: 14
; NumVgprs: 42
; ScratchSize: 0
; MemoryBound: 0
; FloatMode: 240
; IeeeMode: 1
; LDSByteSize: 0 bytes/workgroup (compile time only)
; SGPRBlocks: 0
; VGPRBlocks: 2
; NumSGPRsForWavesPerEU: 14
; NumVGPRsForWavesPerEU: 42
; NamedBarCnt: 0
; Occupancy: 16
; WaveLimiterHint : 0
; COMPUTE_PGM_RSRC2:SCRATCH_EN: 0
; COMPUTE_PGM_RSRC2:USER_SGPR: 2
; COMPUTE_PGM_RSRC2:TRAP_HANDLER: 0
; COMPUTE_PGM_RSRC2:TGID_X_EN: 1
; COMPUTE_PGM_RSRC2:TGID_Y_EN: 1
; COMPUTE_PGM_RSRC2:TGID_Z_EN: 0
; COMPUTE_PGM_RSRC2:TIDIG_COMP_CNT: 1
	.section	.text._ZL13mul_mat_vec_qIfLi32ELi4E10block_q5_0Li2EXadL_ZL17vec_dot_q5_0_q8_1PKvPK10block_q8_1RKiEEEvS2_S2_PT_iii,"axG",@progbits,_ZL13mul_mat_vec_qIfLi32ELi4E10block_q5_0Li2EXadL_ZL17vec_dot_q5_0_q8_1PKvPK10block_q8_1RKiEEEvS2_S2_PT_iii,comdat
	.globl	_ZL13mul_mat_vec_qIfLi32ELi4E10block_q5_0Li2EXadL_ZL17vec_dot_q5_0_q8_1PKvPK10block_q8_1RKiEEEvS2_S2_PT_iii ; -- Begin function _ZL13mul_mat_vec_qIfLi32ELi4E10block_q5_0Li2EXadL_ZL17vec_dot_q5_0_q8_1PKvPK10block_q8_1RKiEEEvS2_S2_PT_iii
	.p2align	8
	.type	_ZL13mul_mat_vec_qIfLi32ELi4E10block_q5_0Li2EXadL_ZL17vec_dot_q5_0_q8_1PKvPK10block_q8_1RKiEEEvS2_S2_PT_iii,@function
_ZL13mul_mat_vec_qIfLi32ELi4E10block_q5_0Li2EXadL_ZL17vec_dot_q5_0_q8_1PKvPK10block_q8_1RKiEEEvS2_S2_PT_iii: ; @_ZL13mul_mat_vec_qIfLi32ELi4E10block_q5_0Li2EXadL_ZL17vec_dot_q5_0_q8_1PKvPK10block_q8_1RKiEEEvS2_S2_PT_iii
; %bb.0:
	s_clause 0x1
	s_load_u16 s2, s[0:1], 0x36
	s_load_b96 s[4:6], s[0:1], 0x18
	s_bfe_u32 s7, ttmp6, 0x4000c
	s_bfe_u32 s8, ttmp6, 0x40010
	s_add_co_i32 s7, s7, 1
	s_add_co_i32 s8, s8, 1
	s_and_b32 s3, ttmp6, 15
	s_mul_i32 s7, ttmp9, s7
	s_mul_i32 s8, ttmp7, s8
	s_bfe_u32 s9, ttmp6, 0x40004
	s_add_co_i32 s3, s3, s7
	s_getreg_b32 s7, hwreg(HW_REG_IB_STS2, 6, 4)
	s_add_co_i32 s9, s9, s8
	v_bfe_u32 v1, v0, 10, 10
	s_cmp_eq_u32 s7, 0
	s_cselect_b32 s3, ttmp9, s3
	s_cselect_b32 s8, ttmp7, s9
	s_wait_kmcnt 0x0
	v_mad_u32 v4, s3, s2, v1
	s_cmp_lt_u32 s8, s6
	s_cselect_b32 s2, -1, 0
	s_delay_alu instid0(VALU_DEP_1) | instskip(SKIP_1) | instid1(SALU_CYCLE_1)
	v_cmp_gt_u32_e32 vcc_lo, s5, v4
	s_and_b32 s2, s2, vcc_lo
	s_and_saveexec_b32 s3, s2
	s_cbranch_execz .LBB60_7
; %bb.1:
	s_load_b64 s[6:7], s[0:1], 0x10
	s_ashr_i32 s2, s4, 31
	v_bfe_u32 v6, v0, 1, 9
	s_lshr_b32 s2, s2, 27
	v_and_b32_e32 v5, 0x3ff, v0
	v_mov_b32_e32 v7, 0
	s_add_co_i32 s2, s4, s2
	s_mov_b32 s9, exec_lo
	s_ashr_i32 s10, s2, 5
	s_delay_alu instid0(SALU_CYCLE_1)
	v_cmpx_gt_u32_e64 s10, v6
	s_cbranch_execz .LBB60_5
; %bb.2:
	s_wait_xcnt 0x0
	s_load_b128 s[0:3], s[0:1], 0x0
	v_dual_mov_b32 v1, 0 :: v_dual_lshlrev_b32 v0, 3, v5
	s_addk_co_i32 s4, 0x1ff
	v_mul_lo_u32 v8, v4, s10
	s_ashr_i32 s11, s4, 31
	s_delay_alu instid0(VALU_DEP_2) | instskip(SKIP_3) | instid1(VALU_DEP_2)
	v_dual_mov_b32 v7, v1 :: v_dual_bitop2_b32 v0, 8, v0 bitop3:0x40
	s_lshr_b32 s11, s11, 23
	v_mov_b32_e32 v3, 0x41000000
	s_add_co_i32 s4, s4, s11
	v_or_b32_e32 v9, 4, v0
	s_ashr_i32 s4, s4, 9
	s_delay_alu instid0(SALU_CYCLE_1) | instskip(NEXT) | instid1(SALU_CYCLE_1)
	s_mul_i32 s4, s8, s4
	s_lshl_b32 s11, s4, 4
	s_mov_b32 s4, 0
.LBB60_3:                               ; =>This Inner Loop Header: Depth=1
	v_dual_add_nc_u32 v2, v8, v6 :: v_dual_add_nc_u32 v12, s11, v6
	v_add_nc_u32_e32 v6, 16, v6
	s_wait_kmcnt 0x0
	s_delay_alu instid0(VALU_DEP_2) | instskip(NEXT) | instid1(VALU_DEP_3)
	v_mad_nc_i64_i32 v[10:11], v2, 22, s[0:1]
	v_mad_nc_i64_i32 v[12:13], v12, 36, s[2:3]
	s_delay_alu instid0(VALU_DEP_3)
	v_cmp_le_u32_e32 vcc_lo, s10, v6
	s_or_b32 s4, vcc_lo, s4
	global_load_b32 v2, v[10:11], off offset:2
	v_add_nc_u64_e32 v[14:15], v[10:11], v[0:1]
	v_add_nc_u64_e32 v[16:17], v[12:13], v[0:1]
	global_load_b64 v[18:19], v[14:15], off offset:6
	s_clause 0x2
	global_load_b64 v[20:21], v[16:17], off offset:4
	global_load_b64 v[22:23], v[16:17], off offset:20
	global_load_b32 v24, v[12:13], off
	global_load_u16 v25, v[10:11], off
	s_wait_loadcnt 0x5
	s_wait_xcnt 0x0
	v_dual_ashrrev_i32 v10, v0, v2 :: v_dual_ashrrev_i32 v2, v9, v2
	s_wait_loadcnt 0x4
	v_and_b32_e32 v35, 0xf0f0f0f, v18
	s_delay_alu instid0(VALU_DEP_2)
	v_dual_lshlrev_b32 v11, 4, v10 :: v_dual_lshlrev_b32 v12, 11, v10
	v_dual_lshlrev_b32 v13, 18, v10 :: v_dual_lshlrev_b32 v14, 25, v10
	v_dual_lshrrev_b32 v15, 12, v10 :: v_dual_lshrrev_b32 v16, 5, v10
	v_dual_lshlrev_b32 v26, 4, v2 :: v_dual_lshlrev_b32 v27, 11, v2
	v_dual_lshlrev_b32 v17, 2, v10 :: v_dual_lshlrev_b32 v10, 9, v10
	;; [unrolled: 1-line block ×3, first 2 shown]
	v_dual_lshrrev_b32 v30, 12, v2 :: v_dual_lshrrev_b32 v31, 5, v2
	v_and_b32_e32 v40, 0xf0f0f0f, v19
	v_dual_lshrrev_b32 v19, 4, v19 :: v_dual_bitop2_b32 v26, 16, v26 bitop3:0x40
	v_and_b32_e32 v12, 0x1000, v12
	v_and_b32_e32 v15, 16, v15
	v_and_or_b32 v14, 0x10000000, v14, v35
	v_dual_lshlrev_b32 v32, 2, v2 :: v_dual_bitop2_b32 v11, 16, v11 bitop3:0x40
	v_lshlrev_b32_e32 v2, 9, v2
	s_wait_loadcnt 0x3
	v_lshrrev_b16 v33, 8, v20
	v_bfe_i32 v36, v20, 0, 8
	v_bfe_i32 v37, v20, 16, 8
	v_dual_ashrrev_i32 v20, 24, v20 :: v_dual_lshrrev_b32 v18, 4, v18
	s_wait_loadcnt 0x2
	v_dual_ashrrev_i32 v44, 24, v23 :: v_dual_bitop2_b32 v30, 16, v30 bitop3:0x40
	v_and_b32_e32 v17, 0x100000, v17
	v_and_b32_e32 v10, 0x10000000, v10
	v_and_b32_e32 v28, 0x100000, v28
	v_and_b32_e32 v29, 0x10000000, v29
	v_lshrrev_b32_e32 v14, 24, v14
	v_or3_b32 v11, v11, v35, v12
	v_and_or_b32 v12, 0x1000, v16, v15
	v_and_or_b32 v15, 0x1000, v27, v26
	v_and_b32_e32 v32, 0x100000, v32
	v_and_b32_e32 v2, 0x10000000, v2
	v_and_b32_e32 v18, 0xf0f0f0f, v18
	v_and_or_b32 v16, 0x1000, v31, v30
	v_or3_b32 v10, v12, v17, v10
	v_or3_b32 v12, v15, v28, v29
	v_lshrrev_b16 v34, 8, v22
	v_dual_ashrrev_i32 v38, 24, v22 :: v_dual_ashrrev_i32 v41, 24, v21
	v_bfe_i32 v39, v22, 16, 8
	v_bfe_i32 v22, v22, 0, 8
	v_and_b32_e32 v13, 0x100000, v13
	v_and_b32_e32 v19, 0xf0f0f0f, v19
	v_or3_b32 v2, v16, v32, v2
	v_or_b32_e32 v17, v12, v40
	v_or_b32_e32 v16, v10, v18
	v_bitop3_b32 v10, v10, 31, v18 bitop3:0xc8
	v_bfe_i32 v42, v21, 16, 8
	v_bfe_i32 v43, v21, 8, 8
	;; [unrolled: 1-line block ×6, first 2 shown]
	v_lshrrev_b16 v27, 8, v11
	v_bitop3_b32 v12, v12, 31, v40 bitop3:0xc8
	v_or_b32_e32 v18, v2, v19
	v_or_b32_e32 v26, v11, v13
	v_bitop3_b32 v11, v11, 31, v13 bitop3:0xc8
	v_bitop3_b32 v2, v2, 31, v19 bitop3:0xc8
	v_mul_i32_i24_e32 v10, v10, v22
	v_mul_i32_i24_e32 v12, v21, v12
	v_and_b32_e32 v15, 0xffff, v27
	v_lshrrev_b32_e32 v22, 24, v17
	v_mul_i32_i24_e32 v2, v23, v2
	v_mad_i32_i24 v10, v11, v36, v10
	v_lshrrev_b32_e32 v19, 24, v16
	v_lshrrev_b16 v27, 8, v17
	v_bfe_i32 v33, v33, 0, 8
	v_bfe_i32 v34, v34, 0, 8
	v_add3_u32 v2, v10, v2, v12
	s_wait_loadcnt 0x1
	v_dual_lshrrev_b32 v12, 16, v24 :: v_dual_lshrrev_b32 v21, 24, v18
	v_bfe_u32 v13, v26, 16, 5
	v_lshrrev_b16 v26, 8, v16
	v_lshrrev_b16 v28, 8, v18
	v_bfe_u32 v16, v16, 16, 5
	v_mul_i32_i24_e32 v19, v19, v38
	v_mul_i32_i24_e32 v15, v15, v33
	v_and_b32_e32 v23, 0xffff, v26
	v_and_b32_e32 v26, 0xffff, v27
	;; [unrolled: 1-line block ×3, first 2 shown]
	v_bfe_u32 v17, v17, 16, 5
	v_bfe_u32 v18, v18, 16, 5
	v_mul_i32_i24_e32 v16, v16, v39
	v_mul_i32_i24_e32 v22, v41, v22
	;; [unrolled: 1-line block ×5, first 2 shown]
	v_mad_i32_i24 v14, v14, v20, v19
	v_mul_i32_i24_e32 v17, v42, v17
	v_mul_i32_i24_e32 v18, v45, v18
	;; [unrolled: 1-line block ×3, first 2 shown]
	v_mad_i32_i24 v13, v13, v37, v16
	v_add3_u32 v15, v15, v23, v27
	v_add3_u32 v14, v14, v21, v22
	s_delay_alu instid0(VALU_DEP_3) | instskip(NEXT) | instid1(VALU_DEP_2)
	v_add3_u32 v10, v13, v18, v17
	v_add3_u32 v11, v15, v11, v14
	s_delay_alu instid0(VALU_DEP_1) | instskip(SKIP_2) | instid1(VALU_DEP_3)
	v_add3_u32 v2, v2, v10, v11
	v_cvt_f32_f16_e32 v10, v24
	v_cvt_f32_f16_e32 v11, v12
	v_cvt_f32_i32_e32 v2, v2
	s_delay_alu instid0(VALU_DEP_1) | instskip(NEXT) | instid1(VALU_DEP_1)
	v_pk_mul_f32 v[10:11], v[2:3], v[10:11]
	v_sub_f32_e32 v2, v10, v11
	s_wait_loadcnt 0x0
	s_delay_alu instid0(VALU_DEP_1)
	v_fma_mix_f32 v7, v2, v25, v7 op_sel_hi:[0,1,0]
	s_and_not1_b32 exec_lo, exec_lo, s4
	s_cbranch_execnz .LBB60_3
; %bb.4:
	s_or_b32 exec_lo, exec_lo, s4
.LBB60_5:
	s_delay_alu instid0(SALU_CYCLE_1) | instskip(SKIP_1) | instid1(VALU_DEP_1)
	s_or_b32 exec_lo, exec_lo, s9
	v_mbcnt_lo_u32_b32 v0, -1, 0
	v_xor_b32_e32 v2, 8, v0
	v_xor_b32_e32 v1, 16, v0
	;; [unrolled: 1-line block ×3, first 2 shown]
	s_delay_alu instid0(VALU_DEP_2) | instskip(SKIP_4) | instid1(VALU_DEP_2)
	v_cmp_gt_i32_e32 vcc_lo, 32, v1
	v_cndmask_b32_e32 v1, v0, v1, vcc_lo
	v_cmp_gt_i32_e32 vcc_lo, 32, v2
	v_cndmask_b32_e32 v2, v0, v2, vcc_lo
	v_cmp_gt_i32_e32 vcc_lo, 32, v3
	v_dual_lshlrev_b32 v2, 2, v2 :: v_dual_lshlrev_b32 v1, 2, v1
	ds_bpermute_b32 v1, v1, v7
	s_wait_dscnt 0x0
	v_add_f32_e32 v1, v7, v1
	ds_bpermute_b32 v2, v2, v1
	s_wait_dscnt 0x0
	v_dual_cndmask_b32 v3, v0, v3, vcc_lo :: v_dual_add_f32 v1, v1, v2
	s_delay_alu instid0(VALU_DEP_1) | instskip(SKIP_3) | instid1(VALU_DEP_1)
	v_lshlrev_b32_e32 v3, 2, v3
	ds_bpermute_b32 v2, v3, v1
	s_wait_dscnt 0x0
	v_dual_add_f32 v1, v1, v2 :: v_dual_bitop2_b32 v3, 2, v0 bitop3:0x14
	v_cmp_gt_i32_e32 vcc_lo, 32, v3
	v_cndmask_b32_e32 v3, v0, v3, vcc_lo
	s_delay_alu instid0(VALU_DEP_1) | instskip(SKIP_2) | instid1(VALU_DEP_1)
	v_lshlrev_b32_e32 v3, 2, v3
	ds_bpermute_b32 v2, v3, v1
	v_xor_b32_e32 v3, 1, v0
	v_cmp_gt_i32_e32 vcc_lo, 32, v3
	v_cndmask_b32_e32 v3, v0, v3, vcc_lo
	v_cmp_eq_u32_e32 vcc_lo, 0, v5
	s_wait_dscnt 0x0
	s_delay_alu instid0(VALU_DEP_2)
	v_dual_add_f32 v0, v1, v2 :: v_dual_lshlrev_b32 v1, 2, v3
	ds_bpermute_b32 v1, v1, v0
	s_and_b32 exec_lo, exec_lo, vcc_lo
	s_cbranch_execz .LBB60_7
; %bb.6:
	v_mad_u32 v2, s5, s8, v4
	s_wait_dscnt 0x0
	v_add_f32_e32 v0, v0, v1
	s_wait_kmcnt 0x0
	global_store_b32 v2, v0, s[6:7] scale_offset
.LBB60_7:
	s_endpgm
	.section	.rodata,"a",@progbits
	.p2align	6, 0x0
	.amdhsa_kernel _ZL13mul_mat_vec_qIfLi32ELi4E10block_q5_0Li2EXadL_ZL17vec_dot_q5_0_q8_1PKvPK10block_q8_1RKiEEEvS2_S2_PT_iii
		.amdhsa_group_segment_fixed_size 0
		.amdhsa_private_segment_fixed_size 0
		.amdhsa_kernarg_size 296
		.amdhsa_user_sgpr_count 2
		.amdhsa_user_sgpr_dispatch_ptr 0
		.amdhsa_user_sgpr_queue_ptr 0
		.amdhsa_user_sgpr_kernarg_segment_ptr 1
		.amdhsa_user_sgpr_dispatch_id 0
		.amdhsa_user_sgpr_kernarg_preload_length 0
		.amdhsa_user_sgpr_kernarg_preload_offset 0
		.amdhsa_user_sgpr_private_segment_size 0
		.amdhsa_wavefront_size32 1
		.amdhsa_uses_dynamic_stack 0
		.amdhsa_enable_private_segment 0
		.amdhsa_system_sgpr_workgroup_id_x 1
		.amdhsa_system_sgpr_workgroup_id_y 1
		.amdhsa_system_sgpr_workgroup_id_z 0
		.amdhsa_system_sgpr_workgroup_info 0
		.amdhsa_system_vgpr_workitem_id 1
		.amdhsa_next_free_vgpr 47
		.amdhsa_next_free_sgpr 12
		.amdhsa_named_barrier_count 0
		.amdhsa_reserve_vcc 1
		.amdhsa_float_round_mode_32 0
		.amdhsa_float_round_mode_16_64 0
		.amdhsa_float_denorm_mode_32 3
		.amdhsa_float_denorm_mode_16_64 3
		.amdhsa_fp16_overflow 0
		.amdhsa_memory_ordered 1
		.amdhsa_forward_progress 1
		.amdhsa_inst_pref_size 12
		.amdhsa_round_robin_scheduling 0
		.amdhsa_exception_fp_ieee_invalid_op 0
		.amdhsa_exception_fp_denorm_src 0
		.amdhsa_exception_fp_ieee_div_zero 0
		.amdhsa_exception_fp_ieee_overflow 0
		.amdhsa_exception_fp_ieee_underflow 0
		.amdhsa_exception_fp_ieee_inexact 0
		.amdhsa_exception_int_div_zero 0
	.end_amdhsa_kernel
	.section	.text._ZL13mul_mat_vec_qIfLi32ELi4E10block_q5_0Li2EXadL_ZL17vec_dot_q5_0_q8_1PKvPK10block_q8_1RKiEEEvS2_S2_PT_iii,"axG",@progbits,_ZL13mul_mat_vec_qIfLi32ELi4E10block_q5_0Li2EXadL_ZL17vec_dot_q5_0_q8_1PKvPK10block_q8_1RKiEEEvS2_S2_PT_iii,comdat
.Lfunc_end60:
	.size	_ZL13mul_mat_vec_qIfLi32ELi4E10block_q5_0Li2EXadL_ZL17vec_dot_q5_0_q8_1PKvPK10block_q8_1RKiEEEvS2_S2_PT_iii, .Lfunc_end60-_ZL13mul_mat_vec_qIfLi32ELi4E10block_q5_0Li2EXadL_ZL17vec_dot_q5_0_q8_1PKvPK10block_q8_1RKiEEEvS2_S2_PT_iii
                                        ; -- End function
	.set _ZL13mul_mat_vec_qIfLi32ELi4E10block_q5_0Li2EXadL_ZL17vec_dot_q5_0_q8_1PKvPK10block_q8_1RKiEEEvS2_S2_PT_iii.num_vgpr, 47
	.set _ZL13mul_mat_vec_qIfLi32ELi4E10block_q5_0Li2EXadL_ZL17vec_dot_q5_0_q8_1PKvPK10block_q8_1RKiEEEvS2_S2_PT_iii.num_agpr, 0
	.set _ZL13mul_mat_vec_qIfLi32ELi4E10block_q5_0Li2EXadL_ZL17vec_dot_q5_0_q8_1PKvPK10block_q8_1RKiEEEvS2_S2_PT_iii.numbered_sgpr, 12
	.set _ZL13mul_mat_vec_qIfLi32ELi4E10block_q5_0Li2EXadL_ZL17vec_dot_q5_0_q8_1PKvPK10block_q8_1RKiEEEvS2_S2_PT_iii.num_named_barrier, 0
	.set _ZL13mul_mat_vec_qIfLi32ELi4E10block_q5_0Li2EXadL_ZL17vec_dot_q5_0_q8_1PKvPK10block_q8_1RKiEEEvS2_S2_PT_iii.private_seg_size, 0
	.set _ZL13mul_mat_vec_qIfLi32ELi4E10block_q5_0Li2EXadL_ZL17vec_dot_q5_0_q8_1PKvPK10block_q8_1RKiEEEvS2_S2_PT_iii.uses_vcc, 1
	.set _ZL13mul_mat_vec_qIfLi32ELi4E10block_q5_0Li2EXadL_ZL17vec_dot_q5_0_q8_1PKvPK10block_q8_1RKiEEEvS2_S2_PT_iii.uses_flat_scratch, 0
	.set _ZL13mul_mat_vec_qIfLi32ELi4E10block_q5_0Li2EXadL_ZL17vec_dot_q5_0_q8_1PKvPK10block_q8_1RKiEEEvS2_S2_PT_iii.has_dyn_sized_stack, 0
	.set _ZL13mul_mat_vec_qIfLi32ELi4E10block_q5_0Li2EXadL_ZL17vec_dot_q5_0_q8_1PKvPK10block_q8_1RKiEEEvS2_S2_PT_iii.has_recursion, 0
	.set _ZL13mul_mat_vec_qIfLi32ELi4E10block_q5_0Li2EXadL_ZL17vec_dot_q5_0_q8_1PKvPK10block_q8_1RKiEEEvS2_S2_PT_iii.has_indirect_call, 0
	.section	.AMDGPU.csdata,"",@progbits
; Kernel info:
; codeLenInByte = 1508
; TotalNumSgprs: 14
; NumVgprs: 47
; ScratchSize: 0
; MemoryBound: 0
; FloatMode: 240
; IeeeMode: 1
; LDSByteSize: 0 bytes/workgroup (compile time only)
; SGPRBlocks: 0
; VGPRBlocks: 2
; NumSGPRsForWavesPerEU: 14
; NumVGPRsForWavesPerEU: 47
; NamedBarCnt: 0
; Occupancy: 16
; WaveLimiterHint : 0
; COMPUTE_PGM_RSRC2:SCRATCH_EN: 0
; COMPUTE_PGM_RSRC2:USER_SGPR: 2
; COMPUTE_PGM_RSRC2:TRAP_HANDLER: 0
; COMPUTE_PGM_RSRC2:TGID_X_EN: 1
; COMPUTE_PGM_RSRC2:TGID_Y_EN: 1
; COMPUTE_PGM_RSRC2:TGID_Z_EN: 0
; COMPUTE_PGM_RSRC2:TIDIG_COMP_CNT: 1
	.section	.text._ZL13mul_mat_vec_qIfLi32ELi4E10block_q5_1Li2EXadL_ZL17vec_dot_q5_1_q8_1PKvPK10block_q8_1RKiEEEvS2_S2_PT_iii,"axG",@progbits,_ZL13mul_mat_vec_qIfLi32ELi4E10block_q5_1Li2EXadL_ZL17vec_dot_q5_1_q8_1PKvPK10block_q8_1RKiEEEvS2_S2_PT_iii,comdat
	.globl	_ZL13mul_mat_vec_qIfLi32ELi4E10block_q5_1Li2EXadL_ZL17vec_dot_q5_1_q8_1PKvPK10block_q8_1RKiEEEvS2_S2_PT_iii ; -- Begin function _ZL13mul_mat_vec_qIfLi32ELi4E10block_q5_1Li2EXadL_ZL17vec_dot_q5_1_q8_1PKvPK10block_q8_1RKiEEEvS2_S2_PT_iii
	.p2align	8
	.type	_ZL13mul_mat_vec_qIfLi32ELi4E10block_q5_1Li2EXadL_ZL17vec_dot_q5_1_q8_1PKvPK10block_q8_1RKiEEEvS2_S2_PT_iii,@function
_ZL13mul_mat_vec_qIfLi32ELi4E10block_q5_1Li2EXadL_ZL17vec_dot_q5_1_q8_1PKvPK10block_q8_1RKiEEEvS2_S2_PT_iii: ; @_ZL13mul_mat_vec_qIfLi32ELi4E10block_q5_1Li2EXadL_ZL17vec_dot_q5_1_q8_1PKvPK10block_q8_1RKiEEEvS2_S2_PT_iii
; %bb.0:
	s_clause 0x1
	s_load_u16 s2, s[0:1], 0x36
	s_load_b96 s[4:6], s[0:1], 0x18
	s_bfe_u32 s7, ttmp6, 0x4000c
	s_bfe_u32 s8, ttmp6, 0x40010
	s_add_co_i32 s7, s7, 1
	s_add_co_i32 s8, s8, 1
	s_and_b32 s3, ttmp6, 15
	s_mul_i32 s7, ttmp9, s7
	s_mul_i32 s8, ttmp7, s8
	s_bfe_u32 s9, ttmp6, 0x40004
	s_add_co_i32 s3, s3, s7
	s_getreg_b32 s7, hwreg(HW_REG_IB_STS2, 6, 4)
	s_add_co_i32 s9, s9, s8
	v_bfe_u32 v1, v0, 10, 10
	s_cmp_eq_u32 s7, 0
	s_cselect_b32 s3, ttmp9, s3
	s_cselect_b32 s8, ttmp7, s9
	s_wait_kmcnt 0x0
	v_mad_u32 v6, s3, s2, v1
	s_cmp_lt_u32 s8, s6
	s_cselect_b32 s2, -1, 0
	s_delay_alu instid0(VALU_DEP_1) | instskip(SKIP_1) | instid1(SALU_CYCLE_1)
	v_cmp_gt_u32_e32 vcc_lo, s5, v6
	s_and_b32 s2, s2, vcc_lo
	s_and_saveexec_b32 s3, s2
	s_cbranch_execz .LBB61_7
; %bb.1:
	s_load_b64 s[6:7], s[0:1], 0x10
	s_ashr_i32 s2, s4, 31
	v_bfe_u32 v8, v0, 1, 9
	s_lshr_b32 s2, s2, 27
	v_and_b32_e32 v7, 0x3ff, v0
	v_mov_b32_e32 v9, 0
	s_add_co_i32 s2, s4, s2
	s_mov_b32 s9, exec_lo
	s_ashr_i32 s10, s2, 5
	s_delay_alu instid0(SALU_CYCLE_1)
	v_cmpx_gt_u32_e64 s10, v8
	s_cbranch_execz .LBB61_5
; %bb.2:
	s_wait_xcnt 0x0
	s_load_b128 s[0:3], s[0:1], 0x0
	v_dual_mov_b32 v1, 0 :: v_dual_lshlrev_b32 v0, 3, v7
	s_addk_co_i32 s4, 0x1ff
	v_mul_lo_u32 v10, v6, s10
	s_ashr_i32 s11, s4, 31
	s_delay_alu instid0(VALU_DEP_2) | instskip(SKIP_3) | instid1(VALU_DEP_2)
	v_dual_mov_b32 v3, 0.5 :: v_dual_bitop2_b32 v0, 8, v0 bitop3:0x40
	s_lshr_b32 s11, s11, 23
	v_mov_b32_e32 v9, v1
	s_add_co_i32 s4, s4, s11
	v_or_b32_e32 v11, 4, v0
	s_ashr_i32 s4, s4, 9
	s_delay_alu instid0(SALU_CYCLE_1) | instskip(NEXT) | instid1(SALU_CYCLE_1)
	s_mul_i32 s4, s8, s4
	s_lshl_b32 s11, s4, 4
	s_mov_b32 s4, 0
.LBB61_3:                               ; =>This Inner Loop Header: Depth=1
	v_dual_add_nc_u32 v2, v10, v8 :: v_dual_add_nc_u32 v4, s11, v8
	v_add_nc_u32_e32 v8, 16, v8
	s_wait_kmcnt 0x0
	s_delay_alu instid0(VALU_DEP_2) | instskip(NEXT) | instid1(VALU_DEP_3)
	v_mad_nc_i64_i32 v[12:13], v2, 24, s[0:1]
	v_mad_nc_i64_i32 v[14:15], v4, 36, s[2:3]
	s_delay_alu instid0(VALU_DEP_3)
	v_cmp_le_u32_e32 vcc_lo, s10, v8
	s_or_b32 s4, vcc_lo, s4
	global_load_b64 v[4:5], v[12:13], off
	s_wait_xcnt 0x0
	v_add_nc_u64_e32 v[12:13], v[12:13], v[0:1]
	v_add_nc_u64_e32 v[16:17], v[14:15], v[0:1]
	global_load_b64 v[18:19], v[12:13], off offset:8
	s_clause 0x2
	global_load_b64 v[20:21], v[16:17], off offset:4
	global_load_b64 v[22:23], v[16:17], off offset:20
	global_load_b32 v2, v[14:15], off
	s_wait_loadcnt 0x4
	s_wait_xcnt 0x3
	v_dual_ashrrev_i32 v12, v0, v5 :: v_dual_ashrrev_i32 v5, v11, v5
	s_wait_xcnt 0x0
	s_delay_alu instid0(VALU_DEP_1)
	v_dual_lshlrev_b32 v13, 4, v12 :: v_dual_lshlrev_b32 v14, 11, v12
	v_dual_lshlrev_b32 v15, 18, v12 :: v_dual_lshlrev_b32 v16, 25, v12
	v_dual_lshrrev_b32 v17, 12, v12 :: v_dual_lshrrev_b32 v24, 5, v12
	v_dual_lshlrev_b32 v26, 4, v5 :: v_dual_lshlrev_b32 v27, 11, v5
	v_dual_lshrrev_b32 v30, 12, v5 :: v_dual_lshrrev_b32 v31, 5, v5
	s_wait_loadcnt 0x3
	v_and_b32_e32 v35, 0xf0f0f0f, v18
	v_dual_lshlrev_b32 v25, 2, v12 :: v_dual_lshlrev_b32 v12, 9, v12
	v_dual_lshlrev_b32 v28, 18, v5 :: v_dual_lshlrev_b32 v29, 25, v5
	;; [unrolled: 1-line block ×3, first 2 shown]
	v_and_b32_e32 v40, 0xf0f0f0f, v19
	v_dual_lshrrev_b32 v19, 4, v19 :: v_dual_bitop2_b32 v13, 16, v13 bitop3:0x40
	s_wait_loadcnt 0x1
	v_dual_ashrrev_i32 v44, 24, v23 :: v_dual_bitop2_b32 v17, 16, v17 bitop3:0x40
	v_and_b32_e32 v14, 0x1000, v14
	v_and_b32_e32 v30, 16, v30
	v_and_or_b32 v16, 0x10000000, v16, v35
	v_and_b32_e32 v26, 16, v26
	v_lshrrev_b16 v33, 8, v20
	v_bfe_i32 v36, v20, 0, 8
	v_bfe_i32 v37, v20, 16, 8
	v_dual_ashrrev_i32 v20, 24, v20 :: v_dual_lshrrev_b32 v18, 4, v18
	v_and_b32_e32 v25, 0x100000, v25
	v_and_b32_e32 v12, 0x10000000, v12
	;; [unrolled: 1-line block ×6, first 2 shown]
	v_or3_b32 v13, v13, v35, v14
	v_and_or_b32 v14, 0x1000, v24, v17
	v_and_or_b32 v24, 0x1000, v31, v30
	v_lshrrev_b32_e32 v16, 24, v16
	v_and_or_b32 v17, 0x1000, v27, v26
	v_and_b32_e32 v15, 0x100000, v15
	v_and_b32_e32 v18, 0xf0f0f0f, v18
	;; [unrolled: 1-line block ×3, first 2 shown]
	v_or3_b32 v12, v14, v25, v12
	v_or3_b32 v14, v17, v28, v29
	;; [unrolled: 1-line block ×3, first 2 shown]
	v_lshrrev_b16 v34, 8, v22
	v_dual_ashrrev_i32 v38, 24, v22 :: v_dual_ashrrev_i32 v41, 24, v21
	v_bfe_i32 v39, v22, 16, 8
	v_bfe_i32 v22, v22, 0, 8
	;; [unrolled: 1-line block ×5, first 2 shown]
	v_lshrrev_b16 v27, 8, v13
	v_or_b32_e32 v25, v5, v19
	v_or_b32_e32 v24, v12, v18
	v_bitop3_b32 v12, v12, 31, v18 bitop3:0xc8
	s_wait_loadcnt 0x0
	v_pk_mul_f16 v2, v4, v2
	v_or_b32_e32 v18, v14, v40
	v_or_b32_e32 v26, v13, v15
	v_bitop3_b32 v14, v14, 31, v40 bitop3:0xc8
	v_bfe_i32 v45, v23, 16, 8
	v_bfe_i32 v46, v23, 8, 8
	;; [unrolled: 1-line block ×3, first 2 shown]
	v_bitop3_b32 v13, v13, 31, v15 bitop3:0xc8
	v_and_b32_e32 v17, 0xffff, v27
	v_bitop3_b32 v5, v5, 31, v19 bitop3:0xc8
	v_mul_i32_i24_e32 v12, v12, v22
	v_lshrrev_b32_e32 v22, 24, v18
	v_bfe_u32 v15, v26, 16, 5
	v_lshrrev_b16 v27, 8, v18
	v_mul_i32_i24_e32 v14, v21, v14
	v_dual_lshrrev_b32 v21, 24, v25 :: v_dual_lshrrev_b32 v19, 24, v24
	v_lshrrev_b16 v26, 8, v24
	v_lshrrev_b16 v28, 8, v25
	v_bfe_i32 v33, v33, 0, 8
	v_bfe_i32 v34, v34, 0, 8
	v_mul_i32_i24_e32 v5, v23, v5
	v_and_b32_e32 v23, 0xffff, v26
	v_mul_i32_i24_e32 v19, v19, v38
	v_and_b32_e32 v26, 0xffff, v27
	v_and_b32_e32 v27, 0xffff, v28
	v_mul_i32_i24_e32 v17, v17, v33
	v_mul_i32_i24_e32 v22, v41, v22
	;; [unrolled: 1-line block ×5, first 2 shown]
	v_mad_i32_i24 v16, v16, v20, v19
	v_bfe_u32 v24, v24, 16, 5
	v_mad_i32_i24 v12, v13, v36, v12
	v_mul_i32_i24_e32 v13, v43, v26
	v_add3_u32 v17, v17, v23, v27
	v_add3_u32 v16, v16, v21, v22
	v_bfe_u32 v25, v25, 16, 5
	v_mul_i32_i24_e32 v24, v24, v39
	v_add3_u32 v4, v12, v5, v14
	s_delay_alu instid0(VALU_DEP_4) | instskip(SKIP_4) | instid1(VALU_DEP_3)
	v_add3_u32 v12, v17, v13, v16
	v_lshrrev_b32_e32 v13, 16, v2
	v_bfe_u32 v18, v18, 16, 5
	v_mul_i32_i24_e32 v25, v45, v25
	v_mad_i32_i24 v15, v15, v37, v24
	v_mul_i32_i24_e32 v18, v42, v18
	s_delay_alu instid0(VALU_DEP_1) | instskip(NEXT) | instid1(VALU_DEP_1)
	v_add3_u32 v5, v15, v25, v18
	v_add3_u32 v12, v4, v5, v12
	v_cvt_f32_f16_e32 v4, v2
	v_cvt_f32_f16_e32 v5, v13
	s_delay_alu instid0(VALU_DEP_3) | instskip(NEXT) | instid1(VALU_DEP_1)
	v_cvt_f32_i32_e32 v2, v12
	v_pk_mul_f32 v[4:5], v[2:3], v[4:5]
	s_delay_alu instid0(VALU_DEP_1) | instskip(NEXT) | instid1(VALU_DEP_1)
	v_add_f32_e32 v2, v5, v4
	v_add_f32_e32 v9, v9, v2
	s_and_not1_b32 exec_lo, exec_lo, s4
	s_cbranch_execnz .LBB61_3
; %bb.4:
	s_or_b32 exec_lo, exec_lo, s4
.LBB61_5:
	s_delay_alu instid0(SALU_CYCLE_1) | instskip(SKIP_1) | instid1(VALU_DEP_1)
	s_or_b32 exec_lo, exec_lo, s9
	v_mbcnt_lo_u32_b32 v0, -1, 0
	v_xor_b32_e32 v2, 8, v0
	v_xor_b32_e32 v1, 16, v0
	v_xor_b32_e32 v3, 4, v0
	s_delay_alu instid0(VALU_DEP_2) | instskip(SKIP_4) | instid1(VALU_DEP_2)
	v_cmp_gt_i32_e32 vcc_lo, 32, v1
	v_cndmask_b32_e32 v1, v0, v1, vcc_lo
	v_cmp_gt_i32_e32 vcc_lo, 32, v2
	v_cndmask_b32_e32 v2, v0, v2, vcc_lo
	v_cmp_gt_i32_e32 vcc_lo, 32, v3
	v_dual_lshlrev_b32 v2, 2, v2 :: v_dual_lshlrev_b32 v1, 2, v1
	ds_bpermute_b32 v1, v1, v9
	s_wait_dscnt 0x0
	v_add_f32_e32 v1, v9, v1
	ds_bpermute_b32 v2, v2, v1
	s_wait_dscnt 0x0
	v_dual_cndmask_b32 v3, v0, v3, vcc_lo :: v_dual_add_f32 v1, v1, v2
	s_delay_alu instid0(VALU_DEP_1) | instskip(SKIP_3) | instid1(VALU_DEP_1)
	v_lshlrev_b32_e32 v3, 2, v3
	ds_bpermute_b32 v2, v3, v1
	s_wait_dscnt 0x0
	v_dual_add_f32 v1, v1, v2 :: v_dual_bitop2_b32 v3, 2, v0 bitop3:0x14
	v_cmp_gt_i32_e32 vcc_lo, 32, v3
	v_cndmask_b32_e32 v3, v0, v3, vcc_lo
	s_delay_alu instid0(VALU_DEP_1) | instskip(SKIP_2) | instid1(VALU_DEP_1)
	v_lshlrev_b32_e32 v3, 2, v3
	ds_bpermute_b32 v2, v3, v1
	v_xor_b32_e32 v3, 1, v0
	v_cmp_gt_i32_e32 vcc_lo, 32, v3
	v_cndmask_b32_e32 v3, v0, v3, vcc_lo
	v_cmp_eq_u32_e32 vcc_lo, 0, v7
	s_wait_dscnt 0x0
	s_delay_alu instid0(VALU_DEP_2)
	v_dual_add_f32 v0, v1, v2 :: v_dual_lshlrev_b32 v1, 2, v3
	ds_bpermute_b32 v1, v1, v0
	s_and_b32 exec_lo, exec_lo, vcc_lo
	s_cbranch_execz .LBB61_7
; %bb.6:
	v_mad_u32 v2, s5, s8, v6
	s_wait_dscnt 0x0
	v_add_f32_e32 v0, v0, v1
	s_wait_kmcnt 0x0
	global_store_b32 v2, v0, s[6:7] scale_offset
.LBB61_7:
	s_endpgm
	.section	.rodata,"a",@progbits
	.p2align	6, 0x0
	.amdhsa_kernel _ZL13mul_mat_vec_qIfLi32ELi4E10block_q5_1Li2EXadL_ZL17vec_dot_q5_1_q8_1PKvPK10block_q8_1RKiEEEvS2_S2_PT_iii
		.amdhsa_group_segment_fixed_size 0
		.amdhsa_private_segment_fixed_size 0
		.amdhsa_kernarg_size 296
		.amdhsa_user_sgpr_count 2
		.amdhsa_user_sgpr_dispatch_ptr 0
		.amdhsa_user_sgpr_queue_ptr 0
		.amdhsa_user_sgpr_kernarg_segment_ptr 1
		.amdhsa_user_sgpr_dispatch_id 0
		.amdhsa_user_sgpr_kernarg_preload_length 0
		.amdhsa_user_sgpr_kernarg_preload_offset 0
		.amdhsa_user_sgpr_private_segment_size 0
		.amdhsa_wavefront_size32 1
		.amdhsa_uses_dynamic_stack 0
		.amdhsa_enable_private_segment 0
		.amdhsa_system_sgpr_workgroup_id_x 1
		.amdhsa_system_sgpr_workgroup_id_y 1
		.amdhsa_system_sgpr_workgroup_id_z 0
		.amdhsa_system_sgpr_workgroup_info 0
		.amdhsa_system_vgpr_workitem_id 1
		.amdhsa_next_free_vgpr 47
		.amdhsa_next_free_sgpr 12
		.amdhsa_named_barrier_count 0
		.amdhsa_reserve_vcc 1
		.amdhsa_float_round_mode_32 0
		.amdhsa_float_round_mode_16_64 0
		.amdhsa_float_denorm_mode_32 3
		.amdhsa_float_denorm_mode_16_64 3
		.amdhsa_fp16_overflow 0
		.amdhsa_memory_ordered 1
		.amdhsa_forward_progress 1
		.amdhsa_inst_pref_size 12
		.amdhsa_round_robin_scheduling 0
		.amdhsa_exception_fp_ieee_invalid_op 0
		.amdhsa_exception_fp_denorm_src 0
		.amdhsa_exception_fp_ieee_div_zero 0
		.amdhsa_exception_fp_ieee_overflow 0
		.amdhsa_exception_fp_ieee_underflow 0
		.amdhsa_exception_fp_ieee_inexact 0
		.amdhsa_exception_int_div_zero 0
	.end_amdhsa_kernel
	.section	.text._ZL13mul_mat_vec_qIfLi32ELi4E10block_q5_1Li2EXadL_ZL17vec_dot_q5_1_q8_1PKvPK10block_q8_1RKiEEEvS2_S2_PT_iii,"axG",@progbits,_ZL13mul_mat_vec_qIfLi32ELi4E10block_q5_1Li2EXadL_ZL17vec_dot_q5_1_q8_1PKvPK10block_q8_1RKiEEEvS2_S2_PT_iii,comdat
.Lfunc_end61:
	.size	_ZL13mul_mat_vec_qIfLi32ELi4E10block_q5_1Li2EXadL_ZL17vec_dot_q5_1_q8_1PKvPK10block_q8_1RKiEEEvS2_S2_PT_iii, .Lfunc_end61-_ZL13mul_mat_vec_qIfLi32ELi4E10block_q5_1Li2EXadL_ZL17vec_dot_q5_1_q8_1PKvPK10block_q8_1RKiEEEvS2_S2_PT_iii
                                        ; -- End function
	.set _ZL13mul_mat_vec_qIfLi32ELi4E10block_q5_1Li2EXadL_ZL17vec_dot_q5_1_q8_1PKvPK10block_q8_1RKiEEEvS2_S2_PT_iii.num_vgpr, 47
	.set _ZL13mul_mat_vec_qIfLi32ELi4E10block_q5_1Li2EXadL_ZL17vec_dot_q5_1_q8_1PKvPK10block_q8_1RKiEEEvS2_S2_PT_iii.num_agpr, 0
	.set _ZL13mul_mat_vec_qIfLi32ELi4E10block_q5_1Li2EXadL_ZL17vec_dot_q5_1_q8_1PKvPK10block_q8_1RKiEEEvS2_S2_PT_iii.numbered_sgpr, 12
	.set _ZL13mul_mat_vec_qIfLi32ELi4E10block_q5_1Li2EXadL_ZL17vec_dot_q5_1_q8_1PKvPK10block_q8_1RKiEEEvS2_S2_PT_iii.num_named_barrier, 0
	.set _ZL13mul_mat_vec_qIfLi32ELi4E10block_q5_1Li2EXadL_ZL17vec_dot_q5_1_q8_1PKvPK10block_q8_1RKiEEEvS2_S2_PT_iii.private_seg_size, 0
	.set _ZL13mul_mat_vec_qIfLi32ELi4E10block_q5_1Li2EXadL_ZL17vec_dot_q5_1_q8_1PKvPK10block_q8_1RKiEEEvS2_S2_PT_iii.uses_vcc, 1
	.set _ZL13mul_mat_vec_qIfLi32ELi4E10block_q5_1Li2EXadL_ZL17vec_dot_q5_1_q8_1PKvPK10block_q8_1RKiEEEvS2_S2_PT_iii.uses_flat_scratch, 0
	.set _ZL13mul_mat_vec_qIfLi32ELi4E10block_q5_1Li2EXadL_ZL17vec_dot_q5_1_q8_1PKvPK10block_q8_1RKiEEEvS2_S2_PT_iii.has_dyn_sized_stack, 0
	.set _ZL13mul_mat_vec_qIfLi32ELi4E10block_q5_1Li2EXadL_ZL17vec_dot_q5_1_q8_1PKvPK10block_q8_1RKiEEEvS2_S2_PT_iii.has_recursion, 0
	.set _ZL13mul_mat_vec_qIfLi32ELi4E10block_q5_1Li2EXadL_ZL17vec_dot_q5_1_q8_1PKvPK10block_q8_1RKiEEEvS2_S2_PT_iii.has_indirect_call, 0
	.section	.AMDGPU.csdata,"",@progbits
; Kernel info:
; codeLenInByte = 1496
; TotalNumSgprs: 14
; NumVgprs: 47
; ScratchSize: 0
; MemoryBound: 0
; FloatMode: 240
; IeeeMode: 1
; LDSByteSize: 0 bytes/workgroup (compile time only)
; SGPRBlocks: 0
; VGPRBlocks: 2
; NumSGPRsForWavesPerEU: 14
; NumVGPRsForWavesPerEU: 47
; NamedBarCnt: 0
; Occupancy: 16
; WaveLimiterHint : 0
; COMPUTE_PGM_RSRC2:SCRATCH_EN: 0
; COMPUTE_PGM_RSRC2:USER_SGPR: 2
; COMPUTE_PGM_RSRC2:TRAP_HANDLER: 0
; COMPUTE_PGM_RSRC2:TGID_X_EN: 1
; COMPUTE_PGM_RSRC2:TGID_Y_EN: 1
; COMPUTE_PGM_RSRC2:TGID_Z_EN: 0
; COMPUTE_PGM_RSRC2:TIDIG_COMP_CNT: 1
	.section	.text._ZL13mul_mat_vec_qIfLi32ELi8E10block_q8_0Li2EXadL_ZL17vec_dot_q8_0_q8_1PKvPK10block_q8_1RKiEEEvS2_S2_PT_iii,"axG",@progbits,_ZL13mul_mat_vec_qIfLi32ELi8E10block_q8_0Li2EXadL_ZL17vec_dot_q8_0_q8_1PKvPK10block_q8_1RKiEEEvS2_S2_PT_iii,comdat
	.globl	_ZL13mul_mat_vec_qIfLi32ELi8E10block_q8_0Li2EXadL_ZL17vec_dot_q8_0_q8_1PKvPK10block_q8_1RKiEEEvS2_S2_PT_iii ; -- Begin function _ZL13mul_mat_vec_qIfLi32ELi8E10block_q8_0Li2EXadL_ZL17vec_dot_q8_0_q8_1PKvPK10block_q8_1RKiEEEvS2_S2_PT_iii
	.p2align	8
	.type	_ZL13mul_mat_vec_qIfLi32ELi8E10block_q8_0Li2EXadL_ZL17vec_dot_q8_0_q8_1PKvPK10block_q8_1RKiEEEvS2_S2_PT_iii,@function
_ZL13mul_mat_vec_qIfLi32ELi8E10block_q8_0Li2EXadL_ZL17vec_dot_q8_0_q8_1PKvPK10block_q8_1RKiEEEvS2_S2_PT_iii: ; @_ZL13mul_mat_vec_qIfLi32ELi8E10block_q8_0Li2EXadL_ZL17vec_dot_q8_0_q8_1PKvPK10block_q8_1RKiEEEvS2_S2_PT_iii
; %bb.0:
	s_clause 0x1
	s_load_u16 s2, s[0:1], 0x36
	s_load_b96 s[4:6], s[0:1], 0x18
	s_bfe_u32 s7, ttmp6, 0x4000c
	s_bfe_u32 s8, ttmp6, 0x40010
	s_add_co_i32 s7, s7, 1
	s_add_co_i32 s8, s8, 1
	s_and_b32 s3, ttmp6, 15
	s_mul_i32 s7, ttmp9, s7
	s_mul_i32 s8, ttmp7, s8
	s_bfe_u32 s9, ttmp6, 0x40004
	s_add_co_i32 s3, s3, s7
	s_getreg_b32 s7, hwreg(HW_REG_IB_STS2, 6, 4)
	s_add_co_i32 s9, s9, s8
	v_bfe_u32 v1, v0, 10, 10
	s_cmp_eq_u32 s7, 0
	s_cselect_b32 s3, ttmp9, s3
	s_cselect_b32 s8, ttmp7, s9
	s_wait_kmcnt 0x0
	v_mad_u32 v2, s3, s2, v1
	s_cmp_lt_u32 s8, s6
	s_cselect_b32 s2, -1, 0
	s_delay_alu instid0(VALU_DEP_1) | instskip(SKIP_1) | instid1(SALU_CYCLE_1)
	v_cmp_gt_u32_e32 vcc_lo, s5, v2
	s_and_b32 s2, s2, vcc_lo
	s_and_saveexec_b32 s3, s2
	s_cbranch_execz .LBB62_7
; %bb.1:
	s_load_b64 s[6:7], s[0:1], 0x10
	s_ashr_i32 s2, s4, 31
	v_bfe_u32 v4, v0, 2, 8
	s_lshr_b32 s2, s2, 27
	v_and_b32_e32 v3, 0x3ff, v0
	v_mov_b32_e32 v5, 0
	s_add_co_i32 s2, s4, s2
	s_mov_b32 s9, exec_lo
	s_ashr_i32 s10, s2, 5
	s_delay_alu instid0(SALU_CYCLE_1)
	v_cmpx_gt_u32_e64 s10, v4
	s_cbranch_execz .LBB62_5
; %bb.2:
	s_wait_xcnt 0x0
	s_load_b128 s[0:3], s[0:1], 0x0
	s_addk_co_i32 s4, 0x1ff
	v_mul_lo_u32 v6, v2, s10
	s_ashr_i32 s11, s4, 31
	v_dual_mov_b32 v1, 0 :: v_dual_lshlrev_b32 v0, 3, v3
	s_lshr_b32 s11, s11, 23
	s_delay_alu instid0(SALU_CYCLE_1) | instskip(NEXT) | instid1(VALU_DEP_1)
	s_add_co_i32 s4, s4, s11
	v_dual_mov_b32 v5, v1 :: v_dual_bitop2_b32 v0, 24, v0 bitop3:0x40
	s_ashr_i32 s4, s4, 9
	s_delay_alu instid0(SALU_CYCLE_1) | instskip(NEXT) | instid1(SALU_CYCLE_1)
	s_mul_i32 s4, s8, s4
	s_lshl_b32 s11, s4, 4
	s_mov_b32 s4, 0
.LBB62_3:                               ; =>This Inner Loop Header: Depth=1
	s_delay_alu instid0(VALU_DEP_3) | instskip(SKIP_1) | instid1(VALU_DEP_1)
	v_dual_add_nc_u32 v7, s11, v4 :: v_dual_add_nc_u32 v10, v6, v4
	s_wait_kmcnt 0x0
	v_mad_nc_i64_i32 v[8:9], v7, 36, s[2:3]
	s_delay_alu instid0(VALU_DEP_2) | instskip(NEXT) | instid1(VALU_DEP_2)
	v_mad_nc_i64_i32 v[10:11], v10, 34, s[0:1]
	v_add_nc_u64_e32 v[12:13], v[8:9], v[0:1]
	s_delay_alu instid0(VALU_DEP_2)
	v_add_nc_u64_e32 v[14:15], v[10:11], v[0:1]
	global_load_b64 v[16:17], v[12:13], off offset:4
	s_clause 0x2
	global_load_b32 v7, v[14:15], off offset:2
	global_load_b32 v18, v[14:15], off offset:6
	global_load_u16 v19, v[10:11], off
	global_load_b32 v20, v[8:9], off
	s_wait_loadcnt 0x4
	s_wait_xcnt 0x0
	v_lshrrev_b16 v8, 8, v16
	s_wait_loadcnt 0x3
	v_lshrrev_b16 v9, 8, v7
	v_bfe_i32 v10, v7, 0, 8
	v_dual_ashrrev_i32 v11, 24, v7 :: v_dual_ashrrev_i32 v13, 24, v16
	v_bfe_i32 v7, v7, 16, 8
	v_bfe_i32 v14, v16, 16, 8
	;; [unrolled: 1-line block ×3, first 2 shown]
	s_wait_loadcnt 0x2
	v_bfe_i32 v15, v18, 0, 8
	v_bfe_i32 v21, v18, 8, 8
	;; [unrolled: 1-line block ×4, first 2 shown]
	v_dual_ashrrev_i32 v18, 24, v18 :: v_dual_ashrrev_i32 v24, 24, v17
	v_bfe_i32 v9, v9, 0, 8
	v_bfe_i32 v8, v8, 0, 8
	v_mul_i32_i24_e32 v7, v14, v7
	v_mul_i32_i24_e32 v11, v13, v11
	v_bfe_i32 v16, v17, 0, 8
	v_bfe_i32 v13, v17, 16, 8
	v_mul_i32_i24_e32 v14, v22, v21
	v_mul_i32_i24_e32 v17, v24, v18
	v_mad_i32_i24 v7, v12, v10, v7
	v_mad_i32_i24 v8, v8, v9, v11
	v_mul_i32_i24_e32 v9, v13, v23
	v_mad_i32_i24 v10, v16, v15, v14
	s_wait_loadcnt 0x0
	v_cvt_f32_f16_e32 v11, v20
	v_add3_u32 v7, v7, v8, v17
	v_cvt_f32_f16_e32 v8, v19
	v_add_nc_u32_e32 v4, 8, v4
	s_delay_alu instid0(VALU_DEP_3) | instskip(NEXT) | instid1(VALU_DEP_3)
	v_add3_u32 v7, v7, v10, v9
	v_mul_f32_e32 v8, v8, v11
	s_delay_alu instid0(VALU_DEP_3) | instskip(NEXT) | instid1(VALU_DEP_3)
	v_cmp_le_u32_e32 vcc_lo, s10, v4
	v_cvt_f32_i32_e32 v7, v7
	s_or_b32 s4, vcc_lo, s4
	s_delay_alu instid0(VALU_DEP_1)
	v_fmac_f32_e32 v5, v8, v7
	s_and_not1_b32 exec_lo, exec_lo, s4
	s_cbranch_execnz .LBB62_3
; %bb.4:
	s_or_b32 exec_lo, exec_lo, s4
.LBB62_5:
	s_delay_alu instid0(SALU_CYCLE_1) | instskip(SKIP_1) | instid1(VALU_DEP_1)
	s_or_b32 exec_lo, exec_lo, s9
	v_mbcnt_lo_u32_b32 v0, -1, 0
	v_xor_b32_e32 v1, 16, v0
	v_xor_b32_e32 v4, 8, v0
	s_delay_alu instid0(VALU_DEP_2) | instskip(SKIP_1) | instid1(VALU_DEP_3)
	v_cmp_gt_i32_e32 vcc_lo, 32, v1
	v_cndmask_b32_e32 v1, v0, v1, vcc_lo
	v_cmp_gt_i32_e32 vcc_lo, 32, v4
	s_delay_alu instid0(VALU_DEP_2)
	v_dual_cndmask_b32 v4, v0, v4 :: v_dual_lshlrev_b32 v1, 2, v1
	ds_bpermute_b32 v1, v1, v5
	s_wait_dscnt 0x0
	v_dual_add_f32 v1, v5, v1 :: v_dual_lshlrev_b32 v4, 2, v4
	v_xor_b32_e32 v5, 4, v0
	ds_bpermute_b32 v4, v4, v1
	v_cmp_gt_i32_e32 vcc_lo, 32, v5
	v_cndmask_b32_e32 v5, v0, v5, vcc_lo
	s_wait_dscnt 0x0
	s_delay_alu instid0(VALU_DEP_1) | instskip(SKIP_2) | instid1(VALU_DEP_1)
	v_dual_lshlrev_b32 v5, 2, v5 :: v_dual_add_f32 v1, v1, v4
	ds_bpermute_b32 v4, v5, v1
	v_xor_b32_e32 v5, 2, v0
	v_cmp_gt_i32_e32 vcc_lo, 32, v5
	s_wait_dscnt 0x0
	v_dual_cndmask_b32 v5, v0, v5, vcc_lo :: v_dual_add_f32 v1, v1, v4
	s_delay_alu instid0(VALU_DEP_1) | instskip(SKIP_2) | instid1(VALU_DEP_1)
	v_lshlrev_b32_e32 v5, 2, v5
	ds_bpermute_b32 v4, v5, v1
	v_xor_b32_e32 v5, 1, v0
	v_cmp_gt_i32_e32 vcc_lo, 32, v5
	v_cndmask_b32_e32 v5, v0, v5, vcc_lo
	v_cmp_eq_u32_e32 vcc_lo, 0, v3
	s_wait_dscnt 0x0
	s_delay_alu instid0(VALU_DEP_2)
	v_dual_add_f32 v0, v1, v4 :: v_dual_lshlrev_b32 v1, 2, v5
	ds_bpermute_b32 v1, v1, v0
	s_and_b32 exec_lo, exec_lo, vcc_lo
	s_cbranch_execz .LBB62_7
; %bb.6:
	v_mad_u32 v2, s5, s8, v2
	s_wait_dscnt 0x0
	v_add_f32_e32 v0, v0, v1
	s_wait_kmcnt 0x0
	global_store_b32 v2, v0, s[6:7] scale_offset
.LBB62_7:
	s_endpgm
	.section	.rodata,"a",@progbits
	.p2align	6, 0x0
	.amdhsa_kernel _ZL13mul_mat_vec_qIfLi32ELi8E10block_q8_0Li2EXadL_ZL17vec_dot_q8_0_q8_1PKvPK10block_q8_1RKiEEEvS2_S2_PT_iii
		.amdhsa_group_segment_fixed_size 0
		.amdhsa_private_segment_fixed_size 0
		.amdhsa_kernarg_size 296
		.amdhsa_user_sgpr_count 2
		.amdhsa_user_sgpr_dispatch_ptr 0
		.amdhsa_user_sgpr_queue_ptr 0
		.amdhsa_user_sgpr_kernarg_segment_ptr 1
		.amdhsa_user_sgpr_dispatch_id 0
		.amdhsa_user_sgpr_kernarg_preload_length 0
		.amdhsa_user_sgpr_kernarg_preload_offset 0
		.amdhsa_user_sgpr_private_segment_size 0
		.amdhsa_wavefront_size32 1
		.amdhsa_uses_dynamic_stack 0
		.amdhsa_enable_private_segment 0
		.amdhsa_system_sgpr_workgroup_id_x 1
		.amdhsa_system_sgpr_workgroup_id_y 1
		.amdhsa_system_sgpr_workgroup_id_z 0
		.amdhsa_system_sgpr_workgroup_info 0
		.amdhsa_system_vgpr_workitem_id 1
		.amdhsa_next_free_vgpr 25
		.amdhsa_next_free_sgpr 12
		.amdhsa_named_barrier_count 0
		.amdhsa_reserve_vcc 1
		.amdhsa_float_round_mode_32 0
		.amdhsa_float_round_mode_16_64 0
		.amdhsa_float_denorm_mode_32 3
		.amdhsa_float_denorm_mode_16_64 3
		.amdhsa_fp16_overflow 0
		.amdhsa_memory_ordered 1
		.amdhsa_forward_progress 1
		.amdhsa_inst_pref_size 8
		.amdhsa_round_robin_scheduling 0
		.amdhsa_exception_fp_ieee_invalid_op 0
		.amdhsa_exception_fp_denorm_src 0
		.amdhsa_exception_fp_ieee_div_zero 0
		.amdhsa_exception_fp_ieee_overflow 0
		.amdhsa_exception_fp_ieee_underflow 0
		.amdhsa_exception_fp_ieee_inexact 0
		.amdhsa_exception_int_div_zero 0
	.end_amdhsa_kernel
	.section	.text._ZL13mul_mat_vec_qIfLi32ELi8E10block_q8_0Li2EXadL_ZL17vec_dot_q8_0_q8_1PKvPK10block_q8_1RKiEEEvS2_S2_PT_iii,"axG",@progbits,_ZL13mul_mat_vec_qIfLi32ELi8E10block_q8_0Li2EXadL_ZL17vec_dot_q8_0_q8_1PKvPK10block_q8_1RKiEEEvS2_S2_PT_iii,comdat
.Lfunc_end62:
	.size	_ZL13mul_mat_vec_qIfLi32ELi8E10block_q8_0Li2EXadL_ZL17vec_dot_q8_0_q8_1PKvPK10block_q8_1RKiEEEvS2_S2_PT_iii, .Lfunc_end62-_ZL13mul_mat_vec_qIfLi32ELi8E10block_q8_0Li2EXadL_ZL17vec_dot_q8_0_q8_1PKvPK10block_q8_1RKiEEEvS2_S2_PT_iii
                                        ; -- End function
	.set _ZL13mul_mat_vec_qIfLi32ELi8E10block_q8_0Li2EXadL_ZL17vec_dot_q8_0_q8_1PKvPK10block_q8_1RKiEEEvS2_S2_PT_iii.num_vgpr, 25
	.set _ZL13mul_mat_vec_qIfLi32ELi8E10block_q8_0Li2EXadL_ZL17vec_dot_q8_0_q8_1PKvPK10block_q8_1RKiEEEvS2_S2_PT_iii.num_agpr, 0
	.set _ZL13mul_mat_vec_qIfLi32ELi8E10block_q8_0Li2EXadL_ZL17vec_dot_q8_0_q8_1PKvPK10block_q8_1RKiEEEvS2_S2_PT_iii.numbered_sgpr, 12
	.set _ZL13mul_mat_vec_qIfLi32ELi8E10block_q8_0Li2EXadL_ZL17vec_dot_q8_0_q8_1PKvPK10block_q8_1RKiEEEvS2_S2_PT_iii.num_named_barrier, 0
	.set _ZL13mul_mat_vec_qIfLi32ELi8E10block_q8_0Li2EXadL_ZL17vec_dot_q8_0_q8_1PKvPK10block_q8_1RKiEEEvS2_S2_PT_iii.private_seg_size, 0
	.set _ZL13mul_mat_vec_qIfLi32ELi8E10block_q8_0Li2EXadL_ZL17vec_dot_q8_0_q8_1PKvPK10block_q8_1RKiEEEvS2_S2_PT_iii.uses_vcc, 1
	.set _ZL13mul_mat_vec_qIfLi32ELi8E10block_q8_0Li2EXadL_ZL17vec_dot_q8_0_q8_1PKvPK10block_q8_1RKiEEEvS2_S2_PT_iii.uses_flat_scratch, 0
	.set _ZL13mul_mat_vec_qIfLi32ELi8E10block_q8_0Li2EXadL_ZL17vec_dot_q8_0_q8_1PKvPK10block_q8_1RKiEEEvS2_S2_PT_iii.has_dyn_sized_stack, 0
	.set _ZL13mul_mat_vec_qIfLi32ELi8E10block_q8_0Li2EXadL_ZL17vec_dot_q8_0_q8_1PKvPK10block_q8_1RKiEEEvS2_S2_PT_iii.has_recursion, 0
	.set _ZL13mul_mat_vec_qIfLi32ELi8E10block_q8_0Li2EXadL_ZL17vec_dot_q8_0_q8_1PKvPK10block_q8_1RKiEEEvS2_S2_PT_iii.has_indirect_call, 0
	.section	.AMDGPU.csdata,"",@progbits
; Kernel info:
; codeLenInByte = 912
; TotalNumSgprs: 14
; NumVgprs: 25
; ScratchSize: 0
; MemoryBound: 0
; FloatMode: 240
; IeeeMode: 1
; LDSByteSize: 0 bytes/workgroup (compile time only)
; SGPRBlocks: 0
; VGPRBlocks: 1
; NumSGPRsForWavesPerEU: 14
; NumVGPRsForWavesPerEU: 25
; NamedBarCnt: 0
; Occupancy: 16
; WaveLimiterHint : 0
; COMPUTE_PGM_RSRC2:SCRATCH_EN: 0
; COMPUTE_PGM_RSRC2:USER_SGPR: 2
; COMPUTE_PGM_RSRC2:TRAP_HANDLER: 0
; COMPUTE_PGM_RSRC2:TGID_X_EN: 1
; COMPUTE_PGM_RSRC2:TGID_Y_EN: 1
; COMPUTE_PGM_RSRC2:TGID_Z_EN: 0
; COMPUTE_PGM_RSRC2:TIDIG_COMP_CNT: 1
	.section	.text._ZL13mul_mat_vec_qIfLi256ELi16E10block_q2_KLi1EXadL_ZL17vec_dot_q2_K_q8_1PKvPK10block_q8_1RKiEEEvS2_S2_PT_iii,"axG",@progbits,_ZL13mul_mat_vec_qIfLi256ELi16E10block_q2_KLi1EXadL_ZL17vec_dot_q2_K_q8_1PKvPK10block_q8_1RKiEEEvS2_S2_PT_iii,comdat
	.globl	_ZL13mul_mat_vec_qIfLi256ELi16E10block_q2_KLi1EXadL_ZL17vec_dot_q2_K_q8_1PKvPK10block_q8_1RKiEEEvS2_S2_PT_iii ; -- Begin function _ZL13mul_mat_vec_qIfLi256ELi16E10block_q2_KLi1EXadL_ZL17vec_dot_q2_K_q8_1PKvPK10block_q8_1RKiEEEvS2_S2_PT_iii
	.p2align	8
	.type	_ZL13mul_mat_vec_qIfLi256ELi16E10block_q2_KLi1EXadL_ZL17vec_dot_q2_K_q8_1PKvPK10block_q8_1RKiEEEvS2_S2_PT_iii,@function
_ZL13mul_mat_vec_qIfLi256ELi16E10block_q2_KLi1EXadL_ZL17vec_dot_q2_K_q8_1PKvPK10block_q8_1RKiEEEvS2_S2_PT_iii: ; @_ZL13mul_mat_vec_qIfLi256ELi16E10block_q2_KLi1EXadL_ZL17vec_dot_q2_K_q8_1PKvPK10block_q8_1RKiEEEvS2_S2_PT_iii
; %bb.0:
	s_clause 0x1
	s_load_u16 s2, s[0:1], 0x36
	s_load_b96 s[4:6], s[0:1], 0x18
	s_bfe_u32 s7, ttmp6, 0x4000c
	s_bfe_u32 s8, ttmp6, 0x40010
	s_add_co_i32 s7, s7, 1
	s_add_co_i32 s8, s8, 1
	s_and_b32 s3, ttmp6, 15
	s_mul_i32 s7, ttmp9, s7
	s_mul_i32 s8, ttmp7, s8
	s_bfe_u32 s9, ttmp6, 0x40004
	s_add_co_i32 s3, s3, s7
	s_getreg_b32 s7, hwreg(HW_REG_IB_STS2, 6, 4)
	s_add_co_i32 s9, s9, s8
	v_bfe_u32 v1, v0, 10, 10
	s_cmp_eq_u32 s7, 0
	s_cselect_b32 s3, ttmp9, s3
	s_cselect_b32 s8, ttmp7, s9
	s_wait_kmcnt 0x0
	v_mad_u32 v12, s3, s2, v1
	s_cmp_lt_u32 s8, s6
	s_cselect_b32 s2, -1, 0
	s_delay_alu instid0(VALU_DEP_1) | instskip(SKIP_1) | instid1(SALU_CYCLE_1)
	v_cmp_gt_u32_e32 vcc_lo, s5, v12
	s_and_b32 s2, s2, vcc_lo
	s_and_saveexec_b32 s3, s2
	s_cbranch_execz .LBB63_7
; %bb.1:
	s_load_b64 s[6:7], s[0:1], 0x10
	s_ashr_i32 s2, s4, 31
	v_bfe_u32 v14, v0, 4, 6
	s_lshr_b32 s2, s2, 24
	v_and_b32_e32 v13, 0x3ff, v0
	v_mov_b32_e32 v16, 0
	s_add_co_i32 s2, s4, s2
	s_mov_b32 s9, exec_lo
	s_ashr_i32 s10, s2, 8
	s_delay_alu instid0(SALU_CYCLE_1)
	v_cmpx_gt_u32_e64 s10, v14
	s_cbranch_execz .LBB63_5
; %bb.2:
	s_wait_xcnt 0x0
	s_load_b128 s[0:3], s[0:1], 0x0
	v_dual_lshrrev_b32 v2, 1, v13 :: v_dual_bitop2_b32 v0, 15, v13 bitop3:0x40
	s_addk_co_i32 s4, 0x1ff
	v_mul_lo_u32 v15, v12, s10
	s_ashr_i32 s11, s4, 31
	s_delay_alu instid0(VALU_DEP_2) | instskip(SKIP_1) | instid1(SALU_CYCLE_1)
	v_sub_co_u32 v1, vcc_lo, v0, 8
	s_lshr_b32 s11, s11, 23
	s_add_co_i32 s4, s4, s11
	v_dual_cndmask_b32 v6, v1, v0 :: v_dual_mov_b32 v1, 0
	v_and_b32_e32 v3, 4, v2
	v_lshlrev_b32_e32 v8, 3, v14
	s_ashr_i32 s4, s4, 9
	s_delay_alu instid0(VALU_DEP_3)
	v_dual_sub_nc_u32 v2, v0, v6 :: v_dual_lshlrev_b32 v0, 2, v0
	v_cmp_lt_u32_e32 vcc_lo, 3, v6
	v_mov_b32_e32 v7, v1
	s_wait_kmcnt 0x0
	v_mad_nc_u64_u32 v[4:5], v3, 36, s[2:3]
	s_mul_i32 s2, s8, s4
	v_mov_b32_e32 v16, v1
	v_add_co_ci_u32_e64 v2, null, 0, v2, vcc_lo
	v_lshlrev_b64_e32 v[6:7], 2, v[6:7]
	v_lshl_add_u32 v17, s2, 4, v8
	s_mov_b32 s2, 0
	s_delay_alu instid0(VALU_DEP_3)
	v_ashrrev_i32_e32 v3, 31, v2
.LBB63_3:                               ; =>This Inner Loop Header: Depth=1
	v_add_nc_u32_e32 v10, v15, v14
	s_delay_alu instid0(VALU_DEP_2)
	v_mad_nc_i64_i32 v[8:9], v17, 36, v[4:5]
	s_clause 0x2
	global_load_b32 v24, v[8:9], off
	global_load_b32 v25, v[8:9], off offset:36
	global_load_b32 v26, v[8:9], off offset:72
	v_mad_nc_i64_i32 v[10:11], 0x54, v10, s[0:1]
	v_add_nc_u64_e32 v[18:19], v[8:9], v[6:7]
	s_delay_alu instid0(VALU_DEP_2)
	v_add_nc_u64_e32 v[20:21], v[10:11], v[0:1]
	v_add_nc_u64_e32 v[22:23], v[10:11], v[2:3]
	s_clause 0x3
	global_load_b32 v27, v[18:19], off offset:4
	global_load_b32 v28, v[18:19], off offset:40
	;; [unrolled: 1-line block ×4, first 2 shown]
	s_clause 0x4
	global_load_b32 v31, v[20:21], off offset:16
	global_load_u8 v32, v[22:23], off
	global_load_u8 v33, v[22:23], off offset:2
	global_load_u8 v34, v[22:23], off offset:4
	global_load_u8 v35, v[22:23], off offset:6
	global_load_b32 v36, v[8:9], off offset:108
	global_load_b32 v37, v[10:11], off offset:80
	s_wait_loadcnt 0xd
	s_wait_xcnt 0x0
	v_cvt_f32_f16_e32 v10, v24
	s_wait_loadcnt 0xc
	v_cvt_f32_f16_e32 v11, v25
	s_wait_loadcnt 0xb
	;; [unrolled: 2-line block ×3, first 2 shown]
	v_lshrrev_b16 v18, 8, v27
	s_wait_loadcnt 0x8
	v_dual_ashrrev_i32 v26, 24, v28 :: v_dual_lshlrev_b32 v38, 16, v29
	s_wait_loadcnt 0x7
	v_dual_lshlrev_b32 v39, 16, v30 :: v_dual_lshlrev_b32 v42, 8, v29
	s_wait_loadcnt 0x5
	v_lshrrev_b16 v46, 4, v32
	v_dual_lshlrev_b32 v22, 8, v28 :: v_dual_lshlrev_b32 v23, 16, v28
	v_bfe_i32 v21, v27, 0, 8
	s_wait_loadcnt 0x1
	v_cvt_f32_f16_e32 v9, v36
	v_and_b32_e32 v46, 0xffff, v46
	v_bfe_i32 v36, v29, 0, 8
	v_bfe_i32 v41, v29, 8, 8
	v_bfe_i32 v45, v29, 16, 8
	v_dual_ashrrev_i32 v29, 24, v29 :: v_dual_bitop2_b32 v48, 3, v31 bitop3:0x40
	v_mul_lo_u32 v46, 0x1010101, v46
	v_and_b32_e32 v55, 15, v33
	v_lshrrev_b16 v33, 4, v33
	v_perm_b32 v38, v42, v38, 0xc0c0703
	v_and_b32_e32 v42, 15, v35
	v_lshrrev_b16 v35, 4, v35
	v_ashrrev_i32_e32 v19, 24, v27
	v_and_b32_e32 v33, 0xffff, v33
	v_bfe_i32 v20, v27, 16, 8
	v_bfe_i32 v24, v28, 8, 8
	;; [unrolled: 1-line block ×6, first 2 shown]
	v_lshlrev_b32_e32 v43, 8, v30
	v_bfe_i32 v44, v30, 16, 8
	v_ashrrev_i32_e32 v30, 24, v30
	v_bfe_u32 v47, v31, 2, 2
	v_bfe_u32 v49, v31, 10, 2
	;; [unrolled: 1-line block ×7, first 2 shown]
	v_dual_lshrrev_b32 v59, 30, v31 :: v_dual_bitop2_b32 v32, 15, v32 bitop3:0x40
	v_perm_b32 v22, v22, v23, 0xc0c0703
	v_bfe_u32 v23, v31, 6, 2
	v_bfe_u32 v56, v31, 4, 2
	;; [unrolled: 1-line block ×7, first 2 shown]
	v_bfe_i32 v18, v18, 0, 8
	v_mul_i32_i24_e32 v48, v21, v48
	v_and_b32_e32 v35, 0xffff, v35
	v_mul_lo_u32 v33, 0x1010101, v33
	v_mul_i32_i24_e32 v47, v25, v47
	v_mul_i32_i24_e32 v27, v27, v53
	;; [unrolled: 1-line block ×5, first 2 shown]
	v_perm_b32 v39, v43, v39, 0xc0c0703
	v_and_b32_e32 v43, 15, v34
	v_lshrrev_b16 v34, 4, v34
	v_mul_i32_i24_e32 v54, v20, v54
	v_mul_i32_i24_e32 v52, v19, v52
	v_mad_i32_i24 v48, v18, v50, v48
	v_mul_lo_u32 v35, 0x1010101, v35
	v_mul_i32_i24_e32 v51, v26, v51
	v_mul_i32_i24_e32 v41, v41, v58
	;; [unrolled: 1-line block ×4, first 2 shown]
	v_mad_i32_i24 v24, v24, v49, v47
	v_mad_i32_i24 v45, v36, v56, v45
	;; [unrolled: 1-line block ×3, first 2 shown]
	v_and_b32_e32 v32, 0xffff, v32
	v_and_b32_e32 v34, 0xffff, v34
	v_add3_u32 v47, v48, v54, v52
	v_add3_u32 v24, v24, v27, v51
	;; [unrolled: 1-line block ×4, first 2 shown]
	v_lshrrev_b32_e32 v44, 24, v33
	v_and_b32_e32 v43, 0xffff, v43
	v_mul_lo_u32 v34, 0x1010101, v34
	v_mul_lo_u32 v31, v47, v32
	v_lshrrev_b32_e32 v32, 24, v46
	v_and_b32_e32 v55, 0xffff, v55
	v_mul_lo_u32 v27, v27, v43
	v_lshrrev_b16 v40, 8, v46
	v_bfe_i32 v43, v33, 0, 8
	v_lshrrev_b32_e32 v47, 24, v35
	v_and_b32_e32 v42, 0xffff, v42
	v_mul_lo_u32 v24, v24, v55
	v_bfe_i32 v41, v46, 16, 8
	v_perm_b32 v33, v33, v33, 0xc0c0201
	v_bfe_i32 v45, v35, 0, 8
	v_mul_lo_u32 v23, v23, v42
	v_bfe_i32 v42, v46, 0, 8
	v_bfe_i32 v40, v40, 0, 8
	v_mul_i32_i24_e32 v25, v25, v43
	v_mul_i32_i24_e32 v19, v32, v19
	v_bfe_i32 v46, v34, 0, 8
	v_perm_b32 v35, v35, v35, 0xc0c0201
	v_mul_i32_i24_e32 v21, v42, v21
	v_mul_i32_i24_e32 v20, v41, v20
	v_dot4_i32_iu8 v22, v22, v33, v25 neg_lo:[1,1,0]
	v_mad_i32_i24 v18, v40, v18, v19
	v_mul_i32_i24_e32 v28, v28, v45
	v_perm_b32 v32, v34, v34, 0xc0c0201
	v_mul_i32_i24_e32 v25, v36, v46
	v_cvt_f32_i32_e32 v19, v24
	v_mad_i32_i24 v22, v26, v44, v22
	v_add3_u32 v20, v21, v20, v18
	v_cvt_f32_i32_e32 v18, v31
	v_dot4_i32_iu8 v24, v39, v35, v28 neg_lo:[1,1,0]
	v_dot4_i32_iu8 v25, v38, v32, v25 neg_lo:[1,1,0]
	v_cvt_f32_i32_e32 v21, v22
	v_cvt_f32_i32_e32 v20, v20
	v_pk_mul_f32 v[18:19], v[10:11], v[18:19]
	v_lshrrev_b32_e32 v48, 24, v34
	v_mad_i32_i24 v24, v30, v47, v24
	v_cvt_f32_i32_e32 v23, v23
	v_pk_mul_f32 v[10:11], v[10:11], v[20:21]
	v_cvt_f32_i32_e32 v22, v27
	s_delay_alu instid0(VALU_DEP_4) | instskip(SKIP_2) | instid1(VALU_DEP_4)
	v_cvt_f32_i32_e32 v21, v24
	v_mov_b32_e32 v24, v18
	v_mad_i32_i24 v25, v29, v48, v25
	v_pk_mul_f32 v[22:23], v[8:9], v[22:23]
	s_delay_alu instid0(VALU_DEP_2) | instskip(SKIP_1) | instid1(VALU_DEP_2)
	v_cvt_f32_i32_e32 v20, v25
	v_dual_mov_b32 v25, v10 :: v_dual_mov_b32 v10, v19
	v_pk_mul_f32 v[8:9], v[8:9], v[20:21]
	s_delay_alu instid0(VALU_DEP_2) | instskip(NEXT) | instid1(VALU_DEP_2)
	v_pk_add_f32 v[18:19], v[24:25], 0 op_sel_hi:[1,0]
	v_dual_mov_b32 v20, v22 :: v_dual_mov_b32 v21, v8
	s_delay_alu instid0(VALU_DEP_2) | instskip(SKIP_3) | instid1(VALU_DEP_3)
	v_pk_add_f32 v[10:11], v[18:19], v[10:11]
	s_wait_loadcnt 0x0
	v_dual_mov_b32 v8, v23 :: v_dual_lshrrev_b32 v19, 16, v37
	v_cvt_f32_f16_e32 v18, v37
	v_pk_add_f32 v[10:11], v[10:11], v[20:21]
	s_delay_alu instid0(VALU_DEP_3) | instskip(NEXT) | instid1(VALU_DEP_2)
	v_cvt_f32_f16_e32 v19, v19
	v_pk_add_f32 v[8:9], v[10:11], v[8:9]
	s_delay_alu instid0(VALU_DEP_1) | instskip(NEXT) | instid1(VALU_DEP_1)
	v_pk_mul_f32 v[8:9], v[8:9], v[18:19]
	v_dual_add_nc_u32 v14, 2, v14 :: v_dual_sub_f32 v8, v8, v9
	s_delay_alu instid0(VALU_DEP_1) | instskip(NEXT) | instid1(VALU_DEP_2)
	v_cmp_le_u32_e32 vcc_lo, s10, v14
	v_dual_add_f32 v16, v16, v8 :: v_dual_add_nc_u32 v17, 16, v17
	s_or_b32 s2, vcc_lo, s2
	s_delay_alu instid0(SALU_CYCLE_1)
	s_and_not1_b32 exec_lo, exec_lo, s2
	s_cbranch_execnz .LBB63_3
; %bb.4:
	s_or_b32 exec_lo, exec_lo, s2
.LBB63_5:
	s_delay_alu instid0(SALU_CYCLE_1) | instskip(SKIP_1) | instid1(VALU_DEP_1)
	s_or_b32 exec_lo, exec_lo, s9
	v_mbcnt_lo_u32_b32 v0, -1, 0
	v_xor_b32_e32 v2, 8, v0
	v_xor_b32_e32 v1, 16, v0
	;; [unrolled: 1-line block ×3, first 2 shown]
	s_delay_alu instid0(VALU_DEP_2) | instskip(SKIP_4) | instid1(VALU_DEP_2)
	v_cmp_gt_i32_e32 vcc_lo, 32, v1
	v_cndmask_b32_e32 v1, v0, v1, vcc_lo
	v_cmp_gt_i32_e32 vcc_lo, 32, v2
	v_cndmask_b32_e32 v2, v0, v2, vcc_lo
	v_cmp_gt_i32_e32 vcc_lo, 32, v3
	v_dual_lshlrev_b32 v2, 2, v2 :: v_dual_lshlrev_b32 v1, 2, v1
	ds_bpermute_b32 v1, v1, v16
	s_wait_dscnt 0x0
	v_add_f32_e32 v1, v16, v1
	ds_bpermute_b32 v2, v2, v1
	s_wait_dscnt 0x0
	v_dual_cndmask_b32 v3, v0, v3, vcc_lo :: v_dual_add_f32 v1, v1, v2
	s_delay_alu instid0(VALU_DEP_1) | instskip(SKIP_3) | instid1(VALU_DEP_1)
	v_lshlrev_b32_e32 v3, 2, v3
	ds_bpermute_b32 v2, v3, v1
	s_wait_dscnt 0x0
	v_dual_add_f32 v1, v1, v2 :: v_dual_bitop2_b32 v3, 2, v0 bitop3:0x14
	v_cmp_gt_i32_e32 vcc_lo, 32, v3
	v_cndmask_b32_e32 v3, v0, v3, vcc_lo
	s_delay_alu instid0(VALU_DEP_1) | instskip(SKIP_2) | instid1(VALU_DEP_1)
	v_lshlrev_b32_e32 v3, 2, v3
	ds_bpermute_b32 v2, v3, v1
	v_xor_b32_e32 v3, 1, v0
	v_cmp_gt_i32_e32 vcc_lo, 32, v3
	v_cndmask_b32_e32 v3, v0, v3, vcc_lo
	v_cmp_eq_u32_e32 vcc_lo, 0, v13
	s_wait_dscnt 0x0
	s_delay_alu instid0(VALU_DEP_2)
	v_dual_add_f32 v0, v1, v2 :: v_dual_lshlrev_b32 v1, 2, v3
	ds_bpermute_b32 v1, v1, v0
	s_and_b32 exec_lo, exec_lo, vcc_lo
	s_cbranch_execz .LBB63_7
; %bb.6:
	v_mad_u32 v2, s5, s8, v12
	s_wait_dscnt 0x0
	v_add_f32_e32 v0, v0, v1
	s_wait_kmcnt 0x0
	global_store_b32 v2, v0, s[6:7] scale_offset
.LBB63_7:
	s_endpgm
	.section	.rodata,"a",@progbits
	.p2align	6, 0x0
	.amdhsa_kernel _ZL13mul_mat_vec_qIfLi256ELi16E10block_q2_KLi1EXadL_ZL17vec_dot_q2_K_q8_1PKvPK10block_q8_1RKiEEEvS2_S2_PT_iii
		.amdhsa_group_segment_fixed_size 0
		.amdhsa_private_segment_fixed_size 0
		.amdhsa_kernarg_size 296
		.amdhsa_user_sgpr_count 2
		.amdhsa_user_sgpr_dispatch_ptr 0
		.amdhsa_user_sgpr_queue_ptr 0
		.amdhsa_user_sgpr_kernarg_segment_ptr 1
		.amdhsa_user_sgpr_dispatch_id 0
		.amdhsa_user_sgpr_kernarg_preload_length 0
		.amdhsa_user_sgpr_kernarg_preload_offset 0
		.amdhsa_user_sgpr_private_segment_size 0
		.amdhsa_wavefront_size32 1
		.amdhsa_uses_dynamic_stack 0
		.amdhsa_enable_private_segment 0
		.amdhsa_system_sgpr_workgroup_id_x 1
		.amdhsa_system_sgpr_workgroup_id_y 1
		.amdhsa_system_sgpr_workgroup_id_z 0
		.amdhsa_system_sgpr_workgroup_info 0
		.amdhsa_system_vgpr_workitem_id 1
		.amdhsa_next_free_vgpr 62
		.amdhsa_next_free_sgpr 12
		.amdhsa_named_barrier_count 0
		.amdhsa_reserve_vcc 1
		.amdhsa_float_round_mode_32 0
		.amdhsa_float_round_mode_16_64 0
		.amdhsa_float_denorm_mode_32 3
		.amdhsa_float_denorm_mode_16_64 3
		.amdhsa_fp16_overflow 0
		.amdhsa_memory_ordered 1
		.amdhsa_forward_progress 1
		.amdhsa_inst_pref_size 15
		.amdhsa_round_robin_scheduling 0
		.amdhsa_exception_fp_ieee_invalid_op 0
		.amdhsa_exception_fp_denorm_src 0
		.amdhsa_exception_fp_ieee_div_zero 0
		.amdhsa_exception_fp_ieee_overflow 0
		.amdhsa_exception_fp_ieee_underflow 0
		.amdhsa_exception_fp_ieee_inexact 0
		.amdhsa_exception_int_div_zero 0
	.end_amdhsa_kernel
	.section	.text._ZL13mul_mat_vec_qIfLi256ELi16E10block_q2_KLi1EXadL_ZL17vec_dot_q2_K_q8_1PKvPK10block_q8_1RKiEEEvS2_S2_PT_iii,"axG",@progbits,_ZL13mul_mat_vec_qIfLi256ELi16E10block_q2_KLi1EXadL_ZL17vec_dot_q2_K_q8_1PKvPK10block_q8_1RKiEEEvS2_S2_PT_iii,comdat
.Lfunc_end63:
	.size	_ZL13mul_mat_vec_qIfLi256ELi16E10block_q2_KLi1EXadL_ZL17vec_dot_q2_K_q8_1PKvPK10block_q8_1RKiEEEvS2_S2_PT_iii, .Lfunc_end63-_ZL13mul_mat_vec_qIfLi256ELi16E10block_q2_KLi1EXadL_ZL17vec_dot_q2_K_q8_1PKvPK10block_q8_1RKiEEEvS2_S2_PT_iii
                                        ; -- End function
	.set _ZL13mul_mat_vec_qIfLi256ELi16E10block_q2_KLi1EXadL_ZL17vec_dot_q2_K_q8_1PKvPK10block_q8_1RKiEEEvS2_S2_PT_iii.num_vgpr, 62
	.set _ZL13mul_mat_vec_qIfLi256ELi16E10block_q2_KLi1EXadL_ZL17vec_dot_q2_K_q8_1PKvPK10block_q8_1RKiEEEvS2_S2_PT_iii.num_agpr, 0
	.set _ZL13mul_mat_vec_qIfLi256ELi16E10block_q2_KLi1EXadL_ZL17vec_dot_q2_K_q8_1PKvPK10block_q8_1RKiEEEvS2_S2_PT_iii.numbered_sgpr, 12
	.set _ZL13mul_mat_vec_qIfLi256ELi16E10block_q2_KLi1EXadL_ZL17vec_dot_q2_K_q8_1PKvPK10block_q8_1RKiEEEvS2_S2_PT_iii.num_named_barrier, 0
	.set _ZL13mul_mat_vec_qIfLi256ELi16E10block_q2_KLi1EXadL_ZL17vec_dot_q2_K_q8_1PKvPK10block_q8_1RKiEEEvS2_S2_PT_iii.private_seg_size, 0
	.set _ZL13mul_mat_vec_qIfLi256ELi16E10block_q2_KLi1EXadL_ZL17vec_dot_q2_K_q8_1PKvPK10block_q8_1RKiEEEvS2_S2_PT_iii.uses_vcc, 1
	.set _ZL13mul_mat_vec_qIfLi256ELi16E10block_q2_KLi1EXadL_ZL17vec_dot_q2_K_q8_1PKvPK10block_q8_1RKiEEEvS2_S2_PT_iii.uses_flat_scratch, 0
	.set _ZL13mul_mat_vec_qIfLi256ELi16E10block_q2_KLi1EXadL_ZL17vec_dot_q2_K_q8_1PKvPK10block_q8_1RKiEEEvS2_S2_PT_iii.has_dyn_sized_stack, 0
	.set _ZL13mul_mat_vec_qIfLi256ELi16E10block_q2_KLi1EXadL_ZL17vec_dot_q2_K_q8_1PKvPK10block_q8_1RKiEEEvS2_S2_PT_iii.has_recursion, 0
	.set _ZL13mul_mat_vec_qIfLi256ELi16E10block_q2_KLi1EXadL_ZL17vec_dot_q2_K_q8_1PKvPK10block_q8_1RKiEEEvS2_S2_PT_iii.has_indirect_call, 0
	.section	.AMDGPU.csdata,"",@progbits
; Kernel info:
; codeLenInByte = 1912
; TotalNumSgprs: 14
; NumVgprs: 62
; ScratchSize: 0
; MemoryBound: 0
; FloatMode: 240
; IeeeMode: 1
; LDSByteSize: 0 bytes/workgroup (compile time only)
; SGPRBlocks: 0
; VGPRBlocks: 3
; NumSGPRsForWavesPerEU: 14
; NumVGPRsForWavesPerEU: 62
; NamedBarCnt: 0
; Occupancy: 16
; WaveLimiterHint : 0
; COMPUTE_PGM_RSRC2:SCRATCH_EN: 0
; COMPUTE_PGM_RSRC2:USER_SGPR: 2
; COMPUTE_PGM_RSRC2:TRAP_HANDLER: 0
; COMPUTE_PGM_RSRC2:TGID_X_EN: 1
; COMPUTE_PGM_RSRC2:TGID_Y_EN: 1
; COMPUTE_PGM_RSRC2:TGID_Z_EN: 0
; COMPUTE_PGM_RSRC2:TIDIG_COMP_CNT: 1
	.section	.text._ZL13mul_mat_vec_qIfLi256ELi16E10block_q3_KLi1EXadL_ZL17vec_dot_q3_K_q8_1PKvPK10block_q8_1RKiEEEvS2_S2_PT_iii,"axG",@progbits,_ZL13mul_mat_vec_qIfLi256ELi16E10block_q3_KLi1EXadL_ZL17vec_dot_q3_K_q8_1PKvPK10block_q8_1RKiEEEvS2_S2_PT_iii,comdat
	.globl	_ZL13mul_mat_vec_qIfLi256ELi16E10block_q3_KLi1EXadL_ZL17vec_dot_q3_K_q8_1PKvPK10block_q8_1RKiEEEvS2_S2_PT_iii ; -- Begin function _ZL13mul_mat_vec_qIfLi256ELi16E10block_q3_KLi1EXadL_ZL17vec_dot_q3_K_q8_1PKvPK10block_q8_1RKiEEEvS2_S2_PT_iii
	.p2align	8
	.type	_ZL13mul_mat_vec_qIfLi256ELi16E10block_q3_KLi1EXadL_ZL17vec_dot_q3_K_q8_1PKvPK10block_q8_1RKiEEEvS2_S2_PT_iii,@function
_ZL13mul_mat_vec_qIfLi256ELi16E10block_q3_KLi1EXadL_ZL17vec_dot_q3_K_q8_1PKvPK10block_q8_1RKiEEEvS2_S2_PT_iii: ; @_ZL13mul_mat_vec_qIfLi256ELi16E10block_q3_KLi1EXadL_ZL17vec_dot_q3_K_q8_1PKvPK10block_q8_1RKiEEEvS2_S2_PT_iii
; %bb.0:
	s_clause 0x1
	s_load_u16 s2, s[0:1], 0x36
	s_load_b96 s[4:6], s[0:1], 0x18
	s_bfe_u32 s7, ttmp6, 0x4000c
	s_bfe_u32 s8, ttmp6, 0x40010
	s_add_co_i32 s7, s7, 1
	s_add_co_i32 s8, s8, 1
	s_and_b32 s3, ttmp6, 15
	s_mul_i32 s7, ttmp9, s7
	s_mul_i32 s8, ttmp7, s8
	s_bfe_u32 s9, ttmp6, 0x40004
	s_add_co_i32 s3, s3, s7
	s_getreg_b32 s7, hwreg(HW_REG_IB_STS2, 6, 4)
	s_add_co_i32 s9, s9, s8
	v_bfe_u32 v1, v0, 10, 10
	s_cmp_eq_u32 s7, 0
	s_cselect_b32 s3, ttmp9, s3
	s_cselect_b32 s8, ttmp7, s9
	s_wait_kmcnt 0x0
	v_mad_u32 v24, s3, s2, v1
	s_cmp_lt_u32 s8, s6
	s_cselect_b32 s2, -1, 0
	s_delay_alu instid0(VALU_DEP_1) | instskip(SKIP_1) | instid1(SALU_CYCLE_1)
	v_cmp_gt_u32_e32 vcc_lo, s5, v24
	s_and_b32 s2, s2, vcc_lo
	s_and_saveexec_b32 s3, s2
	s_cbranch_execz .LBB64_7
; %bb.1:
	s_load_b64 s[6:7], s[0:1], 0x10
	s_ashr_i32 s2, s4, 31
	v_bfe_u32 v26, v0, 4, 6
	s_lshr_b32 s2, s2, 24
	v_and_b32_e32 v25, 0x3ff, v0
	v_mov_b32_e32 v35, 0
	s_add_co_i32 s2, s4, s2
	s_mov_b32 s9, exec_lo
	s_ashr_i32 s10, s2, 8
	s_delay_alu instid0(SALU_CYCLE_1)
	v_cmpx_gt_u32_e64 s10, v26
	s_cbranch_execz .LBB64_5
; %bb.2:
	v_dual_lshrrev_b32 v3, 1, v25 :: v_dual_bitop2_b32 v0, 15, v25 bitop3:0x40
	s_wait_xcnt 0x0
	s_load_b128 s[0:3], s[0:1], 0x0
	s_addk_co_i32 s4, 0x1ff
	v_mul_lo_u32 v27, v24, s10
	v_sub_co_u32 v1, vcc_lo, v0, 8
	s_ashr_i32 s11, s4, 31
	v_and_b32_e32 v28, 4, v3
	s_lshr_b32 s11, s11, 23
	v_cndmask_b32_e32 v2, v1, v0, vcc_lo
	s_add_co_i32 s4, s4, s11
	s_delay_alu instid0(SALU_CYCLE_1) | instskip(NEXT) | instid1(VALU_DEP_1)
	s_ashr_i32 s4, s4, 9
	v_sub_nc_u32_e32 v1, v0, v2
	v_cmp_lt_u32_e32 vcc_lo, 3, v2
	s_mul_i32 s4, s8, s4
	s_delay_alu instid0(VALU_DEP_2) | instskip(SKIP_1) | instid1(VALU_DEP_2)
	v_add_co_ci_u32_e64 v12, null, 0, v1, vcc_lo
	v_dual_mov_b32 v1, 0 :: v_dual_lshlrev_b32 v0, 2, v0
	v_bfe_i32 v4, v12, 0, 8
	v_add_nc_u16 v13, v12, 2
	v_add_nc_u16 v16, v12, 4
	s_delay_alu instid0(VALU_DEP_4) | instskip(NEXT) | instid1(VALU_DEP_4)
	v_dual_mov_b32 v3, v1 :: v_dual_mov_b32 v35, v1
	v_lshrrev_b16 v4, 7, v4
	s_delay_alu instid0(VALU_DEP_4) | instskip(NEXT) | instid1(VALU_DEP_4)
	v_bfe_i32 v5, v13, 0, 8
	v_bfe_i32 v6, v16, 0, 8
	s_delay_alu instid0(VALU_DEP_4) | instskip(NEXT) | instid1(VALU_DEP_4)
	v_lshlrev_b64_e32 v[2:3], 2, v[2:3]
	v_and_b32_e32 v4, 0xff, v4
	s_delay_alu instid0(VALU_DEP_4) | instskip(NEXT) | instid1(VALU_DEP_4)
	v_lshrrev_b16 v5, 7, v5
	v_lshrrev_b16 v6, 7, v6
	s_delay_alu instid0(VALU_DEP_3) | instskip(SKIP_1) | instid1(VALU_DEP_4)
	v_lshrrev_b16 v7, 5, v4
	v_lshrrev_b16 v8, 6, v4
	v_and_b32_e32 v9, 0xff, v5
	s_delay_alu instid0(VALU_DEP_4)
	v_and_b32_e32 v14, 0xff, v6
	s_wait_kmcnt 0x0
	v_mad_nc_u64_u32 v[4:5], v28, 36, s[2:3]
	v_add_nc_u16 v7, v12, v7
	v_add_nc_u16 v6, v12, v8
	v_lshrrev_b16 v8, 5, v9
	v_lshrrev_b16 v9, 6, v9
	;; [unrolled: 1-line block ×3, first 2 shown]
	v_bfe_i32 v10, v7, 0, 8
	v_bfe_i32 v11, v6, 0, 8
	v_and_b32_e32 v6, 0xfc, v6
	v_add_nc_u16 v8, v13, v8
	v_add_nc_u16 v15, v13, v9
	v_lshrrev_b16 v9, 3, v10
	v_ashrrev_i16 v10, 2, v11
	v_sub_nc_u16 v11, v12, v6
	v_bfe_i32 v17, v8, 0, 8
	v_and_b32_e32 v18, 0xf8, v8
	v_and_b32_e32 v7, 0xf8, v7
	v_bfe_i32 v10, v10, 0, 16
	v_bfe_i32 v8, v11, 0, 8
	v_lshrrev_b16 v11, 3, v17
	v_sub_nc_u16 v17, v13, v18
	v_bfe_i32 v18, v15, 0, 8
	v_sub_nc_u16 v7, v12, v7
	v_lshlrev_b32_e32 v30, 1, v10
	v_lshrrev_b16 v14, 6, v14
	v_bfe_i32 v10, v17, 0, 8
	v_ashrrev_i16 v17, 2, v18
	v_add_nc_u16 v18, v16, v19
	v_add_nc_u16 v19, v12, 6
	v_and_b32_e32 v12, 0xfc, v15
	v_and_b32_e32 v9, 0xff, v9
	v_bfe_i32 v15, v17, 0, 16
	v_bfe_i32 v17, v18, 0, 8
	v_bfe_i32 v20, v19, 0, 8
	v_sub_nc_u16 v12, v13, v12
	v_bfe_i32 v6, v7, 0, 8
	v_and_b32_e32 v11, 0xff, v11
	v_lshrrev_b16 v13, 3, v17
	v_and_b32_e32 v17, 0xf8, v18
	v_bfe_i32 v12, v12, 0, 8
	v_lshlrev_b32_e32 v32, 1, v15
	v_add_nc_u16 v15, v16, v14
	v_lshrrev_b16 v14, 7, v20
	v_and_b32_e32 v18, 0xff, v13
	v_dual_lshlrev_b32 v29, 2, v9 :: v_dual_ashrrev_i32 v7, 31, v6
	s_delay_alu instid0(VALU_DEP_4) | instskip(NEXT) | instid1(VALU_DEP_4)
	v_bfe_i32 v20, v15, 0, 8
	v_and_b32_e32 v21, 0xff, v14
	v_sub_nc_u16 v14, v16, v17
	v_dual_ashrrev_i32 v9, 31, v8 :: v_dual_lshlrev_b32 v31, 2, v11
	v_ashrrev_i32_e32 v11, 31, v10
	v_lshrrev_b16 v17, 2, v20
	v_lshrrev_b16 v20, 6, v21
	v_bfe_i32 v14, v14, 0, 8
	v_ashrrev_i32_e32 v13, 31, v12
	s_mov_b32 s2, 0
	v_and_b32_e32 v17, 0xff, v17
	v_lshlrev_b32_e32 v33, 2, v18
	v_lshrrev_b16 v18, 5, v21
	v_and_b32_e32 v21, 0xfc, v15
	v_add_nc_u16 v20, v19, v20
	v_lshlrev_b32_e32 v34, 1, v17
	s_delay_alu instid0(VALU_DEP_4) | instskip(NEXT) | instid1(VALU_DEP_4)
	v_add_nc_u16 v18, v19, v18
	v_sub_nc_u16 v16, v16, v21
	s_delay_alu instid0(VALU_DEP_4) | instskip(SKIP_1) | instid1(VALU_DEP_4)
	v_bfe_i32 v21, v20, 0, 8
	v_and_b32_e32 v20, 0xfc, v20
	v_bfe_i32 v17, v18, 0, 8
	v_and_b32_e32 v18, 0xf8, v18
	s_delay_alu instid0(VALU_DEP_4)
	v_lshrrev_b16 v21, 2, v21
	v_bfe_i32 v16, v16, 0, 8
	v_ashrrev_i32_e32 v15, 31, v14
	v_lshrrev_b16 v22, 3, v17
	v_sub_nc_u16 v18, v19, v18
	v_sub_nc_u16 v19, v19, v20
	v_and_b32_e32 v21, 0xff, v21
	v_lshlrev_b32_e32 v23, 3, v26
	v_and_b32_e32 v22, 0xff, v22
	v_bfe_i32 v18, v18, 0, 8
	v_bfe_i32 v20, v19, 0, 8
	v_dual_ashrrev_i32 v17, 31, v16 :: v_dual_lshlrev_b32 v37, 1, v21
	s_delay_alu instid0(VALU_DEP_4) | instskip(NEXT) | instid1(VALU_DEP_3)
	v_lshlrev_b32_e32 v36, 2, v22
	v_dual_ashrrev_i32 v19, 31, v18 :: v_dual_ashrrev_i32 v21, 31, v20
	v_lshl_add_u32 v38, s4, 4, v23
.LBB64_3:                               ; =>This Inner Loop Header: Depth=1
	v_add_nc_u32_e32 v22, v27, v26
	s_delay_alu instid0(VALU_DEP_2) | instskip(SKIP_2) | instid1(VALU_DEP_4)
	v_mad_nc_i64_i32 v[44:45], v38, 36, v[4:5]
	v_add_nc_u32_e32 v38, 16, v38
	v_add_nc_u32_e32 v26, 2, v26
	v_mad_nc_i64_i32 v[22:23], 0x6e, v22, s[0:1]
	s_delay_alu instid0(VALU_DEP_2) | instskip(SKIP_2) | instid1(VALU_DEP_3)
	v_cmp_le_u32_e32 vcc_lo, s10, v26
	v_add_nc_u64_e32 v[46:47], v[44:45], v[2:3]
	s_or_b32 s2, vcc_lo, s2
	v_add_nc_u64_e32 v[40:41], v[22:23], v[0:1]
	global_load_u16 v39, v[22:23], off offset:108
	global_load_b32 v48, v[46:47], off offset:4
	global_load_b32 v42, v[40:41], off offset:32
	s_wait_xcnt 0x0
	v_add_nc_u64_e32 v[40:41], v[22:23], v[2:3]
	global_load_b32 v43, v[40:41], off
	s_clause 0x6
	global_load_b32 v50, v[44:45], off
	global_load_b32 v51, v[46:47], off offset:40
	global_load_b32 v52, v[44:45], off offset:36
	;; [unrolled: 1-line block ×6, first 2 shown]
	s_wait_xcnt 0x0
	v_add_nc_u64_e32 v[44:45], v[22:23], v[6:7]
	global_load_u8 v44, v[44:45], off offset:96
	s_wait_loadcnt 0xa
	v_lshrrev_b16 v49, 8, v48
	s_wait_loadcnt 0x9
	v_bfe_u32 v55, v42, 24, 2
	s_delay_alu instid0(VALU_DEP_2) | instskip(SKIP_2) | instid1(VALU_DEP_1)
	v_bfe_i32 v49, v49, 0, 8
	s_wait_loadcnt 0x8
	v_ashrrev_i32_e32 v46, v28, v43
	v_not_b32_e32 v43, v46
	v_bitop3_b32 v46, v46, 0x4040404, v46 bitop3:0xc
	s_wait_loadcnt 0x0
	v_bfe_u32 v47, v44, v29, 4
	v_add_nc_u64_e32 v[44:45], v[22:23], v[8:9]
	v_lshlrev_b32_e32 v57, 2, v43
	s_delay_alu instid0(VALU_DEP_1) | instskip(SKIP_4) | instid1(VALU_DEP_2)
	v_and_b32_e32 v57, 0x4040404, v57
	global_load_u8 v44, v[44:45], off offset:104
	s_wait_xcnt 0x0
	v_and_b32_e32 v45, 0x3030303, v42
	v_dual_lshrrev_b32 v59, 24, v57 :: v_dual_lshrrev_b32 v60, 16, v57
	v_lshrrev_b32_e32 v56, 16, v45
	v_lshrrev_b16 v58, 8, v57
	s_delay_alu instid0(VALU_DEP_3) | instskip(NEXT) | instid1(VALU_DEP_3)
	v_sub_nc_u16 v55, v55, v59
	v_sub_nc_u16 v56, v56, v60
	s_delay_alu instid0(VALU_DEP_2) | instskip(NEXT) | instid1(VALU_DEP_2)
	v_bfe_i32 v55, v55, 0, 16
	v_bfe_i32 v56, v56, 0, 8
	s_wait_loadcnt 0x0
	v_lshrrev_b32_e32 v44, v30, v44
	s_delay_alu instid0(VALU_DEP_1) | instskip(NEXT) | instid1(VALU_DEP_1)
	v_lshlrev_b32_e32 v44, 4, v44
	v_and_or_b32 v44, v44, 48, v47
	v_lshrrev_b16 v47, 8, v45
	v_sub_nc_u16 v45, v45, v57
	v_ashrrev_i32_e32 v57, 24, v48
	s_delay_alu instid0(VALU_DEP_4) | instskip(NEXT) | instid1(VALU_DEP_4)
	v_subrev_nc_u32_e32 v44, 32, v44
	v_sub_nc_u16 v47, v47, v58
	s_delay_alu instid0(VALU_DEP_4) | instskip(SKIP_4) | instid1(VALU_DEP_3)
	v_bfe_i32 v45, v45, 0, 8
	v_bfe_i32 v58, v48, 16, 8
	;; [unrolled: 1-line block ×3, first 2 shown]
	v_mul_i32_i24_e32 v55, v55, v57
	v_bfe_i32 v47, v47, 0, 16
	v_mul_i32_i24_e32 v45, v45, v48
	v_mul_i32_i24_e32 v48, v56, v58
	s_delay_alu instid0(VALU_DEP_3) | instskip(SKIP_1) | instid1(VALU_DEP_2)
	v_mad_i32_i24 v47, v47, v49, v55
	v_dual_lshlrev_b32 v55, 1, v43 :: v_dual_lshrrev_b32 v43, 1, v43
	v_add3_u32 v45, v45, v48, v47
	s_delay_alu instid0(VALU_DEP_2) | instskip(NEXT) | instid1(VALU_DEP_3)
	v_and_b32_e32 v55, 0x4040404, v55
	v_and_b32_e32 v43, 0x4040404, v43
	s_delay_alu instid0(VALU_DEP_3) | instskip(NEXT) | instid1(VALU_DEP_3)
	v_mul_lo_u32 v44, v44, v45
	v_lshrrev_b32_e32 v57, 24, v55
	v_lshrrev_b16 v56, 8, v55
	v_lshrrev_b32_e32 v58, 16, v55
	s_delay_alu instid0(VALU_DEP_4) | instskip(NEXT) | instid1(VALU_DEP_1)
	v_cvt_f32_i32_e32 v44, v44
	v_fma_mix_f32 v47, v50, v44, 0 op_sel_hi:[1,0,0]
	v_add_nc_u64_e32 v[44:45], v[22:23], v[10:11]
	global_load_u8 v44, v[44:45], off offset:96
	s_wait_loadcnt 0x0
	v_bfe_u32 v48, v44, v31, 4
	v_add_nc_u64_e32 v[44:45], v[22:23], v[12:13]
	global_load_u8 v44, v[44:45], off offset:104
	s_wait_loadcnt 0x0
	v_dual_lshrrev_b32 v45, 2, v42 :: v_dual_lshrrev_b32 v44, v32, v44
	s_delay_alu instid0(VALU_DEP_1) | instskip(NEXT) | instid1(VALU_DEP_1)
	v_lshlrev_b32_e32 v44, 4, v44
	v_and_or_b32 v44, v44, 48, v48
	s_delay_alu instid0(VALU_DEP_3) | instskip(SKIP_1) | instid1(VALU_DEP_3)
	v_and_b32_e32 v48, 0x3030303, v45
	v_bfe_u32 v45, v45, 24, 2
	v_subrev_nc_u32_e32 v44, 32, v44
	s_delay_alu instid0(VALU_DEP_3) | instskip(SKIP_1) | instid1(VALU_DEP_4)
	v_lshrrev_b16 v49, 8, v48
	v_lshrrev_b32_e32 v50, 16, v48
	v_sub_nc_u16 v45, v45, v57
	v_sub_nc_u16 v48, v48, v55
	v_bfe_i32 v55, v51, 8, 8
	v_sub_nc_u16 v49, v49, v56
	v_sub_nc_u16 v50, v50, v58
	v_lshlrev_b16 v45, 8, v45
	v_bfe_i32 v48, v48, 0, 8
	v_bfe_i32 v56, v51, 0, 8
	v_lshlrev_b16 v49, 8, v49
	s_delay_alu instid0(VALU_DEP_4) | instskip(NEXT) | instid1(VALU_DEP_3)
	v_bitop3_b16 v45, v50, v45, 0xff bitop3:0xec
	v_mul_i32_i24_e32 v48, v56, v48
	s_delay_alu instid0(VALU_DEP_3) | instskip(SKIP_1) | instid1(VALU_DEP_4)
	v_bfe_i32 v49, v49, 8, 8
	v_lshlrev_b32_e32 v56, 8, v51
	v_perm_b32 v45, v45, v50, 0xc0c0500
	s_delay_alu instid0(VALU_DEP_3) | instskip(NEXT) | instid1(VALU_DEP_3)
	v_mad_i32_i24 v48, v55, v49, v48
	v_perm_b32 v49, v51, v56, 0xc0c0703
	v_lshrrev_b32_e32 v51, 24, v46
	v_lshrrev_b16 v55, 8, v46
	s_delay_alu instid0(VALU_DEP_3) | instskip(NEXT) | instid1(VALU_DEP_1)
	v_dot4_i32_iu8 v45, v49, v45, v48 neg_lo:[1,1,0]
	v_mul_lo_u32 v44, v44, v45
	s_delay_alu instid0(VALU_DEP_1) | instskip(NEXT) | instid1(VALU_DEP_1)
	v_cvt_f32_i32_e32 v44, v44
	v_fma_mix_f32 v47, v52, v44, v47 op_sel_hi:[1,0,0]
	v_add_nc_u64_e32 v[44:45], v[22:23], v[14:15]
	v_lshrrev_b32_e32 v52, 16, v46
	global_load_u8 v44, v[44:45], off offset:96
	s_wait_loadcnt 0x0
	v_bfe_u32 v48, v44, v33, 4
	v_add_nc_u64_e32 v[44:45], v[22:23], v[16:17]
	global_load_u8 v44, v[44:45], off offset:104
	s_wait_loadcnt 0x0
	v_dual_lshrrev_b32 v45, 4, v42 :: v_dual_lshrrev_b32 v44, v34, v44
	s_delay_alu instid0(VALU_DEP_1) | instskip(NEXT) | instid1(VALU_DEP_1)
	v_lshlrev_b32_e32 v44, 4, v44
	v_and_or_b32 v44, v44, 48, v48
	s_delay_alu instid0(VALU_DEP_3) | instskip(SKIP_1) | instid1(VALU_DEP_3)
	v_bfe_u32 v48, v45, 24, 2
	v_and_b32_e32 v45, 0x3030303, v45
	v_subrev_nc_u32_e32 v44, 32, v44
	s_delay_alu instid0(VALU_DEP_3) | instskip(NEXT) | instid1(VALU_DEP_3)
	v_sub_nc_u16 v48, v48, v51
	v_lshrrev_b32_e32 v49, 16, v45
	v_lshrrev_b16 v50, 8, v45
	v_sub_nc_u16 v45, v45, v46
	v_lshlrev_b32_e32 v46, 16, v53
	v_lshlrev_b16 v48, 8, v48
	v_sub_nc_u16 v49, v49, v52
	v_sub_nc_u16 v50, v50, v55
	v_bfe_i32 v51, v53, 0, 8
	v_dual_lshlrev_b32 v52, 8, v53 :: v_dual_ashrrev_i32 v53, 24, v53
	v_bfe_i32 v48, v48, 8, 8
	s_delay_alu instid0(VALU_DEP_4) | instskip(SKIP_1) | instid1(VALU_DEP_4)
	v_lshlrev_b16 v50, 8, v50
	v_bfe_i32 v45, v45, 0, 8
	v_perm_b32 v46, v52, v46, 0xc0c0703
	s_delay_alu instid0(VALU_DEP_4) | instskip(NEXT) | instid1(VALU_DEP_1)
	v_mul_i32_i24_e32 v48, v53, v48
	v_mad_i32_i24 v45, v51, v45, v48
	v_perm_b32 v48, v49, v50, 0xc0c0401
	v_lshrrev_b16 v49, 8, v43
	s_delay_alu instid0(VALU_DEP_2) | instskip(SKIP_1) | instid1(VALU_DEP_2)
	v_dot4_i32_iu8 v45, v46, v48, v45 neg_lo:[1,1,0]
	v_lshrrev_b32_e32 v48, 16, v43
	v_mul_lo_u32 v44, v44, v45
	s_delay_alu instid0(VALU_DEP_1) | instskip(NEXT) | instid1(VALU_DEP_1)
	v_cvt_f32_i32_e32 v44, v44
	v_fma_mix_f32 v46, v54, v44, v47 op_sel_hi:[1,0,0]
	v_add_nc_u64_e32 v[44:45], v[22:23], v[18:19]
	v_add_nc_u64_e32 v[22:23], v[22:23], v[20:21]
	v_lshrrev_b32_e32 v47, 24, v43
	s_clause 0x1
	global_load_u8 v44, v[44:45], off offset:96
	global_load_u8 v22, v[22:23], off offset:104
	s_wait_xcnt 0x0
	v_dual_lshrrev_b32 v23, 6, v42 :: v_dual_lshrrev_b32 v42, 30, v42
	s_delay_alu instid0(VALU_DEP_1) | instskip(NEXT) | instid1(VALU_DEP_2)
	v_and_b32_e32 v23, 0x3030303, v23
	v_sub_nc_u16 v42, v42, v47
	v_bfe_i32 v47, v41, 0, 8
	s_delay_alu instid0(VALU_DEP_3) | instskip(NEXT) | instid1(VALU_DEP_3)
	v_lshrrev_b16 v45, 8, v23
	v_lshlrev_b16 v42, 8, v42
	s_delay_alu instid0(VALU_DEP_2) | instskip(NEXT) | instid1(VALU_DEP_2)
	v_sub_nc_u16 v45, v45, v49
	v_bfe_i32 v42, v42, 8, 8
	s_delay_alu instid0(VALU_DEP_2) | instskip(SKIP_4) | instid1(VALU_DEP_1)
	v_lshlrev_b16 v45, 8, v45
	s_wait_loadcnt 0x1
	v_bfe_u32 v44, v44, v36, 4
	s_wait_loadcnt 0x0
	v_lshrrev_b32_e32 v22, v37, v22
	v_lshlrev_b32_e32 v22, 4, v22
	s_delay_alu instid0(VALU_DEP_1) | instskip(SKIP_3) | instid1(VALU_DEP_4)
	v_and_or_b32 v22, v22, 48, v44
	v_lshrrev_b32_e32 v44, 16, v23
	v_sub_nc_u16 v23, v23, v43
	v_lshlrev_b32_e32 v43, 16, v41
	v_subrev_nc_u32_e32 v22, 32, v22
	s_delay_alu instid0(VALU_DEP_4) | instskip(SKIP_2) | instid1(VALU_DEP_2)
	v_sub_nc_u16 v44, v44, v48
	v_dual_lshlrev_b32 v48, 8, v41 :: v_dual_ashrrev_i32 v41, 24, v41
	v_bfe_i32 v23, v23, 0, 8
	v_mul_i32_i24_e32 v41, v41, v42
	s_delay_alu instid0(VALU_DEP_4) | instskip(NEXT) | instid1(VALU_DEP_2)
	v_perm_b32 v42, v44, v45, 0xc0c0401
	v_mad_i32_i24 v23, v47, v23, v41
	v_perm_b32 v41, v48, v43, 0xc0c0703
	s_delay_alu instid0(VALU_DEP_1) | instskip(NEXT) | instid1(VALU_DEP_1)
	v_dot4_i32_iu8 v23, v41, v42, v23 neg_lo:[1,1,0]
	v_mul_lo_u32 v22, v22, v23
	s_delay_alu instid0(VALU_DEP_1) | instskip(NEXT) | instid1(VALU_DEP_1)
	v_cvt_f32_i32_e32 v22, v22
	v_fma_mix_f32 v22, v40, v22, v46 op_sel_hi:[1,0,0]
	s_delay_alu instid0(VALU_DEP_1)
	v_fma_mix_f32 v35, v22, v39, v35 op_sel_hi:[0,1,0]
	s_and_not1_b32 exec_lo, exec_lo, s2
	s_cbranch_execnz .LBB64_3
; %bb.4:
	s_or_b32 exec_lo, exec_lo, s2
.LBB64_5:
	s_delay_alu instid0(SALU_CYCLE_1) | instskip(SKIP_1) | instid1(VALU_DEP_1)
	s_or_b32 exec_lo, exec_lo, s9
	v_mbcnt_lo_u32_b32 v0, -1, 0
	v_xor_b32_e32 v2, 8, v0
	v_xor_b32_e32 v1, 16, v0
	;; [unrolled: 1-line block ×3, first 2 shown]
	s_delay_alu instid0(VALU_DEP_2) | instskip(SKIP_4) | instid1(VALU_DEP_2)
	v_cmp_gt_i32_e32 vcc_lo, 32, v1
	v_cndmask_b32_e32 v1, v0, v1, vcc_lo
	v_cmp_gt_i32_e32 vcc_lo, 32, v2
	v_cndmask_b32_e32 v2, v0, v2, vcc_lo
	v_cmp_gt_i32_e32 vcc_lo, 32, v3
	v_dual_lshlrev_b32 v2, 2, v2 :: v_dual_lshlrev_b32 v1, 2, v1
	ds_bpermute_b32 v1, v1, v35
	s_wait_dscnt 0x0
	v_add_f32_e32 v1, v35, v1
	ds_bpermute_b32 v2, v2, v1
	s_wait_dscnt 0x0
	v_dual_cndmask_b32 v3, v0, v3, vcc_lo :: v_dual_add_f32 v1, v1, v2
	s_delay_alu instid0(VALU_DEP_1) | instskip(SKIP_3) | instid1(VALU_DEP_1)
	v_lshlrev_b32_e32 v3, 2, v3
	ds_bpermute_b32 v2, v3, v1
	s_wait_dscnt 0x0
	v_dual_add_f32 v1, v1, v2 :: v_dual_bitop2_b32 v3, 2, v0 bitop3:0x14
	v_cmp_gt_i32_e32 vcc_lo, 32, v3
	v_cndmask_b32_e32 v3, v0, v3, vcc_lo
	s_delay_alu instid0(VALU_DEP_1) | instskip(SKIP_2) | instid1(VALU_DEP_1)
	v_lshlrev_b32_e32 v3, 2, v3
	ds_bpermute_b32 v2, v3, v1
	v_xor_b32_e32 v3, 1, v0
	v_cmp_gt_i32_e32 vcc_lo, 32, v3
	v_cndmask_b32_e32 v3, v0, v3, vcc_lo
	v_cmp_eq_u32_e32 vcc_lo, 0, v25
	s_wait_dscnt 0x0
	s_delay_alu instid0(VALU_DEP_2)
	v_dual_add_f32 v0, v1, v2 :: v_dual_lshlrev_b32 v1, 2, v3
	ds_bpermute_b32 v1, v1, v0
	s_and_b32 exec_lo, exec_lo, vcc_lo
	s_cbranch_execz .LBB64_7
; %bb.6:
	v_mad_u32 v2, s5, s8, v24
	s_wait_dscnt 0x0
	v_add_f32_e32 v0, v0, v1
	s_wait_kmcnt 0x0
	global_store_b32 v2, v0, s[6:7] scale_offset
.LBB64_7:
	s_endpgm
	.section	.rodata,"a",@progbits
	.p2align	6, 0x0
	.amdhsa_kernel _ZL13mul_mat_vec_qIfLi256ELi16E10block_q3_KLi1EXadL_ZL17vec_dot_q3_K_q8_1PKvPK10block_q8_1RKiEEEvS2_S2_PT_iii
		.amdhsa_group_segment_fixed_size 0
		.amdhsa_private_segment_fixed_size 0
		.amdhsa_kernarg_size 296
		.amdhsa_user_sgpr_count 2
		.amdhsa_user_sgpr_dispatch_ptr 0
		.amdhsa_user_sgpr_queue_ptr 0
		.amdhsa_user_sgpr_kernarg_segment_ptr 1
		.amdhsa_user_sgpr_dispatch_id 0
		.amdhsa_user_sgpr_kernarg_preload_length 0
		.amdhsa_user_sgpr_kernarg_preload_offset 0
		.amdhsa_user_sgpr_private_segment_size 0
		.amdhsa_wavefront_size32 1
		.amdhsa_uses_dynamic_stack 0
		.amdhsa_enable_private_segment 0
		.amdhsa_system_sgpr_workgroup_id_x 1
		.amdhsa_system_sgpr_workgroup_id_y 1
		.amdhsa_system_sgpr_workgroup_id_z 0
		.amdhsa_system_sgpr_workgroup_info 0
		.amdhsa_system_vgpr_workitem_id 1
		.amdhsa_next_free_vgpr 61
		.amdhsa_next_free_sgpr 12
		.amdhsa_named_barrier_count 0
		.amdhsa_reserve_vcc 1
		.amdhsa_float_round_mode_32 0
		.amdhsa_float_round_mode_16_64 0
		.amdhsa_float_denorm_mode_32 3
		.amdhsa_float_denorm_mode_16_64 3
		.amdhsa_fp16_overflow 0
		.amdhsa_memory_ordered 1
		.amdhsa_forward_progress 1
		.amdhsa_inst_pref_size 23
		.amdhsa_round_robin_scheduling 0
		.amdhsa_exception_fp_ieee_invalid_op 0
		.amdhsa_exception_fp_denorm_src 0
		.amdhsa_exception_fp_ieee_div_zero 0
		.amdhsa_exception_fp_ieee_overflow 0
		.amdhsa_exception_fp_ieee_underflow 0
		.amdhsa_exception_fp_ieee_inexact 0
		.amdhsa_exception_int_div_zero 0
	.end_amdhsa_kernel
	.section	.text._ZL13mul_mat_vec_qIfLi256ELi16E10block_q3_KLi1EXadL_ZL17vec_dot_q3_K_q8_1PKvPK10block_q8_1RKiEEEvS2_S2_PT_iii,"axG",@progbits,_ZL13mul_mat_vec_qIfLi256ELi16E10block_q3_KLi1EXadL_ZL17vec_dot_q3_K_q8_1PKvPK10block_q8_1RKiEEEvS2_S2_PT_iii,comdat
.Lfunc_end64:
	.size	_ZL13mul_mat_vec_qIfLi256ELi16E10block_q3_KLi1EXadL_ZL17vec_dot_q3_K_q8_1PKvPK10block_q8_1RKiEEEvS2_S2_PT_iii, .Lfunc_end64-_ZL13mul_mat_vec_qIfLi256ELi16E10block_q3_KLi1EXadL_ZL17vec_dot_q3_K_q8_1PKvPK10block_q8_1RKiEEEvS2_S2_PT_iii
                                        ; -- End function
	.set _ZL13mul_mat_vec_qIfLi256ELi16E10block_q3_KLi1EXadL_ZL17vec_dot_q3_K_q8_1PKvPK10block_q8_1RKiEEEvS2_S2_PT_iii.num_vgpr, 61
	.set _ZL13mul_mat_vec_qIfLi256ELi16E10block_q3_KLi1EXadL_ZL17vec_dot_q3_K_q8_1PKvPK10block_q8_1RKiEEEvS2_S2_PT_iii.num_agpr, 0
	.set _ZL13mul_mat_vec_qIfLi256ELi16E10block_q3_KLi1EXadL_ZL17vec_dot_q3_K_q8_1PKvPK10block_q8_1RKiEEEvS2_S2_PT_iii.numbered_sgpr, 12
	.set _ZL13mul_mat_vec_qIfLi256ELi16E10block_q3_KLi1EXadL_ZL17vec_dot_q3_K_q8_1PKvPK10block_q8_1RKiEEEvS2_S2_PT_iii.num_named_barrier, 0
	.set _ZL13mul_mat_vec_qIfLi256ELi16E10block_q3_KLi1EXadL_ZL17vec_dot_q3_K_q8_1PKvPK10block_q8_1RKiEEEvS2_S2_PT_iii.private_seg_size, 0
	.set _ZL13mul_mat_vec_qIfLi256ELi16E10block_q3_KLi1EXadL_ZL17vec_dot_q3_K_q8_1PKvPK10block_q8_1RKiEEEvS2_S2_PT_iii.uses_vcc, 1
	.set _ZL13mul_mat_vec_qIfLi256ELi16E10block_q3_KLi1EXadL_ZL17vec_dot_q3_K_q8_1PKvPK10block_q8_1RKiEEEvS2_S2_PT_iii.uses_flat_scratch, 0
	.set _ZL13mul_mat_vec_qIfLi256ELi16E10block_q3_KLi1EXadL_ZL17vec_dot_q3_K_q8_1PKvPK10block_q8_1RKiEEEvS2_S2_PT_iii.has_dyn_sized_stack, 0
	.set _ZL13mul_mat_vec_qIfLi256ELi16E10block_q3_KLi1EXadL_ZL17vec_dot_q3_K_q8_1PKvPK10block_q8_1RKiEEEvS2_S2_PT_iii.has_recursion, 0
	.set _ZL13mul_mat_vec_qIfLi256ELi16E10block_q3_KLi1EXadL_ZL17vec_dot_q3_K_q8_1PKvPK10block_q8_1RKiEEEvS2_S2_PT_iii.has_indirect_call, 0
	.section	.AMDGPU.csdata,"",@progbits
; Kernel info:
; codeLenInByte = 2884
; TotalNumSgprs: 14
; NumVgprs: 61
; ScratchSize: 0
; MemoryBound: 0
; FloatMode: 240
; IeeeMode: 1
; LDSByteSize: 0 bytes/workgroup (compile time only)
; SGPRBlocks: 0
; VGPRBlocks: 3
; NumSGPRsForWavesPerEU: 14
; NumVGPRsForWavesPerEU: 61
; NamedBarCnt: 0
; Occupancy: 16
; WaveLimiterHint : 0
; COMPUTE_PGM_RSRC2:SCRATCH_EN: 0
; COMPUTE_PGM_RSRC2:USER_SGPR: 2
; COMPUTE_PGM_RSRC2:TRAP_HANDLER: 0
; COMPUTE_PGM_RSRC2:TGID_X_EN: 1
; COMPUTE_PGM_RSRC2:TGID_Y_EN: 1
; COMPUTE_PGM_RSRC2:TGID_Z_EN: 0
; COMPUTE_PGM_RSRC2:TIDIG_COMP_CNT: 1
	.section	.text._ZL13mul_mat_vec_qIfLi256ELi32E10block_q4_KLi2EXadL_ZL17vec_dot_q4_K_q8_1PKvPK10block_q8_1RKiEEEvS2_S2_PT_iii,"axG",@progbits,_ZL13mul_mat_vec_qIfLi256ELi32E10block_q4_KLi2EXadL_ZL17vec_dot_q4_K_q8_1PKvPK10block_q8_1RKiEEEvS2_S2_PT_iii,comdat
	.globl	_ZL13mul_mat_vec_qIfLi256ELi32E10block_q4_KLi2EXadL_ZL17vec_dot_q4_K_q8_1PKvPK10block_q8_1RKiEEEvS2_S2_PT_iii ; -- Begin function _ZL13mul_mat_vec_qIfLi256ELi32E10block_q4_KLi2EXadL_ZL17vec_dot_q4_K_q8_1PKvPK10block_q8_1RKiEEEvS2_S2_PT_iii
	.p2align	8
	.type	_ZL13mul_mat_vec_qIfLi256ELi32E10block_q4_KLi2EXadL_ZL17vec_dot_q4_K_q8_1PKvPK10block_q8_1RKiEEEvS2_S2_PT_iii,@function
_ZL13mul_mat_vec_qIfLi256ELi32E10block_q4_KLi2EXadL_ZL17vec_dot_q4_K_q8_1PKvPK10block_q8_1RKiEEEvS2_S2_PT_iii: ; @_ZL13mul_mat_vec_qIfLi256ELi32E10block_q4_KLi2EXadL_ZL17vec_dot_q4_K_q8_1PKvPK10block_q8_1RKiEEEvS2_S2_PT_iii
; %bb.0:
	s_clause 0x1
	s_load_u16 s2, s[0:1], 0x36
	s_load_b96 s[8:10], s[0:1], 0x18
	s_bfe_u32 s4, ttmp6, 0x4000c
	s_bfe_u32 s5, ttmp6, 0x40010
	s_add_co_i32 s4, s4, 1
	s_add_co_i32 s5, s5, 1
	s_and_b32 s3, ttmp6, 15
	s_mul_i32 s4, ttmp9, s4
	s_mul_i32 s5, ttmp7, s5
	s_bfe_u32 s6, ttmp6, 0x40004
	s_add_co_i32 s3, s3, s4
	s_getreg_b32 s4, hwreg(HW_REG_IB_STS2, 6, 4)
	s_add_co_i32 s6, s6, s5
	v_bfe_u32 v1, v0, 10, 10
	s_cmp_eq_u32 s4, 0
	s_cselect_b32 s3, ttmp9, s3
	s_cselect_b32 s11, ttmp7, s6
	s_wait_kmcnt 0x0
	v_mad_u32 v14, s3, s2, v1
	s_cmp_lt_u32 s11, s10
	s_cselect_b32 s2, -1, 0
	s_delay_alu instid0(VALU_DEP_1) | instskip(SKIP_1) | instid1(SALU_CYCLE_1)
	v_cmp_gt_u32_e32 vcc_lo, s9, v14
	s_and_b32 s2, s2, vcc_lo
	s_and_saveexec_b32 s3, s2
	s_cbranch_execz .LBB65_11
; %bb.1:
	s_load_b64 s[2:3], s[0:1], 0x10
	s_ashr_i32 s4, s8, 31
	v_bfe_u32 v16, v0, 4, 6
	s_lshr_b32 s4, s4, 24
	v_and_b32_e32 v15, 0x3ff, v0
	v_mov_b32_e32 v18, 0
	s_add_co_i32 s4, s8, s4
	s_mov_b32 s10, exec_lo
	s_ashr_i32 s12, s4, 8
	s_delay_alu instid0(SALU_CYCLE_1)
	v_cmpx_gt_u32_e64 s12, v16
	s_cbranch_execz .LBB65_9
; %bb.2:
	s_load_b128 s[4:7], s[0:1], 0x0
	v_dual_lshlrev_b32 v0, 1, v15 :: v_dual_bitop2_b32 v8, 3, v15 bitop3:0x40
	s_addk_co_i32 s8, 0x1ff
	v_mul_lo_u32 v17, v14, s12
	s_wait_xcnt 0x0
	s_ashr_i32 s0, s8, 31
	v_bfe_u32 v6, v0, 3, 2
	v_dual_mov_b32 v1, 0 :: v_dual_bitop2_b32 v4, 30, v0 bitop3:0x40
	s_lshr_b32 s0, s0, 23
	s_delay_alu instid0(VALU_DEP_2)
	v_dual_lshlrev_b32 v7, 3, v16 :: v_dual_lshlrev_b32 v0, 5, v6
	v_lshlrev_b32_e32 v5, 1, v6
	s_add_co_i32 s8, s8, s0
	v_cmp_lt_u32_e32 vcc_lo, 15, v4
	s_ashr_i32 s0, s8, 9
	v_dual_lshlrev_b32 v2, 2, v8 :: v_dual_lshlrev_b32 v6, 1, v6
	s_mul_i32 s0, s11, s0
	v_mov_b32_e32 v3, v1
	s_wait_kmcnt 0x0
	v_mad_nc_u64_u32 v[4:5], v5, 36, s[6:7]
	v_lshl_add_u32 v19, s0, 4, v7
	v_dual_mov_b32 v7, v1 :: v_dual_lshlrev_b32 v8, 2, v8
	v_dual_mov_b32 v9, v1 :: v_dual_mov_b32 v18, v1
	s_mov_b32 s1, 0
	s_movk_i32 s6, 0xff
	s_branch .LBB65_4
.LBB65_3:                               ;   in Loop: Header=BB65_4 Depth=1
	s_or_b32 exec_lo, exec_lo, s0
	v_mad_nc_i64_i32 v[12:13], v19, 36, v[4:5]
	s_wait_loadcnt 0x0
	v_bfe_u32 v34, v20, 16, 4
	v_bfe_u32 v39, v21, 4, 4
	;; [unrolled: 1-line block ×3, first 2 shown]
	v_dual_lshrrev_b32 v38, 28, v20 :: v_dual_bitop2_b32 v33, 15, v20 bitop3:0x40
	v_and_b32_e32 v35, 0xff00ff, v22
	v_bfe_u32 v41, v20, 4, 4
	v_bfe_u32 v40, v21, 12, 4
	;; [unrolled: 1-line block ×3, first 2 shown]
	v_lshrrev_b32_e32 v37, 4, v20
	v_add_nc_u64_e32 v[24:25], v[12:13], v[8:9]
	s_clause 0x4
	global_load_b32 v23, v[24:25], off offset:4
	global_load_b32 v26, v[24:25], off offset:20
	;; [unrolled: 1-line block ×4, first 2 shown]
	global_load_b32 v29, v[12:13], off
	global_load_b32 v30, v[10:11], off
	global_load_b32 v31, v[12:13], off offset:36
	s_wait_xcnt 0x1
	v_and_b32_e32 v11, 0xf0f0f0f, v21
	s_wait_xcnt 0x0
	v_and_b32_e32 v13, 0xf0f0f0f, v20
	v_and_b32_e32 v25, 15, v21
	v_bfe_u32 v24, v20, 24, 4
	v_lshrrev_b16 v37, 8, v37
	v_lshrrev_b16 v11, 8, v11
	;; [unrolled: 1-line block ×3, first 2 shown]
	v_bfe_u32 v12, v21, 24, 4
	v_bfe_u32 v20, v20, 20, 4
	v_dual_lshrrev_b32 v35, 16, v35 :: v_dual_bitop2_b32 v37, 15, v37 bitop3:0x40
	v_and_b32_e32 v11, 0xffff, v11
	v_and_b32_e32 v13, 0xffff, v13
	v_pk_lshrrev_b16 v10, 8, v22 op_sel_hi:[0,1]
	s_delay_alu instid0(VALU_DEP_4) | instskip(SKIP_2) | instid1(VALU_DEP_4)
	v_and_b32_e32 v37, 0xffff, v37
	v_lshrrev_b32_e32 v21, 28, v21
	v_bitop3_b32 v22, v22, s6, 0xff00ff bitop3:0x80
	v_dual_add_nc_u32 v16, 2, v16 :: v_dual_lshrrev_b32 v42, 16, v10
	v_and_b32_e32 v10, 0xff, v10
	v_add_nc_u32_e32 v19, 16, v19
	s_delay_alu instid0(VALU_DEP_3)
	v_cmp_le_u32_e64 s0, s12, v16
	s_or_b32 s1, s0, s1
	s_wait_loadcnt 0x6
	v_lshrrev_b16 v43, 8, v23
	s_wait_loadcnt 0x5
	v_lshrrev_b16 v44, 8, v26
	v_dual_ashrrev_i32 v46, 24, v23 :: v_dual_ashrrev_i32 v48, 24, v26
	v_bfe_i32 v47, v23, 0, 8
	v_bfe_i32 v49, v26, 16, 8
	s_wait_loadcnt 0x3
	v_bfe_i32 v50, v28, 0, 8
	v_bfe_i32 v51, v28, 8, 8
	;; [unrolled: 1-line block ×3, first 2 shown]
	v_dual_ashrrev_i32 v28, 24, v28 :: v_dual_ashrrev_i32 v54, 24, v27
	v_bfe_i32 v43, v43, 0, 8
	v_lshrrev_b16 v45, 8, v27
	v_bfe_i32 v23, v23, 16, 8
	v_bfe_i32 v26, v26, 0, 8
	;; [unrolled: 1-line block ×5, first 2 shown]
	v_mul_i32_i24_e32 v34, v49, v34
	v_mul_i32_i24_e32 v24, v48, v24
	;; [unrolled: 1-line block ×3, first 2 shown]
	v_add_nc_u32_e32 v50, v50, v28
	v_mul_i32_i24_e32 v11, v43, v11
	v_add_nc_u32_e32 v43, v43, v47
	v_mul_i32_i24_e32 v33, v26, v33
	v_bfe_i32 v45, v45, 0, 8
	v_mul_i32_i24_e32 v20, v27, v20
	v_mul_i32_i24_e32 v38, v54, v38
	;; [unrolled: 1-line block ×3, first 2 shown]
	v_mad_i32_i24 v32, v23, v32, v34
	v_mad_i32_i24 v12, v46, v12, v24
	v_add3_u32 v23, v43, v23, v46
	v_mul_i32_i24_e32 v40, v51, v40
	v_mad_i32_i24 v25, v47, v25, v33
	v_mad_i32_i24 v20, v53, v41, v20
	;; [unrolled: 1-line block ×3, first 2 shown]
	v_add3_u32 v33, v50, v51, v52
	v_add3_u32 v11, v11, v13, v12
	;; [unrolled: 1-line block ×3, first 2 shown]
	v_mul_i32_i24_e32 v36, v52, v36
	v_mad_i32_i24 v13, v28, v21, v40
	v_add3_u32 v20, v20, v24, v39
	v_add3_u32 v21, v33, v45, v53
	;; [unrolled: 1-line block ×4, first 2 shown]
	s_delay_alu instid0(VALU_DEP_4) | instskip(NEXT) | instid1(VALU_DEP_4)
	v_add3_u32 v13, v20, v13, v36
	v_add3_u32 v20, v21, v27, v54
	s_delay_alu instid0(VALU_DEP_4) | instskip(NEXT) | instid1(VALU_DEP_4)
	v_mul_lo_u32 v11, v11, v22
	v_mul_lo_u32 v21, v12, v35
	s_delay_alu instid0(VALU_DEP_4) | instskip(NEXT) | instid1(VALU_DEP_4)
	v_mul_lo_u32 v22, v13, v10
	v_mul_lo_u32 v23, v20, v42
	s_wait_loadcnt 0x2
	v_cvt_f32_f16_e32 v10, v29
	s_wait_loadcnt 0x0
	v_cvt_f32_f16_e32 v20, v31
	v_cvt_f32_i32_e32 v12, v11
	v_cvt_f32_i32_e32 v13, v21
	v_lshrrev_b32_e32 v21, 16, v30
	v_cvt_f32_i32_e32 v22, v22
	v_cvt_f32_i32_e32 v23, v23
	s_delay_alu instid0(VALU_DEP_4) | instskip(SKIP_2) | instid1(VALU_DEP_3)
	v_pk_fma_f32 v[10:11], v[10:11], v[12:13], 0 op_sel_hi:[0,1,0]
	v_cvt_f32_f16_e32 v12, v30
	v_cvt_f32_f16_e32 v13, v21
	v_pk_fma_f32 v[10:11], v[20:21], v[22:23], v[10:11] op_sel_hi:[0,1,1]
	s_delay_alu instid0(VALU_DEP_1) | instskip(NEXT) | instid1(VALU_DEP_1)
	v_pk_mul_f32 v[10:11], v[10:11], v[12:13]
	v_sub_f32_e32 v10, v10, v11
	s_delay_alu instid0(VALU_DEP_1)
	v_add_f32_e32 v18, v18, v10
	s_and_not1_b32 exec_lo, exec_lo, s1
	s_cbranch_execz .LBB65_8
.LBB65_4:                               ; =>This Inner Loop Header: Depth=1
	v_add_nc_u32_e32 v10, v17, v16
                                        ; implicit-def: $vgpr22
	s_delay_alu instid0(VALU_DEP_1) | instskip(NEXT) | instid1(VALU_DEP_1)
	v_mad_nc_i64_i32 v[10:11], 0x90, v10, s[4:5]
	v_add_nc_u64_e32 v[12:13], v[10:11], v[0:1]
	s_delay_alu instid0(VALU_DEP_1)
	v_add_nc_u64_e32 v[12:13], v[12:13], v[2:3]
	s_clause 0x1
	global_load_b32 v21, v[12:13], off offset:16
	global_load_b32 v20, v[12:13], off offset:32
	s_wait_xcnt 0x0
	v_add_nc_u64_e32 v[12:13], v[10:11], v[6:7]
	s_and_saveexec_b32 s0, vcc_lo
	s_delay_alu instid0(SALU_CYCLE_1)
	s_xor_b32 s0, exec_lo, s0
	s_cbranch_execz .LBB65_6
; %bb.5:                                ;   in Loop: Header=BB65_4 Depth=1
	s_clause 0x2
	global_load_u16 v22, v[12:13], off
	global_load_u16 v23, v[12:13], off offset:8
	global_load_u16 v24, v[12:13], off offset:4
	s_wait_loadcnt 0x1
	s_wait_xcnt 0x0
	v_pk_lshrrev_b16 v12, 4, v23 op_sel:[1,0] op_sel_hi:[0,0]
	s_wait_loadcnt 0x0
	v_perm_b32 v13, v24, v22, 0x5040100
	s_delay_alu instid0(VALU_DEP_2) | instskip(NEXT) | instid1(VALU_DEP_2)
	v_and_b32_e32 v12, 0xf0f0f0f, v12
	v_pk_lshrrev_b16 v13, 2, v13 op_sel_hi:[0,1]
	s_delay_alu instid0(VALU_DEP_1)
	v_and_or_b32 v22, 0x30303030, v13, v12
                                        ; implicit-def: $vgpr12_vgpr13
.LBB65_6:                               ;   in Loop: Header=BB65_4 Depth=1
	s_and_not1_saveexec_b32 s0, s0
	s_cbranch_execz .LBB65_3
; %bb.7:                                ;   in Loop: Header=BB65_4 Depth=1
	s_clause 0x1
	global_load_u16 v22, v[12:13], off offset:4
	global_load_u16 v23, v[12:13], off offset:8
	s_wait_loadcnt 0x0
	v_perm_b32 v12, v23, v22, 0x5040100
	s_delay_alu instid0(VALU_DEP_1)
	v_and_b32_e32 v22, 0x3f3f3f3f, v12
	s_branch .LBB65_3
.LBB65_8:
	s_or_b32 exec_lo, exec_lo, s1
.LBB65_9:
	s_delay_alu instid0(SALU_CYCLE_1) | instskip(SKIP_1) | instid1(VALU_DEP_1)
	s_or_b32 exec_lo, exec_lo, s10
	v_mbcnt_lo_u32_b32 v0, -1, 0
	v_xor_b32_e32 v2, 8, v0
	v_xor_b32_e32 v1, 16, v0
	;; [unrolled: 1-line block ×3, first 2 shown]
	s_delay_alu instid0(VALU_DEP_2) | instskip(SKIP_4) | instid1(VALU_DEP_2)
	v_cmp_gt_i32_e32 vcc_lo, 32, v1
	v_cndmask_b32_e32 v1, v0, v1, vcc_lo
	v_cmp_gt_i32_e32 vcc_lo, 32, v2
	v_cndmask_b32_e32 v2, v0, v2, vcc_lo
	v_cmp_gt_i32_e32 vcc_lo, 32, v3
	v_dual_lshlrev_b32 v2, 2, v2 :: v_dual_lshlrev_b32 v1, 2, v1
	ds_bpermute_b32 v1, v1, v18
	s_wait_dscnt 0x0
	v_add_f32_e32 v1, v18, v1
	ds_bpermute_b32 v2, v2, v1
	s_wait_dscnt 0x0
	v_dual_cndmask_b32 v3, v0, v3, vcc_lo :: v_dual_add_f32 v1, v1, v2
	s_delay_alu instid0(VALU_DEP_1) | instskip(SKIP_3) | instid1(VALU_DEP_1)
	v_lshlrev_b32_e32 v3, 2, v3
	ds_bpermute_b32 v2, v3, v1
	s_wait_dscnt 0x0
	v_dual_add_f32 v1, v1, v2 :: v_dual_bitop2_b32 v3, 2, v0 bitop3:0x14
	v_cmp_gt_i32_e32 vcc_lo, 32, v3
	v_cndmask_b32_e32 v3, v0, v3, vcc_lo
	s_delay_alu instid0(VALU_DEP_1) | instskip(SKIP_2) | instid1(VALU_DEP_1)
	v_lshlrev_b32_e32 v3, 2, v3
	ds_bpermute_b32 v2, v3, v1
	v_xor_b32_e32 v3, 1, v0
	v_cmp_gt_i32_e32 vcc_lo, 32, v3
	v_cndmask_b32_e32 v3, v0, v3, vcc_lo
	v_cmp_eq_u32_e32 vcc_lo, 0, v15
	s_wait_dscnt 0x0
	s_delay_alu instid0(VALU_DEP_2)
	v_dual_add_f32 v0, v1, v2 :: v_dual_lshlrev_b32 v1, 2, v3
	ds_bpermute_b32 v1, v1, v0
	s_and_b32 exec_lo, exec_lo, vcc_lo
	s_cbranch_execz .LBB65_11
; %bb.10:
	v_mad_u32 v2, s9, s11, v14
	s_wait_dscnt 0x0
	v_add_f32_e32 v0, v0, v1
	s_wait_kmcnt 0x0
	global_store_b32 v2, v0, s[2:3] scale_offset
.LBB65_11:
	s_endpgm
	.section	.rodata,"a",@progbits
	.p2align	6, 0x0
	.amdhsa_kernel _ZL13mul_mat_vec_qIfLi256ELi32E10block_q4_KLi2EXadL_ZL17vec_dot_q4_K_q8_1PKvPK10block_q8_1RKiEEEvS2_S2_PT_iii
		.amdhsa_group_segment_fixed_size 0
		.amdhsa_private_segment_fixed_size 0
		.amdhsa_kernarg_size 296
		.amdhsa_user_sgpr_count 2
		.amdhsa_user_sgpr_dispatch_ptr 0
		.amdhsa_user_sgpr_queue_ptr 0
		.amdhsa_user_sgpr_kernarg_segment_ptr 1
		.amdhsa_user_sgpr_dispatch_id 0
		.amdhsa_user_sgpr_kernarg_preload_length 0
		.amdhsa_user_sgpr_kernarg_preload_offset 0
		.amdhsa_user_sgpr_private_segment_size 0
		.amdhsa_wavefront_size32 1
		.amdhsa_uses_dynamic_stack 0
		.amdhsa_enable_private_segment 0
		.amdhsa_system_sgpr_workgroup_id_x 1
		.amdhsa_system_sgpr_workgroup_id_y 1
		.amdhsa_system_sgpr_workgroup_id_z 0
		.amdhsa_system_sgpr_workgroup_info 0
		.amdhsa_system_vgpr_workitem_id 1
		.amdhsa_next_free_vgpr 55
		.amdhsa_next_free_sgpr 13
		.amdhsa_named_barrier_count 0
		.amdhsa_reserve_vcc 1
		.amdhsa_float_round_mode_32 0
		.amdhsa_float_round_mode_16_64 0
		.amdhsa_float_denorm_mode_32 3
		.amdhsa_float_denorm_mode_16_64 3
		.amdhsa_fp16_overflow 0
		.amdhsa_memory_ordered 1
		.amdhsa_forward_progress 1
		.amdhsa_inst_pref_size 14
		.amdhsa_round_robin_scheduling 0
		.amdhsa_exception_fp_ieee_invalid_op 0
		.amdhsa_exception_fp_denorm_src 0
		.amdhsa_exception_fp_ieee_div_zero 0
		.amdhsa_exception_fp_ieee_overflow 0
		.amdhsa_exception_fp_ieee_underflow 0
		.amdhsa_exception_fp_ieee_inexact 0
		.amdhsa_exception_int_div_zero 0
	.end_amdhsa_kernel
	.section	.text._ZL13mul_mat_vec_qIfLi256ELi32E10block_q4_KLi2EXadL_ZL17vec_dot_q4_K_q8_1PKvPK10block_q8_1RKiEEEvS2_S2_PT_iii,"axG",@progbits,_ZL13mul_mat_vec_qIfLi256ELi32E10block_q4_KLi2EXadL_ZL17vec_dot_q4_K_q8_1PKvPK10block_q8_1RKiEEEvS2_S2_PT_iii,comdat
.Lfunc_end65:
	.size	_ZL13mul_mat_vec_qIfLi256ELi32E10block_q4_KLi2EXadL_ZL17vec_dot_q4_K_q8_1PKvPK10block_q8_1RKiEEEvS2_S2_PT_iii, .Lfunc_end65-_ZL13mul_mat_vec_qIfLi256ELi32E10block_q4_KLi2EXadL_ZL17vec_dot_q4_K_q8_1PKvPK10block_q8_1RKiEEEvS2_S2_PT_iii
                                        ; -- End function
	.set _ZL13mul_mat_vec_qIfLi256ELi32E10block_q4_KLi2EXadL_ZL17vec_dot_q4_K_q8_1PKvPK10block_q8_1RKiEEEvS2_S2_PT_iii.num_vgpr, 55
	.set _ZL13mul_mat_vec_qIfLi256ELi32E10block_q4_KLi2EXadL_ZL17vec_dot_q4_K_q8_1PKvPK10block_q8_1RKiEEEvS2_S2_PT_iii.num_agpr, 0
	.set _ZL13mul_mat_vec_qIfLi256ELi32E10block_q4_KLi2EXadL_ZL17vec_dot_q4_K_q8_1PKvPK10block_q8_1RKiEEEvS2_S2_PT_iii.numbered_sgpr, 13
	.set _ZL13mul_mat_vec_qIfLi256ELi32E10block_q4_KLi2EXadL_ZL17vec_dot_q4_K_q8_1PKvPK10block_q8_1RKiEEEvS2_S2_PT_iii.num_named_barrier, 0
	.set _ZL13mul_mat_vec_qIfLi256ELi32E10block_q4_KLi2EXadL_ZL17vec_dot_q4_K_q8_1PKvPK10block_q8_1RKiEEEvS2_S2_PT_iii.private_seg_size, 0
	.set _ZL13mul_mat_vec_qIfLi256ELi32E10block_q4_KLi2EXadL_ZL17vec_dot_q4_K_q8_1PKvPK10block_q8_1RKiEEEvS2_S2_PT_iii.uses_vcc, 1
	.set _ZL13mul_mat_vec_qIfLi256ELi32E10block_q4_KLi2EXadL_ZL17vec_dot_q4_K_q8_1PKvPK10block_q8_1RKiEEEvS2_S2_PT_iii.uses_flat_scratch, 0
	.set _ZL13mul_mat_vec_qIfLi256ELi32E10block_q4_KLi2EXadL_ZL17vec_dot_q4_K_q8_1PKvPK10block_q8_1RKiEEEvS2_S2_PT_iii.has_dyn_sized_stack, 0
	.set _ZL13mul_mat_vec_qIfLi256ELi32E10block_q4_KLi2EXadL_ZL17vec_dot_q4_K_q8_1PKvPK10block_q8_1RKiEEEvS2_S2_PT_iii.has_recursion, 0
	.set _ZL13mul_mat_vec_qIfLi256ELi32E10block_q4_KLi2EXadL_ZL17vec_dot_q4_K_q8_1PKvPK10block_q8_1RKiEEEvS2_S2_PT_iii.has_indirect_call, 0
	.section	.AMDGPU.csdata,"",@progbits
; Kernel info:
; codeLenInByte = 1704
; TotalNumSgprs: 15
; NumVgprs: 55
; ScratchSize: 0
; MemoryBound: 0
; FloatMode: 240
; IeeeMode: 1
; LDSByteSize: 0 bytes/workgroup (compile time only)
; SGPRBlocks: 0
; VGPRBlocks: 3
; NumSGPRsForWavesPerEU: 15
; NumVGPRsForWavesPerEU: 55
; NamedBarCnt: 0
; Occupancy: 16
; WaveLimiterHint : 0
; COMPUTE_PGM_RSRC2:SCRATCH_EN: 0
; COMPUTE_PGM_RSRC2:USER_SGPR: 2
; COMPUTE_PGM_RSRC2:TRAP_HANDLER: 0
; COMPUTE_PGM_RSRC2:TGID_X_EN: 1
; COMPUTE_PGM_RSRC2:TGID_Y_EN: 1
; COMPUTE_PGM_RSRC2:TGID_Z_EN: 0
; COMPUTE_PGM_RSRC2:TIDIG_COMP_CNT: 1
	.section	.text._ZL13mul_mat_vec_qIfLi256ELi32E10block_q5_KLi2EXadL_ZL17vec_dot_q5_K_q8_1PKvPK10block_q8_1RKiEEEvS2_S2_PT_iii,"axG",@progbits,_ZL13mul_mat_vec_qIfLi256ELi32E10block_q5_KLi2EXadL_ZL17vec_dot_q5_K_q8_1PKvPK10block_q8_1RKiEEEvS2_S2_PT_iii,comdat
	.globl	_ZL13mul_mat_vec_qIfLi256ELi32E10block_q5_KLi2EXadL_ZL17vec_dot_q5_K_q8_1PKvPK10block_q8_1RKiEEEvS2_S2_PT_iii ; -- Begin function _ZL13mul_mat_vec_qIfLi256ELi32E10block_q5_KLi2EXadL_ZL17vec_dot_q5_K_q8_1PKvPK10block_q8_1RKiEEEvS2_S2_PT_iii
	.p2align	8
	.type	_ZL13mul_mat_vec_qIfLi256ELi32E10block_q5_KLi2EXadL_ZL17vec_dot_q5_K_q8_1PKvPK10block_q8_1RKiEEEvS2_S2_PT_iii,@function
_ZL13mul_mat_vec_qIfLi256ELi32E10block_q5_KLi2EXadL_ZL17vec_dot_q5_K_q8_1PKvPK10block_q8_1RKiEEEvS2_S2_PT_iii: ; @_ZL13mul_mat_vec_qIfLi256ELi32E10block_q5_KLi2EXadL_ZL17vec_dot_q5_K_q8_1PKvPK10block_q8_1RKiEEEvS2_S2_PT_iii
; %bb.0:
	s_clause 0x1
	s_load_u16 s2, s[0:1], 0x36
	s_load_b96 s[8:10], s[0:1], 0x18
	s_bfe_u32 s4, ttmp6, 0x4000c
	s_bfe_u32 s5, ttmp6, 0x40010
	s_add_co_i32 s4, s4, 1
	s_add_co_i32 s5, s5, 1
	s_and_b32 s3, ttmp6, 15
	s_mul_i32 s4, ttmp9, s4
	s_mul_i32 s5, ttmp7, s5
	s_bfe_u32 s6, ttmp6, 0x40004
	s_add_co_i32 s3, s3, s4
	s_getreg_b32 s4, hwreg(HW_REG_IB_STS2, 6, 4)
	s_add_co_i32 s6, s6, s5
	v_bfe_u32 v1, v0, 10, 10
	s_cmp_eq_u32 s4, 0
	s_cselect_b32 s3, ttmp9, s3
	s_cselect_b32 s11, ttmp7, s6
	s_wait_kmcnt 0x0
	v_mad_u32 v14, s3, s2, v1
	s_cmp_lt_u32 s11, s10
	s_cselect_b32 s2, -1, 0
	s_delay_alu instid0(VALU_DEP_1) | instskip(SKIP_1) | instid1(SALU_CYCLE_1)
	v_cmp_gt_u32_e32 vcc_lo, s9, v14
	s_and_b32 s2, s2, vcc_lo
	s_and_saveexec_b32 s3, s2
	s_cbranch_execz .LBB66_11
; %bb.1:
	s_load_b64 s[2:3], s[0:1], 0x10
	s_ashr_i32 s4, s8, 31
	v_bfe_u32 v16, v0, 4, 6
	s_lshr_b32 s4, s4, 24
	v_and_b32_e32 v15, 0x3ff, v0
	v_mov_b32_e32 v18, 0
	s_add_co_i32 s4, s8, s4
	s_mov_b32 s10, exec_lo
	s_ashr_i32 s12, s4, 8
	s_delay_alu instid0(SALU_CYCLE_1)
	v_cmpx_gt_u32_e64 s12, v16
	s_cbranch_execz .LBB66_9
; %bb.2:
	s_load_b128 s[4:7], s[0:1], 0x0
	v_dual_lshlrev_b32 v0, 1, v15 :: v_dual_bitop2_b32 v8, 3, v15 bitop3:0x40
	s_addk_co_i32 s8, 0x1ff
	v_mul_lo_u32 v17, v14, s12
	s_wait_xcnt 0x0
	s_ashr_i32 s0, s8, 31
	v_bfe_u32 v6, v0, 3, 2
	v_dual_mov_b32 v1, 0 :: v_dual_bitop2_b32 v4, 30, v0 bitop3:0x40
	s_lshr_b32 s0, s0, 23
	s_delay_alu instid0(VALU_DEP_2)
	v_dual_lshlrev_b32 v7, 3, v16 :: v_dual_lshlrev_b32 v0, 5, v6
	v_lshlrev_b32_e32 v19, 1, v6
	s_add_co_i32 s8, s8, s0
	v_cmp_lt_u32_e32 vcc_lo, 15, v4
	s_ashr_i32 s0, s8, 9
	v_dual_lshlrev_b32 v2, 2, v8 :: v_dual_lshlrev_b32 v6, 1, v6
	s_mul_i32 s0, s11, s0
	v_mov_b32_e32 v3, v1
	s_wait_kmcnt 0x0
	v_mad_nc_u64_u32 v[4:5], v19, 36, s[6:7]
	v_lshl_add_u32 v20, s0, 4, v7
	v_dual_mov_b32 v7, v1 :: v_dual_lshlrev_b32 v8, 2, v8
	v_dual_mov_b32 v9, v1 :: v_dual_mov_b32 v18, v1
	s_mov_b32 s1, 0
	s_movk_i32 s6, 0xff
	s_branch .LBB66_4
.LBB66_3:                               ;   in Loop: Header=BB66_4 Depth=1
	s_or_b32 exec_lo, exec_lo, s0
	v_mad_nc_i64_i32 v[12:13], v20, 36, v[4:5]
	v_add_nc_u32_e32 v16, 2, v16
	v_add_nc_u32_e32 v20, 16, v20
	s_delay_alu instid0(VALU_DEP_2) | instskip(NEXT) | instid1(VALU_DEP_4)
	v_cmp_le_u32_e64 s0, s12, v16
	v_add_nc_u64_e32 v[26:27], v[12:13], v[8:9]
	s_clause 0x4
	global_load_b32 v28, v[26:27], off offset:4
	global_load_b32 v29, v[26:27], off offset:20
	global_load_b32 v30, v[26:27], off offset:40
	global_load_b32 v31, v[26:27], off offset:56
	global_load_b32 v32, v[12:13], off
	global_load_b32 v33, v[10:11], off
	global_load_b32 v34, v[12:13], off offset:36
	s_wait_loadcnt 0x7
	s_wait_xcnt 0x0
	v_dual_ashrrev_i32 v11, v19, v25 :: v_dual_ashrrev_i32 v12, v19, v24
	v_and_b32_e32 v13, 0xf0f0f0f, v23
	v_and_b32_e32 v24, 0xf0f0f0f, v22
	v_dual_lshrrev_b32 v23, 4, v23 :: v_dual_lshrrev_b32 v22, 4, v22
	s_delay_alu instid0(VALU_DEP_4) | instskip(SKIP_1) | instid1(VALU_DEP_3)
	v_dual_lshlrev_b32 v26, 4, v12 :: v_dual_lshlrev_b32 v27, 4, v11
	v_dual_lshlrev_b32 v12, 3, v12 :: v_dual_lshlrev_b32 v11, 3, v11
	v_and_b32_e32 v22, 0xf0f0f0f, v22
	s_delay_alu instid0(VALU_DEP_4) | instskip(NEXT) | instid1(VALU_DEP_4)
	v_and_b32_e32 v23, 0xf0f0f0f, v23
	v_and_b32_e32 v27, 0x10101010, v27
	;; [unrolled: 1-line block ×5, first 2 shown]
	v_pk_lshrrev_b16 v10, 8, v21 op_sel_hi:[0,1]
	v_or_b32_e32 v37, v27, v24
	v_bitop3_b32 v24, v27, 31, v24 bitop3:0xc8
	v_or_b32_e32 v27, v11, v22
	v_or_b32_e32 v36, v26, v13
	v_bitop3_b32 v13, v26, 31, v13 bitop3:0xc8
	v_or_b32_e32 v26, v12, v23
	v_bitop3_b32 v11, v11, 31, v22 bitop3:0xc8
	v_dual_lshrrev_b32 v42, 24, v27 :: v_dual_lshrrev_b32 v38, 24, v37
	v_lshrrev_b16 v39, 8, v37
	v_bfe_u32 v37, v37, 16, 5
	v_bitop3_b32 v12, v12, 31, v23 bitop3:0xc8
	v_dual_lshrrev_b32 v40, 24, v26 :: v_dual_lshrrev_b32 v22, 24, v36
	v_lshrrev_b16 v23, 8, v36
	v_bfe_u32 v36, v36, 16, 5
	v_lshrrev_b16 v41, 8, v26
	v_lshrrev_b16 v43, 8, v27
	v_bfe_u32 v27, v27, 16, 5
	v_and_b32_e32 v39, 0xffff, v39
	v_and_b32_e32 v23, 0xffff, v23
	v_bfe_u32 v26, v26, 16, 5
	v_and_b32_e32 v43, 0xffff, v43
	v_and_b32_e32 v41, 0xffff, v41
	;; [unrolled: 1-line block ×3, first 2 shown]
	v_bitop3_b32 v21, v21, s6, 0xff00ff bitop3:0x80
	v_lshrrev_b32_e32 v35, 16, v10
	v_and_b32_e32 v10, 0xff, v10
	s_or_b32 s1, s0, s1
	v_lshrrev_b32_e32 v25, 16, v25
	s_wait_loadcnt 0x6
	v_lshrrev_b16 v44, 8, v28
	s_wait_loadcnt 0x5
	v_bfe_i32 v48, v29, 16, 8
	v_lshrrev_b16 v45, 8, v29
	s_wait_loadcnt 0x4
	v_lshrrev_b16 v46, 8, v30
	v_dual_ashrrev_i32 v47, 24, v29 :: v_dual_ashrrev_i32 v49, 24, v28
	v_bfe_i32 v29, v29, 0, 8
	v_bfe_i32 v50, v28, 0, 8
	;; [unrolled: 1-line block ×3, first 2 shown]
	v_mul_i32_i24_e32 v37, v48, v37
	v_bfe_i32 v44, v44, 0, 8
	s_wait_loadcnt 0x3
	v_dual_ashrrev_i32 v51, 24, v31 :: v_dual_ashrrev_i32 v54, 24, v30
	v_bfe_i32 v52, v31, 16, 8
	v_bfe_i32 v55, v30, 0, 8
	;; [unrolled: 1-line block ×3, first 2 shown]
	v_mul_i32_i24_e32 v24, v29, v24
	v_mul_i32_i24_e32 v38, v47, v38
	v_bfe_i32 v46, v46, 0, 8
	v_mad_i32_i24 v36, v28, v36, v37
	v_add_nc_u32_e32 v37, v50, v44
	v_bfe_i32 v53, v31, 8, 8
	v_bfe_i32 v31, v31, 0, 8
	;; [unrolled: 1-line block ×3, first 2 shown]
	v_mul_i32_i24_e32 v27, v52, v27
	v_mul_i32_i24_e32 v42, v51, v42
	;; [unrolled: 1-line block ×4, first 2 shown]
	v_mad_i32_i24 v13, v50, v13, v24
	v_mad_i32_i24 v22, v49, v22, v38
	v_add_nc_u32_e32 v24, v55, v46
	v_add3_u32 v28, v37, v28, v49
	v_mul_i32_i24_e32 v11, v31, v11
	v_mul_i32_i24_e32 v43, v53, v43
	;; [unrolled: 1-line block ×3, first 2 shown]
	v_mad_i32_i24 v26, v30, v26, v27
	v_mad_i32_i24 v27, v54, v40, v42
	v_add3_u32 v24, v24, v30, v54
	v_add3_u32 v22, v23, v39, v22
	v_add3_u32 v23, v28, v29, v45
	v_mad_i32_i24 v11, v55, v12, v11
	v_add3_u32 v12, v38, v43, v27
	v_add3_u32 v24, v24, v51, v31
	;; [unrolled: 1-line block ×4, first 2 shown]
	s_delay_alu instid0(VALU_DEP_4) | instskip(NEXT) | instid1(VALU_DEP_4)
	v_add3_u32 v11, v11, v26, v12
	v_add3_u32 v12, v24, v53, v52
	s_delay_alu instid0(VALU_DEP_4) | instskip(NEXT) | instid1(VALU_DEP_4)
	v_mul_lo_u32 v13, v13, v21
	v_mul_lo_u32 v21, v22, v25
	s_wait_loadcnt 0x0
	v_cvt_f32_f16_e32 v22, v34
	v_mul_lo_u32 v11, v11, v10
	v_mul_lo_u32 v23, v12, v35
	v_cvt_f32_f16_e32 v10, v32
	v_cvt_f32_i32_e32 v12, v13
	v_cvt_f32_i32_e32 v13, v21
	v_lshrrev_b32_e32 v21, 16, v33
	v_cvt_f32_i32_e32 v24, v11
	v_cvt_f32_i32_e32 v25, v23
	s_delay_alu instid0(VALU_DEP_4) | instskip(SKIP_2) | instid1(VALU_DEP_3)
	v_pk_fma_f32 v[10:11], v[10:11], v[12:13], 0 op_sel_hi:[0,1,0]
	v_cvt_f32_f16_e32 v12, v33
	v_cvt_f32_f16_e32 v13, v21
	v_pk_fma_f32 v[10:11], v[22:23], v[24:25], v[10:11] op_sel_hi:[0,1,1]
	s_delay_alu instid0(VALU_DEP_1) | instskip(NEXT) | instid1(VALU_DEP_1)
	v_pk_mul_f32 v[10:11], v[10:11], v[12:13]
	v_sub_f32_e32 v10, v10, v11
	s_delay_alu instid0(VALU_DEP_1)
	v_add_f32_e32 v18, v18, v10
	s_and_not1_b32 exec_lo, exec_lo, s1
	s_cbranch_execz .LBB66_8
.LBB66_4:                               ; =>This Inner Loop Header: Depth=1
	v_add_nc_u32_e32 v10, v17, v16
                                        ; implicit-def: $vgpr21
	s_delay_alu instid0(VALU_DEP_1) | instskip(NEXT) | instid1(VALU_DEP_1)
	v_mad_nc_i64_i32 v[10:11], 0xb0, v10, s[4:5]
	v_add_nc_u64_e32 v[12:13], v[10:11], v[0:1]
	v_add_nc_u64_e32 v[26:27], v[10:11], v[2:3]
	s_delay_alu instid0(VALU_DEP_2)
	v_add_nc_u64_e32 v[12:13], v[12:13], v[2:3]
	s_clause 0x3
	global_load_b32 v23, v[12:13], off offset:48
	global_load_b32 v22, v[12:13], off offset:64
	;; [unrolled: 1-line block ×4, first 2 shown]
	s_wait_xcnt 0x2
	v_add_nc_u64_e32 v[12:13], v[10:11], v[6:7]
	s_wait_xcnt 0x0
	s_and_saveexec_b32 s0, vcc_lo
	s_delay_alu instid0(SALU_CYCLE_1)
	s_xor_b32 s0, exec_lo, s0
	s_cbranch_execz .LBB66_6
; %bb.5:                                ;   in Loop: Header=BB66_4 Depth=1
	s_clause 0x2
	global_load_u16 v21, v[12:13], off
	global_load_u16 v26, v[12:13], off offset:8
	global_load_u16 v27, v[12:13], off offset:4
	s_wait_loadcnt 0x1
	s_wait_xcnt 0x0
	v_pk_lshrrev_b16 v12, 4, v26 op_sel:[1,0] op_sel_hi:[0,0]
	s_wait_loadcnt 0x0
	v_perm_b32 v13, v27, v21, 0x5040100
	s_delay_alu instid0(VALU_DEP_2) | instskip(NEXT) | instid1(VALU_DEP_2)
	v_and_b32_e32 v12, 0xf0f0f0f, v12
	v_pk_lshrrev_b16 v13, 2, v13 op_sel_hi:[0,1]
	s_delay_alu instid0(VALU_DEP_1)
	v_and_or_b32 v21, 0x30303030, v13, v12
                                        ; implicit-def: $vgpr12_vgpr13
.LBB66_6:                               ;   in Loop: Header=BB66_4 Depth=1
	s_and_not1_saveexec_b32 s0, s0
	s_cbranch_execz .LBB66_3
; %bb.7:                                ;   in Loop: Header=BB66_4 Depth=1
	s_clause 0x1
	global_load_u16 v21, v[12:13], off offset:4
	global_load_u16 v26, v[12:13], off offset:8
	s_wait_loadcnt 0x0
	v_perm_b32 v12, v26, v21, 0x5040100
	s_delay_alu instid0(VALU_DEP_1)
	v_and_b32_e32 v21, 0x3f3f3f3f, v12
	s_branch .LBB66_3
.LBB66_8:
	s_or_b32 exec_lo, exec_lo, s1
.LBB66_9:
	s_delay_alu instid0(SALU_CYCLE_1) | instskip(SKIP_1) | instid1(VALU_DEP_1)
	s_or_b32 exec_lo, exec_lo, s10
	v_mbcnt_lo_u32_b32 v0, -1, 0
	v_xor_b32_e32 v2, 8, v0
	v_xor_b32_e32 v1, 16, v0
	;; [unrolled: 1-line block ×3, first 2 shown]
	s_delay_alu instid0(VALU_DEP_2) | instskip(SKIP_4) | instid1(VALU_DEP_2)
	v_cmp_gt_i32_e32 vcc_lo, 32, v1
	v_cndmask_b32_e32 v1, v0, v1, vcc_lo
	v_cmp_gt_i32_e32 vcc_lo, 32, v2
	v_cndmask_b32_e32 v2, v0, v2, vcc_lo
	v_cmp_gt_i32_e32 vcc_lo, 32, v3
	v_dual_lshlrev_b32 v2, 2, v2 :: v_dual_lshlrev_b32 v1, 2, v1
	ds_bpermute_b32 v1, v1, v18
	s_wait_dscnt 0x0
	v_add_f32_e32 v1, v18, v1
	ds_bpermute_b32 v2, v2, v1
	s_wait_dscnt 0x0
	v_dual_cndmask_b32 v3, v0, v3, vcc_lo :: v_dual_add_f32 v1, v1, v2
	s_delay_alu instid0(VALU_DEP_1) | instskip(SKIP_3) | instid1(VALU_DEP_1)
	v_lshlrev_b32_e32 v3, 2, v3
	ds_bpermute_b32 v2, v3, v1
	s_wait_dscnt 0x0
	v_dual_add_f32 v1, v1, v2 :: v_dual_bitop2_b32 v3, 2, v0 bitop3:0x14
	v_cmp_gt_i32_e32 vcc_lo, 32, v3
	v_cndmask_b32_e32 v3, v0, v3, vcc_lo
	s_delay_alu instid0(VALU_DEP_1) | instskip(SKIP_2) | instid1(VALU_DEP_1)
	v_lshlrev_b32_e32 v3, 2, v3
	ds_bpermute_b32 v2, v3, v1
	v_xor_b32_e32 v3, 1, v0
	v_cmp_gt_i32_e32 vcc_lo, 32, v3
	v_cndmask_b32_e32 v3, v0, v3, vcc_lo
	v_cmp_eq_u32_e32 vcc_lo, 0, v15
	s_wait_dscnt 0x0
	s_delay_alu instid0(VALU_DEP_2)
	v_dual_add_f32 v0, v1, v2 :: v_dual_lshlrev_b32 v1, 2, v3
	ds_bpermute_b32 v1, v1, v0
	s_and_b32 exec_lo, exec_lo, vcc_lo
	s_cbranch_execz .LBB66_11
; %bb.10:
	v_mad_u32 v2, s9, s11, v14
	s_wait_dscnt 0x0
	v_add_f32_e32 v0, v0, v1
	s_wait_kmcnt 0x0
	global_store_b32 v2, v0, s[2:3] scale_offset
.LBB66_11:
	s_endpgm
	.section	.rodata,"a",@progbits
	.p2align	6, 0x0
	.amdhsa_kernel _ZL13mul_mat_vec_qIfLi256ELi32E10block_q5_KLi2EXadL_ZL17vec_dot_q5_K_q8_1PKvPK10block_q8_1RKiEEEvS2_S2_PT_iii
		.amdhsa_group_segment_fixed_size 0
		.amdhsa_private_segment_fixed_size 0
		.amdhsa_kernarg_size 296
		.amdhsa_user_sgpr_count 2
		.amdhsa_user_sgpr_dispatch_ptr 0
		.amdhsa_user_sgpr_queue_ptr 0
		.amdhsa_user_sgpr_kernarg_segment_ptr 1
		.amdhsa_user_sgpr_dispatch_id 0
		.amdhsa_user_sgpr_kernarg_preload_length 0
		.amdhsa_user_sgpr_kernarg_preload_offset 0
		.amdhsa_user_sgpr_private_segment_size 0
		.amdhsa_wavefront_size32 1
		.amdhsa_uses_dynamic_stack 0
		.amdhsa_enable_private_segment 0
		.amdhsa_system_sgpr_workgroup_id_x 1
		.amdhsa_system_sgpr_workgroup_id_y 1
		.amdhsa_system_sgpr_workgroup_id_z 0
		.amdhsa_system_sgpr_workgroup_info 0
		.amdhsa_system_vgpr_workitem_id 1
		.amdhsa_next_free_vgpr 56
		.amdhsa_next_free_sgpr 13
		.amdhsa_named_barrier_count 0
		.amdhsa_reserve_vcc 1
		.amdhsa_float_round_mode_32 0
		.amdhsa_float_round_mode_16_64 0
		.amdhsa_float_denorm_mode_32 3
		.amdhsa_float_denorm_mode_16_64 3
		.amdhsa_fp16_overflow 0
		.amdhsa_memory_ordered 1
		.amdhsa_forward_progress 1
		.amdhsa_inst_pref_size 15
		.amdhsa_round_robin_scheduling 0
		.amdhsa_exception_fp_ieee_invalid_op 0
		.amdhsa_exception_fp_denorm_src 0
		.amdhsa_exception_fp_ieee_div_zero 0
		.amdhsa_exception_fp_ieee_overflow 0
		.amdhsa_exception_fp_ieee_underflow 0
		.amdhsa_exception_fp_ieee_inexact 0
		.amdhsa_exception_int_div_zero 0
	.end_amdhsa_kernel
	.section	.text._ZL13mul_mat_vec_qIfLi256ELi32E10block_q5_KLi2EXadL_ZL17vec_dot_q5_K_q8_1PKvPK10block_q8_1RKiEEEvS2_S2_PT_iii,"axG",@progbits,_ZL13mul_mat_vec_qIfLi256ELi32E10block_q5_KLi2EXadL_ZL17vec_dot_q5_K_q8_1PKvPK10block_q8_1RKiEEEvS2_S2_PT_iii,comdat
.Lfunc_end66:
	.size	_ZL13mul_mat_vec_qIfLi256ELi32E10block_q5_KLi2EXadL_ZL17vec_dot_q5_K_q8_1PKvPK10block_q8_1RKiEEEvS2_S2_PT_iii, .Lfunc_end66-_ZL13mul_mat_vec_qIfLi256ELi32E10block_q5_KLi2EXadL_ZL17vec_dot_q5_K_q8_1PKvPK10block_q8_1RKiEEEvS2_S2_PT_iii
                                        ; -- End function
	.set _ZL13mul_mat_vec_qIfLi256ELi32E10block_q5_KLi2EXadL_ZL17vec_dot_q5_K_q8_1PKvPK10block_q8_1RKiEEEvS2_S2_PT_iii.num_vgpr, 56
	.set _ZL13mul_mat_vec_qIfLi256ELi32E10block_q5_KLi2EXadL_ZL17vec_dot_q5_K_q8_1PKvPK10block_q8_1RKiEEEvS2_S2_PT_iii.num_agpr, 0
	.set _ZL13mul_mat_vec_qIfLi256ELi32E10block_q5_KLi2EXadL_ZL17vec_dot_q5_K_q8_1PKvPK10block_q8_1RKiEEEvS2_S2_PT_iii.numbered_sgpr, 13
	.set _ZL13mul_mat_vec_qIfLi256ELi32E10block_q5_KLi2EXadL_ZL17vec_dot_q5_K_q8_1PKvPK10block_q8_1RKiEEEvS2_S2_PT_iii.num_named_barrier, 0
	.set _ZL13mul_mat_vec_qIfLi256ELi32E10block_q5_KLi2EXadL_ZL17vec_dot_q5_K_q8_1PKvPK10block_q8_1RKiEEEvS2_S2_PT_iii.private_seg_size, 0
	.set _ZL13mul_mat_vec_qIfLi256ELi32E10block_q5_KLi2EXadL_ZL17vec_dot_q5_K_q8_1PKvPK10block_q8_1RKiEEEvS2_S2_PT_iii.uses_vcc, 1
	.set _ZL13mul_mat_vec_qIfLi256ELi32E10block_q5_KLi2EXadL_ZL17vec_dot_q5_K_q8_1PKvPK10block_q8_1RKiEEEvS2_S2_PT_iii.uses_flat_scratch, 0
	.set _ZL13mul_mat_vec_qIfLi256ELi32E10block_q5_KLi2EXadL_ZL17vec_dot_q5_K_q8_1PKvPK10block_q8_1RKiEEEvS2_S2_PT_iii.has_dyn_sized_stack, 0
	.set _ZL13mul_mat_vec_qIfLi256ELi32E10block_q5_KLi2EXadL_ZL17vec_dot_q5_K_q8_1PKvPK10block_q8_1RKiEEEvS2_S2_PT_iii.has_recursion, 0
	.set _ZL13mul_mat_vec_qIfLi256ELi32E10block_q5_KLi2EXadL_ZL17vec_dot_q5_K_q8_1PKvPK10block_q8_1RKiEEEvS2_S2_PT_iii.has_indirect_call, 0
	.section	.AMDGPU.csdata,"",@progbits
; Kernel info:
; codeLenInByte = 1840
; TotalNumSgprs: 15
; NumVgprs: 56
; ScratchSize: 0
; MemoryBound: 0
; FloatMode: 240
; IeeeMode: 1
; LDSByteSize: 0 bytes/workgroup (compile time only)
; SGPRBlocks: 0
; VGPRBlocks: 3
; NumSGPRsForWavesPerEU: 15
; NumVGPRsForWavesPerEU: 56
; NamedBarCnt: 0
; Occupancy: 16
; WaveLimiterHint : 0
; COMPUTE_PGM_RSRC2:SCRATCH_EN: 0
; COMPUTE_PGM_RSRC2:USER_SGPR: 2
; COMPUTE_PGM_RSRC2:TRAP_HANDLER: 0
; COMPUTE_PGM_RSRC2:TGID_X_EN: 1
; COMPUTE_PGM_RSRC2:TGID_Y_EN: 1
; COMPUTE_PGM_RSRC2:TGID_Z_EN: 0
; COMPUTE_PGM_RSRC2:TIDIG_COMP_CNT: 1
	.section	.text._ZL13mul_mat_vec_qIfLi256ELi32E10block_q6_KLi1EXadL_ZL17vec_dot_q6_K_q8_1PKvPK10block_q8_1RKiEEEvS2_S2_PT_iii,"axG",@progbits,_ZL13mul_mat_vec_qIfLi256ELi32E10block_q6_KLi1EXadL_ZL17vec_dot_q6_K_q8_1PKvPK10block_q8_1RKiEEEvS2_S2_PT_iii,comdat
	.globl	_ZL13mul_mat_vec_qIfLi256ELi32E10block_q6_KLi1EXadL_ZL17vec_dot_q6_K_q8_1PKvPK10block_q8_1RKiEEEvS2_S2_PT_iii ; -- Begin function _ZL13mul_mat_vec_qIfLi256ELi32E10block_q6_KLi1EXadL_ZL17vec_dot_q6_K_q8_1PKvPK10block_q8_1RKiEEEvS2_S2_PT_iii
	.p2align	8
	.type	_ZL13mul_mat_vec_qIfLi256ELi32E10block_q6_KLi1EXadL_ZL17vec_dot_q6_K_q8_1PKvPK10block_q8_1RKiEEEvS2_S2_PT_iii,@function
_ZL13mul_mat_vec_qIfLi256ELi32E10block_q6_KLi1EXadL_ZL17vec_dot_q6_K_q8_1PKvPK10block_q8_1RKiEEEvS2_S2_PT_iii: ; @_ZL13mul_mat_vec_qIfLi256ELi32E10block_q6_KLi1EXadL_ZL17vec_dot_q6_K_q8_1PKvPK10block_q8_1RKiEEEvS2_S2_PT_iii
; %bb.0:
	s_clause 0x1
	s_load_u16 s2, s[0:1], 0x36
	s_load_b96 s[8:10], s[0:1], 0x18
	s_bfe_u32 s4, ttmp6, 0x4000c
	s_bfe_u32 s5, ttmp6, 0x40010
	s_add_co_i32 s4, s4, 1
	s_add_co_i32 s5, s5, 1
	s_and_b32 s3, ttmp6, 15
	s_mul_i32 s4, ttmp9, s4
	s_mul_i32 s5, ttmp7, s5
	s_bfe_u32 s6, ttmp6, 0x40004
	s_add_co_i32 s3, s3, s4
	s_getreg_b32 s4, hwreg(HW_REG_IB_STS2, 6, 4)
	s_add_co_i32 s6, s6, s5
	v_bfe_u32 v1, v0, 10, 10
	s_cmp_eq_u32 s4, 0
	s_cselect_b32 s3, ttmp9, s3
	s_cselect_b32 s11, ttmp7, s6
	s_wait_kmcnt 0x0
	v_mad_u32 v10, s3, s2, v1
	s_cmp_lt_u32 s11, s10
	s_cselect_b32 s2, -1, 0
	s_delay_alu instid0(VALU_DEP_1) | instskip(SKIP_1) | instid1(SALU_CYCLE_1)
	v_cmp_gt_u32_e32 vcc_lo, s9, v10
	s_and_b32 s2, s2, vcc_lo
	s_and_saveexec_b32 s3, s2
	s_cbranch_execz .LBB67_7
; %bb.1:
	s_load_b64 s[2:3], s[0:1], 0x10
	s_ashr_i32 s4, s8, 31
	v_bfe_u32 v12, v0, 5, 5
	s_lshr_b32 s4, s4, 24
	v_and_b32_e32 v11, 0x3ff, v0
	v_mov_b32_e32 v14, 0
	s_add_co_i32 s4, s8, s4
	s_mov_b32 s10, exec_lo
	s_ashr_i32 s12, s4, 8
	s_delay_alu instid0(SALU_CYCLE_1)
	v_cmpx_gt_u32_e64 s12, v12
	s_cbranch_execz .LBB67_5
; %bb.2:
	s_load_b128 s[4:7], s[0:1], 0x0
	v_dual_mov_b32 v1, 0 :: v_dual_bitop2_b32 v0, 31, v11 bitop3:0x40
	s_wait_xcnt 0x0
	s_add_co_i32 s1, s8, 0x1ff
	v_mul_lo_u32 v13, v10, s12
	s_ashr_i32 s8, s1, 31
	v_dual_mov_b32 v3, v1 :: v_dual_add_nc_u32 v2, 0xf0, v0
	v_cmp_gt_u32_e64 s0, 16, v0
	v_cmp_lt_u32_e32 vcc_lo, 15, v0
	v_dual_lshlrev_b32 v16, 3, v12 :: v_dual_bitop2_b32 v4, 7, v11 bitop3:0x40
	s_delay_alu instid0(VALU_DEP_3) | instskip(SKIP_3) | instid1(VALU_DEP_3)
	v_cndmask_b32_e64 v5, v2, v0, s0
	v_cndmask_b32_e64 v2, 0, 4, vcc_lo
	v_cndmask_b32_e64 v8, 0, 8, vcc_lo
	s_lshr_b32 s0, s8, 23
	v_and_b32_e32 v9, 0xf8, v5
	s_add_co_i32 s1, s1, s0
	s_wait_kmcnt 0x0
	v_mad_nc_u64_u32 v[6:7], v2, 36, s[6:7]
	v_dual_lshlrev_b32 v4, 2, v4 :: v_dual_bitop2_b32 v2, v8, v4 bitop3:0x54
	v_cmp_ne_u32_e32 vcc_lo, 0, v9
	v_bfe_u32 v14, v5, 2, 6
	s_ashr_i32 s0, s1, 9
	s_delay_alu instid0(VALU_DEP_3)
	v_dual_lshlrev_b32 v0, 2, v0 :: v_dual_lshlrev_b32 v2, 2, v2
	v_cndmask_b32_e64 v9, 0, 1, vcc_lo
	s_mul_i32 s0, s11, s0
	v_mov_b32_e32 v5, v1
	v_cndmask_b32_e64 v15, 0, 2, vcc_lo
	v_add_nc_u32_e32 v8, v14, v8
	v_mad_nc_u64_u32 v[6:7], v9, 36, v[6:7]
	v_mov_b32_e32 v9, v1
	v_lshl_add_u32 v16, s0, 4, v16
	v_mov_b32_e32 v14, v1
	s_mov_b32 s0, 0
.LBB67_3:                               ; =>This Inner Loop Header: Depth=1
	v_add_nc_u32_e32 v17, v13, v12
	s_delay_alu instid0(VALU_DEP_3) | instskip(SKIP_2) | instid1(VALU_DEP_4)
	v_mad_nc_i64_i32 v[18:19], v16, 36, v[6:7]
	v_add_nc_u32_e32 v12, 1, v12
	v_add_nc_u32_e32 v16, 8, v16
	v_mad_nc_i64_i32 v[20:21], 0xd2, v17, s[4:5]
	s_delay_alu instid0(VALU_DEP_3) | instskip(SKIP_2) | instid1(VALU_DEP_3)
	v_cmp_le_u32_e32 vcc_lo, s12, v12
	s_or_b32 s0, vcc_lo, s0
	v_add_nc_u64_e32 v[22:23], v[18:19], v[4:5]
	v_add_nc_u64_e32 v[24:25], v[20:21], v[0:1]
	v_add_nc_u64_e32 v[26:27], v[20:21], v[2:3]
	global_load_b32 v17, v[22:23], off offset:4
	s_clause 0x1
	global_load_b32 v28, v[24:25], off
	global_load_b32 v29, v[26:27], off offset:128
	global_load_b32 v30, v[22:23], off offset:76
	s_wait_xcnt 0x0
	v_add_nc_u64_e32 v[22:23], v[20:21], v[8:9]
	s_clause 0x1
	global_load_i8 v24, v[22:23], off offset:192
	global_load_i8 v25, v[22:23], off offset:196
	s_clause 0x1
	global_load_b32 v26, v[18:19], off
	global_load_b32 v27, v[18:19], off offset:72
	global_load_u16 v31, v[20:21], off offset:208
	s_wait_loadcnt 0x8
	s_wait_xcnt 0x1
	v_ashrrev_i32_e32 v19, 24, v17
	s_wait_loadcnt 0x7
	v_and_b32_e32 v32, 0xf0f0f0f, v28
	s_wait_loadcnt 0x6
	v_dual_ashrrev_i32 v29, v15, v29 :: v_dual_lshrrev_b32 v28, 4, v28
	v_lshrrev_b16 v18, 8, v17
	s_wait_xcnt 0x0
	v_bfe_i32 v20, v17, 16, 8
	v_bfe_i32 v17, v17, 0, 8
	v_lshlrev_b32_e32 v33, 4, v29
	v_and_b32_e32 v28, 0xf0f0f0f, v28
	s_wait_loadcnt 0x5
	v_bfe_i32 v22, v30, 0, 8
	v_bfe_i32 v18, v18, 0, 8
	v_bfe_i32 v21, v30, 8, 8
	v_and_or_b32 v32, 0x30303030, v33, v32
	v_ashrrev_i32_e32 v23, 24, v30
	v_bfe_i32 v30, v30, 16, 8
	s_delay_alu instid0(VALU_DEP_3) | instskip(SKIP_3) | instid1(VALU_DEP_4)
	v_lshrrev_b32_e32 v33, 16, v32
	v_and_or_b32 v28, 0x30303030, v29, v28
	v_lshlrev_b16 v29, 8, v32
	v_and_b32_e32 v32, 0x3f00, v32
	v_lshlrev_b16 v36, 8, v33
	s_delay_alu instid0(VALU_DEP_4)
	v_lshrrev_b32_e32 v34, 16, v28
	v_lshlrev_b16 v35, 8, v28
	v_and_b32_e32 v33, 0x3f00, v33
	v_add_nc_u16 v29, 0xe000, v29
	v_add_nc_u16 v32, 0xe000, v32
	v_lshlrev_b16 v37, 8, v34
	v_add_nc_u16 v35, 0xe000, v35
	v_add_nc_u16 v33, 0xe000, v33
	v_ashrrev_i16 v29, 8, v29
	v_add_nc_u16 v36, 0xe000, v36
	v_add_nc_u16 v37, 0xe000, v37
	v_lshrrev_b16 v35, 8, v35
	v_ashrrev_i16 v33, 8, v33
	v_ashrrev_i16 v32, 8, v32
	;; [unrolled: 1-line block ×3, first 2 shown]
	v_lshrrev_b16 v37, 8, v37
	v_bitop3_b16 v28, v28, v35, 0x3f00 bitop3:0xec
	v_bfe_i32 v29, v29, 0, 16
	v_bfe_i32 v33, v33, 0, 16
	;; [unrolled: 1-line block ×3, first 2 shown]
	v_bitop3_b16 v34, v34, v37, 0x3f00 bitop3:0xec
	v_add_nc_u16 v28, 0xe000, v28
	v_bfe_i32 v35, v36, 0, 16
	v_mul_i32_i24_e32 v17, v29, v17
	v_mul_i32_i24_e32 v19, v33, v19
	v_add_nc_u16 v29, 0xe000, v34
	v_bfe_i32 v33, v28, 0, 8
	v_mul_i32_i24_e32 v20, v35, v20
	v_bfe_i32 v28, v28, 8, 8
	v_mad_i32_i24 v18, v32, v18, v19
	v_bfe_i32 v19, v29, 0, 8
	v_bfe_i32 v29, v29, 8, 8
	v_mul_i32_i24_e32 v22, v22, v33
	s_delay_alu instid0(VALU_DEP_4) | instskip(NEXT) | instid1(VALU_DEP_4)
	v_add3_u32 v17, v17, v20, v18
	v_mul_i32_i24_e32 v18, v30, v19
	s_delay_alu instid0(VALU_DEP_4) | instskip(NEXT) | instid1(VALU_DEP_4)
	v_mul_i32_i24_e32 v19, v23, v29
	v_mad_i32_i24 v20, v21, v28, v22
	s_wait_loadcnt 0x4
	v_mul_lo_u32 v17, v17, v24
	s_delay_alu instid0(VALU_DEP_2) | instskip(SKIP_1) | instid1(VALU_DEP_1)
	v_add3_u32 v18, v20, v18, v19
	s_wait_loadcnt 0x3
	v_mul_lo_u32 v18, v18, v25
	s_delay_alu instid0(VALU_DEP_3) | instskip(SKIP_1) | instid1(VALU_DEP_1)
	v_cvt_f32_i32_e32 v17, v17
	s_wait_loadcnt 0x2
	v_fma_mix_f32 v17, v26, v17, 0 op_sel_hi:[1,0,0]
	s_delay_alu instid0(VALU_DEP_3) | instskip(SKIP_1) | instid1(VALU_DEP_1)
	v_cvt_f32_i32_e32 v18, v18
	s_wait_loadcnt 0x1
	v_fma_mix_f32 v17, v27, v18, v17 op_sel_hi:[1,0,0]
	s_wait_loadcnt 0x0
	s_delay_alu instid0(VALU_DEP_1)
	v_fma_mix_f32 v14, v17, v31, v14 op_sel_hi:[0,1,0]
	s_and_not1_b32 exec_lo, exec_lo, s0
	s_cbranch_execnz .LBB67_3
; %bb.4:
	s_or_b32 exec_lo, exec_lo, s0
.LBB67_5:
	s_delay_alu instid0(SALU_CYCLE_1) | instskip(SKIP_1) | instid1(VALU_DEP_1)
	s_or_b32 exec_lo, exec_lo, s10
	v_mbcnt_lo_u32_b32 v0, -1, 0
	v_xor_b32_e32 v2, 8, v0
	v_xor_b32_e32 v1, 16, v0
	;; [unrolled: 1-line block ×3, first 2 shown]
	s_delay_alu instid0(VALU_DEP_2) | instskip(SKIP_4) | instid1(VALU_DEP_2)
	v_cmp_gt_i32_e32 vcc_lo, 32, v1
	v_cndmask_b32_e32 v1, v0, v1, vcc_lo
	v_cmp_gt_i32_e32 vcc_lo, 32, v2
	v_cndmask_b32_e32 v2, v0, v2, vcc_lo
	v_cmp_gt_i32_e32 vcc_lo, 32, v3
	v_dual_lshlrev_b32 v2, 2, v2 :: v_dual_lshlrev_b32 v1, 2, v1
	ds_bpermute_b32 v1, v1, v14
	s_wait_dscnt 0x0
	v_add_f32_e32 v1, v14, v1
	ds_bpermute_b32 v2, v2, v1
	s_wait_dscnt 0x0
	v_dual_cndmask_b32 v3, v0, v3, vcc_lo :: v_dual_add_f32 v1, v1, v2
	s_delay_alu instid0(VALU_DEP_1) | instskip(SKIP_3) | instid1(VALU_DEP_1)
	v_lshlrev_b32_e32 v3, 2, v3
	ds_bpermute_b32 v2, v3, v1
	s_wait_dscnt 0x0
	v_dual_add_f32 v1, v1, v2 :: v_dual_bitop2_b32 v3, 2, v0 bitop3:0x14
	v_cmp_gt_i32_e32 vcc_lo, 32, v3
	v_cndmask_b32_e32 v3, v0, v3, vcc_lo
	s_delay_alu instid0(VALU_DEP_1) | instskip(SKIP_2) | instid1(VALU_DEP_1)
	v_lshlrev_b32_e32 v3, 2, v3
	ds_bpermute_b32 v2, v3, v1
	v_xor_b32_e32 v3, 1, v0
	v_cmp_gt_i32_e32 vcc_lo, 32, v3
	v_cndmask_b32_e32 v3, v0, v3, vcc_lo
	v_cmp_eq_u32_e32 vcc_lo, 0, v11
	s_wait_dscnt 0x0
	s_delay_alu instid0(VALU_DEP_2)
	v_dual_add_f32 v0, v1, v2 :: v_dual_lshlrev_b32 v1, 2, v3
	ds_bpermute_b32 v1, v1, v0
	s_and_b32 exec_lo, exec_lo, vcc_lo
	s_cbranch_execz .LBB67_7
; %bb.6:
	v_mad_u32 v2, s9, s11, v10
	s_wait_dscnt 0x0
	v_add_f32_e32 v0, v0, v1
	s_wait_kmcnt 0x0
	global_store_b32 v2, v0, s[2:3] scale_offset
.LBB67_7:
	s_endpgm
	.section	.rodata,"a",@progbits
	.p2align	6, 0x0
	.amdhsa_kernel _ZL13mul_mat_vec_qIfLi256ELi32E10block_q6_KLi1EXadL_ZL17vec_dot_q6_K_q8_1PKvPK10block_q8_1RKiEEEvS2_S2_PT_iii
		.amdhsa_group_segment_fixed_size 0
		.amdhsa_private_segment_fixed_size 0
		.amdhsa_kernarg_size 296
		.amdhsa_user_sgpr_count 2
		.amdhsa_user_sgpr_dispatch_ptr 0
		.amdhsa_user_sgpr_queue_ptr 0
		.amdhsa_user_sgpr_kernarg_segment_ptr 1
		.amdhsa_user_sgpr_dispatch_id 0
		.amdhsa_user_sgpr_kernarg_preload_length 0
		.amdhsa_user_sgpr_kernarg_preload_offset 0
		.amdhsa_user_sgpr_private_segment_size 0
		.amdhsa_wavefront_size32 1
		.amdhsa_uses_dynamic_stack 0
		.amdhsa_enable_private_segment 0
		.amdhsa_system_sgpr_workgroup_id_x 1
		.amdhsa_system_sgpr_workgroup_id_y 1
		.amdhsa_system_sgpr_workgroup_id_z 0
		.amdhsa_system_sgpr_workgroup_info 0
		.amdhsa_system_vgpr_workitem_id 1
		.amdhsa_next_free_vgpr 38
		.amdhsa_next_free_sgpr 13
		.amdhsa_named_barrier_count 0
		.amdhsa_reserve_vcc 1
		.amdhsa_float_round_mode_32 0
		.amdhsa_float_round_mode_16_64 0
		.amdhsa_float_denorm_mode_32 3
		.amdhsa_float_denorm_mode_16_64 3
		.amdhsa_fp16_overflow 0
		.amdhsa_memory_ordered 1
		.amdhsa_forward_progress 1
		.amdhsa_inst_pref_size 12
		.amdhsa_round_robin_scheduling 0
		.amdhsa_exception_fp_ieee_invalid_op 0
		.amdhsa_exception_fp_denorm_src 0
		.amdhsa_exception_fp_ieee_div_zero 0
		.amdhsa_exception_fp_ieee_overflow 0
		.amdhsa_exception_fp_ieee_underflow 0
		.amdhsa_exception_fp_ieee_inexact 0
		.amdhsa_exception_int_div_zero 0
	.end_amdhsa_kernel
	.section	.text._ZL13mul_mat_vec_qIfLi256ELi32E10block_q6_KLi1EXadL_ZL17vec_dot_q6_K_q8_1PKvPK10block_q8_1RKiEEEvS2_S2_PT_iii,"axG",@progbits,_ZL13mul_mat_vec_qIfLi256ELi32E10block_q6_KLi1EXadL_ZL17vec_dot_q6_K_q8_1PKvPK10block_q8_1RKiEEEvS2_S2_PT_iii,comdat
.Lfunc_end67:
	.size	_ZL13mul_mat_vec_qIfLi256ELi32E10block_q6_KLi1EXadL_ZL17vec_dot_q6_K_q8_1PKvPK10block_q8_1RKiEEEvS2_S2_PT_iii, .Lfunc_end67-_ZL13mul_mat_vec_qIfLi256ELi32E10block_q6_KLi1EXadL_ZL17vec_dot_q6_K_q8_1PKvPK10block_q8_1RKiEEEvS2_S2_PT_iii
                                        ; -- End function
	.set _ZL13mul_mat_vec_qIfLi256ELi32E10block_q6_KLi1EXadL_ZL17vec_dot_q6_K_q8_1PKvPK10block_q8_1RKiEEEvS2_S2_PT_iii.num_vgpr, 38
	.set _ZL13mul_mat_vec_qIfLi256ELi32E10block_q6_KLi1EXadL_ZL17vec_dot_q6_K_q8_1PKvPK10block_q8_1RKiEEEvS2_S2_PT_iii.num_agpr, 0
	.set _ZL13mul_mat_vec_qIfLi256ELi32E10block_q6_KLi1EXadL_ZL17vec_dot_q6_K_q8_1PKvPK10block_q8_1RKiEEEvS2_S2_PT_iii.numbered_sgpr, 13
	.set _ZL13mul_mat_vec_qIfLi256ELi32E10block_q6_KLi1EXadL_ZL17vec_dot_q6_K_q8_1PKvPK10block_q8_1RKiEEEvS2_S2_PT_iii.num_named_barrier, 0
	.set _ZL13mul_mat_vec_qIfLi256ELi32E10block_q6_KLi1EXadL_ZL17vec_dot_q6_K_q8_1PKvPK10block_q8_1RKiEEEvS2_S2_PT_iii.private_seg_size, 0
	.set _ZL13mul_mat_vec_qIfLi256ELi32E10block_q6_KLi1EXadL_ZL17vec_dot_q6_K_q8_1PKvPK10block_q8_1RKiEEEvS2_S2_PT_iii.uses_vcc, 1
	.set _ZL13mul_mat_vec_qIfLi256ELi32E10block_q6_KLi1EXadL_ZL17vec_dot_q6_K_q8_1PKvPK10block_q8_1RKiEEEvS2_S2_PT_iii.uses_flat_scratch, 0
	.set _ZL13mul_mat_vec_qIfLi256ELi32E10block_q6_KLi1EXadL_ZL17vec_dot_q6_K_q8_1PKvPK10block_q8_1RKiEEEvS2_S2_PT_iii.has_dyn_sized_stack, 0
	.set _ZL13mul_mat_vec_qIfLi256ELi32E10block_q6_KLi1EXadL_ZL17vec_dot_q6_K_q8_1PKvPK10block_q8_1RKiEEEvS2_S2_PT_iii.has_recursion, 0
	.set _ZL13mul_mat_vec_qIfLi256ELi32E10block_q6_KLi1EXadL_ZL17vec_dot_q6_K_q8_1PKvPK10block_q8_1RKiEEEvS2_S2_PT_iii.has_indirect_call, 0
	.section	.AMDGPU.csdata,"",@progbits
; Kernel info:
; codeLenInByte = 1468
; TotalNumSgprs: 15
; NumVgprs: 38
; ScratchSize: 0
; MemoryBound: 0
; FloatMode: 240
; IeeeMode: 1
; LDSByteSize: 0 bytes/workgroup (compile time only)
; SGPRBlocks: 0
; VGPRBlocks: 2
; NumSGPRsForWavesPerEU: 15
; NumVGPRsForWavesPerEU: 38
; NamedBarCnt: 0
; Occupancy: 16
; WaveLimiterHint : 0
; COMPUTE_PGM_RSRC2:SCRATCH_EN: 0
; COMPUTE_PGM_RSRC2:USER_SGPR: 2
; COMPUTE_PGM_RSRC2:TRAP_HANDLER: 0
; COMPUTE_PGM_RSRC2:TGID_X_EN: 1
; COMPUTE_PGM_RSRC2:TGID_Y_EN: 1
; COMPUTE_PGM_RSRC2:TGID_Z_EN: 0
; COMPUTE_PGM_RSRC2:TIDIG_COMP_CNT: 1
	.section	.text._ZL13mul_mat_vec_qIfLi256ELi8E13block_iq2_xxsLi1EXadL_ZL20vec_dot_iq2_xxs_q8_1PKvPK10block_q8_1RKiEEEvS2_S2_PT_iii,"axG",@progbits,_ZL13mul_mat_vec_qIfLi256ELi8E13block_iq2_xxsLi1EXadL_ZL20vec_dot_iq2_xxs_q8_1PKvPK10block_q8_1RKiEEEvS2_S2_PT_iii,comdat
	.globl	_ZL13mul_mat_vec_qIfLi256ELi8E13block_iq2_xxsLi1EXadL_ZL20vec_dot_iq2_xxs_q8_1PKvPK10block_q8_1RKiEEEvS2_S2_PT_iii ; -- Begin function _ZL13mul_mat_vec_qIfLi256ELi8E13block_iq2_xxsLi1EXadL_ZL20vec_dot_iq2_xxs_q8_1PKvPK10block_q8_1RKiEEEvS2_S2_PT_iii
	.p2align	8
	.type	_ZL13mul_mat_vec_qIfLi256ELi8E13block_iq2_xxsLi1EXadL_ZL20vec_dot_iq2_xxs_q8_1PKvPK10block_q8_1RKiEEEvS2_S2_PT_iii,@function
_ZL13mul_mat_vec_qIfLi256ELi8E13block_iq2_xxsLi1EXadL_ZL20vec_dot_iq2_xxs_q8_1PKvPK10block_q8_1RKiEEEvS2_S2_PT_iii: ; @_ZL13mul_mat_vec_qIfLi256ELi8E13block_iq2_xxsLi1EXadL_ZL20vec_dot_iq2_xxs_q8_1PKvPK10block_q8_1RKiEEEvS2_S2_PT_iii
; %bb.0:
	s_clause 0x1
	s_load_u16 s2, s[0:1], 0x36
	s_load_b96 s[12:14], s[0:1], 0x18
	s_bfe_u32 s4, ttmp6, 0x4000c
	s_bfe_u32 s5, ttmp6, 0x40010
	s_add_co_i32 s4, s4, 1
	s_add_co_i32 s5, s5, 1
	s_and_b32 s3, ttmp6, 15
	s_mul_i32 s4, ttmp9, s4
	s_mul_i32 s5, ttmp7, s5
	s_bfe_u32 s6, ttmp6, 0x40004
	s_add_co_i32 s3, s3, s4
	s_getreg_b32 s4, hwreg(HW_REG_IB_STS2, 6, 4)
	s_add_co_i32 s6, s6, s5
	v_bfe_u32 v1, v0, 10, 10
	s_cmp_eq_u32 s4, 0
	s_cselect_b32 s3, ttmp9, s3
	s_cselect_b32 s18, ttmp7, s6
	s_wait_kmcnt 0x0
	v_mad_u32 v16, s3, s2, v1
	s_cmp_lt_u32 s18, s14
	s_cselect_b32 s2, -1, 0
	s_delay_alu instid0(VALU_DEP_1) | instskip(SKIP_1) | instid1(SALU_CYCLE_1)
	v_cmp_gt_u32_e32 vcc_lo, s13, v16
	s_and_b32 s2, s2, vcc_lo
	s_and_saveexec_b32 s3, s2
	s_cbranch_execz .LBB68_7
; %bb.1:
	s_load_b64 s[14:15], s[0:1], 0x10
	s_ashr_i32 s2, s12, 31
	v_bfe_u32 v18, v0, 3, 7
	s_lshr_b32 s2, s2, 24
	v_and_b32_e32 v17, 0x3ff, v0
	v_mov_b32_e32 v19, 0
	s_add_co_i32 s2, s12, s2
	s_mov_b32 s19, exec_lo
	s_ashr_i32 s20, s2, 8
	s_delay_alu instid0(SALU_CYCLE_1)
	v_cmpx_gt_u32_e64 s20, v18
	s_cbranch_execz .LBB68_5
; %bb.2:
	s_load_b128 s[8:11], s[0:1], 0x0
	s_wait_xcnt 0x0
	s_add_co_i32 s0, s12, 0x1ff
	v_dual_lshlrev_b32 v2, 3, v18 :: v_dual_bitop2_b32 v1, 7, v17 bitop3:0x40
	s_ashr_i32 s1, s0, 31
	v_mul_lo_u32 v20, v16, s20
	s_lshr_b32 s1, s1, 23
	s_delay_alu instid0(VALU_DEP_2) | instskip(SKIP_3) | instid1(VALU_DEP_1)
	v_dual_mov_b32 v11, 0 :: v_dual_lshlrev_b32 v0, 2, v1
	s_add_co_i32 s0, s0, s1
	s_mov_b32 s12, 0
	s_ashr_i32 s0, s0, 9
	v_dual_mov_b32 v19, v11 :: v_dual_lshlrev_b32 v10, 1, v0
	s_mul_i32 s0, s18, s0
	s_get_pc_i64 s[16:17]
	s_add_nc_u64 s[16:17], s[16:17], _ZL12ksigns_iq2xs@rel64+4
	v_lshl_add_u32 v21, s0, 4, v2
	s_wait_kmcnt 0x0
	v_mad_nc_u64_u32 v[8:9], v1, 36, s[10:11]
	s_get_pc_i64 s[10:11]
	s_add_nc_u64 s[10:11], s[10:11], _ZL11iq2xxs_grid@rel64+4
.LBB68_3:                               ; =>This Inner Loop Header: Depth=1
	v_add_nc_u32_e32 v0, v20, v18
	s_delay_alu instid0(VALU_DEP_2) | instskip(SKIP_1) | instid1(VALU_DEP_3)
	v_mad_nc_i64_i32 v[14:15], v21, 36, v[8:9]
	v_add_nc_u32_e32 v21, 32, v21
	v_mad_nc_i64_i32 v[12:13], 0x42, v0, s[8:9]
	s_clause 0x2
	global_load_b128 v[0:3], v[14:15], off offset:4
	global_load_b128 v[4:7], v[14:15], off offset:20
	global_load_u16 v22, v[14:15], off
	s_wait_xcnt 0x0
	v_add_nc_u64_e32 v[14:15], v[12:13], v[10:11]
	s_clause 0x2
	global_load_b32 v23, v[14:15], off offset:2
	global_load_b32 v24, v[14:15], off offset:6
	global_load_u16 v25, v[12:13], off
	s_wait_loadcnt 0x5
	s_wait_xcnt 0x1
	v_dual_ashrrev_i32 v15, 24, v0 :: v_dual_ashrrev_i32 v33, 24, v2
	v_bfe_i32 v30, v2, 0, 8
	v_bfe_i32 v31, v2, 8, 8
	;; [unrolled: 1-line block ×3, first 2 shown]
	s_wait_xcnt 0x0
	v_bfe_i32 v12, v0, 0, 8
	v_bfe_i32 v13, v0, 8, 8
	;; [unrolled: 1-line block ×6, first 2 shown]
	s_wait_loadcnt 0x2
	v_and_b32_e32 v2, 0xff, v23
	s_wait_loadcnt 0x1
	v_and_b32_e32 v50, 0x7f, v24
	v_ashrrev_i32_e32 v29, 24, v1
	global_load_b64 v[0:1], v2, s[10:11] scale_offset
	global_load_i8 v53, v50, s[16:17]
	v_bfe_i32 v47, v7, 0, 8
	v_bfe_i32 v48, v7, 8, 8
	;; [unrolled: 1-line block ×3, first 2 shown]
	v_dual_ashrrev_i32 v7, 24, v7 :: v_dual_lshrrev_b32 v52, 28, v24
	v_bfe_i32 v34, v3, 0, 8
	v_bfe_i32 v35, v3, 8, 8
	;; [unrolled: 1-line block ×3, first 2 shown]
	v_ashrrev_i32_e32 v37, 24, v3
	v_cvt_f32_ubyte0_e32 v52, v52
	v_dual_lshrrev_b32 v3, 5, v23 :: v_dual_lshrrev_b32 v51, 13, v23
	s_wait_loadcnt 0x2
	v_cvt_f32_f16_e32 v25, v25
	v_bfe_i32 v38, v4, 0, 8
	v_add_f32_e32 v52, 0.5, v52
	s_wait_xcnt 0x1
	v_and_b32_e32 v2, 0x7f8, v3
	v_and_b32_e32 v51, 0x7f8, v51
	v_bfe_i32 v39, v4, 8, 8
	v_bfe_i32 v40, v4, 16, 8
	v_ashrrev_i32_e32 v4, 24, v4
	global_load_b64 v[2:3], v2, s[10:11]
	v_bfe_i32 v41, v5, 0, 8
	v_bfe_i32 v42, v5, 8, 8
	;; [unrolled: 1-line block ×3, first 2 shown]
	v_ashrrev_i32_e32 v5, 24, v5
	v_bfe_i32 v44, v6, 0, 8
	v_bfe_i32 v45, v6, 8, 8
	;; [unrolled: 1-line block ×3, first 2 shown]
	v_ashrrev_i32_e32 v6, 24, v6
	v_cvt_f32_f16_e32 v22, v22
	s_wait_loadcnt 0x2
	v_lshrrev_b32_e32 v54, 24, v1
	v_dual_mul_f32 v25, v52, v25 :: v_dual_lshrrev_b32 v52, 24, v0
	v_and_b32_e32 v55, 0xff, v0
	v_bfe_u32 v57, v0, 8, 8
	v_bfe_u32 v0, v0, 16, 8
	v_and_b32_e32 v59, 0xff, v1
	v_bfe_u32 v60, v1, 8, 8
	v_bfe_u32 v1, v1, 16, 8
	v_mul_i32_i24_e32 v12, v55, v12
	v_mul_i32_i24_e32 v14, v0, v14
	;; [unrolled: 1-line block ×3, first 2 shown]
	s_wait_loadcnt 0x1
	v_and_b32_e32 v61, 4, v53
	v_mul_i32_i24_e32 v28, v1, v28
	global_load_b64 v[0:1], v51, s[10:11]
	v_and_b32_e32 v56, 1, v53
	v_and_b32_e32 v58, 2, v53
	;; [unrolled: 1-line block ×3, first 2 shown]
	v_mul_i32_i24_e32 v15, v52, v15
	v_sub_nc_u32_e32 v63, 0, v12
	v_cmp_eq_u16_e32 vcc_lo, 0, v56
	v_sub_nc_u32_e32 v56, 0, v13
	v_cmp_eq_u16_e64 s0, 0, v58
	v_sub_nc_u32_e32 v58, 0, v14
	v_cmp_eq_u16_e64 s1, 0, v61
	;; [unrolled: 2-line block ×3, first 2 shown]
	v_dual_cndmask_b32 v12, v63, v12, vcc_lo :: v_dual_cndmask_b32 v13, v56, v13, s0
	v_mul_i32_i24_e32 v27, v60, v27
	s_delay_alu instid0(VALU_DEP_3) | instskip(SKIP_1) | instid1(VALU_DEP_4)
	v_dual_cndmask_b32 v14, v58, v14, s1 :: v_dual_cndmask_b32 v15, v61, v15, s2
	v_mul_i32_i24_e32 v26, v59, v26
	v_add_nc_u32_e32 v12, v13, v12
	v_mul_i32_i24_e32 v29, v54, v29
	s_wait_loadcnt 0x0
	s_delay_alu instid0(VALU_DEP_3)
	v_dual_sub_nc_u32 v63, 0, v26 :: v_dual_lshrrev_b32 v51, 24, v0
	v_lshrrev_b32_e32 v55, 24, v1
	v_and_b32_e32 v56, 0xff, v0
	v_bfe_u32 v58, v0, 8, 8
	v_bfe_u32 v13, v0, 16, 8
	v_and_b32_e32 v0, 32, v53
	v_add3_u32 v12, v12, v14, v15
	v_and_b32_e32 v14, 0xff, v1
	v_bfe_u32 v15, v1, 8, 8
	v_bfe_u32 v61, v1, 16, 8
	v_sub_nc_u32_e32 v1, 0, v27
	v_cmp_eq_u16_e32 vcc_lo, 0, v0
	v_and_b32_e32 v0, 16, v53
	v_mul_i32_i24_e32 v38, v56, v38
	v_mul_i32_i24_e32 v39, v58, v39
	;; [unrolled: 1-line block ×4, first 2 shown]
	v_cmp_eq_u16_e64 s0, 0, v0
	v_lshrrev_b32_e32 v0, 21, v23
	v_cndmask_b32_e32 v23, v1, v27, vcc_lo
	v_cmp_gt_u32_e32 vcc_lo, 64, v50
	s_delay_alu instid0(VALU_DEP_4) | instskip(NEXT) | instid1(VALU_DEP_4)
	v_dual_sub_nc_u32 v27, 0, v29 :: v_dual_cndmask_b32 v26, v63, v26, s0
	v_and_b32_e32 v0, 0x7f8, v0
	v_cmp_gt_i16_e64 s0, 0, v53
	v_bfe_u32 v53, v24, 7, 7
	v_mul_i32_i24_e32 v15, v15, v42
	v_add3_u32 v12, v12, v26, v23
	global_load_b64 v[0:1], v0, s[10:11]
	v_lshrrev_b32_e32 v52, 24, v2
	v_and_b32_e32 v57, 0xff, v2
	v_bfe_u32 v59, v2, 8, 8
	v_bfe_u32 v2, v2, 16, 8
	v_lshrrev_b32_e32 v54, 24, v3
	v_mul_i32_i24_e32 v33, v52, v33
	v_mul_i32_i24_e32 v30, v57, v30
	v_bfe_u32 v57, v24, 14, 7
	v_mul_i32_i24_e32 v2, v2, v32
	global_load_i8 v32, v53, s[16:17]
	v_bfe_u32 v24, v24, 21, 7
	v_mul_i32_i24_e32 v31, v59, v31
	global_load_i8 v52, v57, s[16:17]
	v_and_b32_e32 v60, 0xff, v3
	v_bfe_u32 v62, v3, 8, 8
	global_load_i8 v59, v24, s[16:17]
	v_bfe_u32 v3, v3, 16, 8
	v_sub_nc_u32_e32 v26, 0, v28
	v_mul_i32_i24_e32 v34, v60, v34
	v_cndmask_b32_e64 v27, v29, v27, s0
	v_mul_i32_i24_e32 v37, v54, v37
	v_mul_i32_i24_e32 v3, v3, v36
	;; [unrolled: 1-line block ×6, first 2 shown]
	s_wait_loadcnt 0x3
	v_dual_lshrrev_b32 v23, 24, v0 :: v_dual_lshrrev_b32 v50, 24, v1
	v_cndmask_b32_e32 v26, v26, v28, vcc_lo
	v_and_b32_e32 v28, 0xff, v0
	v_bfe_u32 v29, v0, 8, 8
	v_bfe_u32 v0, v0, 16, 8
	v_mul_i32_i24_e32 v7, v50, v7
	v_sub_nc_u32_e32 v50, 0, v30
	v_add3_u32 v12, v12, v26, v27
	v_and_b32_e32 v26, 0xff, v1
	s_wait_loadcnt 0x2
	v_and_b32_e32 v60, 1, v32
	v_and_b32_e32 v36, 2, v32
	;; [unrolled: 1-line block ×4, first 2 shown]
	v_bfe_u32 v27, v1, 8, 8
	v_cmp_eq_u16_e32 vcc_lo, 0, v60
	v_sub_nc_u32_e32 v60, 0, v31
	v_cmp_eq_u16_e64 s0, 0, v36
	v_bfe_u32 v1, v1, 16, 8
	v_and_b32_e32 v58, 16, v32
	v_and_b32_e32 v40, 32, v32
	s_wait_loadcnt 0x1
	v_dual_cndmask_b32 v30, v50, v30, vcc_lo :: v_dual_bitop2_b32 v41, 2, v52 bitop3:0x40
	v_dual_sub_nc_u32 v50, 0, v3 :: v_dual_bitop2_b32 v61, 8, v52 bitop3:0x40
	v_dual_cndmask_b32 v31, v60, v31, s0 :: v_dual_bitop2_b32 v55, 16, v52 bitop3:0x40
	v_sub_nc_u32_e32 v36, 0, v2
	v_cmp_eq_u16_e64 s1, 0, v54
	v_sub_nc_u32_e32 v54, 0, v33
	v_cmp_eq_u16_e64 s2, 0, v56
	v_and_b32_e32 v42, 4, v52
	v_mul_i32_i24_e32 v1, v1, v49
	s_wait_loadcnt 0x0
	v_dual_cndmask_b32 v2, v36, v2, s1 :: v_dual_bitop2_b32 v49, 32, v59 bitop3:0x40
	v_sub_nc_u32_e32 v56, 0, v35
	v_cmp_gt_i16_e64 s4, 0, v32
	v_sub_nc_u32_e32 v32, 0, v39
	v_cmp_eq_u16_e64 s3, 0, v40
	v_cmp_eq_u16_e64 s5, 0, v41
	v_sub_nc_u32_e32 v41, 0, v34
	v_add3_u32 v12, v12, v30, v31
	v_cmp_eq_u16_e32 vcc_lo, 0, v61
	v_dual_sub_nc_u32 v61, 0, v15 :: v_dual_cndmask_b32 v33, v54, v33, s2
	v_cmp_eq_u16_e64 s1, 0, v58
	v_dual_sub_nc_u32 v40, 0, v37 :: v_dual_bitop2_b32 v51, 1, v52 bitop3:0x40
	v_mul_i32_i24_e32 v0, v0, v46
	s_delay_alu instid0(VALU_DEP_3)
	v_dual_cndmask_b32 v35, v56, v35, s3 :: v_dual_cndmask_b32 v34, v41, v34, s1
	v_add3_u32 v2, v12, v2, v33
	v_cmp_gt_u32_e64 s1, 64, v53
	v_mul_i32_i24_e32 v28, v28, v44
	v_dual_sub_nc_u32 v60, 0, v38 :: v_dual_bitop2_b32 v44, 32, v52 bitop3:0x40
	v_mul_i32_i24_e32 v6, v23, v6
	s_delay_alu instid0(VALU_DEP_4)
	v_dual_sub_nc_u32 v12, 0, v0 :: v_dual_cndmask_b32 v3, v50, v3, s1
	v_cndmask_b32_e64 v33, v37, v40, s4
	v_add3_u32 v2, v2, v34, v35
	v_cmp_eq_u16_e64 s1, 0, v51
	v_mul_i32_i24_e32 v29, v29, v45
	v_dual_sub_nc_u32 v30, 0, v13 :: v_dual_bitop2_b32 v45, 1, v59 bitop3:0x40
	v_dual_sub_nc_u32 v31, 0, v4 :: v_dual_bitop2_b32 v46, 2, v59 bitop3:0x40
	v_dual_sub_nc_u32 v34, 0, v6 :: v_dual_cndmask_b32 v32, v32, v39, s5
	v_add3_u32 v2, v2, v3, v33
	v_cmp_eq_u16_e64 s2, 0, v42
	v_cndmask_b32_e64 v35, v60, v38, s1
	v_mul_i32_i24_e32 v26, v26, v47
	v_mul_i32_i24_e32 v27, v27, v48
	v_and_b32_e32 v48, 16, v59
	v_cmp_eq_u16_e64 s0, 0, v44
	v_cmp_eq_u16_e64 s7, 0, v46
	v_dual_sub_nc_u32 v46, 0, v14 :: v_dual_cndmask_b32 v3, v30, v13, s2
	v_cndmask_b32_e32 v4, v31, v4, vcc_lo
	v_add3_u32 v2, v2, v35, v32
	v_cmp_eq_u16_e32 vcc_lo, 0, v55
	v_dual_sub_nc_u32 v44, 0, v5 :: v_dual_bitop2_b32 v23, 4, v59 bitop3:0x40
	v_cmp_gt_i16_e64 s6, 0, v52
	v_dual_sub_nc_u32 v36, 0, v43 :: v_dual_sub_nc_u32 v54, 0, v28
	v_dual_sub_nc_u32 v13, 0, v26 :: v_dual_cndmask_b32 v15, v61, v15, s0
	v_cndmask_b32_e32 v14, v46, v14, vcc_lo
	v_add3_u32 v2, v2, v3, v4
	v_cmp_gt_u32_e32 vcc_lo, 64, v57
	v_dual_sub_nc_u32 v52, 0, v29 :: v_dual_bitop2_b32 v47, 8, v59 bitop3:0x40
	v_dual_sub_nc_u32 v3, 0, v27 :: v_dual_cndmask_b32 v5, v5, v44, s6
	v_cndmask_b32_e32 v4, v36, v43, vcc_lo
	v_add3_u32 v2, v2, v14, v15
	v_cmp_eq_u16_e64 s0, 0, v45
	v_cmp_eq_u16_e64 s1, 0, v47
	v_cndmask_b32_e64 v15, v52, v29, s7
	v_cmp_eq_u16_e32 vcc_lo, 0, v49
	v_add3_u32 v2, v2, v4, v5
	v_cndmask_b32_e64 v14, v54, v28, s0
	v_cmp_eq_u16_e64 s0, 0, v23
	v_dual_sub_nc_u32 v4, 0, v1 :: v_dual_cndmask_b32 v5, v34, v6, s1
	v_sub_nc_u32_e32 v6, 0, v7
	s_delay_alu instid0(VALU_DEP_4) | instskip(NEXT) | instid1(VALU_DEP_4)
	v_add3_u32 v2, v2, v14, v15
	v_cndmask_b32_e64 v0, v12, v0, s0
	v_cmp_eq_u16_e64 s0, 0, v48
	v_cndmask_b32_e32 v3, v3, v27, vcc_lo
	v_cmp_gt_i16_e32 vcc_lo, 0, v59
	s_delay_alu instid0(VALU_DEP_4) | instskip(NEXT) | instid1(VALU_DEP_4)
	v_add3_u32 v0, v2, v0, v5
	v_cndmask_b32_e64 v12, v13, v26, s0
	v_cmp_gt_u32_e64 s0, 64, v24
	v_cndmask_b32_e32 v2, v7, v6, vcc_lo
	s_delay_alu instid0(VALU_DEP_3) | instskip(NEXT) | instid1(VALU_DEP_3)
	v_add3_u32 v0, v0, v12, v3
	v_dual_cndmask_b32 v1, v4, v1, s0 :: v_dual_mul_f32 v3, v25, v22
	v_add_nc_u32_e32 v18, 4, v18
	s_delay_alu instid0(VALU_DEP_2) | instskip(NEXT) | instid1(VALU_DEP_3)
	v_add3_u32 v0, v0, v1, v2
	v_mul_f32_e32 v1, 0x3e800000, v3
	s_delay_alu instid0(VALU_DEP_3) | instskip(NEXT) | instid1(VALU_DEP_3)
	v_cmp_le_u32_e32 vcc_lo, s20, v18
	v_cvt_f32_i32_e32 v0, v0
	s_or_b32 s12, vcc_lo, s12
	s_delay_alu instid0(VALU_DEP_1)
	v_fmac_f32_e32 v19, v1, v0
	s_and_not1_b32 exec_lo, exec_lo, s12
	s_cbranch_execnz .LBB68_3
; %bb.4:
	s_or_b32 exec_lo, exec_lo, s12
.LBB68_5:
	s_delay_alu instid0(SALU_CYCLE_1) | instskip(SKIP_1) | instid1(VALU_DEP_1)
	s_or_b32 exec_lo, exec_lo, s19
	v_mbcnt_lo_u32_b32 v0, -1, 0
	v_xor_b32_e32 v2, 8, v0
	v_xor_b32_e32 v1, 16, v0
	;; [unrolled: 1-line block ×3, first 2 shown]
	s_delay_alu instid0(VALU_DEP_2) | instskip(SKIP_4) | instid1(VALU_DEP_2)
	v_cmp_gt_i32_e32 vcc_lo, 32, v1
	v_cndmask_b32_e32 v1, v0, v1, vcc_lo
	v_cmp_gt_i32_e32 vcc_lo, 32, v2
	v_cndmask_b32_e32 v2, v0, v2, vcc_lo
	v_cmp_gt_i32_e32 vcc_lo, 32, v3
	v_dual_lshlrev_b32 v2, 2, v2 :: v_dual_lshlrev_b32 v1, 2, v1
	ds_bpermute_b32 v1, v1, v19
	s_wait_dscnt 0x0
	v_add_f32_e32 v1, v19, v1
	ds_bpermute_b32 v2, v2, v1
	s_wait_dscnt 0x0
	v_dual_cndmask_b32 v3, v0, v3, vcc_lo :: v_dual_add_f32 v1, v1, v2
	s_delay_alu instid0(VALU_DEP_1) | instskip(SKIP_3) | instid1(VALU_DEP_1)
	v_lshlrev_b32_e32 v3, 2, v3
	ds_bpermute_b32 v2, v3, v1
	s_wait_dscnt 0x0
	v_dual_add_f32 v1, v1, v2 :: v_dual_bitop2_b32 v3, 2, v0 bitop3:0x14
	v_cmp_gt_i32_e32 vcc_lo, 32, v3
	v_cndmask_b32_e32 v3, v0, v3, vcc_lo
	s_delay_alu instid0(VALU_DEP_1) | instskip(SKIP_2) | instid1(VALU_DEP_1)
	v_lshlrev_b32_e32 v3, 2, v3
	ds_bpermute_b32 v2, v3, v1
	v_xor_b32_e32 v3, 1, v0
	v_cmp_gt_i32_e32 vcc_lo, 32, v3
	v_cndmask_b32_e32 v3, v0, v3, vcc_lo
	v_cmp_eq_u32_e32 vcc_lo, 0, v17
	s_wait_dscnt 0x0
	s_delay_alu instid0(VALU_DEP_2)
	v_dual_add_f32 v0, v1, v2 :: v_dual_lshlrev_b32 v1, 2, v3
	ds_bpermute_b32 v1, v1, v0
	s_and_b32 exec_lo, exec_lo, vcc_lo
	s_cbranch_execz .LBB68_7
; %bb.6:
	v_mad_u32 v2, s13, s18, v16
	s_wait_dscnt 0x0
	v_add_f32_e32 v0, v0, v1
	s_wait_kmcnt 0x0
	global_store_b32 v2, v0, s[14:15] scale_offset
.LBB68_7:
	s_endpgm
	.section	.rodata,"a",@progbits
	.p2align	6, 0x0
	.amdhsa_kernel _ZL13mul_mat_vec_qIfLi256ELi8E13block_iq2_xxsLi1EXadL_ZL20vec_dot_iq2_xxs_q8_1PKvPK10block_q8_1RKiEEEvS2_S2_PT_iii
		.amdhsa_group_segment_fixed_size 0
		.amdhsa_private_segment_fixed_size 0
		.amdhsa_kernarg_size 296
		.amdhsa_user_sgpr_count 2
		.amdhsa_user_sgpr_dispatch_ptr 0
		.amdhsa_user_sgpr_queue_ptr 0
		.amdhsa_user_sgpr_kernarg_segment_ptr 1
		.amdhsa_user_sgpr_dispatch_id 0
		.amdhsa_user_sgpr_kernarg_preload_length 0
		.amdhsa_user_sgpr_kernarg_preload_offset 0
		.amdhsa_user_sgpr_private_segment_size 0
		.amdhsa_wavefront_size32 1
		.amdhsa_uses_dynamic_stack 0
		.amdhsa_enable_private_segment 0
		.amdhsa_system_sgpr_workgroup_id_x 1
		.amdhsa_system_sgpr_workgroup_id_y 1
		.amdhsa_system_sgpr_workgroup_id_z 0
		.amdhsa_system_sgpr_workgroup_info 0
		.amdhsa_system_vgpr_workitem_id 1
		.amdhsa_next_free_vgpr 64
		.amdhsa_next_free_sgpr 21
		.amdhsa_named_barrier_count 0
		.amdhsa_reserve_vcc 1
		.amdhsa_float_round_mode_32 0
		.amdhsa_float_round_mode_16_64 0
		.amdhsa_float_denorm_mode_32 3
		.amdhsa_float_denorm_mode_16_64 3
		.amdhsa_fp16_overflow 0
		.amdhsa_memory_ordered 1
		.amdhsa_forward_progress 1
		.amdhsa_inst_pref_size 20
		.amdhsa_round_robin_scheduling 0
		.amdhsa_exception_fp_ieee_invalid_op 0
		.amdhsa_exception_fp_denorm_src 0
		.amdhsa_exception_fp_ieee_div_zero 0
		.amdhsa_exception_fp_ieee_overflow 0
		.amdhsa_exception_fp_ieee_underflow 0
		.amdhsa_exception_fp_ieee_inexact 0
		.amdhsa_exception_int_div_zero 0
	.end_amdhsa_kernel
	.section	.text._ZL13mul_mat_vec_qIfLi256ELi8E13block_iq2_xxsLi1EXadL_ZL20vec_dot_iq2_xxs_q8_1PKvPK10block_q8_1RKiEEEvS2_S2_PT_iii,"axG",@progbits,_ZL13mul_mat_vec_qIfLi256ELi8E13block_iq2_xxsLi1EXadL_ZL20vec_dot_iq2_xxs_q8_1PKvPK10block_q8_1RKiEEEvS2_S2_PT_iii,comdat
.Lfunc_end68:
	.size	_ZL13mul_mat_vec_qIfLi256ELi8E13block_iq2_xxsLi1EXadL_ZL20vec_dot_iq2_xxs_q8_1PKvPK10block_q8_1RKiEEEvS2_S2_PT_iii, .Lfunc_end68-_ZL13mul_mat_vec_qIfLi256ELi8E13block_iq2_xxsLi1EXadL_ZL20vec_dot_iq2_xxs_q8_1PKvPK10block_q8_1RKiEEEvS2_S2_PT_iii
                                        ; -- End function
	.set _ZL13mul_mat_vec_qIfLi256ELi8E13block_iq2_xxsLi1EXadL_ZL20vec_dot_iq2_xxs_q8_1PKvPK10block_q8_1RKiEEEvS2_S2_PT_iii.num_vgpr, 64
	.set _ZL13mul_mat_vec_qIfLi256ELi8E13block_iq2_xxsLi1EXadL_ZL20vec_dot_iq2_xxs_q8_1PKvPK10block_q8_1RKiEEEvS2_S2_PT_iii.num_agpr, 0
	.set _ZL13mul_mat_vec_qIfLi256ELi8E13block_iq2_xxsLi1EXadL_ZL20vec_dot_iq2_xxs_q8_1PKvPK10block_q8_1RKiEEEvS2_S2_PT_iii.numbered_sgpr, 21
	.set _ZL13mul_mat_vec_qIfLi256ELi8E13block_iq2_xxsLi1EXadL_ZL20vec_dot_iq2_xxs_q8_1PKvPK10block_q8_1RKiEEEvS2_S2_PT_iii.num_named_barrier, 0
	.set _ZL13mul_mat_vec_qIfLi256ELi8E13block_iq2_xxsLi1EXadL_ZL20vec_dot_iq2_xxs_q8_1PKvPK10block_q8_1RKiEEEvS2_S2_PT_iii.private_seg_size, 0
	.set _ZL13mul_mat_vec_qIfLi256ELi8E13block_iq2_xxsLi1EXadL_ZL20vec_dot_iq2_xxs_q8_1PKvPK10block_q8_1RKiEEEvS2_S2_PT_iii.uses_vcc, 1
	.set _ZL13mul_mat_vec_qIfLi256ELi8E13block_iq2_xxsLi1EXadL_ZL20vec_dot_iq2_xxs_q8_1PKvPK10block_q8_1RKiEEEvS2_S2_PT_iii.uses_flat_scratch, 0
	.set _ZL13mul_mat_vec_qIfLi256ELi8E13block_iq2_xxsLi1EXadL_ZL20vec_dot_iq2_xxs_q8_1PKvPK10block_q8_1RKiEEEvS2_S2_PT_iii.has_dyn_sized_stack, 0
	.set _ZL13mul_mat_vec_qIfLi256ELi8E13block_iq2_xxsLi1EXadL_ZL20vec_dot_iq2_xxs_q8_1PKvPK10block_q8_1RKiEEEvS2_S2_PT_iii.has_recursion, 0
	.set _ZL13mul_mat_vec_qIfLi256ELi8E13block_iq2_xxsLi1EXadL_ZL20vec_dot_iq2_xxs_q8_1PKvPK10block_q8_1RKiEEEvS2_S2_PT_iii.has_indirect_call, 0
	.section	.AMDGPU.csdata,"",@progbits
; Kernel info:
; codeLenInByte = 2452
; TotalNumSgprs: 23
; NumVgprs: 64
; ScratchSize: 0
; MemoryBound: 0
; FloatMode: 240
; IeeeMode: 1
; LDSByteSize: 0 bytes/workgroup (compile time only)
; SGPRBlocks: 0
; VGPRBlocks: 3
; NumSGPRsForWavesPerEU: 23
; NumVGPRsForWavesPerEU: 64
; NamedBarCnt: 0
; Occupancy: 16
; WaveLimiterHint : 0
; COMPUTE_PGM_RSRC2:SCRATCH_EN: 0
; COMPUTE_PGM_RSRC2:USER_SGPR: 2
; COMPUTE_PGM_RSRC2:TRAP_HANDLER: 0
; COMPUTE_PGM_RSRC2:TGID_X_EN: 1
; COMPUTE_PGM_RSRC2:TGID_Y_EN: 1
; COMPUTE_PGM_RSRC2:TGID_Z_EN: 0
; COMPUTE_PGM_RSRC2:TIDIG_COMP_CNT: 1
	.section	.text._ZL13mul_mat_vec_qIfLi256ELi8E12block_iq2_xsLi1EXadL_ZL19vec_dot_iq2_xs_q8_1PKvPK10block_q8_1RKiEEEvS2_S2_PT_iii,"axG",@progbits,_ZL13mul_mat_vec_qIfLi256ELi8E12block_iq2_xsLi1EXadL_ZL19vec_dot_iq2_xs_q8_1PKvPK10block_q8_1RKiEEEvS2_S2_PT_iii,comdat
	.globl	_ZL13mul_mat_vec_qIfLi256ELi8E12block_iq2_xsLi1EXadL_ZL19vec_dot_iq2_xs_q8_1PKvPK10block_q8_1RKiEEEvS2_S2_PT_iii ; -- Begin function _ZL13mul_mat_vec_qIfLi256ELi8E12block_iq2_xsLi1EXadL_ZL19vec_dot_iq2_xs_q8_1PKvPK10block_q8_1RKiEEEvS2_S2_PT_iii
	.p2align	8
	.type	_ZL13mul_mat_vec_qIfLi256ELi8E12block_iq2_xsLi1EXadL_ZL19vec_dot_iq2_xs_q8_1PKvPK10block_q8_1RKiEEEvS2_S2_PT_iii,@function
_ZL13mul_mat_vec_qIfLi256ELi8E12block_iq2_xsLi1EXadL_ZL19vec_dot_iq2_xs_q8_1PKvPK10block_q8_1RKiEEEvS2_S2_PT_iii: ; @_ZL13mul_mat_vec_qIfLi256ELi8E12block_iq2_xsLi1EXadL_ZL19vec_dot_iq2_xs_q8_1PKvPK10block_q8_1RKiEEEvS2_S2_PT_iii
; %bb.0:
	s_clause 0x1
	s_load_u16 s2, s[0:1], 0x36
	s_load_b96 s[4:6], s[0:1], 0x18
	s_bfe_u32 s7, ttmp6, 0x4000c
	s_bfe_u32 s8, ttmp6, 0x40010
	s_add_co_i32 s7, s7, 1
	s_add_co_i32 s8, s8, 1
	s_and_b32 s3, ttmp6, 15
	s_mul_i32 s7, ttmp9, s7
	s_mul_i32 s8, ttmp7, s8
	s_bfe_u32 s9, ttmp6, 0x40004
	s_add_co_i32 s3, s3, s7
	s_getreg_b32 s7, hwreg(HW_REG_IB_STS2, 6, 4)
	s_add_co_i32 s9, s9, s8
	v_bfe_u32 v1, v0, 10, 10
	s_cmp_eq_u32 s7, 0
	s_cselect_b32 s3, ttmp9, s3
	s_cselect_b32 s10, ttmp7, s9
	s_wait_kmcnt 0x0
	v_mad_u32 v12, s3, s2, v1
	s_cmp_lt_u32 s10, s6
	s_cselect_b32 s2, -1, 0
	s_delay_alu instid0(VALU_DEP_1) | instskip(SKIP_1) | instid1(SALU_CYCLE_1)
	v_cmp_gt_u32_e32 vcc_lo, s5, v12
	s_and_b32 s2, s2, vcc_lo
	s_and_saveexec_b32 s3, s2
	s_cbranch_execz .LBB69_7
; %bb.1:
	s_load_b64 s[6:7], s[0:1], 0x10
	s_ashr_i32 s2, s4, 31
	v_bfe_u32 v14, v0, 3, 7
	s_lshr_b32 s2, s2, 24
	v_and_b32_e32 v13, 0x3ff, v0
	v_mov_b32_e32 v15, 0
	s_add_co_i32 s2, s4, s2
	s_mov_b32 s11, exec_lo
	s_ashr_i32 s12, s2, 8
	s_delay_alu instid0(SALU_CYCLE_1)
	v_cmpx_gt_u32_e64 s12, v14
	s_cbranch_execz .LBB69_5
; %bb.2:
	s_wait_xcnt 0x0
	s_load_b128 s[0:3], s[0:1], 0x0
	s_addk_co_i32 s4, 0x1ff
	v_dual_lshlrev_b32 v5, 3, v14 :: v_dual_bitop2_b32 v0, 7, v13 bitop3:0x40
	s_ashr_i32 s8, s4, 31
	v_mul_lo_u32 v16, v12, s12
	s_lshr_b32 s8, s8, 23
	s_delay_alu instid0(VALU_DEP_2)
	v_dual_mov_b32 v1, 0 :: v_dual_lshlrev_b32 v4, 2, v0
	s_add_co_i32 s4, s4, s8
	s_get_pc_i64 s[8:9]
	s_add_nc_u64 s[8:9], s[8:9], _ZL12ksigns_iq2xs@rel64+4
	s_ashr_i32 s4, s4, 9
	v_lshlrev_b32_e32 v4, 1, v4
	s_mul_i32 s4, s10, s4
	v_mov_b32_e32 v15, v1
	v_lshl_add_u32 v17, s4, 4, v5
	v_mov_b32_e32 v5, v1
	s_mov_b32 s4, 0
	s_wait_kmcnt 0x0
	v_mad_nc_u64_u32 v[2:3], v0, 36, s[2:3]
	s_get_pc_i64 s[2:3]
	s_add_nc_u64 s[2:3], s[2:3], _ZL10iq2xs_grid@rel64+4
.LBB69_3:                               ; =>This Inner Loop Header: Depth=1
	v_dual_add_nc_u32 v6, v16, v14 :: v_dual_add_nc_u32 v14, 4, v14
	s_delay_alu instid0(VALU_DEP_1) | instskip(NEXT) | instid1(VALU_DEP_3)
	v_mad_nc_i64_i32 v[8:9], 0x4a, v6, s[0:1]
	v_mad_nc_i64_i32 v[6:7], v17, 36, v[2:3]
	v_add_nc_u32_e32 v17, 32, v17
	s_delay_alu instid0(VALU_DEP_3)
	v_add_nc_u64_e32 v[22:23], v[8:9], v[0:1]
	v_add_nc_u64_e32 v[20:21], v[8:9], v[4:5]
	s_clause 0x1
	global_load_u8 v18, v[22:23], off offset:66
	global_load_b64 v[10:11], v[20:21], off offset:2
	s_wait_loadcnt 0x0
	v_and_b32_e32 v20, 0x1ff, v10
	v_bfe_u32 v21, v10, 9, 7
	global_load_i8 v22, v21, s[8:9]
	global_load_b128 v[26:29], v[6:7], off offset:4
	global_load_b64 v[20:21], v20, s[2:3] scale_offset
	v_dual_lshrrev_b32 v30, 16, v10 :: v_dual_lshrrev_b32 v19, 16, v11
	s_wait_loadcnt 0x1
	v_bfe_i32 v23, v26, 0, 8
	s_wait_loadcnt 0x0
	v_and_b32_e32 v31, 0xff, v20
	v_lshrrev_b32_e32 v25, 24, v21
	v_bfe_u32 v32, v20, 8, 8
	v_lshrrev_b32_e32 v24, 24, v20
	v_bfe_u32 v20, v20, 16, 8
	v_mul_i32_i24_e32 v23, v31, v23
	v_and_b32_e32 v31, 1, v22
	s_delay_alu instid0(VALU_DEP_1) | instskip(NEXT) | instid1(VALU_DEP_3)
	v_cmp_eq_u16_e32 vcc_lo, 0, v31
	v_sub_nc_u32_e32 v31, 0, v23
	s_delay_alu instid0(VALU_DEP_1) | instskip(SKIP_1) | instid1(VALU_DEP_1)
	v_cndmask_b32_e32 v23, v31, v23, vcc_lo
	v_bfe_i32 v31, v26, 8, 8
	v_mul_i32_i24_e32 v31, v32, v31
	v_and_b32_e32 v32, 2, v22
	s_delay_alu instid0(VALU_DEP_1) | instskip(NEXT) | instid1(VALU_DEP_3)
	v_cmp_eq_u16_e32 vcc_lo, 0, v32
	v_sub_nc_u32_e32 v32, 0, v31
	s_delay_alu instid0(VALU_DEP_1) | instskip(SKIP_1) | instid1(VALU_DEP_2)
	v_cndmask_b32_e32 v31, v32, v31, vcc_lo
	v_bfe_u32 v32, v11, 9, 7
	v_add_nc_u32_e32 v23, v31, v23
	v_bfe_i32 v31, v26, 16, 8
	v_ashrrev_i32_e32 v26, 24, v26
	s_delay_alu instid0(VALU_DEP_2) | instskip(SKIP_1) | instid1(VALU_DEP_3)
	v_mul_i32_i24_e32 v20, v20, v31
	v_and_b32_e32 v31, 4, v22
	v_mul_i32_i24_e32 v24, v24, v26
	v_and_b32_e32 v26, 8, v22
	s_delay_alu instid0(VALU_DEP_3) | instskip(SKIP_1) | instid1(VALU_DEP_1)
	v_cmp_eq_u16_e32 vcc_lo, 0, v31
	v_sub_nc_u32_e32 v31, 0, v20
	v_cndmask_b32_e32 v20, v31, v20, vcc_lo
	s_delay_alu instid0(VALU_DEP_4) | instskip(SKIP_1) | instid1(VALU_DEP_1)
	v_cmp_eq_u16_e32 vcc_lo, 0, v26
	v_sub_nc_u32_e32 v26, 0, v24
	v_cndmask_b32_e32 v24, v26, v24, vcc_lo
	v_bfe_u32 v26, v21, 8, 8
	s_delay_alu instid0(VALU_DEP_2) | instskip(SKIP_3) | instid1(VALU_DEP_2)
	v_add3_u32 v20, v23, v20, v24
	v_bfe_i32 v23, v27, 0, 8
	v_and_b32_e32 v24, 0xff, v21
	v_bfe_u32 v21, v21, 16, 8
	v_mul_i32_i24_e32 v23, v24, v23
	v_and_b32_e32 v24, 16, v22
	s_delay_alu instid0(VALU_DEP_1) | instskip(NEXT) | instid1(VALU_DEP_3)
	v_cmp_eq_u16_e32 vcc_lo, 0, v24
	v_sub_nc_u32_e32 v24, 0, v23
	s_delay_alu instid0(VALU_DEP_1) | instskip(SKIP_1) | instid1(VALU_DEP_1)
	v_cndmask_b32_e32 v23, v24, v23, vcc_lo
	v_bfe_i32 v24, v27, 8, 8
	v_mul_i32_i24_e32 v24, v26, v24
	v_and_b32_e32 v26, 32, v22
	s_delay_alu instid0(VALU_DEP_1) | instskip(NEXT) | instid1(VALU_DEP_3)
	v_cmp_eq_u16_e32 vcc_lo, 0, v26
	v_sub_nc_u32_e32 v26, 0, v24
	s_delay_alu instid0(VALU_DEP_1) | instskip(SKIP_1) | instid1(VALU_DEP_2)
	v_cndmask_b32_e32 v24, v26, v24, vcc_lo
	v_cmp_gt_i16_e32 vcc_lo, 0, v10
	v_add3_u32 v20, v20, v23, v24
	v_bfe_i32 v23, v27, 16, 8
	s_delay_alu instid0(VALU_DEP_1) | instskip(NEXT) | instid1(VALU_DEP_1)
	v_mul_i32_i24_e32 v21, v21, v23
	v_sub_nc_u32_e32 v23, 0, v21
	s_delay_alu instid0(VALU_DEP_1) | instskip(SKIP_2) | instid1(VALU_DEP_2)
	v_cndmask_b32_e32 v21, v21, v23, vcc_lo
	v_ashrrev_i32_e32 v23, 24, v27
	v_cmp_gt_i16_e32 vcc_lo, 0, v22
	v_mul_i32_i24_e32 v23, v25, v23
	s_delay_alu instid0(VALU_DEP_1) | instskip(NEXT) | instid1(VALU_DEP_1)
	v_sub_nc_u32_e32 v24, 0, v23
	v_cndmask_b32_e32 v22, v23, v24, vcc_lo
	s_delay_alu instid0(VALU_DEP_1) | instskip(SKIP_2) | instid1(VALU_DEP_2)
	v_add3_u32 v20, v20, v21, v22
	v_dual_lshrrev_b32 v21, 13, v10 :: v_dual_lshrrev_b32 v10, 25, v10
	v_bfe_i32 v22, v28, 0, 8
	v_and_b32_e32 v21, 0xff8, v21
	global_load_i8 v10, v10, s[8:9]
	global_load_b64 v[26:27], v21, s[2:3]
	s_wait_loadcnt 0x0
	v_and_b32_e32 v21, 0xff, v26
	v_bfe_u32 v23, v26, 8, 8
	v_bfe_u32 v25, v26, 16, 8
	v_dual_lshrrev_b32 v24, 24, v26 :: v_dual_lshrrev_b32 v31, 24, v27
	s_delay_alu instid0(VALU_DEP_4) | instskip(SKIP_2) | instid1(VALU_DEP_2)
	v_mul_i32_i24_e32 v21, v21, v22
	v_and_b32_e32 v22, 1, v10
	v_and_b32_e32 v26, 0xff, v27
	v_cmp_eq_u16_e32 vcc_lo, 0, v22
	s_delay_alu instid0(VALU_DEP_4) | instskip(NEXT) | instid1(VALU_DEP_1)
	v_sub_nc_u32_e32 v22, 0, v21
	v_cndmask_b32_e32 v21, v22, v21, vcc_lo
	v_bfe_i32 v22, v28, 8, 8
	s_delay_alu instid0(VALU_DEP_1) | instskip(SKIP_1) | instid1(VALU_DEP_1)
	v_mul_i32_i24_e32 v22, v23, v22
	v_and_b32_e32 v23, 2, v10
	v_cmp_eq_u16_e32 vcc_lo, 0, v23
	s_delay_alu instid0(VALU_DEP_3) | instskip(NEXT) | instid1(VALU_DEP_1)
	v_sub_nc_u32_e32 v23, 0, v22
	v_cndmask_b32_e32 v22, v23, v22, vcc_lo
	v_bfe_i32 v23, v28, 16, 8
	s_delay_alu instid0(VALU_DEP_1) | instskip(SKIP_1) | instid1(VALU_DEP_1)
	v_mul_i32_i24_e32 v23, v25, v23
	v_and_b32_e32 v25, 4, v10
	v_cmp_eq_u16_e32 vcc_lo, 0, v25
	s_delay_alu instid0(VALU_DEP_3) | instskip(NEXT) | instid1(VALU_DEP_1)
	v_sub_nc_u32_e32 v25, 0, v23
	v_dual_cndmask_b32 v23, v25, v23, vcc_lo :: v_dual_ashrrev_i32 v25, 24, v28
	v_bfe_u32 v28, v27, 8, 8
	v_bfe_u32 v27, v27, 16, 8
	s_delay_alu instid0(VALU_DEP_3) | instskip(SKIP_1) | instid1(VALU_DEP_1)
	v_mul_i32_i24_e32 v24, v24, v25
	v_and_b32_e32 v25, 8, v10
	v_cmp_eq_u16_e32 vcc_lo, 0, v25
	s_delay_alu instid0(VALU_DEP_3) | instskip(NEXT) | instid1(VALU_DEP_1)
	v_sub_nc_u32_e32 v25, 0, v24
	v_cndmask_b32_e32 v24, v25, v24, vcc_lo
	v_bfe_i32 v25, v29, 0, 8
	s_delay_alu instid0(VALU_DEP_1) | instskip(SKIP_1) | instid1(VALU_DEP_1)
	v_mul_i32_i24_e32 v25, v26, v25
	v_and_b32_e32 v26, 16, v10
	v_cmp_eq_u16_e32 vcc_lo, 0, v26
	s_delay_alu instid0(VALU_DEP_3) | instskip(NEXT) | instid1(VALU_DEP_1)
	v_sub_nc_u32_e32 v26, 0, v25
	v_cndmask_b32_e32 v25, v26, v25, vcc_lo
	v_bfe_i32 v26, v29, 8, 8
	s_delay_alu instid0(VALU_DEP_1) | instskip(SKIP_1) | instid1(VALU_DEP_1)
	v_mul_i32_i24_e32 v26, v28, v26
	v_and_b32_e32 v28, 32, v10
	v_cmp_eq_u16_e32 vcc_lo, 0, v28
	s_delay_alu instid0(VALU_DEP_3) | instskip(NEXT) | instid1(VALU_DEP_1)
	v_sub_nc_u32_e32 v28, 0, v26
	v_cndmask_b32_e32 v26, v28, v26, vcc_lo
	v_bfe_i32 v28, v29, 16, 8
	v_cmp_gt_i16_e32 vcc_lo, 0, v30
	s_delay_alu instid0(VALU_DEP_2) | instskip(NEXT) | instid1(VALU_DEP_1)
	v_mul_i32_i24_e32 v27, v27, v28
	v_sub_nc_u32_e32 v28, 0, v27
	s_delay_alu instid0(VALU_DEP_1) | instskip(SKIP_2) | instid1(VALU_DEP_3)
	v_dual_cndmask_b32 v27, v27, v28 :: v_dual_ashrrev_i32 v28, 24, v29
	v_cmp_gt_i16_e32 vcc_lo, 0, v10
	v_and_b32_e32 v10, 0x1ff, v11
	v_mul_i32_i24_e32 v28, v31, v28
	s_delay_alu instid0(VALU_DEP_1) | instskip(NEXT) | instid1(VALU_DEP_1)
	v_sub_nc_u32_e32 v29, 0, v28
	v_cndmask_b32_e32 v34, v28, v29, vcc_lo
	global_load_i8 v35, v32, s[8:9]
	global_load_b128 v[28:31], v[6:7], off offset:20
	global_load_b64 v[32:33], v10, s[2:3] scale_offset
	global_load_u16 v8, v[8:9], off
	global_load_u16 v6, v[6:7], off
	s_wait_loadcnt 0x3
	v_bfe_i32 v36, v28, 0, 8
	s_wait_loadcnt 0x2
	v_and_b32_e32 v38, 0xff, v32
	v_bfe_u32 v39, v32, 8, 8
	v_lshrrev_b32_e32 v10, 24, v32
	v_bfe_u32 v32, v32, 16, 8
	v_lshrrev_b32_e32 v37, 24, v33
	v_mul_i32_i24_e32 v36, v38, v36
	v_and_b32_e32 v38, 1, v35
	s_wait_loadcnt 0x1
	s_wait_xcnt 0x1
	v_cvt_f32_f16_e32 v8, v8
	s_wait_loadcnt 0x0
	v_cvt_f32_f16_e32 v6, v6
	v_cmp_eq_u16_e32 vcc_lo, 0, v38
	s_delay_alu instid0(VALU_DEP_2) | instskip(NEXT) | instid1(VALU_DEP_1)
	v_dual_sub_nc_u32 v38, 0, v36 :: v_dual_mul_f32 v6, v8, v6
	v_cndmask_b32_e32 v36, v38, v36, vcc_lo
	v_bfe_i32 v38, v28, 8, 8
	s_delay_alu instid0(VALU_DEP_3) | instskip(NEXT) | instid1(VALU_DEP_2)
	v_mul_f32_e32 v6, 0x3e800000, v6
	v_mul_i32_i24_e32 v38, v39, v38
	v_and_b32_e32 v39, 2, v35
	s_delay_alu instid0(VALU_DEP_1) | instskip(NEXT) | instid1(VALU_DEP_3)
	v_cmp_eq_u16_e32 vcc_lo, 0, v39
	v_sub_nc_u32_e32 v39, 0, v38
	s_delay_alu instid0(VALU_DEP_1) | instskip(NEXT) | instid1(VALU_DEP_1)
	v_cndmask_b32_e32 v38, v39, v38, vcc_lo
	v_add_nc_u32_e32 v36, v38, v36
	v_bfe_i32 v38, v28, 16, 8
	v_ashrrev_i32_e32 v28, 24, v28
	s_delay_alu instid0(VALU_DEP_2) | instskip(SKIP_1) | instid1(VALU_DEP_3)
	v_mul_i32_i24_e32 v32, v32, v38
	v_and_b32_e32 v38, 4, v35
	v_mul_i32_i24_e32 v10, v10, v28
	v_and_b32_e32 v28, 8, v35
	s_delay_alu instid0(VALU_DEP_3) | instskip(SKIP_1) | instid1(VALU_DEP_1)
	v_cmp_eq_u16_e32 vcc_lo, 0, v38
	v_sub_nc_u32_e32 v38, 0, v32
	v_cndmask_b32_e32 v32, v38, v32, vcc_lo
	s_delay_alu instid0(VALU_DEP_4) | instskip(SKIP_1) | instid1(VALU_DEP_1)
	v_cmp_eq_u16_e32 vcc_lo, 0, v28
	v_sub_nc_u32_e32 v28, 0, v10
	v_cndmask_b32_e32 v10, v28, v10, vcc_lo
	v_bfe_i32 v28, v29, 0, 8
	s_delay_alu instid0(VALU_DEP_2) | instskip(SKIP_2) | instid1(VALU_DEP_2)
	v_add3_u32 v10, v36, v32, v10
	v_and_b32_e32 v32, 0xff, v33
	v_bfe_u32 v36, v33, 8, 8
	v_mul_i32_i24_e32 v28, v32, v28
	v_and_b32_e32 v32, 16, v35
	s_delay_alu instid0(VALU_DEP_1) | instskip(NEXT) | instid1(VALU_DEP_3)
	v_cmp_eq_u16_e32 vcc_lo, 0, v32
	v_sub_nc_u32_e32 v32, 0, v28
	s_delay_alu instid0(VALU_DEP_1) | instskip(SKIP_1) | instid1(VALU_DEP_1)
	v_cndmask_b32_e32 v28, v32, v28, vcc_lo
	v_bfe_i32 v32, v29, 8, 8
	v_mul_i32_i24_e32 v32, v36, v32
	v_and_b32_e32 v36, 32, v35
	s_delay_alu instid0(VALU_DEP_1) | instskip(NEXT) | instid1(VALU_DEP_3)
	v_cmp_eq_u16_e32 vcc_lo, 0, v36
	v_sub_nc_u32_e32 v36, 0, v32
	s_delay_alu instid0(VALU_DEP_1) | instskip(SKIP_1) | instid1(VALU_DEP_2)
	v_cndmask_b32_e32 v32, v36, v32, vcc_lo
	v_cmp_gt_i16_e32 vcc_lo, 0, v11
	v_add3_u32 v10, v10, v28, v32
	v_bfe_i32 v28, v29, 16, 8
	v_bfe_u32 v32, v33, 16, 8
	v_ashrrev_i32_e32 v29, 24, v29
	s_delay_alu instid0(VALU_DEP_2) | instskip(NEXT) | instid1(VALU_DEP_2)
	v_mul_i32_i24_e32 v28, v32, v28
	v_mul_i32_i24_e32 v29, v37, v29
	s_delay_alu instid0(VALU_DEP_2) | instskip(NEXT) | instid1(VALU_DEP_1)
	v_sub_nc_u32_e32 v32, 0, v28
	v_dual_cndmask_b32 v28, v28, v32, vcc_lo :: v_dual_sub_nc_u32 v32, 0, v29
	v_cmp_gt_i16_e32 vcc_lo, 0, v35
	s_delay_alu instid0(VALU_DEP_2) | instskip(SKIP_1) | instid1(VALU_DEP_2)
	v_cndmask_b32_e32 v29, v29, v32, vcc_lo
	v_bfe_i32 v32, v30, 0, 8
	v_add3_u32 v28, v10, v28, v29
	v_dual_lshrrev_b32 v10, 13, v11 :: v_dual_lshrrev_b32 v11, 25, v11
	s_delay_alu instid0(VALU_DEP_1)
	v_and_b32_e32 v10, 0xff8, v10
	global_load_i8 v29, v11, s[8:9]
	global_load_b64 v[10:11], v10, s[2:3]
	s_wait_loadcnt 0x0
	v_and_b32_e32 v36, 0xff, v10
	v_lshrrev_b32_e32 v35, 24, v11
	v_bfe_u32 v37, v10, 8, 8
	v_lshrrev_b32_e32 v33, 24, v10
	v_bfe_u32 v10, v10, 16, 8
	v_mul_i32_i24_e32 v32, v36, v32
	v_and_b32_e32 v36, 1, v29
	s_delay_alu instid0(VALU_DEP_1) | instskip(NEXT) | instid1(VALU_DEP_3)
	v_cmp_eq_u16_e32 vcc_lo, 0, v36
	v_sub_nc_u32_e32 v36, 0, v32
	s_delay_alu instid0(VALU_DEP_1) | instskip(SKIP_1) | instid1(VALU_DEP_1)
	v_cndmask_b32_e32 v32, v36, v32, vcc_lo
	v_bfe_i32 v36, v30, 8, 8
	v_mul_i32_i24_e32 v36, v37, v36
	v_and_b32_e32 v37, 2, v29
	s_delay_alu instid0(VALU_DEP_1) | instskip(NEXT) | instid1(VALU_DEP_3)
	v_cmp_eq_u16_e32 vcc_lo, 0, v37
	v_sub_nc_u32_e32 v37, 0, v36
	s_delay_alu instid0(VALU_DEP_1) | instskip(NEXT) | instid1(VALU_DEP_1)
	v_cndmask_b32_e32 v36, v37, v36, vcc_lo
	v_add3_u32 v28, v28, v32, v36
	v_bfe_i32 v32, v30, 16, 8
	v_ashrrev_i32_e32 v30, 24, v30
	s_delay_alu instid0(VALU_DEP_2) | instskip(SKIP_1) | instid1(VALU_DEP_3)
	v_mul_i32_i24_e32 v10, v10, v32
	v_and_b32_e32 v32, 4, v29
	v_mul_i32_i24_e32 v30, v33, v30
	s_delay_alu instid0(VALU_DEP_2) | instskip(NEXT) | instid1(VALU_DEP_4)
	v_cmp_eq_u16_e32 vcc_lo, 0, v32
	v_sub_nc_u32_e32 v32, 0, v10
	s_delay_alu instid0(VALU_DEP_1) | instskip(NEXT) | instid1(VALU_DEP_1)
	v_dual_cndmask_b32 v10, v32, v10, vcc_lo :: v_dual_bitop2_b32 v32, 8, v29 bitop3:0x40
	v_cmp_eq_u16_e32 vcc_lo, 0, v32
	v_sub_nc_u32_e32 v32, 0, v30
	s_delay_alu instid0(VALU_DEP_1) | instskip(SKIP_1) | instid1(VALU_DEP_2)
	v_cndmask_b32_e32 v30, v32, v30, vcc_lo
	v_bfe_u32 v32, v11, 8, 8
	v_add3_u32 v10, v28, v10, v30
	v_bfe_i32 v28, v31, 0, 8
	v_and_b32_e32 v30, 0xff, v11
	v_bfe_u32 v11, v11, 16, 8
	s_delay_alu instid0(VALU_DEP_2) | instskip(SKIP_1) | instid1(VALU_DEP_1)
	v_mul_i32_i24_e32 v28, v30, v28
	v_and_b32_e32 v30, 16, v29
	v_cmp_eq_u16_e32 vcc_lo, 0, v30
	s_delay_alu instid0(VALU_DEP_3) | instskip(NEXT) | instid1(VALU_DEP_1)
	v_sub_nc_u32_e32 v30, 0, v28
	v_cndmask_b32_e32 v28, v30, v28, vcc_lo
	v_bfe_i32 v30, v31, 8, 8
	s_delay_alu instid0(VALU_DEP_1) | instskip(SKIP_1) | instid1(VALU_DEP_1)
	v_mul_i32_i24_e32 v30, v32, v30
	v_and_b32_e32 v32, 32, v29
	v_cmp_eq_u16_e32 vcc_lo, 0, v32
	s_delay_alu instid0(VALU_DEP_3) | instskip(NEXT) | instid1(VALU_DEP_1)
	v_sub_nc_u32_e32 v32, 0, v30
	v_cndmask_b32_e32 v30, v32, v30, vcc_lo
	v_cmp_gt_i16_e32 vcc_lo, 0, v19
	v_ashrrev_i32_e32 v19, 24, v31
	s_delay_alu instid0(VALU_DEP_3) | instskip(SKIP_1) | instid1(VALU_DEP_3)
	v_add3_u32 v10, v10, v28, v30
	v_bfe_i32 v28, v31, 16, 8
	v_mul_i32_i24_e32 v19, v35, v19
	s_delay_alu instid0(VALU_DEP_2) | instskip(NEXT) | instid1(VALU_DEP_1)
	v_mul_i32_i24_e32 v11, v11, v28
	v_sub_nc_u32_e32 v28, 0, v11
	s_delay_alu instid0(VALU_DEP_1) | instskip(SKIP_1) | instid1(VALU_DEP_2)
	v_dual_cndmask_b32 v11, v11, v28 :: v_dual_sub_nc_u32 v28, 0, v19
	v_cmp_gt_i16_e32 vcc_lo, 0, v29
	v_cndmask_b32_e32 v19, v19, v28, vcc_lo
	v_cmp_le_u32_e32 vcc_lo, s12, v14
	s_delay_alu instid0(VALU_DEP_2) | instskip(SKIP_2) | instid1(VALU_DEP_2)
	v_add3_u32 v10, v10, v11, v19
	v_add3_u32 v11, v20, v21, v22
	s_or_b32 s4, vcc_lo, s4
	v_cvt_f32_i32_e32 v10, v10
	s_delay_alu instid0(VALU_DEP_2) | instskip(NEXT) | instid1(VALU_DEP_1)
	v_add3_u32 v11, v11, v23, v24
	v_add3_u32 v11, v11, v25, v26
	s_delay_alu instid0(VALU_DEP_1) | instskip(SKIP_2) | instid1(VALU_DEP_3)
	v_add3_u32 v19, v11, v27, v34
	v_lshrrev_b16 v11, 4, v18
	v_and_b32_e32 v18, 15, v18
	v_cvt_f32_i32_e32 v8, v19
	s_delay_alu instid0(VALU_DEP_3) | instskip(NEXT) | instid1(VALU_DEP_3)
	v_cvt_f32_ubyte0_e32 v9, v11
	v_cvt_f32_ubyte0_e32 v7, v18
	s_delay_alu instid0(VALU_DEP_1) | instskip(NEXT) | instid1(VALU_DEP_1)
	v_dual_add_f32 v9, 0.5, v9 :: v_dual_add_f32 v7, 0.5, v7
	v_mul_f32_e32 v9, v9, v10
	s_delay_alu instid0(VALU_DEP_1) | instskip(NEXT) | instid1(VALU_DEP_1)
	v_fmac_f32_e32 v9, v7, v8
	v_fmac_f32_e32 v15, v6, v9
	s_and_not1_b32 exec_lo, exec_lo, s4
	s_cbranch_execnz .LBB69_3
; %bb.4:
	s_or_b32 exec_lo, exec_lo, s4
.LBB69_5:
	s_delay_alu instid0(SALU_CYCLE_1) | instskip(SKIP_1) | instid1(VALU_DEP_1)
	s_or_b32 exec_lo, exec_lo, s11
	v_mbcnt_lo_u32_b32 v0, -1, 0
	v_xor_b32_e32 v2, 8, v0
	v_xor_b32_e32 v1, 16, v0
	;; [unrolled: 1-line block ×3, first 2 shown]
	s_delay_alu instid0(VALU_DEP_2) | instskip(SKIP_4) | instid1(VALU_DEP_2)
	v_cmp_gt_i32_e32 vcc_lo, 32, v1
	v_cndmask_b32_e32 v1, v0, v1, vcc_lo
	v_cmp_gt_i32_e32 vcc_lo, 32, v2
	v_cndmask_b32_e32 v2, v0, v2, vcc_lo
	v_cmp_gt_i32_e32 vcc_lo, 32, v3
	v_dual_lshlrev_b32 v2, 2, v2 :: v_dual_lshlrev_b32 v1, 2, v1
	ds_bpermute_b32 v1, v1, v15
	s_wait_dscnt 0x0
	v_add_f32_e32 v1, v15, v1
	ds_bpermute_b32 v2, v2, v1
	s_wait_dscnt 0x0
	v_dual_cndmask_b32 v3, v0, v3, vcc_lo :: v_dual_add_f32 v1, v1, v2
	s_delay_alu instid0(VALU_DEP_1) | instskip(SKIP_3) | instid1(VALU_DEP_1)
	v_lshlrev_b32_e32 v3, 2, v3
	ds_bpermute_b32 v2, v3, v1
	s_wait_dscnt 0x0
	v_dual_add_f32 v1, v1, v2 :: v_dual_bitop2_b32 v3, 2, v0 bitop3:0x14
	v_cmp_gt_i32_e32 vcc_lo, 32, v3
	v_cndmask_b32_e32 v3, v0, v3, vcc_lo
	s_delay_alu instid0(VALU_DEP_1) | instskip(SKIP_2) | instid1(VALU_DEP_1)
	v_lshlrev_b32_e32 v3, 2, v3
	ds_bpermute_b32 v2, v3, v1
	v_xor_b32_e32 v3, 1, v0
	v_cmp_gt_i32_e32 vcc_lo, 32, v3
	v_cndmask_b32_e32 v3, v0, v3, vcc_lo
	v_cmp_eq_u32_e32 vcc_lo, 0, v13
	s_wait_dscnt 0x0
	s_delay_alu instid0(VALU_DEP_2)
	v_dual_add_f32 v0, v1, v2 :: v_dual_lshlrev_b32 v1, 2, v3
	ds_bpermute_b32 v1, v1, v0
	s_and_b32 exec_lo, exec_lo, vcc_lo
	s_cbranch_execz .LBB69_7
; %bb.6:
	v_mad_u32 v2, s5, s10, v12
	s_wait_dscnt 0x0
	v_add_f32_e32 v0, v0, v1
	s_wait_kmcnt 0x0
	global_store_b32 v2, v0, s[6:7] scale_offset
.LBB69_7:
	s_endpgm
	.section	.rodata,"a",@progbits
	.p2align	6, 0x0
	.amdhsa_kernel _ZL13mul_mat_vec_qIfLi256ELi8E12block_iq2_xsLi1EXadL_ZL19vec_dot_iq2_xs_q8_1PKvPK10block_q8_1RKiEEEvS2_S2_PT_iii
		.amdhsa_group_segment_fixed_size 0
		.amdhsa_private_segment_fixed_size 0
		.amdhsa_kernarg_size 296
		.amdhsa_user_sgpr_count 2
		.amdhsa_user_sgpr_dispatch_ptr 0
		.amdhsa_user_sgpr_queue_ptr 0
		.amdhsa_user_sgpr_kernarg_segment_ptr 1
		.amdhsa_user_sgpr_dispatch_id 0
		.amdhsa_user_sgpr_kernarg_preload_length 0
		.amdhsa_user_sgpr_kernarg_preload_offset 0
		.amdhsa_user_sgpr_private_segment_size 0
		.amdhsa_wavefront_size32 1
		.amdhsa_uses_dynamic_stack 0
		.amdhsa_enable_private_segment 0
		.amdhsa_system_sgpr_workgroup_id_x 1
		.amdhsa_system_sgpr_workgroup_id_y 1
		.amdhsa_system_sgpr_workgroup_id_z 0
		.amdhsa_system_sgpr_workgroup_info 0
		.amdhsa_system_vgpr_workitem_id 1
		.amdhsa_next_free_vgpr 40
		.amdhsa_next_free_sgpr 13
		.amdhsa_named_barrier_count 0
		.amdhsa_reserve_vcc 1
		.amdhsa_float_round_mode_32 0
		.amdhsa_float_round_mode_16_64 0
		.amdhsa_float_denorm_mode_32 3
		.amdhsa_float_denorm_mode_16_64 3
		.amdhsa_fp16_overflow 0
		.amdhsa_memory_ordered 1
		.amdhsa_forward_progress 1
		.amdhsa_inst_pref_size 20
		.amdhsa_round_robin_scheduling 0
		.amdhsa_exception_fp_ieee_invalid_op 0
		.amdhsa_exception_fp_denorm_src 0
		.amdhsa_exception_fp_ieee_div_zero 0
		.amdhsa_exception_fp_ieee_overflow 0
		.amdhsa_exception_fp_ieee_underflow 0
		.amdhsa_exception_fp_ieee_inexact 0
		.amdhsa_exception_int_div_zero 0
	.end_amdhsa_kernel
	.section	.text._ZL13mul_mat_vec_qIfLi256ELi8E12block_iq2_xsLi1EXadL_ZL19vec_dot_iq2_xs_q8_1PKvPK10block_q8_1RKiEEEvS2_S2_PT_iii,"axG",@progbits,_ZL13mul_mat_vec_qIfLi256ELi8E12block_iq2_xsLi1EXadL_ZL19vec_dot_iq2_xs_q8_1PKvPK10block_q8_1RKiEEEvS2_S2_PT_iii,comdat
.Lfunc_end69:
	.size	_ZL13mul_mat_vec_qIfLi256ELi8E12block_iq2_xsLi1EXadL_ZL19vec_dot_iq2_xs_q8_1PKvPK10block_q8_1RKiEEEvS2_S2_PT_iii, .Lfunc_end69-_ZL13mul_mat_vec_qIfLi256ELi8E12block_iq2_xsLi1EXadL_ZL19vec_dot_iq2_xs_q8_1PKvPK10block_q8_1RKiEEEvS2_S2_PT_iii
                                        ; -- End function
	.set _ZL13mul_mat_vec_qIfLi256ELi8E12block_iq2_xsLi1EXadL_ZL19vec_dot_iq2_xs_q8_1PKvPK10block_q8_1RKiEEEvS2_S2_PT_iii.num_vgpr, 40
	.set _ZL13mul_mat_vec_qIfLi256ELi8E12block_iq2_xsLi1EXadL_ZL19vec_dot_iq2_xs_q8_1PKvPK10block_q8_1RKiEEEvS2_S2_PT_iii.num_agpr, 0
	.set _ZL13mul_mat_vec_qIfLi256ELi8E12block_iq2_xsLi1EXadL_ZL19vec_dot_iq2_xs_q8_1PKvPK10block_q8_1RKiEEEvS2_S2_PT_iii.numbered_sgpr, 13
	.set _ZL13mul_mat_vec_qIfLi256ELi8E12block_iq2_xsLi1EXadL_ZL19vec_dot_iq2_xs_q8_1PKvPK10block_q8_1RKiEEEvS2_S2_PT_iii.num_named_barrier, 0
	.set _ZL13mul_mat_vec_qIfLi256ELi8E12block_iq2_xsLi1EXadL_ZL19vec_dot_iq2_xs_q8_1PKvPK10block_q8_1RKiEEEvS2_S2_PT_iii.private_seg_size, 0
	.set _ZL13mul_mat_vec_qIfLi256ELi8E12block_iq2_xsLi1EXadL_ZL19vec_dot_iq2_xs_q8_1PKvPK10block_q8_1RKiEEEvS2_S2_PT_iii.uses_vcc, 1
	.set _ZL13mul_mat_vec_qIfLi256ELi8E12block_iq2_xsLi1EXadL_ZL19vec_dot_iq2_xs_q8_1PKvPK10block_q8_1RKiEEEvS2_S2_PT_iii.uses_flat_scratch, 0
	.set _ZL13mul_mat_vec_qIfLi256ELi8E12block_iq2_xsLi1EXadL_ZL19vec_dot_iq2_xs_q8_1PKvPK10block_q8_1RKiEEEvS2_S2_PT_iii.has_dyn_sized_stack, 0
	.set _ZL13mul_mat_vec_qIfLi256ELi8E12block_iq2_xsLi1EXadL_ZL19vec_dot_iq2_xs_q8_1PKvPK10block_q8_1RKiEEEvS2_S2_PT_iii.has_recursion, 0
	.set _ZL13mul_mat_vec_qIfLi256ELi8E12block_iq2_xsLi1EXadL_ZL19vec_dot_iq2_xs_q8_1PKvPK10block_q8_1RKiEEEvS2_S2_PT_iii.has_indirect_call, 0
	.section	.AMDGPU.csdata,"",@progbits
; Kernel info:
; codeLenInByte = 2488
; TotalNumSgprs: 15
; NumVgprs: 40
; ScratchSize: 0
; MemoryBound: 0
; FloatMode: 240
; IeeeMode: 1
; LDSByteSize: 0 bytes/workgroup (compile time only)
; SGPRBlocks: 0
; VGPRBlocks: 2
; NumSGPRsForWavesPerEU: 15
; NumVGPRsForWavesPerEU: 40
; NamedBarCnt: 0
; Occupancy: 16
; WaveLimiterHint : 0
; COMPUTE_PGM_RSRC2:SCRATCH_EN: 0
; COMPUTE_PGM_RSRC2:USER_SGPR: 2
; COMPUTE_PGM_RSRC2:TRAP_HANDLER: 0
; COMPUTE_PGM_RSRC2:TGID_X_EN: 1
; COMPUTE_PGM_RSRC2:TGID_Y_EN: 1
; COMPUTE_PGM_RSRC2:TGID_Z_EN: 0
; COMPUTE_PGM_RSRC2:TIDIG_COMP_CNT: 1
	.section	.text._ZL13mul_mat_vec_qIfLi256ELi8E13block_iq3_xxsLi1EXadL_ZL20vec_dot_iq3_xxs_q8_1PKvPK10block_q8_1RKiEEEvS2_S2_PT_iii,"axG",@progbits,_ZL13mul_mat_vec_qIfLi256ELi8E13block_iq3_xxsLi1EXadL_ZL20vec_dot_iq3_xxs_q8_1PKvPK10block_q8_1RKiEEEvS2_S2_PT_iii,comdat
	.globl	_ZL13mul_mat_vec_qIfLi256ELi8E13block_iq3_xxsLi1EXadL_ZL20vec_dot_iq3_xxs_q8_1PKvPK10block_q8_1RKiEEEvS2_S2_PT_iii ; -- Begin function _ZL13mul_mat_vec_qIfLi256ELi8E13block_iq3_xxsLi1EXadL_ZL20vec_dot_iq3_xxs_q8_1PKvPK10block_q8_1RKiEEEvS2_S2_PT_iii
	.p2align	8
	.type	_ZL13mul_mat_vec_qIfLi256ELi8E13block_iq3_xxsLi1EXadL_ZL20vec_dot_iq3_xxs_q8_1PKvPK10block_q8_1RKiEEEvS2_S2_PT_iii,@function
_ZL13mul_mat_vec_qIfLi256ELi8E13block_iq3_xxsLi1EXadL_ZL20vec_dot_iq3_xxs_q8_1PKvPK10block_q8_1RKiEEEvS2_S2_PT_iii: ; @_ZL13mul_mat_vec_qIfLi256ELi8E13block_iq3_xxsLi1EXadL_ZL20vec_dot_iq3_xxs_q8_1PKvPK10block_q8_1RKiEEEvS2_S2_PT_iii
; %bb.0:
	s_clause 0x1
	s_load_u16 s2, s[0:1], 0x36
	s_load_b96 s[4:6], s[0:1], 0x18
	s_bfe_u32 s7, ttmp6, 0x4000c
	s_bfe_u32 s8, ttmp6, 0x40010
	s_add_co_i32 s7, s7, 1
	s_add_co_i32 s8, s8, 1
	s_and_b32 s3, ttmp6, 15
	s_mul_i32 s7, ttmp9, s7
	s_mul_i32 s8, ttmp7, s8
	s_bfe_u32 s9, ttmp6, 0x40004
	s_add_co_i32 s3, s3, s7
	s_getreg_b32 s7, hwreg(HW_REG_IB_STS2, 6, 4)
	s_add_co_i32 s9, s9, s8
	v_bfe_u32 v1, v0, 10, 10
	s_cmp_eq_u32 s7, 0
	s_cselect_b32 s3, ttmp9, s3
	s_cselect_b32 s12, ttmp7, s9
	s_wait_kmcnt 0x0
	v_mad_u32 v14, s3, s2, v1
	s_cmp_lt_u32 s12, s6
	s_cselect_b32 s2, -1, 0
	s_delay_alu instid0(VALU_DEP_1) | instskip(SKIP_1) | instid1(SALU_CYCLE_1)
	v_cmp_gt_u32_e32 vcc_lo, s5, v14
	s_and_b32 s2, s2, vcc_lo
	s_and_saveexec_b32 s3, s2
	s_cbranch_execz .LBB70_9
; %bb.1:
	s_load_b64 s[6:7], s[0:1], 0x10
	s_ashr_i32 s2, s4, 31
	v_bfe_u32 v16, v0, 3, 7
	s_lshr_b32 s2, s2, 24
	v_and_b32_e32 v15, 0x3ff, v0
	v_mov_b32_e32 v18, 0
	s_add_co_i32 s2, s4, s2
	s_mov_b32 s13, exec_lo
	s_ashr_i32 s14, s2, 8
	s_delay_alu instid0(SALU_CYCLE_1)
	v_cmpx_gt_u32_e64 s14, v16
	s_cbranch_execz .LBB70_7
; %bb.2:
	s_wait_xcnt 0x0
	s_load_b128 s[0:3], s[0:1], 0x0
	v_dual_mov_b32 v1, 0 :: v_dual_bitop2_b32 v4, 7, v15 bitop3:0x40
	s_addk_co_i32 s4, 0x1ff
	v_mul_lo_u32 v17, v14, s14
	s_ashr_i32 s8, s4, 31
	s_delay_alu instid0(VALU_DEP_2)
	v_lshlrev_b32_e32 v0, 3, v4
	s_lshr_b32 s8, s8, 23
	v_mov_b32_e32 v18, v1
	s_add_co_i32 s4, s4, s8
	s_mov_b32 s15, 0
	s_get_pc_i64 s[8:9]
	s_add_nc_u64 s[8:9], s[8:9], _ZL8ksigns64@rel64+4
	s_wait_kmcnt 0x0
	v_mad_nc_u64_u32 v[2:3], v4, 36, s[2:3]
	v_lshlrev_b32_e32 v4, 1, v4
	v_add_nc_u64_e32 v[6:7], s[0:1], v[0:1]
	s_ashr_i32 s2, s4, 9
	v_add_nc_u32_e32 v19, v16, v17
	s_mul_i32 s2, s12, s2
	v_lshlrev_b32_e32 v0, 1, v4
	s_lshl_b32 s4, s2, 4
	s_get_pc_i64 s[2:3]
	s_add_nc_u64 s[2:3], s[2:3], _ZL11iq3xxs_grid@rel64+4
	v_add_nc_u64_e32 v[4:5], 2, v[6:7]
	v_lshl_add_u32 v20, v16, 3, s4
	v_add_nc_u64_e32 v[6:7], 4, v[2:3]
.LBB70_3:                               ; =>This Loop Header: Depth=1
                                        ;     Child Loop BB70_4 Depth 2
	v_dual_mov_b32 v21, 0 :: v_dual_add_nc_u32 v8, v16, v17
	s_delay_alu instid0(VALU_DEP_4) | instskip(SKIP_1) | instid1(VALU_DEP_2)
	v_mad_nc_i64_i32 v[12:13], 0x62, v19, v[4:5]
	s_mov_b64 s[10:11], 0
	v_mad_nc_i64_i32 v[8:9], 0x62, v8, s[0:1]
	s_delay_alu instid0(VALU_DEP_1)
	v_add_nc_u64_e32 v[10:11], v[8:9], v[0:1]
	global_load_b32 v22, v[10:11], off offset:66
	s_wait_xcnt 0x0
	v_mad_nc_i64_i32 v[10:11], v20, 36, v[6:7]
.LBB70_4:                               ;   Parent Loop BB70_3 Depth=1
                                        ; =>  This Inner Loop Header: Depth=2
	global_load_u16 v23, v[12:13], off
	s_wait_loadcnt 0x1
	v_and_b32_e32 v26, 0x7f, v22
	v_add_nc_u64_e32 v[24:25], s[10:11], v[10:11]
	s_wait_xcnt 0x0
	v_add_nc_u64_e32 v[12:13], 2, v[12:13]
	v_lshrrev_b32_e32 v22, 7, v22
	s_add_nc_u64 s[10:11], s[10:11], 8
	global_load_b64 v[26:27], v26, s[8:9] scale_offset
	s_cmp_lg_u32 s10, 32
	s_wait_loadcnt 0x1
	v_lshrrev_b16 v28, 8, v23
	v_and_b32_e32 v23, 0xff, v23
	s_delay_alu instid0(VALU_DEP_2)
	v_and_b32_e32 v30, 0xffff, v28
	s_wait_loadcnt 0x0
	v_and_b32_e32 v33, 0xff0000, v27
	v_and_b32_e32 v34, 0xff00, v27
	s_clause 0x1
	global_load_b32 v31, v23, s[2:3] scale_offset
	global_load_b32 v32, v30, s[2:3] scale_offset
	global_load_b64 v[28:29], v[24:25], off
	s_wait_xcnt 0x0
	v_and_b32_e32 v24, 0xff0000, v26
	v_and_b32_e32 v23, 0xff000000, v26
	;; [unrolled: 1-line block ×4, first 2 shown]
	s_wait_loadcnt 0x1
	v_xor_b32_e32 v32, v27, v32
	v_xor_b32_e32 v31, v26, v31
	s_wait_loadcnt 0x0
	v_lshrrev_b16 v35, 8, v28
	v_lshrrev_b16 v36, 8, v29
	v_dual_ashrrev_i32 v37, 24, v28 :: v_dual_ashrrev_i32 v39, 24, v29
	v_dual_sub_nc_u32 v24, v31, v24 :: v_dual_sub_nc_u32 v26, v31, v26
	v_bfe_i32 v38, v28, 16, 8
	v_bfe_i32 v28, v28, 0, 8
	;; [unrolled: 1-line block ×4, first 2 shown]
	v_perm_b32 v24, v24, v26, 0xc060c00
	v_dual_sub_nc_u32 v26, v32, v33 :: v_dual_sub_nc_u32 v23, v31, v23
	v_sub_nc_u32_e32 v25, v31, v25
	v_bfe_i32 v35, v35, 0, 8
	v_bfe_i32 v36, v36, 0, 8
	s_delay_alu instid0(VALU_DEP_4) | instskip(SKIP_3) | instid1(VALU_DEP_3)
	v_ashrrev_i32_e32 v23, 24, v23
	v_dual_sub_nc_u32 v27, v32, v27 :: v_dual_sub_nc_u32 v31, v32, v34
	v_sub_nc_u32_e32 v30, v32, v30
	v_lshrrev_b16 v25, 8, v25
	v_perm_b32 v26, v26, v27, 0xc060c00
	s_delay_alu instid0(VALU_DEP_4)
	v_lshrrev_b16 v27, 8, v31
	v_bfe_i32 v31, v24, 0, 8
	v_ashrrev_i32_e32 v30, 24, v30
	v_bfe_i32 v24, v24, 16, 8
	v_bfe_i32 v32, v26, 16, 8
	;; [unrolled: 1-line block ×3, first 2 shown]
	v_mul_i32_i24_e32 v28, v31, v28
	v_bfe_i32 v26, v26, 0, 8
	v_bfe_i32 v27, v27, 0, 8
	v_mul_i32_i24_e32 v30, v30, v39
	v_mul_i32_i24_e32 v31, v32, v40
	;; [unrolled: 1-line block ×5, first 2 shown]
	v_mad_i32_i24 v23, v23, v37, v30
	v_mad_i32_i24 v24, v24, v38, v31
	s_delay_alu instid0(VALU_DEP_2) | instskip(NEXT) | instid1(VALU_DEP_2)
	v_add3_u32 v23, v25, v27, v23
	v_add3_u32 v24, v28, v26, v24
	s_delay_alu instid0(VALU_DEP_1)
	v_add3_u32 v21, v24, v23, v21
	s_cbranch_scc1 .LBB70_4
; %bb.5:                                ;   in Loop: Header=BB70_3 Depth=1
	v_lshl_add_u32 v10, v16, 3, s4
	v_dual_add_nc_u32 v19, 4, v19 :: v_dual_add_nc_u32 v16, 4, v16
	v_add_nc_u32_e32 v20, 32, v20
	s_delay_alu instid0(VALU_DEP_3)
	v_mad_nc_i64_i32 v[10:11], v10, 36, v[2:3]
	global_load_u16 v12, v[8:9], off
	global_load_b32 v13, v[10:11], off
	s_wait_xcnt 0x1
	v_cvt_f32_u32_e32 v8, v22
	v_cmp_le_u32_e32 vcc_lo, s14, v16
	s_delay_alu instid0(VALU_DEP_2) | instskip(SKIP_3) | instid1(VALU_DEP_1)
	v_add_f32_e32 v8, 0.5, v8
	s_or_b32 s15, vcc_lo, s15
	s_wait_loadcnt 0x1
	v_cvt_f32_f16_e32 v9, v12
	v_mul_f32_e32 v8, v8, v9
	s_wait_loadcnt 0x0
	v_cvt_f32_f16_e32 v9, v13
	s_delay_alu instid0(VALU_DEP_1) | instskip(SKIP_1) | instid1(VALU_DEP_2)
	v_mul_f32_e32 v8, v8, v9
	v_cvt_f32_i32_e32 v9, v21
	v_mul_f32_e32 v8, 0.5, v8
	s_delay_alu instid0(VALU_DEP_1)
	v_fmac_f32_e32 v18, v8, v9
	s_and_not1_b32 exec_lo, exec_lo, s15
	s_cbranch_execnz .LBB70_3
; %bb.6:
	s_or_b32 exec_lo, exec_lo, s15
.LBB70_7:
	s_delay_alu instid0(SALU_CYCLE_1) | instskip(SKIP_1) | instid1(VALU_DEP_1)
	s_or_b32 exec_lo, exec_lo, s13
	v_mbcnt_lo_u32_b32 v0, -1, 0
	v_xor_b32_e32 v2, 8, v0
	v_xor_b32_e32 v1, 16, v0
	;; [unrolled: 1-line block ×3, first 2 shown]
	s_delay_alu instid0(VALU_DEP_2) | instskip(SKIP_4) | instid1(VALU_DEP_2)
	v_cmp_gt_i32_e32 vcc_lo, 32, v1
	v_cndmask_b32_e32 v1, v0, v1, vcc_lo
	v_cmp_gt_i32_e32 vcc_lo, 32, v2
	v_cndmask_b32_e32 v2, v0, v2, vcc_lo
	v_cmp_gt_i32_e32 vcc_lo, 32, v3
	v_dual_lshlrev_b32 v2, 2, v2 :: v_dual_lshlrev_b32 v1, 2, v1
	ds_bpermute_b32 v1, v1, v18
	s_wait_dscnt 0x0
	v_add_f32_e32 v1, v18, v1
	ds_bpermute_b32 v2, v2, v1
	s_wait_dscnt 0x0
	v_dual_cndmask_b32 v3, v0, v3, vcc_lo :: v_dual_add_f32 v1, v1, v2
	s_delay_alu instid0(VALU_DEP_1) | instskip(SKIP_3) | instid1(VALU_DEP_1)
	v_lshlrev_b32_e32 v3, 2, v3
	ds_bpermute_b32 v2, v3, v1
	s_wait_dscnt 0x0
	v_dual_add_f32 v1, v1, v2 :: v_dual_bitop2_b32 v3, 2, v0 bitop3:0x14
	v_cmp_gt_i32_e32 vcc_lo, 32, v3
	v_cndmask_b32_e32 v3, v0, v3, vcc_lo
	s_delay_alu instid0(VALU_DEP_1) | instskip(SKIP_2) | instid1(VALU_DEP_1)
	v_lshlrev_b32_e32 v3, 2, v3
	ds_bpermute_b32 v2, v3, v1
	v_xor_b32_e32 v3, 1, v0
	v_cmp_gt_i32_e32 vcc_lo, 32, v3
	v_cndmask_b32_e32 v3, v0, v3, vcc_lo
	v_cmp_eq_u32_e32 vcc_lo, 0, v15
	s_wait_dscnt 0x0
	s_delay_alu instid0(VALU_DEP_2)
	v_dual_add_f32 v0, v1, v2 :: v_dual_lshlrev_b32 v1, 2, v3
	ds_bpermute_b32 v1, v1, v0
	s_and_b32 exec_lo, exec_lo, vcc_lo
	s_cbranch_execz .LBB70_9
; %bb.8:
	v_mad_u32 v2, s5, s12, v14
	s_wait_dscnt 0x0
	v_add_f32_e32 v0, v0, v1
	s_wait_kmcnt 0x0
	global_store_b32 v2, v0, s[6:7] scale_offset
.LBB70_9:
	s_endpgm
	.section	.rodata,"a",@progbits
	.p2align	6, 0x0
	.amdhsa_kernel _ZL13mul_mat_vec_qIfLi256ELi8E13block_iq3_xxsLi1EXadL_ZL20vec_dot_iq3_xxs_q8_1PKvPK10block_q8_1RKiEEEvS2_S2_PT_iii
		.amdhsa_group_segment_fixed_size 0
		.amdhsa_private_segment_fixed_size 0
		.amdhsa_kernarg_size 296
		.amdhsa_user_sgpr_count 2
		.amdhsa_user_sgpr_dispatch_ptr 0
		.amdhsa_user_sgpr_queue_ptr 0
		.amdhsa_user_sgpr_kernarg_segment_ptr 1
		.amdhsa_user_sgpr_dispatch_id 0
		.amdhsa_user_sgpr_kernarg_preload_length 0
		.amdhsa_user_sgpr_kernarg_preload_offset 0
		.amdhsa_user_sgpr_private_segment_size 0
		.amdhsa_wavefront_size32 1
		.amdhsa_uses_dynamic_stack 0
		.amdhsa_enable_private_segment 0
		.amdhsa_system_sgpr_workgroup_id_x 1
		.amdhsa_system_sgpr_workgroup_id_y 1
		.amdhsa_system_sgpr_workgroup_id_z 0
		.amdhsa_system_sgpr_workgroup_info 0
		.amdhsa_system_vgpr_workitem_id 1
		.amdhsa_next_free_vgpr 41
		.amdhsa_next_free_sgpr 16
		.amdhsa_named_barrier_count 0
		.amdhsa_reserve_vcc 1
		.amdhsa_float_round_mode_32 0
		.amdhsa_float_round_mode_16_64 0
		.amdhsa_float_denorm_mode_32 3
		.amdhsa_float_denorm_mode_16_64 3
		.amdhsa_fp16_overflow 0
		.amdhsa_memory_ordered 1
		.amdhsa_forward_progress 1
		.amdhsa_inst_pref_size 11
		.amdhsa_round_robin_scheduling 0
		.amdhsa_exception_fp_ieee_invalid_op 0
		.amdhsa_exception_fp_denorm_src 0
		.amdhsa_exception_fp_ieee_div_zero 0
		.amdhsa_exception_fp_ieee_overflow 0
		.amdhsa_exception_fp_ieee_underflow 0
		.amdhsa_exception_fp_ieee_inexact 0
		.amdhsa_exception_int_div_zero 0
	.end_amdhsa_kernel
	.section	.text._ZL13mul_mat_vec_qIfLi256ELi8E13block_iq3_xxsLi1EXadL_ZL20vec_dot_iq3_xxs_q8_1PKvPK10block_q8_1RKiEEEvS2_S2_PT_iii,"axG",@progbits,_ZL13mul_mat_vec_qIfLi256ELi8E13block_iq3_xxsLi1EXadL_ZL20vec_dot_iq3_xxs_q8_1PKvPK10block_q8_1RKiEEEvS2_S2_PT_iii,comdat
.Lfunc_end70:
	.size	_ZL13mul_mat_vec_qIfLi256ELi8E13block_iq3_xxsLi1EXadL_ZL20vec_dot_iq3_xxs_q8_1PKvPK10block_q8_1RKiEEEvS2_S2_PT_iii, .Lfunc_end70-_ZL13mul_mat_vec_qIfLi256ELi8E13block_iq3_xxsLi1EXadL_ZL20vec_dot_iq3_xxs_q8_1PKvPK10block_q8_1RKiEEEvS2_S2_PT_iii
                                        ; -- End function
	.set _ZL13mul_mat_vec_qIfLi256ELi8E13block_iq3_xxsLi1EXadL_ZL20vec_dot_iq3_xxs_q8_1PKvPK10block_q8_1RKiEEEvS2_S2_PT_iii.num_vgpr, 41
	.set _ZL13mul_mat_vec_qIfLi256ELi8E13block_iq3_xxsLi1EXadL_ZL20vec_dot_iq3_xxs_q8_1PKvPK10block_q8_1RKiEEEvS2_S2_PT_iii.num_agpr, 0
	.set _ZL13mul_mat_vec_qIfLi256ELi8E13block_iq3_xxsLi1EXadL_ZL20vec_dot_iq3_xxs_q8_1PKvPK10block_q8_1RKiEEEvS2_S2_PT_iii.numbered_sgpr, 16
	.set _ZL13mul_mat_vec_qIfLi256ELi8E13block_iq3_xxsLi1EXadL_ZL20vec_dot_iq3_xxs_q8_1PKvPK10block_q8_1RKiEEEvS2_S2_PT_iii.num_named_barrier, 0
	.set _ZL13mul_mat_vec_qIfLi256ELi8E13block_iq3_xxsLi1EXadL_ZL20vec_dot_iq3_xxs_q8_1PKvPK10block_q8_1RKiEEEvS2_S2_PT_iii.private_seg_size, 0
	.set _ZL13mul_mat_vec_qIfLi256ELi8E13block_iq3_xxsLi1EXadL_ZL20vec_dot_iq3_xxs_q8_1PKvPK10block_q8_1RKiEEEvS2_S2_PT_iii.uses_vcc, 1
	.set _ZL13mul_mat_vec_qIfLi256ELi8E13block_iq3_xxsLi1EXadL_ZL20vec_dot_iq3_xxs_q8_1PKvPK10block_q8_1RKiEEEvS2_S2_PT_iii.uses_flat_scratch, 0
	.set _ZL13mul_mat_vec_qIfLi256ELi8E13block_iq3_xxsLi1EXadL_ZL20vec_dot_iq3_xxs_q8_1PKvPK10block_q8_1RKiEEEvS2_S2_PT_iii.has_dyn_sized_stack, 0
	.set _ZL13mul_mat_vec_qIfLi256ELi8E13block_iq3_xxsLi1EXadL_ZL20vec_dot_iq3_xxs_q8_1PKvPK10block_q8_1RKiEEEvS2_S2_PT_iii.has_recursion, 0
	.set _ZL13mul_mat_vec_qIfLi256ELi8E13block_iq3_xxsLi1EXadL_ZL20vec_dot_iq3_xxs_q8_1PKvPK10block_q8_1RKiEEEvS2_S2_PT_iii.has_indirect_call, 0
	.section	.AMDGPU.csdata,"",@progbits
; Kernel info:
; codeLenInByte = 1312
; TotalNumSgprs: 18
; NumVgprs: 41
; ScratchSize: 0
; MemoryBound: 0
; FloatMode: 240
; IeeeMode: 1
; LDSByteSize: 0 bytes/workgroup (compile time only)
; SGPRBlocks: 0
; VGPRBlocks: 2
; NumSGPRsForWavesPerEU: 18
; NumVGPRsForWavesPerEU: 41
; NamedBarCnt: 0
; Occupancy: 16
; WaveLimiterHint : 0
; COMPUTE_PGM_RSRC2:SCRATCH_EN: 0
; COMPUTE_PGM_RSRC2:USER_SGPR: 2
; COMPUTE_PGM_RSRC2:TRAP_HANDLER: 0
; COMPUTE_PGM_RSRC2:TGID_X_EN: 1
; COMPUTE_PGM_RSRC2:TGID_Y_EN: 1
; COMPUTE_PGM_RSRC2:TGID_Z_EN: 0
; COMPUTE_PGM_RSRC2:TIDIG_COMP_CNT: 1
	.section	.text._ZL13mul_mat_vec_qIfLi256ELi8E11block_iq1_sLi1EXadL_ZL18vec_dot_iq1_s_q8_1PKvPK10block_q8_1RKiEEEvS2_S2_PT_iii,"axG",@progbits,_ZL13mul_mat_vec_qIfLi256ELi8E11block_iq1_sLi1EXadL_ZL18vec_dot_iq1_s_q8_1PKvPK10block_q8_1RKiEEEvS2_S2_PT_iii,comdat
	.globl	_ZL13mul_mat_vec_qIfLi256ELi8E11block_iq1_sLi1EXadL_ZL18vec_dot_iq1_s_q8_1PKvPK10block_q8_1RKiEEEvS2_S2_PT_iii ; -- Begin function _ZL13mul_mat_vec_qIfLi256ELi8E11block_iq1_sLi1EXadL_ZL18vec_dot_iq1_s_q8_1PKvPK10block_q8_1RKiEEEvS2_S2_PT_iii
	.p2align	8
	.type	_ZL13mul_mat_vec_qIfLi256ELi8E11block_iq1_sLi1EXadL_ZL18vec_dot_iq1_s_q8_1PKvPK10block_q8_1RKiEEEvS2_S2_PT_iii,@function
_ZL13mul_mat_vec_qIfLi256ELi8E11block_iq1_sLi1EXadL_ZL18vec_dot_iq1_s_q8_1PKvPK10block_q8_1RKiEEEvS2_S2_PT_iii: ; @_ZL13mul_mat_vec_qIfLi256ELi8E11block_iq1_sLi1EXadL_ZL18vec_dot_iq1_s_q8_1PKvPK10block_q8_1RKiEEEvS2_S2_PT_iii
; %bb.0:
	s_clause 0x1
	s_load_u16 s2, s[0:1], 0x36
	s_load_b96 s[4:6], s[0:1], 0x18
	s_bfe_u32 s7, ttmp6, 0x4000c
	s_bfe_u32 s8, ttmp6, 0x40010
	s_add_co_i32 s7, s7, 1
	s_add_co_i32 s8, s8, 1
	s_and_b32 s3, ttmp6, 15
	s_mul_i32 s7, ttmp9, s7
	s_mul_i32 s8, ttmp7, s8
	s_bfe_u32 s9, ttmp6, 0x40004
	s_add_co_i32 s3, s3, s7
	s_getreg_b32 s7, hwreg(HW_REG_IB_STS2, 6, 4)
	s_add_co_i32 s9, s9, s8
	v_bfe_u32 v1, v0, 10, 10
	s_cmp_eq_u32 s7, 0
	s_cselect_b32 s3, ttmp9, s3
	s_cselect_b32 s8, ttmp7, s9
	s_wait_kmcnt 0x0
	v_mad_u32 v18, s3, s2, v1
	s_cmp_lt_u32 s8, s6
	s_cselect_b32 s2, -1, 0
	s_delay_alu instid0(VALU_DEP_1) | instskip(SKIP_1) | instid1(SALU_CYCLE_1)
	v_cmp_gt_u32_e32 vcc_lo, s5, v18
	s_and_b32 s2, s2, vcc_lo
	s_and_saveexec_b32 s3, s2
	s_cbranch_execz .LBB71_7
; %bb.1:
	s_load_b64 s[6:7], s[0:1], 0x10
	s_ashr_i32 s2, s4, 31
	v_bfe_u32 v20, v0, 3, 7
	s_lshr_b32 s2, s2, 24
	v_and_b32_e32 v19, 0x3ff, v0
	v_mov_b32_e32 v21, 0
	s_add_co_i32 s2, s4, s2
	s_mov_b32 s9, exec_lo
	s_ashr_i32 s10, s2, 8
	s_delay_alu instid0(SALU_CYCLE_1)
	v_cmpx_gt_u32_e64 s10, v20
	s_cbranch_execz .LBB71_5
; %bb.2:
	s_wait_xcnt 0x0
	s_load_b128 s[0:3], s[0:1], 0x0
	s_addk_co_i32 s4, 0x1ff
	v_dual_lshlrev_b32 v1, 3, v20 :: v_dual_bitop2_b32 v0, 7, v19 bitop3:0x40
	s_ashr_i32 s11, s4, 31
	v_mul_lo_u32 v22, v18, s10
	s_lshr_b32 s11, s11, 23
	s_delay_alu instid0(VALU_DEP_2) | instskip(SKIP_3) | instid1(VALU_DEP_2)
	v_dual_mov_b32 v9, 0 :: v_dual_lshlrev_b32 v2, 1, v0
	s_add_co_i32 s4, s4, s11
	v_lshlrev_b32_e32 v12, 1, v0
	s_ashr_i32 s4, s4, 9
	v_lshlrev_b32_e32 v8, 1, v2
	s_mul_i32 s4, s8, s4
	v_dual_mov_b32 v13, v9 :: v_dual_mov_b32 v21, v9
	v_lshl_add_u32 v23, s4, 4, v1
	s_mov_b32 s4, 0
	s_mov_b32 s11, 0xb7000000
	s_wait_kmcnt 0x0
	v_mad_nc_u64_u32 v[10:11], v0, 36, s[2:3]
	s_get_pc_i64 s[2:3]
	s_add_nc_u64 s[2:3], s[2:3], _ZL13iq1s_grid_gpu@rel64+4
.LBB71_3:                               ; =>This Inner Loop Header: Depth=1
	v_add_nc_u32_e32 v0, v22, v20
	s_delay_alu instid0(VALU_DEP_2) | instskip(SKIP_1) | instid1(VALU_DEP_3)
	v_mad_nc_i64_i32 v[14:15], v23, 36, v[10:11]
	v_dual_add_nc_u32 v20, 4, v20 :: v_dual_add_nc_u32 v23, 32, v23
	v_mad_nc_i64_i32 v[16:17], v0, 50, s[0:1]
	s_delay_alu instid0(VALU_DEP_2) | instskip(SKIP_1) | instid1(VALU_DEP_2)
	v_cmp_le_u32_e32 vcc_lo, s10, v20
	s_or_b32 s4, vcc_lo, s4
	v_add_nc_u64_e32 v[0:1], v[16:17], v[8:9]
	v_add_nc_u64_e32 v[2:3], v[16:17], v[12:13]
	s_clause 0x1
	global_load_b32 v25, v[0:1], off offset:2
	global_load_u16 v24, v[2:3], off offset:34
	s_clause 0x1
	global_load_b128 v[0:3], v[14:15], off offset:4
	global_load_b128 v[4:7], v[14:15], off offset:20
	global_load_u16 v26, v[16:17], off
	s_wait_loadcnt 0x4
	s_wait_xcnt 0x0
	v_and_b32_e32 v17, 0xff, v25
	s_wait_loadcnt 0x3
	v_dual_lshlrev_b32 v27, 8, v24 :: v_dual_lshlrev_b32 v29, 5, v24
	v_bfe_u32 v28, v25, 8, 8
	v_lshrrev_b32_e32 v16, 24, v25
	v_bfe_u32 v25, v25, 16, 8
	v_dual_lshlrev_b32 v30, 2, v24 :: v_dual_lshrrev_b32 v31, 1, v24
	v_and_or_b32 v17, 0x700, v27, v17
	v_and_or_b32 v27, 0x700, v29, v28
	s_wait_loadcnt 0x2
	v_ashrrev_i32_e32 v33, 24, v1
	v_and_or_b32 v25, 0x700, v30, v25
	v_and_or_b32 v16, 0x700, v31, v16
	v_dual_lshlrev_b32 v17, 3, v17 :: v_dual_lshlrev_b32 v27, 3, v27
	v_bfe_i32 v34, v1, 16, 8
	s_delay_alu instid0(VALU_DEP_3)
	v_dual_lshlrev_b32 v25, 3, v25 :: v_dual_lshlrev_b32 v16, 3, v16
	s_clause 0x3
	global_load_b32 v28, v17, s[2:3]
	global_load_b32 v29, v27, s[2:3]
	;; [unrolled: 1-line block ×4, first 2 shown]
	global_load_b32 v32, v[14:15], off
	s_wait_xcnt 0x0
	v_lshrrev_b16 v14, 8, v0
	v_lshrrev_b16 v15, 8, v1
	v_bfe_i32 v25, v0, 16, 8
	v_bfe_i32 v27, v0, 0, 8
	v_ashrrev_i32_e32 v0, 24, v0
	v_bfe_i32 v1, v1, 0, 8
	v_lshrrev_b16 v17, 8, v3
	v_dual_ashrrev_i32 v35, 24, v2 :: v_dual_ashrrev_i32 v37, 24, v3
	v_bfe_i32 v38, v3, 16, 8
	v_bfe_i32 v3, v3, 0, 8
	v_lshrrev_b16 v16, 8, v2
	v_bfe_i32 v36, v2, 16, 8
	v_bfe_i32 v2, v2, 0, 8
	s_wait_loadcnt 0x6
	v_lshrrev_b16 v39, 8, v4
	v_dual_ashrrev_i32 v43, 24, v4 :: v_dual_ashrrev_i32 v45, 24, v5
	v_bfe_i32 v44, v4, 16, 8
	v_bfe_i32 v4, v4, 0, 8
	v_lshrrev_b16 v40, 8, v5
	v_bfe_i32 v46, v5, 16, 8
	v_bfe_i32 v5, v5, 0, 8
	v_lshrrev_b16 v41, 8, v6
	v_dual_ashrrev_i32 v47, 24, v6 :: v_dual_ashrrev_i32 v49, 24, v7
	v_bfe_i32 v48, v6, 16, 8
	v_bfe_i32 v6, v6, 0, 8
	v_lshrrev_b16 v42, 8, v7
	v_bfe_i32 v50, v7, 16, 8
	v_bfe_i32 v7, v7, 0, 8
	;; [unrolled: 1-line block ×10, first 2 shown]
	s_wait_loadcnt 0x4
	v_bfe_u32 v51, v28, 24, 4
	v_and_b32_e32 v52, 0xf0f0f0f, v28
	v_dual_lshrrev_b32 v53, 4, v28 :: v_dual_lshrrev_b32 v54, 28, v28
	v_bfe_u32 v55, v28, 16, 4
	s_wait_loadcnt 0x3
	v_dual_lshrrev_b32 v60, 4, v29 :: v_dual_bitop2_b32 v56, 15, v28 bitop3:0x40
	v_bfe_u32 v57, v28, 20, 4
	v_bfe_u32 v28, v28, 4, 4
	;; [unrolled: 1-line block ×3, first 2 shown]
	v_and_b32_e32 v59, 0xf0f0f0f, v29
	v_lshrrev_b32_e32 v61, 28, v29
	v_mul_i32_i24_e32 v34, v57, v34
	v_mul_i32_i24_e32 v1, v28, v1
	v_and_b32_e32 v28, 15, v29
	v_bfe_u32 v57, v29, 16, 4
	v_mul_i32_i24_e32 v33, v54, v33
	v_bfe_u32 v54, v29, 20, 4
	v_bfe_u32 v29, v29, 4, 4
	v_mul_i32_i24_e32 v35, v35, v58
	s_wait_loadcnt 0x2
	v_lshrrev_b32_e32 v58, 4, v30
	v_mul_i32_i24_e32 v2, v2, v28
	v_bfe_u32 v28, v30, 24, 4
	v_mul_i32_i24_e32 v3, v29, v3
	v_and_b32_e32 v29, 15, v30
	v_mul_i32_i24_e32 v36, v36, v57
	v_and_b32_e32 v57, 0xf0f0f0f, v30
	v_mul_i32_i24_e32 v38, v54, v38
	v_bfe_u32 v54, v30, 16, 4
	v_mul_i32_i24_e32 v37, v61, v37
	v_lshrrev_b32_e32 v61, 28, v30
	v_mul_i32_i24_e32 v4, v4, v29
	v_bfe_u32 v29, v30, 20, 4
	v_bfe_u32 v30, v30, 4, 4
	v_mul_i32_i24_e32 v44, v44, v54
	s_wait_loadcnt 0x1
	v_bfe_u32 v54, v31, 24, 4
	v_mul_i32_i24_e32 v28, v43, v28
	v_mul_i32_i24_e32 v29, v29, v46
	;; [unrolled: 1-line block ×3, first 2 shown]
	v_and_b32_e32 v30, 15, v31
	v_bfe_u32 v46, v31, 16, 4
	v_and_b32_e32 v43, 0xf0f0f0f, v31
	v_mul_i32_i24_e32 v45, v61, v45
	v_lshrrev_b32_e32 v61, 4, v31
	v_mul_i32_i24_e32 v6, v6, v30
	v_lshrrev_b32_e32 v30, 28, v31
	v_mul_i32_i24_e32 v46, v48, v46
	v_bfe_u32 v48, v31, 20, 4
	v_bfe_u32 v31, v31, 4, 4
	v_lshrrev_b16 v53, 8, v53
	v_lshrrev_b16 v52, 8, v52
	;; [unrolled: 1-line block ×4, first 2 shown]
	v_mul_i32_i24_e32 v7, v31, v7
	v_mul_i32_i24_e32 v31, v48, v50
	v_and_b32_e32 v48, 15, v53
	v_lshrrev_b16 v57, 8, v57
	v_lshrrev_b16 v58, 8, v58
	v_mul_i32_i24_e32 v30, v30, v49
	v_and_b32_e32 v49, 0xffff, v52
	v_and_b32_e32 v50, 15, v60
	;; [unrolled: 1-line block ×3, first 2 shown]
	v_mad_i32_i24 v1, v56, v27, v1
	v_and_b32_e32 v27, 0xffff, v48
	v_lshrrev_b16 v43, 8, v43
	v_lshrrev_b16 v61, 8, v61
	v_mul_i32_i24_e32 v47, v47, v54
	v_and_b32_e32 v53, 15, v58
	v_and_b32_e32 v54, 0xffff, v57
	v_mad_i32_i24 v0, v51, v0, v33
	v_mul_i32_i24_e32 v14, v49, v14
	v_mul_i32_i24_e32 v16, v16, v52
	v_and_b32_e32 v33, 0xffff, v50
	v_mul_i32_i24_e32 v15, v27, v15
	v_add3_u32 v1, v1, v2, v3
	v_and_b32_e32 v57, 15, v61
	v_and_b32_e32 v43, 0xffff, v43
	v_mad_i32_i24 v25, v55, v25, v34
	v_mul_i32_i24_e32 v34, v39, v54
	v_add3_u32 v0, v0, v35, v37
	v_mul_i32_i24_e32 v17, v33, v17
	v_add3_u32 v14, v14, v15, v16
	v_add3_u32 v1, v1, v4, v5
	v_lshrrev_b32_e32 v5, 11, v24
	v_and_b32_e32 v39, 0xffff, v53
	v_mul_i32_i24_e32 v27, v41, v43
	v_and_b32_e32 v41, 0xffff, v57
	v_add3_u32 v15, v25, v36, v38
	v_add3_u32 v0, v0, v28, v45
	v_mul_i32_i24_e32 v2, v39, v40
	v_add3_u32 v3, v14, v17, v34
	v_mul_i32_i24_e32 v14, v41, v42
	v_add3_u32 v4, v15, v44, v29
	v_add3_u32 v0, v0, v47, v30
	;; [unrolled: 1-line block ×4, first 2 shown]
	v_and_b32_e32 v3, 0x8000, v24
	v_add3_u32 v4, v4, v46, v31
	v_and_or_b32 v5, v5, 14, 1
	s_delay_alu instid0(VALU_DEP_4)
	v_add3_u32 v0, v2, v14, v0
	s_wait_loadcnt 0x0
	v_lshrrev_b32_e32 v2, 16, v32
	v_cvt_f32_u32_e32 v3, v3
	v_cvt_f32_ubyte0_e32 v5, v5
	v_add3_u32 v4, v1, v4, v0
	v_cvt_f32_f16_e32 v1, v32
	v_cvt_f32_f16_e32 v0, v2
	v_fmaak_f32 v2, s11, v3, 0xbf600000
	s_delay_alu instid0(VALU_DEP_4) | instskip(SKIP_1) | instid1(VALU_DEP_2)
	v_cvt_f32_i32_e32 v3, v4
	v_cvt_f32_f16_e32 v4, v26
	v_pk_mul_f32 v[0:1], v[2:3], v[0:1]
	s_delay_alu instid0(VALU_DEP_1) | instskip(NEXT) | instid1(VALU_DEP_1)
	v_dual_mul_f32 v2, v5, v4 :: v_dual_add_f32 v0, v0, v1
	v_fmac_f32_e32 v21, v2, v0
	s_and_not1_b32 exec_lo, exec_lo, s4
	s_cbranch_execnz .LBB71_3
; %bb.4:
	s_or_b32 exec_lo, exec_lo, s4
.LBB71_5:
	s_delay_alu instid0(SALU_CYCLE_1) | instskip(SKIP_1) | instid1(VALU_DEP_1)
	s_or_b32 exec_lo, exec_lo, s9
	v_mbcnt_lo_u32_b32 v0, -1, 0
	v_xor_b32_e32 v2, 8, v0
	v_xor_b32_e32 v1, 16, v0
	;; [unrolled: 1-line block ×3, first 2 shown]
	s_delay_alu instid0(VALU_DEP_2) | instskip(SKIP_4) | instid1(VALU_DEP_2)
	v_cmp_gt_i32_e32 vcc_lo, 32, v1
	v_cndmask_b32_e32 v1, v0, v1, vcc_lo
	v_cmp_gt_i32_e32 vcc_lo, 32, v2
	v_cndmask_b32_e32 v2, v0, v2, vcc_lo
	v_cmp_gt_i32_e32 vcc_lo, 32, v3
	v_dual_lshlrev_b32 v2, 2, v2 :: v_dual_lshlrev_b32 v1, 2, v1
	ds_bpermute_b32 v1, v1, v21
	s_wait_dscnt 0x0
	v_add_f32_e32 v1, v21, v1
	ds_bpermute_b32 v2, v2, v1
	s_wait_dscnt 0x0
	v_dual_cndmask_b32 v3, v0, v3, vcc_lo :: v_dual_add_f32 v1, v1, v2
	s_delay_alu instid0(VALU_DEP_1) | instskip(SKIP_3) | instid1(VALU_DEP_1)
	v_lshlrev_b32_e32 v3, 2, v3
	ds_bpermute_b32 v2, v3, v1
	s_wait_dscnt 0x0
	v_dual_add_f32 v1, v1, v2 :: v_dual_bitop2_b32 v3, 2, v0 bitop3:0x14
	v_cmp_gt_i32_e32 vcc_lo, 32, v3
	v_cndmask_b32_e32 v3, v0, v3, vcc_lo
	s_delay_alu instid0(VALU_DEP_1) | instskip(SKIP_2) | instid1(VALU_DEP_1)
	v_lshlrev_b32_e32 v3, 2, v3
	ds_bpermute_b32 v2, v3, v1
	v_xor_b32_e32 v3, 1, v0
	v_cmp_gt_i32_e32 vcc_lo, 32, v3
	v_cndmask_b32_e32 v3, v0, v3, vcc_lo
	v_cmp_eq_u32_e32 vcc_lo, 0, v19
	s_wait_dscnt 0x0
	s_delay_alu instid0(VALU_DEP_2)
	v_dual_add_f32 v0, v1, v2 :: v_dual_lshlrev_b32 v1, 2, v3
	ds_bpermute_b32 v1, v1, v0
	s_and_b32 exec_lo, exec_lo, vcc_lo
	s_cbranch_execz .LBB71_7
; %bb.6:
	v_mad_u32 v2, s5, s8, v18
	s_wait_dscnt 0x0
	v_add_f32_e32 v0, v0, v1
	s_wait_kmcnt 0x0
	global_store_b32 v2, v0, s[6:7] scale_offset
.LBB71_7:
	s_endpgm
	.section	.rodata,"a",@progbits
	.p2align	6, 0x0
	.amdhsa_kernel _ZL13mul_mat_vec_qIfLi256ELi8E11block_iq1_sLi1EXadL_ZL18vec_dot_iq1_s_q8_1PKvPK10block_q8_1RKiEEEvS2_S2_PT_iii
		.amdhsa_group_segment_fixed_size 0
		.amdhsa_private_segment_fixed_size 0
		.amdhsa_kernarg_size 296
		.amdhsa_user_sgpr_count 2
		.amdhsa_user_sgpr_dispatch_ptr 0
		.amdhsa_user_sgpr_queue_ptr 0
		.amdhsa_user_sgpr_kernarg_segment_ptr 1
		.amdhsa_user_sgpr_dispatch_id 0
		.amdhsa_user_sgpr_kernarg_preload_length 0
		.amdhsa_user_sgpr_kernarg_preload_offset 0
		.amdhsa_user_sgpr_private_segment_size 0
		.amdhsa_wavefront_size32 1
		.amdhsa_uses_dynamic_stack 0
		.amdhsa_enable_private_segment 0
		.amdhsa_system_sgpr_workgroup_id_x 1
		.amdhsa_system_sgpr_workgroup_id_y 1
		.amdhsa_system_sgpr_workgroup_id_z 0
		.amdhsa_system_sgpr_workgroup_info 0
		.amdhsa_system_vgpr_workitem_id 1
		.amdhsa_next_free_vgpr 62
		.amdhsa_next_free_sgpr 12
		.amdhsa_named_barrier_count 0
		.amdhsa_reserve_vcc 1
		.amdhsa_float_round_mode_32 0
		.amdhsa_float_round_mode_16_64 0
		.amdhsa_float_denorm_mode_32 3
		.amdhsa_float_denorm_mode_16_64 3
		.amdhsa_fp16_overflow 0
		.amdhsa_memory_ordered 1
		.amdhsa_forward_progress 1
		.amdhsa_inst_pref_size 16
		.amdhsa_round_robin_scheduling 0
		.amdhsa_exception_fp_ieee_invalid_op 0
		.amdhsa_exception_fp_denorm_src 0
		.amdhsa_exception_fp_ieee_div_zero 0
		.amdhsa_exception_fp_ieee_overflow 0
		.amdhsa_exception_fp_ieee_underflow 0
		.amdhsa_exception_fp_ieee_inexact 0
		.amdhsa_exception_int_div_zero 0
	.end_amdhsa_kernel
	.section	.text._ZL13mul_mat_vec_qIfLi256ELi8E11block_iq1_sLi1EXadL_ZL18vec_dot_iq1_s_q8_1PKvPK10block_q8_1RKiEEEvS2_S2_PT_iii,"axG",@progbits,_ZL13mul_mat_vec_qIfLi256ELi8E11block_iq1_sLi1EXadL_ZL18vec_dot_iq1_s_q8_1PKvPK10block_q8_1RKiEEEvS2_S2_PT_iii,comdat
.Lfunc_end71:
	.size	_ZL13mul_mat_vec_qIfLi256ELi8E11block_iq1_sLi1EXadL_ZL18vec_dot_iq1_s_q8_1PKvPK10block_q8_1RKiEEEvS2_S2_PT_iii, .Lfunc_end71-_ZL13mul_mat_vec_qIfLi256ELi8E11block_iq1_sLi1EXadL_ZL18vec_dot_iq1_s_q8_1PKvPK10block_q8_1RKiEEEvS2_S2_PT_iii
                                        ; -- End function
	.set _ZL13mul_mat_vec_qIfLi256ELi8E11block_iq1_sLi1EXadL_ZL18vec_dot_iq1_s_q8_1PKvPK10block_q8_1RKiEEEvS2_S2_PT_iii.num_vgpr, 62
	.set _ZL13mul_mat_vec_qIfLi256ELi8E11block_iq1_sLi1EXadL_ZL18vec_dot_iq1_s_q8_1PKvPK10block_q8_1RKiEEEvS2_S2_PT_iii.num_agpr, 0
	.set _ZL13mul_mat_vec_qIfLi256ELi8E11block_iq1_sLi1EXadL_ZL18vec_dot_iq1_s_q8_1PKvPK10block_q8_1RKiEEEvS2_S2_PT_iii.numbered_sgpr, 12
	.set _ZL13mul_mat_vec_qIfLi256ELi8E11block_iq1_sLi1EXadL_ZL18vec_dot_iq1_s_q8_1PKvPK10block_q8_1RKiEEEvS2_S2_PT_iii.num_named_barrier, 0
	.set _ZL13mul_mat_vec_qIfLi256ELi8E11block_iq1_sLi1EXadL_ZL18vec_dot_iq1_s_q8_1PKvPK10block_q8_1RKiEEEvS2_S2_PT_iii.private_seg_size, 0
	.set _ZL13mul_mat_vec_qIfLi256ELi8E11block_iq1_sLi1EXadL_ZL18vec_dot_iq1_s_q8_1PKvPK10block_q8_1RKiEEEvS2_S2_PT_iii.uses_vcc, 1
	.set _ZL13mul_mat_vec_qIfLi256ELi8E11block_iq1_sLi1EXadL_ZL18vec_dot_iq1_s_q8_1PKvPK10block_q8_1RKiEEEvS2_S2_PT_iii.uses_flat_scratch, 0
	.set _ZL13mul_mat_vec_qIfLi256ELi8E11block_iq1_sLi1EXadL_ZL18vec_dot_iq1_s_q8_1PKvPK10block_q8_1RKiEEEvS2_S2_PT_iii.has_dyn_sized_stack, 0
	.set _ZL13mul_mat_vec_qIfLi256ELi8E11block_iq1_sLi1EXadL_ZL18vec_dot_iq1_s_q8_1PKvPK10block_q8_1RKiEEEvS2_S2_PT_iii.has_recursion, 0
	.set _ZL13mul_mat_vec_qIfLi256ELi8E11block_iq1_sLi1EXadL_ZL18vec_dot_iq1_s_q8_1PKvPK10block_q8_1RKiEEEvS2_S2_PT_iii.has_indirect_call, 0
	.section	.AMDGPU.csdata,"",@progbits
; Kernel info:
; codeLenInByte = 1956
; TotalNumSgprs: 14
; NumVgprs: 62
; ScratchSize: 0
; MemoryBound: 0
; FloatMode: 240
; IeeeMode: 1
; LDSByteSize: 0 bytes/workgroup (compile time only)
; SGPRBlocks: 0
; VGPRBlocks: 3
; NumSGPRsForWavesPerEU: 14
; NumVGPRsForWavesPerEU: 62
; NamedBarCnt: 0
; Occupancy: 16
; WaveLimiterHint : 0
; COMPUTE_PGM_RSRC2:SCRATCH_EN: 0
; COMPUTE_PGM_RSRC2:USER_SGPR: 2
; COMPUTE_PGM_RSRC2:TRAP_HANDLER: 0
; COMPUTE_PGM_RSRC2:TGID_X_EN: 1
; COMPUTE_PGM_RSRC2:TGID_Y_EN: 1
; COMPUTE_PGM_RSRC2:TGID_Z_EN: 0
; COMPUTE_PGM_RSRC2:TIDIG_COMP_CNT: 1
	.section	.text._ZL13mul_mat_vec_qIfLi32ELi4E12block_iq4_nlLi2EXadL_ZL19vec_dot_iq4_nl_q8_1PKvPK10block_q8_1RKiEEEvS2_S2_PT_iii,"axG",@progbits,_ZL13mul_mat_vec_qIfLi32ELi4E12block_iq4_nlLi2EXadL_ZL19vec_dot_iq4_nl_q8_1PKvPK10block_q8_1RKiEEEvS2_S2_PT_iii,comdat
	.globl	_ZL13mul_mat_vec_qIfLi32ELi4E12block_iq4_nlLi2EXadL_ZL19vec_dot_iq4_nl_q8_1PKvPK10block_q8_1RKiEEEvS2_S2_PT_iii ; -- Begin function _ZL13mul_mat_vec_qIfLi32ELi4E12block_iq4_nlLi2EXadL_ZL19vec_dot_iq4_nl_q8_1PKvPK10block_q8_1RKiEEEvS2_S2_PT_iii
	.p2align	8
	.type	_ZL13mul_mat_vec_qIfLi32ELi4E12block_iq4_nlLi2EXadL_ZL19vec_dot_iq4_nl_q8_1PKvPK10block_q8_1RKiEEEvS2_S2_PT_iii,@function
_ZL13mul_mat_vec_qIfLi32ELi4E12block_iq4_nlLi2EXadL_ZL19vec_dot_iq4_nl_q8_1PKvPK10block_q8_1RKiEEEvS2_S2_PT_iii: ; @_ZL13mul_mat_vec_qIfLi32ELi4E12block_iq4_nlLi2EXadL_ZL19vec_dot_iq4_nl_q8_1PKvPK10block_q8_1RKiEEEvS2_S2_PT_iii
; %bb.0:
	s_clause 0x1
	s_load_u16 s2, s[0:1], 0x36
	s_load_b96 s[4:6], s[0:1], 0x18
	s_bfe_u32 s7, ttmp6, 0x4000c
	s_bfe_u32 s8, ttmp6, 0x40010
	s_add_co_i32 s7, s7, 1
	s_add_co_i32 s8, s8, 1
	s_and_b32 s3, ttmp6, 15
	s_mul_i32 s7, ttmp9, s7
	s_mul_i32 s8, ttmp7, s8
	s_bfe_u32 s9, ttmp6, 0x40004
	s_add_co_i32 s3, s3, s7
	s_getreg_b32 s7, hwreg(HW_REG_IB_STS2, 6, 4)
	s_add_co_i32 s9, s9, s8
	v_bfe_u32 v1, v0, 10, 10
	s_cmp_eq_u32 s7, 0
	s_cselect_b32 s3, ttmp9, s3
	s_cselect_b32 s10, ttmp7, s9
	s_wait_kmcnt 0x0
	v_mad_u32 v4, s3, s2, v1
	s_cmp_lt_u32 s10, s6
	s_cselect_b32 s2, -1, 0
	s_delay_alu instid0(VALU_DEP_1) | instskip(SKIP_1) | instid1(SALU_CYCLE_1)
	v_cmp_gt_u32_e32 vcc_lo, s5, v4
	s_and_b32 s2, s2, vcc_lo
	s_and_saveexec_b32 s3, s2
	s_cbranch_execz .LBB72_7
; %bb.1:
	s_load_b64 s[6:7], s[0:1], 0x10
	s_ashr_i32 s2, s4, 31
	v_bfe_u32 v6, v0, 1, 9
	s_lshr_b32 s2, s2, 27
	v_and_b32_e32 v5, 0x3ff, v0
	v_mov_b32_e32 v7, 0
	s_add_co_i32 s2, s4, s2
	s_mov_b32 s11, exec_lo
	s_ashr_i32 s12, s2, 5
	s_delay_alu instid0(SALU_CYCLE_1)
	v_cmpx_gt_u32_e64 s12, v6
	s_cbranch_execz .LBB72_5
; %bb.2:
	v_dual_mov_b32 v1, 0 :: v_dual_lshlrev_b32 v0, 1, v5
	s_wait_xcnt 0x0
	s_load_b128 s[0:3], s[0:1], 0x0
	s_addk_co_i32 s4, 0x1ff
	v_mul_lo_u32 v8, v4, s12
	v_dual_mov_b32 v3, v1 :: v_dual_bitop2_b32 v0, 2, v0 bitop3:0x40
	s_ashr_i32 s8, s4, 31
	v_mov_b32_e32 v7, v1
	s_lshr_b32 s13, s8, 23
	s_delay_alu instid0(VALU_DEP_2)
	v_dual_lshlrev_b32 v10, 1, v0 :: v_dual_lshlrev_b32 v2, 2, v0
	s_add_co_i32 s4, s4, s13
	s_get_pc_i64 s[8:9]
	s_add_nc_u64 s[8:9], s[8:9], _ZL13kvalues_iq4nl@rel64+4
	s_ashr_i32 s4, s4, 9
	v_lshlrev_b32_e32 v0, 1, v10
	s_mul_i32 s4, s10, s4
	s_delay_alu instid0(SALU_CYCLE_1)
	s_lshl_b32 s13, s4, 4
	s_mov_b32 s4, 0
.LBB72_3:                               ; =>This Inner Loop Header: Depth=1
	v_add_nc_u32_e32 v9, v8, v6
	s_wait_kmcnt 0x0
	s_delay_alu instid0(VALU_DEP_1) | instskip(NEXT) | instid1(VALU_DEP_1)
	v_mad_nc_i64_i32 v[10:11], v9, 18, s[0:1]
	v_add_nc_u64_e32 v[12:13], v[10:11], v[0:1]
	global_load_b64 v[12:13], v[12:13], off offset:2
	v_dual_add_nc_u32 v9, s13, v6 :: v_dual_add_nc_u32 v6, 16, v6
	s_delay_alu instid0(VALU_DEP_1)
	v_cmp_le_u32_e32 vcc_lo, s12, v6
	s_or_b32 s4, vcc_lo, s4
	s_wait_loadcnt 0x0
	v_lshrrev_b32_e32 v25, 28, v12
	v_mad_nc_i64_i32 v[14:15], v9, 36, s[2:3]
	v_and_b32_e32 v20, 15, v12
	v_bfe_u32 v21, v12, 8, 4
	v_bfe_u32 v22, v12, 16, 4
	;; [unrolled: 1-line block ×6, first 2 shown]
	v_dual_lshrrev_b32 v32, 28, v13 :: v_dual_bitop2_b32 v27, 15, v13 bitop3:0x40
	v_bfe_u32 v28, v13, 8, 4
	v_add_nc_u64_e32 v[16:17], v[14:15], v[2:3]
	v_bfe_u32 v29, v13, 16, 4
	v_bfe_u32 v30, v13, 12, 4
	;; [unrolled: 1-line block ×4, first 2 shown]
	global_load_b64 v[18:19], v[16:17], off offset:4
	s_clause 0x7
	global_load_i8 v33, v20, s[8:9]
	global_load_i8 v34, v21, s[8:9]
	;; [unrolled: 1-line block ×8, first 2 shown]
	s_wait_xcnt 0x0
	v_bfe_u32 v9, v13, 4, 4
	s_clause 0x7
	global_load_i8 v20, v27, s[8:9]
	global_load_i8 v21, v28, s[8:9]
	;; [unrolled: 1-line block ×8, first 2 shown]
	global_load_b64 v[12:13], v[16:17], off offset:20
	global_load_u16 v43, v[10:11], off
	global_load_b32 v44, v[14:15], off
	s_wait_loadcnt 0x11
	s_wait_xcnt 0x3
	v_perm_b32 v9, v34, v33, 0xc0c0400
	s_wait_loadcnt 0xe
	s_wait_xcnt 0x1
	v_perm_b32 v11, v37, v36, 0xc0c0400
	;; [unrolled: 3-line block ×3, first 2 shown]
	v_perm_b32 v14, v39, v38, 0x4000c0c
	v_perm_b32 v10, v40, v35, 0x4000c0c
	;; [unrolled: 1-line block ×3, first 2 shown]
	s_delay_alu instid0(VALU_DEP_3) | instskip(NEXT) | instid1(VALU_DEP_3)
	v_or_b32_e32 v11, v14, v11
	v_or_b32_e32 v9, v10, v9
	v_perm_b32 v10, v21, v20, 0xc0c0400
	s_wait_loadcnt 0x3
	v_perm_b32 v14, v23, v42, 0xc0c0400
	s_delay_alu instid0(VALU_DEP_3) | instskip(NEXT) | instid1(VALU_DEP_3)
	v_dot4_i32_iu8 v9, v18, v9, 0 neg_lo:[1,1,0]
	v_or_b32_e32 v10, v15, v10
	s_wait_loadcnt 0x2
	s_delay_alu instid0(VALU_DEP_2) | instskip(SKIP_2) | instid1(VALU_DEP_2)
	v_dot4_i32_iu8 v9, v12, v11, v9 neg_lo:[1,1,0]
	s_wait_loadcnt 0x0
	v_cvt_f32_f16_e32 v12, v44
	v_dot4_i32_iu8 v9, v19, v10, v9 neg_lo:[1,1,0]
	v_cvt_f32_f16_e32 v10, v43
	s_delay_alu instid0(VALU_DEP_1) | instskip(NEXT) | instid1(VALU_DEP_1)
	v_dual_mul_f32 v10, v10, v12 :: v_dual_bitop2_b32 v11, v16, v14 bitop3:0x54
	v_dot4_i32_iu8 v9, v13, v11, v9 neg_lo:[1,1,0]
	s_delay_alu instid0(VALU_DEP_1) | instskip(NEXT) | instid1(VALU_DEP_1)
	v_cvt_f32_i32_e32 v9, v9
	v_fmac_f32_e32 v7, v10, v9
	s_and_not1_b32 exec_lo, exec_lo, s4
	s_cbranch_execnz .LBB72_3
; %bb.4:
	s_or_b32 exec_lo, exec_lo, s4
.LBB72_5:
	s_delay_alu instid0(SALU_CYCLE_1) | instskip(SKIP_1) | instid1(VALU_DEP_1)
	s_or_b32 exec_lo, exec_lo, s11
	v_mbcnt_lo_u32_b32 v0, -1, 0
	v_xor_b32_e32 v2, 8, v0
	v_xor_b32_e32 v1, 16, v0
	;; [unrolled: 1-line block ×3, first 2 shown]
	s_delay_alu instid0(VALU_DEP_2) | instskip(SKIP_4) | instid1(VALU_DEP_2)
	v_cmp_gt_i32_e32 vcc_lo, 32, v1
	v_cndmask_b32_e32 v1, v0, v1, vcc_lo
	v_cmp_gt_i32_e32 vcc_lo, 32, v2
	v_cndmask_b32_e32 v2, v0, v2, vcc_lo
	v_cmp_gt_i32_e32 vcc_lo, 32, v3
	v_dual_lshlrev_b32 v2, 2, v2 :: v_dual_lshlrev_b32 v1, 2, v1
	ds_bpermute_b32 v1, v1, v7
	s_wait_dscnt 0x0
	v_add_f32_e32 v1, v7, v1
	ds_bpermute_b32 v2, v2, v1
	s_wait_dscnt 0x0
	v_dual_cndmask_b32 v3, v0, v3, vcc_lo :: v_dual_add_f32 v1, v1, v2
	s_delay_alu instid0(VALU_DEP_1) | instskip(SKIP_3) | instid1(VALU_DEP_1)
	v_lshlrev_b32_e32 v3, 2, v3
	ds_bpermute_b32 v2, v3, v1
	s_wait_dscnt 0x0
	v_dual_add_f32 v1, v1, v2 :: v_dual_bitop2_b32 v3, 2, v0 bitop3:0x14
	v_cmp_gt_i32_e32 vcc_lo, 32, v3
	v_cndmask_b32_e32 v3, v0, v3, vcc_lo
	s_delay_alu instid0(VALU_DEP_1) | instskip(SKIP_2) | instid1(VALU_DEP_1)
	v_lshlrev_b32_e32 v3, 2, v3
	ds_bpermute_b32 v2, v3, v1
	v_xor_b32_e32 v3, 1, v0
	v_cmp_gt_i32_e32 vcc_lo, 32, v3
	v_cndmask_b32_e32 v3, v0, v3, vcc_lo
	v_cmp_eq_u32_e32 vcc_lo, 0, v5
	s_wait_dscnt 0x0
	s_delay_alu instid0(VALU_DEP_2)
	v_dual_add_f32 v0, v1, v2 :: v_dual_lshlrev_b32 v1, 2, v3
	ds_bpermute_b32 v1, v1, v0
	s_and_b32 exec_lo, exec_lo, vcc_lo
	s_cbranch_execz .LBB72_7
; %bb.6:
	v_mad_u32 v2, s5, s10, v4
	s_wait_dscnt 0x0
	v_add_f32_e32 v0, v0, v1
	s_wait_kmcnt 0x0
	global_store_b32 v2, v0, s[6:7] scale_offset
.LBB72_7:
	s_endpgm
	.section	.rodata,"a",@progbits
	.p2align	6, 0x0
	.amdhsa_kernel _ZL13mul_mat_vec_qIfLi32ELi4E12block_iq4_nlLi2EXadL_ZL19vec_dot_iq4_nl_q8_1PKvPK10block_q8_1RKiEEEvS2_S2_PT_iii
		.amdhsa_group_segment_fixed_size 0
		.amdhsa_private_segment_fixed_size 0
		.amdhsa_kernarg_size 296
		.amdhsa_user_sgpr_count 2
		.amdhsa_user_sgpr_dispatch_ptr 0
		.amdhsa_user_sgpr_queue_ptr 0
		.amdhsa_user_sgpr_kernarg_segment_ptr 1
		.amdhsa_user_sgpr_dispatch_id 0
		.amdhsa_user_sgpr_kernarg_preload_length 0
		.amdhsa_user_sgpr_kernarg_preload_offset 0
		.amdhsa_user_sgpr_private_segment_size 0
		.amdhsa_wavefront_size32 1
		.amdhsa_uses_dynamic_stack 0
		.amdhsa_enable_private_segment 0
		.amdhsa_system_sgpr_workgroup_id_x 1
		.amdhsa_system_sgpr_workgroup_id_y 1
		.amdhsa_system_sgpr_workgroup_id_z 0
		.amdhsa_system_sgpr_workgroup_info 0
		.amdhsa_system_vgpr_workitem_id 1
		.amdhsa_next_free_vgpr 45
		.amdhsa_next_free_sgpr 14
		.amdhsa_named_barrier_count 0
		.amdhsa_reserve_vcc 1
		.amdhsa_float_round_mode_32 0
		.amdhsa_float_round_mode_16_64 0
		.amdhsa_float_denorm_mode_32 3
		.amdhsa_float_denorm_mode_16_64 3
		.amdhsa_fp16_overflow 0
		.amdhsa_memory_ordered 1
		.amdhsa_forward_progress 1
		.amdhsa_inst_pref_size 10
		.amdhsa_round_robin_scheduling 0
		.amdhsa_exception_fp_ieee_invalid_op 0
		.amdhsa_exception_fp_denorm_src 0
		.amdhsa_exception_fp_ieee_div_zero 0
		.amdhsa_exception_fp_ieee_overflow 0
		.amdhsa_exception_fp_ieee_underflow 0
		.amdhsa_exception_fp_ieee_inexact 0
		.amdhsa_exception_int_div_zero 0
	.end_amdhsa_kernel
	.section	.text._ZL13mul_mat_vec_qIfLi32ELi4E12block_iq4_nlLi2EXadL_ZL19vec_dot_iq4_nl_q8_1PKvPK10block_q8_1RKiEEEvS2_S2_PT_iii,"axG",@progbits,_ZL13mul_mat_vec_qIfLi32ELi4E12block_iq4_nlLi2EXadL_ZL19vec_dot_iq4_nl_q8_1PKvPK10block_q8_1RKiEEEvS2_S2_PT_iii,comdat
.Lfunc_end72:
	.size	_ZL13mul_mat_vec_qIfLi32ELi4E12block_iq4_nlLi2EXadL_ZL19vec_dot_iq4_nl_q8_1PKvPK10block_q8_1RKiEEEvS2_S2_PT_iii, .Lfunc_end72-_ZL13mul_mat_vec_qIfLi32ELi4E12block_iq4_nlLi2EXadL_ZL19vec_dot_iq4_nl_q8_1PKvPK10block_q8_1RKiEEEvS2_S2_PT_iii
                                        ; -- End function
	.set _ZL13mul_mat_vec_qIfLi32ELi4E12block_iq4_nlLi2EXadL_ZL19vec_dot_iq4_nl_q8_1PKvPK10block_q8_1RKiEEEvS2_S2_PT_iii.num_vgpr, 45
	.set _ZL13mul_mat_vec_qIfLi32ELi4E12block_iq4_nlLi2EXadL_ZL19vec_dot_iq4_nl_q8_1PKvPK10block_q8_1RKiEEEvS2_S2_PT_iii.num_agpr, 0
	.set _ZL13mul_mat_vec_qIfLi32ELi4E12block_iq4_nlLi2EXadL_ZL19vec_dot_iq4_nl_q8_1PKvPK10block_q8_1RKiEEEvS2_S2_PT_iii.numbered_sgpr, 14
	.set _ZL13mul_mat_vec_qIfLi32ELi4E12block_iq4_nlLi2EXadL_ZL19vec_dot_iq4_nl_q8_1PKvPK10block_q8_1RKiEEEvS2_S2_PT_iii.num_named_barrier, 0
	.set _ZL13mul_mat_vec_qIfLi32ELi4E12block_iq4_nlLi2EXadL_ZL19vec_dot_iq4_nl_q8_1PKvPK10block_q8_1RKiEEEvS2_S2_PT_iii.private_seg_size, 0
	.set _ZL13mul_mat_vec_qIfLi32ELi4E12block_iq4_nlLi2EXadL_ZL19vec_dot_iq4_nl_q8_1PKvPK10block_q8_1RKiEEEvS2_S2_PT_iii.uses_vcc, 1
	.set _ZL13mul_mat_vec_qIfLi32ELi4E12block_iq4_nlLi2EXadL_ZL19vec_dot_iq4_nl_q8_1PKvPK10block_q8_1RKiEEEvS2_S2_PT_iii.uses_flat_scratch, 0
	.set _ZL13mul_mat_vec_qIfLi32ELi4E12block_iq4_nlLi2EXadL_ZL19vec_dot_iq4_nl_q8_1PKvPK10block_q8_1RKiEEEvS2_S2_PT_iii.has_dyn_sized_stack, 0
	.set _ZL13mul_mat_vec_qIfLi32ELi4E12block_iq4_nlLi2EXadL_ZL19vec_dot_iq4_nl_q8_1PKvPK10block_q8_1RKiEEEvS2_S2_PT_iii.has_recursion, 0
	.set _ZL13mul_mat_vec_qIfLi32ELi4E12block_iq4_nlLi2EXadL_ZL19vec_dot_iq4_nl_q8_1PKvPK10block_q8_1RKiEEEvS2_S2_PT_iii.has_indirect_call, 0
	.section	.AMDGPU.csdata,"",@progbits
; Kernel info:
; codeLenInByte = 1240
; TotalNumSgprs: 16
; NumVgprs: 45
; ScratchSize: 0
; MemoryBound: 0
; FloatMode: 240
; IeeeMode: 1
; LDSByteSize: 0 bytes/workgroup (compile time only)
; SGPRBlocks: 0
; VGPRBlocks: 2
; NumSGPRsForWavesPerEU: 16
; NumVGPRsForWavesPerEU: 45
; NamedBarCnt: 0
; Occupancy: 16
; WaveLimiterHint : 0
; COMPUTE_PGM_RSRC2:SCRATCH_EN: 0
; COMPUTE_PGM_RSRC2:USER_SGPR: 2
; COMPUTE_PGM_RSRC2:TRAP_HANDLER: 0
; COMPUTE_PGM_RSRC2:TGID_X_EN: 1
; COMPUTE_PGM_RSRC2:TGID_Y_EN: 1
; COMPUTE_PGM_RSRC2:TGID_Z_EN: 0
; COMPUTE_PGM_RSRC2:TIDIG_COMP_CNT: 1
	.section	.text._ZL13mul_mat_vec_qIfLi256ELi8E11block_iq3_sLi1EXadL_ZL18vec_dot_iq3_s_q8_1PKvPK10block_q8_1RKiEEEvS2_S2_PT_iii,"axG",@progbits,_ZL13mul_mat_vec_qIfLi256ELi8E11block_iq3_sLi1EXadL_ZL18vec_dot_iq3_s_q8_1PKvPK10block_q8_1RKiEEEvS2_S2_PT_iii,comdat
	.globl	_ZL13mul_mat_vec_qIfLi256ELi8E11block_iq3_sLi1EXadL_ZL18vec_dot_iq3_s_q8_1PKvPK10block_q8_1RKiEEEvS2_S2_PT_iii ; -- Begin function _ZL13mul_mat_vec_qIfLi256ELi8E11block_iq3_sLi1EXadL_ZL18vec_dot_iq3_s_q8_1PKvPK10block_q8_1RKiEEEvS2_S2_PT_iii
	.p2align	8
	.type	_ZL13mul_mat_vec_qIfLi256ELi8E11block_iq3_sLi1EXadL_ZL18vec_dot_iq3_s_q8_1PKvPK10block_q8_1RKiEEEvS2_S2_PT_iii,@function
_ZL13mul_mat_vec_qIfLi256ELi8E11block_iq3_sLi1EXadL_ZL18vec_dot_iq3_s_q8_1PKvPK10block_q8_1RKiEEEvS2_S2_PT_iii: ; @_ZL13mul_mat_vec_qIfLi256ELi8E11block_iq3_sLi1EXadL_ZL18vec_dot_iq3_s_q8_1PKvPK10block_q8_1RKiEEEvS2_S2_PT_iii
; %bb.0:
	s_clause 0x1
	s_load_u16 s2, s[0:1], 0x36
	s_load_b96 s[4:6], s[0:1], 0x18
	s_bfe_u32 s7, ttmp6, 0x4000c
	s_bfe_u32 s8, ttmp6, 0x40010
	s_add_co_i32 s7, s7, 1
	s_add_co_i32 s8, s8, 1
	s_and_b32 s3, ttmp6, 15
	s_mul_i32 s7, ttmp9, s7
	s_mul_i32 s8, ttmp7, s8
	s_bfe_u32 s9, ttmp6, 0x40004
	s_add_co_i32 s3, s3, s7
	s_getreg_b32 s7, hwreg(HW_REG_IB_STS2, 6, 4)
	s_add_co_i32 s9, s9, s8
	v_bfe_u32 v1, v0, 10, 10
	s_cmp_eq_u32 s7, 0
	s_cselect_b32 s3, ttmp9, s3
	s_cselect_b32 s8, ttmp7, s9
	s_wait_kmcnt 0x0
	v_mad_u32 v22, s3, s2, v1
	s_cmp_lt_u32 s8, s6
	s_cselect_b32 s2, -1, 0
	s_delay_alu instid0(VALU_DEP_1) | instskip(SKIP_1) | instid1(SALU_CYCLE_1)
	v_cmp_gt_u32_e32 vcc_lo, s5, v22
	s_and_b32 s2, s2, vcc_lo
	s_and_saveexec_b32 s3, s2
	s_cbranch_execz .LBB73_9
; %bb.1:
	s_load_b64 s[6:7], s[0:1], 0x10
	s_ashr_i32 s2, s4, 31
	v_bfe_u32 v24, v0, 3, 7
	s_lshr_b32 s2, s2, 24
	v_and_b32_e32 v23, 0x3ff, v0
	v_mov_b32_e32 v1, 0
	s_add_co_i32 s2, s4, s2
	s_mov_b32 s9, exec_lo
	s_ashr_i32 s10, s2, 8
	s_delay_alu instid0(SALU_CYCLE_1)
	v_cmpx_gt_u32_e64 s10, v24
	s_cbranch_execz .LBB73_7
; %bb.2:
	s_wait_xcnt 0x0
	s_load_b128 s[0:3], s[0:1], 0x0
	v_dual_mov_b32 v1, 0 :: v_dual_bitop2_b32 v2, 7, v23 bitop3:0x40
	v_lshlrev_b32_e32 v12, 2, v23
	v_mul_lo_u32 v25, v22, s10
	s_addk_co_i32 s4, 0x1ff
	s_delay_alu instid0(VALU_DEP_3)
	v_dual_mov_b32 v7, v1 :: v_dual_lshlrev_b32 v6, 2, v2
	v_lshlrev_b32_e32 v0, 3, v2
	s_ashr_i32 s11, s4, 31
	v_bfe_u32 v4, v23, 1, 2
	s_lshr_b32 s11, s11, 23
	v_dual_mov_b32 v3, v1 :: v_dual_mov_b32 v5, v1
	s_add_co_i32 s4, s4, s11
	v_add_nc_u32_e32 v26, v24, v25
	s_ashr_i32 s4, s4, 9
	s_delay_alu instid0(SALU_CYCLE_1)
	s_mul_i32 s4, s8, s4
	s_wait_kmcnt 0x0
	v_add_nc_u64_e32 v[8:9], s[0:1], v[6:7]
	v_add_nc_u64_e32 v[10:11], s[0:1], v[0:1]
	v_mad_nc_u64_u32 v[6:7], v2, 36, s[2:3]
	v_and_b32_e32 v0, 4, v12
	s_lshl_b32 s11, s4, 4
	s_mov_b32 s4, 0
	s_get_pc_i64 s[2:3]
	s_add_nc_u64 s[2:3], s[2:3], _ZL10iq3xs_grid@rel64+4
	v_add_nc_u64_e32 v[8:9], 0x4a, v[8:9]
	v_add_nc_u64_e32 v[10:11], 2, v[10:11]
.LBB73_3:                               ; =>This Loop Header: Depth=1
                                        ;     Child Loop BB73_4 Depth 2
	v_dual_mov_b32 v27, 0 :: v_dual_add_nc_u32 v12, v24, v25
	s_delay_alu instid0(VALU_DEP_3) | instskip(NEXT) | instid1(VALU_DEP_3)
	v_mad_nc_i64_i32 v[16:17], 0x6e, v26, v[8:9]
	v_mad_nc_i64_i32 v[18:19], 0x6e, v26, v[10:11]
	s_mov_b32 s12, 7
	s_delay_alu instid0(VALU_DEP_3) | instskip(NEXT) | instid1(VALU_DEP_1)
	v_mad_nc_i64_i32 v[12:13], 0x6e, v12, s[0:1]
	v_add_nc_u64_e32 v[14:15], v[12:13], v[2:3]
	global_load_u8 v28, v[14:15], off offset:66
	s_wait_xcnt 0x0
	v_lshl_add_u32 v14, v24, 3, s11
	s_delay_alu instid0(VALU_DEP_1) | instskip(NEXT) | instid1(VALU_DEP_1)
	v_mad_nc_i64_i32 v[14:15], v14, 36, v[6:7]
	v_add_nc_u64_e32 v[20:21], 4, v[14:15]
.LBB73_4:                               ;   Parent Loop BB73_3 Depth=1
                                        ; =>  This Inner Loop Header: Depth=2
	global_load_u16 v29, v[18:19], off
	s_add_co_i32 s13, s12, 1
	s_wait_loadcnt 0x1
	v_dual_lshlrev_b32 v30, s12, v28 :: v_dual_lshlrev_b32 v31, s13, v28
	global_load_u8 v32, v[16:17], off
	s_wait_xcnt 0x0
	v_add_nc_u64_e32 v[16:17], 1, v[16:17]
	v_add_nc_u64_e32 v[18:19], 2, v[18:19]
	s_add_co_i32 s12, s12, -2
	s_delay_alu instid0(SALU_CYCLE_1) | instskip(SKIP_3) | instid1(VALU_DEP_2)
	s_cmp_lg_u32 s12, -1
	s_wait_loadcnt 0x1
	v_lshrrev_b16 v33, 8, v29
	v_and_b32_e32 v29, 0xff, v29
	v_and_b32_e32 v33, 0xffff, v33
	s_delay_alu instid0(VALU_DEP_2) | instskip(NEXT) | instid1(VALU_DEP_2)
	v_and_or_b32 v29, 0x100, v31, v29
	v_and_or_b32 v33, 0x100, v30, v33
	s_clause 0x1
	global_load_b32 v34, v29, s[2:3] scale_offset
	global_load_b32 v35, v33, s[2:3] scale_offset
	global_load_b64 v[30:31], v[20:21], off
	s_wait_loadcnt 0x3
	s_wait_xcnt 0x2
	v_and_b32_e32 v29, 15, v32
	v_lshrrev_b16 v32, 4, v32
	s_wait_xcnt 0x0
	v_add_nc_u64_e32 v[20:21], 8, v[20:21]
	s_delay_alu instid0(VALU_DEP_2) | instskip(NEXT) | instid1(VALU_DEP_1)
	v_and_b32_e32 v32, 0xffff, v32
	v_mul_lo_u32 v32, 0x1010101, v32
	s_delay_alu instid0(VALU_DEP_1)
	v_bitop3_b32 v44, v32, 0x8040201, v32 bitop3:0xc
	v_bitop3_b32 v45, v32, 0x40000, v32 bitop3:0xc
	;; [unrolled: 1-line block ×4, first 2 shown]
	s_wait_loadcnt 0x0
	v_ashrrev_i32_e32 v37, 24, v30
	v_and_b32_e32 v29, 0xffff, v29
	v_lshrrev_b16 v33, 8, v30
	v_lshrrev_b16 v36, 8, v31
	v_bfe_i32 v40, v31, 16, 8
	v_bfe_i32 v38, v30, 16, 8
	v_mul_lo_u32 v29, 0x1010101, v29
	v_bfe_i32 v30, v30, 0, 8
	v_bfe_i32 v33, v33, 0, 8
	;; [unrolled: 1-line block ×3, first 2 shown]
	s_delay_alu instid0(VALU_DEP_4) | instskip(SKIP_3) | instid1(VALU_DEP_4)
	v_bitop3_b32 v41, v29, 0x8040201, v29 bitop3:0xc
	v_bitop3_b32 v42, v29, 0x40000, v29 bitop3:0xc
	;; [unrolled: 1-line block ×4, first 2 shown]
	v_cmp_gt_u32_e32 vcc_lo, 0x1000000, v41
	v_cndmask_b32_e64 v41, 0, -1, vcc_lo
	v_cmp_eq_u32_e32 vcc_lo, 0, v42
	v_ashrrev_i32_e32 v39, 24, v31
	v_bfe_i32 v31, v31, 0, 8
	s_delay_alu instid0(VALU_DEP_4)
	v_lshlrev_b32_e32 v41, 24, v41
	v_cndmask_b32_e64 v42, 0, 0xff0000, vcc_lo
	v_cmp_eq_u32_e32 vcc_lo, 0, v43
	v_cndmask_b32_e64 v43, 0, 0xff00, vcc_lo
	v_cmp_eq_u32_e32 vcc_lo, 0, v29
	v_cndmask_b32_e64 v29, 0, 0xff, vcc_lo
	v_cmp_gt_u32_e32 vcc_lo, 0x1000000, v44
	s_delay_alu instid0(VALU_DEP_2) | instskip(SKIP_2) | instid1(VALU_DEP_3)
	v_or3_b32 v47, v43, v29, v42
	v_cndmask_b32_e64 v44, 0, -1, vcc_lo
	v_cmp_eq_u32_e32 vcc_lo, 0, v45
	v_bitop3_b32 v34, v47, v34, v41 bitop3:0x36
	s_delay_alu instid0(VALU_DEP_3) | instskip(SKIP_2) | instid1(VALU_DEP_4)
	v_lshlrev_b32_e32 v44, 24, v44
	v_cndmask_b32_e64 v45, 0, 0xff0000, vcc_lo
	v_cmp_eq_u32_e32 vcc_lo, 0, v46
	v_dual_sub_nc_u32 v42, v34, v42 :: v_dual_sub_nc_u32 v29, v34, v29
	v_cndmask_b32_e64 v46, 0, 0xff00, vcc_lo
	v_cmp_eq_u32_e32 vcc_lo, 0, v32
	v_cndmask_b32_e64 v32, 0, 0xff, vcc_lo
	s_delay_alu instid0(VALU_DEP_1) | instskip(NEXT) | instid1(VALU_DEP_1)
	v_or3_b32 v48, v46, v32, v45
	v_bitop3_b32 v35, v48, v35, v44 bitop3:0x36
	v_dual_sub_nc_u32 v41, v34, v41 :: v_dual_sub_nc_u32 v34, v34, v43
	v_perm_b32 v29, v42, v29, 0xc060c00
	s_delay_alu instid0(VALU_DEP_3) | instskip(SKIP_1) | instid1(VALU_DEP_4)
	v_dual_sub_nc_u32 v42, v35, v45 :: v_dual_sub_nc_u32 v43, v35, v46
	v_sub_nc_u32_e32 v32, v35, v32
	v_dual_sub_nc_u32 v35, v35, v44 :: v_dual_ashrrev_i32 v41, 24, v41
	v_lshrrev_b16 v34, 8, v34
	s_delay_alu instid0(VALU_DEP_3) | instskip(SKIP_1) | instid1(VALU_DEP_4)
	v_perm_b32 v32, v42, v32, 0xc060c00
	v_lshrrev_b16 v42, 8, v43
	v_ashrrev_i32_e32 v35, 24, v35
	v_bfe_i32 v43, v29, 0, 8
	v_bfe_i32 v29, v29, 16, 8
	;; [unrolled: 1-line block ×6, first 2 shown]
	v_mul_i32_i24_e32 v35, v35, v39
	v_mul_i32_i24_e32 v39, v44, v40
	;; [unrolled: 1-line block ×6, first 2 shown]
	v_mad_i32_i24 v34, v41, v37, v35
	v_mad_i32_i24 v29, v29, v38, v39
	s_delay_alu instid0(VALU_DEP_2) | instskip(NEXT) | instid1(VALU_DEP_2)
	v_add3_u32 v32, v33, v32, v34
	v_add3_u32 v29, v30, v31, v29
	s_delay_alu instid0(VALU_DEP_1)
	v_add3_u32 v27, v29, v32, v27
	s_cbranch_scc1 .LBB73_4
; %bb.5:                                ;   in Loop: Header=BB73_3 Depth=1
	v_add_nc_u64_e32 v[16:17], v[12:13], v[4:5]
	s_clause 0x1
	global_load_u8 v18, v[16:17], off offset:106
	global_load_u16 v19, v[12:13], off
	global_load_b32 v20, v[14:15], off
	v_dual_add_nc_u32 v26, 4, v26 :: v_dual_add_nc_u32 v24, 4, v24
	s_delay_alu instid0(VALU_DEP_1)
	v_cmp_le_u32_e32 vcc_lo, s10, v24
	s_or_b32 s4, vcc_lo, s4
	s_wait_loadcnt 0x2
	s_wait_xcnt 0x1
	v_bfe_u32 v12, v18, v0, 4
	s_wait_loadcnt 0x1
	v_cvt_f32_f16_e32 v13, v19
	s_wait_loadcnt 0x0
	v_cvt_f32_f16_e32 v14, v20
	v_cvt_f32_ubyte0_e32 v12, v12
	s_delay_alu instid0(VALU_DEP_1) | instskip(NEXT) | instid1(VALU_DEP_1)
	v_add_f32_e32 v12, 0.5, v12
	v_mul_f32_e32 v12, v12, v13
	v_cvt_f32_i32_e32 v13, v27
	s_delay_alu instid0(VALU_DEP_2) | instskip(NEXT) | instid1(VALU_DEP_1)
	v_mul_f32_e32 v12, v12, v14
	v_mul_f32_e32 v12, 0.5, v12
	s_delay_alu instid0(VALU_DEP_1)
	v_fmac_f32_e32 v1, v12, v13
	s_and_not1_b32 exec_lo, exec_lo, s4
	s_cbranch_execnz .LBB73_3
; %bb.6:
	s_or_b32 exec_lo, exec_lo, s4
.LBB73_7:
	s_delay_alu instid0(SALU_CYCLE_1) | instskip(SKIP_1) | instid1(VALU_DEP_1)
	s_or_b32 exec_lo, exec_lo, s9
	v_mbcnt_lo_u32_b32 v0, -1, 0
	v_xor_b32_e32 v3, 8, v0
	v_xor_b32_e32 v2, 16, v0
	s_delay_alu instid0(VALU_DEP_1) | instskip(SKIP_1) | instid1(VALU_DEP_4)
	v_cmp_gt_i32_e32 vcc_lo, 32, v2
	v_cndmask_b32_e32 v2, v0, v2, vcc_lo
	v_cmp_gt_i32_e32 vcc_lo, 32, v3
	v_cndmask_b32_e32 v3, v0, v3, vcc_lo
	s_delay_alu instid0(VALU_DEP_1)
	v_dual_lshlrev_b32 v3, 2, v3 :: v_dual_lshlrev_b32 v2, 2, v2
	ds_bpermute_b32 v2, v2, v1
	s_wait_dscnt 0x0
	v_add_f32_e32 v1, v1, v2
	ds_bpermute_b32 v2, v3, v1
	v_xor_b32_e32 v3, 4, v0
	s_delay_alu instid0(VALU_DEP_1) | instskip(SKIP_2) | instid1(VALU_DEP_1)
	v_cmp_gt_i32_e32 vcc_lo, 32, v3
	s_wait_dscnt 0x0
	v_dual_cndmask_b32 v3, v0, v3, vcc_lo :: v_dual_add_f32 v1, v1, v2
	v_lshlrev_b32_e32 v3, 2, v3
	ds_bpermute_b32 v2, v3, v1
	s_wait_dscnt 0x0
	v_dual_add_f32 v1, v1, v2 :: v_dual_bitop2_b32 v3, 2, v0 bitop3:0x14
	s_delay_alu instid0(VALU_DEP_1) | instskip(SKIP_1) | instid1(VALU_DEP_1)
	v_cmp_gt_i32_e32 vcc_lo, 32, v3
	v_cndmask_b32_e32 v3, v0, v3, vcc_lo
	v_lshlrev_b32_e32 v3, 2, v3
	ds_bpermute_b32 v2, v3, v1
	v_xor_b32_e32 v3, 1, v0
	s_delay_alu instid0(VALU_DEP_1) | instskip(SKIP_3) | instid1(VALU_DEP_2)
	v_cmp_gt_i32_e32 vcc_lo, 32, v3
	v_cndmask_b32_e32 v3, v0, v3, vcc_lo
	v_cmp_eq_u32_e32 vcc_lo, 0, v23
	s_wait_dscnt 0x0
	v_dual_add_f32 v0, v1, v2 :: v_dual_lshlrev_b32 v1, 2, v3
	ds_bpermute_b32 v1, v1, v0
	s_and_b32 exec_lo, exec_lo, vcc_lo
	s_cbranch_execz .LBB73_9
; %bb.8:
	v_mad_u32 v2, s5, s8, v22
	s_wait_dscnt 0x0
	v_add_f32_e32 v0, v0, v1
	s_wait_kmcnt 0x0
	global_store_b32 v2, v0, s[6:7] scale_offset
.LBB73_9:
	s_endpgm
	.section	.rodata,"a",@progbits
	.p2align	6, 0x0
	.amdhsa_kernel _ZL13mul_mat_vec_qIfLi256ELi8E11block_iq3_sLi1EXadL_ZL18vec_dot_iq3_s_q8_1PKvPK10block_q8_1RKiEEEvS2_S2_PT_iii
		.amdhsa_group_segment_fixed_size 0
		.amdhsa_private_segment_fixed_size 0
		.amdhsa_kernarg_size 296
		.amdhsa_user_sgpr_count 2
		.amdhsa_user_sgpr_dispatch_ptr 0
		.amdhsa_user_sgpr_queue_ptr 0
		.amdhsa_user_sgpr_kernarg_segment_ptr 1
		.amdhsa_user_sgpr_dispatch_id 0
		.amdhsa_user_sgpr_kernarg_preload_length 0
		.amdhsa_user_sgpr_kernarg_preload_offset 0
		.amdhsa_user_sgpr_private_segment_size 0
		.amdhsa_wavefront_size32 1
		.amdhsa_uses_dynamic_stack 0
		.amdhsa_enable_private_segment 0
		.amdhsa_system_sgpr_workgroup_id_x 1
		.amdhsa_system_sgpr_workgroup_id_y 1
		.amdhsa_system_sgpr_workgroup_id_z 0
		.amdhsa_system_sgpr_workgroup_info 0
		.amdhsa_system_vgpr_workitem_id 1
		.amdhsa_next_free_vgpr 49
		.amdhsa_next_free_sgpr 14
		.amdhsa_named_barrier_count 0
		.amdhsa_reserve_vcc 1
		.amdhsa_float_round_mode_32 0
		.amdhsa_float_round_mode_16_64 0
		.amdhsa_float_denorm_mode_32 3
		.amdhsa_float_denorm_mode_16_64 3
		.amdhsa_fp16_overflow 0
		.amdhsa_memory_ordered 1
		.amdhsa_forward_progress 1
		.amdhsa_inst_pref_size 14
		.amdhsa_round_robin_scheduling 0
		.amdhsa_exception_fp_ieee_invalid_op 0
		.amdhsa_exception_fp_denorm_src 0
		.amdhsa_exception_fp_ieee_div_zero 0
		.amdhsa_exception_fp_ieee_overflow 0
		.amdhsa_exception_fp_ieee_underflow 0
		.amdhsa_exception_fp_ieee_inexact 0
		.amdhsa_exception_int_div_zero 0
	.end_amdhsa_kernel
	.section	.text._ZL13mul_mat_vec_qIfLi256ELi8E11block_iq3_sLi1EXadL_ZL18vec_dot_iq3_s_q8_1PKvPK10block_q8_1RKiEEEvS2_S2_PT_iii,"axG",@progbits,_ZL13mul_mat_vec_qIfLi256ELi8E11block_iq3_sLi1EXadL_ZL18vec_dot_iq3_s_q8_1PKvPK10block_q8_1RKiEEEvS2_S2_PT_iii,comdat
.Lfunc_end73:
	.size	_ZL13mul_mat_vec_qIfLi256ELi8E11block_iq3_sLi1EXadL_ZL18vec_dot_iq3_s_q8_1PKvPK10block_q8_1RKiEEEvS2_S2_PT_iii, .Lfunc_end73-_ZL13mul_mat_vec_qIfLi256ELi8E11block_iq3_sLi1EXadL_ZL18vec_dot_iq3_s_q8_1PKvPK10block_q8_1RKiEEEvS2_S2_PT_iii
                                        ; -- End function
	.set _ZL13mul_mat_vec_qIfLi256ELi8E11block_iq3_sLi1EXadL_ZL18vec_dot_iq3_s_q8_1PKvPK10block_q8_1RKiEEEvS2_S2_PT_iii.num_vgpr, 49
	.set _ZL13mul_mat_vec_qIfLi256ELi8E11block_iq3_sLi1EXadL_ZL18vec_dot_iq3_s_q8_1PKvPK10block_q8_1RKiEEEvS2_S2_PT_iii.num_agpr, 0
	.set _ZL13mul_mat_vec_qIfLi256ELi8E11block_iq3_sLi1EXadL_ZL18vec_dot_iq3_s_q8_1PKvPK10block_q8_1RKiEEEvS2_S2_PT_iii.numbered_sgpr, 14
	.set _ZL13mul_mat_vec_qIfLi256ELi8E11block_iq3_sLi1EXadL_ZL18vec_dot_iq3_s_q8_1PKvPK10block_q8_1RKiEEEvS2_S2_PT_iii.num_named_barrier, 0
	.set _ZL13mul_mat_vec_qIfLi256ELi8E11block_iq3_sLi1EXadL_ZL18vec_dot_iq3_s_q8_1PKvPK10block_q8_1RKiEEEvS2_S2_PT_iii.private_seg_size, 0
	.set _ZL13mul_mat_vec_qIfLi256ELi8E11block_iq3_sLi1EXadL_ZL18vec_dot_iq3_s_q8_1PKvPK10block_q8_1RKiEEEvS2_S2_PT_iii.uses_vcc, 1
	.set _ZL13mul_mat_vec_qIfLi256ELi8E11block_iq3_sLi1EXadL_ZL18vec_dot_iq3_s_q8_1PKvPK10block_q8_1RKiEEEvS2_S2_PT_iii.uses_flat_scratch, 0
	.set _ZL13mul_mat_vec_qIfLi256ELi8E11block_iq3_sLi1EXadL_ZL18vec_dot_iq3_s_q8_1PKvPK10block_q8_1RKiEEEvS2_S2_PT_iii.has_dyn_sized_stack, 0
	.set _ZL13mul_mat_vec_qIfLi256ELi8E11block_iq3_sLi1EXadL_ZL18vec_dot_iq3_s_q8_1PKvPK10block_q8_1RKiEEEvS2_S2_PT_iii.has_recursion, 0
	.set _ZL13mul_mat_vec_qIfLi256ELi8E11block_iq3_sLi1EXadL_ZL18vec_dot_iq3_s_q8_1PKvPK10block_q8_1RKiEEEvS2_S2_PT_iii.has_indirect_call, 0
	.section	.AMDGPU.csdata,"",@progbits
; Kernel info:
; codeLenInByte = 1684
; TotalNumSgprs: 16
; NumVgprs: 49
; ScratchSize: 0
; MemoryBound: 0
; FloatMode: 240
; IeeeMode: 1
; LDSByteSize: 0 bytes/workgroup (compile time only)
; SGPRBlocks: 0
; VGPRBlocks: 3
; NumSGPRsForWavesPerEU: 16
; NumVGPRsForWavesPerEU: 49
; NamedBarCnt: 0
; Occupancy: 16
; WaveLimiterHint : 0
; COMPUTE_PGM_RSRC2:SCRATCH_EN: 0
; COMPUTE_PGM_RSRC2:USER_SGPR: 2
; COMPUTE_PGM_RSRC2:TRAP_HANDLER: 0
; COMPUTE_PGM_RSRC2:TGID_X_EN: 1
; COMPUTE_PGM_RSRC2:TGID_Y_EN: 1
; COMPUTE_PGM_RSRC2:TGID_Z_EN: 0
; COMPUTE_PGM_RSRC2:TIDIG_COMP_CNT: 1
	.section	.text._ZL13mul_mat_vec_qIfLi256ELi8E11block_iq2_sLi1EXadL_ZL18vec_dot_iq2_s_q8_1PKvPK10block_q8_1RKiEEEvS2_S2_PT_iii,"axG",@progbits,_ZL13mul_mat_vec_qIfLi256ELi8E11block_iq2_sLi1EXadL_ZL18vec_dot_iq2_s_q8_1PKvPK10block_q8_1RKiEEEvS2_S2_PT_iii,comdat
	.globl	_ZL13mul_mat_vec_qIfLi256ELi8E11block_iq2_sLi1EXadL_ZL18vec_dot_iq2_s_q8_1PKvPK10block_q8_1RKiEEEvS2_S2_PT_iii ; -- Begin function _ZL13mul_mat_vec_qIfLi256ELi8E11block_iq2_sLi1EXadL_ZL18vec_dot_iq2_s_q8_1PKvPK10block_q8_1RKiEEEvS2_S2_PT_iii
	.p2align	8
	.type	_ZL13mul_mat_vec_qIfLi256ELi8E11block_iq2_sLi1EXadL_ZL18vec_dot_iq2_s_q8_1PKvPK10block_q8_1RKiEEEvS2_S2_PT_iii,@function
_ZL13mul_mat_vec_qIfLi256ELi8E11block_iq2_sLi1EXadL_ZL18vec_dot_iq2_s_q8_1PKvPK10block_q8_1RKiEEEvS2_S2_PT_iii: ; @_ZL13mul_mat_vec_qIfLi256ELi8E11block_iq2_sLi1EXadL_ZL18vec_dot_iq2_s_q8_1PKvPK10block_q8_1RKiEEEvS2_S2_PT_iii
; %bb.0:
	s_clause 0x1
	s_load_u16 s2, s[0:1], 0x36
	s_load_b96 s[4:6], s[0:1], 0x18
	s_bfe_u32 s7, ttmp6, 0x4000c
	s_bfe_u32 s8, ttmp6, 0x40010
	s_add_co_i32 s7, s7, 1
	s_add_co_i32 s8, s8, 1
	s_and_b32 s3, ttmp6, 15
	s_mul_i32 s7, ttmp9, s7
	s_mul_i32 s8, ttmp7, s8
	s_bfe_u32 s9, ttmp6, 0x40004
	s_add_co_i32 s3, s3, s7
	s_getreg_b32 s7, hwreg(HW_REG_IB_STS2, 6, 4)
	s_add_co_i32 s9, s9, s8
	v_bfe_u32 v1, v0, 10, 10
	s_cmp_eq_u32 s7, 0
	s_cselect_b32 s3, ttmp9, s3
	s_cselect_b32 s8, ttmp7, s9
	s_wait_kmcnt 0x0
	v_mad_u32 v14, s3, s2, v1
	s_cmp_lt_u32 s8, s6
	s_cselect_b32 s2, -1, 0
	s_delay_alu instid0(VALU_DEP_1) | instskip(SKIP_1) | instid1(SALU_CYCLE_1)
	v_cmp_gt_u32_e32 vcc_lo, s5, v14
	s_and_b32 s2, s2, vcc_lo
	s_and_saveexec_b32 s3, s2
	s_cbranch_execz .LBB74_7
; %bb.1:
	s_load_b64 s[6:7], s[0:1], 0x10
	s_ashr_i32 s2, s4, 31
	v_bfe_u32 v16, v0, 3, 7
	s_lshr_b32 s2, s2, 24
	v_and_b32_e32 v15, 0x3ff, v0
	v_mov_b32_e32 v17, 0
	s_add_co_i32 s2, s4, s2
	s_mov_b32 s9, exec_lo
	s_ashr_i32 s10, s2, 8
	s_delay_alu instid0(SALU_CYCLE_1)
	v_cmpx_gt_u32_e64 s10, v16
	s_cbranch_execz .LBB74_5
; %bb.2:
	s_wait_xcnt 0x0
	s_load_b128 s[0:3], s[0:1], 0x0
	s_addk_co_i32 s4, 0x1ff
	v_dual_mov_b32 v5, 0 :: v_dual_bitop2_b32 v4, 7, v15 bitop3:0x40
	s_ashr_i32 s11, s4, 31
	v_mul_lo_u32 v18, v14, s10
	s_lshr_b32 s11, s11, 23
	s_delay_alu instid0(VALU_DEP_2)
	v_dual_mov_b32 v9, v5 :: v_dual_lshlrev_b32 v0, 3, v16
	s_add_co_i32 s4, s4, s11
	v_dual_mov_b32 v17, v5 :: v_dual_lshlrev_b32 v8, 2, v4
	s_ashr_i32 s4, s4, 9
	s_wait_kmcnt 0x0
	v_mad_nc_u64_u32 v[6:7], v4, 36, s[2:3]
	s_mul_i32 s2, s8, s4
	s_mov_b32 s4, 0
	v_lshl_add_u32 v19, s2, 4, v0
	s_get_pc_i64 s[2:3]
	s_add_nc_u64 s[2:3], s[2:3], _ZL9iq2s_grid@rel64+4
.LBB74_3:                               ; =>This Inner Loop Header: Depth=1
	v_add_nc_u32_e32 v0, v18, v16
	s_delay_alu instid0(VALU_DEP_2) | instskip(SKIP_1) | instid1(VALU_DEP_3)
	v_mad_nc_i64_i32 v[10:11], v19, 36, v[6:7]
	v_dual_add_nc_u32 v16, 4, v16 :: v_dual_add_nc_u32 v19, 32, v19
	v_mad_nc_i64_i32 v[12:13], 0x52, v0, s[0:1]
	s_delay_alu instid0(VALU_DEP_1)
	v_add_nc_u64_e32 v[0:1], v[12:13], v[8:9]
	v_add_nc_u64_e32 v[2:3], v[12:13], v[4:5]
	s_clause 0x3
	global_load_u8 v21, v[2:3], off offset:74
	global_load_u8 v31, v[2:3], off offset:66
	global_load_b32 v42, v[0:1], off offset:2
	global_load_b32 v34, v[0:1], off offset:34
	s_wait_loadcnt 0x2
	s_wait_xcnt 0x2
	v_lshlrev_b32_e32 v3, 8, v31
	s_wait_loadcnt 0x1
	v_and_b32_e32 v2, 0xff, v42
	s_wait_loadcnt 0x0
	v_dual_lshrrev_b32 v20, 24, v34 :: v_dual_bitop2_b32 v0, 15, v34 bitop3:0x40
	v_lshrrev_b32_e32 v30, 8, v34
	v_lshrrev_b32_e32 v32, 24, v42
	v_and_or_b32 v2, 0x300, v3, v2
	s_delay_alu instid0(VALU_DEP_4) | instskip(SKIP_2) | instid1(VALU_DEP_3)
	v_lshrrev_b16 v20, 4, v20
	v_mul_lo_u32 v0, 0x1010101, v0
	v_lshrrev_b16 v30, 4, v30
	v_and_b32_e32 v20, 0xffff, v20
	s_delay_alu instid0(VALU_DEP_2) | instskip(NEXT) | instid1(VALU_DEP_2)
	v_and_b32_e32 v30, 15, v30
	v_mul_lo_u32 v20, 0x1010101, v20
	v_bitop3_b32 v1, v0, 0x8040201, v0 bitop3:0xc
	s_delay_alu instid0(VALU_DEP_3) | instskip(NEXT) | instid1(VALU_DEP_2)
	v_and_b32_e32 v30, 0xffff, v30
	v_cmp_gt_u32_e32 vcc_lo, 0x1000000, v1
	s_delay_alu instid0(VALU_DEP_2) | instskip(SKIP_1) | instid1(VALU_DEP_1)
	v_mul_lo_u32 v30, 0x1010101, v30
	v_cndmask_b32_e64 v1, 0, -1, vcc_lo
	v_lshlrev_b32_e32 v3, 24, v1
	v_bitop3_b32 v1, v0, 0x40000, v0 bitop3:0xc
	s_delay_alu instid0(VALU_DEP_4) | instskip(NEXT) | instid1(VALU_DEP_2)
	v_bitop3_b32 v40, v30, 0x8040201, v30 bitop3:0xc
	v_cmp_eq_u32_e32 vcc_lo, 0, v1
	v_bitop3_b32 v1, v0, 0x200, v0 bitop3:0xc
	v_bitop3_b32 v0, v0, 1, v0 bitop3:0xc
	v_cndmask_b32_e64 v22, 0, 0xff0000, vcc_lo
	s_delay_alu instid0(VALU_DEP_3) | instskip(SKIP_1) | instid1(VALU_DEP_4)
	v_cmp_eq_u32_e32 vcc_lo, 0, v1
	v_cndmask_b32_e64 v24, 0, 0xff00, vcc_lo
	v_cmp_eq_u32_e32 vcc_lo, 0, v0
	v_lshrrev_b16 v0, 4, v34
	v_cndmask_b32_e64 v25, 0, 0xff, vcc_lo
	s_delay_alu instid0(VALU_DEP_2) | instskip(NEXT) | instid1(VALU_DEP_2)
	v_and_b32_e32 v0, 15, v0
	v_or3_b32 v23, v24, v25, v22
	s_delay_alu instid0(VALU_DEP_2) | instskip(NEXT) | instid1(VALU_DEP_1)
	v_and_b32_e32 v0, 0xffff, v0
	v_mul_lo_u32 v0, 0x1010101, v0
	s_delay_alu instid0(VALU_DEP_1) | instskip(NEXT) | instid1(VALU_DEP_1)
	v_bitop3_b32 v1, v0, 0x8040201, v0 bitop3:0xc
	v_cmp_gt_u32_e32 vcc_lo, 0x1000000, v1
	v_cndmask_b32_e64 v1, 0, -1, vcc_lo
	s_delay_alu instid0(VALU_DEP_1) | instskip(SKIP_1) | instid1(VALU_DEP_1)
	v_lshlrev_b32_e32 v27, 24, v1
	v_bitop3_b32 v1, v0, 0x40000, v0 bitop3:0xc
	v_cmp_eq_u32_e32 vcc_lo, 0, v1
	v_bitop3_b32 v1, v0, 0x200, v0 bitop3:0xc
	v_bitop3_b32 v0, v0, 1, v0 bitop3:0xc
	v_cndmask_b32_e64 v29, 0, 0xff0000, vcc_lo
	s_delay_alu instid0(VALU_DEP_3) | instskip(SKIP_1) | instid1(VALU_DEP_4)
	v_cmp_eq_u32_e32 vcc_lo, 0, v1
	v_cndmask_b32_e64 v33, 0, 0xff00, vcc_lo
	v_cmp_eq_u32_e32 vcc_lo, 0, v0
	global_load_b64 v[0:1], v2, s[2:3] scale_offset
	v_cndmask_b32_e64 v35, 0, 0xff, vcc_lo
	s_delay_alu instid0(VALU_DEP_1) | instskip(SKIP_2) | instid1(VALU_DEP_1)
	v_or3_b32 v36, v33, v35, v29
	s_wait_loadcnt 0x0
	v_bitop3_b32 v0, v23, v0, v3 bitop3:0x36
	v_dual_sub_nc_u32 v23, v0, v3 :: v_dual_sub_nc_u32 v2, v0, v22
	v_dual_sub_nc_u32 v22, v0, v24 :: v_dual_sub_nc_u32 v26, v0, v25
	v_bitop3_b32 v0, v36, v1, v27 bitop3:0x36
	s_delay_alu instid0(VALU_DEP_1) | instskip(SKIP_4) | instid1(VALU_DEP_4)
	v_dual_sub_nc_u32 v25, v0, v27 :: v_dual_sub_nc_u32 v1, v0, v29
	v_dual_sub_nc_u32 v27, v0, v35 :: v_dual_sub_nc_u32 v24, v0, v33
	v_lshlrev_b32_e32 v35, 6, v31
	v_bfe_u32 v33, v42, 8, 8
	v_perm_b32 v28, v2, v26, 0xc060c00
	v_perm_b32 v29, v1, v27, 0xc060c00
	global_load_b128 v[0:3], v[10:11], off offset:4
	v_perm_b32 v26, v26, v27, 0xc0c0400
	v_and_or_b32 v33, 0x300, v35, v33
	v_bfe_u32 v35, v34, 8, 4
	v_perm_b32 v28, v28, v29, 0xc0c0602
	v_perm_b32 v23, v23, v25, 0xc0c0703
	;; [unrolled: 1-line block ×3, first 2 shown]
	s_delay_alu instid0(VALU_DEP_4) | instskip(NEXT) | instid1(VALU_DEP_1)
	v_mul_lo_u32 v35, 0x1010101, v35
	v_bitop3_b32 v36, v35, 0x8040201, v35 bitop3:0xc
	v_bitop3_b32 v37, v35, 0x40000, v35 bitop3:0xc
	;; [unrolled: 1-line block ×4, first 2 shown]
	s_delay_alu instid0(VALU_DEP_4) | instskip(SKIP_2) | instid1(VALU_DEP_2)
	v_cmp_gt_u32_e32 vcc_lo, 0x1000000, v36
	v_cndmask_b32_e64 v36, 0, -1, vcc_lo
	v_cmp_eq_u32_e32 vcc_lo, 0, v37
	v_lshlrev_b32_e32 v36, 24, v36
	v_cndmask_b32_e64 v37, 0, 0xff0000, vcc_lo
	v_cmp_eq_u32_e32 vcc_lo, 0, v38
	v_cndmask_b32_e64 v38, 0, 0xff00, vcc_lo
	v_cmp_eq_u32_e32 vcc_lo, 0, v35
	v_cndmask_b32_e64 v35, 0, 0xff, vcc_lo
	v_cmp_gt_u32_e32 vcc_lo, 0x1000000, v40
	s_delay_alu instid0(VALU_DEP_2) | instskip(SKIP_1) | instid1(VALU_DEP_1)
	v_or3_b32 v39, v38, v35, v37
	v_cndmask_b32_e64 v40, 0, -1, vcc_lo
	v_lshlrev_b32_e32 v43, 24, v40
	v_bitop3_b32 v40, v30, 0x40000, v30 bitop3:0xc
	s_delay_alu instid0(VALU_DEP_1) | instskip(SKIP_3) | instid1(VALU_DEP_3)
	v_cmp_eq_u32_e32 vcc_lo, 0, v40
	v_bitop3_b32 v40, v30, 0x200, v30 bitop3:0xc
	v_bitop3_b32 v30, v30, 1, v30 bitop3:0xc
	v_cndmask_b32_e64 v44, 0, 0xff0000, vcc_lo
	v_cmp_eq_u32_e32 vcc_lo, 0, v40
	global_load_b64 v[40:41], v33, s[2:3] scale_offset
	v_cndmask_b32_e64 v45, 0, 0xff00, vcc_lo
	v_cmp_eq_u32_e32 vcc_lo, 0, v30
	v_cndmask_b32_e64 v46, 0, 0xff, vcc_lo
	s_delay_alu instid0(VALU_DEP_1) | instskip(SKIP_2) | instid1(VALU_DEP_1)
	v_or3_b32 v47, v45, v46, v44
	s_wait_loadcnt 0x0
	v_bitop3_b32 v39, v39, v40, v36 bitop3:0x36
	v_dual_sub_nc_u32 v33, v39, v36 :: v_dual_sub_nc_u32 v30, v39, v38
	v_sub_nc_u32_e32 v36, v39, v37
	v_bitop3_b32 v38, v47, v41, v43 bitop3:0x36
	v_sub_nc_u32_e32 v37, v39, v35
	v_bfe_u32 v41, v42, 16, 8
	v_dual_lshlrev_b32 v42, 4, v31 :: v_dual_lshlrev_b32 v31, 2, v31
	s_delay_alu instid0(VALU_DEP_4) | instskip(NEXT) | instid1(VALU_DEP_4)
	v_sub_nc_u32_e32 v40, v38, v44
	v_perm_b32 v39, v36, v37, 0xc060c00
	v_dual_sub_nc_u32 v36, v38, v43 :: v_dual_sub_nc_u32 v35, v38, v45
	v_sub_nc_u32_e32 v38, v38, v46
	v_and_or_b32 v41, 0x300, v42, v41
	v_bfe_u32 v42, v34, 16, 4
	v_and_or_b32 v31, 0x300, v31, v32
	v_bfe_u32 v32, v34, 24, 4
	v_perm_b32 v40, v40, v38, 0xc060c00
	v_perm_b32 v27, v38, v37, 0x4000c0c
	v_mul_lo_u32 v42, 0x1010101, v42
	v_perm_b32 v25, v36, v33, 0x7030c0c
	v_mul_lo_u32 v32, 0x1010101, v32
	v_perm_b32 v29, v40, v39, 0x6020c0c
	v_or_b32_e32 v26, v27, v26
	v_perm_b32 v24, v35, v30, 0x5010c0c
	v_or_b32_e32 v23, v25, v23
	s_delay_alu instid0(VALU_DEP_4) | instskip(NEXT) | instid1(VALU_DEP_3)
	v_or_b32_e32 v28, v29, v28
	v_or_b32_e32 v22, v24, v22
	v_bitop3_b32 v43, v42, 0x8040201, v42 bitop3:0xc
	s_delay_alu instid0(VALU_DEP_1) | instskip(SKIP_1) | instid1(VALU_DEP_1)
	v_cmp_gt_u32_e32 vcc_lo, 0x1000000, v43
	v_cndmask_b32_e64 v43, 0, -1, vcc_lo
	v_lshlrev_b32_e32 v44, 24, v43
	v_bitop3_b32 v43, v42, 0x40000, v42 bitop3:0xc
	s_delay_alu instid0(VALU_DEP_1) | instskip(SKIP_3) | instid1(VALU_DEP_3)
	v_cmp_eq_u32_e32 vcc_lo, 0, v43
	v_bitop3_b32 v43, v42, 0x200, v42 bitop3:0xc
	v_bitop3_b32 v42, v42, 1, v42 bitop3:0xc
	v_cndmask_b32_e64 v45, 0, 0xff0000, vcc_lo
	v_cmp_eq_u32_e32 vcc_lo, 0, v43
	v_cndmask_b32_e64 v46, 0, 0xff00, vcc_lo
	s_delay_alu instid0(VALU_DEP_4) | instskip(SKIP_3) | instid1(VALU_DEP_3)
	v_cmp_eq_u32_e32 vcc_lo, 0, v42
	v_bfe_u32 v42, v34, 20, 4
	v_bitop3_b32 v34, v32, 0x8040201, v32 bitop3:0xc
	v_cndmask_b32_e64 v47, 0, 0xff, vcc_lo
	v_mul_lo_u32 v42, 0x1010101, v42
	s_delay_alu instid0(VALU_DEP_2) | instskip(NEXT) | instid1(VALU_DEP_2)
	v_or3_b32 v48, v46, v47, v45
	v_bitop3_b32 v43, v42, 0x8040201, v42 bitop3:0xc
	s_delay_alu instid0(VALU_DEP_1) | instskip(SKIP_1) | instid1(VALU_DEP_1)
	v_cmp_gt_u32_e32 vcc_lo, 0x1000000, v43
	v_cndmask_b32_e64 v43, 0, -1, vcc_lo
	v_lshlrev_b32_e32 v49, 24, v43
	v_bitop3_b32 v43, v42, 0x40000, v42 bitop3:0xc
	s_delay_alu instid0(VALU_DEP_1) | instskip(SKIP_3) | instid1(VALU_DEP_3)
	v_cmp_eq_u32_e32 vcc_lo, 0, v43
	v_bitop3_b32 v43, v42, 0x200, v42 bitop3:0xc
	v_bitop3_b32 v42, v42, 1, v42 bitop3:0xc
	v_cndmask_b32_e64 v50, 0, 0xff0000, vcc_lo
	v_cmp_eq_u32_e32 vcc_lo, 0, v43
	v_cndmask_b32_e64 v51, 0, 0xff00, vcc_lo
	s_delay_alu instid0(VALU_DEP_4) | instskip(SKIP_3) | instid1(VALU_DEP_2)
	v_cmp_eq_u32_e32 vcc_lo, 0, v42
	global_load_b64 v[42:43], v41, s[2:3] scale_offset
	v_cndmask_b32_e64 v52, 0, 0xff, vcc_lo
	v_cmp_gt_u32_e32 vcc_lo, 0x1000000, v34
	v_or3_b32 v53, v51, v52, v50
	v_cndmask_b32_e64 v34, 0, -1, vcc_lo
	s_delay_alu instid0(VALU_DEP_1) | instskip(SKIP_2) | instid1(VALU_DEP_1)
	v_lshlrev_b32_e32 v34, 24, v34
	s_wait_loadcnt 0x0
	v_bitop3_b32 v41, v48, v42, v44 bitop3:0x36
	v_sub_nc_u32_e32 v54, v41, v46
	v_bitop3_b32 v46, v32, 0x40000, v32 bitop3:0xc
	v_dual_sub_nc_u32 v48, v41, v44 :: v_dual_sub_nc_u32 v42, v41, v45
	v_sub_nc_u32_e32 v41, v41, v47
	s_delay_alu instid0(VALU_DEP_3) | instskip(SKIP_2) | instid1(VALU_DEP_4)
	v_cmp_eq_u32_e32 vcc_lo, 0, v46
	v_bitop3_b32 v46, v32, 0x200, v32 bitop3:0xc
	v_bitop3_b32 v32, v32, 1, v32 bitop3:0xc
	v_perm_b32 v55, v42, v41, 0xc060c00
	v_bitop3_b32 v42, v53, v43, v49 bitop3:0x36
	v_cndmask_b32_e64 v53, 0, 0xff0000, vcc_lo
	v_cmp_eq_u32_e32 vcc_lo, 0, v46
	v_bitop3_b32 v46, v20, 0x8040201, v20 bitop3:0xc
	s_delay_alu instid0(VALU_DEP_4)
	v_dual_sub_nc_u32 v49, v42, v49 :: v_dual_sub_nc_u32 v43, v42, v50
	v_cndmask_b32_e64 v56, 0, 0xff00, vcc_lo
	v_cmp_eq_u32_e32 vcc_lo, 0, v32
	v_dual_sub_nc_u32 v50, v42, v51 :: v_dual_sub_nc_u32 v51, v42, v52
	v_cndmask_b32_e64 v32, 0, 0xff, vcc_lo
	v_cmp_gt_u32_e32 vcc_lo, 0x1000000, v46
	s_delay_alu instid0(VALU_DEP_3)
	v_perm_b32 v52, v43, v51, 0xc060c00
	s_clause 0x1
	global_load_b128 v[42:45], v[10:11], off offset:20
	global_load_b32 v10, v[10:11], off
	v_or3_b32 v57, v56, v32, v53
	v_cndmask_b32_e64 v46, 0, -1, vcc_lo
	v_perm_b32 v52, v55, v52, 0xc0c0602
	v_perm_b32 v41, v41, v51, 0xc0c0400
	;; [unrolled: 1-line block ×4, first 2 shown]
	v_lshlrev_b32_e32 v58, 24, v46
	v_bitop3_b32 v46, v20, 0x40000, v20 bitop3:0xc
	v_perm_b32 v25, v0, v1, 0xc0c0703
	v_perm_b32 v0, v0, v1, 0xc0c0501
	;; [unrolled: 1-line block ×3, first 2 shown]
	s_delay_alu instid0(VALU_DEP_4) | instskip(SKIP_2) | instid1(VALU_DEP_4)
	v_cmp_eq_u32_e32 vcc_lo, 0, v46
	v_bitop3_b32 v46, v20, 0x200, v20 bitop3:0xc
	v_bitop3_b32 v20, v20, 1, v20 bitop3:0xc
	v_or_b32_e32 v0, v1, v0
	v_lshrrev_b16 v1, 4, v21
	v_cndmask_b32_e64 v59, 0, 0xff0000, vcc_lo
	v_cmp_eq_u32_e32 vcc_lo, 0, v46
	global_load_b64 v[46:47], v31, s[2:3] scale_offset
	v_dot4_i32_iu8 v0, v22, v0, 0 neg_lo:[1,1,0]
	s_wait_xcnt 0x1
	v_cvt_f32_ubyte0_e32 v11, v1
	v_cndmask_b32_e64 v60, 0, 0xff00, vcc_lo
	v_cmp_eq_u32_e32 vcc_lo, 0, v20
	v_cndmask_b32_e64 v20, 0, 0xff, vcc_lo
	v_cmp_le_u32_e32 vcc_lo, s10, v16
	s_delay_alu instid0(VALU_DEP_2)
	v_or3_b32 v61, v60, v20, v59
	s_or_b32 s4, vcc_lo, s4
	s_wait_loadcnt 0x1
	v_cvt_f32_f16_e32 v10, v10
	s_wait_loadcnt 0x0
	v_bitop3_b32 v31, v57, v46, v34 bitop3:0x36
	s_delay_alu instid0(VALU_DEP_1) | instskip(SKIP_2) | instid1(VALU_DEP_1)
	v_dual_sub_nc_u32 v34, v31, v34 :: v_dual_sub_nc_u32 v46, v31, v53
	v_sub_nc_u32_e32 v53, v31, v56
	v_sub_nc_u32_e32 v31, v31, v32
	v_perm_b32 v32, v46, v31, 0xc060c00
	v_bitop3_b32 v46, v61, v47, v58 bitop3:0x36
	s_delay_alu instid0(VALU_DEP_1) | instskip(SKIP_1) | instid1(VALU_DEP_1)
	v_dual_sub_nc_u32 v56, v46, v59 :: v_dual_sub_nc_u32 v57, v46, v60
	v_dual_sub_nc_u32 v20, v46, v20 :: v_dual_sub_nc_u32 v47, v46, v58
	v_perm_b32 v46, v56, v20, 0xc060c00
	s_delay_alu instid0(VALU_DEP_2) | instskip(NEXT) | instid1(VALU_DEP_2)
	v_perm_b32 v34, v47, v34, 0x7030c0c
	v_perm_b32 v32, v46, v32, 0x6020c0c
	;; [unrolled: 1-line block ×3, first 2 shown]
	s_delay_alu instid0(VALU_DEP_2) | instskip(SKIP_1) | instid1(VALU_DEP_1)
	v_or_b32_e32 v32, v32, v52
	v_perm_b32 v52, v45, v44, 0x6020c0c
	v_or_b32_e32 v46, v52, v46
	v_perm_b32 v20, v20, v31, 0x4000c0c
	v_perm_b32 v31, v42, v43, 0xc0c0400
	s_delay_alu instid0(VALU_DEP_2) | instskip(SKIP_1) | instid1(VALU_DEP_1)
	v_or_b32_e32 v20, v20, v41
	v_perm_b32 v41, v45, v44, 0x4000c0c
	v_or_b32_e32 v31, v41, v31
	v_perm_b32 v41, v45, v44, 0x7030c0c
	s_delay_alu instid0(VALU_DEP_2) | instskip(SKIP_1) | instid1(VALU_DEP_1)
	v_dot4_i32_iu8 v20, v20, v31, 0 neg_lo:[1,1,0]
	v_perm_b32 v31, v48, v49, 0xc0c0703
	v_or_b32_e32 v31, v34, v31
	v_perm_b32 v34, v42, v43, 0xc0c0703
	s_delay_alu instid0(VALU_DEP_1) | instskip(SKIP_1) | instid1(VALU_DEP_2)
	v_or_b32_e32 v34, v41, v34
	v_perm_b32 v41, v57, v53, 0x5010c0c
	v_dot4_i32_iu8 v31, v31, v34, 0 neg_lo:[1,1,0]
	v_perm_b32 v34, v54, v50, 0xc0c0501
	s_delay_alu instid0(VALU_DEP_1) | instskip(SKIP_2) | instid1(VALU_DEP_1)
	v_or_b32_e32 v34, v41, v34
	v_perm_b32 v41, v42, v43, 0xc0c0501
	v_perm_b32 v42, v45, v44, 0x5010c0c
	v_or_b32_e32 v41, v42, v41
	s_delay_alu instid0(VALU_DEP_1) | instskip(NEXT) | instid1(VALU_DEP_1)
	v_dot4_i32_iu8 v34, v34, v41, 0 neg_lo:[1,1,0]
	v_add_nc_u32_e32 v31, v34, v31
	v_dot4_i32_iu8 v32, v32, v46, 0 neg_lo:[1,1,0]
	s_delay_alu instid0(VALU_DEP_1) | instskip(SKIP_1) | instid1(VALU_DEP_2)
	v_add3_u32 v20, v20, v32, v31
	v_perm_b32 v31, v3, v2, 0x6020c0c
	v_cvt_f32_i32_e32 v1, v20
	s_delay_alu instid0(VALU_DEP_2) | instskip(NEXT) | instid1(VALU_DEP_1)
	v_or_b32_e32 v29, v31, v29
	v_dot4_i32_iu8 v28, v28, v29, 0 neg_lo:[1,1,0]
	v_perm_b32 v29, v3, v2, 0x4000c0c
	s_delay_alu instid0(VALU_DEP_1) | instskip(NEXT) | instid1(VALU_DEP_1)
	v_or_b32_e32 v27, v29, v27
	v_dot4_i32_iu8 v26, v26, v27, 0 neg_lo:[1,1,0]
	v_perm_b32 v27, v3, v2, 0x7030c0c
	global_load_u16 v3, v[12:13], off
	v_and_b32_e32 v2, 15, v21
	v_or_b32_e32 v25, v27, v25
	s_delay_alu instid0(VALU_DEP_1) | instskip(NEXT) | instid1(VALU_DEP_1)
	v_dot4_i32_iu8 v23, v23, v25, 0 neg_lo:[1,1,0]
	v_add_nc_u32_e32 v0, v0, v23
	s_delay_alu instid0(VALU_DEP_1) | instskip(NEXT) | instid1(VALU_DEP_1)
	v_add3_u32 v0, v26, v28, v0
	v_cvt_f32_i32_e32 v0, v0
	s_wait_loadcnt 0x0
	v_cvt_f32_f16_e32 v3, v3
	s_delay_alu instid0(VALU_DEP_1) | instskip(SKIP_1) | instid1(VALU_DEP_2)
	v_mul_f32_e32 v3, v3, v10
	v_cvt_f32_ubyte0_e32 v10, v2
	v_mul_f32_e32 v3, 0x3e800000, v3
	s_delay_alu instid0(VALU_DEP_2) | instskip(NEXT) | instid1(VALU_DEP_1)
	v_pk_add_f32 v[10:11], v[10:11], 0.5 op_sel_hi:[1,0]
	v_pk_mul_f32 v[0:1], v[10:11], v[0:1]
	s_delay_alu instid0(VALU_DEP_1) | instskip(NEXT) | instid1(VALU_DEP_1)
	v_add_f32_e32 v0, v0, v1
	v_fmac_f32_e32 v17, v3, v0
	s_and_not1_b32 exec_lo, exec_lo, s4
	s_cbranch_execnz .LBB74_3
; %bb.4:
	s_or_b32 exec_lo, exec_lo, s4
.LBB74_5:
	s_delay_alu instid0(SALU_CYCLE_1) | instskip(SKIP_1) | instid1(VALU_DEP_1)
	s_or_b32 exec_lo, exec_lo, s9
	v_mbcnt_lo_u32_b32 v0, -1, 0
	v_xor_b32_e32 v2, 8, v0
	v_xor_b32_e32 v1, 16, v0
	;; [unrolled: 1-line block ×3, first 2 shown]
	s_delay_alu instid0(VALU_DEP_2) | instskip(SKIP_4) | instid1(VALU_DEP_2)
	v_cmp_gt_i32_e32 vcc_lo, 32, v1
	v_cndmask_b32_e32 v1, v0, v1, vcc_lo
	v_cmp_gt_i32_e32 vcc_lo, 32, v2
	v_cndmask_b32_e32 v2, v0, v2, vcc_lo
	v_cmp_gt_i32_e32 vcc_lo, 32, v3
	v_dual_lshlrev_b32 v2, 2, v2 :: v_dual_lshlrev_b32 v1, 2, v1
	ds_bpermute_b32 v1, v1, v17
	s_wait_dscnt 0x0
	v_add_f32_e32 v1, v17, v1
	ds_bpermute_b32 v2, v2, v1
	s_wait_dscnt 0x0
	v_dual_cndmask_b32 v3, v0, v3, vcc_lo :: v_dual_add_f32 v1, v1, v2
	s_delay_alu instid0(VALU_DEP_1) | instskip(SKIP_3) | instid1(VALU_DEP_1)
	v_lshlrev_b32_e32 v3, 2, v3
	ds_bpermute_b32 v2, v3, v1
	s_wait_dscnt 0x0
	v_dual_add_f32 v1, v1, v2 :: v_dual_bitop2_b32 v3, 2, v0 bitop3:0x14
	v_cmp_gt_i32_e32 vcc_lo, 32, v3
	v_cndmask_b32_e32 v3, v0, v3, vcc_lo
	s_delay_alu instid0(VALU_DEP_1) | instskip(SKIP_2) | instid1(VALU_DEP_1)
	v_lshlrev_b32_e32 v3, 2, v3
	ds_bpermute_b32 v2, v3, v1
	v_xor_b32_e32 v3, 1, v0
	v_cmp_gt_i32_e32 vcc_lo, 32, v3
	v_cndmask_b32_e32 v3, v0, v3, vcc_lo
	v_cmp_eq_u32_e32 vcc_lo, 0, v15
	s_wait_dscnt 0x0
	s_delay_alu instid0(VALU_DEP_2)
	v_dual_add_f32 v0, v1, v2 :: v_dual_lshlrev_b32 v1, 2, v3
	ds_bpermute_b32 v1, v1, v0
	s_and_b32 exec_lo, exec_lo, vcc_lo
	s_cbranch_execz .LBB74_7
; %bb.6:
	v_mad_u32 v2, s5, s8, v14
	s_wait_dscnt 0x0
	v_add_f32_e32 v0, v0, v1
	s_wait_kmcnt 0x0
	global_store_b32 v2, v0, s[6:7] scale_offset
.LBB74_7:
	s_endpgm
	.section	.rodata,"a",@progbits
	.p2align	6, 0x0
	.amdhsa_kernel _ZL13mul_mat_vec_qIfLi256ELi8E11block_iq2_sLi1EXadL_ZL18vec_dot_iq2_s_q8_1PKvPK10block_q8_1RKiEEEvS2_S2_PT_iii
		.amdhsa_group_segment_fixed_size 0
		.amdhsa_private_segment_fixed_size 0
		.amdhsa_kernarg_size 296
		.amdhsa_user_sgpr_count 2
		.amdhsa_user_sgpr_dispatch_ptr 0
		.amdhsa_user_sgpr_queue_ptr 0
		.amdhsa_user_sgpr_kernarg_segment_ptr 1
		.amdhsa_user_sgpr_dispatch_id 0
		.amdhsa_user_sgpr_kernarg_preload_length 0
		.amdhsa_user_sgpr_kernarg_preload_offset 0
		.amdhsa_user_sgpr_private_segment_size 0
		.amdhsa_wavefront_size32 1
		.amdhsa_uses_dynamic_stack 0
		.amdhsa_enable_private_segment 0
		.amdhsa_system_sgpr_workgroup_id_x 1
		.amdhsa_system_sgpr_workgroup_id_y 1
		.amdhsa_system_sgpr_workgroup_id_z 0
		.amdhsa_system_sgpr_workgroup_info 0
		.amdhsa_system_vgpr_workitem_id 1
		.amdhsa_next_free_vgpr 62
		.amdhsa_next_free_sgpr 12
		.amdhsa_named_barrier_count 0
		.amdhsa_reserve_vcc 1
		.amdhsa_float_round_mode_32 0
		.amdhsa_float_round_mode_16_64 0
		.amdhsa_float_denorm_mode_32 3
		.amdhsa_float_denorm_mode_16_64 3
		.amdhsa_fp16_overflow 0
		.amdhsa_memory_ordered 1
		.amdhsa_forward_progress 1
		.amdhsa_inst_pref_size 26
		.amdhsa_round_robin_scheduling 0
		.amdhsa_exception_fp_ieee_invalid_op 0
		.amdhsa_exception_fp_denorm_src 0
		.amdhsa_exception_fp_ieee_div_zero 0
		.amdhsa_exception_fp_ieee_overflow 0
		.amdhsa_exception_fp_ieee_underflow 0
		.amdhsa_exception_fp_ieee_inexact 0
		.amdhsa_exception_int_div_zero 0
	.end_amdhsa_kernel
	.section	.text._ZL13mul_mat_vec_qIfLi256ELi8E11block_iq2_sLi1EXadL_ZL18vec_dot_iq2_s_q8_1PKvPK10block_q8_1RKiEEEvS2_S2_PT_iii,"axG",@progbits,_ZL13mul_mat_vec_qIfLi256ELi8E11block_iq2_sLi1EXadL_ZL18vec_dot_iq2_s_q8_1PKvPK10block_q8_1RKiEEEvS2_S2_PT_iii,comdat
.Lfunc_end74:
	.size	_ZL13mul_mat_vec_qIfLi256ELi8E11block_iq2_sLi1EXadL_ZL18vec_dot_iq2_s_q8_1PKvPK10block_q8_1RKiEEEvS2_S2_PT_iii, .Lfunc_end74-_ZL13mul_mat_vec_qIfLi256ELi8E11block_iq2_sLi1EXadL_ZL18vec_dot_iq2_s_q8_1PKvPK10block_q8_1RKiEEEvS2_S2_PT_iii
                                        ; -- End function
	.set _ZL13mul_mat_vec_qIfLi256ELi8E11block_iq2_sLi1EXadL_ZL18vec_dot_iq2_s_q8_1PKvPK10block_q8_1RKiEEEvS2_S2_PT_iii.num_vgpr, 62
	.set _ZL13mul_mat_vec_qIfLi256ELi8E11block_iq2_sLi1EXadL_ZL18vec_dot_iq2_s_q8_1PKvPK10block_q8_1RKiEEEvS2_S2_PT_iii.num_agpr, 0
	.set _ZL13mul_mat_vec_qIfLi256ELi8E11block_iq2_sLi1EXadL_ZL18vec_dot_iq2_s_q8_1PKvPK10block_q8_1RKiEEEvS2_S2_PT_iii.numbered_sgpr, 12
	.set _ZL13mul_mat_vec_qIfLi256ELi8E11block_iq2_sLi1EXadL_ZL18vec_dot_iq2_s_q8_1PKvPK10block_q8_1RKiEEEvS2_S2_PT_iii.num_named_barrier, 0
	.set _ZL13mul_mat_vec_qIfLi256ELi8E11block_iq2_sLi1EXadL_ZL18vec_dot_iq2_s_q8_1PKvPK10block_q8_1RKiEEEvS2_S2_PT_iii.private_seg_size, 0
	.set _ZL13mul_mat_vec_qIfLi256ELi8E11block_iq2_sLi1EXadL_ZL18vec_dot_iq2_s_q8_1PKvPK10block_q8_1RKiEEEvS2_S2_PT_iii.uses_vcc, 1
	.set _ZL13mul_mat_vec_qIfLi256ELi8E11block_iq2_sLi1EXadL_ZL18vec_dot_iq2_s_q8_1PKvPK10block_q8_1RKiEEEvS2_S2_PT_iii.uses_flat_scratch, 0
	.set _ZL13mul_mat_vec_qIfLi256ELi8E11block_iq2_sLi1EXadL_ZL18vec_dot_iq2_s_q8_1PKvPK10block_q8_1RKiEEEvS2_S2_PT_iii.has_dyn_sized_stack, 0
	.set _ZL13mul_mat_vec_qIfLi256ELi8E11block_iq2_sLi1EXadL_ZL18vec_dot_iq2_s_q8_1PKvPK10block_q8_1RKiEEEvS2_S2_PT_iii.has_recursion, 0
	.set _ZL13mul_mat_vec_qIfLi256ELi8E11block_iq2_sLi1EXadL_ZL18vec_dot_iq2_s_q8_1PKvPK10block_q8_1RKiEEEvS2_S2_PT_iii.has_indirect_call, 0
	.section	.AMDGPU.csdata,"",@progbits
; Kernel info:
; codeLenInByte = 3228
; TotalNumSgprs: 14
; NumVgprs: 62
; ScratchSize: 0
; MemoryBound: 0
; FloatMode: 240
; IeeeMode: 1
; LDSByteSize: 0 bytes/workgroup (compile time only)
; SGPRBlocks: 0
; VGPRBlocks: 3
; NumSGPRsForWavesPerEU: 14
; NumVGPRsForWavesPerEU: 62
; NamedBarCnt: 0
; Occupancy: 16
; WaveLimiterHint : 0
; COMPUTE_PGM_RSRC2:SCRATCH_EN: 0
; COMPUTE_PGM_RSRC2:USER_SGPR: 2
; COMPUTE_PGM_RSRC2:TRAP_HANDLER: 0
; COMPUTE_PGM_RSRC2:TGID_X_EN: 1
; COMPUTE_PGM_RSRC2:TGID_Y_EN: 1
; COMPUTE_PGM_RSRC2:TGID_Z_EN: 0
; COMPUTE_PGM_RSRC2:TIDIG_COMP_CNT: 1
	.section	.text._ZL13mul_mat_vec_qIfLi256ELi8E12block_iq4_xsLi1EXadL_ZL19vec_dot_iq4_xs_q8_1PKvPK10block_q8_1RKiEEEvS2_S2_PT_iii,"axG",@progbits,_ZL13mul_mat_vec_qIfLi256ELi8E12block_iq4_xsLi1EXadL_ZL19vec_dot_iq4_xs_q8_1PKvPK10block_q8_1RKiEEEvS2_S2_PT_iii,comdat
	.globl	_ZL13mul_mat_vec_qIfLi256ELi8E12block_iq4_xsLi1EXadL_ZL19vec_dot_iq4_xs_q8_1PKvPK10block_q8_1RKiEEEvS2_S2_PT_iii ; -- Begin function _ZL13mul_mat_vec_qIfLi256ELi8E12block_iq4_xsLi1EXadL_ZL19vec_dot_iq4_xs_q8_1PKvPK10block_q8_1RKiEEEvS2_S2_PT_iii
	.p2align	8
	.type	_ZL13mul_mat_vec_qIfLi256ELi8E12block_iq4_xsLi1EXadL_ZL19vec_dot_iq4_xs_q8_1PKvPK10block_q8_1RKiEEEvS2_S2_PT_iii,@function
_ZL13mul_mat_vec_qIfLi256ELi8E12block_iq4_xsLi1EXadL_ZL19vec_dot_iq4_xs_q8_1PKvPK10block_q8_1RKiEEEvS2_S2_PT_iii: ; @_ZL13mul_mat_vec_qIfLi256ELi8E12block_iq4_xsLi1EXadL_ZL19vec_dot_iq4_xs_q8_1PKvPK10block_q8_1RKiEEEvS2_S2_PT_iii
; %bb.0:
	s_clause 0x1
	s_load_u16 s2, s[0:1], 0x36
	s_load_b96 s[4:6], s[0:1], 0x18
	s_bfe_u32 s7, ttmp6, 0x4000c
	s_bfe_u32 s8, ttmp6, 0x40010
	s_add_co_i32 s7, s7, 1
	s_add_co_i32 s8, s8, 1
	s_and_b32 s3, ttmp6, 15
	s_mul_i32 s7, ttmp9, s7
	s_mul_i32 s8, ttmp7, s8
	s_bfe_u32 s9, ttmp6, 0x40004
	s_add_co_i32 s3, s3, s7
	s_getreg_b32 s7, hwreg(HW_REG_IB_STS2, 6, 4)
	s_add_co_i32 s9, s9, s8
	v_bfe_u32 v1, v0, 10, 10
	s_cmp_eq_u32 s7, 0
	s_cselect_b32 s3, ttmp9, s3
	s_cselect_b32 s8, ttmp7, s9
	s_wait_kmcnt 0x0
	v_mad_u32 v14, s3, s2, v1
	s_cmp_lt_u32 s8, s6
	s_cselect_b32 s2, -1, 0
	s_delay_alu instid0(VALU_DEP_1) | instskip(SKIP_1) | instid1(SALU_CYCLE_1)
	v_cmp_gt_u32_e32 vcc_lo, s5, v14
	s_and_b32 s2, s2, vcc_lo
	s_and_saveexec_b32 s3, s2
	s_cbranch_execz .LBB75_7
; %bb.1:
	s_load_b64 s[6:7], s[0:1], 0x10
	s_ashr_i32 s2, s4, 31
	v_bfe_u32 v16, v0, 3, 7
	s_lshr_b32 s2, s2, 24
	v_and_b32_e32 v15, 0x3ff, v0
	v_mov_b32_e32 v18, 0
	s_add_co_i32 s2, s4, s2
	s_mov_b32 s9, exec_lo
	s_ashr_i32 s10, s2, 8
	s_delay_alu instid0(SALU_CYCLE_1)
	v_cmpx_gt_u32_e64 s10, v16
	s_cbranch_execz .LBB75_5
; %bb.2:
	s_wait_xcnt 0x0
	s_load_b128 s[0:3], s[0:1], 0x0
	s_addk_co_i32 s4, 0x1ff
	v_dual_mov_b32 v9, 0 :: v_dual_bitop2_b32 v1, 7, v15 bitop3:0x40
	s_ashr_i32 s11, s4, 31
	v_mul_lo_u32 v17, v14, s10
	s_lshr_b32 s11, s11, 23
	v_dual_lshlrev_b32 v2, 2, v15 :: v_dual_lshlrev_b32 v3, 3, v16
	s_add_co_i32 s4, s4, s11
	v_lshlrev_b32_e32 v0, 2, v1
	s_ashr_i32 s4, s4, 9
	v_bfe_u32 v8, v15, 1, 2
	s_mul_i32 s4, s8, s4
	v_dual_lshlrev_b32 v20, 1, v1 :: v_dual_bitop2_b32 v19, 4, v2 bitop3:0x40
	v_lshlrev_b32_e32 v12, 2, v0
	v_lshl_add_u32 v21, s4, 4, v3
	v_dual_mov_b32 v13, v9 :: v_dual_mov_b32 v18, v9
	s_wait_kmcnt 0x0
	v_mad_nc_u64_u32 v[10:11], v1, 36, s[2:3]
	s_mov_b32 s4, 0
	s_get_pc_i64 s[2:3]
	s_add_nc_u64 s[2:3], s[2:3], _ZL13kvalues_iq4nl@rel64+4
.LBB75_3:                               ; =>This Inner Loop Header: Depth=1
	v_add_nc_u32_e32 v0, v17, v16
	s_delay_alu instid0(VALU_DEP_2) | instskip(SKIP_1) | instid1(VALU_DEP_3)
	v_mad_nc_i64_i32 v[28:29], v21, 36, v[10:11]
	v_dual_add_nc_u32 v16, 4, v16 :: v_dual_add_nc_u32 v21, 32, v21
	v_mad_nc_i64_i32 v[26:27], 0x88, v0, s[0:1]
	s_delay_alu instid0(VALU_DEP_2) | instskip(SKIP_1) | instid1(VALU_DEP_2)
	v_cmp_le_u32_e32 vcc_lo, s10, v16
	s_or_b32 s4, vcc_lo, s4
	v_add_nc_u64_e32 v[0:1], v[26:27], v[12:13]
	v_add_nc_u64_e32 v[2:3], v[26:27], v[8:9]
	s_clause 0x1
	global_load_b128 v[22:25], v[0:1], off offset:8
	global_load_u8 v30, v[2:3], off offset:4
	s_clause 0x2
	global_load_b32 v31, v[28:29], off
	global_load_b128 v[0:3], v[28:29], off offset:4
	global_load_b128 v[4:7], v[28:29], off offset:20
	global_load_b32 v32, v[26:27], off
	s_wait_loadcnt 0x5
	s_wait_xcnt 0x0
	v_and_b32_e32 v27, 15, v22
	v_bfe_u32 v28, v22, 8, 4
	v_bfe_u32 v29, v22, 16, 4
	;; [unrolled: 1-line block ×5, first 2 shown]
	v_dual_lshrrev_b32 v34, 28, v22 :: v_dual_bitop2_b32 v37, 15, v23 bitop3:0x40
	v_bfe_u32 v22, v22, 12, 4
	v_bfe_u32 v36, v23, 24, 4
	;; [unrolled: 1-line block ×5, first 2 shown]
	v_dual_lshrrev_b32 v41, 28, v23 :: v_dual_bitop2_b32 v44, 15, v24 bitop3:0x40
	v_bfe_u32 v42, v23, 4, 4
	v_bfe_u32 v23, v23, 12, 4
	;; [unrolled: 1-line block ×6, first 2 shown]
	v_dual_lshrrev_b32 v48, 28, v24 :: v_dual_bitop2_b32 v51, 15, v25 bitop3:0x40
	v_bfe_u32 v49, v24, 4, 4
	v_bfe_u32 v24, v24, 12, 4
	;; [unrolled: 1-line block ×6, first 2 shown]
	v_lshrrev_b32_e32 v55, 28, v25
	v_bfe_u32 v56, v25, 4, 4
	v_bfe_u32 v25, v25, 12, 4
	s_clause 0x1f
	global_load_i8 v57, v27, s[2:3]
	global_load_i8 v58, v28, s[2:3]
	global_load_i8 v59, v29, s[2:3]
	global_load_i8 v60, v35, s[2:3]
	global_load_i8 v61, v22, s[2:3]
	global_load_i8 v62, v33, s[2:3]
	global_load_i8 v63, v34, s[2:3]
	; meta instruction
	; meta instruction
	; meta instruction
	; meta instruction
	; meta instruction
	; meta instruction
	; meta instruction
	global_load_i8 v22, v26, s[2:3]
	global_load_i8 v27, v37, s[2:3]
	global_load_i8 v28, v38, s[2:3]
	global_load_i8 v29, v39, s[2:3]
	global_load_i8 v33, v42, s[2:3]
	global_load_i8 v34, v23, s[2:3]
	global_load_i8 v35, v40, s[2:3]
	; meta instruction
	; meta instruction
	; meta instruction
	; meta instruction
	; meta instruction
	; meta instruction
	; meta instruction
	;; [unrolled: 14-line block ×4, first 2 shown]
	global_load_i8 v25, v54, s[2:3]
	global_load_i8 v43, v55, s[2:3]
	;; [unrolled: 1-line block ×4, first 2 shown]
	s_wait_loadcnt 0x20
	s_wait_xcnt 0x1
	v_lshrrev_b32_e32 v50, 16, v32
	v_bfe_u32 v30, v30, v19, 4
	v_perm_b32 v0, v0, v0, 0x3020001
	v_perm_b32 v4, v4, v4, 0x3020001
	s_wait_loadcnt 0x1b
	v_perm_b32 v51, v60, v61, 0xc0c0400
	s_wait_loadcnt 0x19
	;; [unrolled: 2-line block ×7, first 2 shown]
	v_perm_b32 v26, v26, v29, 0x4000c0c
	v_lshrrev_b32_e32 v50, v20, v50
	s_wait_loadcnt 0xe
	v_perm_b32 v29, v38, v37, 0xc0c0400
	v_or_b32_e32 v37, v52, v51
	v_or_b32_e32 v23, v23, v28
	v_dual_lshlrev_b32 v50, 4, v50 :: v_dual_bitop2_b32 v26, v26, v27 bitop3:0x54
	s_wait_loadcnt 0xb
	v_perm_b32 v34, v42, v40, 0xc0c0400
	v_dot4_i32_iu8 v4, v4, v37, 0 neg_lo:[1,1,0]
	s_delay_alu instid0(VALU_DEP_3)
	v_and_or_b32 v30, v50, 48, v30
	v_perm_b32 v50, v57, v58, 0xc0c0400
	s_wait_loadcnt 0x9
	v_perm_b32 v24, v36, v24, 0x4000c0c
	s_wait_loadcnt 0x8
	v_perm_b32 v33, v41, v39, 0x4000c0c
	v_or_b32_e32 v22, v22, v50
	s_wait_loadcnt 0x6
	v_perm_b32 v35, v45, v44, 0xc0c0400
	v_or_b32_e32 v24, v24, v34
	s_delay_alu instid0(VALU_DEP_3) | instskip(NEXT) | instid1(VALU_DEP_1)
	v_dot4_i32_iu8 v0, v0, v22, 0 neg_lo:[1,1,0]
	v_dot4_i32_iu8 v0, v1, v26, v0 neg_lo:[1,1,0]
	;; [unrolled: 1-line block ×3, first 2 shown]
	v_subrev_nc_u32_e32 v4, 32, v30
	s_wait_loadcnt 0x1
	v_perm_b32 v36, v47, v46, 0x4000c0c
	s_wait_loadcnt 0x0
	v_perm_b32 v38, v49, v48, 0xc0c0400
	v_perm_b32 v22, v43, v25, 0x4000c0c
	v_dot4_i32_iu8 v1, v6, v24, v1 neg_lo:[1,1,0]
	v_cvt_f32_i32_e32 v4, v4
	v_or_b32_e32 v25, v33, v29
	v_or_b32_e32 v5, v36, v35
	;; [unrolled: 1-line block ×3, first 2 shown]
	s_delay_alu instid0(VALU_DEP_3) | instskip(SKIP_1) | instid1(VALU_DEP_3)
	v_dot4_i32_iu8 v0, v2, v25, v0 neg_lo:[1,1,0]
	v_cvt_f32_f16_e32 v2, v32
	v_dot4_i32_iu8 v1, v7, v22, v1 neg_lo:[1,1,0]
	s_delay_alu instid0(VALU_DEP_3) | instskip(SKIP_1) | instid1(VALU_DEP_4)
	v_dot4_i32_iu8 v0, v3, v5, v0 neg_lo:[1,1,0]
	v_cvt_f32_f16_e32 v3, v31
	v_mul_f32_e32 v2, v2, v4
	s_delay_alu instid0(VALU_DEP_1) | instskip(NEXT) | instid1(VALU_DEP_1)
	v_dual_mul_f32 v1, v2, v3 :: v_dual_add_nc_u32 v0, v1, v0
	v_cvt_f32_i32_e32 v0, v0
	s_delay_alu instid0(VALU_DEP_1)
	v_fmac_f32_e32 v18, v1, v0
	s_and_not1_b32 exec_lo, exec_lo, s4
	s_cbranch_execnz .LBB75_3
; %bb.4:
	s_or_b32 exec_lo, exec_lo, s4
.LBB75_5:
	s_delay_alu instid0(SALU_CYCLE_1) | instskip(SKIP_1) | instid1(VALU_DEP_1)
	s_or_b32 exec_lo, exec_lo, s9
	v_mbcnt_lo_u32_b32 v0, -1, 0
	v_xor_b32_e32 v2, 8, v0
	v_xor_b32_e32 v1, 16, v0
	;; [unrolled: 1-line block ×3, first 2 shown]
	s_delay_alu instid0(VALU_DEP_2) | instskip(SKIP_4) | instid1(VALU_DEP_2)
	v_cmp_gt_i32_e32 vcc_lo, 32, v1
	v_cndmask_b32_e32 v1, v0, v1, vcc_lo
	v_cmp_gt_i32_e32 vcc_lo, 32, v2
	v_cndmask_b32_e32 v2, v0, v2, vcc_lo
	v_cmp_gt_i32_e32 vcc_lo, 32, v3
	v_dual_lshlrev_b32 v2, 2, v2 :: v_dual_lshlrev_b32 v1, 2, v1
	ds_bpermute_b32 v1, v1, v18
	s_wait_dscnt 0x0
	v_add_f32_e32 v1, v18, v1
	ds_bpermute_b32 v2, v2, v1
	s_wait_dscnt 0x0
	v_dual_cndmask_b32 v3, v0, v3, vcc_lo :: v_dual_add_f32 v1, v1, v2
	s_delay_alu instid0(VALU_DEP_1) | instskip(SKIP_3) | instid1(VALU_DEP_1)
	v_lshlrev_b32_e32 v3, 2, v3
	ds_bpermute_b32 v2, v3, v1
	s_wait_dscnt 0x0
	v_dual_add_f32 v1, v1, v2 :: v_dual_bitop2_b32 v3, 2, v0 bitop3:0x14
	v_cmp_gt_i32_e32 vcc_lo, 32, v3
	v_cndmask_b32_e32 v3, v0, v3, vcc_lo
	s_delay_alu instid0(VALU_DEP_1) | instskip(SKIP_2) | instid1(VALU_DEP_1)
	v_lshlrev_b32_e32 v3, 2, v3
	ds_bpermute_b32 v2, v3, v1
	v_xor_b32_e32 v3, 1, v0
	v_cmp_gt_i32_e32 vcc_lo, 32, v3
	v_cndmask_b32_e32 v3, v0, v3, vcc_lo
	v_cmp_eq_u32_e32 vcc_lo, 0, v15
	s_wait_dscnt 0x0
	s_delay_alu instid0(VALU_DEP_2)
	v_dual_add_f32 v0, v1, v2 :: v_dual_lshlrev_b32 v1, 2, v3
	ds_bpermute_b32 v1, v1, v0
	s_and_b32 exec_lo, exec_lo, vcc_lo
	s_cbranch_execz .LBB75_7
; %bb.6:
	v_mad_u32 v2, s5, s8, v14
	s_wait_dscnt 0x0
	v_add_f32_e32 v0, v0, v1
	s_wait_kmcnt 0x0
	global_store_b32 v2, v0, s[6:7] scale_offset
.LBB75_7:
	s_endpgm
	.section	.rodata,"a",@progbits
	.p2align	6, 0x0
	.amdhsa_kernel _ZL13mul_mat_vec_qIfLi256ELi8E12block_iq4_xsLi1EXadL_ZL19vec_dot_iq4_xs_q8_1PKvPK10block_q8_1RKiEEEvS2_S2_PT_iii
		.amdhsa_group_segment_fixed_size 0
		.amdhsa_private_segment_fixed_size 0
		.amdhsa_kernarg_size 296
		.amdhsa_user_sgpr_count 2
		.amdhsa_user_sgpr_dispatch_ptr 0
		.amdhsa_user_sgpr_queue_ptr 0
		.amdhsa_user_sgpr_kernarg_segment_ptr 1
		.amdhsa_user_sgpr_dispatch_id 0
		.amdhsa_user_sgpr_kernarg_preload_length 0
		.amdhsa_user_sgpr_kernarg_preload_offset 0
		.amdhsa_user_sgpr_private_segment_size 0
		.amdhsa_wavefront_size32 1
		.amdhsa_uses_dynamic_stack 0
		.amdhsa_enable_private_segment 0
		.amdhsa_system_sgpr_workgroup_id_x 1
		.amdhsa_system_sgpr_workgroup_id_y 1
		.amdhsa_system_sgpr_workgroup_id_z 0
		.amdhsa_system_sgpr_workgroup_info 0
		.amdhsa_system_vgpr_workitem_id 1
		.amdhsa_next_free_vgpr 64
		.amdhsa_next_free_sgpr 12
		.amdhsa_named_barrier_count 0
		.amdhsa_reserve_vcc 1
		.amdhsa_float_round_mode_32 0
		.amdhsa_float_round_mode_16_64 0
		.amdhsa_float_denorm_mode_32 3
		.amdhsa_float_denorm_mode_16_64 3
		.amdhsa_fp16_overflow 0
		.amdhsa_memory_ordered 1
		.amdhsa_forward_progress 1
		.amdhsa_inst_pref_size 15
		.amdhsa_round_robin_scheduling 0
		.amdhsa_exception_fp_ieee_invalid_op 0
		.amdhsa_exception_fp_denorm_src 0
		.amdhsa_exception_fp_ieee_div_zero 0
		.amdhsa_exception_fp_ieee_overflow 0
		.amdhsa_exception_fp_ieee_underflow 0
		.amdhsa_exception_fp_ieee_inexact 0
		.amdhsa_exception_int_div_zero 0
	.end_amdhsa_kernel
	.section	.text._ZL13mul_mat_vec_qIfLi256ELi8E12block_iq4_xsLi1EXadL_ZL19vec_dot_iq4_xs_q8_1PKvPK10block_q8_1RKiEEEvS2_S2_PT_iii,"axG",@progbits,_ZL13mul_mat_vec_qIfLi256ELi8E12block_iq4_xsLi1EXadL_ZL19vec_dot_iq4_xs_q8_1PKvPK10block_q8_1RKiEEEvS2_S2_PT_iii,comdat
.Lfunc_end75:
	.size	_ZL13mul_mat_vec_qIfLi256ELi8E12block_iq4_xsLi1EXadL_ZL19vec_dot_iq4_xs_q8_1PKvPK10block_q8_1RKiEEEvS2_S2_PT_iii, .Lfunc_end75-_ZL13mul_mat_vec_qIfLi256ELi8E12block_iq4_xsLi1EXadL_ZL19vec_dot_iq4_xs_q8_1PKvPK10block_q8_1RKiEEEvS2_S2_PT_iii
                                        ; -- End function
	.set _ZL13mul_mat_vec_qIfLi256ELi8E12block_iq4_xsLi1EXadL_ZL19vec_dot_iq4_xs_q8_1PKvPK10block_q8_1RKiEEEvS2_S2_PT_iii.num_vgpr, 64
	.set _ZL13mul_mat_vec_qIfLi256ELi8E12block_iq4_xsLi1EXadL_ZL19vec_dot_iq4_xs_q8_1PKvPK10block_q8_1RKiEEEvS2_S2_PT_iii.num_agpr, 0
	.set _ZL13mul_mat_vec_qIfLi256ELi8E12block_iq4_xsLi1EXadL_ZL19vec_dot_iq4_xs_q8_1PKvPK10block_q8_1RKiEEEvS2_S2_PT_iii.numbered_sgpr, 12
	.set _ZL13mul_mat_vec_qIfLi256ELi8E12block_iq4_xsLi1EXadL_ZL19vec_dot_iq4_xs_q8_1PKvPK10block_q8_1RKiEEEvS2_S2_PT_iii.num_named_barrier, 0
	.set _ZL13mul_mat_vec_qIfLi256ELi8E12block_iq4_xsLi1EXadL_ZL19vec_dot_iq4_xs_q8_1PKvPK10block_q8_1RKiEEEvS2_S2_PT_iii.private_seg_size, 0
	.set _ZL13mul_mat_vec_qIfLi256ELi8E12block_iq4_xsLi1EXadL_ZL19vec_dot_iq4_xs_q8_1PKvPK10block_q8_1RKiEEEvS2_S2_PT_iii.uses_vcc, 1
	.set _ZL13mul_mat_vec_qIfLi256ELi8E12block_iq4_xsLi1EXadL_ZL19vec_dot_iq4_xs_q8_1PKvPK10block_q8_1RKiEEEvS2_S2_PT_iii.uses_flat_scratch, 0
	.set _ZL13mul_mat_vec_qIfLi256ELi8E12block_iq4_xsLi1EXadL_ZL19vec_dot_iq4_xs_q8_1PKvPK10block_q8_1RKiEEEvS2_S2_PT_iii.has_dyn_sized_stack, 0
	.set _ZL13mul_mat_vec_qIfLi256ELi8E12block_iq4_xsLi1EXadL_ZL19vec_dot_iq4_xs_q8_1PKvPK10block_q8_1RKiEEEvS2_S2_PT_iii.has_recursion, 0
	.set _ZL13mul_mat_vec_qIfLi256ELi8E12block_iq4_xsLi1EXadL_ZL19vec_dot_iq4_xs_q8_1PKvPK10block_q8_1RKiEEEvS2_S2_PT_iii.has_indirect_call, 0
	.section	.AMDGPU.csdata,"",@progbits
; Kernel info:
; codeLenInByte = 1840
; TotalNumSgprs: 14
; NumVgprs: 64
; ScratchSize: 0
; MemoryBound: 0
; FloatMode: 240
; IeeeMode: 1
; LDSByteSize: 0 bytes/workgroup (compile time only)
; SGPRBlocks: 0
; VGPRBlocks: 3
; NumSGPRsForWavesPerEU: 14
; NumVGPRsForWavesPerEU: 64
; NamedBarCnt: 0
; Occupancy: 16
; WaveLimiterHint : 0
; COMPUTE_PGM_RSRC2:SCRATCH_EN: 0
; COMPUTE_PGM_RSRC2:USER_SGPR: 2
; COMPUTE_PGM_RSRC2:TRAP_HANDLER: 0
; COMPUTE_PGM_RSRC2:TGID_X_EN: 1
; COMPUTE_PGM_RSRC2:TGID_Y_EN: 1
; COMPUTE_PGM_RSRC2:TGID_Z_EN: 0
; COMPUTE_PGM_RSRC2:TIDIG_COMP_CNT: 1
	.section	.text._ZL13mul_mat_vec_qIfLi256ELi8E11block_iq1_mLi1EXadL_ZL18vec_dot_iq1_m_q8_1PKvPK10block_q8_1RKiEEEvS2_S2_PT_iii,"axG",@progbits,_ZL13mul_mat_vec_qIfLi256ELi8E11block_iq1_mLi1EXadL_ZL18vec_dot_iq1_m_q8_1PKvPK10block_q8_1RKiEEEvS2_S2_PT_iii,comdat
	.globl	_ZL13mul_mat_vec_qIfLi256ELi8E11block_iq1_mLi1EXadL_ZL18vec_dot_iq1_m_q8_1PKvPK10block_q8_1RKiEEEvS2_S2_PT_iii ; -- Begin function _ZL13mul_mat_vec_qIfLi256ELi8E11block_iq1_mLi1EXadL_ZL18vec_dot_iq1_m_q8_1PKvPK10block_q8_1RKiEEEvS2_S2_PT_iii
	.p2align	8
	.type	_ZL13mul_mat_vec_qIfLi256ELi8E11block_iq1_mLi1EXadL_ZL18vec_dot_iq1_m_q8_1PKvPK10block_q8_1RKiEEEvS2_S2_PT_iii,@function
_ZL13mul_mat_vec_qIfLi256ELi8E11block_iq1_mLi1EXadL_ZL18vec_dot_iq1_m_q8_1PKvPK10block_q8_1RKiEEEvS2_S2_PT_iii: ; @_ZL13mul_mat_vec_qIfLi256ELi8E11block_iq1_mLi1EXadL_ZL18vec_dot_iq1_m_q8_1PKvPK10block_q8_1RKiEEEvS2_S2_PT_iii
; %bb.0:
	s_clause 0x1
	s_load_u16 s2, s[0:1], 0x36
	s_load_b96 s[4:6], s[0:1], 0x18
	s_bfe_u32 s7, ttmp6, 0x4000c
	s_bfe_u32 s8, ttmp6, 0x40010
	s_add_co_i32 s7, s7, 1
	s_add_co_i32 s8, s8, 1
	s_and_b32 s3, ttmp6, 15
	s_mul_i32 s7, ttmp9, s7
	s_mul_i32 s8, ttmp7, s8
	s_bfe_u32 s9, ttmp6, 0x40004
	s_add_co_i32 s3, s3, s7
	s_getreg_b32 s7, hwreg(HW_REG_IB_STS2, 6, 4)
	s_add_co_i32 s9, s9, s8
	v_bfe_u32 v1, v0, 10, 10
	s_cmp_eq_u32 s7, 0
	s_cselect_b32 s3, ttmp9, s3
	s_cselect_b32 s9, ttmp7, s9
	s_wait_kmcnt 0x0
	v_mad_u32 v20, s3, s2, v1
	s_cmp_lt_u32 s9, s6
	s_cselect_b32 s2, -1, 0
	s_delay_alu instid0(VALU_DEP_1) | instskip(SKIP_1) | instid1(SALU_CYCLE_1)
	v_cmp_gt_u32_e32 vcc_lo, s5, v20
	s_and_b32 s2, s2, vcc_lo
	s_and_saveexec_b32 s3, s2
	s_cbranch_execz .LBB76_7
; %bb.1:
	s_load_b64 s[6:7], s[0:1], 0x10
	s_ashr_i32 s2, s4, 31
	v_bfe_u32 v22, v0, 3, 7
	s_lshr_b32 s2, s2, 24
	v_and_b32_e32 v21, 0x3ff, v0
	v_mov_b32_e32 v24, 0
	s_add_co_i32 s2, s4, s2
	s_mov_b32 s10, exec_lo
	s_ashr_i32 s11, s2, 8
	s_delay_alu instid0(SALU_CYCLE_1)
	v_cmpx_gt_u32_e64 s11, v22
	s_cbranch_execz .LBB76_5
; %bb.2:
	s_wait_xcnt 0x0
	s_load_b128 s[0:3], s[0:1], 0x0
	s_addk_co_i32 s4, 0x1ff
	v_dual_mov_b32 v9, 0 :: v_dual_bitop2_b32 v0, 7, v21 bitop3:0x40
	s_ashr_i32 s8, s4, 31
	v_dual_lshlrev_b32 v3, 3, v22 :: v_dual_bitop2_b32 v1, 1, v21 bitop3:0x40
	s_lshr_b32 s8, s8, 23
	v_mul_lo_u32 v23, v20, s11
	s_add_co_i32 s4, s4, s8
	v_bfe_u32 v2, v21, 1, 2
	v_cmp_eq_u32_e32 vcc_lo, 1, v1
	s_ashr_i32 s4, s4, 9
	v_dual_lshlrev_b32 v8, 1, v0 :: v_dual_lshlrev_b32 v12, 2, v0
	s_mul_i32 s4, s9, s4
	v_cndmask_b32_e64 v25, 0, 6, vcc_lo
	v_lshl_add_u32 v26, s4, 4, v3
	v_dual_mov_b32 v13, v9 :: v_dual_lshlrev_b32 v14, 1, v2
	s_wait_kmcnt 0x0
	v_mad_nc_u64_u32 v[10:11], v0, 36, s[2:3]
	v_dual_mov_b32 v15, v9 :: v_dual_mov_b32 v24, v9
	s_mov_b32 s12, 0
	s_mov_b32 s4, 0x3d000000
	;; [unrolled: 1-line block ×3, first 2 shown]
	s_get_pc_i64 s[2:3]
	s_add_nc_u64 s[2:3], s[2:3], _ZL13iq1s_grid_gpu@rel64+4
.LBB76_3:                               ; =>This Inner Loop Header: Depth=1
	v_add_nc_u32_e32 v0, v23, v22
	s_delay_alu instid0(VALU_DEP_3) | instskip(SKIP_2) | instid1(VALU_DEP_4)
	v_mad_nc_i64_i32 v[16:17], v26, 36, v[10:11]
	v_add_nc_u32_e32 v22, 4, v22
	v_add_nc_u32_e32 v26, 32, v26
	v_mad_nc_i64_i32 v[18:19], v0, 56, s[0:1]
	s_delay_alu instid0(VALU_DEP_3) | instskip(SKIP_1) | instid1(VALU_DEP_2)
	v_cmp_le_u32_e32 vcc_lo, s11, v22
	s_or_b32 s12, vcc_lo, s12
	v_add_nc_u64_e32 v[0:1], v[18:19], v[8:9]
	v_add_nc_u64_e32 v[2:3], v[18:19], v[12:13]
	s_clause 0x1
	global_load_u16 v27, v[0:1], off offset:32
	global_load_b32 v32, v[2:3], off
	v_add_nc_u64_e32 v[28:29], v[18:19], v[14:15]
	s_clause 0x1
	global_load_b128 v[0:3], v[16:17], off offset:4
	global_load_b128 v[4:7], v[16:17], off offset:20
	s_clause 0x1
	global_load_b64 v[30:31], v[18:19], off offset:48
	global_load_u16 v33, v[28:29], off offset:48
	s_wait_loadcnt 0x5
	s_wait_xcnt 0x1
	v_lshrrev_b16 v19, 8, v27
	s_wait_loadcnt 0x4
	s_wait_xcnt 0x0
	v_and_b32_e32 v28, 0xff, v32
	v_dual_lshlrev_b32 v29, 8, v27 :: v_dual_lshlrev_b32 v35, 4, v27
	v_bfe_u32 v34, v32, 8, 8
	v_and_b32_e32 v19, 0xffff, v19
	v_lshrrev_b32_e32 v18, 24, v32
	v_bfe_u32 v32, v32, 16, 8
	v_and_or_b32 v28, 0x700, v29, v28
	v_and_or_b32 v29, 0x700, v35, v34
	v_dual_lshlrev_b32 v34, 8, v19 :: v_dual_lshlrev_b32 v35, 4, v19
	s_wait_loadcnt 0x3
	v_bfe_i32 v39, v0, 0, 8
	s_delay_alu instid0(VALU_DEP_3) | instskip(NEXT) | instid1(VALU_DEP_3)
	v_dual_lshlrev_b32 v28, 3, v28 :: v_dual_lshlrev_b32 v29, 3, v29
	v_and_or_b32 v32, 0x700, v34, v32
	v_and_or_b32 v18, 0x700, v35, v18
	s_clause 0x1
	global_load_b32 v34, v28, s[2:3]
	global_load_b32 v35, v29, s[2:3]
	v_dual_ashrrev_i32 v42, 24, v2 :: v_dual_ashrrev_i32 v45, 24, v3
	s_wait_xcnt 0x1
	v_dual_lshlrev_b32 v28, 3, v32 :: v_dual_lshlrev_b32 v18, 3, v18
	s_clause 0x1
	global_load_b32 v29, v28, s[2:3]
	global_load_b32 v32, v18, s[2:3]
	global_load_b32 v36, v[16:17], off
	s_wait_xcnt 0x0
	v_lshrrev_b16 v16, 8, v0
	v_lshrrev_b16 v28, 8, v3
	;; [unrolled: 1-line block ×3, first 2 shown]
	v_bfe_i32 v43, v2, 0, 8
	v_bfe_i32 v44, v2, 16, 8
	;; [unrolled: 1-line block ×4, first 2 shown]
	s_wait_loadcnt 0x7
	v_lshrrev_b16 v2, 8, v4
	v_lshrrev_b16 v3, 8, v5
	v_bfe_i32 v16, v16, 0, 8
	v_bfe_i32 v28, v28, 0, 8
	v_lshrrev_b16 v17, 8, v1
	v_dual_ashrrev_i32 v37, 24, v0 :: v_dual_ashrrev_i32 v40, 24, v1
	v_bfe_i32 v38, v0, 16, 8
	v_dual_ashrrev_i32 v50, 24, v4 :: v_dual_ashrrev_i32 v53, 24, v5
	v_bfe_i32 v51, v4, 16, 8
	v_bfe_i32 v52, v4, 0, 8
	;; [unrolled: 1-line block ×5, first 2 shown]
	v_bfe_u32 v4, v27, 4, 4
	v_and_b32_e32 v5, 0xff, v27
	v_add_nc_u32_e32 v3, v16, v39
	v_bfe_i32 v41, v1, 16, 8
	v_bfe_i32 v1, v1, 0, 8
	;; [unrolled: 1-line block ×4, first 2 shown]
	v_and_b32_e32 v4, 8, v4
	v_and_b32_e32 v5, 8, v5
	v_add3_u32 v3, v3, v38, v37
	v_lshrrev_b16 v48, 8, v6
	v_lshrrev_b16 v49, 8, v7
	v_dual_ashrrev_i32 v56, 24, v6 :: v_dual_ashrrev_i32 v59, 24, v7
	v_bfe_i32 v57, v6, 0, 8
	v_bfe_i32 v58, v6, 16, 8
	;; [unrolled: 1-line block ×4, first 2 shown]
	v_add3_u32 v7, v3, v17, v1
	v_cvt_f32_ubyte0_e32 v3, v4
	v_bfe_i32 v49, v49, 0, 8
	v_bfe_i32 v48, v48, 0, 8
	s_wait_loadcnt 0x5
	v_lshrrev_b32_e32 v27, v25, v33
	s_wait_loadcnt 0x0
	v_cvt_f32_f16_e32 v0, v36
	v_bfe_i32 v36, v2, 0, 8
	v_add_nc_u32_e32 v2, v28, v43
	s_delay_alu instid0(VALU_DEP_1) | instskip(NEXT) | instid1(VALU_DEP_1)
	v_add3_u32 v2, v2, v47, v46
	v_add3_u32 v6, v2, v45, v18
	v_cvt_f32_ubyte0_e32 v2, v5
	s_delay_alu instid0(VALU_DEP_2) | instskip(SKIP_1) | instid1(VALU_DEP_3)
	v_add3_u32 v4, v6, v44, v42
	v_add3_u32 v6, v7, v41, v40
	v_pk_fma_f32 v[2:3], v[2:3], s[4:5], s[8:9] op_sel_hi:[1,0,0] neg_lo:[1,0,0] neg_hi:[1,0,0]
	v_pk_lshrrev_b16 v7, 4, v31
	v_lshrrev_b32_e32 v31, 28, v34
	v_cvt_f32_i32_e32 v5, v4
	v_cvt_f32_i32_e32 v4, v6
	v_add_nc_u32_e32 v6, v62, v52
	s_delay_alu instid0(VALU_DEP_4) | instskip(SKIP_1) | instid1(VALU_DEP_4)
	v_mul_i32_i24_e32 v31, v31, v40
	v_and_b32_e32 v40, 0xf0000f00, v7
	v_pk_mul_f32 v[2:3], v[2:3], v[4:5]
	v_add_nc_u32_e32 v4, v49, v57
	v_add3_u32 v6, v6, v55, v54
	v_pk_lshrrev_b16 v5, 0x8000c, v30
	v_bfe_u32 v30, v34, 24, 4
	v_lshrrev_b32_e32 v33, 28, v35
	v_add3_u32 v4, v4, v61, v60
	v_add3_u32 v6, v6, v53, v36
	v_dual_lshrrev_b32 v7, 4, v19 :: v_dual_bitop2_b32 v19, 8, v19 bitop3:0x40
	v_mul_i32_i24_e32 v30, v30, v37
	s_delay_alu instid0(VALU_DEP_4)
	v_add3_u32 v4, v4, v59, v48
	v_lshrrev_b32_e32 v37, 16, v5
	v_mul_i32_i24_e32 v33, v33, v45
	v_add3_u32 v6, v6, v51, v50
	v_and_b32_e32 v7, 8, v7
	v_add3_u32 v4, v4, v58, v56
	v_add_f32_e32 v2, 0, v2
	v_add3_u32 v30, v30, v31, v33
	v_bitop3_b16 v33, v37, v5, 0xf0 bitop3:0xec
	v_bfe_u32 v37, v34, 20, 4
	v_cvt_f32_i32_e32 v5, v4
	v_cvt_f32_i32_e32 v4, v6
	v_cvt_f32_ubyte0_e32 v6, v19
	v_bfe_u32 v19, v34, 16, 4
	v_mul_i32_i24_e32 v37, v37, v41
	v_lshrrev_b32_e32 v41, 16, v40
	v_cvt_f32_ubyte0_e32 v7, v7
	v_bfe_u32 v45, v29, 20, 4
	v_mul_i32_i24_e32 v19, v19, v38
	v_bfe_u32 v38, v35, 20, 4
	v_dual_lshlrev_b32 v31, 1, v27 :: v_dual_lshrrev_b32 v27, 2, v27
	v_pk_fma_f32 v[6:7], v[6:7], s[4:5], s[8:9] op_sel_hi:[1,0,0] neg_lo:[1,0,0] neg_hi:[1,0,0]
	v_mul_i32_i24_e32 v45, v45, v54
	s_delay_alu instid0(VALU_DEP_4)
	v_mul_i32_i24_e32 v38, v38, v46
	v_bfe_u32 v46, v32, 24, 4
	v_and_or_b32 v31, v31, 14, 1
	v_pk_mul_f32 v[4:5], v[6:7], v[4:5]
	v_and_or_b32 v27, v27, 14, 1
	v_add3_u32 v19, v19, v37, v38
	v_and_b32_e32 v37, 15, v34
	v_bfe_u32 v38, v34, 4, 4
	v_add_f32_e32 v4, 0, v4
	s_delay_alu instid0(VALU_DEP_3) | instskip(NEXT) | instid1(VALU_DEP_3)
	v_mul_i32_i24_e32 v37, v37, v39
	v_mul_i32_i24_e32 v1, v38, v1
	v_bfe_u32 v38, v35, 4, 4
	v_bfe_u32 v39, v35, 16, 4
	v_add_f32_e32 v4, v4, v5
	s_delay_alu instid0(VALU_DEP_3) | instskip(NEXT) | instid1(VALU_DEP_3)
	v_mul_i32_i24_e32 v38, v38, v47
	v_mad_i32_i24 v19, v44, v39, v19
	v_and_b32_e32 v44, 0xf0f0f0f, v35
	v_lshrrev_b32_e32 v39, 4, v35
	v_and_b32_e32 v47, 0xf0f0f0f, v32
	v_add3_u32 v1, v37, v1, v38
	v_and_b32_e32 v37, 0xf0f0f0f, v34
	v_lshrrev_b32_e32 v34, 4, v34
	v_lshrrev_b16 v44, 8, v44
	v_bfe_u32 v38, v35, 24, 4
	v_lshrrev_b16 v39, 8, v39
	v_and_b32_e32 v35, 15, v35
	v_lshrrev_b16 v34, 8, v34
	v_and_b32_e32 v44, 0xffff, v44
	v_mad_i32_i24 v30, v42, v38, v30
	v_and_b32_e32 v42, 15, v29
	v_lshrrev_b16 v37, 8, v37
	v_and_b32_e32 v34, 15, v34
	v_mul_i32_i24_e32 v18, v18, v44
	v_dual_lshrrev_b32 v44, 28, v29 :: v_dual_bitop2_b32 v39, 15, v39 bitop3:0x40
	v_lshrrev_b32_e32 v38, 4, v29
	v_and_b32_e32 v37, 0xffff, v37
	v_mad_i32_i24 v1, v43, v35, v1
	s_delay_alu instid0(VALU_DEP_4)
	v_mul_i32_i24_e32 v44, v44, v53
	v_lshrrev_b32_e32 v53, 28, v32
	v_mul_i32_i24_e32 v42, v52, v42
	v_lshrrev_b32_e32 v52, 4, v32
	v_and_b32_e32 v43, 0xf0f0f0f, v29
	v_and_b32_e32 v34, 0xffff, v34
	v_lshrrev_b16 v38, 8, v38
	v_bfe_u32 v35, v29, 24, 4
	v_lshrrev_b16 v52, 8, v52
	v_mul_i32_i24_e32 v16, v37, v16
	v_bfe_u32 v37, v29, 16, 4
	v_and_b32_e32 v39, 0xffff, v39
	v_lshrrev_b16 v43, 8, v43
	v_mul_i32_i24_e32 v17, v34, v17
	v_and_b32_e32 v34, 15, v38
	v_and_b32_e32 v38, 15, v52
	v_bfe_u32 v29, v29, 4, 4
	v_mul_i32_i24_e32 v37, v51, v37
	v_mul_i32_i24_e32 v35, v50, v35
	v_bfe_u32 v50, v32, 4, 4
	v_bfe_u32 v51, v32, 20, 4
	v_lshrrev_b16 v47, 8, v47
	v_mul_i32_i24_e32 v53, v53, v59
	v_mul_i32_i24_e32 v28, v39, v28
	v_and_b32_e32 v39, 0xffff, v43
	v_and_b32_e32 v34, 0xffff, v34
	;; [unrolled: 1-line block ×3, first 2 shown]
	v_mul_i32_i24_e32 v29, v29, v55
	v_mul_i32_i24_e32 v50, v50, v61
	;; [unrolled: 1-line block ×3, first 2 shown]
	v_and_b32_e32 v43, 0xffff, v47
	v_add3_u32 v35, v35, v44, v53
	v_add3_u32 v16, v16, v17, v28
	v_mul_i32_i24_e32 v17, v36, v39
	v_mul_i32_i24_e32 v28, v34, v62
	;; [unrolled: 1-line block ×3, first 2 shown]
	v_and_b32_e32 v54, 15, v32
	v_bfe_u32 v32, v32, 16, 4
	v_add3_u32 v29, v42, v29, v50
	v_add3_u32 v36, v37, v45, v51
	v_mul_i32_i24_e32 v37, v48, v43
	v_mad_i32_i24 v35, v56, v46, v35
	v_add3_u32 v16, v18, v16, v30
	v_add3_u32 v17, v17, v28, v34
	v_mad_i32_i24 v6, v58, v32, v36
	v_add_f32_e32 v18, v2, v3
	v_mad_i32_i24 v7, v57, v54, v29
	v_add3_u32 v1, v1, v19, v16
	v_add3_u32 v16, v37, v17, v35
	v_bitop3_b16 v17, v33, v41, v40 bitop3:0xfe
	v_cvt_f32_ubyte0_e32 v3, v31
	s_delay_alu instid0(VALU_DEP_4) | instskip(NEXT) | instid1(VALU_DEP_4)
	v_cvt_f32_i32_e32 v1, v1
	v_add3_u32 v6, v7, v6, v16
	s_delay_alu instid0(VALU_DEP_4) | instskip(NEXT) | instid1(VALU_DEP_3)
	v_cvt_f32_f16_e32 v2, v17
	v_add_f32_e32 v1, v18, v1
	s_delay_alu instid0(VALU_DEP_3) | instskip(SKIP_1) | instid1(VALU_DEP_3)
	v_cvt_f32_i32_e32 v5, v6
	v_cvt_f32_ubyte0_e32 v6, v27
	v_pk_mul_f32 v[0:1], v[0:1], v[2:3]
	s_delay_alu instid0(VALU_DEP_3) | instskip(NEXT) | instid1(VALU_DEP_1)
	v_add_f32_e32 v2, v4, v5
	v_fma_f32 v1, v2, v6, v1
	s_delay_alu instid0(VALU_DEP_1)
	v_fmac_f32_e32 v24, v0, v1
	s_and_not1_b32 exec_lo, exec_lo, s12
	s_cbranch_execnz .LBB76_3
; %bb.4:
	s_or_b32 exec_lo, exec_lo, s12
.LBB76_5:
	s_delay_alu instid0(SALU_CYCLE_1) | instskip(SKIP_1) | instid1(VALU_DEP_1)
	s_or_b32 exec_lo, exec_lo, s10
	v_mbcnt_lo_u32_b32 v0, -1, 0
	v_xor_b32_e32 v2, 8, v0
	v_xor_b32_e32 v1, 16, v0
	;; [unrolled: 1-line block ×3, first 2 shown]
	s_delay_alu instid0(VALU_DEP_2) | instskip(SKIP_4) | instid1(VALU_DEP_2)
	v_cmp_gt_i32_e32 vcc_lo, 32, v1
	v_cndmask_b32_e32 v1, v0, v1, vcc_lo
	v_cmp_gt_i32_e32 vcc_lo, 32, v2
	v_cndmask_b32_e32 v2, v0, v2, vcc_lo
	v_cmp_gt_i32_e32 vcc_lo, 32, v3
	v_dual_lshlrev_b32 v2, 2, v2 :: v_dual_lshlrev_b32 v1, 2, v1
	ds_bpermute_b32 v1, v1, v24
	s_wait_dscnt 0x0
	v_add_f32_e32 v1, v24, v1
	ds_bpermute_b32 v2, v2, v1
	s_wait_dscnt 0x0
	v_dual_cndmask_b32 v3, v0, v3, vcc_lo :: v_dual_add_f32 v1, v1, v2
	s_delay_alu instid0(VALU_DEP_1) | instskip(SKIP_3) | instid1(VALU_DEP_1)
	v_lshlrev_b32_e32 v3, 2, v3
	ds_bpermute_b32 v2, v3, v1
	s_wait_dscnt 0x0
	v_dual_add_f32 v1, v1, v2 :: v_dual_bitop2_b32 v3, 2, v0 bitop3:0x14
	v_cmp_gt_i32_e32 vcc_lo, 32, v3
	v_cndmask_b32_e32 v3, v0, v3, vcc_lo
	s_delay_alu instid0(VALU_DEP_1) | instskip(SKIP_2) | instid1(VALU_DEP_1)
	v_lshlrev_b32_e32 v3, 2, v3
	ds_bpermute_b32 v2, v3, v1
	v_xor_b32_e32 v3, 1, v0
	v_cmp_gt_i32_e32 vcc_lo, 32, v3
	v_cndmask_b32_e32 v3, v0, v3, vcc_lo
	v_cmp_eq_u32_e32 vcc_lo, 0, v21
	s_wait_dscnt 0x0
	s_delay_alu instid0(VALU_DEP_2)
	v_dual_add_f32 v0, v1, v2 :: v_dual_lshlrev_b32 v1, 2, v3
	ds_bpermute_b32 v1, v1, v0
	s_and_b32 exec_lo, exec_lo, vcc_lo
	s_cbranch_execz .LBB76_7
; %bb.6:
	v_mad_u32 v2, s5, s9, v20
	s_wait_dscnt 0x0
	v_add_f32_e32 v0, v0, v1
	s_wait_kmcnt 0x0
	global_store_b32 v2, v0, s[6:7] scale_offset
.LBB76_7:
	s_endpgm
	.section	.rodata,"a",@progbits
	.p2align	6, 0x0
	.amdhsa_kernel _ZL13mul_mat_vec_qIfLi256ELi8E11block_iq1_mLi1EXadL_ZL18vec_dot_iq1_m_q8_1PKvPK10block_q8_1RKiEEEvS2_S2_PT_iii
		.amdhsa_group_segment_fixed_size 0
		.amdhsa_private_segment_fixed_size 0
		.amdhsa_kernarg_size 296
		.amdhsa_user_sgpr_count 2
		.amdhsa_user_sgpr_dispatch_ptr 0
		.amdhsa_user_sgpr_queue_ptr 0
		.amdhsa_user_sgpr_kernarg_segment_ptr 1
		.amdhsa_user_sgpr_dispatch_id 0
		.amdhsa_user_sgpr_kernarg_preload_length 0
		.amdhsa_user_sgpr_kernarg_preload_offset 0
		.amdhsa_user_sgpr_private_segment_size 0
		.amdhsa_wavefront_size32 1
		.amdhsa_uses_dynamic_stack 0
		.amdhsa_enable_private_segment 0
		.amdhsa_system_sgpr_workgroup_id_x 1
		.amdhsa_system_sgpr_workgroup_id_y 1
		.amdhsa_system_sgpr_workgroup_id_z 0
		.amdhsa_system_sgpr_workgroup_info 0
		.amdhsa_system_vgpr_workitem_id 1
		.amdhsa_next_free_vgpr 63
		.amdhsa_next_free_sgpr 13
		.amdhsa_named_barrier_count 0
		.amdhsa_reserve_vcc 1
		.amdhsa_float_round_mode_32 0
		.amdhsa_float_round_mode_16_64 0
		.amdhsa_float_denorm_mode_32 3
		.amdhsa_float_denorm_mode_16_64 3
		.amdhsa_fp16_overflow 0
		.amdhsa_memory_ordered 1
		.amdhsa_forward_progress 1
		.amdhsa_inst_pref_size 19
		.amdhsa_round_robin_scheduling 0
		.amdhsa_exception_fp_ieee_invalid_op 0
		.amdhsa_exception_fp_denorm_src 0
		.amdhsa_exception_fp_ieee_div_zero 0
		.amdhsa_exception_fp_ieee_overflow 0
		.amdhsa_exception_fp_ieee_underflow 0
		.amdhsa_exception_fp_ieee_inexact 0
		.amdhsa_exception_int_div_zero 0
	.end_amdhsa_kernel
	.section	.text._ZL13mul_mat_vec_qIfLi256ELi8E11block_iq1_mLi1EXadL_ZL18vec_dot_iq1_m_q8_1PKvPK10block_q8_1RKiEEEvS2_S2_PT_iii,"axG",@progbits,_ZL13mul_mat_vec_qIfLi256ELi8E11block_iq1_mLi1EXadL_ZL18vec_dot_iq1_m_q8_1PKvPK10block_q8_1RKiEEEvS2_S2_PT_iii,comdat
.Lfunc_end76:
	.size	_ZL13mul_mat_vec_qIfLi256ELi8E11block_iq1_mLi1EXadL_ZL18vec_dot_iq1_m_q8_1PKvPK10block_q8_1RKiEEEvS2_S2_PT_iii, .Lfunc_end76-_ZL13mul_mat_vec_qIfLi256ELi8E11block_iq1_mLi1EXadL_ZL18vec_dot_iq1_m_q8_1PKvPK10block_q8_1RKiEEEvS2_S2_PT_iii
                                        ; -- End function
	.set _ZL13mul_mat_vec_qIfLi256ELi8E11block_iq1_mLi1EXadL_ZL18vec_dot_iq1_m_q8_1PKvPK10block_q8_1RKiEEEvS2_S2_PT_iii.num_vgpr, 63
	.set _ZL13mul_mat_vec_qIfLi256ELi8E11block_iq1_mLi1EXadL_ZL18vec_dot_iq1_m_q8_1PKvPK10block_q8_1RKiEEEvS2_S2_PT_iii.num_agpr, 0
	.set _ZL13mul_mat_vec_qIfLi256ELi8E11block_iq1_mLi1EXadL_ZL18vec_dot_iq1_m_q8_1PKvPK10block_q8_1RKiEEEvS2_S2_PT_iii.numbered_sgpr, 13
	.set _ZL13mul_mat_vec_qIfLi256ELi8E11block_iq1_mLi1EXadL_ZL18vec_dot_iq1_m_q8_1PKvPK10block_q8_1RKiEEEvS2_S2_PT_iii.num_named_barrier, 0
	.set _ZL13mul_mat_vec_qIfLi256ELi8E11block_iq1_mLi1EXadL_ZL18vec_dot_iq1_m_q8_1PKvPK10block_q8_1RKiEEEvS2_S2_PT_iii.private_seg_size, 0
	.set _ZL13mul_mat_vec_qIfLi256ELi8E11block_iq1_mLi1EXadL_ZL18vec_dot_iq1_m_q8_1PKvPK10block_q8_1RKiEEEvS2_S2_PT_iii.uses_vcc, 1
	.set _ZL13mul_mat_vec_qIfLi256ELi8E11block_iq1_mLi1EXadL_ZL18vec_dot_iq1_m_q8_1PKvPK10block_q8_1RKiEEEvS2_S2_PT_iii.uses_flat_scratch, 0
	.set _ZL13mul_mat_vec_qIfLi256ELi8E11block_iq1_mLi1EXadL_ZL18vec_dot_iq1_m_q8_1PKvPK10block_q8_1RKiEEEvS2_S2_PT_iii.has_dyn_sized_stack, 0
	.set _ZL13mul_mat_vec_qIfLi256ELi8E11block_iq1_mLi1EXadL_ZL18vec_dot_iq1_m_q8_1PKvPK10block_q8_1RKiEEEvS2_S2_PT_iii.has_recursion, 0
	.set _ZL13mul_mat_vec_qIfLi256ELi8E11block_iq1_mLi1EXadL_ZL18vec_dot_iq1_m_q8_1PKvPK10block_q8_1RKiEEEvS2_S2_PT_iii.has_indirect_call, 0
	.section	.AMDGPU.csdata,"",@progbits
; Kernel info:
; codeLenInByte = 2352
; TotalNumSgprs: 15
; NumVgprs: 63
; ScratchSize: 0
; MemoryBound: 0
; FloatMode: 240
; IeeeMode: 1
; LDSByteSize: 0 bytes/workgroup (compile time only)
; SGPRBlocks: 0
; VGPRBlocks: 3
; NumSGPRsForWavesPerEU: 15
; NumVGPRsForWavesPerEU: 63
; NamedBarCnt: 0
; Occupancy: 16
; WaveLimiterHint : 0
; COMPUTE_PGM_RSRC2:SCRATCH_EN: 0
; COMPUTE_PGM_RSRC2:USER_SGPR: 2
; COMPUTE_PGM_RSRC2:TRAP_HANDLER: 0
; COMPUTE_PGM_RSRC2:TGID_X_EN: 1
; COMPUTE_PGM_RSRC2:TGID_Y_EN: 1
; COMPUTE_PGM_RSRC2:TGID_Z_EN: 0
; COMPUTE_PGM_RSRC2:TIDIG_COMP_CNT: 1
	.section	.text._ZL13quantize_q8_1IN3c104HalfEEvPKT_Pvii,"axG",@progbits,_ZL13quantize_q8_1IN3c104HalfEEvPKT_Pvii,comdat
	.globl	_ZL13quantize_q8_1IN3c104HalfEEvPKT_Pvii ; -- Begin function _ZL13quantize_q8_1IN3c104HalfEEvPKT_Pvii
	.p2align	8
	.type	_ZL13quantize_q8_1IN3c104HalfEEvPKT_Pvii,@function
_ZL13quantize_q8_1IN3c104HalfEEvPKT_Pvii: ; @_ZL13quantize_q8_1IN3c104HalfEEvPKT_Pvii
; %bb.0:
	s_clause 0x1
	s_load_b32 s5, s[0:1], 0x24
	s_load_b64 s[2:3], s[0:1], 0x10
	s_bfe_u32 s4, ttmp6, 0x4000c
	s_and_b32 s6, ttmp6, 15
	s_add_co_i32 s4, s4, 1
	v_and_b32_e32 v1, 0x3ff, v0
	s_mul_i32 s7, ttmp9, s4
	s_getreg_b32 s4, hwreg(HW_REG_IB_STS2, 6, 4)
	s_add_co_i32 s6, s6, s7
	s_wait_kmcnt 0x0
	s_and_b32 s5, s5, 0xffff
	s_cmp_eq_u32 s4, 0
	s_cselect_b32 s6, ttmp9, s6
	s_delay_alu instid0(SALU_CYCLE_1) | instskip(SKIP_1) | instid1(VALU_DEP_1)
	v_mad_u32 v1, s6, s5, v1
	s_mov_b32 s5, exec_lo
	v_cmpx_gt_u32_e64 s3, v1
	s_cbranch_execz .LBB77_7
; %bb.1:
	s_add_nc_u64 s[6:7], s[0:1], 24
	v_bfe_u32 v0, v0, 10, 10
	s_load_u16 s5, s[6:7], 0xe
	s_wait_xcnt 0x0
	s_bfe_u32 s6, ttmp6, 0x40010
	s_bfe_u32 s7, ttmp6, 0x40004
	s_add_co_i32 s6, s6, 1
	v_dual_mov_b32 v2, 0 :: v_dual_mov_b32 v3, 0
	s_mul_i32 s6, ttmp7, s6
	s_delay_alu instid0(SALU_CYCLE_1)
	s_add_co_i32 s7, s7, s6
	s_cmp_eq_u32 s4, 0
	s_cselect_b32 s4, ttmp7, s7
	s_wait_kmcnt 0x0
	v_mad_u32 v0, s4, s5, v0
	s_mov_b32 s4, exec_lo
	v_cmpx_gt_u32_e64 s2, v1
	s_cbranch_execz .LBB77_3
; %bb.2:
	s_load_b64 s[6:7], s[0:1], 0x0
	s_delay_alu instid0(VALU_DEP_2)
	v_mad_u32 v3, v0, s2, v1
	s_wait_kmcnt 0x0
	global_load_u16 v3, v3, s[6:7] scale_offset
	s_wait_loadcnt 0x0
	v_cvt_f32_f16_e32 v3, v3
.LBB77_3:
	s_or_b32 exec_lo, exec_lo, s4
	v_mbcnt_lo_u32_b32 v4, -1, 0
	s_delay_alu instid0(VALU_DEP_2)
	v_max_num_f32_e64 v8, |v3|, |v3|
	v_and_b32_e32 v6, 0x7fffffff, v3
	s_load_b64 s[0:1], s[0:1], 0x8
	s_mov_b32 s2, exec_lo
	v_xor_b32_e32 v7, 8, v4
	v_xor_b32_e32 v5, 16, v4
	s_delay_alu instid0(VALU_DEP_1) | instskip(SKIP_1) | instid1(VALU_DEP_4)
	v_cmp_gt_i32_e32 vcc_lo, 32, v5
	v_cndmask_b32_e32 v5, v4, v5, vcc_lo
	v_cmp_gt_i32_e32 vcc_lo, 32, v7
	s_delay_alu instid0(VALU_DEP_2) | instskip(NEXT) | instid1(VALU_DEP_1)
	v_dual_cndmask_b32 v7, v4, v7, vcc_lo :: v_dual_lshlrev_b32 v5, 2, v5
	v_lshlrev_b32_e32 v7, 2, v7
	ds_bpermute_b32 v6, v5, v6
	ds_bpermute_b32 v5, v5, v3
	s_wait_dscnt 0x1
	v_dual_max_num_f32 v6, v6, v6 :: v_dual_bitop2_b32 v10, 2, v4 bitop3:0x14
	s_wait_dscnt 0x0
	v_dual_add_f32 v5, v3, v5 :: v_dual_bitop2_b32 v9, 4, v4 bitop3:0x14
	s_delay_alu instid0(VALU_DEP_2) | instskip(NEXT) | instid1(VALU_DEP_2)
	v_max_num_f32_e32 v6, v8, v6
	v_cmp_gt_i32_e32 vcc_lo, 32, v9
	ds_bpermute_b32 v8, v7, v6
	ds_bpermute_b32 v7, v7, v5
	v_xor_b32_e32 v11, 1, v4
	s_wait_dscnt 0x1
	v_max_num_f32_e32 v8, v8, v8
	v_cndmask_b32_e32 v9, v4, v9, vcc_lo
	v_cmp_gt_i32_e32 vcc_lo, 32, v10
	s_wait_dscnt 0x0
	s_delay_alu instid0(VALU_DEP_3) | instskip(NEXT) | instid1(VALU_DEP_3)
	v_dual_add_f32 v5, v5, v7 :: v_dual_max_num_f32 v6, v6, v8
	v_dual_cndmask_b32 v10, v4, v10 :: v_dual_lshlrev_b32 v9, 2, v9
	v_cmp_gt_i32_e32 vcc_lo, 32, v11
	ds_bpermute_b32 v8, v9, v6
	ds_bpermute_b32 v7, v9, v5
	v_dual_lshlrev_b32 v10, 2, v10 :: v_dual_cndmask_b32 v4, v4, v11, vcc_lo
	s_delay_alu instid0(VALU_DEP_1) | instskip(SKIP_2) | instid1(VALU_DEP_1)
	v_lshlrev_b32_e32 v11, 2, v4
	s_wait_dscnt 0x1
	v_max_num_f32_e32 v8, v8, v8
	v_max_num_f32_e32 v6, v6, v8
	ds_bpermute_b32 v8, v10, v6
	s_wait_dscnt 0x0
	v_max_num_f32_e32 v8, v8, v8
	s_delay_alu instid0(VALU_DEP_1) | instskip(SKIP_3) | instid1(VALU_DEP_1)
	v_max_num_f32_e32 v4, v6, v8
	ds_bpermute_b32 v6, v11, v4
	s_wait_dscnt 0x0
	v_max_num_f32_e32 v6, v6, v6
	v_dual_max_num_f32 v8, v4, v6 :: v_dual_add_f32 v4, v5, v7
	s_delay_alu instid0(VALU_DEP_1) | instskip(SKIP_4) | instid1(TRANS32_DEP_1)
	v_div_scale_f32 v6, null, 0x42fe0000, 0x42fe0000, v8
	ds_bpermute_b32 v5, v10, v4
	v_div_scale_f32 v10, vcc_lo, v8, 0x42fe0000, v8
	v_rcp_f32_e32 v7, v6
	v_nop
	v_fma_f32 v9, -v6, v7, 1.0
	s_delay_alu instid0(VALU_DEP_1) | instskip(SKIP_1) | instid1(VALU_DEP_1)
	v_fmac_f32_e32 v7, v9, v7
	s_wait_dscnt 0x0
	v_dual_mul_f32 v9, v10, v7 :: v_dual_add_f32 v4, v4, v5
	s_delay_alu instid0(VALU_DEP_1) | instskip(SKIP_2) | instid1(VALU_DEP_1)
	v_fma_f32 v12, -v6, v9, v10
	ds_bpermute_b32 v5, v11, v4
	v_fmac_f32_e32 v9, v12, v7
	v_fma_f32 v6, -v6, v9, v10
	s_delay_alu instid0(VALU_DEP_1) | instskip(NEXT) | instid1(VALU_DEP_1)
	v_div_fmas_f32 v6, v6, v7, v9
	v_div_fixup_f32 v6, v6, 0x42fe0000, v8
	v_cmpx_neq_f32_e32 0, v8
	s_cbranch_execz .LBB77_5
; %bb.4:
	s_delay_alu instid0(VALU_DEP_2) | instskip(SKIP_1) | instid1(VALU_DEP_2)
	v_div_scale_f32 v2, null, v6, v6, v3
	v_div_scale_f32 v9, vcc_lo, v3, v6, v3
	v_rcp_f32_e32 v7, v2
	v_nop
	s_delay_alu instid0(TRANS32_DEP_1) | instskip(NEXT) | instid1(VALU_DEP_1)
	v_fma_f32 v8, -v2, v7, 1.0
	v_fmac_f32_e32 v7, v8, v7
	s_delay_alu instid0(VALU_DEP_1) | instskip(NEXT) | instid1(VALU_DEP_1)
	v_mul_f32_e32 v8, v9, v7
	v_fma_f32 v10, -v2, v8, v9
	s_delay_alu instid0(VALU_DEP_1) | instskip(NEXT) | instid1(VALU_DEP_1)
	v_fmac_f32_e32 v8, v10, v7
	v_fma_f32 v2, -v2, v8, v9
	s_delay_alu instid0(VALU_DEP_1) | instskip(NEXT) | instid1(VALU_DEP_1)
	v_div_fmas_f32 v2, v2, v7, v8
	v_div_fixup_f32 v2, v2, v6, v3
	s_delay_alu instid0(VALU_DEP_1) | instskip(NEXT) | instid1(VALU_DEP_1)
	v_trunc_f32_e32 v3, v2
	v_sub_f32_e32 v7, v2, v3
	s_delay_alu instid0(VALU_DEP_1) | instskip(NEXT) | instid1(VALU_DEP_1)
	v_cmp_ge_f32_e64 s4, |v7|, 0.5
	v_cndmask_b32_e64 v7, 0, 1.0, s4
	s_delay_alu instid0(VALU_DEP_1) | instskip(NEXT) | instid1(VALU_DEP_1)
	v_bfi_b32 v2, 0x7fffffff, v7, v2
	v_add_f32_e32 v2, v3, v2
	s_delay_alu instid0(VALU_DEP_1)
	v_cvt_i32_f32_e32 v2, v2
.LBB77_5:
	s_or_b32 exec_lo, exec_lo, s2
	v_mad_u32 v3, v0, s3, v1
	s_delay_alu instid0(VALU_DEP_1) | instskip(NEXT) | instid1(VALU_DEP_1)
	v_ashrrev_i32_e32 v0, 31, v3
	v_lshrrev_b32_e32 v0, 27, v0
	s_delay_alu instid0(VALU_DEP_1) | instskip(NEXT) | instid1(VALU_DEP_1)
	v_add_nc_u32_e32 v0, v3, v0
	v_ashrrev_i32_e32 v1, 5, v0
	v_and_b32_e32 v7, 0xffffffe0, v0
	s_wait_kmcnt 0x0
	s_delay_alu instid0(VALU_DEP_2) | instskip(NEXT) | instid1(VALU_DEP_2)
	v_mad_nc_i64_i32 v[0:1], v1, 36, s[0:1]
	v_sub_nc_u32_e32 v8, v3, v7
	s_delay_alu instid0(VALU_DEP_1) | instskip(SKIP_1) | instid1(VALU_DEP_2)
	v_ashrrev_i32_e32 v9, 31, v8
	v_cmp_gt_i32_e32 vcc_lo, 1, v8
	v_add_nc_u64_e32 v[10:11], v[0:1], v[8:9]
	global_store_b8 v[10:11], v2, off offset:4
	s_wait_xcnt 0x0
	s_and_b32 exec_lo, exec_lo, vcc_lo
	s_cbranch_execz .LBB77_7
; %bb.6:
	s_wait_dscnt 0x0
	v_add_f32_e32 v2, v4, v5
	s_delay_alu instid0(VALU_DEP_1)
	v_cvt_pk_f16_f32 v2, v6, v2
	global_store_b32 v[0:1], v2, off
.LBB77_7:
	s_endpgm
	.section	.rodata,"a",@progbits
	.p2align	6, 0x0
	.amdhsa_kernel _ZL13quantize_q8_1IN3c104HalfEEvPKT_Pvii
		.amdhsa_group_segment_fixed_size 0
		.amdhsa_private_segment_fixed_size 0
		.amdhsa_kernarg_size 280
		.amdhsa_user_sgpr_count 2
		.amdhsa_user_sgpr_dispatch_ptr 0
		.amdhsa_user_sgpr_queue_ptr 0
		.amdhsa_user_sgpr_kernarg_segment_ptr 1
		.amdhsa_user_sgpr_dispatch_id 0
		.amdhsa_user_sgpr_kernarg_preload_length 0
		.amdhsa_user_sgpr_kernarg_preload_offset 0
		.amdhsa_user_sgpr_private_segment_size 0
		.amdhsa_wavefront_size32 1
		.amdhsa_uses_dynamic_stack 0
		.amdhsa_enable_private_segment 0
		.amdhsa_system_sgpr_workgroup_id_x 1
		.amdhsa_system_sgpr_workgroup_id_y 1
		.amdhsa_system_sgpr_workgroup_id_z 0
		.amdhsa_system_sgpr_workgroup_info 0
		.amdhsa_system_vgpr_workitem_id 1
		.amdhsa_next_free_vgpr 13
		.amdhsa_next_free_sgpr 8
		.amdhsa_named_barrier_count 0
		.amdhsa_reserve_vcc 1
		.amdhsa_float_round_mode_32 0
		.amdhsa_float_round_mode_16_64 0
		.amdhsa_float_denorm_mode_32 3
		.amdhsa_float_denorm_mode_16_64 3
		.amdhsa_fp16_overflow 0
		.amdhsa_memory_ordered 1
		.amdhsa_forward_progress 1
		.amdhsa_inst_pref_size 8
		.amdhsa_round_robin_scheduling 0
		.amdhsa_exception_fp_ieee_invalid_op 0
		.amdhsa_exception_fp_denorm_src 0
		.amdhsa_exception_fp_ieee_div_zero 0
		.amdhsa_exception_fp_ieee_overflow 0
		.amdhsa_exception_fp_ieee_underflow 0
		.amdhsa_exception_fp_ieee_inexact 0
		.amdhsa_exception_int_div_zero 0
	.end_amdhsa_kernel
	.section	.text._ZL13quantize_q8_1IN3c104HalfEEvPKT_Pvii,"axG",@progbits,_ZL13quantize_q8_1IN3c104HalfEEvPKT_Pvii,comdat
.Lfunc_end77:
	.size	_ZL13quantize_q8_1IN3c104HalfEEvPKT_Pvii, .Lfunc_end77-_ZL13quantize_q8_1IN3c104HalfEEvPKT_Pvii
                                        ; -- End function
	.set _ZL13quantize_q8_1IN3c104HalfEEvPKT_Pvii.num_vgpr, 13
	.set _ZL13quantize_q8_1IN3c104HalfEEvPKT_Pvii.num_agpr, 0
	.set _ZL13quantize_q8_1IN3c104HalfEEvPKT_Pvii.numbered_sgpr, 8
	.set _ZL13quantize_q8_1IN3c104HalfEEvPKT_Pvii.num_named_barrier, 0
	.set _ZL13quantize_q8_1IN3c104HalfEEvPKT_Pvii.private_seg_size, 0
	.set _ZL13quantize_q8_1IN3c104HalfEEvPKT_Pvii.uses_vcc, 1
	.set _ZL13quantize_q8_1IN3c104HalfEEvPKT_Pvii.uses_flat_scratch, 0
	.set _ZL13quantize_q8_1IN3c104HalfEEvPKT_Pvii.has_dyn_sized_stack, 0
	.set _ZL13quantize_q8_1IN3c104HalfEEvPKT_Pvii.has_recursion, 0
	.set _ZL13quantize_q8_1IN3c104HalfEEvPKT_Pvii.has_indirect_call, 0
	.section	.AMDGPU.csdata,"",@progbits
; Kernel info:
; codeLenInByte = 992
; TotalNumSgprs: 10
; NumVgprs: 13
; ScratchSize: 0
; MemoryBound: 0
; FloatMode: 240
; IeeeMode: 1
; LDSByteSize: 0 bytes/workgroup (compile time only)
; SGPRBlocks: 0
; VGPRBlocks: 0
; NumSGPRsForWavesPerEU: 10
; NumVGPRsForWavesPerEU: 13
; NamedBarCnt: 0
; Occupancy: 16
; WaveLimiterHint : 0
; COMPUTE_PGM_RSRC2:SCRATCH_EN: 0
; COMPUTE_PGM_RSRC2:USER_SGPR: 2
; COMPUTE_PGM_RSRC2:TRAP_HANDLER: 0
; COMPUTE_PGM_RSRC2:TGID_X_EN: 1
; COMPUTE_PGM_RSRC2:TGID_Y_EN: 1
; COMPUTE_PGM_RSRC2:TGID_Z_EN: 0
; COMPUTE_PGM_RSRC2:TIDIG_COMP_CNT: 1
	.section	.text._ZL13mul_mat_vec_qIN3c104HalfELi32ELi4E10block_q4_0Li2EXadL_ZL17vec_dot_q4_0_q8_1PKvPK10block_q8_1RKiEEEvS4_S4_PT_iii,"axG",@progbits,_ZL13mul_mat_vec_qIN3c104HalfELi32ELi4E10block_q4_0Li2EXadL_ZL17vec_dot_q4_0_q8_1PKvPK10block_q8_1RKiEEEvS4_S4_PT_iii,comdat
	.globl	_ZL13mul_mat_vec_qIN3c104HalfELi32ELi4E10block_q4_0Li2EXadL_ZL17vec_dot_q4_0_q8_1PKvPK10block_q8_1RKiEEEvS4_S4_PT_iii ; -- Begin function _ZL13mul_mat_vec_qIN3c104HalfELi32ELi4E10block_q4_0Li2EXadL_ZL17vec_dot_q4_0_q8_1PKvPK10block_q8_1RKiEEEvS4_S4_PT_iii
	.p2align	8
	.type	_ZL13mul_mat_vec_qIN3c104HalfELi32ELi4E10block_q4_0Li2EXadL_ZL17vec_dot_q4_0_q8_1PKvPK10block_q8_1RKiEEEvS4_S4_PT_iii,@function
_ZL13mul_mat_vec_qIN3c104HalfELi32ELi4E10block_q4_0Li2EXadL_ZL17vec_dot_q4_0_q8_1PKvPK10block_q8_1RKiEEEvS4_S4_PT_iii: ; @_ZL13mul_mat_vec_qIN3c104HalfELi32ELi4E10block_q4_0Li2EXadL_ZL17vec_dot_q4_0_q8_1PKvPK10block_q8_1RKiEEEvS4_S4_PT_iii
; %bb.0:
	s_clause 0x1
	s_load_u16 s2, s[0:1], 0x36
	s_load_b96 s[4:6], s[0:1], 0x18
	s_bfe_u32 s7, ttmp6, 0x4000c
	s_bfe_u32 s8, ttmp6, 0x40010
	s_add_co_i32 s7, s7, 1
	s_add_co_i32 s8, s8, 1
	s_and_b32 s3, ttmp6, 15
	s_mul_i32 s7, ttmp9, s7
	s_mul_i32 s8, ttmp7, s8
	s_bfe_u32 s9, ttmp6, 0x40004
	s_add_co_i32 s3, s3, s7
	s_getreg_b32 s7, hwreg(HW_REG_IB_STS2, 6, 4)
	s_add_co_i32 s9, s9, s8
	v_bfe_u32 v1, v0, 10, 10
	s_cmp_eq_u32 s7, 0
	s_cselect_b32 s3, ttmp9, s3
	s_cselect_b32 s8, ttmp7, s9
	s_wait_kmcnt 0x0
	v_mad_u32 v4, s3, s2, v1
	s_cmp_lt_u32 s8, s6
	s_cselect_b32 s2, -1, 0
	s_delay_alu instid0(VALU_DEP_1) | instskip(SKIP_1) | instid1(SALU_CYCLE_1)
	v_cmp_gt_u32_e32 vcc_lo, s5, v4
	s_and_b32 s2, s2, vcc_lo
	s_and_saveexec_b32 s3, s2
	s_cbranch_execz .LBB78_7
; %bb.1:
	s_load_b64 s[6:7], s[0:1], 0x10
	s_ashr_i32 s2, s4, 31
	v_bfe_u32 v6, v0, 1, 9
	s_lshr_b32 s2, s2, 27
	v_and_b32_e32 v5, 0x3ff, v0
	v_mov_b32_e32 v7, 0
	s_add_co_i32 s2, s4, s2
	s_mov_b32 s9, exec_lo
	s_ashr_i32 s10, s2, 5
	s_delay_alu instid0(SALU_CYCLE_1)
	v_cmpx_gt_u32_e64 s10, v6
	s_cbranch_execz .LBB78_5
; %bb.2:
	s_wait_xcnt 0x0
	s_load_b128 s[0:3], s[0:1], 0x0
	s_addk_co_i32 s4, 0x1ff
	v_mul_lo_u32 v8, v4, s10
	s_ashr_i32 s11, s4, 31
	v_dual_mov_b32 v1, 0 :: v_dual_lshlrev_b32 v0, 3, v5
	s_lshr_b32 s11, s11, 23
	v_mov_b32_e32 v3, 4.0
	s_add_co_i32 s4, s4, s11
	s_delay_alu instid0(VALU_DEP_2) | instskip(SKIP_3) | instid1(SALU_CYCLE_1)
	v_and_b32_e32 v0, 8, v0
	s_ashr_i32 s4, s4, 9
	v_mov_b32_e32 v7, v1
	s_mul_i32 s4, s8, s4
	s_lshl_b32 s11, s4, 4
	s_mov_b32 s4, 0
.LBB78_3:                               ; =>This Inner Loop Header: Depth=1
	v_dual_add_nc_u32 v2, v8, v6 :: v_dual_add_nc_u32 v9, s11, v6
	v_add_nc_u32_e32 v6, 16, v6
	s_wait_kmcnt 0x0
	s_delay_alu instid0(VALU_DEP_2) | instskip(NEXT) | instid1(VALU_DEP_3)
	v_mad_nc_i64_i32 v[10:11], v2, 18, s[0:1]
	v_mad_nc_i64_i32 v[12:13], v9, 36, s[2:3]
	s_delay_alu instid0(VALU_DEP_3) | instskip(SKIP_1) | instid1(VALU_DEP_3)
	v_cmp_le_u32_e32 vcc_lo, s10, v6
	s_or_b32 s4, vcc_lo, s4
	v_add_nc_u64_e32 v[14:15], v[10:11], v[0:1]
	s_delay_alu instid0(VALU_DEP_3)
	v_add_nc_u64_e32 v[16:17], v[12:13], v[0:1]
	global_load_b64 v[18:19], v[14:15], off offset:2
	s_clause 0x2
	global_load_b64 v[20:21], v[16:17], off offset:4
	global_load_b64 v[22:23], v[16:17], off offset:20
	global_load_b32 v2, v[12:13], off
	global_load_u16 v9, v[10:11], off
	s_wait_loadcnt 0x4
	s_wait_xcnt 0x4
	v_dual_lshrrev_b32 v14, 4, v18 :: v_dual_lshrrev_b32 v15, 28, v18
	s_wait_loadcnt 0x2
	s_wait_xcnt 0x0
	v_lshrrev_b16 v11, 8, v22
	v_bfe_u32 v12, v18, 24, 4
	v_and_b32_e32 v13, 0xf0f0f0f, v18
	v_bfe_u32 v16, v18, 16, 4
	v_and_b32_e32 v17, 15, v18
	v_bfe_u32 v26, v18, 20, 4
	v_bfe_u32 v18, v18, 4, 4
	v_dual_ashrrev_i32 v27, 24, v22 :: v_dual_lshrrev_b32 v31, 4, v19
	v_bfe_i32 v28, v22, 16, 8
	v_bfe_i32 v22, v22, 0, 8
	v_and_b32_e32 v30, 0xf0f0f0f, v19
	v_lshrrev_b16 v14, 8, v14
	v_lshrrev_b16 v10, 8, v20
	;; [unrolled: 1-line block ×3, first 2 shown]
	v_mul_i32_i24_e32 v18, v18, v22
	v_mul_i32_i24_e32 v22, v26, v28
	;; [unrolled: 1-line block ×3, first 2 shown]
	v_lshrrev_b16 v26, 8, v30
	v_lshrrev_b16 v27, 8, v31
	v_and_b32_e32 v14, 15, v14
	v_bfe_i32 v24, v20, 16, 8
	v_bfe_i32 v25, v20, 0, 8
	v_ashrrev_i32_e32 v20, 24, v20
	v_bfe_u32 v29, v19, 24, 4
	v_dual_lshrrev_b32 v32, 28, v19 :: v_dual_bitop2_b32 v34, 15, v19 bitop3:0x40
	v_dual_ashrrev_i32 v35, 24, v21 :: v_dual_ashrrev_i32 v39, 24, v23
	v_bfe_i32 v37, v21, 8, 8
	v_bfe_i32 v10, v10, 0, 8
	v_bfe_i32 v11, v11, 0, 8
	v_and_b32_e32 v13, 0xffff, v13
	v_and_b32_e32 v26, 0xffff, v26
	;; [unrolled: 1-line block ×4, first 2 shown]
	v_bfe_u32 v33, v19, 16, 4
	v_bfe_i32 v36, v21, 16, 8
	v_bfe_i32 v21, v21, 0, 8
	v_bfe_u32 v38, v19, 20, 4
	v_bfe_u32 v19, v19, 4, 4
	v_bfe_i32 v40, v23, 16, 8
	v_bfe_i32 v41, v23, 8, 8
	;; [unrolled: 1-line block ×3, first 2 shown]
	v_mul_i32_i24_e32 v29, v35, v29
	v_mul_i32_i24_e32 v30, v39, v32
	v_mad_i32_i24 v12, v12, v20, v15
	v_mul_i32_i24_e32 v10, v13, v10
	v_mul_i32_i24_e32 v13, v37, v26
	v_and_b32_e32 v15, 0xffff, v27
	v_mul_i32_i24_e32 v11, v14, v11
	v_mul_i32_i24_e32 v21, v21, v34
	v_mul_i32_i24_e32 v28, v36, v33
	v_mul_i32_i24_e32 v19, v23, v19
	v_mul_i32_i24_e32 v23, v40, v38
	v_mad_i32_i24 v14, v17, v25, v18
	v_mad_i32_i24 v16, v16, v24, v22
	v_add3_u32 v12, v12, v29, v30
	v_mul_i32_i24_e32 v15, v41, v15
	v_add3_u32 v10, v10, v11, v13
	v_add3_u32 v13, v14, v21, v19
	;; [unrolled: 1-line block ×3, first 2 shown]
	s_delay_alu instid0(VALU_DEP_3) | instskip(SKIP_2) | instid1(VALU_DEP_2)
	v_add3_u32 v10, v10, v15, v12
	s_wait_loadcnt 0x1
	v_lshrrev_b32_e32 v12, 16, v2
	v_add3_u32 v13, v13, v11, v10
	v_cvt_f32_f16_e32 v10, v2
	s_delay_alu instid0(VALU_DEP_3) | instskip(NEXT) | instid1(VALU_DEP_3)
	v_cvt_f32_f16_e32 v11, v12
	v_cvt_f32_i32_e32 v2, v13
	s_delay_alu instid0(VALU_DEP_1) | instskip(NEXT) | instid1(VALU_DEP_1)
	v_pk_mul_f32 v[10:11], v[2:3], v[10:11]
	v_sub_f32_e32 v2, v10, v11
	s_wait_loadcnt 0x0
	s_delay_alu instid0(VALU_DEP_1)
	v_fma_mix_f32 v7, v2, v9, v7 op_sel_hi:[0,1,0]
	s_and_not1_b32 exec_lo, exec_lo, s4
	s_cbranch_execnz .LBB78_3
; %bb.4:
	s_or_b32 exec_lo, exec_lo, s4
.LBB78_5:
	s_delay_alu instid0(SALU_CYCLE_1) | instskip(SKIP_1) | instid1(VALU_DEP_1)
	s_or_b32 exec_lo, exec_lo, s9
	v_mbcnt_lo_u32_b32 v0, -1, 0
	v_xor_b32_e32 v2, 8, v0
	v_xor_b32_e32 v1, 16, v0
	v_xor_b32_e32 v3, 4, v0
	s_delay_alu instid0(VALU_DEP_2) | instskip(SKIP_4) | instid1(VALU_DEP_2)
	v_cmp_gt_i32_e32 vcc_lo, 32, v1
	v_cndmask_b32_e32 v1, v0, v1, vcc_lo
	v_cmp_gt_i32_e32 vcc_lo, 32, v2
	v_cndmask_b32_e32 v2, v0, v2, vcc_lo
	v_cmp_gt_i32_e32 vcc_lo, 32, v3
	v_dual_lshlrev_b32 v2, 2, v2 :: v_dual_lshlrev_b32 v1, 2, v1
	ds_bpermute_b32 v1, v1, v7
	s_wait_dscnt 0x0
	v_add_f32_e32 v1, v7, v1
	ds_bpermute_b32 v2, v2, v1
	s_wait_dscnt 0x0
	v_dual_cndmask_b32 v3, v0, v3, vcc_lo :: v_dual_add_f32 v1, v1, v2
	s_delay_alu instid0(VALU_DEP_1) | instskip(SKIP_3) | instid1(VALU_DEP_1)
	v_lshlrev_b32_e32 v3, 2, v3
	ds_bpermute_b32 v2, v3, v1
	s_wait_dscnt 0x0
	v_dual_add_f32 v1, v1, v2 :: v_dual_bitop2_b32 v3, 2, v0 bitop3:0x14
	v_cmp_gt_i32_e32 vcc_lo, 32, v3
	v_cndmask_b32_e32 v3, v0, v3, vcc_lo
	s_delay_alu instid0(VALU_DEP_1) | instskip(SKIP_2) | instid1(VALU_DEP_1)
	v_lshlrev_b32_e32 v3, 2, v3
	ds_bpermute_b32 v2, v3, v1
	v_xor_b32_e32 v3, 1, v0
	v_cmp_gt_i32_e32 vcc_lo, 32, v3
	v_cndmask_b32_e32 v3, v0, v3, vcc_lo
	v_cmp_eq_u32_e32 vcc_lo, 0, v5
	s_wait_dscnt 0x0
	s_delay_alu instid0(VALU_DEP_2)
	v_dual_add_f32 v0, v1, v2 :: v_dual_lshlrev_b32 v1, 2, v3
	ds_bpermute_b32 v1, v1, v0
	s_and_b32 exec_lo, exec_lo, vcc_lo
	s_cbranch_execz .LBB78_7
; %bb.6:
	v_mad_u32 v2, s5, s8, v4
	s_wait_dscnt 0x0
	v_add_f32_e32 v0, v0, v1
	s_delay_alu instid0(VALU_DEP_1)
	v_cvt_f16_f32_e32 v0, v0
	s_wait_kmcnt 0x0
	global_store_b16 v2, v0, s[6:7] scale_offset
.LBB78_7:
	s_endpgm
	.section	.rodata,"a",@progbits
	.p2align	6, 0x0
	.amdhsa_kernel _ZL13mul_mat_vec_qIN3c104HalfELi32ELi4E10block_q4_0Li2EXadL_ZL17vec_dot_q4_0_q8_1PKvPK10block_q8_1RKiEEEvS4_S4_PT_iii
		.amdhsa_group_segment_fixed_size 0
		.amdhsa_private_segment_fixed_size 0
		.amdhsa_kernarg_size 296
		.amdhsa_user_sgpr_count 2
		.amdhsa_user_sgpr_dispatch_ptr 0
		.amdhsa_user_sgpr_queue_ptr 0
		.amdhsa_user_sgpr_kernarg_segment_ptr 1
		.amdhsa_user_sgpr_dispatch_id 0
		.amdhsa_user_sgpr_kernarg_preload_length 0
		.amdhsa_user_sgpr_kernarg_preload_offset 0
		.amdhsa_user_sgpr_private_segment_size 0
		.amdhsa_wavefront_size32 1
		.amdhsa_uses_dynamic_stack 0
		.amdhsa_enable_private_segment 0
		.amdhsa_system_sgpr_workgroup_id_x 1
		.amdhsa_system_sgpr_workgroup_id_y 1
		.amdhsa_system_sgpr_workgroup_id_z 0
		.amdhsa_system_sgpr_workgroup_info 0
		.amdhsa_system_vgpr_workitem_id 1
		.amdhsa_next_free_vgpr 42
		.amdhsa_next_free_sgpr 12
		.amdhsa_named_barrier_count 0
		.amdhsa_reserve_vcc 1
		.amdhsa_float_round_mode_32 0
		.amdhsa_float_round_mode_16_64 0
		.amdhsa_float_denorm_mode_32 3
		.amdhsa_float_denorm_mode_16_64 3
		.amdhsa_fp16_overflow 0
		.amdhsa_memory_ordered 1
		.amdhsa_forward_progress 1
		.amdhsa_inst_pref_size 10
		.amdhsa_round_robin_scheduling 0
		.amdhsa_exception_fp_ieee_invalid_op 0
		.amdhsa_exception_fp_denorm_src 0
		.amdhsa_exception_fp_ieee_div_zero 0
		.amdhsa_exception_fp_ieee_overflow 0
		.amdhsa_exception_fp_ieee_underflow 0
		.amdhsa_exception_fp_ieee_inexact 0
		.amdhsa_exception_int_div_zero 0
	.end_amdhsa_kernel
	.section	.text._ZL13mul_mat_vec_qIN3c104HalfELi32ELi4E10block_q4_0Li2EXadL_ZL17vec_dot_q4_0_q8_1PKvPK10block_q8_1RKiEEEvS4_S4_PT_iii,"axG",@progbits,_ZL13mul_mat_vec_qIN3c104HalfELi32ELi4E10block_q4_0Li2EXadL_ZL17vec_dot_q4_0_q8_1PKvPK10block_q8_1RKiEEEvS4_S4_PT_iii,comdat
.Lfunc_end78:
	.size	_ZL13mul_mat_vec_qIN3c104HalfELi32ELi4E10block_q4_0Li2EXadL_ZL17vec_dot_q4_0_q8_1PKvPK10block_q8_1RKiEEEvS4_S4_PT_iii, .Lfunc_end78-_ZL13mul_mat_vec_qIN3c104HalfELi32ELi4E10block_q4_0Li2EXadL_ZL17vec_dot_q4_0_q8_1PKvPK10block_q8_1RKiEEEvS4_S4_PT_iii
                                        ; -- End function
	.set _ZL13mul_mat_vec_qIN3c104HalfELi32ELi4E10block_q4_0Li2EXadL_ZL17vec_dot_q4_0_q8_1PKvPK10block_q8_1RKiEEEvS4_S4_PT_iii.num_vgpr, 42
	.set _ZL13mul_mat_vec_qIN3c104HalfELi32ELi4E10block_q4_0Li2EXadL_ZL17vec_dot_q4_0_q8_1PKvPK10block_q8_1RKiEEEvS4_S4_PT_iii.num_agpr, 0
	.set _ZL13mul_mat_vec_qIN3c104HalfELi32ELi4E10block_q4_0Li2EXadL_ZL17vec_dot_q4_0_q8_1PKvPK10block_q8_1RKiEEEvS4_S4_PT_iii.numbered_sgpr, 12
	.set _ZL13mul_mat_vec_qIN3c104HalfELi32ELi4E10block_q4_0Li2EXadL_ZL17vec_dot_q4_0_q8_1PKvPK10block_q8_1RKiEEEvS4_S4_PT_iii.num_named_barrier, 0
	.set _ZL13mul_mat_vec_qIN3c104HalfELi32ELi4E10block_q4_0Li2EXadL_ZL17vec_dot_q4_0_q8_1PKvPK10block_q8_1RKiEEEvS4_S4_PT_iii.private_seg_size, 0
	.set _ZL13mul_mat_vec_qIN3c104HalfELi32ELi4E10block_q4_0Li2EXadL_ZL17vec_dot_q4_0_q8_1PKvPK10block_q8_1RKiEEEvS4_S4_PT_iii.uses_vcc, 1
	.set _ZL13mul_mat_vec_qIN3c104HalfELi32ELi4E10block_q4_0Li2EXadL_ZL17vec_dot_q4_0_q8_1PKvPK10block_q8_1RKiEEEvS4_S4_PT_iii.uses_flat_scratch, 0
	.set _ZL13mul_mat_vec_qIN3c104HalfELi32ELi4E10block_q4_0Li2EXadL_ZL17vec_dot_q4_0_q8_1PKvPK10block_q8_1RKiEEEvS4_S4_PT_iii.has_dyn_sized_stack, 0
	.set _ZL13mul_mat_vec_qIN3c104HalfELi32ELi4E10block_q4_0Li2EXadL_ZL17vec_dot_q4_0_q8_1PKvPK10block_q8_1RKiEEEvS4_S4_PT_iii.has_recursion, 0
	.set _ZL13mul_mat_vec_qIN3c104HalfELi32ELi4E10block_q4_0Li2EXadL_ZL17vec_dot_q4_0_q8_1PKvPK10block_q8_1RKiEEEvS4_S4_PT_iii.has_indirect_call, 0
	.section	.AMDGPU.csdata,"",@progbits
; Kernel info:
; codeLenInByte = 1188
; TotalNumSgprs: 14
; NumVgprs: 42
; ScratchSize: 0
; MemoryBound: 0
; FloatMode: 240
; IeeeMode: 1
; LDSByteSize: 0 bytes/workgroup (compile time only)
; SGPRBlocks: 0
; VGPRBlocks: 2
; NumSGPRsForWavesPerEU: 14
; NumVGPRsForWavesPerEU: 42
; NamedBarCnt: 0
; Occupancy: 16
; WaveLimiterHint : 0
; COMPUTE_PGM_RSRC2:SCRATCH_EN: 0
; COMPUTE_PGM_RSRC2:USER_SGPR: 2
; COMPUTE_PGM_RSRC2:TRAP_HANDLER: 0
; COMPUTE_PGM_RSRC2:TGID_X_EN: 1
; COMPUTE_PGM_RSRC2:TGID_Y_EN: 1
; COMPUTE_PGM_RSRC2:TGID_Z_EN: 0
; COMPUTE_PGM_RSRC2:TIDIG_COMP_CNT: 1
	.section	.text._ZL13mul_mat_vec_qIN3c104HalfELi32ELi4E10block_q4_1Li2EXadL_ZL17vec_dot_q4_1_q8_1PKvPK10block_q8_1RKiEEEvS4_S4_PT_iii,"axG",@progbits,_ZL13mul_mat_vec_qIN3c104HalfELi32ELi4E10block_q4_1Li2EXadL_ZL17vec_dot_q4_1_q8_1PKvPK10block_q8_1RKiEEEvS4_S4_PT_iii,comdat
	.globl	_ZL13mul_mat_vec_qIN3c104HalfELi32ELi4E10block_q4_1Li2EXadL_ZL17vec_dot_q4_1_q8_1PKvPK10block_q8_1RKiEEEvS4_S4_PT_iii ; -- Begin function _ZL13mul_mat_vec_qIN3c104HalfELi32ELi4E10block_q4_1Li2EXadL_ZL17vec_dot_q4_1_q8_1PKvPK10block_q8_1RKiEEEvS4_S4_PT_iii
	.p2align	8
	.type	_ZL13mul_mat_vec_qIN3c104HalfELi32ELi4E10block_q4_1Li2EXadL_ZL17vec_dot_q4_1_q8_1PKvPK10block_q8_1RKiEEEvS4_S4_PT_iii,@function
_ZL13mul_mat_vec_qIN3c104HalfELi32ELi4E10block_q4_1Li2EXadL_ZL17vec_dot_q4_1_q8_1PKvPK10block_q8_1RKiEEEvS4_S4_PT_iii: ; @_ZL13mul_mat_vec_qIN3c104HalfELi32ELi4E10block_q4_1Li2EXadL_ZL17vec_dot_q4_1_q8_1PKvPK10block_q8_1RKiEEEvS4_S4_PT_iii
; %bb.0:
	s_clause 0x1
	s_load_u16 s2, s[0:1], 0x36
	s_load_b96 s[4:6], s[0:1], 0x18
	s_bfe_u32 s7, ttmp6, 0x4000c
	s_bfe_u32 s8, ttmp6, 0x40010
	s_add_co_i32 s7, s7, 1
	s_add_co_i32 s8, s8, 1
	s_and_b32 s3, ttmp6, 15
	s_mul_i32 s7, ttmp9, s7
	s_mul_i32 s8, ttmp7, s8
	s_bfe_u32 s9, ttmp6, 0x40004
	s_add_co_i32 s3, s3, s7
	s_getreg_b32 s7, hwreg(HW_REG_IB_STS2, 6, 4)
	s_add_co_i32 s9, s9, s8
	v_bfe_u32 v1, v0, 10, 10
	s_cmp_eq_u32 s7, 0
	s_cselect_b32 s3, ttmp9, s3
	s_cselect_b32 s8, ttmp7, s9
	s_wait_kmcnt 0x0
	v_mad_u32 v4, s3, s2, v1
	s_cmp_lt_u32 s8, s6
	s_cselect_b32 s2, -1, 0
	s_delay_alu instid0(VALU_DEP_1) | instskip(SKIP_1) | instid1(SALU_CYCLE_1)
	v_cmp_gt_u32_e32 vcc_lo, s5, v4
	s_and_b32 s2, s2, vcc_lo
	s_and_saveexec_b32 s3, s2
	s_cbranch_execz .LBB79_7
; %bb.1:
	s_load_b64 s[6:7], s[0:1], 0x10
	s_ashr_i32 s2, s4, 31
	v_bfe_u32 v6, v0, 1, 9
	s_lshr_b32 s2, s2, 27
	v_and_b32_e32 v5, 0x3ff, v0
	v_mov_b32_e32 v7, 0
	s_add_co_i32 s2, s4, s2
	s_mov_b32 s9, exec_lo
	s_ashr_i32 s10, s2, 5
	s_delay_alu instid0(SALU_CYCLE_1)
	v_cmpx_gt_u32_e64 s10, v6
	s_cbranch_execz .LBB79_5
; %bb.2:
	s_wait_xcnt 0x0
	s_load_b128 s[0:3], s[0:1], 0x0
	s_addk_co_i32 s4, 0x1ff
	v_mul_lo_u32 v8, v4, s10
	s_ashr_i32 s11, s4, 31
	v_dual_mov_b32 v1, 0 :: v_dual_lshlrev_b32 v0, 3, v5
	s_lshr_b32 s11, s11, 23
	v_mov_b32_e32 v3, 0.5
	s_add_co_i32 s4, s4, s11
	s_delay_alu instid0(VALU_DEP_2) | instskip(SKIP_3) | instid1(SALU_CYCLE_1)
	v_and_b32_e32 v0, 8, v0
	s_ashr_i32 s4, s4, 9
	v_mov_b32_e32 v7, v1
	s_mul_i32 s4, s8, s4
	s_lshl_b32 s11, s4, 4
	s_mov_b32 s4, 0
.LBB79_3:                               ; =>This Inner Loop Header: Depth=1
	v_dual_add_nc_u32 v2, v8, v6 :: v_dual_add_nc_u32 v9, s11, v6
	v_add_nc_u32_e32 v6, 16, v6
	s_wait_kmcnt 0x0
	s_delay_alu instid0(VALU_DEP_2) | instskip(NEXT) | instid1(VALU_DEP_3)
	v_mad_nc_i64_i32 v[10:11], v2, 20, s[0:1]
	v_mad_nc_i64_i32 v[12:13], v9, 36, s[2:3]
	s_delay_alu instid0(VALU_DEP_3) | instskip(SKIP_1) | instid1(VALU_DEP_3)
	v_cmp_le_u32_e32 vcc_lo, s10, v6
	s_or_b32 s4, vcc_lo, s4
	v_add_nc_u64_e32 v[14:15], v[10:11], v[0:1]
	s_delay_alu instid0(VALU_DEP_3)
	v_add_nc_u64_e32 v[16:17], v[12:13], v[0:1]
	global_load_b64 v[18:19], v[14:15], off offset:4
	s_clause 0x1
	global_load_b64 v[20:21], v[16:17], off offset:4
	global_load_b64 v[22:23], v[16:17], off offset:20
	global_load_b32 v2, v[10:11], off
	global_load_b32 v9, v[12:13], off
	s_wait_loadcnt 0x4
	s_wait_xcnt 0x4
	v_dual_lshrrev_b32 v14, 4, v18 :: v_dual_lshrrev_b32 v15, 28, v18
	s_wait_loadcnt 0x2
	s_wait_xcnt 0x1
	v_lshrrev_b16 v11, 8, v22
	s_wait_xcnt 0x0
	v_bfe_u32 v12, v18, 24, 4
	v_and_b32_e32 v13, 0xf0f0f0f, v18
	v_bfe_u32 v16, v18, 16, 4
	v_and_b32_e32 v17, 15, v18
	v_bfe_u32 v26, v18, 20, 4
	v_bfe_u32 v18, v18, 4, 4
	v_dual_ashrrev_i32 v27, 24, v22 :: v_dual_lshrrev_b32 v31, 4, v19
	v_bfe_i32 v28, v22, 16, 8
	v_bfe_i32 v22, v22, 0, 8
	v_and_b32_e32 v30, 0xf0f0f0f, v19
	v_lshrrev_b16 v14, 8, v14
	v_lshrrev_b16 v10, 8, v20
	;; [unrolled: 1-line block ×3, first 2 shown]
	v_mul_i32_i24_e32 v18, v18, v22
	v_mul_i32_i24_e32 v22, v26, v28
	;; [unrolled: 1-line block ×3, first 2 shown]
	v_lshrrev_b16 v26, 8, v30
	v_lshrrev_b16 v27, 8, v31
	v_and_b32_e32 v14, 15, v14
	v_bfe_i32 v24, v20, 16, 8
	v_bfe_i32 v25, v20, 0, 8
	v_ashrrev_i32_e32 v20, 24, v20
	v_bfe_u32 v29, v19, 24, 4
	v_dual_lshrrev_b32 v32, 28, v19 :: v_dual_bitop2_b32 v34, 15, v19 bitop3:0x40
	v_dual_ashrrev_i32 v35, 24, v21 :: v_dual_ashrrev_i32 v39, 24, v23
	v_bfe_i32 v37, v21, 8, 8
	v_bfe_i32 v10, v10, 0, 8
	;; [unrolled: 1-line block ×3, first 2 shown]
	v_and_b32_e32 v13, 0xffff, v13
	v_and_b32_e32 v26, 0xffff, v26
	;; [unrolled: 1-line block ×3, first 2 shown]
	s_wait_loadcnt 0x0
	v_pk_mul_f16 v2, v2, v9
	v_and_b32_e32 v27, 15, v27
	v_bfe_u32 v33, v19, 16, 4
	v_bfe_i32 v36, v21, 16, 8
	v_bfe_i32 v21, v21, 0, 8
	v_bfe_u32 v38, v19, 20, 4
	v_bfe_u32 v19, v19, 4, 4
	v_bfe_i32 v40, v23, 16, 8
	v_bfe_i32 v41, v23, 8, 8
	;; [unrolled: 1-line block ×3, first 2 shown]
	v_mul_i32_i24_e32 v29, v35, v29
	v_mul_i32_i24_e32 v30, v39, v32
	v_mad_i32_i24 v12, v12, v20, v15
	v_mul_i32_i24_e32 v10, v13, v10
	v_mul_i32_i24_e32 v13, v37, v26
	v_and_b32_e32 v15, 0xffff, v27
	v_mul_i32_i24_e32 v11, v14, v11
	v_mul_i32_i24_e32 v21, v21, v34
	;; [unrolled: 1-line block ×5, first 2 shown]
	v_mad_i32_i24 v14, v17, v25, v18
	v_mad_i32_i24 v16, v16, v24, v22
	v_add3_u32 v12, v12, v29, v30
	v_mul_i32_i24_e32 v15, v41, v15
	v_add3_u32 v10, v10, v11, v13
	v_add3_u32 v11, v14, v21, v19
	;; [unrolled: 1-line block ×3, first 2 shown]
	s_delay_alu instid0(VALU_DEP_3) | instskip(SKIP_1) | instid1(VALU_DEP_2)
	v_add3_u32 v10, v10, v15, v12
	v_lshrrev_b32_e32 v12, 16, v2
	v_add3_u32 v9, v11, v9, v10
	v_cvt_f32_f16_e32 v10, v2
	s_delay_alu instid0(VALU_DEP_3) | instskip(NEXT) | instid1(VALU_DEP_3)
	v_cvt_f32_f16_e32 v11, v12
	v_cvt_f32_i32_e32 v2, v9
	s_delay_alu instid0(VALU_DEP_1) | instskip(NEXT) | instid1(VALU_DEP_1)
	v_pk_mul_f32 v[10:11], v[2:3], v[10:11]
	v_add_f32_e32 v2, v11, v10
	s_delay_alu instid0(VALU_DEP_1)
	v_add_f32_e32 v7, v7, v2
	s_and_not1_b32 exec_lo, exec_lo, s4
	s_cbranch_execnz .LBB79_3
; %bb.4:
	s_or_b32 exec_lo, exec_lo, s4
.LBB79_5:
	s_delay_alu instid0(SALU_CYCLE_1) | instskip(SKIP_1) | instid1(VALU_DEP_1)
	s_or_b32 exec_lo, exec_lo, s9
	v_mbcnt_lo_u32_b32 v0, -1, 0
	v_xor_b32_e32 v2, 8, v0
	v_xor_b32_e32 v1, 16, v0
	;; [unrolled: 1-line block ×3, first 2 shown]
	s_delay_alu instid0(VALU_DEP_2) | instskip(SKIP_4) | instid1(VALU_DEP_2)
	v_cmp_gt_i32_e32 vcc_lo, 32, v1
	v_cndmask_b32_e32 v1, v0, v1, vcc_lo
	v_cmp_gt_i32_e32 vcc_lo, 32, v2
	v_cndmask_b32_e32 v2, v0, v2, vcc_lo
	v_cmp_gt_i32_e32 vcc_lo, 32, v3
	v_dual_lshlrev_b32 v2, 2, v2 :: v_dual_lshlrev_b32 v1, 2, v1
	ds_bpermute_b32 v1, v1, v7
	s_wait_dscnt 0x0
	v_add_f32_e32 v1, v7, v1
	ds_bpermute_b32 v2, v2, v1
	s_wait_dscnt 0x0
	v_dual_cndmask_b32 v3, v0, v3, vcc_lo :: v_dual_add_f32 v1, v1, v2
	s_delay_alu instid0(VALU_DEP_1) | instskip(SKIP_3) | instid1(VALU_DEP_1)
	v_lshlrev_b32_e32 v3, 2, v3
	ds_bpermute_b32 v2, v3, v1
	s_wait_dscnt 0x0
	v_dual_add_f32 v1, v1, v2 :: v_dual_bitop2_b32 v3, 2, v0 bitop3:0x14
	v_cmp_gt_i32_e32 vcc_lo, 32, v3
	v_cndmask_b32_e32 v3, v0, v3, vcc_lo
	s_delay_alu instid0(VALU_DEP_1) | instskip(SKIP_2) | instid1(VALU_DEP_1)
	v_lshlrev_b32_e32 v3, 2, v3
	ds_bpermute_b32 v2, v3, v1
	v_xor_b32_e32 v3, 1, v0
	v_cmp_gt_i32_e32 vcc_lo, 32, v3
	v_cndmask_b32_e32 v3, v0, v3, vcc_lo
	v_cmp_eq_u32_e32 vcc_lo, 0, v5
	s_wait_dscnt 0x0
	s_delay_alu instid0(VALU_DEP_2)
	v_dual_add_f32 v0, v1, v2 :: v_dual_lshlrev_b32 v1, 2, v3
	ds_bpermute_b32 v1, v1, v0
	s_and_b32 exec_lo, exec_lo, vcc_lo
	s_cbranch_execz .LBB79_7
; %bb.6:
	v_mad_u32 v2, s5, s8, v4
	s_wait_dscnt 0x0
	v_add_f32_e32 v0, v0, v1
	s_delay_alu instid0(VALU_DEP_1)
	v_cvt_f16_f32_e32 v0, v0
	s_wait_kmcnt 0x0
	global_store_b16 v2, v0, s[6:7] scale_offset
.LBB79_7:
	s_endpgm
	.section	.rodata,"a",@progbits
	.p2align	6, 0x0
	.amdhsa_kernel _ZL13mul_mat_vec_qIN3c104HalfELi32ELi4E10block_q4_1Li2EXadL_ZL17vec_dot_q4_1_q8_1PKvPK10block_q8_1RKiEEEvS4_S4_PT_iii
		.amdhsa_group_segment_fixed_size 0
		.amdhsa_private_segment_fixed_size 0
		.amdhsa_kernarg_size 296
		.amdhsa_user_sgpr_count 2
		.amdhsa_user_sgpr_dispatch_ptr 0
		.amdhsa_user_sgpr_queue_ptr 0
		.amdhsa_user_sgpr_kernarg_segment_ptr 1
		.amdhsa_user_sgpr_dispatch_id 0
		.amdhsa_user_sgpr_kernarg_preload_length 0
		.amdhsa_user_sgpr_kernarg_preload_offset 0
		.amdhsa_user_sgpr_private_segment_size 0
		.amdhsa_wavefront_size32 1
		.amdhsa_uses_dynamic_stack 0
		.amdhsa_enable_private_segment 0
		.amdhsa_system_sgpr_workgroup_id_x 1
		.amdhsa_system_sgpr_workgroup_id_y 1
		.amdhsa_system_sgpr_workgroup_id_z 0
		.amdhsa_system_sgpr_workgroup_info 0
		.amdhsa_system_vgpr_workitem_id 1
		.amdhsa_next_free_vgpr 42
		.amdhsa_next_free_sgpr 12
		.amdhsa_named_barrier_count 0
		.amdhsa_reserve_vcc 1
		.amdhsa_float_round_mode_32 0
		.amdhsa_float_round_mode_16_64 0
		.amdhsa_float_denorm_mode_32 3
		.amdhsa_float_denorm_mode_16_64 3
		.amdhsa_fp16_overflow 0
		.amdhsa_memory_ordered 1
		.amdhsa_forward_progress 1
		.amdhsa_inst_pref_size 10
		.amdhsa_round_robin_scheduling 0
		.amdhsa_exception_fp_ieee_invalid_op 0
		.amdhsa_exception_fp_denorm_src 0
		.amdhsa_exception_fp_ieee_div_zero 0
		.amdhsa_exception_fp_ieee_overflow 0
		.amdhsa_exception_fp_ieee_underflow 0
		.amdhsa_exception_fp_ieee_inexact 0
		.amdhsa_exception_int_div_zero 0
	.end_amdhsa_kernel
	.section	.text._ZL13mul_mat_vec_qIN3c104HalfELi32ELi4E10block_q4_1Li2EXadL_ZL17vec_dot_q4_1_q8_1PKvPK10block_q8_1RKiEEEvS4_S4_PT_iii,"axG",@progbits,_ZL13mul_mat_vec_qIN3c104HalfELi32ELi4E10block_q4_1Li2EXadL_ZL17vec_dot_q4_1_q8_1PKvPK10block_q8_1RKiEEEvS4_S4_PT_iii,comdat
.Lfunc_end79:
	.size	_ZL13mul_mat_vec_qIN3c104HalfELi32ELi4E10block_q4_1Li2EXadL_ZL17vec_dot_q4_1_q8_1PKvPK10block_q8_1RKiEEEvS4_S4_PT_iii, .Lfunc_end79-_ZL13mul_mat_vec_qIN3c104HalfELi32ELi4E10block_q4_1Li2EXadL_ZL17vec_dot_q4_1_q8_1PKvPK10block_q8_1RKiEEEvS4_S4_PT_iii
                                        ; -- End function
	.set _ZL13mul_mat_vec_qIN3c104HalfELi32ELi4E10block_q4_1Li2EXadL_ZL17vec_dot_q4_1_q8_1PKvPK10block_q8_1RKiEEEvS4_S4_PT_iii.num_vgpr, 42
	.set _ZL13mul_mat_vec_qIN3c104HalfELi32ELi4E10block_q4_1Li2EXadL_ZL17vec_dot_q4_1_q8_1PKvPK10block_q8_1RKiEEEvS4_S4_PT_iii.num_agpr, 0
	.set _ZL13mul_mat_vec_qIN3c104HalfELi32ELi4E10block_q4_1Li2EXadL_ZL17vec_dot_q4_1_q8_1PKvPK10block_q8_1RKiEEEvS4_S4_PT_iii.numbered_sgpr, 12
	.set _ZL13mul_mat_vec_qIN3c104HalfELi32ELi4E10block_q4_1Li2EXadL_ZL17vec_dot_q4_1_q8_1PKvPK10block_q8_1RKiEEEvS4_S4_PT_iii.num_named_barrier, 0
	.set _ZL13mul_mat_vec_qIN3c104HalfELi32ELi4E10block_q4_1Li2EXadL_ZL17vec_dot_q4_1_q8_1PKvPK10block_q8_1RKiEEEvS4_S4_PT_iii.private_seg_size, 0
	.set _ZL13mul_mat_vec_qIN3c104HalfELi32ELi4E10block_q4_1Li2EXadL_ZL17vec_dot_q4_1_q8_1PKvPK10block_q8_1RKiEEEvS4_S4_PT_iii.uses_vcc, 1
	.set _ZL13mul_mat_vec_qIN3c104HalfELi32ELi4E10block_q4_1Li2EXadL_ZL17vec_dot_q4_1_q8_1PKvPK10block_q8_1RKiEEEvS4_S4_PT_iii.uses_flat_scratch, 0
	.set _ZL13mul_mat_vec_qIN3c104HalfELi32ELi4E10block_q4_1Li2EXadL_ZL17vec_dot_q4_1_q8_1PKvPK10block_q8_1RKiEEEvS4_S4_PT_iii.has_dyn_sized_stack, 0
	.set _ZL13mul_mat_vec_qIN3c104HalfELi32ELi4E10block_q4_1Li2EXadL_ZL17vec_dot_q4_1_q8_1PKvPK10block_q8_1RKiEEEvS4_S4_PT_iii.has_recursion, 0
	.set _ZL13mul_mat_vec_qIN3c104HalfELi32ELi4E10block_q4_1Li2EXadL_ZL17vec_dot_q4_1_q8_1PKvPK10block_q8_1RKiEEEvS4_S4_PT_iii.has_indirect_call, 0
	.section	.AMDGPU.csdata,"",@progbits
; Kernel info:
; codeLenInByte = 1192
; TotalNumSgprs: 14
; NumVgprs: 42
; ScratchSize: 0
; MemoryBound: 0
; FloatMode: 240
; IeeeMode: 1
; LDSByteSize: 0 bytes/workgroup (compile time only)
; SGPRBlocks: 0
; VGPRBlocks: 2
; NumSGPRsForWavesPerEU: 14
; NumVGPRsForWavesPerEU: 42
; NamedBarCnt: 0
; Occupancy: 16
; WaveLimiterHint : 0
; COMPUTE_PGM_RSRC2:SCRATCH_EN: 0
; COMPUTE_PGM_RSRC2:USER_SGPR: 2
; COMPUTE_PGM_RSRC2:TRAP_HANDLER: 0
; COMPUTE_PGM_RSRC2:TGID_X_EN: 1
; COMPUTE_PGM_RSRC2:TGID_Y_EN: 1
; COMPUTE_PGM_RSRC2:TGID_Z_EN: 0
; COMPUTE_PGM_RSRC2:TIDIG_COMP_CNT: 1
	.section	.text._ZL13mul_mat_vec_qIN3c104HalfELi32ELi4E10block_q5_0Li2EXadL_ZL17vec_dot_q5_0_q8_1PKvPK10block_q8_1RKiEEEvS4_S4_PT_iii,"axG",@progbits,_ZL13mul_mat_vec_qIN3c104HalfELi32ELi4E10block_q5_0Li2EXadL_ZL17vec_dot_q5_0_q8_1PKvPK10block_q8_1RKiEEEvS4_S4_PT_iii,comdat
	.globl	_ZL13mul_mat_vec_qIN3c104HalfELi32ELi4E10block_q5_0Li2EXadL_ZL17vec_dot_q5_0_q8_1PKvPK10block_q8_1RKiEEEvS4_S4_PT_iii ; -- Begin function _ZL13mul_mat_vec_qIN3c104HalfELi32ELi4E10block_q5_0Li2EXadL_ZL17vec_dot_q5_0_q8_1PKvPK10block_q8_1RKiEEEvS4_S4_PT_iii
	.p2align	8
	.type	_ZL13mul_mat_vec_qIN3c104HalfELi32ELi4E10block_q5_0Li2EXadL_ZL17vec_dot_q5_0_q8_1PKvPK10block_q8_1RKiEEEvS4_S4_PT_iii,@function
_ZL13mul_mat_vec_qIN3c104HalfELi32ELi4E10block_q5_0Li2EXadL_ZL17vec_dot_q5_0_q8_1PKvPK10block_q8_1RKiEEEvS4_S4_PT_iii: ; @_ZL13mul_mat_vec_qIN3c104HalfELi32ELi4E10block_q5_0Li2EXadL_ZL17vec_dot_q5_0_q8_1PKvPK10block_q8_1RKiEEEvS4_S4_PT_iii
; %bb.0:
	s_clause 0x1
	s_load_u16 s2, s[0:1], 0x36
	s_load_b96 s[4:6], s[0:1], 0x18
	s_bfe_u32 s7, ttmp6, 0x4000c
	s_bfe_u32 s8, ttmp6, 0x40010
	s_add_co_i32 s7, s7, 1
	s_add_co_i32 s8, s8, 1
	s_and_b32 s3, ttmp6, 15
	s_mul_i32 s7, ttmp9, s7
	s_mul_i32 s8, ttmp7, s8
	s_bfe_u32 s9, ttmp6, 0x40004
	s_add_co_i32 s3, s3, s7
	s_getreg_b32 s7, hwreg(HW_REG_IB_STS2, 6, 4)
	s_add_co_i32 s9, s9, s8
	v_bfe_u32 v1, v0, 10, 10
	s_cmp_eq_u32 s7, 0
	s_cselect_b32 s3, ttmp9, s3
	s_cselect_b32 s8, ttmp7, s9
	s_wait_kmcnt 0x0
	v_mad_u32 v4, s3, s2, v1
	s_cmp_lt_u32 s8, s6
	s_cselect_b32 s2, -1, 0
	s_delay_alu instid0(VALU_DEP_1) | instskip(SKIP_1) | instid1(SALU_CYCLE_1)
	v_cmp_gt_u32_e32 vcc_lo, s5, v4
	s_and_b32 s2, s2, vcc_lo
	s_and_saveexec_b32 s3, s2
	s_cbranch_execz .LBB80_7
; %bb.1:
	s_load_b64 s[6:7], s[0:1], 0x10
	s_ashr_i32 s2, s4, 31
	v_bfe_u32 v6, v0, 1, 9
	s_lshr_b32 s2, s2, 27
	v_and_b32_e32 v5, 0x3ff, v0
	v_mov_b32_e32 v7, 0
	s_add_co_i32 s2, s4, s2
	s_mov_b32 s9, exec_lo
	s_ashr_i32 s10, s2, 5
	s_delay_alu instid0(SALU_CYCLE_1)
	v_cmpx_gt_u32_e64 s10, v6
	s_cbranch_execz .LBB80_5
; %bb.2:
	s_wait_xcnt 0x0
	s_load_b128 s[0:3], s[0:1], 0x0
	v_dual_mov_b32 v1, 0 :: v_dual_lshlrev_b32 v0, 3, v5
	s_addk_co_i32 s4, 0x1ff
	v_mul_lo_u32 v8, v4, s10
	s_ashr_i32 s11, s4, 31
	s_delay_alu instid0(VALU_DEP_2) | instskip(SKIP_3) | instid1(VALU_DEP_2)
	v_dual_mov_b32 v7, v1 :: v_dual_bitop2_b32 v0, 8, v0 bitop3:0x40
	s_lshr_b32 s11, s11, 23
	v_mov_b32_e32 v3, 0x41000000
	s_add_co_i32 s4, s4, s11
	v_or_b32_e32 v9, 4, v0
	s_ashr_i32 s4, s4, 9
	s_delay_alu instid0(SALU_CYCLE_1) | instskip(NEXT) | instid1(SALU_CYCLE_1)
	s_mul_i32 s4, s8, s4
	s_lshl_b32 s11, s4, 4
	s_mov_b32 s4, 0
.LBB80_3:                               ; =>This Inner Loop Header: Depth=1
	v_dual_add_nc_u32 v2, v8, v6 :: v_dual_add_nc_u32 v12, s11, v6
	v_add_nc_u32_e32 v6, 16, v6
	s_wait_kmcnt 0x0
	s_delay_alu instid0(VALU_DEP_2) | instskip(NEXT) | instid1(VALU_DEP_3)
	v_mad_nc_i64_i32 v[10:11], v2, 22, s[0:1]
	v_mad_nc_i64_i32 v[12:13], v12, 36, s[2:3]
	s_delay_alu instid0(VALU_DEP_3)
	v_cmp_le_u32_e32 vcc_lo, s10, v6
	s_or_b32 s4, vcc_lo, s4
	global_load_b32 v2, v[10:11], off offset:2
	v_add_nc_u64_e32 v[14:15], v[10:11], v[0:1]
	v_add_nc_u64_e32 v[16:17], v[12:13], v[0:1]
	global_load_b64 v[18:19], v[14:15], off offset:6
	s_clause 0x2
	global_load_b64 v[20:21], v[16:17], off offset:4
	global_load_b64 v[22:23], v[16:17], off offset:20
	global_load_b32 v24, v[12:13], off
	global_load_u16 v25, v[10:11], off
	s_wait_loadcnt 0x5
	s_wait_xcnt 0x0
	v_dual_ashrrev_i32 v10, v0, v2 :: v_dual_ashrrev_i32 v2, v9, v2
	s_wait_loadcnt 0x4
	v_and_b32_e32 v35, 0xf0f0f0f, v18
	s_delay_alu instid0(VALU_DEP_2)
	v_dual_lshlrev_b32 v11, 4, v10 :: v_dual_lshlrev_b32 v12, 11, v10
	v_dual_lshlrev_b32 v13, 18, v10 :: v_dual_lshlrev_b32 v14, 25, v10
	v_dual_lshrrev_b32 v15, 12, v10 :: v_dual_lshrrev_b32 v16, 5, v10
	v_dual_lshlrev_b32 v26, 4, v2 :: v_dual_lshlrev_b32 v27, 11, v2
	v_dual_lshlrev_b32 v17, 2, v10 :: v_dual_lshlrev_b32 v10, 9, v10
	v_dual_lshlrev_b32 v28, 18, v2 :: v_dual_lshlrev_b32 v29, 25, v2
	v_dual_lshrrev_b32 v30, 12, v2 :: v_dual_lshrrev_b32 v31, 5, v2
	v_and_b32_e32 v40, 0xf0f0f0f, v19
	v_dual_lshrrev_b32 v19, 4, v19 :: v_dual_bitop2_b32 v26, 16, v26 bitop3:0x40
	v_and_b32_e32 v12, 0x1000, v12
	v_and_b32_e32 v15, 16, v15
	v_and_or_b32 v14, 0x10000000, v14, v35
	v_dual_lshlrev_b32 v32, 2, v2 :: v_dual_bitop2_b32 v11, 16, v11 bitop3:0x40
	v_lshlrev_b32_e32 v2, 9, v2
	s_wait_loadcnt 0x3
	v_lshrrev_b16 v33, 8, v20
	v_bfe_i32 v36, v20, 0, 8
	v_bfe_i32 v37, v20, 16, 8
	v_dual_ashrrev_i32 v20, 24, v20 :: v_dual_lshrrev_b32 v18, 4, v18
	s_wait_loadcnt 0x2
	v_dual_ashrrev_i32 v44, 24, v23 :: v_dual_bitop2_b32 v30, 16, v30 bitop3:0x40
	v_and_b32_e32 v17, 0x100000, v17
	v_and_b32_e32 v10, 0x10000000, v10
	;; [unrolled: 1-line block ×4, first 2 shown]
	v_lshrrev_b32_e32 v14, 24, v14
	v_or3_b32 v11, v11, v35, v12
	v_and_or_b32 v12, 0x1000, v16, v15
	v_and_or_b32 v15, 0x1000, v27, v26
	v_and_b32_e32 v32, 0x100000, v32
	v_and_b32_e32 v2, 0x10000000, v2
	;; [unrolled: 1-line block ×3, first 2 shown]
	v_and_or_b32 v16, 0x1000, v31, v30
	v_or3_b32 v10, v12, v17, v10
	v_or3_b32 v12, v15, v28, v29
	v_lshrrev_b16 v34, 8, v22
	v_dual_ashrrev_i32 v38, 24, v22 :: v_dual_ashrrev_i32 v41, 24, v21
	v_bfe_i32 v39, v22, 16, 8
	v_bfe_i32 v22, v22, 0, 8
	v_and_b32_e32 v13, 0x100000, v13
	v_and_b32_e32 v19, 0xf0f0f0f, v19
	v_or3_b32 v2, v16, v32, v2
	v_or_b32_e32 v17, v12, v40
	v_or_b32_e32 v16, v10, v18
	v_bitop3_b32 v10, v10, 31, v18 bitop3:0xc8
	v_bfe_i32 v42, v21, 16, 8
	v_bfe_i32 v43, v21, 8, 8
	;; [unrolled: 1-line block ×6, first 2 shown]
	v_lshrrev_b16 v27, 8, v11
	v_bitop3_b32 v12, v12, 31, v40 bitop3:0xc8
	v_or_b32_e32 v18, v2, v19
	v_or_b32_e32 v26, v11, v13
	v_bitop3_b32 v11, v11, 31, v13 bitop3:0xc8
	v_bitop3_b32 v2, v2, 31, v19 bitop3:0xc8
	v_mul_i32_i24_e32 v10, v10, v22
	v_mul_i32_i24_e32 v12, v21, v12
	v_and_b32_e32 v15, 0xffff, v27
	v_lshrrev_b32_e32 v22, 24, v17
	v_mul_i32_i24_e32 v2, v23, v2
	v_mad_i32_i24 v10, v11, v36, v10
	v_lshrrev_b32_e32 v19, 24, v16
	v_lshrrev_b16 v27, 8, v17
	v_bfe_i32 v33, v33, 0, 8
	v_bfe_i32 v34, v34, 0, 8
	v_add3_u32 v2, v10, v2, v12
	s_wait_loadcnt 0x1
	v_dual_lshrrev_b32 v12, 16, v24 :: v_dual_lshrrev_b32 v21, 24, v18
	v_bfe_u32 v13, v26, 16, 5
	v_lshrrev_b16 v26, 8, v16
	v_lshrrev_b16 v28, 8, v18
	v_bfe_u32 v16, v16, 16, 5
	v_mul_i32_i24_e32 v19, v19, v38
	v_mul_i32_i24_e32 v15, v15, v33
	v_and_b32_e32 v23, 0xffff, v26
	v_and_b32_e32 v26, 0xffff, v27
	;; [unrolled: 1-line block ×3, first 2 shown]
	v_bfe_u32 v17, v17, 16, 5
	v_bfe_u32 v18, v18, 16, 5
	v_mul_i32_i24_e32 v16, v16, v39
	v_mul_i32_i24_e32 v22, v41, v22
	;; [unrolled: 1-line block ×5, first 2 shown]
	v_mad_i32_i24 v14, v14, v20, v19
	v_mul_i32_i24_e32 v17, v42, v17
	v_mul_i32_i24_e32 v18, v45, v18
	;; [unrolled: 1-line block ×3, first 2 shown]
	v_mad_i32_i24 v13, v13, v37, v16
	v_add3_u32 v15, v15, v23, v27
	v_add3_u32 v14, v14, v21, v22
	s_delay_alu instid0(VALU_DEP_3) | instskip(NEXT) | instid1(VALU_DEP_2)
	v_add3_u32 v10, v13, v18, v17
	v_add3_u32 v11, v15, v11, v14
	s_delay_alu instid0(VALU_DEP_1) | instskip(SKIP_2) | instid1(VALU_DEP_3)
	v_add3_u32 v2, v2, v10, v11
	v_cvt_f32_f16_e32 v10, v24
	v_cvt_f32_f16_e32 v11, v12
	v_cvt_f32_i32_e32 v2, v2
	s_delay_alu instid0(VALU_DEP_1) | instskip(NEXT) | instid1(VALU_DEP_1)
	v_pk_mul_f32 v[10:11], v[2:3], v[10:11]
	v_sub_f32_e32 v2, v10, v11
	s_wait_loadcnt 0x0
	s_delay_alu instid0(VALU_DEP_1)
	v_fma_mix_f32 v7, v2, v25, v7 op_sel_hi:[0,1,0]
	s_and_not1_b32 exec_lo, exec_lo, s4
	s_cbranch_execnz .LBB80_3
; %bb.4:
	s_or_b32 exec_lo, exec_lo, s4
.LBB80_5:
	s_delay_alu instid0(SALU_CYCLE_1) | instskip(SKIP_1) | instid1(VALU_DEP_1)
	s_or_b32 exec_lo, exec_lo, s9
	v_mbcnt_lo_u32_b32 v0, -1, 0
	v_xor_b32_e32 v2, 8, v0
	v_xor_b32_e32 v1, 16, v0
	;; [unrolled: 1-line block ×3, first 2 shown]
	s_delay_alu instid0(VALU_DEP_2) | instskip(SKIP_4) | instid1(VALU_DEP_2)
	v_cmp_gt_i32_e32 vcc_lo, 32, v1
	v_cndmask_b32_e32 v1, v0, v1, vcc_lo
	v_cmp_gt_i32_e32 vcc_lo, 32, v2
	v_cndmask_b32_e32 v2, v0, v2, vcc_lo
	v_cmp_gt_i32_e32 vcc_lo, 32, v3
	v_dual_lshlrev_b32 v2, 2, v2 :: v_dual_lshlrev_b32 v1, 2, v1
	ds_bpermute_b32 v1, v1, v7
	s_wait_dscnt 0x0
	v_add_f32_e32 v1, v7, v1
	ds_bpermute_b32 v2, v2, v1
	s_wait_dscnt 0x0
	v_dual_cndmask_b32 v3, v0, v3, vcc_lo :: v_dual_add_f32 v1, v1, v2
	s_delay_alu instid0(VALU_DEP_1) | instskip(SKIP_3) | instid1(VALU_DEP_1)
	v_lshlrev_b32_e32 v3, 2, v3
	ds_bpermute_b32 v2, v3, v1
	s_wait_dscnt 0x0
	v_dual_add_f32 v1, v1, v2 :: v_dual_bitop2_b32 v3, 2, v0 bitop3:0x14
	v_cmp_gt_i32_e32 vcc_lo, 32, v3
	v_cndmask_b32_e32 v3, v0, v3, vcc_lo
	s_delay_alu instid0(VALU_DEP_1) | instskip(SKIP_2) | instid1(VALU_DEP_1)
	v_lshlrev_b32_e32 v3, 2, v3
	ds_bpermute_b32 v2, v3, v1
	v_xor_b32_e32 v3, 1, v0
	v_cmp_gt_i32_e32 vcc_lo, 32, v3
	v_cndmask_b32_e32 v3, v0, v3, vcc_lo
	v_cmp_eq_u32_e32 vcc_lo, 0, v5
	s_wait_dscnt 0x0
	s_delay_alu instid0(VALU_DEP_2)
	v_dual_add_f32 v0, v1, v2 :: v_dual_lshlrev_b32 v1, 2, v3
	ds_bpermute_b32 v1, v1, v0
	s_and_b32 exec_lo, exec_lo, vcc_lo
	s_cbranch_execz .LBB80_7
; %bb.6:
	v_mad_u32 v2, s5, s8, v4
	s_wait_dscnt 0x0
	v_add_f32_e32 v0, v0, v1
	s_delay_alu instid0(VALU_DEP_1)
	v_cvt_f16_f32_e32 v0, v0
	s_wait_kmcnt 0x0
	global_store_b16 v2, v0, s[6:7] scale_offset
.LBB80_7:
	s_endpgm
	.section	.rodata,"a",@progbits
	.p2align	6, 0x0
	.amdhsa_kernel _ZL13mul_mat_vec_qIN3c104HalfELi32ELi4E10block_q5_0Li2EXadL_ZL17vec_dot_q5_0_q8_1PKvPK10block_q8_1RKiEEEvS4_S4_PT_iii
		.amdhsa_group_segment_fixed_size 0
		.amdhsa_private_segment_fixed_size 0
		.amdhsa_kernarg_size 296
		.amdhsa_user_sgpr_count 2
		.amdhsa_user_sgpr_dispatch_ptr 0
		.amdhsa_user_sgpr_queue_ptr 0
		.amdhsa_user_sgpr_kernarg_segment_ptr 1
		.amdhsa_user_sgpr_dispatch_id 0
		.amdhsa_user_sgpr_kernarg_preload_length 0
		.amdhsa_user_sgpr_kernarg_preload_offset 0
		.amdhsa_user_sgpr_private_segment_size 0
		.amdhsa_wavefront_size32 1
		.amdhsa_uses_dynamic_stack 0
		.amdhsa_enable_private_segment 0
		.amdhsa_system_sgpr_workgroup_id_x 1
		.amdhsa_system_sgpr_workgroup_id_y 1
		.amdhsa_system_sgpr_workgroup_id_z 0
		.amdhsa_system_sgpr_workgroup_info 0
		.amdhsa_system_vgpr_workitem_id 1
		.amdhsa_next_free_vgpr 47
		.amdhsa_next_free_sgpr 12
		.amdhsa_named_barrier_count 0
		.amdhsa_reserve_vcc 1
		.amdhsa_float_round_mode_32 0
		.amdhsa_float_round_mode_16_64 0
		.amdhsa_float_denorm_mode_32 3
		.amdhsa_float_denorm_mode_16_64 3
		.amdhsa_fp16_overflow 0
		.amdhsa_memory_ordered 1
		.amdhsa_forward_progress 1
		.amdhsa_inst_pref_size 12
		.amdhsa_round_robin_scheduling 0
		.amdhsa_exception_fp_ieee_invalid_op 0
		.amdhsa_exception_fp_denorm_src 0
		.amdhsa_exception_fp_ieee_div_zero 0
		.amdhsa_exception_fp_ieee_overflow 0
		.amdhsa_exception_fp_ieee_underflow 0
		.amdhsa_exception_fp_ieee_inexact 0
		.amdhsa_exception_int_div_zero 0
	.end_amdhsa_kernel
	.section	.text._ZL13mul_mat_vec_qIN3c104HalfELi32ELi4E10block_q5_0Li2EXadL_ZL17vec_dot_q5_0_q8_1PKvPK10block_q8_1RKiEEEvS4_S4_PT_iii,"axG",@progbits,_ZL13mul_mat_vec_qIN3c104HalfELi32ELi4E10block_q5_0Li2EXadL_ZL17vec_dot_q5_0_q8_1PKvPK10block_q8_1RKiEEEvS4_S4_PT_iii,comdat
.Lfunc_end80:
	.size	_ZL13mul_mat_vec_qIN3c104HalfELi32ELi4E10block_q5_0Li2EXadL_ZL17vec_dot_q5_0_q8_1PKvPK10block_q8_1RKiEEEvS4_S4_PT_iii, .Lfunc_end80-_ZL13mul_mat_vec_qIN3c104HalfELi32ELi4E10block_q5_0Li2EXadL_ZL17vec_dot_q5_0_q8_1PKvPK10block_q8_1RKiEEEvS4_S4_PT_iii
                                        ; -- End function
	.set _ZL13mul_mat_vec_qIN3c104HalfELi32ELi4E10block_q5_0Li2EXadL_ZL17vec_dot_q5_0_q8_1PKvPK10block_q8_1RKiEEEvS4_S4_PT_iii.num_vgpr, 47
	.set _ZL13mul_mat_vec_qIN3c104HalfELi32ELi4E10block_q5_0Li2EXadL_ZL17vec_dot_q5_0_q8_1PKvPK10block_q8_1RKiEEEvS4_S4_PT_iii.num_agpr, 0
	.set _ZL13mul_mat_vec_qIN3c104HalfELi32ELi4E10block_q5_0Li2EXadL_ZL17vec_dot_q5_0_q8_1PKvPK10block_q8_1RKiEEEvS4_S4_PT_iii.numbered_sgpr, 12
	.set _ZL13mul_mat_vec_qIN3c104HalfELi32ELi4E10block_q5_0Li2EXadL_ZL17vec_dot_q5_0_q8_1PKvPK10block_q8_1RKiEEEvS4_S4_PT_iii.num_named_barrier, 0
	.set _ZL13mul_mat_vec_qIN3c104HalfELi32ELi4E10block_q5_0Li2EXadL_ZL17vec_dot_q5_0_q8_1PKvPK10block_q8_1RKiEEEvS4_S4_PT_iii.private_seg_size, 0
	.set _ZL13mul_mat_vec_qIN3c104HalfELi32ELi4E10block_q5_0Li2EXadL_ZL17vec_dot_q5_0_q8_1PKvPK10block_q8_1RKiEEEvS4_S4_PT_iii.uses_vcc, 1
	.set _ZL13mul_mat_vec_qIN3c104HalfELi32ELi4E10block_q5_0Li2EXadL_ZL17vec_dot_q5_0_q8_1PKvPK10block_q8_1RKiEEEvS4_S4_PT_iii.uses_flat_scratch, 0
	.set _ZL13mul_mat_vec_qIN3c104HalfELi32ELi4E10block_q5_0Li2EXadL_ZL17vec_dot_q5_0_q8_1PKvPK10block_q8_1RKiEEEvS4_S4_PT_iii.has_dyn_sized_stack, 0
	.set _ZL13mul_mat_vec_qIN3c104HalfELi32ELi4E10block_q5_0Li2EXadL_ZL17vec_dot_q5_0_q8_1PKvPK10block_q8_1RKiEEEvS4_S4_PT_iii.has_recursion, 0
	.set _ZL13mul_mat_vec_qIN3c104HalfELi32ELi4E10block_q5_0Li2EXadL_ZL17vec_dot_q5_0_q8_1PKvPK10block_q8_1RKiEEEvS4_S4_PT_iii.has_indirect_call, 0
	.section	.AMDGPU.csdata,"",@progbits
; Kernel info:
; codeLenInByte = 1516
; TotalNumSgprs: 14
; NumVgprs: 47
; ScratchSize: 0
; MemoryBound: 0
; FloatMode: 240
; IeeeMode: 1
; LDSByteSize: 0 bytes/workgroup (compile time only)
; SGPRBlocks: 0
; VGPRBlocks: 2
; NumSGPRsForWavesPerEU: 14
; NumVGPRsForWavesPerEU: 47
; NamedBarCnt: 0
; Occupancy: 16
; WaveLimiterHint : 0
; COMPUTE_PGM_RSRC2:SCRATCH_EN: 0
; COMPUTE_PGM_RSRC2:USER_SGPR: 2
; COMPUTE_PGM_RSRC2:TRAP_HANDLER: 0
; COMPUTE_PGM_RSRC2:TGID_X_EN: 1
; COMPUTE_PGM_RSRC2:TGID_Y_EN: 1
; COMPUTE_PGM_RSRC2:TGID_Z_EN: 0
; COMPUTE_PGM_RSRC2:TIDIG_COMP_CNT: 1
	.section	.text._ZL13mul_mat_vec_qIN3c104HalfELi32ELi4E10block_q5_1Li2EXadL_ZL17vec_dot_q5_1_q8_1PKvPK10block_q8_1RKiEEEvS4_S4_PT_iii,"axG",@progbits,_ZL13mul_mat_vec_qIN3c104HalfELi32ELi4E10block_q5_1Li2EXadL_ZL17vec_dot_q5_1_q8_1PKvPK10block_q8_1RKiEEEvS4_S4_PT_iii,comdat
	.globl	_ZL13mul_mat_vec_qIN3c104HalfELi32ELi4E10block_q5_1Li2EXadL_ZL17vec_dot_q5_1_q8_1PKvPK10block_q8_1RKiEEEvS4_S4_PT_iii ; -- Begin function _ZL13mul_mat_vec_qIN3c104HalfELi32ELi4E10block_q5_1Li2EXadL_ZL17vec_dot_q5_1_q8_1PKvPK10block_q8_1RKiEEEvS4_S4_PT_iii
	.p2align	8
	.type	_ZL13mul_mat_vec_qIN3c104HalfELi32ELi4E10block_q5_1Li2EXadL_ZL17vec_dot_q5_1_q8_1PKvPK10block_q8_1RKiEEEvS4_S4_PT_iii,@function
_ZL13mul_mat_vec_qIN3c104HalfELi32ELi4E10block_q5_1Li2EXadL_ZL17vec_dot_q5_1_q8_1PKvPK10block_q8_1RKiEEEvS4_S4_PT_iii: ; @_ZL13mul_mat_vec_qIN3c104HalfELi32ELi4E10block_q5_1Li2EXadL_ZL17vec_dot_q5_1_q8_1PKvPK10block_q8_1RKiEEEvS4_S4_PT_iii
; %bb.0:
	s_clause 0x1
	s_load_u16 s2, s[0:1], 0x36
	s_load_b96 s[4:6], s[0:1], 0x18
	s_bfe_u32 s7, ttmp6, 0x4000c
	s_bfe_u32 s8, ttmp6, 0x40010
	s_add_co_i32 s7, s7, 1
	s_add_co_i32 s8, s8, 1
	s_and_b32 s3, ttmp6, 15
	s_mul_i32 s7, ttmp9, s7
	s_mul_i32 s8, ttmp7, s8
	s_bfe_u32 s9, ttmp6, 0x40004
	s_add_co_i32 s3, s3, s7
	s_getreg_b32 s7, hwreg(HW_REG_IB_STS2, 6, 4)
	s_add_co_i32 s9, s9, s8
	v_bfe_u32 v1, v0, 10, 10
	s_cmp_eq_u32 s7, 0
	s_cselect_b32 s3, ttmp9, s3
	s_cselect_b32 s8, ttmp7, s9
	s_wait_kmcnt 0x0
	v_mad_u32 v6, s3, s2, v1
	s_cmp_lt_u32 s8, s6
	s_cselect_b32 s2, -1, 0
	s_delay_alu instid0(VALU_DEP_1) | instskip(SKIP_1) | instid1(SALU_CYCLE_1)
	v_cmp_gt_u32_e32 vcc_lo, s5, v6
	s_and_b32 s2, s2, vcc_lo
	s_and_saveexec_b32 s3, s2
	s_cbranch_execz .LBB81_7
; %bb.1:
	s_load_b64 s[6:7], s[0:1], 0x10
	s_ashr_i32 s2, s4, 31
	v_bfe_u32 v8, v0, 1, 9
	s_lshr_b32 s2, s2, 27
	v_and_b32_e32 v7, 0x3ff, v0
	v_mov_b32_e32 v9, 0
	s_add_co_i32 s2, s4, s2
	s_mov_b32 s9, exec_lo
	s_ashr_i32 s10, s2, 5
	s_delay_alu instid0(SALU_CYCLE_1)
	v_cmpx_gt_u32_e64 s10, v8
	s_cbranch_execz .LBB81_5
; %bb.2:
	s_wait_xcnt 0x0
	s_load_b128 s[0:3], s[0:1], 0x0
	v_dual_mov_b32 v1, 0 :: v_dual_lshlrev_b32 v0, 3, v7
	s_addk_co_i32 s4, 0x1ff
	v_mul_lo_u32 v10, v6, s10
	s_ashr_i32 s11, s4, 31
	s_delay_alu instid0(VALU_DEP_2) | instskip(SKIP_3) | instid1(VALU_DEP_2)
	v_dual_mov_b32 v3, 0.5 :: v_dual_bitop2_b32 v0, 8, v0 bitop3:0x40
	s_lshr_b32 s11, s11, 23
	v_mov_b32_e32 v9, v1
	s_add_co_i32 s4, s4, s11
	v_or_b32_e32 v11, 4, v0
	s_ashr_i32 s4, s4, 9
	s_delay_alu instid0(SALU_CYCLE_1) | instskip(NEXT) | instid1(SALU_CYCLE_1)
	s_mul_i32 s4, s8, s4
	s_lshl_b32 s11, s4, 4
	s_mov_b32 s4, 0
.LBB81_3:                               ; =>This Inner Loop Header: Depth=1
	v_dual_add_nc_u32 v2, v10, v8 :: v_dual_add_nc_u32 v4, s11, v8
	v_add_nc_u32_e32 v8, 16, v8
	s_wait_kmcnt 0x0
	s_delay_alu instid0(VALU_DEP_2) | instskip(NEXT) | instid1(VALU_DEP_3)
	v_mad_nc_i64_i32 v[12:13], v2, 24, s[0:1]
	v_mad_nc_i64_i32 v[14:15], v4, 36, s[2:3]
	s_delay_alu instid0(VALU_DEP_3)
	v_cmp_le_u32_e32 vcc_lo, s10, v8
	s_or_b32 s4, vcc_lo, s4
	global_load_b64 v[4:5], v[12:13], off
	s_wait_xcnt 0x0
	v_add_nc_u64_e32 v[12:13], v[12:13], v[0:1]
	v_add_nc_u64_e32 v[16:17], v[14:15], v[0:1]
	global_load_b64 v[18:19], v[12:13], off offset:8
	s_clause 0x2
	global_load_b64 v[20:21], v[16:17], off offset:4
	global_load_b64 v[22:23], v[16:17], off offset:20
	global_load_b32 v2, v[14:15], off
	s_wait_loadcnt 0x4
	s_wait_xcnt 0x3
	v_dual_ashrrev_i32 v12, v0, v5 :: v_dual_ashrrev_i32 v5, v11, v5
	s_wait_xcnt 0x0
	s_delay_alu instid0(VALU_DEP_1)
	v_dual_lshlrev_b32 v13, 4, v12 :: v_dual_lshlrev_b32 v14, 11, v12
	v_dual_lshlrev_b32 v15, 18, v12 :: v_dual_lshlrev_b32 v16, 25, v12
	v_dual_lshrrev_b32 v17, 12, v12 :: v_dual_lshrrev_b32 v24, 5, v12
	v_dual_lshlrev_b32 v26, 4, v5 :: v_dual_lshlrev_b32 v27, 11, v5
	v_dual_lshrrev_b32 v30, 12, v5 :: v_dual_lshrrev_b32 v31, 5, v5
	s_wait_loadcnt 0x3
	v_and_b32_e32 v35, 0xf0f0f0f, v18
	v_dual_lshlrev_b32 v25, 2, v12 :: v_dual_lshlrev_b32 v12, 9, v12
	v_dual_lshlrev_b32 v28, 18, v5 :: v_dual_lshlrev_b32 v29, 25, v5
	;; [unrolled: 1-line block ×3, first 2 shown]
	v_and_b32_e32 v40, 0xf0f0f0f, v19
	v_dual_lshrrev_b32 v19, 4, v19 :: v_dual_bitop2_b32 v13, 16, v13 bitop3:0x40
	s_wait_loadcnt 0x1
	v_dual_ashrrev_i32 v44, 24, v23 :: v_dual_bitop2_b32 v17, 16, v17 bitop3:0x40
	v_and_b32_e32 v14, 0x1000, v14
	v_and_b32_e32 v30, 16, v30
	v_and_or_b32 v16, 0x10000000, v16, v35
	v_and_b32_e32 v26, 16, v26
	v_lshrrev_b16 v33, 8, v20
	v_bfe_i32 v36, v20, 0, 8
	v_bfe_i32 v37, v20, 16, 8
	v_dual_ashrrev_i32 v20, 24, v20 :: v_dual_lshrrev_b32 v18, 4, v18
	v_and_b32_e32 v25, 0x100000, v25
	v_and_b32_e32 v12, 0x10000000, v12
	;; [unrolled: 1-line block ×6, first 2 shown]
	v_or3_b32 v13, v13, v35, v14
	v_and_or_b32 v14, 0x1000, v24, v17
	v_and_or_b32 v24, 0x1000, v31, v30
	v_lshrrev_b32_e32 v16, 24, v16
	v_and_or_b32 v17, 0x1000, v27, v26
	v_and_b32_e32 v15, 0x100000, v15
	v_and_b32_e32 v18, 0xf0f0f0f, v18
	;; [unrolled: 1-line block ×3, first 2 shown]
	v_or3_b32 v12, v14, v25, v12
	v_or3_b32 v14, v17, v28, v29
	;; [unrolled: 1-line block ×3, first 2 shown]
	v_lshrrev_b16 v34, 8, v22
	v_dual_ashrrev_i32 v38, 24, v22 :: v_dual_ashrrev_i32 v41, 24, v21
	v_bfe_i32 v39, v22, 16, 8
	v_bfe_i32 v22, v22, 0, 8
	;; [unrolled: 1-line block ×5, first 2 shown]
	v_lshrrev_b16 v27, 8, v13
	v_or_b32_e32 v25, v5, v19
	v_or_b32_e32 v24, v12, v18
	v_bitop3_b32 v12, v12, 31, v18 bitop3:0xc8
	s_wait_loadcnt 0x0
	v_pk_mul_f16 v2, v4, v2
	v_or_b32_e32 v18, v14, v40
	v_or_b32_e32 v26, v13, v15
	v_bitop3_b32 v14, v14, 31, v40 bitop3:0xc8
	v_bfe_i32 v45, v23, 16, 8
	v_bfe_i32 v46, v23, 8, 8
	;; [unrolled: 1-line block ×3, first 2 shown]
	v_bitop3_b32 v13, v13, 31, v15 bitop3:0xc8
	v_and_b32_e32 v17, 0xffff, v27
	v_bitop3_b32 v5, v5, 31, v19 bitop3:0xc8
	v_mul_i32_i24_e32 v12, v12, v22
	v_lshrrev_b32_e32 v22, 24, v18
	v_bfe_u32 v15, v26, 16, 5
	v_lshrrev_b16 v27, 8, v18
	v_mul_i32_i24_e32 v14, v21, v14
	v_dual_lshrrev_b32 v21, 24, v25 :: v_dual_lshrrev_b32 v19, 24, v24
	v_lshrrev_b16 v26, 8, v24
	v_lshrrev_b16 v28, 8, v25
	v_bfe_i32 v33, v33, 0, 8
	v_bfe_i32 v34, v34, 0, 8
	v_mul_i32_i24_e32 v5, v23, v5
	v_and_b32_e32 v23, 0xffff, v26
	v_mul_i32_i24_e32 v19, v19, v38
	v_and_b32_e32 v26, 0xffff, v27
	v_and_b32_e32 v27, 0xffff, v28
	v_mul_i32_i24_e32 v17, v17, v33
	v_mul_i32_i24_e32 v22, v41, v22
	;; [unrolled: 1-line block ×5, first 2 shown]
	v_mad_i32_i24 v16, v16, v20, v19
	v_bfe_u32 v24, v24, 16, 5
	v_mad_i32_i24 v12, v13, v36, v12
	v_mul_i32_i24_e32 v13, v43, v26
	v_add3_u32 v17, v17, v23, v27
	v_add3_u32 v16, v16, v21, v22
	v_bfe_u32 v25, v25, 16, 5
	v_mul_i32_i24_e32 v24, v24, v39
	v_add3_u32 v4, v12, v5, v14
	s_delay_alu instid0(VALU_DEP_4) | instskip(SKIP_4) | instid1(VALU_DEP_3)
	v_add3_u32 v12, v17, v13, v16
	v_lshrrev_b32_e32 v13, 16, v2
	v_bfe_u32 v18, v18, 16, 5
	v_mul_i32_i24_e32 v25, v45, v25
	v_mad_i32_i24 v15, v15, v37, v24
	v_mul_i32_i24_e32 v18, v42, v18
	s_delay_alu instid0(VALU_DEP_1) | instskip(NEXT) | instid1(VALU_DEP_1)
	v_add3_u32 v5, v15, v25, v18
	v_add3_u32 v12, v4, v5, v12
	v_cvt_f32_f16_e32 v4, v2
	v_cvt_f32_f16_e32 v5, v13
	s_delay_alu instid0(VALU_DEP_3) | instskip(NEXT) | instid1(VALU_DEP_1)
	v_cvt_f32_i32_e32 v2, v12
	v_pk_mul_f32 v[4:5], v[2:3], v[4:5]
	s_delay_alu instid0(VALU_DEP_1) | instskip(NEXT) | instid1(VALU_DEP_1)
	v_add_f32_e32 v2, v5, v4
	v_add_f32_e32 v9, v9, v2
	s_and_not1_b32 exec_lo, exec_lo, s4
	s_cbranch_execnz .LBB81_3
; %bb.4:
	s_or_b32 exec_lo, exec_lo, s4
.LBB81_5:
	s_delay_alu instid0(SALU_CYCLE_1) | instskip(SKIP_1) | instid1(VALU_DEP_1)
	s_or_b32 exec_lo, exec_lo, s9
	v_mbcnt_lo_u32_b32 v0, -1, 0
	v_xor_b32_e32 v2, 8, v0
	v_xor_b32_e32 v1, 16, v0
	;; [unrolled: 1-line block ×3, first 2 shown]
	s_delay_alu instid0(VALU_DEP_2) | instskip(SKIP_4) | instid1(VALU_DEP_2)
	v_cmp_gt_i32_e32 vcc_lo, 32, v1
	v_cndmask_b32_e32 v1, v0, v1, vcc_lo
	v_cmp_gt_i32_e32 vcc_lo, 32, v2
	v_cndmask_b32_e32 v2, v0, v2, vcc_lo
	v_cmp_gt_i32_e32 vcc_lo, 32, v3
	v_dual_lshlrev_b32 v2, 2, v2 :: v_dual_lshlrev_b32 v1, 2, v1
	ds_bpermute_b32 v1, v1, v9
	s_wait_dscnt 0x0
	v_add_f32_e32 v1, v9, v1
	ds_bpermute_b32 v2, v2, v1
	s_wait_dscnt 0x0
	v_dual_cndmask_b32 v3, v0, v3, vcc_lo :: v_dual_add_f32 v1, v1, v2
	s_delay_alu instid0(VALU_DEP_1) | instskip(SKIP_3) | instid1(VALU_DEP_1)
	v_lshlrev_b32_e32 v3, 2, v3
	ds_bpermute_b32 v2, v3, v1
	s_wait_dscnt 0x0
	v_dual_add_f32 v1, v1, v2 :: v_dual_bitop2_b32 v3, 2, v0 bitop3:0x14
	v_cmp_gt_i32_e32 vcc_lo, 32, v3
	v_cndmask_b32_e32 v3, v0, v3, vcc_lo
	s_delay_alu instid0(VALU_DEP_1) | instskip(SKIP_2) | instid1(VALU_DEP_1)
	v_lshlrev_b32_e32 v3, 2, v3
	ds_bpermute_b32 v2, v3, v1
	v_xor_b32_e32 v3, 1, v0
	v_cmp_gt_i32_e32 vcc_lo, 32, v3
	v_cndmask_b32_e32 v3, v0, v3, vcc_lo
	v_cmp_eq_u32_e32 vcc_lo, 0, v7
	s_wait_dscnt 0x0
	s_delay_alu instid0(VALU_DEP_2)
	v_dual_add_f32 v0, v1, v2 :: v_dual_lshlrev_b32 v1, 2, v3
	ds_bpermute_b32 v1, v1, v0
	s_and_b32 exec_lo, exec_lo, vcc_lo
	s_cbranch_execz .LBB81_7
; %bb.6:
	v_mad_u32 v2, s5, s8, v6
	s_wait_dscnt 0x0
	v_add_f32_e32 v0, v0, v1
	s_delay_alu instid0(VALU_DEP_1)
	v_cvt_f16_f32_e32 v0, v0
	s_wait_kmcnt 0x0
	global_store_b16 v2, v0, s[6:7] scale_offset
.LBB81_7:
	s_endpgm
	.section	.rodata,"a",@progbits
	.p2align	6, 0x0
	.amdhsa_kernel _ZL13mul_mat_vec_qIN3c104HalfELi32ELi4E10block_q5_1Li2EXadL_ZL17vec_dot_q5_1_q8_1PKvPK10block_q8_1RKiEEEvS4_S4_PT_iii
		.amdhsa_group_segment_fixed_size 0
		.amdhsa_private_segment_fixed_size 0
		.amdhsa_kernarg_size 296
		.amdhsa_user_sgpr_count 2
		.amdhsa_user_sgpr_dispatch_ptr 0
		.amdhsa_user_sgpr_queue_ptr 0
		.amdhsa_user_sgpr_kernarg_segment_ptr 1
		.amdhsa_user_sgpr_dispatch_id 0
		.amdhsa_user_sgpr_kernarg_preload_length 0
		.amdhsa_user_sgpr_kernarg_preload_offset 0
		.amdhsa_user_sgpr_private_segment_size 0
		.amdhsa_wavefront_size32 1
		.amdhsa_uses_dynamic_stack 0
		.amdhsa_enable_private_segment 0
		.amdhsa_system_sgpr_workgroup_id_x 1
		.amdhsa_system_sgpr_workgroup_id_y 1
		.amdhsa_system_sgpr_workgroup_id_z 0
		.amdhsa_system_sgpr_workgroup_info 0
		.amdhsa_system_vgpr_workitem_id 1
		.amdhsa_next_free_vgpr 47
		.amdhsa_next_free_sgpr 12
		.amdhsa_named_barrier_count 0
		.amdhsa_reserve_vcc 1
		.amdhsa_float_round_mode_32 0
		.amdhsa_float_round_mode_16_64 0
		.amdhsa_float_denorm_mode_32 3
		.amdhsa_float_denorm_mode_16_64 3
		.amdhsa_fp16_overflow 0
		.amdhsa_memory_ordered 1
		.amdhsa_forward_progress 1
		.amdhsa_inst_pref_size 12
		.amdhsa_round_robin_scheduling 0
		.amdhsa_exception_fp_ieee_invalid_op 0
		.amdhsa_exception_fp_denorm_src 0
		.amdhsa_exception_fp_ieee_div_zero 0
		.amdhsa_exception_fp_ieee_overflow 0
		.amdhsa_exception_fp_ieee_underflow 0
		.amdhsa_exception_fp_ieee_inexact 0
		.amdhsa_exception_int_div_zero 0
	.end_amdhsa_kernel
	.section	.text._ZL13mul_mat_vec_qIN3c104HalfELi32ELi4E10block_q5_1Li2EXadL_ZL17vec_dot_q5_1_q8_1PKvPK10block_q8_1RKiEEEvS4_S4_PT_iii,"axG",@progbits,_ZL13mul_mat_vec_qIN3c104HalfELi32ELi4E10block_q5_1Li2EXadL_ZL17vec_dot_q5_1_q8_1PKvPK10block_q8_1RKiEEEvS4_S4_PT_iii,comdat
.Lfunc_end81:
	.size	_ZL13mul_mat_vec_qIN3c104HalfELi32ELi4E10block_q5_1Li2EXadL_ZL17vec_dot_q5_1_q8_1PKvPK10block_q8_1RKiEEEvS4_S4_PT_iii, .Lfunc_end81-_ZL13mul_mat_vec_qIN3c104HalfELi32ELi4E10block_q5_1Li2EXadL_ZL17vec_dot_q5_1_q8_1PKvPK10block_q8_1RKiEEEvS4_S4_PT_iii
                                        ; -- End function
	.set _ZL13mul_mat_vec_qIN3c104HalfELi32ELi4E10block_q5_1Li2EXadL_ZL17vec_dot_q5_1_q8_1PKvPK10block_q8_1RKiEEEvS4_S4_PT_iii.num_vgpr, 47
	.set _ZL13mul_mat_vec_qIN3c104HalfELi32ELi4E10block_q5_1Li2EXadL_ZL17vec_dot_q5_1_q8_1PKvPK10block_q8_1RKiEEEvS4_S4_PT_iii.num_agpr, 0
	.set _ZL13mul_mat_vec_qIN3c104HalfELi32ELi4E10block_q5_1Li2EXadL_ZL17vec_dot_q5_1_q8_1PKvPK10block_q8_1RKiEEEvS4_S4_PT_iii.numbered_sgpr, 12
	.set _ZL13mul_mat_vec_qIN3c104HalfELi32ELi4E10block_q5_1Li2EXadL_ZL17vec_dot_q5_1_q8_1PKvPK10block_q8_1RKiEEEvS4_S4_PT_iii.num_named_barrier, 0
	.set _ZL13mul_mat_vec_qIN3c104HalfELi32ELi4E10block_q5_1Li2EXadL_ZL17vec_dot_q5_1_q8_1PKvPK10block_q8_1RKiEEEvS4_S4_PT_iii.private_seg_size, 0
	.set _ZL13mul_mat_vec_qIN3c104HalfELi32ELi4E10block_q5_1Li2EXadL_ZL17vec_dot_q5_1_q8_1PKvPK10block_q8_1RKiEEEvS4_S4_PT_iii.uses_vcc, 1
	.set _ZL13mul_mat_vec_qIN3c104HalfELi32ELi4E10block_q5_1Li2EXadL_ZL17vec_dot_q5_1_q8_1PKvPK10block_q8_1RKiEEEvS4_S4_PT_iii.uses_flat_scratch, 0
	.set _ZL13mul_mat_vec_qIN3c104HalfELi32ELi4E10block_q5_1Li2EXadL_ZL17vec_dot_q5_1_q8_1PKvPK10block_q8_1RKiEEEvS4_S4_PT_iii.has_dyn_sized_stack, 0
	.set _ZL13mul_mat_vec_qIN3c104HalfELi32ELi4E10block_q5_1Li2EXadL_ZL17vec_dot_q5_1_q8_1PKvPK10block_q8_1RKiEEEvS4_S4_PT_iii.has_recursion, 0
	.set _ZL13mul_mat_vec_qIN3c104HalfELi32ELi4E10block_q5_1Li2EXadL_ZL17vec_dot_q5_1_q8_1PKvPK10block_q8_1RKiEEEvS4_S4_PT_iii.has_indirect_call, 0
	.section	.AMDGPU.csdata,"",@progbits
; Kernel info:
; codeLenInByte = 1504
; TotalNumSgprs: 14
; NumVgprs: 47
; ScratchSize: 0
; MemoryBound: 0
; FloatMode: 240
; IeeeMode: 1
; LDSByteSize: 0 bytes/workgroup (compile time only)
; SGPRBlocks: 0
; VGPRBlocks: 2
; NumSGPRsForWavesPerEU: 14
; NumVGPRsForWavesPerEU: 47
; NamedBarCnt: 0
; Occupancy: 16
; WaveLimiterHint : 0
; COMPUTE_PGM_RSRC2:SCRATCH_EN: 0
; COMPUTE_PGM_RSRC2:USER_SGPR: 2
; COMPUTE_PGM_RSRC2:TRAP_HANDLER: 0
; COMPUTE_PGM_RSRC2:TGID_X_EN: 1
; COMPUTE_PGM_RSRC2:TGID_Y_EN: 1
; COMPUTE_PGM_RSRC2:TGID_Z_EN: 0
; COMPUTE_PGM_RSRC2:TIDIG_COMP_CNT: 1
	.section	.text._ZL13mul_mat_vec_qIN3c104HalfELi32ELi8E10block_q8_0Li2EXadL_ZL17vec_dot_q8_0_q8_1PKvPK10block_q8_1RKiEEEvS4_S4_PT_iii,"axG",@progbits,_ZL13mul_mat_vec_qIN3c104HalfELi32ELi8E10block_q8_0Li2EXadL_ZL17vec_dot_q8_0_q8_1PKvPK10block_q8_1RKiEEEvS4_S4_PT_iii,comdat
	.globl	_ZL13mul_mat_vec_qIN3c104HalfELi32ELi8E10block_q8_0Li2EXadL_ZL17vec_dot_q8_0_q8_1PKvPK10block_q8_1RKiEEEvS4_S4_PT_iii ; -- Begin function _ZL13mul_mat_vec_qIN3c104HalfELi32ELi8E10block_q8_0Li2EXadL_ZL17vec_dot_q8_0_q8_1PKvPK10block_q8_1RKiEEEvS4_S4_PT_iii
	.p2align	8
	.type	_ZL13mul_mat_vec_qIN3c104HalfELi32ELi8E10block_q8_0Li2EXadL_ZL17vec_dot_q8_0_q8_1PKvPK10block_q8_1RKiEEEvS4_S4_PT_iii,@function
_ZL13mul_mat_vec_qIN3c104HalfELi32ELi8E10block_q8_0Li2EXadL_ZL17vec_dot_q8_0_q8_1PKvPK10block_q8_1RKiEEEvS4_S4_PT_iii: ; @_ZL13mul_mat_vec_qIN3c104HalfELi32ELi8E10block_q8_0Li2EXadL_ZL17vec_dot_q8_0_q8_1PKvPK10block_q8_1RKiEEEvS4_S4_PT_iii
; %bb.0:
	s_clause 0x1
	s_load_u16 s2, s[0:1], 0x36
	s_load_b96 s[4:6], s[0:1], 0x18
	s_bfe_u32 s7, ttmp6, 0x4000c
	s_bfe_u32 s8, ttmp6, 0x40010
	s_add_co_i32 s7, s7, 1
	s_add_co_i32 s8, s8, 1
	s_and_b32 s3, ttmp6, 15
	s_mul_i32 s7, ttmp9, s7
	s_mul_i32 s8, ttmp7, s8
	s_bfe_u32 s9, ttmp6, 0x40004
	s_add_co_i32 s3, s3, s7
	s_getreg_b32 s7, hwreg(HW_REG_IB_STS2, 6, 4)
	s_add_co_i32 s9, s9, s8
	v_bfe_u32 v1, v0, 10, 10
	s_cmp_eq_u32 s7, 0
	s_cselect_b32 s3, ttmp9, s3
	s_cselect_b32 s8, ttmp7, s9
	s_wait_kmcnt 0x0
	v_mad_u32 v2, s3, s2, v1
	s_cmp_lt_u32 s8, s6
	s_cselect_b32 s2, -1, 0
	s_delay_alu instid0(VALU_DEP_1) | instskip(SKIP_1) | instid1(SALU_CYCLE_1)
	v_cmp_gt_u32_e32 vcc_lo, s5, v2
	s_and_b32 s2, s2, vcc_lo
	s_and_saveexec_b32 s3, s2
	s_cbranch_execz .LBB82_7
; %bb.1:
	s_load_b64 s[6:7], s[0:1], 0x10
	s_ashr_i32 s2, s4, 31
	v_bfe_u32 v4, v0, 2, 8
	s_lshr_b32 s2, s2, 27
	v_and_b32_e32 v3, 0x3ff, v0
	v_mov_b32_e32 v5, 0
	s_add_co_i32 s2, s4, s2
	s_mov_b32 s9, exec_lo
	s_ashr_i32 s10, s2, 5
	s_delay_alu instid0(SALU_CYCLE_1)
	v_cmpx_gt_u32_e64 s10, v4
	s_cbranch_execz .LBB82_5
; %bb.2:
	s_wait_xcnt 0x0
	s_load_b128 s[0:3], s[0:1], 0x0
	s_addk_co_i32 s4, 0x1ff
	v_mul_lo_u32 v6, v2, s10
	s_ashr_i32 s11, s4, 31
	v_dual_mov_b32 v1, 0 :: v_dual_lshlrev_b32 v0, 3, v3
	s_lshr_b32 s11, s11, 23
	s_delay_alu instid0(SALU_CYCLE_1) | instskip(NEXT) | instid1(VALU_DEP_1)
	s_add_co_i32 s4, s4, s11
	v_dual_mov_b32 v5, v1 :: v_dual_bitop2_b32 v0, 24, v0 bitop3:0x40
	s_ashr_i32 s4, s4, 9
	s_delay_alu instid0(SALU_CYCLE_1) | instskip(NEXT) | instid1(SALU_CYCLE_1)
	s_mul_i32 s4, s8, s4
	s_lshl_b32 s11, s4, 4
	s_mov_b32 s4, 0
.LBB82_3:                               ; =>This Inner Loop Header: Depth=1
	s_delay_alu instid0(VALU_DEP_3) | instskip(SKIP_1) | instid1(VALU_DEP_1)
	v_dual_add_nc_u32 v7, s11, v4 :: v_dual_add_nc_u32 v10, v6, v4
	s_wait_kmcnt 0x0
	v_mad_nc_i64_i32 v[8:9], v7, 36, s[2:3]
	s_delay_alu instid0(VALU_DEP_2) | instskip(NEXT) | instid1(VALU_DEP_2)
	v_mad_nc_i64_i32 v[10:11], v10, 34, s[0:1]
	v_add_nc_u64_e32 v[12:13], v[8:9], v[0:1]
	s_delay_alu instid0(VALU_DEP_2)
	v_add_nc_u64_e32 v[14:15], v[10:11], v[0:1]
	global_load_b64 v[16:17], v[12:13], off offset:4
	s_clause 0x2
	global_load_b32 v7, v[14:15], off offset:2
	global_load_b32 v18, v[14:15], off offset:6
	global_load_u16 v19, v[10:11], off
	global_load_b32 v20, v[8:9], off
	s_wait_loadcnt 0x4
	s_wait_xcnt 0x0
	v_lshrrev_b16 v8, 8, v16
	s_wait_loadcnt 0x3
	v_lshrrev_b16 v9, 8, v7
	v_bfe_i32 v10, v7, 0, 8
	v_dual_ashrrev_i32 v11, 24, v7 :: v_dual_ashrrev_i32 v13, 24, v16
	v_bfe_i32 v7, v7, 16, 8
	v_bfe_i32 v14, v16, 16, 8
	;; [unrolled: 1-line block ×3, first 2 shown]
	s_wait_loadcnt 0x2
	v_bfe_i32 v15, v18, 0, 8
	v_bfe_i32 v21, v18, 8, 8
	;; [unrolled: 1-line block ×4, first 2 shown]
	v_dual_ashrrev_i32 v18, 24, v18 :: v_dual_ashrrev_i32 v24, 24, v17
	v_bfe_i32 v9, v9, 0, 8
	v_bfe_i32 v8, v8, 0, 8
	v_mul_i32_i24_e32 v7, v14, v7
	v_mul_i32_i24_e32 v11, v13, v11
	v_bfe_i32 v16, v17, 0, 8
	v_bfe_i32 v13, v17, 16, 8
	v_mul_i32_i24_e32 v14, v22, v21
	v_mul_i32_i24_e32 v17, v24, v18
	v_mad_i32_i24 v7, v12, v10, v7
	v_mad_i32_i24 v8, v8, v9, v11
	v_mul_i32_i24_e32 v9, v13, v23
	v_mad_i32_i24 v10, v16, v15, v14
	s_wait_loadcnt 0x0
	v_cvt_f32_f16_e32 v11, v20
	v_add3_u32 v7, v7, v8, v17
	v_cvt_f32_f16_e32 v8, v19
	v_add_nc_u32_e32 v4, 8, v4
	s_delay_alu instid0(VALU_DEP_3) | instskip(NEXT) | instid1(VALU_DEP_3)
	v_add3_u32 v7, v7, v10, v9
	v_mul_f32_e32 v8, v8, v11
	s_delay_alu instid0(VALU_DEP_3) | instskip(NEXT) | instid1(VALU_DEP_3)
	v_cmp_le_u32_e32 vcc_lo, s10, v4
	v_cvt_f32_i32_e32 v7, v7
	s_or_b32 s4, vcc_lo, s4
	s_delay_alu instid0(VALU_DEP_1)
	v_fmac_f32_e32 v5, v8, v7
	s_and_not1_b32 exec_lo, exec_lo, s4
	s_cbranch_execnz .LBB82_3
; %bb.4:
	s_or_b32 exec_lo, exec_lo, s4
.LBB82_5:
	s_delay_alu instid0(SALU_CYCLE_1) | instskip(SKIP_1) | instid1(VALU_DEP_1)
	s_or_b32 exec_lo, exec_lo, s9
	v_mbcnt_lo_u32_b32 v0, -1, 0
	v_xor_b32_e32 v1, 16, v0
	v_xor_b32_e32 v4, 8, v0
	s_delay_alu instid0(VALU_DEP_2) | instskip(SKIP_1) | instid1(VALU_DEP_3)
	v_cmp_gt_i32_e32 vcc_lo, 32, v1
	v_cndmask_b32_e32 v1, v0, v1, vcc_lo
	v_cmp_gt_i32_e32 vcc_lo, 32, v4
	s_delay_alu instid0(VALU_DEP_2)
	v_dual_cndmask_b32 v4, v0, v4 :: v_dual_lshlrev_b32 v1, 2, v1
	ds_bpermute_b32 v1, v1, v5
	s_wait_dscnt 0x0
	v_dual_add_f32 v1, v5, v1 :: v_dual_lshlrev_b32 v4, 2, v4
	v_xor_b32_e32 v5, 4, v0
	ds_bpermute_b32 v4, v4, v1
	v_cmp_gt_i32_e32 vcc_lo, 32, v5
	v_cndmask_b32_e32 v5, v0, v5, vcc_lo
	s_wait_dscnt 0x0
	s_delay_alu instid0(VALU_DEP_1) | instskip(SKIP_2) | instid1(VALU_DEP_1)
	v_dual_lshlrev_b32 v5, 2, v5 :: v_dual_add_f32 v1, v1, v4
	ds_bpermute_b32 v4, v5, v1
	v_xor_b32_e32 v5, 2, v0
	v_cmp_gt_i32_e32 vcc_lo, 32, v5
	s_wait_dscnt 0x0
	v_dual_cndmask_b32 v5, v0, v5, vcc_lo :: v_dual_add_f32 v1, v1, v4
	s_delay_alu instid0(VALU_DEP_1) | instskip(SKIP_2) | instid1(VALU_DEP_1)
	v_lshlrev_b32_e32 v5, 2, v5
	ds_bpermute_b32 v4, v5, v1
	v_xor_b32_e32 v5, 1, v0
	v_cmp_gt_i32_e32 vcc_lo, 32, v5
	v_cndmask_b32_e32 v5, v0, v5, vcc_lo
	v_cmp_eq_u32_e32 vcc_lo, 0, v3
	s_wait_dscnt 0x0
	s_delay_alu instid0(VALU_DEP_2)
	v_dual_add_f32 v0, v1, v4 :: v_dual_lshlrev_b32 v1, 2, v5
	ds_bpermute_b32 v1, v1, v0
	s_and_b32 exec_lo, exec_lo, vcc_lo
	s_cbranch_execz .LBB82_7
; %bb.6:
	v_mad_u32 v2, s5, s8, v2
	s_wait_dscnt 0x0
	v_add_f32_e32 v0, v0, v1
	s_delay_alu instid0(VALU_DEP_1)
	v_cvt_f16_f32_e32 v0, v0
	s_wait_kmcnt 0x0
	global_store_b16 v2, v0, s[6:7] scale_offset
.LBB82_7:
	s_endpgm
	.section	.rodata,"a",@progbits
	.p2align	6, 0x0
	.amdhsa_kernel _ZL13mul_mat_vec_qIN3c104HalfELi32ELi8E10block_q8_0Li2EXadL_ZL17vec_dot_q8_0_q8_1PKvPK10block_q8_1RKiEEEvS4_S4_PT_iii
		.amdhsa_group_segment_fixed_size 0
		.amdhsa_private_segment_fixed_size 0
		.amdhsa_kernarg_size 296
		.amdhsa_user_sgpr_count 2
		.amdhsa_user_sgpr_dispatch_ptr 0
		.amdhsa_user_sgpr_queue_ptr 0
		.amdhsa_user_sgpr_kernarg_segment_ptr 1
		.amdhsa_user_sgpr_dispatch_id 0
		.amdhsa_user_sgpr_kernarg_preload_length 0
		.amdhsa_user_sgpr_kernarg_preload_offset 0
		.amdhsa_user_sgpr_private_segment_size 0
		.amdhsa_wavefront_size32 1
		.amdhsa_uses_dynamic_stack 0
		.amdhsa_enable_private_segment 0
		.amdhsa_system_sgpr_workgroup_id_x 1
		.amdhsa_system_sgpr_workgroup_id_y 1
		.amdhsa_system_sgpr_workgroup_id_z 0
		.amdhsa_system_sgpr_workgroup_info 0
		.amdhsa_system_vgpr_workitem_id 1
		.amdhsa_next_free_vgpr 25
		.amdhsa_next_free_sgpr 12
		.amdhsa_named_barrier_count 0
		.amdhsa_reserve_vcc 1
		.amdhsa_float_round_mode_32 0
		.amdhsa_float_round_mode_16_64 0
		.amdhsa_float_denorm_mode_32 3
		.amdhsa_float_denorm_mode_16_64 3
		.amdhsa_fp16_overflow 0
		.amdhsa_memory_ordered 1
		.amdhsa_forward_progress 1
		.amdhsa_inst_pref_size 8
		.amdhsa_round_robin_scheduling 0
		.amdhsa_exception_fp_ieee_invalid_op 0
		.amdhsa_exception_fp_denorm_src 0
		.amdhsa_exception_fp_ieee_div_zero 0
		.amdhsa_exception_fp_ieee_overflow 0
		.amdhsa_exception_fp_ieee_underflow 0
		.amdhsa_exception_fp_ieee_inexact 0
		.amdhsa_exception_int_div_zero 0
	.end_amdhsa_kernel
	.section	.text._ZL13mul_mat_vec_qIN3c104HalfELi32ELi8E10block_q8_0Li2EXadL_ZL17vec_dot_q8_0_q8_1PKvPK10block_q8_1RKiEEEvS4_S4_PT_iii,"axG",@progbits,_ZL13mul_mat_vec_qIN3c104HalfELi32ELi8E10block_q8_0Li2EXadL_ZL17vec_dot_q8_0_q8_1PKvPK10block_q8_1RKiEEEvS4_S4_PT_iii,comdat
.Lfunc_end82:
	.size	_ZL13mul_mat_vec_qIN3c104HalfELi32ELi8E10block_q8_0Li2EXadL_ZL17vec_dot_q8_0_q8_1PKvPK10block_q8_1RKiEEEvS4_S4_PT_iii, .Lfunc_end82-_ZL13mul_mat_vec_qIN3c104HalfELi32ELi8E10block_q8_0Li2EXadL_ZL17vec_dot_q8_0_q8_1PKvPK10block_q8_1RKiEEEvS4_S4_PT_iii
                                        ; -- End function
	.set _ZL13mul_mat_vec_qIN3c104HalfELi32ELi8E10block_q8_0Li2EXadL_ZL17vec_dot_q8_0_q8_1PKvPK10block_q8_1RKiEEEvS4_S4_PT_iii.num_vgpr, 25
	.set _ZL13mul_mat_vec_qIN3c104HalfELi32ELi8E10block_q8_0Li2EXadL_ZL17vec_dot_q8_0_q8_1PKvPK10block_q8_1RKiEEEvS4_S4_PT_iii.num_agpr, 0
	.set _ZL13mul_mat_vec_qIN3c104HalfELi32ELi8E10block_q8_0Li2EXadL_ZL17vec_dot_q8_0_q8_1PKvPK10block_q8_1RKiEEEvS4_S4_PT_iii.numbered_sgpr, 12
	.set _ZL13mul_mat_vec_qIN3c104HalfELi32ELi8E10block_q8_0Li2EXadL_ZL17vec_dot_q8_0_q8_1PKvPK10block_q8_1RKiEEEvS4_S4_PT_iii.num_named_barrier, 0
	.set _ZL13mul_mat_vec_qIN3c104HalfELi32ELi8E10block_q8_0Li2EXadL_ZL17vec_dot_q8_0_q8_1PKvPK10block_q8_1RKiEEEvS4_S4_PT_iii.private_seg_size, 0
	.set _ZL13mul_mat_vec_qIN3c104HalfELi32ELi8E10block_q8_0Li2EXadL_ZL17vec_dot_q8_0_q8_1PKvPK10block_q8_1RKiEEEvS4_S4_PT_iii.uses_vcc, 1
	.set _ZL13mul_mat_vec_qIN3c104HalfELi32ELi8E10block_q8_0Li2EXadL_ZL17vec_dot_q8_0_q8_1PKvPK10block_q8_1RKiEEEvS4_S4_PT_iii.uses_flat_scratch, 0
	.set _ZL13mul_mat_vec_qIN3c104HalfELi32ELi8E10block_q8_0Li2EXadL_ZL17vec_dot_q8_0_q8_1PKvPK10block_q8_1RKiEEEvS4_S4_PT_iii.has_dyn_sized_stack, 0
	.set _ZL13mul_mat_vec_qIN3c104HalfELi32ELi8E10block_q8_0Li2EXadL_ZL17vec_dot_q8_0_q8_1PKvPK10block_q8_1RKiEEEvS4_S4_PT_iii.has_recursion, 0
	.set _ZL13mul_mat_vec_qIN3c104HalfELi32ELi8E10block_q8_0Li2EXadL_ZL17vec_dot_q8_0_q8_1PKvPK10block_q8_1RKiEEEvS4_S4_PT_iii.has_indirect_call, 0
	.section	.AMDGPU.csdata,"",@progbits
; Kernel info:
; codeLenInByte = 920
; TotalNumSgprs: 14
; NumVgprs: 25
; ScratchSize: 0
; MemoryBound: 0
; FloatMode: 240
; IeeeMode: 1
; LDSByteSize: 0 bytes/workgroup (compile time only)
; SGPRBlocks: 0
; VGPRBlocks: 1
; NumSGPRsForWavesPerEU: 14
; NumVGPRsForWavesPerEU: 25
; NamedBarCnt: 0
; Occupancy: 16
; WaveLimiterHint : 0
; COMPUTE_PGM_RSRC2:SCRATCH_EN: 0
; COMPUTE_PGM_RSRC2:USER_SGPR: 2
; COMPUTE_PGM_RSRC2:TRAP_HANDLER: 0
; COMPUTE_PGM_RSRC2:TGID_X_EN: 1
; COMPUTE_PGM_RSRC2:TGID_Y_EN: 1
; COMPUTE_PGM_RSRC2:TGID_Z_EN: 0
; COMPUTE_PGM_RSRC2:TIDIG_COMP_CNT: 1
	.section	.text._ZL13mul_mat_vec_qIN3c104HalfELi256ELi16E10block_q2_KLi1EXadL_ZL17vec_dot_q2_K_q8_1PKvPK10block_q8_1RKiEEEvS4_S4_PT_iii,"axG",@progbits,_ZL13mul_mat_vec_qIN3c104HalfELi256ELi16E10block_q2_KLi1EXadL_ZL17vec_dot_q2_K_q8_1PKvPK10block_q8_1RKiEEEvS4_S4_PT_iii,comdat
	.globl	_ZL13mul_mat_vec_qIN3c104HalfELi256ELi16E10block_q2_KLi1EXadL_ZL17vec_dot_q2_K_q8_1PKvPK10block_q8_1RKiEEEvS4_S4_PT_iii ; -- Begin function _ZL13mul_mat_vec_qIN3c104HalfELi256ELi16E10block_q2_KLi1EXadL_ZL17vec_dot_q2_K_q8_1PKvPK10block_q8_1RKiEEEvS4_S4_PT_iii
	.p2align	8
	.type	_ZL13mul_mat_vec_qIN3c104HalfELi256ELi16E10block_q2_KLi1EXadL_ZL17vec_dot_q2_K_q8_1PKvPK10block_q8_1RKiEEEvS4_S4_PT_iii,@function
_ZL13mul_mat_vec_qIN3c104HalfELi256ELi16E10block_q2_KLi1EXadL_ZL17vec_dot_q2_K_q8_1PKvPK10block_q8_1RKiEEEvS4_S4_PT_iii: ; @_ZL13mul_mat_vec_qIN3c104HalfELi256ELi16E10block_q2_KLi1EXadL_ZL17vec_dot_q2_K_q8_1PKvPK10block_q8_1RKiEEEvS4_S4_PT_iii
; %bb.0:
	s_clause 0x1
	s_load_u16 s2, s[0:1], 0x36
	s_load_b96 s[4:6], s[0:1], 0x18
	s_bfe_u32 s7, ttmp6, 0x4000c
	s_bfe_u32 s8, ttmp6, 0x40010
	s_add_co_i32 s7, s7, 1
	s_add_co_i32 s8, s8, 1
	s_and_b32 s3, ttmp6, 15
	s_mul_i32 s7, ttmp9, s7
	s_mul_i32 s8, ttmp7, s8
	s_bfe_u32 s9, ttmp6, 0x40004
	s_add_co_i32 s3, s3, s7
	s_getreg_b32 s7, hwreg(HW_REG_IB_STS2, 6, 4)
	s_add_co_i32 s9, s9, s8
	v_bfe_u32 v1, v0, 10, 10
	s_cmp_eq_u32 s7, 0
	s_cselect_b32 s3, ttmp9, s3
	s_cselect_b32 s8, ttmp7, s9
	s_wait_kmcnt 0x0
	v_mad_u32 v12, s3, s2, v1
	s_cmp_lt_u32 s8, s6
	s_cselect_b32 s2, -1, 0
	s_delay_alu instid0(VALU_DEP_1) | instskip(SKIP_1) | instid1(SALU_CYCLE_1)
	v_cmp_gt_u32_e32 vcc_lo, s5, v12
	s_and_b32 s2, s2, vcc_lo
	s_and_saveexec_b32 s3, s2
	s_cbranch_execz .LBB83_7
; %bb.1:
	s_load_b64 s[6:7], s[0:1], 0x10
	s_ashr_i32 s2, s4, 31
	v_bfe_u32 v14, v0, 4, 6
	s_lshr_b32 s2, s2, 24
	v_and_b32_e32 v13, 0x3ff, v0
	v_mov_b32_e32 v16, 0
	s_add_co_i32 s2, s4, s2
	s_mov_b32 s9, exec_lo
	s_ashr_i32 s10, s2, 8
	s_delay_alu instid0(SALU_CYCLE_1)
	v_cmpx_gt_u32_e64 s10, v14
	s_cbranch_execz .LBB83_5
; %bb.2:
	s_wait_xcnt 0x0
	s_load_b128 s[0:3], s[0:1], 0x0
	v_dual_lshrrev_b32 v2, 1, v13 :: v_dual_bitop2_b32 v0, 15, v13 bitop3:0x40
	s_addk_co_i32 s4, 0x1ff
	v_mul_lo_u32 v15, v12, s10
	s_ashr_i32 s11, s4, 31
	s_delay_alu instid0(VALU_DEP_2) | instskip(SKIP_1) | instid1(SALU_CYCLE_1)
	v_sub_co_u32 v1, vcc_lo, v0, 8
	s_lshr_b32 s11, s11, 23
	s_add_co_i32 s4, s4, s11
	v_dual_cndmask_b32 v6, v1, v0 :: v_dual_mov_b32 v1, 0
	v_and_b32_e32 v3, 4, v2
	v_lshlrev_b32_e32 v8, 3, v14
	s_ashr_i32 s4, s4, 9
	s_delay_alu instid0(VALU_DEP_3)
	v_dual_sub_nc_u32 v2, v0, v6 :: v_dual_lshlrev_b32 v0, 2, v0
	v_cmp_lt_u32_e32 vcc_lo, 3, v6
	v_mov_b32_e32 v7, v1
	s_wait_kmcnt 0x0
	v_mad_nc_u64_u32 v[4:5], v3, 36, s[2:3]
	s_mul_i32 s2, s8, s4
	v_mov_b32_e32 v16, v1
	v_add_co_ci_u32_e64 v2, null, 0, v2, vcc_lo
	v_lshlrev_b64_e32 v[6:7], 2, v[6:7]
	v_lshl_add_u32 v17, s2, 4, v8
	s_mov_b32 s2, 0
	s_delay_alu instid0(VALU_DEP_3)
	v_ashrrev_i32_e32 v3, 31, v2
.LBB83_3:                               ; =>This Inner Loop Header: Depth=1
	v_add_nc_u32_e32 v10, v15, v14
	s_delay_alu instid0(VALU_DEP_2)
	v_mad_nc_i64_i32 v[8:9], v17, 36, v[4:5]
	s_clause 0x2
	global_load_b32 v24, v[8:9], off
	global_load_b32 v25, v[8:9], off offset:36
	global_load_b32 v26, v[8:9], off offset:72
	v_mad_nc_i64_i32 v[10:11], 0x54, v10, s[0:1]
	v_add_nc_u64_e32 v[18:19], v[8:9], v[6:7]
	s_delay_alu instid0(VALU_DEP_2)
	v_add_nc_u64_e32 v[20:21], v[10:11], v[0:1]
	v_add_nc_u64_e32 v[22:23], v[10:11], v[2:3]
	s_clause 0x3
	global_load_b32 v27, v[18:19], off offset:4
	global_load_b32 v28, v[18:19], off offset:40
	;; [unrolled: 1-line block ×4, first 2 shown]
	s_clause 0x4
	global_load_b32 v31, v[20:21], off offset:16
	global_load_u8 v32, v[22:23], off
	global_load_u8 v33, v[22:23], off offset:2
	global_load_u8 v34, v[22:23], off offset:4
	;; [unrolled: 1-line block ×3, first 2 shown]
	global_load_b32 v36, v[8:9], off offset:108
	global_load_b32 v37, v[10:11], off offset:80
	s_wait_loadcnt 0xd
	s_wait_xcnt 0x0
	v_cvt_f32_f16_e32 v10, v24
	s_wait_loadcnt 0xc
	v_cvt_f32_f16_e32 v11, v25
	s_wait_loadcnt 0xb
	;; [unrolled: 2-line block ×3, first 2 shown]
	v_lshrrev_b16 v18, 8, v27
	s_wait_loadcnt 0x8
	v_dual_ashrrev_i32 v26, 24, v28 :: v_dual_lshlrev_b32 v38, 16, v29
	s_wait_loadcnt 0x7
	v_dual_lshlrev_b32 v39, 16, v30 :: v_dual_lshlrev_b32 v42, 8, v29
	s_wait_loadcnt 0x5
	v_lshrrev_b16 v46, 4, v32
	v_dual_lshlrev_b32 v22, 8, v28 :: v_dual_lshlrev_b32 v23, 16, v28
	v_bfe_i32 v21, v27, 0, 8
	s_wait_loadcnt 0x1
	v_cvt_f32_f16_e32 v9, v36
	v_and_b32_e32 v46, 0xffff, v46
	v_bfe_i32 v36, v29, 0, 8
	v_bfe_i32 v41, v29, 8, 8
	;; [unrolled: 1-line block ×3, first 2 shown]
	v_dual_ashrrev_i32 v29, 24, v29 :: v_dual_bitop2_b32 v48, 3, v31 bitop3:0x40
	v_mul_lo_u32 v46, 0x1010101, v46
	v_and_b32_e32 v55, 15, v33
	v_lshrrev_b16 v33, 4, v33
	v_perm_b32 v38, v42, v38, 0xc0c0703
	v_and_b32_e32 v42, 15, v35
	v_lshrrev_b16 v35, 4, v35
	v_ashrrev_i32_e32 v19, 24, v27
	v_and_b32_e32 v33, 0xffff, v33
	v_bfe_i32 v20, v27, 16, 8
	v_bfe_i32 v24, v28, 8, 8
	;; [unrolled: 1-line block ×6, first 2 shown]
	v_lshlrev_b32_e32 v43, 8, v30
	v_bfe_i32 v44, v30, 16, 8
	v_ashrrev_i32_e32 v30, 24, v30
	v_bfe_u32 v47, v31, 2, 2
	v_bfe_u32 v49, v31, 10, 2
	;; [unrolled: 1-line block ×7, first 2 shown]
	v_dual_lshrrev_b32 v59, 30, v31 :: v_dual_bitop2_b32 v32, 15, v32 bitop3:0x40
	v_perm_b32 v22, v22, v23, 0xc0c0703
	v_bfe_u32 v23, v31, 6, 2
	v_bfe_u32 v56, v31, 4, 2
	;; [unrolled: 1-line block ×7, first 2 shown]
	v_bfe_i32 v18, v18, 0, 8
	v_mul_i32_i24_e32 v48, v21, v48
	v_and_b32_e32 v35, 0xffff, v35
	v_mul_lo_u32 v33, 0x1010101, v33
	v_mul_i32_i24_e32 v47, v25, v47
	v_mul_i32_i24_e32 v27, v27, v53
	;; [unrolled: 1-line block ×5, first 2 shown]
	v_perm_b32 v39, v43, v39, 0xc0c0703
	v_and_b32_e32 v43, 15, v34
	v_lshrrev_b16 v34, 4, v34
	v_mul_i32_i24_e32 v54, v20, v54
	v_mul_i32_i24_e32 v52, v19, v52
	v_mad_i32_i24 v48, v18, v50, v48
	v_mul_lo_u32 v35, 0x1010101, v35
	v_mul_i32_i24_e32 v51, v26, v51
	v_mul_i32_i24_e32 v41, v41, v58
	;; [unrolled: 1-line block ×4, first 2 shown]
	v_mad_i32_i24 v24, v24, v49, v47
	v_mad_i32_i24 v45, v36, v56, v45
	;; [unrolled: 1-line block ×3, first 2 shown]
	v_and_b32_e32 v32, 0xffff, v32
	v_and_b32_e32 v34, 0xffff, v34
	v_add3_u32 v47, v48, v54, v52
	v_add3_u32 v24, v24, v27, v51
	;; [unrolled: 1-line block ×4, first 2 shown]
	v_lshrrev_b32_e32 v44, 24, v33
	v_and_b32_e32 v43, 0xffff, v43
	v_mul_lo_u32 v34, 0x1010101, v34
	v_mul_lo_u32 v31, v47, v32
	v_lshrrev_b32_e32 v32, 24, v46
	v_and_b32_e32 v55, 0xffff, v55
	v_mul_lo_u32 v27, v27, v43
	v_lshrrev_b16 v40, 8, v46
	v_bfe_i32 v43, v33, 0, 8
	v_lshrrev_b32_e32 v47, 24, v35
	v_and_b32_e32 v42, 0xffff, v42
	v_mul_lo_u32 v24, v24, v55
	v_bfe_i32 v41, v46, 16, 8
	v_perm_b32 v33, v33, v33, 0xc0c0201
	v_bfe_i32 v45, v35, 0, 8
	v_mul_lo_u32 v23, v23, v42
	v_bfe_i32 v42, v46, 0, 8
	v_bfe_i32 v40, v40, 0, 8
	v_mul_i32_i24_e32 v25, v25, v43
	v_mul_i32_i24_e32 v19, v32, v19
	v_bfe_i32 v46, v34, 0, 8
	v_perm_b32 v35, v35, v35, 0xc0c0201
	v_mul_i32_i24_e32 v21, v42, v21
	v_mul_i32_i24_e32 v20, v41, v20
	v_dot4_i32_iu8 v22, v22, v33, v25 neg_lo:[1,1,0]
	v_mad_i32_i24 v18, v40, v18, v19
	v_mul_i32_i24_e32 v28, v28, v45
	v_perm_b32 v32, v34, v34, 0xc0c0201
	v_mul_i32_i24_e32 v25, v36, v46
	v_cvt_f32_i32_e32 v19, v24
	v_mad_i32_i24 v22, v26, v44, v22
	v_add3_u32 v20, v21, v20, v18
	v_cvt_f32_i32_e32 v18, v31
	v_dot4_i32_iu8 v24, v39, v35, v28 neg_lo:[1,1,0]
	v_dot4_i32_iu8 v25, v38, v32, v25 neg_lo:[1,1,0]
	v_cvt_f32_i32_e32 v21, v22
	v_cvt_f32_i32_e32 v20, v20
	v_pk_mul_f32 v[18:19], v[10:11], v[18:19]
	v_lshrrev_b32_e32 v48, 24, v34
	v_mad_i32_i24 v24, v30, v47, v24
	v_cvt_f32_i32_e32 v23, v23
	v_pk_mul_f32 v[10:11], v[10:11], v[20:21]
	v_cvt_f32_i32_e32 v22, v27
	s_delay_alu instid0(VALU_DEP_4) | instskip(SKIP_2) | instid1(VALU_DEP_4)
	v_cvt_f32_i32_e32 v21, v24
	v_mov_b32_e32 v24, v18
	v_mad_i32_i24 v25, v29, v48, v25
	v_pk_mul_f32 v[22:23], v[8:9], v[22:23]
	s_delay_alu instid0(VALU_DEP_2) | instskip(SKIP_1) | instid1(VALU_DEP_2)
	v_cvt_f32_i32_e32 v20, v25
	v_dual_mov_b32 v25, v10 :: v_dual_mov_b32 v10, v19
	v_pk_mul_f32 v[8:9], v[8:9], v[20:21]
	s_delay_alu instid0(VALU_DEP_2) | instskip(NEXT) | instid1(VALU_DEP_2)
	v_pk_add_f32 v[18:19], v[24:25], 0 op_sel_hi:[1,0]
	v_dual_mov_b32 v20, v22 :: v_dual_mov_b32 v21, v8
	s_delay_alu instid0(VALU_DEP_2) | instskip(SKIP_3) | instid1(VALU_DEP_3)
	v_pk_add_f32 v[10:11], v[18:19], v[10:11]
	s_wait_loadcnt 0x0
	v_dual_mov_b32 v8, v23 :: v_dual_lshrrev_b32 v19, 16, v37
	v_cvt_f32_f16_e32 v18, v37
	v_pk_add_f32 v[10:11], v[10:11], v[20:21]
	s_delay_alu instid0(VALU_DEP_3) | instskip(NEXT) | instid1(VALU_DEP_2)
	v_cvt_f32_f16_e32 v19, v19
	v_pk_add_f32 v[8:9], v[10:11], v[8:9]
	s_delay_alu instid0(VALU_DEP_1) | instskip(NEXT) | instid1(VALU_DEP_1)
	v_pk_mul_f32 v[8:9], v[8:9], v[18:19]
	v_dual_add_nc_u32 v14, 2, v14 :: v_dual_sub_f32 v8, v8, v9
	s_delay_alu instid0(VALU_DEP_1) | instskip(NEXT) | instid1(VALU_DEP_2)
	v_cmp_le_u32_e32 vcc_lo, s10, v14
	v_dual_add_f32 v16, v16, v8 :: v_dual_add_nc_u32 v17, 16, v17
	s_or_b32 s2, vcc_lo, s2
	s_delay_alu instid0(SALU_CYCLE_1)
	s_and_not1_b32 exec_lo, exec_lo, s2
	s_cbranch_execnz .LBB83_3
; %bb.4:
	s_or_b32 exec_lo, exec_lo, s2
.LBB83_5:
	s_delay_alu instid0(SALU_CYCLE_1) | instskip(SKIP_1) | instid1(VALU_DEP_1)
	s_or_b32 exec_lo, exec_lo, s9
	v_mbcnt_lo_u32_b32 v0, -1, 0
	v_xor_b32_e32 v2, 8, v0
	v_xor_b32_e32 v1, 16, v0
	;; [unrolled: 1-line block ×3, first 2 shown]
	s_delay_alu instid0(VALU_DEP_2) | instskip(SKIP_4) | instid1(VALU_DEP_2)
	v_cmp_gt_i32_e32 vcc_lo, 32, v1
	v_cndmask_b32_e32 v1, v0, v1, vcc_lo
	v_cmp_gt_i32_e32 vcc_lo, 32, v2
	v_cndmask_b32_e32 v2, v0, v2, vcc_lo
	v_cmp_gt_i32_e32 vcc_lo, 32, v3
	v_dual_lshlrev_b32 v2, 2, v2 :: v_dual_lshlrev_b32 v1, 2, v1
	ds_bpermute_b32 v1, v1, v16
	s_wait_dscnt 0x0
	v_add_f32_e32 v1, v16, v1
	ds_bpermute_b32 v2, v2, v1
	s_wait_dscnt 0x0
	v_dual_cndmask_b32 v3, v0, v3, vcc_lo :: v_dual_add_f32 v1, v1, v2
	s_delay_alu instid0(VALU_DEP_1) | instskip(SKIP_3) | instid1(VALU_DEP_1)
	v_lshlrev_b32_e32 v3, 2, v3
	ds_bpermute_b32 v2, v3, v1
	s_wait_dscnt 0x0
	v_dual_add_f32 v1, v1, v2 :: v_dual_bitop2_b32 v3, 2, v0 bitop3:0x14
	v_cmp_gt_i32_e32 vcc_lo, 32, v3
	v_cndmask_b32_e32 v3, v0, v3, vcc_lo
	s_delay_alu instid0(VALU_DEP_1) | instskip(SKIP_2) | instid1(VALU_DEP_1)
	v_lshlrev_b32_e32 v3, 2, v3
	ds_bpermute_b32 v2, v3, v1
	v_xor_b32_e32 v3, 1, v0
	v_cmp_gt_i32_e32 vcc_lo, 32, v3
	v_cndmask_b32_e32 v3, v0, v3, vcc_lo
	v_cmp_eq_u32_e32 vcc_lo, 0, v13
	s_wait_dscnt 0x0
	s_delay_alu instid0(VALU_DEP_2)
	v_dual_add_f32 v0, v1, v2 :: v_dual_lshlrev_b32 v1, 2, v3
	ds_bpermute_b32 v1, v1, v0
	s_and_b32 exec_lo, exec_lo, vcc_lo
	s_cbranch_execz .LBB83_7
; %bb.6:
	v_mad_u32 v2, s5, s8, v12
	s_wait_dscnt 0x0
	v_add_f32_e32 v0, v0, v1
	s_delay_alu instid0(VALU_DEP_1)
	v_cvt_f16_f32_e32 v0, v0
	s_wait_kmcnt 0x0
	global_store_b16 v2, v0, s[6:7] scale_offset
.LBB83_7:
	s_endpgm
	.section	.rodata,"a",@progbits
	.p2align	6, 0x0
	.amdhsa_kernel _ZL13mul_mat_vec_qIN3c104HalfELi256ELi16E10block_q2_KLi1EXadL_ZL17vec_dot_q2_K_q8_1PKvPK10block_q8_1RKiEEEvS4_S4_PT_iii
		.amdhsa_group_segment_fixed_size 0
		.amdhsa_private_segment_fixed_size 0
		.amdhsa_kernarg_size 296
		.amdhsa_user_sgpr_count 2
		.amdhsa_user_sgpr_dispatch_ptr 0
		.amdhsa_user_sgpr_queue_ptr 0
		.amdhsa_user_sgpr_kernarg_segment_ptr 1
		.amdhsa_user_sgpr_dispatch_id 0
		.amdhsa_user_sgpr_kernarg_preload_length 0
		.amdhsa_user_sgpr_kernarg_preload_offset 0
		.amdhsa_user_sgpr_private_segment_size 0
		.amdhsa_wavefront_size32 1
		.amdhsa_uses_dynamic_stack 0
		.amdhsa_enable_private_segment 0
		.amdhsa_system_sgpr_workgroup_id_x 1
		.amdhsa_system_sgpr_workgroup_id_y 1
		.amdhsa_system_sgpr_workgroup_id_z 0
		.amdhsa_system_sgpr_workgroup_info 0
		.amdhsa_system_vgpr_workitem_id 1
		.amdhsa_next_free_vgpr 62
		.amdhsa_next_free_sgpr 12
		.amdhsa_named_barrier_count 0
		.amdhsa_reserve_vcc 1
		.amdhsa_float_round_mode_32 0
		.amdhsa_float_round_mode_16_64 0
		.amdhsa_float_denorm_mode_32 3
		.amdhsa_float_denorm_mode_16_64 3
		.amdhsa_fp16_overflow 0
		.amdhsa_memory_ordered 1
		.amdhsa_forward_progress 1
		.amdhsa_inst_pref_size 15
		.amdhsa_round_robin_scheduling 0
		.amdhsa_exception_fp_ieee_invalid_op 0
		.amdhsa_exception_fp_denorm_src 0
		.amdhsa_exception_fp_ieee_div_zero 0
		.amdhsa_exception_fp_ieee_overflow 0
		.amdhsa_exception_fp_ieee_underflow 0
		.amdhsa_exception_fp_ieee_inexact 0
		.amdhsa_exception_int_div_zero 0
	.end_amdhsa_kernel
	.section	.text._ZL13mul_mat_vec_qIN3c104HalfELi256ELi16E10block_q2_KLi1EXadL_ZL17vec_dot_q2_K_q8_1PKvPK10block_q8_1RKiEEEvS4_S4_PT_iii,"axG",@progbits,_ZL13mul_mat_vec_qIN3c104HalfELi256ELi16E10block_q2_KLi1EXadL_ZL17vec_dot_q2_K_q8_1PKvPK10block_q8_1RKiEEEvS4_S4_PT_iii,comdat
.Lfunc_end83:
	.size	_ZL13mul_mat_vec_qIN3c104HalfELi256ELi16E10block_q2_KLi1EXadL_ZL17vec_dot_q2_K_q8_1PKvPK10block_q8_1RKiEEEvS4_S4_PT_iii, .Lfunc_end83-_ZL13mul_mat_vec_qIN3c104HalfELi256ELi16E10block_q2_KLi1EXadL_ZL17vec_dot_q2_K_q8_1PKvPK10block_q8_1RKiEEEvS4_S4_PT_iii
                                        ; -- End function
	.set _ZL13mul_mat_vec_qIN3c104HalfELi256ELi16E10block_q2_KLi1EXadL_ZL17vec_dot_q2_K_q8_1PKvPK10block_q8_1RKiEEEvS4_S4_PT_iii.num_vgpr, 62
	.set _ZL13mul_mat_vec_qIN3c104HalfELi256ELi16E10block_q2_KLi1EXadL_ZL17vec_dot_q2_K_q8_1PKvPK10block_q8_1RKiEEEvS4_S4_PT_iii.num_agpr, 0
	.set _ZL13mul_mat_vec_qIN3c104HalfELi256ELi16E10block_q2_KLi1EXadL_ZL17vec_dot_q2_K_q8_1PKvPK10block_q8_1RKiEEEvS4_S4_PT_iii.numbered_sgpr, 12
	.set _ZL13mul_mat_vec_qIN3c104HalfELi256ELi16E10block_q2_KLi1EXadL_ZL17vec_dot_q2_K_q8_1PKvPK10block_q8_1RKiEEEvS4_S4_PT_iii.num_named_barrier, 0
	.set _ZL13mul_mat_vec_qIN3c104HalfELi256ELi16E10block_q2_KLi1EXadL_ZL17vec_dot_q2_K_q8_1PKvPK10block_q8_1RKiEEEvS4_S4_PT_iii.private_seg_size, 0
	.set _ZL13mul_mat_vec_qIN3c104HalfELi256ELi16E10block_q2_KLi1EXadL_ZL17vec_dot_q2_K_q8_1PKvPK10block_q8_1RKiEEEvS4_S4_PT_iii.uses_vcc, 1
	.set _ZL13mul_mat_vec_qIN3c104HalfELi256ELi16E10block_q2_KLi1EXadL_ZL17vec_dot_q2_K_q8_1PKvPK10block_q8_1RKiEEEvS4_S4_PT_iii.uses_flat_scratch, 0
	.set _ZL13mul_mat_vec_qIN3c104HalfELi256ELi16E10block_q2_KLi1EXadL_ZL17vec_dot_q2_K_q8_1PKvPK10block_q8_1RKiEEEvS4_S4_PT_iii.has_dyn_sized_stack, 0
	.set _ZL13mul_mat_vec_qIN3c104HalfELi256ELi16E10block_q2_KLi1EXadL_ZL17vec_dot_q2_K_q8_1PKvPK10block_q8_1RKiEEEvS4_S4_PT_iii.has_recursion, 0
	.set _ZL13mul_mat_vec_qIN3c104HalfELi256ELi16E10block_q2_KLi1EXadL_ZL17vec_dot_q2_K_q8_1PKvPK10block_q8_1RKiEEEvS4_S4_PT_iii.has_indirect_call, 0
	.section	.AMDGPU.csdata,"",@progbits
; Kernel info:
; codeLenInByte = 1920
; TotalNumSgprs: 14
; NumVgprs: 62
; ScratchSize: 0
; MemoryBound: 0
; FloatMode: 240
; IeeeMode: 1
; LDSByteSize: 0 bytes/workgroup (compile time only)
; SGPRBlocks: 0
; VGPRBlocks: 3
; NumSGPRsForWavesPerEU: 14
; NumVGPRsForWavesPerEU: 62
; NamedBarCnt: 0
; Occupancy: 16
; WaveLimiterHint : 0
; COMPUTE_PGM_RSRC2:SCRATCH_EN: 0
; COMPUTE_PGM_RSRC2:USER_SGPR: 2
; COMPUTE_PGM_RSRC2:TRAP_HANDLER: 0
; COMPUTE_PGM_RSRC2:TGID_X_EN: 1
; COMPUTE_PGM_RSRC2:TGID_Y_EN: 1
; COMPUTE_PGM_RSRC2:TGID_Z_EN: 0
; COMPUTE_PGM_RSRC2:TIDIG_COMP_CNT: 1
	.section	.text._ZL13mul_mat_vec_qIN3c104HalfELi256ELi16E10block_q3_KLi1EXadL_ZL17vec_dot_q3_K_q8_1PKvPK10block_q8_1RKiEEEvS4_S4_PT_iii,"axG",@progbits,_ZL13mul_mat_vec_qIN3c104HalfELi256ELi16E10block_q3_KLi1EXadL_ZL17vec_dot_q3_K_q8_1PKvPK10block_q8_1RKiEEEvS4_S4_PT_iii,comdat
	.globl	_ZL13mul_mat_vec_qIN3c104HalfELi256ELi16E10block_q3_KLi1EXadL_ZL17vec_dot_q3_K_q8_1PKvPK10block_q8_1RKiEEEvS4_S4_PT_iii ; -- Begin function _ZL13mul_mat_vec_qIN3c104HalfELi256ELi16E10block_q3_KLi1EXadL_ZL17vec_dot_q3_K_q8_1PKvPK10block_q8_1RKiEEEvS4_S4_PT_iii
	.p2align	8
	.type	_ZL13mul_mat_vec_qIN3c104HalfELi256ELi16E10block_q3_KLi1EXadL_ZL17vec_dot_q3_K_q8_1PKvPK10block_q8_1RKiEEEvS4_S4_PT_iii,@function
_ZL13mul_mat_vec_qIN3c104HalfELi256ELi16E10block_q3_KLi1EXadL_ZL17vec_dot_q3_K_q8_1PKvPK10block_q8_1RKiEEEvS4_S4_PT_iii: ; @_ZL13mul_mat_vec_qIN3c104HalfELi256ELi16E10block_q3_KLi1EXadL_ZL17vec_dot_q3_K_q8_1PKvPK10block_q8_1RKiEEEvS4_S4_PT_iii
; %bb.0:
	s_clause 0x1
	s_load_u16 s2, s[0:1], 0x36
	s_load_b96 s[4:6], s[0:1], 0x18
	s_bfe_u32 s7, ttmp6, 0x4000c
	s_bfe_u32 s8, ttmp6, 0x40010
	s_add_co_i32 s7, s7, 1
	s_add_co_i32 s8, s8, 1
	s_and_b32 s3, ttmp6, 15
	s_mul_i32 s7, ttmp9, s7
	s_mul_i32 s8, ttmp7, s8
	s_bfe_u32 s9, ttmp6, 0x40004
	s_add_co_i32 s3, s3, s7
	s_getreg_b32 s7, hwreg(HW_REG_IB_STS2, 6, 4)
	s_add_co_i32 s9, s9, s8
	v_bfe_u32 v1, v0, 10, 10
	s_cmp_eq_u32 s7, 0
	s_cselect_b32 s3, ttmp9, s3
	s_cselect_b32 s8, ttmp7, s9
	s_wait_kmcnt 0x0
	v_mad_u32 v24, s3, s2, v1
	s_cmp_lt_u32 s8, s6
	s_cselect_b32 s2, -1, 0
	s_delay_alu instid0(VALU_DEP_1) | instskip(SKIP_1) | instid1(SALU_CYCLE_1)
	v_cmp_gt_u32_e32 vcc_lo, s5, v24
	s_and_b32 s2, s2, vcc_lo
	s_and_saveexec_b32 s3, s2
	s_cbranch_execz .LBB84_7
; %bb.1:
	s_load_b64 s[6:7], s[0:1], 0x10
	s_ashr_i32 s2, s4, 31
	v_bfe_u32 v26, v0, 4, 6
	s_lshr_b32 s2, s2, 24
	v_and_b32_e32 v25, 0x3ff, v0
	v_mov_b32_e32 v35, 0
	s_add_co_i32 s2, s4, s2
	s_mov_b32 s9, exec_lo
	s_ashr_i32 s10, s2, 8
	s_delay_alu instid0(SALU_CYCLE_1)
	v_cmpx_gt_u32_e64 s10, v26
	s_cbranch_execz .LBB84_5
; %bb.2:
	v_dual_lshrrev_b32 v3, 1, v25 :: v_dual_bitop2_b32 v0, 15, v25 bitop3:0x40
	s_wait_xcnt 0x0
	s_load_b128 s[0:3], s[0:1], 0x0
	s_addk_co_i32 s4, 0x1ff
	v_mul_lo_u32 v27, v24, s10
	v_sub_co_u32 v1, vcc_lo, v0, 8
	s_ashr_i32 s11, s4, 31
	v_and_b32_e32 v28, 4, v3
	s_lshr_b32 s11, s11, 23
	v_cndmask_b32_e32 v2, v1, v0, vcc_lo
	s_add_co_i32 s4, s4, s11
	s_delay_alu instid0(SALU_CYCLE_1) | instskip(NEXT) | instid1(VALU_DEP_1)
	s_ashr_i32 s4, s4, 9
	v_sub_nc_u32_e32 v1, v0, v2
	v_cmp_lt_u32_e32 vcc_lo, 3, v2
	s_mul_i32 s4, s8, s4
	s_delay_alu instid0(VALU_DEP_2) | instskip(SKIP_1) | instid1(VALU_DEP_2)
	v_add_co_ci_u32_e64 v12, null, 0, v1, vcc_lo
	v_dual_mov_b32 v1, 0 :: v_dual_lshlrev_b32 v0, 2, v0
	v_bfe_i32 v4, v12, 0, 8
	v_add_nc_u16 v13, v12, 2
	v_add_nc_u16 v16, v12, 4
	s_delay_alu instid0(VALU_DEP_4) | instskip(NEXT) | instid1(VALU_DEP_4)
	v_dual_mov_b32 v3, v1 :: v_dual_mov_b32 v35, v1
	v_lshrrev_b16 v4, 7, v4
	s_delay_alu instid0(VALU_DEP_4) | instskip(NEXT) | instid1(VALU_DEP_4)
	v_bfe_i32 v5, v13, 0, 8
	v_bfe_i32 v6, v16, 0, 8
	s_delay_alu instid0(VALU_DEP_4) | instskip(NEXT) | instid1(VALU_DEP_4)
	v_lshlrev_b64_e32 v[2:3], 2, v[2:3]
	v_and_b32_e32 v4, 0xff, v4
	s_delay_alu instid0(VALU_DEP_4) | instskip(NEXT) | instid1(VALU_DEP_4)
	v_lshrrev_b16 v5, 7, v5
	v_lshrrev_b16 v6, 7, v6
	s_delay_alu instid0(VALU_DEP_3) | instskip(SKIP_1) | instid1(VALU_DEP_4)
	v_lshrrev_b16 v7, 5, v4
	v_lshrrev_b16 v8, 6, v4
	v_and_b32_e32 v9, 0xff, v5
	s_delay_alu instid0(VALU_DEP_4)
	v_and_b32_e32 v14, 0xff, v6
	s_wait_kmcnt 0x0
	v_mad_nc_u64_u32 v[4:5], v28, 36, s[2:3]
	v_add_nc_u16 v7, v12, v7
	v_add_nc_u16 v6, v12, v8
	v_lshrrev_b16 v8, 5, v9
	v_lshrrev_b16 v9, 6, v9
	;; [unrolled: 1-line block ×3, first 2 shown]
	v_bfe_i32 v10, v7, 0, 8
	v_bfe_i32 v11, v6, 0, 8
	v_and_b32_e32 v6, 0xfc, v6
	v_add_nc_u16 v8, v13, v8
	v_add_nc_u16 v15, v13, v9
	v_lshrrev_b16 v9, 3, v10
	v_ashrrev_i16 v10, 2, v11
	v_sub_nc_u16 v11, v12, v6
	v_bfe_i32 v17, v8, 0, 8
	v_and_b32_e32 v18, 0xf8, v8
	v_and_b32_e32 v7, 0xf8, v7
	v_bfe_i32 v10, v10, 0, 16
	v_bfe_i32 v8, v11, 0, 8
	v_lshrrev_b16 v11, 3, v17
	v_sub_nc_u16 v17, v13, v18
	v_bfe_i32 v18, v15, 0, 8
	v_sub_nc_u16 v7, v12, v7
	v_lshlrev_b32_e32 v30, 1, v10
	v_lshrrev_b16 v14, 6, v14
	v_bfe_i32 v10, v17, 0, 8
	v_ashrrev_i16 v17, 2, v18
	v_add_nc_u16 v18, v16, v19
	v_add_nc_u16 v19, v12, 6
	v_and_b32_e32 v12, 0xfc, v15
	v_and_b32_e32 v9, 0xff, v9
	v_bfe_i32 v15, v17, 0, 16
	v_bfe_i32 v17, v18, 0, 8
	;; [unrolled: 1-line block ×3, first 2 shown]
	v_sub_nc_u16 v12, v13, v12
	v_bfe_i32 v6, v7, 0, 8
	v_and_b32_e32 v11, 0xff, v11
	v_lshrrev_b16 v13, 3, v17
	v_and_b32_e32 v17, 0xf8, v18
	v_bfe_i32 v12, v12, 0, 8
	v_lshlrev_b32_e32 v32, 1, v15
	v_add_nc_u16 v15, v16, v14
	v_lshrrev_b16 v14, 7, v20
	v_and_b32_e32 v18, 0xff, v13
	v_dual_lshlrev_b32 v29, 2, v9 :: v_dual_ashrrev_i32 v7, 31, v6
	s_delay_alu instid0(VALU_DEP_4) | instskip(NEXT) | instid1(VALU_DEP_4)
	v_bfe_i32 v20, v15, 0, 8
	v_and_b32_e32 v21, 0xff, v14
	v_sub_nc_u16 v14, v16, v17
	v_dual_ashrrev_i32 v9, 31, v8 :: v_dual_lshlrev_b32 v31, 2, v11
	v_ashrrev_i32_e32 v11, 31, v10
	v_lshrrev_b16 v17, 2, v20
	v_lshrrev_b16 v20, 6, v21
	v_bfe_i32 v14, v14, 0, 8
	v_ashrrev_i32_e32 v13, 31, v12
	s_mov_b32 s2, 0
	v_and_b32_e32 v17, 0xff, v17
	v_lshlrev_b32_e32 v33, 2, v18
	v_lshrrev_b16 v18, 5, v21
	v_and_b32_e32 v21, 0xfc, v15
	v_add_nc_u16 v20, v19, v20
	v_lshlrev_b32_e32 v34, 1, v17
	s_delay_alu instid0(VALU_DEP_4) | instskip(NEXT) | instid1(VALU_DEP_4)
	v_add_nc_u16 v18, v19, v18
	v_sub_nc_u16 v16, v16, v21
	s_delay_alu instid0(VALU_DEP_4) | instskip(SKIP_1) | instid1(VALU_DEP_4)
	v_bfe_i32 v21, v20, 0, 8
	v_and_b32_e32 v20, 0xfc, v20
	v_bfe_i32 v17, v18, 0, 8
	v_and_b32_e32 v18, 0xf8, v18
	s_delay_alu instid0(VALU_DEP_4)
	v_lshrrev_b16 v21, 2, v21
	v_bfe_i32 v16, v16, 0, 8
	v_ashrrev_i32_e32 v15, 31, v14
	v_lshrrev_b16 v22, 3, v17
	v_sub_nc_u16 v18, v19, v18
	v_sub_nc_u16 v19, v19, v20
	v_and_b32_e32 v21, 0xff, v21
	v_lshlrev_b32_e32 v23, 3, v26
	v_and_b32_e32 v22, 0xff, v22
	v_bfe_i32 v18, v18, 0, 8
	v_bfe_i32 v20, v19, 0, 8
	v_dual_ashrrev_i32 v17, 31, v16 :: v_dual_lshlrev_b32 v37, 1, v21
	s_delay_alu instid0(VALU_DEP_4) | instskip(NEXT) | instid1(VALU_DEP_3)
	v_lshlrev_b32_e32 v36, 2, v22
	v_dual_ashrrev_i32 v19, 31, v18 :: v_dual_ashrrev_i32 v21, 31, v20
	v_lshl_add_u32 v38, s4, 4, v23
.LBB84_3:                               ; =>This Inner Loop Header: Depth=1
	v_add_nc_u32_e32 v22, v27, v26
	s_delay_alu instid0(VALU_DEP_2) | instskip(SKIP_2) | instid1(VALU_DEP_4)
	v_mad_nc_i64_i32 v[44:45], v38, 36, v[4:5]
	v_add_nc_u32_e32 v38, 16, v38
	v_add_nc_u32_e32 v26, 2, v26
	v_mad_nc_i64_i32 v[22:23], 0x6e, v22, s[0:1]
	s_delay_alu instid0(VALU_DEP_2) | instskip(SKIP_2) | instid1(VALU_DEP_3)
	v_cmp_le_u32_e32 vcc_lo, s10, v26
	v_add_nc_u64_e32 v[46:47], v[44:45], v[2:3]
	s_or_b32 s2, vcc_lo, s2
	v_add_nc_u64_e32 v[40:41], v[22:23], v[0:1]
	global_load_u16 v39, v[22:23], off offset:108
	global_load_b32 v48, v[46:47], off offset:4
	global_load_b32 v42, v[40:41], off offset:32
	s_wait_xcnt 0x0
	v_add_nc_u64_e32 v[40:41], v[22:23], v[2:3]
	global_load_b32 v43, v[40:41], off
	s_clause 0x6
	global_load_b32 v50, v[44:45], off
	global_load_b32 v51, v[46:47], off offset:40
	global_load_b32 v52, v[44:45], off offset:36
	;; [unrolled: 1-line block ×6, first 2 shown]
	s_wait_xcnt 0x0
	v_add_nc_u64_e32 v[44:45], v[22:23], v[6:7]
	global_load_u8 v44, v[44:45], off offset:96
	s_wait_loadcnt 0xa
	v_lshrrev_b16 v49, 8, v48
	s_wait_loadcnt 0x9
	v_bfe_u32 v55, v42, 24, 2
	s_delay_alu instid0(VALU_DEP_2) | instskip(SKIP_2) | instid1(VALU_DEP_1)
	v_bfe_i32 v49, v49, 0, 8
	s_wait_loadcnt 0x8
	v_ashrrev_i32_e32 v46, v28, v43
	v_not_b32_e32 v43, v46
	v_bitop3_b32 v46, v46, 0x4040404, v46 bitop3:0xc
	s_wait_loadcnt 0x0
	v_bfe_u32 v47, v44, v29, 4
	v_add_nc_u64_e32 v[44:45], v[22:23], v[8:9]
	v_lshlrev_b32_e32 v57, 2, v43
	s_delay_alu instid0(VALU_DEP_1) | instskip(SKIP_4) | instid1(VALU_DEP_2)
	v_and_b32_e32 v57, 0x4040404, v57
	global_load_u8 v44, v[44:45], off offset:104
	s_wait_xcnt 0x0
	v_and_b32_e32 v45, 0x3030303, v42
	v_dual_lshrrev_b32 v59, 24, v57 :: v_dual_lshrrev_b32 v60, 16, v57
	v_lshrrev_b32_e32 v56, 16, v45
	v_lshrrev_b16 v58, 8, v57
	s_delay_alu instid0(VALU_DEP_3) | instskip(NEXT) | instid1(VALU_DEP_3)
	v_sub_nc_u16 v55, v55, v59
	v_sub_nc_u16 v56, v56, v60
	s_delay_alu instid0(VALU_DEP_2) | instskip(NEXT) | instid1(VALU_DEP_2)
	v_bfe_i32 v55, v55, 0, 16
	v_bfe_i32 v56, v56, 0, 8
	s_wait_loadcnt 0x0
	v_lshrrev_b32_e32 v44, v30, v44
	s_delay_alu instid0(VALU_DEP_1) | instskip(NEXT) | instid1(VALU_DEP_1)
	v_lshlrev_b32_e32 v44, 4, v44
	v_and_or_b32 v44, v44, 48, v47
	v_lshrrev_b16 v47, 8, v45
	v_sub_nc_u16 v45, v45, v57
	v_ashrrev_i32_e32 v57, 24, v48
	s_delay_alu instid0(VALU_DEP_4) | instskip(NEXT) | instid1(VALU_DEP_4)
	v_subrev_nc_u32_e32 v44, 32, v44
	v_sub_nc_u16 v47, v47, v58
	s_delay_alu instid0(VALU_DEP_4) | instskip(SKIP_4) | instid1(VALU_DEP_3)
	v_bfe_i32 v45, v45, 0, 8
	v_bfe_i32 v58, v48, 16, 8
	;; [unrolled: 1-line block ×3, first 2 shown]
	v_mul_i32_i24_e32 v55, v55, v57
	v_bfe_i32 v47, v47, 0, 16
	v_mul_i32_i24_e32 v45, v45, v48
	v_mul_i32_i24_e32 v48, v56, v58
	s_delay_alu instid0(VALU_DEP_3) | instskip(SKIP_1) | instid1(VALU_DEP_2)
	v_mad_i32_i24 v47, v47, v49, v55
	v_dual_lshlrev_b32 v55, 1, v43 :: v_dual_lshrrev_b32 v43, 1, v43
	v_add3_u32 v45, v45, v48, v47
	s_delay_alu instid0(VALU_DEP_2) | instskip(NEXT) | instid1(VALU_DEP_3)
	v_and_b32_e32 v55, 0x4040404, v55
	v_and_b32_e32 v43, 0x4040404, v43
	s_delay_alu instid0(VALU_DEP_3) | instskip(NEXT) | instid1(VALU_DEP_3)
	v_mul_lo_u32 v44, v44, v45
	v_lshrrev_b32_e32 v57, 24, v55
	v_lshrrev_b16 v56, 8, v55
	v_lshrrev_b32_e32 v58, 16, v55
	s_delay_alu instid0(VALU_DEP_4) | instskip(NEXT) | instid1(VALU_DEP_1)
	v_cvt_f32_i32_e32 v44, v44
	v_fma_mix_f32 v47, v50, v44, 0 op_sel_hi:[1,0,0]
	v_add_nc_u64_e32 v[44:45], v[22:23], v[10:11]
	global_load_u8 v44, v[44:45], off offset:96
	s_wait_loadcnt 0x0
	v_bfe_u32 v48, v44, v31, 4
	v_add_nc_u64_e32 v[44:45], v[22:23], v[12:13]
	global_load_u8 v44, v[44:45], off offset:104
	s_wait_loadcnt 0x0
	v_dual_lshrrev_b32 v45, 2, v42 :: v_dual_lshrrev_b32 v44, v32, v44
	s_delay_alu instid0(VALU_DEP_1) | instskip(NEXT) | instid1(VALU_DEP_1)
	v_lshlrev_b32_e32 v44, 4, v44
	v_and_or_b32 v44, v44, 48, v48
	s_delay_alu instid0(VALU_DEP_3) | instskip(SKIP_1) | instid1(VALU_DEP_3)
	v_and_b32_e32 v48, 0x3030303, v45
	v_bfe_u32 v45, v45, 24, 2
	v_subrev_nc_u32_e32 v44, 32, v44
	s_delay_alu instid0(VALU_DEP_3) | instskip(SKIP_1) | instid1(VALU_DEP_4)
	v_lshrrev_b16 v49, 8, v48
	v_lshrrev_b32_e32 v50, 16, v48
	v_sub_nc_u16 v45, v45, v57
	v_sub_nc_u16 v48, v48, v55
	v_bfe_i32 v55, v51, 8, 8
	v_sub_nc_u16 v49, v49, v56
	v_sub_nc_u16 v50, v50, v58
	v_lshlrev_b16 v45, 8, v45
	v_bfe_i32 v48, v48, 0, 8
	v_bfe_i32 v56, v51, 0, 8
	v_lshlrev_b16 v49, 8, v49
	s_delay_alu instid0(VALU_DEP_4) | instskip(NEXT) | instid1(VALU_DEP_3)
	v_bitop3_b16 v45, v50, v45, 0xff bitop3:0xec
	v_mul_i32_i24_e32 v48, v56, v48
	s_delay_alu instid0(VALU_DEP_3) | instskip(SKIP_1) | instid1(VALU_DEP_4)
	v_bfe_i32 v49, v49, 8, 8
	v_lshlrev_b32_e32 v56, 8, v51
	v_perm_b32 v45, v45, v50, 0xc0c0500
	s_delay_alu instid0(VALU_DEP_3) | instskip(NEXT) | instid1(VALU_DEP_3)
	v_mad_i32_i24 v48, v55, v49, v48
	v_perm_b32 v49, v51, v56, 0xc0c0703
	v_lshrrev_b32_e32 v51, 24, v46
	v_lshrrev_b16 v55, 8, v46
	s_delay_alu instid0(VALU_DEP_3) | instskip(NEXT) | instid1(VALU_DEP_1)
	v_dot4_i32_iu8 v45, v49, v45, v48 neg_lo:[1,1,0]
	v_mul_lo_u32 v44, v44, v45
	s_delay_alu instid0(VALU_DEP_1) | instskip(NEXT) | instid1(VALU_DEP_1)
	v_cvt_f32_i32_e32 v44, v44
	v_fma_mix_f32 v47, v52, v44, v47 op_sel_hi:[1,0,0]
	v_add_nc_u64_e32 v[44:45], v[22:23], v[14:15]
	v_lshrrev_b32_e32 v52, 16, v46
	global_load_u8 v44, v[44:45], off offset:96
	s_wait_loadcnt 0x0
	v_bfe_u32 v48, v44, v33, 4
	v_add_nc_u64_e32 v[44:45], v[22:23], v[16:17]
	global_load_u8 v44, v[44:45], off offset:104
	s_wait_loadcnt 0x0
	v_dual_lshrrev_b32 v45, 4, v42 :: v_dual_lshrrev_b32 v44, v34, v44
	s_delay_alu instid0(VALU_DEP_1) | instskip(NEXT) | instid1(VALU_DEP_1)
	v_lshlrev_b32_e32 v44, 4, v44
	v_and_or_b32 v44, v44, 48, v48
	s_delay_alu instid0(VALU_DEP_3) | instskip(SKIP_1) | instid1(VALU_DEP_3)
	v_bfe_u32 v48, v45, 24, 2
	v_and_b32_e32 v45, 0x3030303, v45
	v_subrev_nc_u32_e32 v44, 32, v44
	s_delay_alu instid0(VALU_DEP_3) | instskip(NEXT) | instid1(VALU_DEP_3)
	v_sub_nc_u16 v48, v48, v51
	v_lshrrev_b32_e32 v49, 16, v45
	v_lshrrev_b16 v50, 8, v45
	v_sub_nc_u16 v45, v45, v46
	v_lshlrev_b32_e32 v46, 16, v53
	v_lshlrev_b16 v48, 8, v48
	v_sub_nc_u16 v49, v49, v52
	v_sub_nc_u16 v50, v50, v55
	v_bfe_i32 v51, v53, 0, 8
	v_dual_lshlrev_b32 v52, 8, v53 :: v_dual_ashrrev_i32 v53, 24, v53
	v_bfe_i32 v48, v48, 8, 8
	s_delay_alu instid0(VALU_DEP_4) | instskip(SKIP_1) | instid1(VALU_DEP_4)
	v_lshlrev_b16 v50, 8, v50
	v_bfe_i32 v45, v45, 0, 8
	v_perm_b32 v46, v52, v46, 0xc0c0703
	s_delay_alu instid0(VALU_DEP_4) | instskip(NEXT) | instid1(VALU_DEP_1)
	v_mul_i32_i24_e32 v48, v53, v48
	v_mad_i32_i24 v45, v51, v45, v48
	v_perm_b32 v48, v49, v50, 0xc0c0401
	v_lshrrev_b16 v49, 8, v43
	s_delay_alu instid0(VALU_DEP_2) | instskip(SKIP_1) | instid1(VALU_DEP_2)
	v_dot4_i32_iu8 v45, v46, v48, v45 neg_lo:[1,1,0]
	v_lshrrev_b32_e32 v48, 16, v43
	v_mul_lo_u32 v44, v44, v45
	s_delay_alu instid0(VALU_DEP_1) | instskip(NEXT) | instid1(VALU_DEP_1)
	v_cvt_f32_i32_e32 v44, v44
	v_fma_mix_f32 v46, v54, v44, v47 op_sel_hi:[1,0,0]
	v_add_nc_u64_e32 v[44:45], v[22:23], v[18:19]
	v_add_nc_u64_e32 v[22:23], v[22:23], v[20:21]
	v_lshrrev_b32_e32 v47, 24, v43
	s_clause 0x1
	global_load_u8 v44, v[44:45], off offset:96
	global_load_u8 v22, v[22:23], off offset:104
	s_wait_xcnt 0x0
	v_dual_lshrrev_b32 v23, 6, v42 :: v_dual_lshrrev_b32 v42, 30, v42
	s_delay_alu instid0(VALU_DEP_1) | instskip(NEXT) | instid1(VALU_DEP_2)
	v_and_b32_e32 v23, 0x3030303, v23
	v_sub_nc_u16 v42, v42, v47
	v_bfe_i32 v47, v41, 0, 8
	s_delay_alu instid0(VALU_DEP_3) | instskip(NEXT) | instid1(VALU_DEP_3)
	v_lshrrev_b16 v45, 8, v23
	v_lshlrev_b16 v42, 8, v42
	s_delay_alu instid0(VALU_DEP_2) | instskip(NEXT) | instid1(VALU_DEP_2)
	v_sub_nc_u16 v45, v45, v49
	v_bfe_i32 v42, v42, 8, 8
	s_delay_alu instid0(VALU_DEP_2) | instskip(SKIP_4) | instid1(VALU_DEP_1)
	v_lshlrev_b16 v45, 8, v45
	s_wait_loadcnt 0x1
	v_bfe_u32 v44, v44, v36, 4
	s_wait_loadcnt 0x0
	v_lshrrev_b32_e32 v22, v37, v22
	v_lshlrev_b32_e32 v22, 4, v22
	s_delay_alu instid0(VALU_DEP_1) | instskip(SKIP_3) | instid1(VALU_DEP_4)
	v_and_or_b32 v22, v22, 48, v44
	v_lshrrev_b32_e32 v44, 16, v23
	v_sub_nc_u16 v23, v23, v43
	v_lshlrev_b32_e32 v43, 16, v41
	v_subrev_nc_u32_e32 v22, 32, v22
	s_delay_alu instid0(VALU_DEP_4) | instskip(SKIP_2) | instid1(VALU_DEP_2)
	v_sub_nc_u16 v44, v44, v48
	v_dual_lshlrev_b32 v48, 8, v41 :: v_dual_ashrrev_i32 v41, 24, v41
	v_bfe_i32 v23, v23, 0, 8
	v_mul_i32_i24_e32 v41, v41, v42
	s_delay_alu instid0(VALU_DEP_4) | instskip(NEXT) | instid1(VALU_DEP_2)
	v_perm_b32 v42, v44, v45, 0xc0c0401
	v_mad_i32_i24 v23, v47, v23, v41
	v_perm_b32 v41, v48, v43, 0xc0c0703
	s_delay_alu instid0(VALU_DEP_1) | instskip(NEXT) | instid1(VALU_DEP_1)
	v_dot4_i32_iu8 v23, v41, v42, v23 neg_lo:[1,1,0]
	v_mul_lo_u32 v22, v22, v23
	s_delay_alu instid0(VALU_DEP_1) | instskip(NEXT) | instid1(VALU_DEP_1)
	v_cvt_f32_i32_e32 v22, v22
	v_fma_mix_f32 v22, v40, v22, v46 op_sel_hi:[1,0,0]
	s_delay_alu instid0(VALU_DEP_1)
	v_fma_mix_f32 v35, v22, v39, v35 op_sel_hi:[0,1,0]
	s_and_not1_b32 exec_lo, exec_lo, s2
	s_cbranch_execnz .LBB84_3
; %bb.4:
	s_or_b32 exec_lo, exec_lo, s2
.LBB84_5:
	s_delay_alu instid0(SALU_CYCLE_1) | instskip(SKIP_1) | instid1(VALU_DEP_1)
	s_or_b32 exec_lo, exec_lo, s9
	v_mbcnt_lo_u32_b32 v0, -1, 0
	v_xor_b32_e32 v2, 8, v0
	v_xor_b32_e32 v1, 16, v0
	;; [unrolled: 1-line block ×3, first 2 shown]
	s_delay_alu instid0(VALU_DEP_2) | instskip(SKIP_4) | instid1(VALU_DEP_2)
	v_cmp_gt_i32_e32 vcc_lo, 32, v1
	v_cndmask_b32_e32 v1, v0, v1, vcc_lo
	v_cmp_gt_i32_e32 vcc_lo, 32, v2
	v_cndmask_b32_e32 v2, v0, v2, vcc_lo
	v_cmp_gt_i32_e32 vcc_lo, 32, v3
	v_dual_lshlrev_b32 v2, 2, v2 :: v_dual_lshlrev_b32 v1, 2, v1
	ds_bpermute_b32 v1, v1, v35
	s_wait_dscnt 0x0
	v_add_f32_e32 v1, v35, v1
	ds_bpermute_b32 v2, v2, v1
	s_wait_dscnt 0x0
	v_dual_cndmask_b32 v3, v0, v3, vcc_lo :: v_dual_add_f32 v1, v1, v2
	s_delay_alu instid0(VALU_DEP_1) | instskip(SKIP_3) | instid1(VALU_DEP_1)
	v_lshlrev_b32_e32 v3, 2, v3
	ds_bpermute_b32 v2, v3, v1
	s_wait_dscnt 0x0
	v_dual_add_f32 v1, v1, v2 :: v_dual_bitop2_b32 v3, 2, v0 bitop3:0x14
	v_cmp_gt_i32_e32 vcc_lo, 32, v3
	v_cndmask_b32_e32 v3, v0, v3, vcc_lo
	s_delay_alu instid0(VALU_DEP_1) | instskip(SKIP_2) | instid1(VALU_DEP_1)
	v_lshlrev_b32_e32 v3, 2, v3
	ds_bpermute_b32 v2, v3, v1
	v_xor_b32_e32 v3, 1, v0
	v_cmp_gt_i32_e32 vcc_lo, 32, v3
	v_cndmask_b32_e32 v3, v0, v3, vcc_lo
	v_cmp_eq_u32_e32 vcc_lo, 0, v25
	s_wait_dscnt 0x0
	s_delay_alu instid0(VALU_DEP_2)
	v_dual_add_f32 v0, v1, v2 :: v_dual_lshlrev_b32 v1, 2, v3
	ds_bpermute_b32 v1, v1, v0
	s_and_b32 exec_lo, exec_lo, vcc_lo
	s_cbranch_execz .LBB84_7
; %bb.6:
	v_mad_u32 v2, s5, s8, v24
	s_wait_dscnt 0x0
	v_add_f32_e32 v0, v0, v1
	s_delay_alu instid0(VALU_DEP_1)
	v_cvt_f16_f32_e32 v0, v0
	s_wait_kmcnt 0x0
	global_store_b16 v2, v0, s[6:7] scale_offset
.LBB84_7:
	s_endpgm
	.section	.rodata,"a",@progbits
	.p2align	6, 0x0
	.amdhsa_kernel _ZL13mul_mat_vec_qIN3c104HalfELi256ELi16E10block_q3_KLi1EXadL_ZL17vec_dot_q3_K_q8_1PKvPK10block_q8_1RKiEEEvS4_S4_PT_iii
		.amdhsa_group_segment_fixed_size 0
		.amdhsa_private_segment_fixed_size 0
		.amdhsa_kernarg_size 296
		.amdhsa_user_sgpr_count 2
		.amdhsa_user_sgpr_dispatch_ptr 0
		.amdhsa_user_sgpr_queue_ptr 0
		.amdhsa_user_sgpr_kernarg_segment_ptr 1
		.amdhsa_user_sgpr_dispatch_id 0
		.amdhsa_user_sgpr_kernarg_preload_length 0
		.amdhsa_user_sgpr_kernarg_preload_offset 0
		.amdhsa_user_sgpr_private_segment_size 0
		.amdhsa_wavefront_size32 1
		.amdhsa_uses_dynamic_stack 0
		.amdhsa_enable_private_segment 0
		.amdhsa_system_sgpr_workgroup_id_x 1
		.amdhsa_system_sgpr_workgroup_id_y 1
		.amdhsa_system_sgpr_workgroup_id_z 0
		.amdhsa_system_sgpr_workgroup_info 0
		.amdhsa_system_vgpr_workitem_id 1
		.amdhsa_next_free_vgpr 61
		.amdhsa_next_free_sgpr 12
		.amdhsa_named_barrier_count 0
		.amdhsa_reserve_vcc 1
		.amdhsa_float_round_mode_32 0
		.amdhsa_float_round_mode_16_64 0
		.amdhsa_float_denorm_mode_32 3
		.amdhsa_float_denorm_mode_16_64 3
		.amdhsa_fp16_overflow 0
		.amdhsa_memory_ordered 1
		.amdhsa_forward_progress 1
		.amdhsa_inst_pref_size 23
		.amdhsa_round_robin_scheduling 0
		.amdhsa_exception_fp_ieee_invalid_op 0
		.amdhsa_exception_fp_denorm_src 0
		.amdhsa_exception_fp_ieee_div_zero 0
		.amdhsa_exception_fp_ieee_overflow 0
		.amdhsa_exception_fp_ieee_underflow 0
		.amdhsa_exception_fp_ieee_inexact 0
		.amdhsa_exception_int_div_zero 0
	.end_amdhsa_kernel
	.section	.text._ZL13mul_mat_vec_qIN3c104HalfELi256ELi16E10block_q3_KLi1EXadL_ZL17vec_dot_q3_K_q8_1PKvPK10block_q8_1RKiEEEvS4_S4_PT_iii,"axG",@progbits,_ZL13mul_mat_vec_qIN3c104HalfELi256ELi16E10block_q3_KLi1EXadL_ZL17vec_dot_q3_K_q8_1PKvPK10block_q8_1RKiEEEvS4_S4_PT_iii,comdat
.Lfunc_end84:
	.size	_ZL13mul_mat_vec_qIN3c104HalfELi256ELi16E10block_q3_KLi1EXadL_ZL17vec_dot_q3_K_q8_1PKvPK10block_q8_1RKiEEEvS4_S4_PT_iii, .Lfunc_end84-_ZL13mul_mat_vec_qIN3c104HalfELi256ELi16E10block_q3_KLi1EXadL_ZL17vec_dot_q3_K_q8_1PKvPK10block_q8_1RKiEEEvS4_S4_PT_iii
                                        ; -- End function
	.set _ZL13mul_mat_vec_qIN3c104HalfELi256ELi16E10block_q3_KLi1EXadL_ZL17vec_dot_q3_K_q8_1PKvPK10block_q8_1RKiEEEvS4_S4_PT_iii.num_vgpr, 61
	.set _ZL13mul_mat_vec_qIN3c104HalfELi256ELi16E10block_q3_KLi1EXadL_ZL17vec_dot_q3_K_q8_1PKvPK10block_q8_1RKiEEEvS4_S4_PT_iii.num_agpr, 0
	.set _ZL13mul_mat_vec_qIN3c104HalfELi256ELi16E10block_q3_KLi1EXadL_ZL17vec_dot_q3_K_q8_1PKvPK10block_q8_1RKiEEEvS4_S4_PT_iii.numbered_sgpr, 12
	.set _ZL13mul_mat_vec_qIN3c104HalfELi256ELi16E10block_q3_KLi1EXadL_ZL17vec_dot_q3_K_q8_1PKvPK10block_q8_1RKiEEEvS4_S4_PT_iii.num_named_barrier, 0
	.set _ZL13mul_mat_vec_qIN3c104HalfELi256ELi16E10block_q3_KLi1EXadL_ZL17vec_dot_q3_K_q8_1PKvPK10block_q8_1RKiEEEvS4_S4_PT_iii.private_seg_size, 0
	.set _ZL13mul_mat_vec_qIN3c104HalfELi256ELi16E10block_q3_KLi1EXadL_ZL17vec_dot_q3_K_q8_1PKvPK10block_q8_1RKiEEEvS4_S4_PT_iii.uses_vcc, 1
	.set _ZL13mul_mat_vec_qIN3c104HalfELi256ELi16E10block_q3_KLi1EXadL_ZL17vec_dot_q3_K_q8_1PKvPK10block_q8_1RKiEEEvS4_S4_PT_iii.uses_flat_scratch, 0
	.set _ZL13mul_mat_vec_qIN3c104HalfELi256ELi16E10block_q3_KLi1EXadL_ZL17vec_dot_q3_K_q8_1PKvPK10block_q8_1RKiEEEvS4_S4_PT_iii.has_dyn_sized_stack, 0
	.set _ZL13mul_mat_vec_qIN3c104HalfELi256ELi16E10block_q3_KLi1EXadL_ZL17vec_dot_q3_K_q8_1PKvPK10block_q8_1RKiEEEvS4_S4_PT_iii.has_recursion, 0
	.set _ZL13mul_mat_vec_qIN3c104HalfELi256ELi16E10block_q3_KLi1EXadL_ZL17vec_dot_q3_K_q8_1PKvPK10block_q8_1RKiEEEvS4_S4_PT_iii.has_indirect_call, 0
	.section	.AMDGPU.csdata,"",@progbits
; Kernel info:
; codeLenInByte = 2892
; TotalNumSgprs: 14
; NumVgprs: 61
; ScratchSize: 0
; MemoryBound: 0
; FloatMode: 240
; IeeeMode: 1
; LDSByteSize: 0 bytes/workgroup (compile time only)
; SGPRBlocks: 0
; VGPRBlocks: 3
; NumSGPRsForWavesPerEU: 14
; NumVGPRsForWavesPerEU: 61
; NamedBarCnt: 0
; Occupancy: 16
; WaveLimiterHint : 0
; COMPUTE_PGM_RSRC2:SCRATCH_EN: 0
; COMPUTE_PGM_RSRC2:USER_SGPR: 2
; COMPUTE_PGM_RSRC2:TRAP_HANDLER: 0
; COMPUTE_PGM_RSRC2:TGID_X_EN: 1
; COMPUTE_PGM_RSRC2:TGID_Y_EN: 1
; COMPUTE_PGM_RSRC2:TGID_Z_EN: 0
; COMPUTE_PGM_RSRC2:TIDIG_COMP_CNT: 1
	.section	.text._ZL13mul_mat_vec_qIN3c104HalfELi256ELi32E10block_q4_KLi2EXadL_ZL17vec_dot_q4_K_q8_1PKvPK10block_q8_1RKiEEEvS4_S4_PT_iii,"axG",@progbits,_ZL13mul_mat_vec_qIN3c104HalfELi256ELi32E10block_q4_KLi2EXadL_ZL17vec_dot_q4_K_q8_1PKvPK10block_q8_1RKiEEEvS4_S4_PT_iii,comdat
	.globl	_ZL13mul_mat_vec_qIN3c104HalfELi256ELi32E10block_q4_KLi2EXadL_ZL17vec_dot_q4_K_q8_1PKvPK10block_q8_1RKiEEEvS4_S4_PT_iii ; -- Begin function _ZL13mul_mat_vec_qIN3c104HalfELi256ELi32E10block_q4_KLi2EXadL_ZL17vec_dot_q4_K_q8_1PKvPK10block_q8_1RKiEEEvS4_S4_PT_iii
	.p2align	8
	.type	_ZL13mul_mat_vec_qIN3c104HalfELi256ELi32E10block_q4_KLi2EXadL_ZL17vec_dot_q4_K_q8_1PKvPK10block_q8_1RKiEEEvS4_S4_PT_iii,@function
_ZL13mul_mat_vec_qIN3c104HalfELi256ELi32E10block_q4_KLi2EXadL_ZL17vec_dot_q4_K_q8_1PKvPK10block_q8_1RKiEEEvS4_S4_PT_iii: ; @_ZL13mul_mat_vec_qIN3c104HalfELi256ELi32E10block_q4_KLi2EXadL_ZL17vec_dot_q4_K_q8_1PKvPK10block_q8_1RKiEEEvS4_S4_PT_iii
; %bb.0:
	s_clause 0x1
	s_load_u16 s2, s[0:1], 0x36
	s_load_b96 s[8:10], s[0:1], 0x18
	s_bfe_u32 s4, ttmp6, 0x4000c
	s_bfe_u32 s5, ttmp6, 0x40010
	s_add_co_i32 s4, s4, 1
	s_add_co_i32 s5, s5, 1
	s_and_b32 s3, ttmp6, 15
	s_mul_i32 s4, ttmp9, s4
	s_mul_i32 s5, ttmp7, s5
	s_bfe_u32 s6, ttmp6, 0x40004
	s_add_co_i32 s3, s3, s4
	s_getreg_b32 s4, hwreg(HW_REG_IB_STS2, 6, 4)
	s_add_co_i32 s6, s6, s5
	v_bfe_u32 v1, v0, 10, 10
	s_cmp_eq_u32 s4, 0
	s_cselect_b32 s3, ttmp9, s3
	s_cselect_b32 s11, ttmp7, s6
	s_wait_kmcnt 0x0
	v_mad_u32 v14, s3, s2, v1
	s_cmp_lt_u32 s11, s10
	s_cselect_b32 s2, -1, 0
	s_delay_alu instid0(VALU_DEP_1) | instskip(SKIP_1) | instid1(SALU_CYCLE_1)
	v_cmp_gt_u32_e32 vcc_lo, s9, v14
	s_and_b32 s2, s2, vcc_lo
	s_and_saveexec_b32 s3, s2
	s_cbranch_execz .LBB85_11
; %bb.1:
	s_load_b64 s[2:3], s[0:1], 0x10
	s_ashr_i32 s4, s8, 31
	v_bfe_u32 v16, v0, 4, 6
	s_lshr_b32 s4, s4, 24
	v_and_b32_e32 v15, 0x3ff, v0
	v_mov_b32_e32 v18, 0
	s_add_co_i32 s4, s8, s4
	s_mov_b32 s10, exec_lo
	s_ashr_i32 s12, s4, 8
	s_delay_alu instid0(SALU_CYCLE_1)
	v_cmpx_gt_u32_e64 s12, v16
	s_cbranch_execz .LBB85_9
; %bb.2:
	s_load_b128 s[4:7], s[0:1], 0x0
	v_dual_lshlrev_b32 v0, 1, v15 :: v_dual_bitop2_b32 v8, 3, v15 bitop3:0x40
	s_addk_co_i32 s8, 0x1ff
	v_mul_lo_u32 v17, v14, s12
	s_wait_xcnt 0x0
	s_ashr_i32 s0, s8, 31
	v_bfe_u32 v6, v0, 3, 2
	v_dual_mov_b32 v1, 0 :: v_dual_bitop2_b32 v4, 30, v0 bitop3:0x40
	s_lshr_b32 s0, s0, 23
	s_delay_alu instid0(VALU_DEP_2)
	v_dual_lshlrev_b32 v7, 3, v16 :: v_dual_lshlrev_b32 v0, 5, v6
	v_lshlrev_b32_e32 v5, 1, v6
	s_add_co_i32 s8, s8, s0
	v_cmp_lt_u32_e32 vcc_lo, 15, v4
	s_ashr_i32 s0, s8, 9
	v_dual_lshlrev_b32 v2, 2, v8 :: v_dual_lshlrev_b32 v6, 1, v6
	s_mul_i32 s0, s11, s0
	v_mov_b32_e32 v3, v1
	s_wait_kmcnt 0x0
	v_mad_nc_u64_u32 v[4:5], v5, 36, s[6:7]
	v_lshl_add_u32 v19, s0, 4, v7
	v_dual_mov_b32 v7, v1 :: v_dual_lshlrev_b32 v8, 2, v8
	v_dual_mov_b32 v9, v1 :: v_dual_mov_b32 v18, v1
	s_mov_b32 s1, 0
	s_movk_i32 s6, 0xff
	s_branch .LBB85_4
.LBB85_3:                               ;   in Loop: Header=BB85_4 Depth=1
	s_or_b32 exec_lo, exec_lo, s0
	v_mad_nc_i64_i32 v[12:13], v19, 36, v[4:5]
	s_wait_loadcnt 0x0
	v_bfe_u32 v34, v20, 16, 4
	v_bfe_u32 v39, v21, 4, 4
	;; [unrolled: 1-line block ×3, first 2 shown]
	v_dual_lshrrev_b32 v38, 28, v20 :: v_dual_bitop2_b32 v33, 15, v20 bitop3:0x40
	v_and_b32_e32 v35, 0xff00ff, v22
	v_bfe_u32 v41, v20, 4, 4
	v_bfe_u32 v40, v21, 12, 4
	;; [unrolled: 1-line block ×3, first 2 shown]
	v_lshrrev_b32_e32 v37, 4, v20
	v_add_nc_u64_e32 v[24:25], v[12:13], v[8:9]
	s_clause 0x4
	global_load_b32 v23, v[24:25], off offset:4
	global_load_b32 v26, v[24:25], off offset:20
	;; [unrolled: 1-line block ×4, first 2 shown]
	global_load_b32 v29, v[12:13], off
	global_load_b32 v30, v[10:11], off
	global_load_b32 v31, v[12:13], off offset:36
	s_wait_xcnt 0x1
	v_and_b32_e32 v11, 0xf0f0f0f, v21
	s_wait_xcnt 0x0
	v_and_b32_e32 v13, 0xf0f0f0f, v20
	v_and_b32_e32 v25, 15, v21
	v_bfe_u32 v24, v20, 24, 4
	v_lshrrev_b16 v37, 8, v37
	v_lshrrev_b16 v11, 8, v11
	;; [unrolled: 1-line block ×3, first 2 shown]
	v_bfe_u32 v12, v21, 24, 4
	v_bfe_u32 v20, v20, 20, 4
	v_dual_lshrrev_b32 v35, 16, v35 :: v_dual_bitop2_b32 v37, 15, v37 bitop3:0x40
	v_and_b32_e32 v11, 0xffff, v11
	v_and_b32_e32 v13, 0xffff, v13
	v_pk_lshrrev_b16 v10, 8, v22 op_sel_hi:[0,1]
	s_delay_alu instid0(VALU_DEP_4) | instskip(SKIP_2) | instid1(VALU_DEP_4)
	v_and_b32_e32 v37, 0xffff, v37
	v_lshrrev_b32_e32 v21, 28, v21
	v_bitop3_b32 v22, v22, s6, 0xff00ff bitop3:0x80
	v_dual_add_nc_u32 v16, 2, v16 :: v_dual_lshrrev_b32 v42, 16, v10
	v_and_b32_e32 v10, 0xff, v10
	v_add_nc_u32_e32 v19, 16, v19
	s_delay_alu instid0(VALU_DEP_3)
	v_cmp_le_u32_e64 s0, s12, v16
	s_or_b32 s1, s0, s1
	s_wait_loadcnt 0x6
	v_lshrrev_b16 v43, 8, v23
	s_wait_loadcnt 0x5
	v_lshrrev_b16 v44, 8, v26
	v_dual_ashrrev_i32 v46, 24, v23 :: v_dual_ashrrev_i32 v48, 24, v26
	v_bfe_i32 v47, v23, 0, 8
	v_bfe_i32 v49, v26, 16, 8
	s_wait_loadcnt 0x3
	v_bfe_i32 v50, v28, 0, 8
	v_bfe_i32 v51, v28, 8, 8
	v_bfe_i32 v52, v28, 16, 8
	v_dual_ashrrev_i32 v28, 24, v28 :: v_dual_ashrrev_i32 v54, 24, v27
	v_bfe_i32 v43, v43, 0, 8
	v_lshrrev_b16 v45, 8, v27
	v_bfe_i32 v23, v23, 16, 8
	v_bfe_i32 v26, v26, 0, 8
	v_bfe_i32 v53, v27, 0, 8
	v_bfe_i32 v27, v27, 16, 8
	v_bfe_i32 v44, v44, 0, 8
	v_mul_i32_i24_e32 v34, v49, v34
	v_mul_i32_i24_e32 v24, v48, v24
	;; [unrolled: 1-line block ×3, first 2 shown]
	v_add_nc_u32_e32 v50, v50, v28
	v_mul_i32_i24_e32 v11, v43, v11
	v_add_nc_u32_e32 v43, v43, v47
	v_mul_i32_i24_e32 v33, v26, v33
	v_bfe_i32 v45, v45, 0, 8
	v_mul_i32_i24_e32 v20, v27, v20
	v_mul_i32_i24_e32 v38, v54, v38
	;; [unrolled: 1-line block ×3, first 2 shown]
	v_mad_i32_i24 v32, v23, v32, v34
	v_mad_i32_i24 v12, v46, v12, v24
	v_add3_u32 v23, v43, v23, v46
	v_mul_i32_i24_e32 v40, v51, v40
	v_mad_i32_i24 v25, v47, v25, v33
	v_mad_i32_i24 v20, v53, v41, v20
	;; [unrolled: 1-line block ×3, first 2 shown]
	v_add3_u32 v33, v50, v51, v52
	v_add3_u32 v11, v11, v13, v12
	v_add3_u32 v12, v23, v44, v26
	v_mul_i32_i24_e32 v36, v52, v36
	v_mad_i32_i24 v13, v28, v21, v40
	v_add3_u32 v20, v20, v24, v39
	v_add3_u32 v21, v33, v45, v53
	;; [unrolled: 1-line block ×4, first 2 shown]
	s_delay_alu instid0(VALU_DEP_4) | instskip(NEXT) | instid1(VALU_DEP_4)
	v_add3_u32 v13, v20, v13, v36
	v_add3_u32 v20, v21, v27, v54
	s_delay_alu instid0(VALU_DEP_4) | instskip(NEXT) | instid1(VALU_DEP_4)
	v_mul_lo_u32 v11, v11, v22
	v_mul_lo_u32 v21, v12, v35
	s_delay_alu instid0(VALU_DEP_4) | instskip(NEXT) | instid1(VALU_DEP_4)
	v_mul_lo_u32 v22, v13, v10
	v_mul_lo_u32 v23, v20, v42
	s_wait_loadcnt 0x2
	v_cvt_f32_f16_e32 v10, v29
	s_wait_loadcnt 0x0
	v_cvt_f32_f16_e32 v20, v31
	v_cvt_f32_i32_e32 v12, v11
	v_cvt_f32_i32_e32 v13, v21
	v_lshrrev_b32_e32 v21, 16, v30
	v_cvt_f32_i32_e32 v22, v22
	v_cvt_f32_i32_e32 v23, v23
	s_delay_alu instid0(VALU_DEP_4) | instskip(SKIP_2) | instid1(VALU_DEP_3)
	v_pk_fma_f32 v[10:11], v[10:11], v[12:13], 0 op_sel_hi:[0,1,0]
	v_cvt_f32_f16_e32 v12, v30
	v_cvt_f32_f16_e32 v13, v21
	v_pk_fma_f32 v[10:11], v[20:21], v[22:23], v[10:11] op_sel_hi:[0,1,1]
	s_delay_alu instid0(VALU_DEP_1) | instskip(NEXT) | instid1(VALU_DEP_1)
	v_pk_mul_f32 v[10:11], v[10:11], v[12:13]
	v_sub_f32_e32 v10, v10, v11
	s_delay_alu instid0(VALU_DEP_1)
	v_add_f32_e32 v18, v18, v10
	s_and_not1_b32 exec_lo, exec_lo, s1
	s_cbranch_execz .LBB85_8
.LBB85_4:                               ; =>This Inner Loop Header: Depth=1
	v_add_nc_u32_e32 v10, v17, v16
                                        ; implicit-def: $vgpr22
	s_delay_alu instid0(VALU_DEP_1) | instskip(NEXT) | instid1(VALU_DEP_1)
	v_mad_nc_i64_i32 v[10:11], 0x90, v10, s[4:5]
	v_add_nc_u64_e32 v[12:13], v[10:11], v[0:1]
	s_delay_alu instid0(VALU_DEP_1)
	v_add_nc_u64_e32 v[12:13], v[12:13], v[2:3]
	s_clause 0x1
	global_load_b32 v21, v[12:13], off offset:16
	global_load_b32 v20, v[12:13], off offset:32
	s_wait_xcnt 0x0
	v_add_nc_u64_e32 v[12:13], v[10:11], v[6:7]
	s_and_saveexec_b32 s0, vcc_lo
	s_delay_alu instid0(SALU_CYCLE_1)
	s_xor_b32 s0, exec_lo, s0
	s_cbranch_execz .LBB85_6
; %bb.5:                                ;   in Loop: Header=BB85_4 Depth=1
	s_clause 0x2
	global_load_u16 v22, v[12:13], off
	global_load_u16 v23, v[12:13], off offset:8
	global_load_u16 v24, v[12:13], off offset:4
	s_wait_loadcnt 0x1
	s_wait_xcnt 0x0
	v_pk_lshrrev_b16 v12, 4, v23 op_sel:[1,0] op_sel_hi:[0,0]
	s_wait_loadcnt 0x0
	v_perm_b32 v13, v24, v22, 0x5040100
	s_delay_alu instid0(VALU_DEP_2) | instskip(NEXT) | instid1(VALU_DEP_2)
	v_and_b32_e32 v12, 0xf0f0f0f, v12
	v_pk_lshrrev_b16 v13, 2, v13 op_sel_hi:[0,1]
	s_delay_alu instid0(VALU_DEP_1)
	v_and_or_b32 v22, 0x30303030, v13, v12
                                        ; implicit-def: $vgpr12_vgpr13
.LBB85_6:                               ;   in Loop: Header=BB85_4 Depth=1
	s_and_not1_saveexec_b32 s0, s0
	s_cbranch_execz .LBB85_3
; %bb.7:                                ;   in Loop: Header=BB85_4 Depth=1
	s_clause 0x1
	global_load_u16 v22, v[12:13], off offset:4
	global_load_u16 v23, v[12:13], off offset:8
	s_wait_loadcnt 0x0
	v_perm_b32 v12, v23, v22, 0x5040100
	s_delay_alu instid0(VALU_DEP_1)
	v_and_b32_e32 v22, 0x3f3f3f3f, v12
	s_branch .LBB85_3
.LBB85_8:
	s_or_b32 exec_lo, exec_lo, s1
.LBB85_9:
	s_delay_alu instid0(SALU_CYCLE_1) | instskip(SKIP_1) | instid1(VALU_DEP_1)
	s_or_b32 exec_lo, exec_lo, s10
	v_mbcnt_lo_u32_b32 v0, -1, 0
	v_xor_b32_e32 v2, 8, v0
	v_xor_b32_e32 v1, 16, v0
	;; [unrolled: 1-line block ×3, first 2 shown]
	s_delay_alu instid0(VALU_DEP_2) | instskip(SKIP_4) | instid1(VALU_DEP_2)
	v_cmp_gt_i32_e32 vcc_lo, 32, v1
	v_cndmask_b32_e32 v1, v0, v1, vcc_lo
	v_cmp_gt_i32_e32 vcc_lo, 32, v2
	v_cndmask_b32_e32 v2, v0, v2, vcc_lo
	v_cmp_gt_i32_e32 vcc_lo, 32, v3
	v_dual_lshlrev_b32 v2, 2, v2 :: v_dual_lshlrev_b32 v1, 2, v1
	ds_bpermute_b32 v1, v1, v18
	s_wait_dscnt 0x0
	v_add_f32_e32 v1, v18, v1
	ds_bpermute_b32 v2, v2, v1
	s_wait_dscnt 0x0
	v_dual_cndmask_b32 v3, v0, v3, vcc_lo :: v_dual_add_f32 v1, v1, v2
	s_delay_alu instid0(VALU_DEP_1) | instskip(SKIP_3) | instid1(VALU_DEP_1)
	v_lshlrev_b32_e32 v3, 2, v3
	ds_bpermute_b32 v2, v3, v1
	s_wait_dscnt 0x0
	v_dual_add_f32 v1, v1, v2 :: v_dual_bitop2_b32 v3, 2, v0 bitop3:0x14
	v_cmp_gt_i32_e32 vcc_lo, 32, v3
	v_cndmask_b32_e32 v3, v0, v3, vcc_lo
	s_delay_alu instid0(VALU_DEP_1) | instskip(SKIP_2) | instid1(VALU_DEP_1)
	v_lshlrev_b32_e32 v3, 2, v3
	ds_bpermute_b32 v2, v3, v1
	v_xor_b32_e32 v3, 1, v0
	v_cmp_gt_i32_e32 vcc_lo, 32, v3
	v_cndmask_b32_e32 v3, v0, v3, vcc_lo
	v_cmp_eq_u32_e32 vcc_lo, 0, v15
	s_wait_dscnt 0x0
	s_delay_alu instid0(VALU_DEP_2)
	v_dual_add_f32 v0, v1, v2 :: v_dual_lshlrev_b32 v1, 2, v3
	ds_bpermute_b32 v1, v1, v0
	s_and_b32 exec_lo, exec_lo, vcc_lo
	s_cbranch_execz .LBB85_11
; %bb.10:
	v_mad_u32 v2, s9, s11, v14
	s_wait_dscnt 0x0
	v_add_f32_e32 v0, v0, v1
	s_delay_alu instid0(VALU_DEP_1)
	v_cvt_f16_f32_e32 v0, v0
	s_wait_kmcnt 0x0
	global_store_b16 v2, v0, s[2:3] scale_offset
.LBB85_11:
	s_endpgm
	.section	.rodata,"a",@progbits
	.p2align	6, 0x0
	.amdhsa_kernel _ZL13mul_mat_vec_qIN3c104HalfELi256ELi32E10block_q4_KLi2EXadL_ZL17vec_dot_q4_K_q8_1PKvPK10block_q8_1RKiEEEvS4_S4_PT_iii
		.amdhsa_group_segment_fixed_size 0
		.amdhsa_private_segment_fixed_size 0
		.amdhsa_kernarg_size 296
		.amdhsa_user_sgpr_count 2
		.amdhsa_user_sgpr_dispatch_ptr 0
		.amdhsa_user_sgpr_queue_ptr 0
		.amdhsa_user_sgpr_kernarg_segment_ptr 1
		.amdhsa_user_sgpr_dispatch_id 0
		.amdhsa_user_sgpr_kernarg_preload_length 0
		.amdhsa_user_sgpr_kernarg_preload_offset 0
		.amdhsa_user_sgpr_private_segment_size 0
		.amdhsa_wavefront_size32 1
		.amdhsa_uses_dynamic_stack 0
		.amdhsa_enable_private_segment 0
		.amdhsa_system_sgpr_workgroup_id_x 1
		.amdhsa_system_sgpr_workgroup_id_y 1
		.amdhsa_system_sgpr_workgroup_id_z 0
		.amdhsa_system_sgpr_workgroup_info 0
		.amdhsa_system_vgpr_workitem_id 1
		.amdhsa_next_free_vgpr 55
		.amdhsa_next_free_sgpr 13
		.amdhsa_named_barrier_count 0
		.amdhsa_reserve_vcc 1
		.amdhsa_float_round_mode_32 0
		.amdhsa_float_round_mode_16_64 0
		.amdhsa_float_denorm_mode_32 3
		.amdhsa_float_denorm_mode_16_64 3
		.amdhsa_fp16_overflow 0
		.amdhsa_memory_ordered 1
		.amdhsa_forward_progress 1
		.amdhsa_inst_pref_size 14
		.amdhsa_round_robin_scheduling 0
		.amdhsa_exception_fp_ieee_invalid_op 0
		.amdhsa_exception_fp_denorm_src 0
		.amdhsa_exception_fp_ieee_div_zero 0
		.amdhsa_exception_fp_ieee_overflow 0
		.amdhsa_exception_fp_ieee_underflow 0
		.amdhsa_exception_fp_ieee_inexact 0
		.amdhsa_exception_int_div_zero 0
	.end_amdhsa_kernel
	.section	.text._ZL13mul_mat_vec_qIN3c104HalfELi256ELi32E10block_q4_KLi2EXadL_ZL17vec_dot_q4_K_q8_1PKvPK10block_q8_1RKiEEEvS4_S4_PT_iii,"axG",@progbits,_ZL13mul_mat_vec_qIN3c104HalfELi256ELi32E10block_q4_KLi2EXadL_ZL17vec_dot_q4_K_q8_1PKvPK10block_q8_1RKiEEEvS4_S4_PT_iii,comdat
.Lfunc_end85:
	.size	_ZL13mul_mat_vec_qIN3c104HalfELi256ELi32E10block_q4_KLi2EXadL_ZL17vec_dot_q4_K_q8_1PKvPK10block_q8_1RKiEEEvS4_S4_PT_iii, .Lfunc_end85-_ZL13mul_mat_vec_qIN3c104HalfELi256ELi32E10block_q4_KLi2EXadL_ZL17vec_dot_q4_K_q8_1PKvPK10block_q8_1RKiEEEvS4_S4_PT_iii
                                        ; -- End function
	.set _ZL13mul_mat_vec_qIN3c104HalfELi256ELi32E10block_q4_KLi2EXadL_ZL17vec_dot_q4_K_q8_1PKvPK10block_q8_1RKiEEEvS4_S4_PT_iii.num_vgpr, 55
	.set _ZL13mul_mat_vec_qIN3c104HalfELi256ELi32E10block_q4_KLi2EXadL_ZL17vec_dot_q4_K_q8_1PKvPK10block_q8_1RKiEEEvS4_S4_PT_iii.num_agpr, 0
	.set _ZL13mul_mat_vec_qIN3c104HalfELi256ELi32E10block_q4_KLi2EXadL_ZL17vec_dot_q4_K_q8_1PKvPK10block_q8_1RKiEEEvS4_S4_PT_iii.numbered_sgpr, 13
	.set _ZL13mul_mat_vec_qIN3c104HalfELi256ELi32E10block_q4_KLi2EXadL_ZL17vec_dot_q4_K_q8_1PKvPK10block_q8_1RKiEEEvS4_S4_PT_iii.num_named_barrier, 0
	.set _ZL13mul_mat_vec_qIN3c104HalfELi256ELi32E10block_q4_KLi2EXadL_ZL17vec_dot_q4_K_q8_1PKvPK10block_q8_1RKiEEEvS4_S4_PT_iii.private_seg_size, 0
	.set _ZL13mul_mat_vec_qIN3c104HalfELi256ELi32E10block_q4_KLi2EXadL_ZL17vec_dot_q4_K_q8_1PKvPK10block_q8_1RKiEEEvS4_S4_PT_iii.uses_vcc, 1
	.set _ZL13mul_mat_vec_qIN3c104HalfELi256ELi32E10block_q4_KLi2EXadL_ZL17vec_dot_q4_K_q8_1PKvPK10block_q8_1RKiEEEvS4_S4_PT_iii.uses_flat_scratch, 0
	.set _ZL13mul_mat_vec_qIN3c104HalfELi256ELi32E10block_q4_KLi2EXadL_ZL17vec_dot_q4_K_q8_1PKvPK10block_q8_1RKiEEEvS4_S4_PT_iii.has_dyn_sized_stack, 0
	.set _ZL13mul_mat_vec_qIN3c104HalfELi256ELi32E10block_q4_KLi2EXadL_ZL17vec_dot_q4_K_q8_1PKvPK10block_q8_1RKiEEEvS4_S4_PT_iii.has_recursion, 0
	.set _ZL13mul_mat_vec_qIN3c104HalfELi256ELi32E10block_q4_KLi2EXadL_ZL17vec_dot_q4_K_q8_1PKvPK10block_q8_1RKiEEEvS4_S4_PT_iii.has_indirect_call, 0
	.section	.AMDGPU.csdata,"",@progbits
; Kernel info:
; codeLenInByte = 1712
; TotalNumSgprs: 15
; NumVgprs: 55
; ScratchSize: 0
; MemoryBound: 0
; FloatMode: 240
; IeeeMode: 1
; LDSByteSize: 0 bytes/workgroup (compile time only)
; SGPRBlocks: 0
; VGPRBlocks: 3
; NumSGPRsForWavesPerEU: 15
; NumVGPRsForWavesPerEU: 55
; NamedBarCnt: 0
; Occupancy: 16
; WaveLimiterHint : 0
; COMPUTE_PGM_RSRC2:SCRATCH_EN: 0
; COMPUTE_PGM_RSRC2:USER_SGPR: 2
; COMPUTE_PGM_RSRC2:TRAP_HANDLER: 0
; COMPUTE_PGM_RSRC2:TGID_X_EN: 1
; COMPUTE_PGM_RSRC2:TGID_Y_EN: 1
; COMPUTE_PGM_RSRC2:TGID_Z_EN: 0
; COMPUTE_PGM_RSRC2:TIDIG_COMP_CNT: 1
	.section	.text._ZL13mul_mat_vec_qIN3c104HalfELi256ELi32E10block_q5_KLi2EXadL_ZL17vec_dot_q5_K_q8_1PKvPK10block_q8_1RKiEEEvS4_S4_PT_iii,"axG",@progbits,_ZL13mul_mat_vec_qIN3c104HalfELi256ELi32E10block_q5_KLi2EXadL_ZL17vec_dot_q5_K_q8_1PKvPK10block_q8_1RKiEEEvS4_S4_PT_iii,comdat
	.globl	_ZL13mul_mat_vec_qIN3c104HalfELi256ELi32E10block_q5_KLi2EXadL_ZL17vec_dot_q5_K_q8_1PKvPK10block_q8_1RKiEEEvS4_S4_PT_iii ; -- Begin function _ZL13mul_mat_vec_qIN3c104HalfELi256ELi32E10block_q5_KLi2EXadL_ZL17vec_dot_q5_K_q8_1PKvPK10block_q8_1RKiEEEvS4_S4_PT_iii
	.p2align	8
	.type	_ZL13mul_mat_vec_qIN3c104HalfELi256ELi32E10block_q5_KLi2EXadL_ZL17vec_dot_q5_K_q8_1PKvPK10block_q8_1RKiEEEvS4_S4_PT_iii,@function
_ZL13mul_mat_vec_qIN3c104HalfELi256ELi32E10block_q5_KLi2EXadL_ZL17vec_dot_q5_K_q8_1PKvPK10block_q8_1RKiEEEvS4_S4_PT_iii: ; @_ZL13mul_mat_vec_qIN3c104HalfELi256ELi32E10block_q5_KLi2EXadL_ZL17vec_dot_q5_K_q8_1PKvPK10block_q8_1RKiEEEvS4_S4_PT_iii
; %bb.0:
	s_clause 0x1
	s_load_u16 s2, s[0:1], 0x36
	s_load_b96 s[8:10], s[0:1], 0x18
	s_bfe_u32 s4, ttmp6, 0x4000c
	s_bfe_u32 s5, ttmp6, 0x40010
	s_add_co_i32 s4, s4, 1
	s_add_co_i32 s5, s5, 1
	s_and_b32 s3, ttmp6, 15
	s_mul_i32 s4, ttmp9, s4
	s_mul_i32 s5, ttmp7, s5
	s_bfe_u32 s6, ttmp6, 0x40004
	s_add_co_i32 s3, s3, s4
	s_getreg_b32 s4, hwreg(HW_REG_IB_STS2, 6, 4)
	s_add_co_i32 s6, s6, s5
	v_bfe_u32 v1, v0, 10, 10
	s_cmp_eq_u32 s4, 0
	s_cselect_b32 s3, ttmp9, s3
	s_cselect_b32 s11, ttmp7, s6
	s_wait_kmcnt 0x0
	v_mad_u32 v14, s3, s2, v1
	s_cmp_lt_u32 s11, s10
	s_cselect_b32 s2, -1, 0
	s_delay_alu instid0(VALU_DEP_1) | instskip(SKIP_1) | instid1(SALU_CYCLE_1)
	v_cmp_gt_u32_e32 vcc_lo, s9, v14
	s_and_b32 s2, s2, vcc_lo
	s_and_saveexec_b32 s3, s2
	s_cbranch_execz .LBB86_11
; %bb.1:
	s_load_b64 s[2:3], s[0:1], 0x10
	s_ashr_i32 s4, s8, 31
	v_bfe_u32 v16, v0, 4, 6
	s_lshr_b32 s4, s4, 24
	v_and_b32_e32 v15, 0x3ff, v0
	v_mov_b32_e32 v18, 0
	s_add_co_i32 s4, s8, s4
	s_mov_b32 s10, exec_lo
	s_ashr_i32 s12, s4, 8
	s_delay_alu instid0(SALU_CYCLE_1)
	v_cmpx_gt_u32_e64 s12, v16
	s_cbranch_execz .LBB86_9
; %bb.2:
	s_load_b128 s[4:7], s[0:1], 0x0
	v_dual_lshlrev_b32 v0, 1, v15 :: v_dual_bitop2_b32 v8, 3, v15 bitop3:0x40
	s_addk_co_i32 s8, 0x1ff
	v_mul_lo_u32 v17, v14, s12
	s_wait_xcnt 0x0
	s_ashr_i32 s0, s8, 31
	v_bfe_u32 v6, v0, 3, 2
	v_dual_mov_b32 v1, 0 :: v_dual_bitop2_b32 v4, 30, v0 bitop3:0x40
	s_lshr_b32 s0, s0, 23
	s_delay_alu instid0(VALU_DEP_2)
	v_dual_lshlrev_b32 v7, 3, v16 :: v_dual_lshlrev_b32 v0, 5, v6
	v_lshlrev_b32_e32 v19, 1, v6
	s_add_co_i32 s8, s8, s0
	v_cmp_lt_u32_e32 vcc_lo, 15, v4
	s_ashr_i32 s0, s8, 9
	v_dual_lshlrev_b32 v2, 2, v8 :: v_dual_lshlrev_b32 v6, 1, v6
	s_mul_i32 s0, s11, s0
	v_mov_b32_e32 v3, v1
	s_wait_kmcnt 0x0
	v_mad_nc_u64_u32 v[4:5], v19, 36, s[6:7]
	v_lshl_add_u32 v20, s0, 4, v7
	v_dual_mov_b32 v7, v1 :: v_dual_lshlrev_b32 v8, 2, v8
	v_dual_mov_b32 v9, v1 :: v_dual_mov_b32 v18, v1
	s_mov_b32 s1, 0
	s_movk_i32 s6, 0xff
	s_branch .LBB86_4
.LBB86_3:                               ;   in Loop: Header=BB86_4 Depth=1
	s_or_b32 exec_lo, exec_lo, s0
	v_mad_nc_i64_i32 v[12:13], v20, 36, v[4:5]
	v_add_nc_u32_e32 v16, 2, v16
	v_add_nc_u32_e32 v20, 16, v20
	s_delay_alu instid0(VALU_DEP_2) | instskip(NEXT) | instid1(VALU_DEP_4)
	v_cmp_le_u32_e64 s0, s12, v16
	v_add_nc_u64_e32 v[26:27], v[12:13], v[8:9]
	s_clause 0x4
	global_load_b32 v28, v[26:27], off offset:4
	global_load_b32 v29, v[26:27], off offset:20
	;; [unrolled: 1-line block ×4, first 2 shown]
	global_load_b32 v32, v[12:13], off
	global_load_b32 v33, v[10:11], off
	global_load_b32 v34, v[12:13], off offset:36
	s_wait_loadcnt 0x7
	s_wait_xcnt 0x0
	v_dual_ashrrev_i32 v11, v19, v25 :: v_dual_ashrrev_i32 v12, v19, v24
	v_and_b32_e32 v13, 0xf0f0f0f, v23
	v_and_b32_e32 v24, 0xf0f0f0f, v22
	v_dual_lshrrev_b32 v23, 4, v23 :: v_dual_lshrrev_b32 v22, 4, v22
	s_delay_alu instid0(VALU_DEP_4) | instskip(SKIP_1) | instid1(VALU_DEP_3)
	v_dual_lshlrev_b32 v26, 4, v12 :: v_dual_lshlrev_b32 v27, 4, v11
	v_dual_lshlrev_b32 v12, 3, v12 :: v_dual_lshlrev_b32 v11, 3, v11
	v_and_b32_e32 v22, 0xf0f0f0f, v22
	s_delay_alu instid0(VALU_DEP_4) | instskip(NEXT) | instid1(VALU_DEP_4)
	v_and_b32_e32 v23, 0xf0f0f0f, v23
	v_and_b32_e32 v27, 0x10101010, v27
	;; [unrolled: 1-line block ×5, first 2 shown]
	v_pk_lshrrev_b16 v10, 8, v21 op_sel_hi:[0,1]
	v_or_b32_e32 v37, v27, v24
	v_bitop3_b32 v24, v27, 31, v24 bitop3:0xc8
	v_or_b32_e32 v27, v11, v22
	v_or_b32_e32 v36, v26, v13
	v_bitop3_b32 v13, v26, 31, v13 bitop3:0xc8
	v_or_b32_e32 v26, v12, v23
	v_bitop3_b32 v11, v11, 31, v22 bitop3:0xc8
	v_dual_lshrrev_b32 v42, 24, v27 :: v_dual_lshrrev_b32 v38, 24, v37
	v_lshrrev_b16 v39, 8, v37
	v_bfe_u32 v37, v37, 16, 5
	v_bitop3_b32 v12, v12, 31, v23 bitop3:0xc8
	v_dual_lshrrev_b32 v40, 24, v26 :: v_dual_lshrrev_b32 v22, 24, v36
	v_lshrrev_b16 v23, 8, v36
	v_bfe_u32 v36, v36, 16, 5
	v_lshrrev_b16 v41, 8, v26
	v_lshrrev_b16 v43, 8, v27
	v_bfe_u32 v27, v27, 16, 5
	v_and_b32_e32 v39, 0xffff, v39
	v_and_b32_e32 v23, 0xffff, v23
	v_bfe_u32 v26, v26, 16, 5
	v_and_b32_e32 v43, 0xffff, v43
	v_and_b32_e32 v41, 0xffff, v41
	;; [unrolled: 1-line block ×3, first 2 shown]
	v_bitop3_b32 v21, v21, s6, 0xff00ff bitop3:0x80
	v_lshrrev_b32_e32 v35, 16, v10
	v_and_b32_e32 v10, 0xff, v10
	s_or_b32 s1, s0, s1
	v_lshrrev_b32_e32 v25, 16, v25
	s_wait_loadcnt 0x6
	v_lshrrev_b16 v44, 8, v28
	s_wait_loadcnt 0x5
	v_bfe_i32 v48, v29, 16, 8
	v_lshrrev_b16 v45, 8, v29
	s_wait_loadcnt 0x4
	v_lshrrev_b16 v46, 8, v30
	v_dual_ashrrev_i32 v47, 24, v29 :: v_dual_ashrrev_i32 v49, 24, v28
	v_bfe_i32 v29, v29, 0, 8
	v_bfe_i32 v50, v28, 0, 8
	;; [unrolled: 1-line block ×3, first 2 shown]
	v_mul_i32_i24_e32 v37, v48, v37
	v_bfe_i32 v44, v44, 0, 8
	s_wait_loadcnt 0x3
	v_dual_ashrrev_i32 v51, 24, v31 :: v_dual_ashrrev_i32 v54, 24, v30
	v_bfe_i32 v52, v31, 16, 8
	v_bfe_i32 v55, v30, 0, 8
	v_bfe_i32 v45, v45, 0, 8
	v_mul_i32_i24_e32 v24, v29, v24
	v_mul_i32_i24_e32 v38, v47, v38
	v_bfe_i32 v46, v46, 0, 8
	v_mad_i32_i24 v36, v28, v36, v37
	v_add_nc_u32_e32 v37, v50, v44
	v_bfe_i32 v53, v31, 8, 8
	v_bfe_i32 v31, v31, 0, 8
	;; [unrolled: 1-line block ×3, first 2 shown]
	v_mul_i32_i24_e32 v27, v52, v27
	v_mul_i32_i24_e32 v42, v51, v42
	v_mul_i32_i24_e32 v39, v45, v39
	v_mul_i32_i24_e32 v23, v44, v23
	v_mad_i32_i24 v13, v50, v13, v24
	v_mad_i32_i24 v22, v49, v22, v38
	v_add_nc_u32_e32 v24, v55, v46
	v_add3_u32 v28, v37, v28, v49
	v_mul_i32_i24_e32 v11, v31, v11
	v_mul_i32_i24_e32 v43, v53, v43
	;; [unrolled: 1-line block ×3, first 2 shown]
	v_mad_i32_i24 v26, v30, v26, v27
	v_mad_i32_i24 v27, v54, v40, v42
	v_add3_u32 v24, v24, v30, v54
	v_add3_u32 v22, v23, v39, v22
	;; [unrolled: 1-line block ×3, first 2 shown]
	v_mad_i32_i24 v11, v55, v12, v11
	v_add3_u32 v12, v38, v43, v27
	v_add3_u32 v24, v24, v51, v31
	;; [unrolled: 1-line block ×4, first 2 shown]
	s_delay_alu instid0(VALU_DEP_4) | instskip(NEXT) | instid1(VALU_DEP_4)
	v_add3_u32 v11, v11, v26, v12
	v_add3_u32 v12, v24, v53, v52
	s_delay_alu instid0(VALU_DEP_4) | instskip(NEXT) | instid1(VALU_DEP_4)
	v_mul_lo_u32 v13, v13, v21
	v_mul_lo_u32 v21, v22, v25
	s_wait_loadcnt 0x0
	v_cvt_f32_f16_e32 v22, v34
	v_mul_lo_u32 v11, v11, v10
	v_mul_lo_u32 v23, v12, v35
	v_cvt_f32_f16_e32 v10, v32
	v_cvt_f32_i32_e32 v12, v13
	v_cvt_f32_i32_e32 v13, v21
	v_lshrrev_b32_e32 v21, 16, v33
	v_cvt_f32_i32_e32 v24, v11
	v_cvt_f32_i32_e32 v25, v23
	s_delay_alu instid0(VALU_DEP_4) | instskip(SKIP_2) | instid1(VALU_DEP_3)
	v_pk_fma_f32 v[10:11], v[10:11], v[12:13], 0 op_sel_hi:[0,1,0]
	v_cvt_f32_f16_e32 v12, v33
	v_cvt_f32_f16_e32 v13, v21
	v_pk_fma_f32 v[10:11], v[22:23], v[24:25], v[10:11] op_sel_hi:[0,1,1]
	s_delay_alu instid0(VALU_DEP_1) | instskip(NEXT) | instid1(VALU_DEP_1)
	v_pk_mul_f32 v[10:11], v[10:11], v[12:13]
	v_sub_f32_e32 v10, v10, v11
	s_delay_alu instid0(VALU_DEP_1)
	v_add_f32_e32 v18, v18, v10
	s_and_not1_b32 exec_lo, exec_lo, s1
	s_cbranch_execz .LBB86_8
.LBB86_4:                               ; =>This Inner Loop Header: Depth=1
	v_add_nc_u32_e32 v10, v17, v16
                                        ; implicit-def: $vgpr21
	s_delay_alu instid0(VALU_DEP_1) | instskip(NEXT) | instid1(VALU_DEP_1)
	v_mad_nc_i64_i32 v[10:11], 0xb0, v10, s[4:5]
	v_add_nc_u64_e32 v[12:13], v[10:11], v[0:1]
	v_add_nc_u64_e32 v[26:27], v[10:11], v[2:3]
	s_delay_alu instid0(VALU_DEP_2)
	v_add_nc_u64_e32 v[12:13], v[12:13], v[2:3]
	s_clause 0x3
	global_load_b32 v23, v[12:13], off offset:48
	global_load_b32 v22, v[12:13], off offset:64
	;; [unrolled: 1-line block ×4, first 2 shown]
	s_wait_xcnt 0x2
	v_add_nc_u64_e32 v[12:13], v[10:11], v[6:7]
	s_wait_xcnt 0x0
	s_and_saveexec_b32 s0, vcc_lo
	s_delay_alu instid0(SALU_CYCLE_1)
	s_xor_b32 s0, exec_lo, s0
	s_cbranch_execz .LBB86_6
; %bb.5:                                ;   in Loop: Header=BB86_4 Depth=1
	s_clause 0x2
	global_load_u16 v21, v[12:13], off
	global_load_u16 v26, v[12:13], off offset:8
	global_load_u16 v27, v[12:13], off offset:4
	s_wait_loadcnt 0x1
	s_wait_xcnt 0x0
	v_pk_lshrrev_b16 v12, 4, v26 op_sel:[1,0] op_sel_hi:[0,0]
	s_wait_loadcnt 0x0
	v_perm_b32 v13, v27, v21, 0x5040100
	s_delay_alu instid0(VALU_DEP_2) | instskip(NEXT) | instid1(VALU_DEP_2)
	v_and_b32_e32 v12, 0xf0f0f0f, v12
	v_pk_lshrrev_b16 v13, 2, v13 op_sel_hi:[0,1]
	s_delay_alu instid0(VALU_DEP_1)
	v_and_or_b32 v21, 0x30303030, v13, v12
                                        ; implicit-def: $vgpr12_vgpr13
.LBB86_6:                               ;   in Loop: Header=BB86_4 Depth=1
	s_and_not1_saveexec_b32 s0, s0
	s_cbranch_execz .LBB86_3
; %bb.7:                                ;   in Loop: Header=BB86_4 Depth=1
	s_clause 0x1
	global_load_u16 v21, v[12:13], off offset:4
	global_load_u16 v26, v[12:13], off offset:8
	s_wait_loadcnt 0x0
	v_perm_b32 v12, v26, v21, 0x5040100
	s_delay_alu instid0(VALU_DEP_1)
	v_and_b32_e32 v21, 0x3f3f3f3f, v12
	s_branch .LBB86_3
.LBB86_8:
	s_or_b32 exec_lo, exec_lo, s1
.LBB86_9:
	s_delay_alu instid0(SALU_CYCLE_1) | instskip(SKIP_1) | instid1(VALU_DEP_1)
	s_or_b32 exec_lo, exec_lo, s10
	v_mbcnt_lo_u32_b32 v0, -1, 0
	v_xor_b32_e32 v2, 8, v0
	v_xor_b32_e32 v1, 16, v0
	v_xor_b32_e32 v3, 4, v0
	s_delay_alu instid0(VALU_DEP_2) | instskip(SKIP_4) | instid1(VALU_DEP_2)
	v_cmp_gt_i32_e32 vcc_lo, 32, v1
	v_cndmask_b32_e32 v1, v0, v1, vcc_lo
	v_cmp_gt_i32_e32 vcc_lo, 32, v2
	v_cndmask_b32_e32 v2, v0, v2, vcc_lo
	v_cmp_gt_i32_e32 vcc_lo, 32, v3
	v_dual_lshlrev_b32 v2, 2, v2 :: v_dual_lshlrev_b32 v1, 2, v1
	ds_bpermute_b32 v1, v1, v18
	s_wait_dscnt 0x0
	v_add_f32_e32 v1, v18, v1
	ds_bpermute_b32 v2, v2, v1
	s_wait_dscnt 0x0
	v_dual_cndmask_b32 v3, v0, v3, vcc_lo :: v_dual_add_f32 v1, v1, v2
	s_delay_alu instid0(VALU_DEP_1) | instskip(SKIP_3) | instid1(VALU_DEP_1)
	v_lshlrev_b32_e32 v3, 2, v3
	ds_bpermute_b32 v2, v3, v1
	s_wait_dscnt 0x0
	v_dual_add_f32 v1, v1, v2 :: v_dual_bitop2_b32 v3, 2, v0 bitop3:0x14
	v_cmp_gt_i32_e32 vcc_lo, 32, v3
	v_cndmask_b32_e32 v3, v0, v3, vcc_lo
	s_delay_alu instid0(VALU_DEP_1) | instskip(SKIP_2) | instid1(VALU_DEP_1)
	v_lshlrev_b32_e32 v3, 2, v3
	ds_bpermute_b32 v2, v3, v1
	v_xor_b32_e32 v3, 1, v0
	v_cmp_gt_i32_e32 vcc_lo, 32, v3
	v_cndmask_b32_e32 v3, v0, v3, vcc_lo
	v_cmp_eq_u32_e32 vcc_lo, 0, v15
	s_wait_dscnt 0x0
	s_delay_alu instid0(VALU_DEP_2)
	v_dual_add_f32 v0, v1, v2 :: v_dual_lshlrev_b32 v1, 2, v3
	ds_bpermute_b32 v1, v1, v0
	s_and_b32 exec_lo, exec_lo, vcc_lo
	s_cbranch_execz .LBB86_11
; %bb.10:
	v_mad_u32 v2, s9, s11, v14
	s_wait_dscnt 0x0
	v_add_f32_e32 v0, v0, v1
	s_delay_alu instid0(VALU_DEP_1)
	v_cvt_f16_f32_e32 v0, v0
	s_wait_kmcnt 0x0
	global_store_b16 v2, v0, s[2:3] scale_offset
.LBB86_11:
	s_endpgm
	.section	.rodata,"a",@progbits
	.p2align	6, 0x0
	.amdhsa_kernel _ZL13mul_mat_vec_qIN3c104HalfELi256ELi32E10block_q5_KLi2EXadL_ZL17vec_dot_q5_K_q8_1PKvPK10block_q8_1RKiEEEvS4_S4_PT_iii
		.amdhsa_group_segment_fixed_size 0
		.amdhsa_private_segment_fixed_size 0
		.amdhsa_kernarg_size 296
		.amdhsa_user_sgpr_count 2
		.amdhsa_user_sgpr_dispatch_ptr 0
		.amdhsa_user_sgpr_queue_ptr 0
		.amdhsa_user_sgpr_kernarg_segment_ptr 1
		.amdhsa_user_sgpr_dispatch_id 0
		.amdhsa_user_sgpr_kernarg_preload_length 0
		.amdhsa_user_sgpr_kernarg_preload_offset 0
		.amdhsa_user_sgpr_private_segment_size 0
		.amdhsa_wavefront_size32 1
		.amdhsa_uses_dynamic_stack 0
		.amdhsa_enable_private_segment 0
		.amdhsa_system_sgpr_workgroup_id_x 1
		.amdhsa_system_sgpr_workgroup_id_y 1
		.amdhsa_system_sgpr_workgroup_id_z 0
		.amdhsa_system_sgpr_workgroup_info 0
		.amdhsa_system_vgpr_workitem_id 1
		.amdhsa_next_free_vgpr 56
		.amdhsa_next_free_sgpr 13
		.amdhsa_named_barrier_count 0
		.amdhsa_reserve_vcc 1
		.amdhsa_float_round_mode_32 0
		.amdhsa_float_round_mode_16_64 0
		.amdhsa_float_denorm_mode_32 3
		.amdhsa_float_denorm_mode_16_64 3
		.amdhsa_fp16_overflow 0
		.amdhsa_memory_ordered 1
		.amdhsa_forward_progress 1
		.amdhsa_inst_pref_size 15
		.amdhsa_round_robin_scheduling 0
		.amdhsa_exception_fp_ieee_invalid_op 0
		.amdhsa_exception_fp_denorm_src 0
		.amdhsa_exception_fp_ieee_div_zero 0
		.amdhsa_exception_fp_ieee_overflow 0
		.amdhsa_exception_fp_ieee_underflow 0
		.amdhsa_exception_fp_ieee_inexact 0
		.amdhsa_exception_int_div_zero 0
	.end_amdhsa_kernel
	.section	.text._ZL13mul_mat_vec_qIN3c104HalfELi256ELi32E10block_q5_KLi2EXadL_ZL17vec_dot_q5_K_q8_1PKvPK10block_q8_1RKiEEEvS4_S4_PT_iii,"axG",@progbits,_ZL13mul_mat_vec_qIN3c104HalfELi256ELi32E10block_q5_KLi2EXadL_ZL17vec_dot_q5_K_q8_1PKvPK10block_q8_1RKiEEEvS4_S4_PT_iii,comdat
.Lfunc_end86:
	.size	_ZL13mul_mat_vec_qIN3c104HalfELi256ELi32E10block_q5_KLi2EXadL_ZL17vec_dot_q5_K_q8_1PKvPK10block_q8_1RKiEEEvS4_S4_PT_iii, .Lfunc_end86-_ZL13mul_mat_vec_qIN3c104HalfELi256ELi32E10block_q5_KLi2EXadL_ZL17vec_dot_q5_K_q8_1PKvPK10block_q8_1RKiEEEvS4_S4_PT_iii
                                        ; -- End function
	.set _ZL13mul_mat_vec_qIN3c104HalfELi256ELi32E10block_q5_KLi2EXadL_ZL17vec_dot_q5_K_q8_1PKvPK10block_q8_1RKiEEEvS4_S4_PT_iii.num_vgpr, 56
	.set _ZL13mul_mat_vec_qIN3c104HalfELi256ELi32E10block_q5_KLi2EXadL_ZL17vec_dot_q5_K_q8_1PKvPK10block_q8_1RKiEEEvS4_S4_PT_iii.num_agpr, 0
	.set _ZL13mul_mat_vec_qIN3c104HalfELi256ELi32E10block_q5_KLi2EXadL_ZL17vec_dot_q5_K_q8_1PKvPK10block_q8_1RKiEEEvS4_S4_PT_iii.numbered_sgpr, 13
	.set _ZL13mul_mat_vec_qIN3c104HalfELi256ELi32E10block_q5_KLi2EXadL_ZL17vec_dot_q5_K_q8_1PKvPK10block_q8_1RKiEEEvS4_S4_PT_iii.num_named_barrier, 0
	.set _ZL13mul_mat_vec_qIN3c104HalfELi256ELi32E10block_q5_KLi2EXadL_ZL17vec_dot_q5_K_q8_1PKvPK10block_q8_1RKiEEEvS4_S4_PT_iii.private_seg_size, 0
	.set _ZL13mul_mat_vec_qIN3c104HalfELi256ELi32E10block_q5_KLi2EXadL_ZL17vec_dot_q5_K_q8_1PKvPK10block_q8_1RKiEEEvS4_S4_PT_iii.uses_vcc, 1
	.set _ZL13mul_mat_vec_qIN3c104HalfELi256ELi32E10block_q5_KLi2EXadL_ZL17vec_dot_q5_K_q8_1PKvPK10block_q8_1RKiEEEvS4_S4_PT_iii.uses_flat_scratch, 0
	.set _ZL13mul_mat_vec_qIN3c104HalfELi256ELi32E10block_q5_KLi2EXadL_ZL17vec_dot_q5_K_q8_1PKvPK10block_q8_1RKiEEEvS4_S4_PT_iii.has_dyn_sized_stack, 0
	.set _ZL13mul_mat_vec_qIN3c104HalfELi256ELi32E10block_q5_KLi2EXadL_ZL17vec_dot_q5_K_q8_1PKvPK10block_q8_1RKiEEEvS4_S4_PT_iii.has_recursion, 0
	.set _ZL13mul_mat_vec_qIN3c104HalfELi256ELi32E10block_q5_KLi2EXadL_ZL17vec_dot_q5_K_q8_1PKvPK10block_q8_1RKiEEEvS4_S4_PT_iii.has_indirect_call, 0
	.section	.AMDGPU.csdata,"",@progbits
; Kernel info:
; codeLenInByte = 1848
; TotalNumSgprs: 15
; NumVgprs: 56
; ScratchSize: 0
; MemoryBound: 0
; FloatMode: 240
; IeeeMode: 1
; LDSByteSize: 0 bytes/workgroup (compile time only)
; SGPRBlocks: 0
; VGPRBlocks: 3
; NumSGPRsForWavesPerEU: 15
; NumVGPRsForWavesPerEU: 56
; NamedBarCnt: 0
; Occupancy: 16
; WaveLimiterHint : 0
; COMPUTE_PGM_RSRC2:SCRATCH_EN: 0
; COMPUTE_PGM_RSRC2:USER_SGPR: 2
; COMPUTE_PGM_RSRC2:TRAP_HANDLER: 0
; COMPUTE_PGM_RSRC2:TGID_X_EN: 1
; COMPUTE_PGM_RSRC2:TGID_Y_EN: 1
; COMPUTE_PGM_RSRC2:TGID_Z_EN: 0
; COMPUTE_PGM_RSRC2:TIDIG_COMP_CNT: 1
	.section	.text._ZL13mul_mat_vec_qIN3c104HalfELi256ELi32E10block_q6_KLi1EXadL_ZL17vec_dot_q6_K_q8_1PKvPK10block_q8_1RKiEEEvS4_S4_PT_iii,"axG",@progbits,_ZL13mul_mat_vec_qIN3c104HalfELi256ELi32E10block_q6_KLi1EXadL_ZL17vec_dot_q6_K_q8_1PKvPK10block_q8_1RKiEEEvS4_S4_PT_iii,comdat
	.globl	_ZL13mul_mat_vec_qIN3c104HalfELi256ELi32E10block_q6_KLi1EXadL_ZL17vec_dot_q6_K_q8_1PKvPK10block_q8_1RKiEEEvS4_S4_PT_iii ; -- Begin function _ZL13mul_mat_vec_qIN3c104HalfELi256ELi32E10block_q6_KLi1EXadL_ZL17vec_dot_q6_K_q8_1PKvPK10block_q8_1RKiEEEvS4_S4_PT_iii
	.p2align	8
	.type	_ZL13mul_mat_vec_qIN3c104HalfELi256ELi32E10block_q6_KLi1EXadL_ZL17vec_dot_q6_K_q8_1PKvPK10block_q8_1RKiEEEvS4_S4_PT_iii,@function
_ZL13mul_mat_vec_qIN3c104HalfELi256ELi32E10block_q6_KLi1EXadL_ZL17vec_dot_q6_K_q8_1PKvPK10block_q8_1RKiEEEvS4_S4_PT_iii: ; @_ZL13mul_mat_vec_qIN3c104HalfELi256ELi32E10block_q6_KLi1EXadL_ZL17vec_dot_q6_K_q8_1PKvPK10block_q8_1RKiEEEvS4_S4_PT_iii
; %bb.0:
	s_clause 0x1
	s_load_u16 s2, s[0:1], 0x36
	s_load_b96 s[8:10], s[0:1], 0x18
	s_bfe_u32 s4, ttmp6, 0x4000c
	s_bfe_u32 s5, ttmp6, 0x40010
	s_add_co_i32 s4, s4, 1
	s_add_co_i32 s5, s5, 1
	s_and_b32 s3, ttmp6, 15
	s_mul_i32 s4, ttmp9, s4
	s_mul_i32 s5, ttmp7, s5
	s_bfe_u32 s6, ttmp6, 0x40004
	s_add_co_i32 s3, s3, s4
	s_getreg_b32 s4, hwreg(HW_REG_IB_STS2, 6, 4)
	s_add_co_i32 s6, s6, s5
	v_bfe_u32 v1, v0, 10, 10
	s_cmp_eq_u32 s4, 0
	s_cselect_b32 s3, ttmp9, s3
	s_cselect_b32 s11, ttmp7, s6
	s_wait_kmcnt 0x0
	v_mad_u32 v10, s3, s2, v1
	s_cmp_lt_u32 s11, s10
	s_cselect_b32 s2, -1, 0
	s_delay_alu instid0(VALU_DEP_1) | instskip(SKIP_1) | instid1(SALU_CYCLE_1)
	v_cmp_gt_u32_e32 vcc_lo, s9, v10
	s_and_b32 s2, s2, vcc_lo
	s_and_saveexec_b32 s3, s2
	s_cbranch_execz .LBB87_7
; %bb.1:
	s_load_b64 s[2:3], s[0:1], 0x10
	s_ashr_i32 s4, s8, 31
	v_bfe_u32 v12, v0, 5, 5
	s_lshr_b32 s4, s4, 24
	v_and_b32_e32 v11, 0x3ff, v0
	v_mov_b32_e32 v14, 0
	s_add_co_i32 s4, s8, s4
	s_mov_b32 s10, exec_lo
	s_ashr_i32 s12, s4, 8
	s_delay_alu instid0(SALU_CYCLE_1)
	v_cmpx_gt_u32_e64 s12, v12
	s_cbranch_execz .LBB87_5
; %bb.2:
	s_load_b128 s[4:7], s[0:1], 0x0
	v_dual_mov_b32 v1, 0 :: v_dual_bitop2_b32 v0, 31, v11 bitop3:0x40
	s_wait_xcnt 0x0
	s_add_co_i32 s1, s8, 0x1ff
	v_mul_lo_u32 v13, v10, s12
	s_ashr_i32 s8, s1, 31
	v_dual_mov_b32 v3, v1 :: v_dual_add_nc_u32 v2, 0xf0, v0
	v_cmp_gt_u32_e64 s0, 16, v0
	v_cmp_lt_u32_e32 vcc_lo, 15, v0
	v_dual_lshlrev_b32 v16, 3, v12 :: v_dual_bitop2_b32 v4, 7, v11 bitop3:0x40
	s_delay_alu instid0(VALU_DEP_3) | instskip(SKIP_3) | instid1(VALU_DEP_3)
	v_cndmask_b32_e64 v5, v2, v0, s0
	v_cndmask_b32_e64 v2, 0, 4, vcc_lo
	v_cndmask_b32_e64 v8, 0, 8, vcc_lo
	s_lshr_b32 s0, s8, 23
	v_and_b32_e32 v9, 0xf8, v5
	s_add_co_i32 s1, s1, s0
	s_wait_kmcnt 0x0
	v_mad_nc_u64_u32 v[6:7], v2, 36, s[6:7]
	v_dual_lshlrev_b32 v4, 2, v4 :: v_dual_bitop2_b32 v2, v8, v4 bitop3:0x54
	v_cmp_ne_u32_e32 vcc_lo, 0, v9
	v_bfe_u32 v14, v5, 2, 6
	s_ashr_i32 s0, s1, 9
	s_delay_alu instid0(VALU_DEP_3)
	v_dual_lshlrev_b32 v0, 2, v0 :: v_dual_lshlrev_b32 v2, 2, v2
	v_cndmask_b32_e64 v9, 0, 1, vcc_lo
	s_mul_i32 s0, s11, s0
	v_mov_b32_e32 v5, v1
	v_cndmask_b32_e64 v15, 0, 2, vcc_lo
	v_add_nc_u32_e32 v8, v14, v8
	v_mad_nc_u64_u32 v[6:7], v9, 36, v[6:7]
	v_mov_b32_e32 v9, v1
	v_lshl_add_u32 v16, s0, 4, v16
	v_mov_b32_e32 v14, v1
	s_mov_b32 s0, 0
.LBB87_3:                               ; =>This Inner Loop Header: Depth=1
	v_add_nc_u32_e32 v17, v13, v12
	s_delay_alu instid0(VALU_DEP_3) | instskip(SKIP_2) | instid1(VALU_DEP_4)
	v_mad_nc_i64_i32 v[18:19], v16, 36, v[6:7]
	v_add_nc_u32_e32 v12, 1, v12
	v_add_nc_u32_e32 v16, 8, v16
	v_mad_nc_i64_i32 v[20:21], 0xd2, v17, s[4:5]
	s_delay_alu instid0(VALU_DEP_3) | instskip(SKIP_2) | instid1(VALU_DEP_3)
	v_cmp_le_u32_e32 vcc_lo, s12, v12
	s_or_b32 s0, vcc_lo, s0
	v_add_nc_u64_e32 v[22:23], v[18:19], v[4:5]
	v_add_nc_u64_e32 v[24:25], v[20:21], v[0:1]
	;; [unrolled: 1-line block ×3, first 2 shown]
	global_load_b32 v17, v[22:23], off offset:4
	s_clause 0x1
	global_load_b32 v28, v[24:25], off
	global_load_b32 v29, v[26:27], off offset:128
	global_load_b32 v30, v[22:23], off offset:76
	s_wait_xcnt 0x0
	v_add_nc_u64_e32 v[22:23], v[20:21], v[8:9]
	s_clause 0x1
	global_load_i8 v24, v[22:23], off offset:192
	global_load_i8 v25, v[22:23], off offset:196
	s_clause 0x1
	global_load_b32 v26, v[18:19], off
	global_load_b32 v27, v[18:19], off offset:72
	global_load_u16 v31, v[20:21], off offset:208
	s_wait_loadcnt 0x8
	s_wait_xcnt 0x1
	v_ashrrev_i32_e32 v19, 24, v17
	s_wait_loadcnt 0x7
	v_and_b32_e32 v32, 0xf0f0f0f, v28
	s_wait_loadcnt 0x6
	v_dual_ashrrev_i32 v29, v15, v29 :: v_dual_lshrrev_b32 v28, 4, v28
	v_lshrrev_b16 v18, 8, v17
	s_wait_xcnt 0x0
	v_bfe_i32 v20, v17, 16, 8
	v_bfe_i32 v17, v17, 0, 8
	v_lshlrev_b32_e32 v33, 4, v29
	v_and_b32_e32 v28, 0xf0f0f0f, v28
	s_wait_loadcnt 0x5
	v_bfe_i32 v22, v30, 0, 8
	v_bfe_i32 v18, v18, 0, 8
	;; [unrolled: 1-line block ×3, first 2 shown]
	v_and_or_b32 v32, 0x30303030, v33, v32
	v_ashrrev_i32_e32 v23, 24, v30
	v_bfe_i32 v30, v30, 16, 8
	s_delay_alu instid0(VALU_DEP_3) | instskip(SKIP_3) | instid1(VALU_DEP_4)
	v_lshrrev_b32_e32 v33, 16, v32
	v_and_or_b32 v28, 0x30303030, v29, v28
	v_lshlrev_b16 v29, 8, v32
	v_and_b32_e32 v32, 0x3f00, v32
	v_lshlrev_b16 v36, 8, v33
	s_delay_alu instid0(VALU_DEP_4)
	v_lshrrev_b32_e32 v34, 16, v28
	v_lshlrev_b16 v35, 8, v28
	v_and_b32_e32 v33, 0x3f00, v33
	v_add_nc_u16 v29, 0xe000, v29
	v_add_nc_u16 v32, 0xe000, v32
	v_lshlrev_b16 v37, 8, v34
	v_add_nc_u16 v35, 0xe000, v35
	v_add_nc_u16 v33, 0xe000, v33
	v_ashrrev_i16 v29, 8, v29
	v_add_nc_u16 v36, 0xe000, v36
	v_add_nc_u16 v37, 0xe000, v37
	v_lshrrev_b16 v35, 8, v35
	v_ashrrev_i16 v33, 8, v33
	v_ashrrev_i16 v32, 8, v32
	;; [unrolled: 1-line block ×3, first 2 shown]
	v_lshrrev_b16 v37, 8, v37
	v_bitop3_b16 v28, v28, v35, 0x3f00 bitop3:0xec
	v_bfe_i32 v29, v29, 0, 16
	v_bfe_i32 v33, v33, 0, 16
	;; [unrolled: 1-line block ×3, first 2 shown]
	v_bitop3_b16 v34, v34, v37, 0x3f00 bitop3:0xec
	v_add_nc_u16 v28, 0xe000, v28
	v_bfe_i32 v35, v36, 0, 16
	v_mul_i32_i24_e32 v17, v29, v17
	v_mul_i32_i24_e32 v19, v33, v19
	v_add_nc_u16 v29, 0xe000, v34
	v_bfe_i32 v33, v28, 0, 8
	v_mul_i32_i24_e32 v20, v35, v20
	v_bfe_i32 v28, v28, 8, 8
	v_mad_i32_i24 v18, v32, v18, v19
	v_bfe_i32 v19, v29, 0, 8
	v_bfe_i32 v29, v29, 8, 8
	v_mul_i32_i24_e32 v22, v22, v33
	s_delay_alu instid0(VALU_DEP_4) | instskip(NEXT) | instid1(VALU_DEP_4)
	v_add3_u32 v17, v17, v20, v18
	v_mul_i32_i24_e32 v18, v30, v19
	s_delay_alu instid0(VALU_DEP_4) | instskip(NEXT) | instid1(VALU_DEP_4)
	v_mul_i32_i24_e32 v19, v23, v29
	v_mad_i32_i24 v20, v21, v28, v22
	s_wait_loadcnt 0x4
	v_mul_lo_u32 v17, v17, v24
	s_delay_alu instid0(VALU_DEP_2) | instskip(SKIP_1) | instid1(VALU_DEP_1)
	v_add3_u32 v18, v20, v18, v19
	s_wait_loadcnt 0x3
	v_mul_lo_u32 v18, v18, v25
	s_delay_alu instid0(VALU_DEP_3) | instskip(SKIP_1) | instid1(VALU_DEP_1)
	v_cvt_f32_i32_e32 v17, v17
	s_wait_loadcnt 0x2
	v_fma_mix_f32 v17, v26, v17, 0 op_sel_hi:[1,0,0]
	s_delay_alu instid0(VALU_DEP_3) | instskip(SKIP_1) | instid1(VALU_DEP_1)
	v_cvt_f32_i32_e32 v18, v18
	s_wait_loadcnt 0x1
	v_fma_mix_f32 v17, v27, v18, v17 op_sel_hi:[1,0,0]
	s_wait_loadcnt 0x0
	s_delay_alu instid0(VALU_DEP_1)
	v_fma_mix_f32 v14, v17, v31, v14 op_sel_hi:[0,1,0]
	s_and_not1_b32 exec_lo, exec_lo, s0
	s_cbranch_execnz .LBB87_3
; %bb.4:
	s_or_b32 exec_lo, exec_lo, s0
.LBB87_5:
	s_delay_alu instid0(SALU_CYCLE_1) | instskip(SKIP_1) | instid1(VALU_DEP_1)
	s_or_b32 exec_lo, exec_lo, s10
	v_mbcnt_lo_u32_b32 v0, -1, 0
	v_xor_b32_e32 v2, 8, v0
	v_xor_b32_e32 v1, 16, v0
	;; [unrolled: 1-line block ×3, first 2 shown]
	s_delay_alu instid0(VALU_DEP_2) | instskip(SKIP_4) | instid1(VALU_DEP_2)
	v_cmp_gt_i32_e32 vcc_lo, 32, v1
	v_cndmask_b32_e32 v1, v0, v1, vcc_lo
	v_cmp_gt_i32_e32 vcc_lo, 32, v2
	v_cndmask_b32_e32 v2, v0, v2, vcc_lo
	v_cmp_gt_i32_e32 vcc_lo, 32, v3
	v_dual_lshlrev_b32 v2, 2, v2 :: v_dual_lshlrev_b32 v1, 2, v1
	ds_bpermute_b32 v1, v1, v14
	s_wait_dscnt 0x0
	v_add_f32_e32 v1, v14, v1
	ds_bpermute_b32 v2, v2, v1
	s_wait_dscnt 0x0
	v_dual_cndmask_b32 v3, v0, v3, vcc_lo :: v_dual_add_f32 v1, v1, v2
	s_delay_alu instid0(VALU_DEP_1) | instskip(SKIP_3) | instid1(VALU_DEP_1)
	v_lshlrev_b32_e32 v3, 2, v3
	ds_bpermute_b32 v2, v3, v1
	s_wait_dscnt 0x0
	v_dual_add_f32 v1, v1, v2 :: v_dual_bitop2_b32 v3, 2, v0 bitop3:0x14
	v_cmp_gt_i32_e32 vcc_lo, 32, v3
	v_cndmask_b32_e32 v3, v0, v3, vcc_lo
	s_delay_alu instid0(VALU_DEP_1) | instskip(SKIP_2) | instid1(VALU_DEP_1)
	v_lshlrev_b32_e32 v3, 2, v3
	ds_bpermute_b32 v2, v3, v1
	v_xor_b32_e32 v3, 1, v0
	v_cmp_gt_i32_e32 vcc_lo, 32, v3
	v_cndmask_b32_e32 v3, v0, v3, vcc_lo
	v_cmp_eq_u32_e32 vcc_lo, 0, v11
	s_wait_dscnt 0x0
	s_delay_alu instid0(VALU_DEP_2)
	v_dual_add_f32 v0, v1, v2 :: v_dual_lshlrev_b32 v1, 2, v3
	ds_bpermute_b32 v1, v1, v0
	s_and_b32 exec_lo, exec_lo, vcc_lo
	s_cbranch_execz .LBB87_7
; %bb.6:
	v_mad_u32 v2, s9, s11, v10
	s_wait_dscnt 0x0
	v_add_f32_e32 v0, v0, v1
	s_delay_alu instid0(VALU_DEP_1)
	v_cvt_f16_f32_e32 v0, v0
	s_wait_kmcnt 0x0
	global_store_b16 v2, v0, s[2:3] scale_offset
.LBB87_7:
	s_endpgm
	.section	.rodata,"a",@progbits
	.p2align	6, 0x0
	.amdhsa_kernel _ZL13mul_mat_vec_qIN3c104HalfELi256ELi32E10block_q6_KLi1EXadL_ZL17vec_dot_q6_K_q8_1PKvPK10block_q8_1RKiEEEvS4_S4_PT_iii
		.amdhsa_group_segment_fixed_size 0
		.amdhsa_private_segment_fixed_size 0
		.amdhsa_kernarg_size 296
		.amdhsa_user_sgpr_count 2
		.amdhsa_user_sgpr_dispatch_ptr 0
		.amdhsa_user_sgpr_queue_ptr 0
		.amdhsa_user_sgpr_kernarg_segment_ptr 1
		.amdhsa_user_sgpr_dispatch_id 0
		.amdhsa_user_sgpr_kernarg_preload_length 0
		.amdhsa_user_sgpr_kernarg_preload_offset 0
		.amdhsa_user_sgpr_private_segment_size 0
		.amdhsa_wavefront_size32 1
		.amdhsa_uses_dynamic_stack 0
		.amdhsa_enable_private_segment 0
		.amdhsa_system_sgpr_workgroup_id_x 1
		.amdhsa_system_sgpr_workgroup_id_y 1
		.amdhsa_system_sgpr_workgroup_id_z 0
		.amdhsa_system_sgpr_workgroup_info 0
		.amdhsa_system_vgpr_workitem_id 1
		.amdhsa_next_free_vgpr 38
		.amdhsa_next_free_sgpr 13
		.amdhsa_named_barrier_count 0
		.amdhsa_reserve_vcc 1
		.amdhsa_float_round_mode_32 0
		.amdhsa_float_round_mode_16_64 0
		.amdhsa_float_denorm_mode_32 3
		.amdhsa_float_denorm_mode_16_64 3
		.amdhsa_fp16_overflow 0
		.amdhsa_memory_ordered 1
		.amdhsa_forward_progress 1
		.amdhsa_inst_pref_size 12
		.amdhsa_round_robin_scheduling 0
		.amdhsa_exception_fp_ieee_invalid_op 0
		.amdhsa_exception_fp_denorm_src 0
		.amdhsa_exception_fp_ieee_div_zero 0
		.amdhsa_exception_fp_ieee_overflow 0
		.amdhsa_exception_fp_ieee_underflow 0
		.amdhsa_exception_fp_ieee_inexact 0
		.amdhsa_exception_int_div_zero 0
	.end_amdhsa_kernel
	.section	.text._ZL13mul_mat_vec_qIN3c104HalfELi256ELi32E10block_q6_KLi1EXadL_ZL17vec_dot_q6_K_q8_1PKvPK10block_q8_1RKiEEEvS4_S4_PT_iii,"axG",@progbits,_ZL13mul_mat_vec_qIN3c104HalfELi256ELi32E10block_q6_KLi1EXadL_ZL17vec_dot_q6_K_q8_1PKvPK10block_q8_1RKiEEEvS4_S4_PT_iii,comdat
.Lfunc_end87:
	.size	_ZL13mul_mat_vec_qIN3c104HalfELi256ELi32E10block_q6_KLi1EXadL_ZL17vec_dot_q6_K_q8_1PKvPK10block_q8_1RKiEEEvS4_S4_PT_iii, .Lfunc_end87-_ZL13mul_mat_vec_qIN3c104HalfELi256ELi32E10block_q6_KLi1EXadL_ZL17vec_dot_q6_K_q8_1PKvPK10block_q8_1RKiEEEvS4_S4_PT_iii
                                        ; -- End function
	.set _ZL13mul_mat_vec_qIN3c104HalfELi256ELi32E10block_q6_KLi1EXadL_ZL17vec_dot_q6_K_q8_1PKvPK10block_q8_1RKiEEEvS4_S4_PT_iii.num_vgpr, 38
	.set _ZL13mul_mat_vec_qIN3c104HalfELi256ELi32E10block_q6_KLi1EXadL_ZL17vec_dot_q6_K_q8_1PKvPK10block_q8_1RKiEEEvS4_S4_PT_iii.num_agpr, 0
	.set _ZL13mul_mat_vec_qIN3c104HalfELi256ELi32E10block_q6_KLi1EXadL_ZL17vec_dot_q6_K_q8_1PKvPK10block_q8_1RKiEEEvS4_S4_PT_iii.numbered_sgpr, 13
	.set _ZL13mul_mat_vec_qIN3c104HalfELi256ELi32E10block_q6_KLi1EXadL_ZL17vec_dot_q6_K_q8_1PKvPK10block_q8_1RKiEEEvS4_S4_PT_iii.num_named_barrier, 0
	.set _ZL13mul_mat_vec_qIN3c104HalfELi256ELi32E10block_q6_KLi1EXadL_ZL17vec_dot_q6_K_q8_1PKvPK10block_q8_1RKiEEEvS4_S4_PT_iii.private_seg_size, 0
	.set _ZL13mul_mat_vec_qIN3c104HalfELi256ELi32E10block_q6_KLi1EXadL_ZL17vec_dot_q6_K_q8_1PKvPK10block_q8_1RKiEEEvS4_S4_PT_iii.uses_vcc, 1
	.set _ZL13mul_mat_vec_qIN3c104HalfELi256ELi32E10block_q6_KLi1EXadL_ZL17vec_dot_q6_K_q8_1PKvPK10block_q8_1RKiEEEvS4_S4_PT_iii.uses_flat_scratch, 0
	.set _ZL13mul_mat_vec_qIN3c104HalfELi256ELi32E10block_q6_KLi1EXadL_ZL17vec_dot_q6_K_q8_1PKvPK10block_q8_1RKiEEEvS4_S4_PT_iii.has_dyn_sized_stack, 0
	.set _ZL13mul_mat_vec_qIN3c104HalfELi256ELi32E10block_q6_KLi1EXadL_ZL17vec_dot_q6_K_q8_1PKvPK10block_q8_1RKiEEEvS4_S4_PT_iii.has_recursion, 0
	.set _ZL13mul_mat_vec_qIN3c104HalfELi256ELi32E10block_q6_KLi1EXadL_ZL17vec_dot_q6_K_q8_1PKvPK10block_q8_1RKiEEEvS4_S4_PT_iii.has_indirect_call, 0
	.section	.AMDGPU.csdata,"",@progbits
; Kernel info:
; codeLenInByte = 1476
; TotalNumSgprs: 15
; NumVgprs: 38
; ScratchSize: 0
; MemoryBound: 0
; FloatMode: 240
; IeeeMode: 1
; LDSByteSize: 0 bytes/workgroup (compile time only)
; SGPRBlocks: 0
; VGPRBlocks: 2
; NumSGPRsForWavesPerEU: 15
; NumVGPRsForWavesPerEU: 38
; NamedBarCnt: 0
; Occupancy: 16
; WaveLimiterHint : 0
; COMPUTE_PGM_RSRC2:SCRATCH_EN: 0
; COMPUTE_PGM_RSRC2:USER_SGPR: 2
; COMPUTE_PGM_RSRC2:TRAP_HANDLER: 0
; COMPUTE_PGM_RSRC2:TGID_X_EN: 1
; COMPUTE_PGM_RSRC2:TGID_Y_EN: 1
; COMPUTE_PGM_RSRC2:TGID_Z_EN: 0
; COMPUTE_PGM_RSRC2:TIDIG_COMP_CNT: 1
	.section	.text._ZL13mul_mat_vec_qIN3c104HalfELi256ELi8E13block_iq2_xxsLi1EXadL_ZL20vec_dot_iq2_xxs_q8_1PKvPK10block_q8_1RKiEEEvS4_S4_PT_iii,"axG",@progbits,_ZL13mul_mat_vec_qIN3c104HalfELi256ELi8E13block_iq2_xxsLi1EXadL_ZL20vec_dot_iq2_xxs_q8_1PKvPK10block_q8_1RKiEEEvS4_S4_PT_iii,comdat
	.globl	_ZL13mul_mat_vec_qIN3c104HalfELi256ELi8E13block_iq2_xxsLi1EXadL_ZL20vec_dot_iq2_xxs_q8_1PKvPK10block_q8_1RKiEEEvS4_S4_PT_iii ; -- Begin function _ZL13mul_mat_vec_qIN3c104HalfELi256ELi8E13block_iq2_xxsLi1EXadL_ZL20vec_dot_iq2_xxs_q8_1PKvPK10block_q8_1RKiEEEvS4_S4_PT_iii
	.p2align	8
	.type	_ZL13mul_mat_vec_qIN3c104HalfELi256ELi8E13block_iq2_xxsLi1EXadL_ZL20vec_dot_iq2_xxs_q8_1PKvPK10block_q8_1RKiEEEvS4_S4_PT_iii,@function
_ZL13mul_mat_vec_qIN3c104HalfELi256ELi8E13block_iq2_xxsLi1EXadL_ZL20vec_dot_iq2_xxs_q8_1PKvPK10block_q8_1RKiEEEvS4_S4_PT_iii: ; @_ZL13mul_mat_vec_qIN3c104HalfELi256ELi8E13block_iq2_xxsLi1EXadL_ZL20vec_dot_iq2_xxs_q8_1PKvPK10block_q8_1RKiEEEvS4_S4_PT_iii
; %bb.0:
	s_clause 0x1
	s_load_u16 s2, s[0:1], 0x36
	s_load_b96 s[12:14], s[0:1], 0x18
	s_bfe_u32 s4, ttmp6, 0x4000c
	s_bfe_u32 s5, ttmp6, 0x40010
	s_add_co_i32 s4, s4, 1
	s_add_co_i32 s5, s5, 1
	s_and_b32 s3, ttmp6, 15
	s_mul_i32 s4, ttmp9, s4
	s_mul_i32 s5, ttmp7, s5
	s_bfe_u32 s6, ttmp6, 0x40004
	s_add_co_i32 s3, s3, s4
	s_getreg_b32 s4, hwreg(HW_REG_IB_STS2, 6, 4)
	s_add_co_i32 s6, s6, s5
	v_bfe_u32 v1, v0, 10, 10
	s_cmp_eq_u32 s4, 0
	s_cselect_b32 s3, ttmp9, s3
	s_cselect_b32 s18, ttmp7, s6
	s_wait_kmcnt 0x0
	v_mad_u32 v16, s3, s2, v1
	s_cmp_lt_u32 s18, s14
	s_cselect_b32 s2, -1, 0
	s_delay_alu instid0(VALU_DEP_1) | instskip(SKIP_1) | instid1(SALU_CYCLE_1)
	v_cmp_gt_u32_e32 vcc_lo, s13, v16
	s_and_b32 s2, s2, vcc_lo
	s_and_saveexec_b32 s3, s2
	s_cbranch_execz .LBB88_7
; %bb.1:
	s_load_b64 s[14:15], s[0:1], 0x10
	s_ashr_i32 s2, s12, 31
	v_bfe_u32 v18, v0, 3, 7
	s_lshr_b32 s2, s2, 24
	v_and_b32_e32 v17, 0x3ff, v0
	v_mov_b32_e32 v19, 0
	s_add_co_i32 s2, s12, s2
	s_mov_b32 s19, exec_lo
	s_ashr_i32 s20, s2, 8
	s_delay_alu instid0(SALU_CYCLE_1)
	v_cmpx_gt_u32_e64 s20, v18
	s_cbranch_execz .LBB88_5
; %bb.2:
	s_load_b128 s[8:11], s[0:1], 0x0
	s_wait_xcnt 0x0
	s_add_co_i32 s0, s12, 0x1ff
	v_dual_lshlrev_b32 v2, 3, v18 :: v_dual_bitop2_b32 v1, 7, v17 bitop3:0x40
	s_ashr_i32 s1, s0, 31
	v_mul_lo_u32 v20, v16, s20
	s_lshr_b32 s1, s1, 23
	s_delay_alu instid0(VALU_DEP_2) | instskip(SKIP_3) | instid1(VALU_DEP_1)
	v_dual_mov_b32 v11, 0 :: v_dual_lshlrev_b32 v0, 2, v1
	s_add_co_i32 s0, s0, s1
	s_mov_b32 s12, 0
	s_ashr_i32 s0, s0, 9
	v_dual_mov_b32 v19, v11 :: v_dual_lshlrev_b32 v10, 1, v0
	s_mul_i32 s0, s18, s0
	s_get_pc_i64 s[16:17]
	s_add_nc_u64 s[16:17], s[16:17], _ZL12ksigns_iq2xs@rel64+4
	v_lshl_add_u32 v21, s0, 4, v2
	s_wait_kmcnt 0x0
	v_mad_nc_u64_u32 v[8:9], v1, 36, s[10:11]
	s_get_pc_i64 s[10:11]
	s_add_nc_u64 s[10:11], s[10:11], _ZL11iq2xxs_grid@rel64+4
.LBB88_3:                               ; =>This Inner Loop Header: Depth=1
	v_add_nc_u32_e32 v0, v20, v18
	s_delay_alu instid0(VALU_DEP_2) | instskip(SKIP_1) | instid1(VALU_DEP_3)
	v_mad_nc_i64_i32 v[14:15], v21, 36, v[8:9]
	v_add_nc_u32_e32 v21, 32, v21
	v_mad_nc_i64_i32 v[12:13], 0x42, v0, s[8:9]
	s_clause 0x2
	global_load_b128 v[0:3], v[14:15], off offset:4
	global_load_b128 v[4:7], v[14:15], off offset:20
	global_load_u16 v22, v[14:15], off
	s_wait_xcnt 0x0
	v_add_nc_u64_e32 v[14:15], v[12:13], v[10:11]
	s_clause 0x2
	global_load_b32 v23, v[14:15], off offset:2
	global_load_b32 v24, v[14:15], off offset:6
	global_load_u16 v25, v[12:13], off
	s_wait_loadcnt 0x5
	s_wait_xcnt 0x1
	v_dual_ashrrev_i32 v15, 24, v0 :: v_dual_ashrrev_i32 v33, 24, v2
	v_bfe_i32 v30, v2, 0, 8
	v_bfe_i32 v31, v2, 8, 8
	;; [unrolled: 1-line block ×3, first 2 shown]
	s_wait_xcnt 0x0
	v_bfe_i32 v12, v0, 0, 8
	v_bfe_i32 v13, v0, 8, 8
	;; [unrolled: 1-line block ×6, first 2 shown]
	s_wait_loadcnt 0x2
	v_and_b32_e32 v2, 0xff, v23
	s_wait_loadcnt 0x1
	v_and_b32_e32 v50, 0x7f, v24
	v_ashrrev_i32_e32 v29, 24, v1
	global_load_b64 v[0:1], v2, s[10:11] scale_offset
	global_load_i8 v53, v50, s[16:17]
	v_bfe_i32 v47, v7, 0, 8
	v_bfe_i32 v48, v7, 8, 8
	;; [unrolled: 1-line block ×3, first 2 shown]
	v_dual_ashrrev_i32 v7, 24, v7 :: v_dual_lshrrev_b32 v52, 28, v24
	v_bfe_i32 v34, v3, 0, 8
	v_bfe_i32 v35, v3, 8, 8
	v_bfe_i32 v36, v3, 16, 8
	v_ashrrev_i32_e32 v37, 24, v3
	v_cvt_f32_ubyte0_e32 v52, v52
	v_dual_lshrrev_b32 v3, 5, v23 :: v_dual_lshrrev_b32 v51, 13, v23
	s_wait_loadcnt 0x2
	v_cvt_f32_f16_e32 v25, v25
	v_bfe_i32 v38, v4, 0, 8
	v_add_f32_e32 v52, 0.5, v52
	s_wait_xcnt 0x1
	v_and_b32_e32 v2, 0x7f8, v3
	v_and_b32_e32 v51, 0x7f8, v51
	v_bfe_i32 v39, v4, 8, 8
	v_bfe_i32 v40, v4, 16, 8
	v_ashrrev_i32_e32 v4, 24, v4
	global_load_b64 v[2:3], v2, s[10:11]
	v_bfe_i32 v41, v5, 0, 8
	v_bfe_i32 v42, v5, 8, 8
	;; [unrolled: 1-line block ×3, first 2 shown]
	v_ashrrev_i32_e32 v5, 24, v5
	v_bfe_i32 v44, v6, 0, 8
	v_bfe_i32 v45, v6, 8, 8
	;; [unrolled: 1-line block ×3, first 2 shown]
	v_ashrrev_i32_e32 v6, 24, v6
	v_cvt_f32_f16_e32 v22, v22
	s_wait_loadcnt 0x2
	v_lshrrev_b32_e32 v54, 24, v1
	v_dual_mul_f32 v25, v52, v25 :: v_dual_lshrrev_b32 v52, 24, v0
	v_and_b32_e32 v55, 0xff, v0
	v_bfe_u32 v57, v0, 8, 8
	v_bfe_u32 v0, v0, 16, 8
	v_and_b32_e32 v59, 0xff, v1
	v_bfe_u32 v60, v1, 8, 8
	v_bfe_u32 v1, v1, 16, 8
	v_mul_i32_i24_e32 v12, v55, v12
	v_mul_i32_i24_e32 v14, v0, v14
	;; [unrolled: 1-line block ×3, first 2 shown]
	s_wait_loadcnt 0x1
	v_and_b32_e32 v61, 4, v53
	v_mul_i32_i24_e32 v28, v1, v28
	global_load_b64 v[0:1], v51, s[10:11]
	v_and_b32_e32 v56, 1, v53
	v_and_b32_e32 v58, 2, v53
	;; [unrolled: 1-line block ×3, first 2 shown]
	v_mul_i32_i24_e32 v15, v52, v15
	v_sub_nc_u32_e32 v63, 0, v12
	v_cmp_eq_u16_e32 vcc_lo, 0, v56
	v_sub_nc_u32_e32 v56, 0, v13
	v_cmp_eq_u16_e64 s0, 0, v58
	v_sub_nc_u32_e32 v58, 0, v14
	v_cmp_eq_u16_e64 s1, 0, v61
	;; [unrolled: 2-line block ×3, first 2 shown]
	v_dual_cndmask_b32 v12, v63, v12, vcc_lo :: v_dual_cndmask_b32 v13, v56, v13, s0
	v_mul_i32_i24_e32 v27, v60, v27
	s_delay_alu instid0(VALU_DEP_3) | instskip(SKIP_1) | instid1(VALU_DEP_4)
	v_dual_cndmask_b32 v14, v58, v14, s1 :: v_dual_cndmask_b32 v15, v61, v15, s2
	v_mul_i32_i24_e32 v26, v59, v26
	v_add_nc_u32_e32 v12, v13, v12
	v_mul_i32_i24_e32 v29, v54, v29
	s_wait_loadcnt 0x0
	s_delay_alu instid0(VALU_DEP_3)
	v_dual_sub_nc_u32 v63, 0, v26 :: v_dual_lshrrev_b32 v51, 24, v0
	v_lshrrev_b32_e32 v55, 24, v1
	v_and_b32_e32 v56, 0xff, v0
	v_bfe_u32 v58, v0, 8, 8
	v_bfe_u32 v13, v0, 16, 8
	v_and_b32_e32 v0, 32, v53
	v_add3_u32 v12, v12, v14, v15
	v_and_b32_e32 v14, 0xff, v1
	v_bfe_u32 v15, v1, 8, 8
	v_bfe_u32 v61, v1, 16, 8
	v_sub_nc_u32_e32 v1, 0, v27
	v_cmp_eq_u16_e32 vcc_lo, 0, v0
	v_and_b32_e32 v0, 16, v53
	v_mul_i32_i24_e32 v38, v56, v38
	v_mul_i32_i24_e32 v39, v58, v39
	;; [unrolled: 1-line block ×4, first 2 shown]
	v_cmp_eq_u16_e64 s0, 0, v0
	v_lshrrev_b32_e32 v0, 21, v23
	v_cndmask_b32_e32 v23, v1, v27, vcc_lo
	v_cmp_gt_u32_e32 vcc_lo, 64, v50
	s_delay_alu instid0(VALU_DEP_4) | instskip(NEXT) | instid1(VALU_DEP_4)
	v_dual_sub_nc_u32 v27, 0, v29 :: v_dual_cndmask_b32 v26, v63, v26, s0
	v_and_b32_e32 v0, 0x7f8, v0
	v_cmp_gt_i16_e64 s0, 0, v53
	v_bfe_u32 v53, v24, 7, 7
	v_mul_i32_i24_e32 v15, v15, v42
	v_add3_u32 v12, v12, v26, v23
	global_load_b64 v[0:1], v0, s[10:11]
	v_lshrrev_b32_e32 v52, 24, v2
	v_and_b32_e32 v57, 0xff, v2
	v_bfe_u32 v59, v2, 8, 8
	v_bfe_u32 v2, v2, 16, 8
	v_lshrrev_b32_e32 v54, 24, v3
	v_mul_i32_i24_e32 v33, v52, v33
	v_mul_i32_i24_e32 v30, v57, v30
	v_bfe_u32 v57, v24, 14, 7
	v_mul_i32_i24_e32 v2, v2, v32
	global_load_i8 v32, v53, s[16:17]
	v_bfe_u32 v24, v24, 21, 7
	v_mul_i32_i24_e32 v31, v59, v31
	global_load_i8 v52, v57, s[16:17]
	v_and_b32_e32 v60, 0xff, v3
	v_bfe_u32 v62, v3, 8, 8
	global_load_i8 v59, v24, s[16:17]
	v_bfe_u32 v3, v3, 16, 8
	v_sub_nc_u32_e32 v26, 0, v28
	v_mul_i32_i24_e32 v34, v60, v34
	v_cndmask_b32_e64 v27, v29, v27, s0
	v_mul_i32_i24_e32 v37, v54, v37
	v_mul_i32_i24_e32 v3, v3, v36
	;; [unrolled: 1-line block ×6, first 2 shown]
	s_wait_loadcnt 0x3
	v_dual_lshrrev_b32 v23, 24, v0 :: v_dual_lshrrev_b32 v50, 24, v1
	v_cndmask_b32_e32 v26, v26, v28, vcc_lo
	v_and_b32_e32 v28, 0xff, v0
	v_bfe_u32 v29, v0, 8, 8
	v_bfe_u32 v0, v0, 16, 8
	v_mul_i32_i24_e32 v7, v50, v7
	v_sub_nc_u32_e32 v50, 0, v30
	v_add3_u32 v12, v12, v26, v27
	v_and_b32_e32 v26, 0xff, v1
	s_wait_loadcnt 0x2
	v_and_b32_e32 v60, 1, v32
	v_and_b32_e32 v36, 2, v32
	;; [unrolled: 1-line block ×4, first 2 shown]
	v_bfe_u32 v27, v1, 8, 8
	v_cmp_eq_u16_e32 vcc_lo, 0, v60
	v_sub_nc_u32_e32 v60, 0, v31
	v_cmp_eq_u16_e64 s0, 0, v36
	v_bfe_u32 v1, v1, 16, 8
	v_and_b32_e32 v58, 16, v32
	v_and_b32_e32 v40, 32, v32
	s_wait_loadcnt 0x1
	v_dual_cndmask_b32 v30, v50, v30, vcc_lo :: v_dual_bitop2_b32 v41, 2, v52 bitop3:0x40
	v_dual_sub_nc_u32 v50, 0, v3 :: v_dual_bitop2_b32 v61, 8, v52 bitop3:0x40
	v_dual_cndmask_b32 v31, v60, v31, s0 :: v_dual_bitop2_b32 v55, 16, v52 bitop3:0x40
	v_sub_nc_u32_e32 v36, 0, v2
	v_cmp_eq_u16_e64 s1, 0, v54
	v_sub_nc_u32_e32 v54, 0, v33
	v_cmp_eq_u16_e64 s2, 0, v56
	v_and_b32_e32 v42, 4, v52
	v_mul_i32_i24_e32 v1, v1, v49
	s_wait_loadcnt 0x0
	v_dual_cndmask_b32 v2, v36, v2, s1 :: v_dual_bitop2_b32 v49, 32, v59 bitop3:0x40
	v_sub_nc_u32_e32 v56, 0, v35
	v_cmp_gt_i16_e64 s4, 0, v32
	v_sub_nc_u32_e32 v32, 0, v39
	v_cmp_eq_u16_e64 s3, 0, v40
	v_cmp_eq_u16_e64 s5, 0, v41
	v_sub_nc_u32_e32 v41, 0, v34
	v_add3_u32 v12, v12, v30, v31
	v_cmp_eq_u16_e32 vcc_lo, 0, v61
	v_dual_sub_nc_u32 v61, 0, v15 :: v_dual_cndmask_b32 v33, v54, v33, s2
	v_cmp_eq_u16_e64 s1, 0, v58
	v_dual_sub_nc_u32 v40, 0, v37 :: v_dual_bitop2_b32 v51, 1, v52 bitop3:0x40
	v_mul_i32_i24_e32 v0, v0, v46
	s_delay_alu instid0(VALU_DEP_3)
	v_dual_cndmask_b32 v35, v56, v35, s3 :: v_dual_cndmask_b32 v34, v41, v34, s1
	v_add3_u32 v2, v12, v2, v33
	v_cmp_gt_u32_e64 s1, 64, v53
	v_mul_i32_i24_e32 v28, v28, v44
	v_dual_sub_nc_u32 v60, 0, v38 :: v_dual_bitop2_b32 v44, 32, v52 bitop3:0x40
	v_mul_i32_i24_e32 v6, v23, v6
	s_delay_alu instid0(VALU_DEP_4)
	v_dual_sub_nc_u32 v12, 0, v0 :: v_dual_cndmask_b32 v3, v50, v3, s1
	v_cndmask_b32_e64 v33, v37, v40, s4
	v_add3_u32 v2, v2, v34, v35
	v_cmp_eq_u16_e64 s1, 0, v51
	v_mul_i32_i24_e32 v29, v29, v45
	v_dual_sub_nc_u32 v30, 0, v13 :: v_dual_bitop2_b32 v45, 1, v59 bitop3:0x40
	v_dual_sub_nc_u32 v31, 0, v4 :: v_dual_bitop2_b32 v46, 2, v59 bitop3:0x40
	v_dual_sub_nc_u32 v34, 0, v6 :: v_dual_cndmask_b32 v32, v32, v39, s5
	v_add3_u32 v2, v2, v3, v33
	v_cmp_eq_u16_e64 s2, 0, v42
	v_cndmask_b32_e64 v35, v60, v38, s1
	v_mul_i32_i24_e32 v26, v26, v47
	v_mul_i32_i24_e32 v27, v27, v48
	v_and_b32_e32 v48, 16, v59
	v_cmp_eq_u16_e64 s0, 0, v44
	v_cmp_eq_u16_e64 s7, 0, v46
	v_dual_sub_nc_u32 v46, 0, v14 :: v_dual_cndmask_b32 v3, v30, v13, s2
	v_cndmask_b32_e32 v4, v31, v4, vcc_lo
	v_add3_u32 v2, v2, v35, v32
	v_cmp_eq_u16_e32 vcc_lo, 0, v55
	v_dual_sub_nc_u32 v44, 0, v5 :: v_dual_bitop2_b32 v23, 4, v59 bitop3:0x40
	v_cmp_gt_i16_e64 s6, 0, v52
	v_dual_sub_nc_u32 v36, 0, v43 :: v_dual_sub_nc_u32 v54, 0, v28
	v_dual_sub_nc_u32 v13, 0, v26 :: v_dual_cndmask_b32 v15, v61, v15, s0
	v_cndmask_b32_e32 v14, v46, v14, vcc_lo
	v_add3_u32 v2, v2, v3, v4
	v_cmp_gt_u32_e32 vcc_lo, 64, v57
	v_dual_sub_nc_u32 v52, 0, v29 :: v_dual_bitop2_b32 v47, 8, v59 bitop3:0x40
	v_dual_sub_nc_u32 v3, 0, v27 :: v_dual_cndmask_b32 v5, v5, v44, s6
	v_cndmask_b32_e32 v4, v36, v43, vcc_lo
	v_add3_u32 v2, v2, v14, v15
	v_cmp_eq_u16_e64 s0, 0, v45
	v_cmp_eq_u16_e64 s1, 0, v47
	v_cndmask_b32_e64 v15, v52, v29, s7
	v_cmp_eq_u16_e32 vcc_lo, 0, v49
	v_add3_u32 v2, v2, v4, v5
	v_cndmask_b32_e64 v14, v54, v28, s0
	v_cmp_eq_u16_e64 s0, 0, v23
	v_dual_sub_nc_u32 v4, 0, v1 :: v_dual_cndmask_b32 v5, v34, v6, s1
	v_sub_nc_u32_e32 v6, 0, v7
	s_delay_alu instid0(VALU_DEP_4) | instskip(NEXT) | instid1(VALU_DEP_4)
	v_add3_u32 v2, v2, v14, v15
	v_cndmask_b32_e64 v0, v12, v0, s0
	v_cmp_eq_u16_e64 s0, 0, v48
	v_cndmask_b32_e32 v3, v3, v27, vcc_lo
	v_cmp_gt_i16_e32 vcc_lo, 0, v59
	s_delay_alu instid0(VALU_DEP_4) | instskip(NEXT) | instid1(VALU_DEP_4)
	v_add3_u32 v0, v2, v0, v5
	v_cndmask_b32_e64 v12, v13, v26, s0
	v_cmp_gt_u32_e64 s0, 64, v24
	v_cndmask_b32_e32 v2, v7, v6, vcc_lo
	s_delay_alu instid0(VALU_DEP_3) | instskip(NEXT) | instid1(VALU_DEP_3)
	v_add3_u32 v0, v0, v12, v3
	v_dual_cndmask_b32 v1, v4, v1, s0 :: v_dual_mul_f32 v3, v25, v22
	v_add_nc_u32_e32 v18, 4, v18
	s_delay_alu instid0(VALU_DEP_2) | instskip(NEXT) | instid1(VALU_DEP_3)
	v_add3_u32 v0, v0, v1, v2
	v_mul_f32_e32 v1, 0x3e800000, v3
	s_delay_alu instid0(VALU_DEP_3) | instskip(NEXT) | instid1(VALU_DEP_3)
	v_cmp_le_u32_e32 vcc_lo, s20, v18
	v_cvt_f32_i32_e32 v0, v0
	s_or_b32 s12, vcc_lo, s12
	s_delay_alu instid0(VALU_DEP_1)
	v_fmac_f32_e32 v19, v1, v0
	s_and_not1_b32 exec_lo, exec_lo, s12
	s_cbranch_execnz .LBB88_3
; %bb.4:
	s_or_b32 exec_lo, exec_lo, s12
.LBB88_5:
	s_delay_alu instid0(SALU_CYCLE_1) | instskip(SKIP_1) | instid1(VALU_DEP_1)
	s_or_b32 exec_lo, exec_lo, s19
	v_mbcnt_lo_u32_b32 v0, -1, 0
	v_xor_b32_e32 v2, 8, v0
	v_xor_b32_e32 v1, 16, v0
	;; [unrolled: 1-line block ×3, first 2 shown]
	s_delay_alu instid0(VALU_DEP_2) | instskip(SKIP_4) | instid1(VALU_DEP_2)
	v_cmp_gt_i32_e32 vcc_lo, 32, v1
	v_cndmask_b32_e32 v1, v0, v1, vcc_lo
	v_cmp_gt_i32_e32 vcc_lo, 32, v2
	v_cndmask_b32_e32 v2, v0, v2, vcc_lo
	v_cmp_gt_i32_e32 vcc_lo, 32, v3
	v_dual_lshlrev_b32 v2, 2, v2 :: v_dual_lshlrev_b32 v1, 2, v1
	ds_bpermute_b32 v1, v1, v19
	s_wait_dscnt 0x0
	v_add_f32_e32 v1, v19, v1
	ds_bpermute_b32 v2, v2, v1
	s_wait_dscnt 0x0
	v_dual_cndmask_b32 v3, v0, v3, vcc_lo :: v_dual_add_f32 v1, v1, v2
	s_delay_alu instid0(VALU_DEP_1) | instskip(SKIP_3) | instid1(VALU_DEP_1)
	v_lshlrev_b32_e32 v3, 2, v3
	ds_bpermute_b32 v2, v3, v1
	s_wait_dscnt 0x0
	v_dual_add_f32 v1, v1, v2 :: v_dual_bitop2_b32 v3, 2, v0 bitop3:0x14
	v_cmp_gt_i32_e32 vcc_lo, 32, v3
	v_cndmask_b32_e32 v3, v0, v3, vcc_lo
	s_delay_alu instid0(VALU_DEP_1) | instskip(SKIP_2) | instid1(VALU_DEP_1)
	v_lshlrev_b32_e32 v3, 2, v3
	ds_bpermute_b32 v2, v3, v1
	v_xor_b32_e32 v3, 1, v0
	v_cmp_gt_i32_e32 vcc_lo, 32, v3
	v_cndmask_b32_e32 v3, v0, v3, vcc_lo
	v_cmp_eq_u32_e32 vcc_lo, 0, v17
	s_wait_dscnt 0x0
	s_delay_alu instid0(VALU_DEP_2)
	v_dual_add_f32 v0, v1, v2 :: v_dual_lshlrev_b32 v1, 2, v3
	ds_bpermute_b32 v1, v1, v0
	s_and_b32 exec_lo, exec_lo, vcc_lo
	s_cbranch_execz .LBB88_7
; %bb.6:
	v_mad_u32 v2, s13, s18, v16
	s_wait_dscnt 0x0
	v_add_f32_e32 v0, v0, v1
	s_delay_alu instid0(VALU_DEP_1)
	v_cvt_f16_f32_e32 v0, v0
	s_wait_kmcnt 0x0
	global_store_b16 v2, v0, s[14:15] scale_offset
.LBB88_7:
	s_endpgm
	.section	.rodata,"a",@progbits
	.p2align	6, 0x0
	.amdhsa_kernel _ZL13mul_mat_vec_qIN3c104HalfELi256ELi8E13block_iq2_xxsLi1EXadL_ZL20vec_dot_iq2_xxs_q8_1PKvPK10block_q8_1RKiEEEvS4_S4_PT_iii
		.amdhsa_group_segment_fixed_size 0
		.amdhsa_private_segment_fixed_size 0
		.amdhsa_kernarg_size 296
		.amdhsa_user_sgpr_count 2
		.amdhsa_user_sgpr_dispatch_ptr 0
		.amdhsa_user_sgpr_queue_ptr 0
		.amdhsa_user_sgpr_kernarg_segment_ptr 1
		.amdhsa_user_sgpr_dispatch_id 0
		.amdhsa_user_sgpr_kernarg_preload_length 0
		.amdhsa_user_sgpr_kernarg_preload_offset 0
		.amdhsa_user_sgpr_private_segment_size 0
		.amdhsa_wavefront_size32 1
		.amdhsa_uses_dynamic_stack 0
		.amdhsa_enable_private_segment 0
		.amdhsa_system_sgpr_workgroup_id_x 1
		.amdhsa_system_sgpr_workgroup_id_y 1
		.amdhsa_system_sgpr_workgroup_id_z 0
		.amdhsa_system_sgpr_workgroup_info 0
		.amdhsa_system_vgpr_workitem_id 1
		.amdhsa_next_free_vgpr 64
		.amdhsa_next_free_sgpr 21
		.amdhsa_named_barrier_count 0
		.amdhsa_reserve_vcc 1
		.amdhsa_float_round_mode_32 0
		.amdhsa_float_round_mode_16_64 0
		.amdhsa_float_denorm_mode_32 3
		.amdhsa_float_denorm_mode_16_64 3
		.amdhsa_fp16_overflow 0
		.amdhsa_memory_ordered 1
		.amdhsa_forward_progress 1
		.amdhsa_inst_pref_size 20
		.amdhsa_round_robin_scheduling 0
		.amdhsa_exception_fp_ieee_invalid_op 0
		.amdhsa_exception_fp_denorm_src 0
		.amdhsa_exception_fp_ieee_div_zero 0
		.amdhsa_exception_fp_ieee_overflow 0
		.amdhsa_exception_fp_ieee_underflow 0
		.amdhsa_exception_fp_ieee_inexact 0
		.amdhsa_exception_int_div_zero 0
	.end_amdhsa_kernel
	.section	.text._ZL13mul_mat_vec_qIN3c104HalfELi256ELi8E13block_iq2_xxsLi1EXadL_ZL20vec_dot_iq2_xxs_q8_1PKvPK10block_q8_1RKiEEEvS4_S4_PT_iii,"axG",@progbits,_ZL13mul_mat_vec_qIN3c104HalfELi256ELi8E13block_iq2_xxsLi1EXadL_ZL20vec_dot_iq2_xxs_q8_1PKvPK10block_q8_1RKiEEEvS4_S4_PT_iii,comdat
.Lfunc_end88:
	.size	_ZL13mul_mat_vec_qIN3c104HalfELi256ELi8E13block_iq2_xxsLi1EXadL_ZL20vec_dot_iq2_xxs_q8_1PKvPK10block_q8_1RKiEEEvS4_S4_PT_iii, .Lfunc_end88-_ZL13mul_mat_vec_qIN3c104HalfELi256ELi8E13block_iq2_xxsLi1EXadL_ZL20vec_dot_iq2_xxs_q8_1PKvPK10block_q8_1RKiEEEvS4_S4_PT_iii
                                        ; -- End function
	.set _ZL13mul_mat_vec_qIN3c104HalfELi256ELi8E13block_iq2_xxsLi1EXadL_ZL20vec_dot_iq2_xxs_q8_1PKvPK10block_q8_1RKiEEEvS4_S4_PT_iii.num_vgpr, 64
	.set _ZL13mul_mat_vec_qIN3c104HalfELi256ELi8E13block_iq2_xxsLi1EXadL_ZL20vec_dot_iq2_xxs_q8_1PKvPK10block_q8_1RKiEEEvS4_S4_PT_iii.num_agpr, 0
	.set _ZL13mul_mat_vec_qIN3c104HalfELi256ELi8E13block_iq2_xxsLi1EXadL_ZL20vec_dot_iq2_xxs_q8_1PKvPK10block_q8_1RKiEEEvS4_S4_PT_iii.numbered_sgpr, 21
	.set _ZL13mul_mat_vec_qIN3c104HalfELi256ELi8E13block_iq2_xxsLi1EXadL_ZL20vec_dot_iq2_xxs_q8_1PKvPK10block_q8_1RKiEEEvS4_S4_PT_iii.num_named_barrier, 0
	.set _ZL13mul_mat_vec_qIN3c104HalfELi256ELi8E13block_iq2_xxsLi1EXadL_ZL20vec_dot_iq2_xxs_q8_1PKvPK10block_q8_1RKiEEEvS4_S4_PT_iii.private_seg_size, 0
	.set _ZL13mul_mat_vec_qIN3c104HalfELi256ELi8E13block_iq2_xxsLi1EXadL_ZL20vec_dot_iq2_xxs_q8_1PKvPK10block_q8_1RKiEEEvS4_S4_PT_iii.uses_vcc, 1
	.set _ZL13mul_mat_vec_qIN3c104HalfELi256ELi8E13block_iq2_xxsLi1EXadL_ZL20vec_dot_iq2_xxs_q8_1PKvPK10block_q8_1RKiEEEvS4_S4_PT_iii.uses_flat_scratch, 0
	.set _ZL13mul_mat_vec_qIN3c104HalfELi256ELi8E13block_iq2_xxsLi1EXadL_ZL20vec_dot_iq2_xxs_q8_1PKvPK10block_q8_1RKiEEEvS4_S4_PT_iii.has_dyn_sized_stack, 0
	.set _ZL13mul_mat_vec_qIN3c104HalfELi256ELi8E13block_iq2_xxsLi1EXadL_ZL20vec_dot_iq2_xxs_q8_1PKvPK10block_q8_1RKiEEEvS4_S4_PT_iii.has_recursion, 0
	.set _ZL13mul_mat_vec_qIN3c104HalfELi256ELi8E13block_iq2_xxsLi1EXadL_ZL20vec_dot_iq2_xxs_q8_1PKvPK10block_q8_1RKiEEEvS4_S4_PT_iii.has_indirect_call, 0
	.section	.AMDGPU.csdata,"",@progbits
; Kernel info:
; codeLenInByte = 2460
; TotalNumSgprs: 23
; NumVgprs: 64
; ScratchSize: 0
; MemoryBound: 0
; FloatMode: 240
; IeeeMode: 1
; LDSByteSize: 0 bytes/workgroup (compile time only)
; SGPRBlocks: 0
; VGPRBlocks: 3
; NumSGPRsForWavesPerEU: 23
; NumVGPRsForWavesPerEU: 64
; NamedBarCnt: 0
; Occupancy: 16
; WaveLimiterHint : 0
; COMPUTE_PGM_RSRC2:SCRATCH_EN: 0
; COMPUTE_PGM_RSRC2:USER_SGPR: 2
; COMPUTE_PGM_RSRC2:TRAP_HANDLER: 0
; COMPUTE_PGM_RSRC2:TGID_X_EN: 1
; COMPUTE_PGM_RSRC2:TGID_Y_EN: 1
; COMPUTE_PGM_RSRC2:TGID_Z_EN: 0
; COMPUTE_PGM_RSRC2:TIDIG_COMP_CNT: 1
	.section	.text._ZL13mul_mat_vec_qIN3c104HalfELi256ELi8E12block_iq2_xsLi1EXadL_ZL19vec_dot_iq2_xs_q8_1PKvPK10block_q8_1RKiEEEvS4_S4_PT_iii,"axG",@progbits,_ZL13mul_mat_vec_qIN3c104HalfELi256ELi8E12block_iq2_xsLi1EXadL_ZL19vec_dot_iq2_xs_q8_1PKvPK10block_q8_1RKiEEEvS4_S4_PT_iii,comdat
	.globl	_ZL13mul_mat_vec_qIN3c104HalfELi256ELi8E12block_iq2_xsLi1EXadL_ZL19vec_dot_iq2_xs_q8_1PKvPK10block_q8_1RKiEEEvS4_S4_PT_iii ; -- Begin function _ZL13mul_mat_vec_qIN3c104HalfELi256ELi8E12block_iq2_xsLi1EXadL_ZL19vec_dot_iq2_xs_q8_1PKvPK10block_q8_1RKiEEEvS4_S4_PT_iii
	.p2align	8
	.type	_ZL13mul_mat_vec_qIN3c104HalfELi256ELi8E12block_iq2_xsLi1EXadL_ZL19vec_dot_iq2_xs_q8_1PKvPK10block_q8_1RKiEEEvS4_S4_PT_iii,@function
_ZL13mul_mat_vec_qIN3c104HalfELi256ELi8E12block_iq2_xsLi1EXadL_ZL19vec_dot_iq2_xs_q8_1PKvPK10block_q8_1RKiEEEvS4_S4_PT_iii: ; @_ZL13mul_mat_vec_qIN3c104HalfELi256ELi8E12block_iq2_xsLi1EXadL_ZL19vec_dot_iq2_xs_q8_1PKvPK10block_q8_1RKiEEEvS4_S4_PT_iii
; %bb.0:
	s_clause 0x1
	s_load_u16 s2, s[0:1], 0x36
	s_load_b96 s[4:6], s[0:1], 0x18
	s_bfe_u32 s7, ttmp6, 0x4000c
	s_bfe_u32 s8, ttmp6, 0x40010
	s_add_co_i32 s7, s7, 1
	s_add_co_i32 s8, s8, 1
	s_and_b32 s3, ttmp6, 15
	s_mul_i32 s7, ttmp9, s7
	s_mul_i32 s8, ttmp7, s8
	s_bfe_u32 s9, ttmp6, 0x40004
	s_add_co_i32 s3, s3, s7
	s_getreg_b32 s7, hwreg(HW_REG_IB_STS2, 6, 4)
	s_add_co_i32 s9, s9, s8
	v_bfe_u32 v1, v0, 10, 10
	s_cmp_eq_u32 s7, 0
	s_cselect_b32 s3, ttmp9, s3
	s_cselect_b32 s10, ttmp7, s9
	s_wait_kmcnt 0x0
	v_mad_u32 v12, s3, s2, v1
	s_cmp_lt_u32 s10, s6
	s_cselect_b32 s2, -1, 0
	s_delay_alu instid0(VALU_DEP_1) | instskip(SKIP_1) | instid1(SALU_CYCLE_1)
	v_cmp_gt_u32_e32 vcc_lo, s5, v12
	s_and_b32 s2, s2, vcc_lo
	s_and_saveexec_b32 s3, s2
	s_cbranch_execz .LBB89_7
; %bb.1:
	s_load_b64 s[6:7], s[0:1], 0x10
	s_ashr_i32 s2, s4, 31
	v_bfe_u32 v14, v0, 3, 7
	s_lshr_b32 s2, s2, 24
	v_and_b32_e32 v13, 0x3ff, v0
	v_mov_b32_e32 v15, 0
	s_add_co_i32 s2, s4, s2
	s_mov_b32 s11, exec_lo
	s_ashr_i32 s12, s2, 8
	s_delay_alu instid0(SALU_CYCLE_1)
	v_cmpx_gt_u32_e64 s12, v14
	s_cbranch_execz .LBB89_5
; %bb.2:
	s_wait_xcnt 0x0
	s_load_b128 s[0:3], s[0:1], 0x0
	s_addk_co_i32 s4, 0x1ff
	v_dual_lshlrev_b32 v5, 3, v14 :: v_dual_bitop2_b32 v0, 7, v13 bitop3:0x40
	s_ashr_i32 s8, s4, 31
	v_mul_lo_u32 v16, v12, s12
	s_lshr_b32 s8, s8, 23
	s_delay_alu instid0(VALU_DEP_2)
	v_dual_mov_b32 v1, 0 :: v_dual_lshlrev_b32 v4, 2, v0
	s_add_co_i32 s4, s4, s8
	s_get_pc_i64 s[8:9]
	s_add_nc_u64 s[8:9], s[8:9], _ZL12ksigns_iq2xs@rel64+4
	s_ashr_i32 s4, s4, 9
	v_lshlrev_b32_e32 v4, 1, v4
	s_mul_i32 s4, s10, s4
	v_mov_b32_e32 v15, v1
	v_lshl_add_u32 v17, s4, 4, v5
	v_mov_b32_e32 v5, v1
	s_mov_b32 s4, 0
	s_wait_kmcnt 0x0
	v_mad_nc_u64_u32 v[2:3], v0, 36, s[2:3]
	s_get_pc_i64 s[2:3]
	s_add_nc_u64 s[2:3], s[2:3], _ZL10iq2xs_grid@rel64+4
.LBB89_3:                               ; =>This Inner Loop Header: Depth=1
	v_dual_add_nc_u32 v6, v16, v14 :: v_dual_add_nc_u32 v14, 4, v14
	s_delay_alu instid0(VALU_DEP_1) | instskip(NEXT) | instid1(VALU_DEP_3)
	v_mad_nc_i64_i32 v[8:9], 0x4a, v6, s[0:1]
	v_mad_nc_i64_i32 v[6:7], v17, 36, v[2:3]
	v_add_nc_u32_e32 v17, 32, v17
	s_delay_alu instid0(VALU_DEP_3)
	v_add_nc_u64_e32 v[22:23], v[8:9], v[0:1]
	v_add_nc_u64_e32 v[20:21], v[8:9], v[4:5]
	s_clause 0x1
	global_load_u8 v18, v[22:23], off offset:66
	global_load_b64 v[10:11], v[20:21], off offset:2
	s_wait_loadcnt 0x0
	v_and_b32_e32 v20, 0x1ff, v10
	v_bfe_u32 v21, v10, 9, 7
	global_load_i8 v22, v21, s[8:9]
	global_load_b128 v[26:29], v[6:7], off offset:4
	global_load_b64 v[20:21], v20, s[2:3] scale_offset
	v_dual_lshrrev_b32 v30, 16, v10 :: v_dual_lshrrev_b32 v19, 16, v11
	s_wait_loadcnt 0x1
	v_bfe_i32 v23, v26, 0, 8
	s_wait_loadcnt 0x0
	v_and_b32_e32 v31, 0xff, v20
	v_lshrrev_b32_e32 v25, 24, v21
	v_bfe_u32 v32, v20, 8, 8
	v_lshrrev_b32_e32 v24, 24, v20
	v_bfe_u32 v20, v20, 16, 8
	v_mul_i32_i24_e32 v23, v31, v23
	v_and_b32_e32 v31, 1, v22
	s_delay_alu instid0(VALU_DEP_1) | instskip(NEXT) | instid1(VALU_DEP_3)
	v_cmp_eq_u16_e32 vcc_lo, 0, v31
	v_sub_nc_u32_e32 v31, 0, v23
	s_delay_alu instid0(VALU_DEP_1) | instskip(SKIP_1) | instid1(VALU_DEP_1)
	v_cndmask_b32_e32 v23, v31, v23, vcc_lo
	v_bfe_i32 v31, v26, 8, 8
	v_mul_i32_i24_e32 v31, v32, v31
	v_and_b32_e32 v32, 2, v22
	s_delay_alu instid0(VALU_DEP_1) | instskip(NEXT) | instid1(VALU_DEP_3)
	v_cmp_eq_u16_e32 vcc_lo, 0, v32
	v_sub_nc_u32_e32 v32, 0, v31
	s_delay_alu instid0(VALU_DEP_1) | instskip(SKIP_1) | instid1(VALU_DEP_2)
	v_cndmask_b32_e32 v31, v32, v31, vcc_lo
	v_bfe_u32 v32, v11, 9, 7
	v_add_nc_u32_e32 v23, v31, v23
	v_bfe_i32 v31, v26, 16, 8
	v_ashrrev_i32_e32 v26, 24, v26
	s_delay_alu instid0(VALU_DEP_2) | instskip(SKIP_1) | instid1(VALU_DEP_3)
	v_mul_i32_i24_e32 v20, v20, v31
	v_and_b32_e32 v31, 4, v22
	v_mul_i32_i24_e32 v24, v24, v26
	v_and_b32_e32 v26, 8, v22
	s_delay_alu instid0(VALU_DEP_3) | instskip(SKIP_1) | instid1(VALU_DEP_1)
	v_cmp_eq_u16_e32 vcc_lo, 0, v31
	v_sub_nc_u32_e32 v31, 0, v20
	v_cndmask_b32_e32 v20, v31, v20, vcc_lo
	s_delay_alu instid0(VALU_DEP_4) | instskip(SKIP_1) | instid1(VALU_DEP_1)
	v_cmp_eq_u16_e32 vcc_lo, 0, v26
	v_sub_nc_u32_e32 v26, 0, v24
	v_cndmask_b32_e32 v24, v26, v24, vcc_lo
	v_bfe_u32 v26, v21, 8, 8
	s_delay_alu instid0(VALU_DEP_2) | instskip(SKIP_3) | instid1(VALU_DEP_2)
	v_add3_u32 v20, v23, v20, v24
	v_bfe_i32 v23, v27, 0, 8
	v_and_b32_e32 v24, 0xff, v21
	v_bfe_u32 v21, v21, 16, 8
	v_mul_i32_i24_e32 v23, v24, v23
	v_and_b32_e32 v24, 16, v22
	s_delay_alu instid0(VALU_DEP_1) | instskip(NEXT) | instid1(VALU_DEP_3)
	v_cmp_eq_u16_e32 vcc_lo, 0, v24
	v_sub_nc_u32_e32 v24, 0, v23
	s_delay_alu instid0(VALU_DEP_1) | instskip(SKIP_1) | instid1(VALU_DEP_1)
	v_cndmask_b32_e32 v23, v24, v23, vcc_lo
	v_bfe_i32 v24, v27, 8, 8
	v_mul_i32_i24_e32 v24, v26, v24
	v_and_b32_e32 v26, 32, v22
	s_delay_alu instid0(VALU_DEP_1) | instskip(NEXT) | instid1(VALU_DEP_3)
	v_cmp_eq_u16_e32 vcc_lo, 0, v26
	v_sub_nc_u32_e32 v26, 0, v24
	s_delay_alu instid0(VALU_DEP_1) | instskip(SKIP_1) | instid1(VALU_DEP_2)
	v_cndmask_b32_e32 v24, v26, v24, vcc_lo
	v_cmp_gt_i16_e32 vcc_lo, 0, v10
	v_add3_u32 v20, v20, v23, v24
	v_bfe_i32 v23, v27, 16, 8
	s_delay_alu instid0(VALU_DEP_1) | instskip(NEXT) | instid1(VALU_DEP_1)
	v_mul_i32_i24_e32 v21, v21, v23
	v_sub_nc_u32_e32 v23, 0, v21
	s_delay_alu instid0(VALU_DEP_1) | instskip(SKIP_2) | instid1(VALU_DEP_2)
	v_cndmask_b32_e32 v21, v21, v23, vcc_lo
	v_ashrrev_i32_e32 v23, 24, v27
	v_cmp_gt_i16_e32 vcc_lo, 0, v22
	v_mul_i32_i24_e32 v23, v25, v23
	s_delay_alu instid0(VALU_DEP_1) | instskip(NEXT) | instid1(VALU_DEP_1)
	v_sub_nc_u32_e32 v24, 0, v23
	v_cndmask_b32_e32 v22, v23, v24, vcc_lo
	s_delay_alu instid0(VALU_DEP_1) | instskip(SKIP_2) | instid1(VALU_DEP_2)
	v_add3_u32 v20, v20, v21, v22
	v_dual_lshrrev_b32 v21, 13, v10 :: v_dual_lshrrev_b32 v10, 25, v10
	v_bfe_i32 v22, v28, 0, 8
	v_and_b32_e32 v21, 0xff8, v21
	global_load_i8 v10, v10, s[8:9]
	global_load_b64 v[26:27], v21, s[2:3]
	s_wait_loadcnt 0x0
	v_and_b32_e32 v21, 0xff, v26
	v_bfe_u32 v23, v26, 8, 8
	v_bfe_u32 v25, v26, 16, 8
	v_dual_lshrrev_b32 v24, 24, v26 :: v_dual_lshrrev_b32 v31, 24, v27
	s_delay_alu instid0(VALU_DEP_4) | instskip(SKIP_2) | instid1(VALU_DEP_2)
	v_mul_i32_i24_e32 v21, v21, v22
	v_and_b32_e32 v22, 1, v10
	v_and_b32_e32 v26, 0xff, v27
	v_cmp_eq_u16_e32 vcc_lo, 0, v22
	s_delay_alu instid0(VALU_DEP_4) | instskip(NEXT) | instid1(VALU_DEP_1)
	v_sub_nc_u32_e32 v22, 0, v21
	v_cndmask_b32_e32 v21, v22, v21, vcc_lo
	v_bfe_i32 v22, v28, 8, 8
	s_delay_alu instid0(VALU_DEP_1) | instskip(SKIP_1) | instid1(VALU_DEP_1)
	v_mul_i32_i24_e32 v22, v23, v22
	v_and_b32_e32 v23, 2, v10
	v_cmp_eq_u16_e32 vcc_lo, 0, v23
	s_delay_alu instid0(VALU_DEP_3) | instskip(NEXT) | instid1(VALU_DEP_1)
	v_sub_nc_u32_e32 v23, 0, v22
	v_cndmask_b32_e32 v22, v23, v22, vcc_lo
	v_bfe_i32 v23, v28, 16, 8
	s_delay_alu instid0(VALU_DEP_1) | instskip(SKIP_1) | instid1(VALU_DEP_1)
	v_mul_i32_i24_e32 v23, v25, v23
	v_and_b32_e32 v25, 4, v10
	v_cmp_eq_u16_e32 vcc_lo, 0, v25
	s_delay_alu instid0(VALU_DEP_3) | instskip(NEXT) | instid1(VALU_DEP_1)
	v_sub_nc_u32_e32 v25, 0, v23
	v_dual_cndmask_b32 v23, v25, v23, vcc_lo :: v_dual_ashrrev_i32 v25, 24, v28
	v_bfe_u32 v28, v27, 8, 8
	v_bfe_u32 v27, v27, 16, 8
	s_delay_alu instid0(VALU_DEP_3) | instskip(SKIP_1) | instid1(VALU_DEP_1)
	v_mul_i32_i24_e32 v24, v24, v25
	v_and_b32_e32 v25, 8, v10
	v_cmp_eq_u16_e32 vcc_lo, 0, v25
	s_delay_alu instid0(VALU_DEP_3) | instskip(NEXT) | instid1(VALU_DEP_1)
	v_sub_nc_u32_e32 v25, 0, v24
	v_cndmask_b32_e32 v24, v25, v24, vcc_lo
	v_bfe_i32 v25, v29, 0, 8
	s_delay_alu instid0(VALU_DEP_1) | instskip(SKIP_1) | instid1(VALU_DEP_1)
	v_mul_i32_i24_e32 v25, v26, v25
	v_and_b32_e32 v26, 16, v10
	v_cmp_eq_u16_e32 vcc_lo, 0, v26
	s_delay_alu instid0(VALU_DEP_3) | instskip(NEXT) | instid1(VALU_DEP_1)
	v_sub_nc_u32_e32 v26, 0, v25
	v_cndmask_b32_e32 v25, v26, v25, vcc_lo
	v_bfe_i32 v26, v29, 8, 8
	s_delay_alu instid0(VALU_DEP_1) | instskip(SKIP_1) | instid1(VALU_DEP_1)
	v_mul_i32_i24_e32 v26, v28, v26
	v_and_b32_e32 v28, 32, v10
	v_cmp_eq_u16_e32 vcc_lo, 0, v28
	s_delay_alu instid0(VALU_DEP_3) | instskip(NEXT) | instid1(VALU_DEP_1)
	v_sub_nc_u32_e32 v28, 0, v26
	v_cndmask_b32_e32 v26, v28, v26, vcc_lo
	v_bfe_i32 v28, v29, 16, 8
	v_cmp_gt_i16_e32 vcc_lo, 0, v30
	s_delay_alu instid0(VALU_DEP_2) | instskip(NEXT) | instid1(VALU_DEP_1)
	v_mul_i32_i24_e32 v27, v27, v28
	v_sub_nc_u32_e32 v28, 0, v27
	s_delay_alu instid0(VALU_DEP_1) | instskip(SKIP_2) | instid1(VALU_DEP_3)
	v_dual_cndmask_b32 v27, v27, v28 :: v_dual_ashrrev_i32 v28, 24, v29
	v_cmp_gt_i16_e32 vcc_lo, 0, v10
	v_and_b32_e32 v10, 0x1ff, v11
	v_mul_i32_i24_e32 v28, v31, v28
	s_delay_alu instid0(VALU_DEP_1) | instskip(NEXT) | instid1(VALU_DEP_1)
	v_sub_nc_u32_e32 v29, 0, v28
	v_cndmask_b32_e32 v34, v28, v29, vcc_lo
	global_load_i8 v35, v32, s[8:9]
	global_load_b128 v[28:31], v[6:7], off offset:20
	global_load_b64 v[32:33], v10, s[2:3] scale_offset
	global_load_u16 v8, v[8:9], off
	global_load_u16 v6, v[6:7], off
	s_wait_loadcnt 0x3
	v_bfe_i32 v36, v28, 0, 8
	s_wait_loadcnt 0x2
	v_and_b32_e32 v38, 0xff, v32
	v_bfe_u32 v39, v32, 8, 8
	v_lshrrev_b32_e32 v10, 24, v32
	v_bfe_u32 v32, v32, 16, 8
	v_lshrrev_b32_e32 v37, 24, v33
	v_mul_i32_i24_e32 v36, v38, v36
	v_and_b32_e32 v38, 1, v35
	s_wait_loadcnt 0x1
	s_wait_xcnt 0x1
	v_cvt_f32_f16_e32 v8, v8
	s_wait_loadcnt 0x0
	v_cvt_f32_f16_e32 v6, v6
	v_cmp_eq_u16_e32 vcc_lo, 0, v38
	s_delay_alu instid0(VALU_DEP_2) | instskip(NEXT) | instid1(VALU_DEP_1)
	v_dual_sub_nc_u32 v38, 0, v36 :: v_dual_mul_f32 v6, v8, v6
	v_cndmask_b32_e32 v36, v38, v36, vcc_lo
	v_bfe_i32 v38, v28, 8, 8
	s_delay_alu instid0(VALU_DEP_3) | instskip(NEXT) | instid1(VALU_DEP_2)
	v_mul_f32_e32 v6, 0x3e800000, v6
	v_mul_i32_i24_e32 v38, v39, v38
	v_and_b32_e32 v39, 2, v35
	s_delay_alu instid0(VALU_DEP_1) | instskip(NEXT) | instid1(VALU_DEP_3)
	v_cmp_eq_u16_e32 vcc_lo, 0, v39
	v_sub_nc_u32_e32 v39, 0, v38
	s_delay_alu instid0(VALU_DEP_1) | instskip(NEXT) | instid1(VALU_DEP_1)
	v_cndmask_b32_e32 v38, v39, v38, vcc_lo
	v_add_nc_u32_e32 v36, v38, v36
	v_bfe_i32 v38, v28, 16, 8
	v_ashrrev_i32_e32 v28, 24, v28
	s_delay_alu instid0(VALU_DEP_2) | instskip(SKIP_1) | instid1(VALU_DEP_3)
	v_mul_i32_i24_e32 v32, v32, v38
	v_and_b32_e32 v38, 4, v35
	v_mul_i32_i24_e32 v10, v10, v28
	v_and_b32_e32 v28, 8, v35
	s_delay_alu instid0(VALU_DEP_3) | instskip(SKIP_1) | instid1(VALU_DEP_1)
	v_cmp_eq_u16_e32 vcc_lo, 0, v38
	v_sub_nc_u32_e32 v38, 0, v32
	v_cndmask_b32_e32 v32, v38, v32, vcc_lo
	s_delay_alu instid0(VALU_DEP_4) | instskip(SKIP_1) | instid1(VALU_DEP_1)
	v_cmp_eq_u16_e32 vcc_lo, 0, v28
	v_sub_nc_u32_e32 v28, 0, v10
	v_cndmask_b32_e32 v10, v28, v10, vcc_lo
	v_bfe_i32 v28, v29, 0, 8
	s_delay_alu instid0(VALU_DEP_2) | instskip(SKIP_2) | instid1(VALU_DEP_2)
	v_add3_u32 v10, v36, v32, v10
	v_and_b32_e32 v32, 0xff, v33
	v_bfe_u32 v36, v33, 8, 8
	v_mul_i32_i24_e32 v28, v32, v28
	v_and_b32_e32 v32, 16, v35
	s_delay_alu instid0(VALU_DEP_1) | instskip(NEXT) | instid1(VALU_DEP_3)
	v_cmp_eq_u16_e32 vcc_lo, 0, v32
	v_sub_nc_u32_e32 v32, 0, v28
	s_delay_alu instid0(VALU_DEP_1) | instskip(SKIP_1) | instid1(VALU_DEP_1)
	v_cndmask_b32_e32 v28, v32, v28, vcc_lo
	v_bfe_i32 v32, v29, 8, 8
	v_mul_i32_i24_e32 v32, v36, v32
	v_and_b32_e32 v36, 32, v35
	s_delay_alu instid0(VALU_DEP_1) | instskip(NEXT) | instid1(VALU_DEP_3)
	v_cmp_eq_u16_e32 vcc_lo, 0, v36
	v_sub_nc_u32_e32 v36, 0, v32
	s_delay_alu instid0(VALU_DEP_1) | instskip(SKIP_1) | instid1(VALU_DEP_2)
	v_cndmask_b32_e32 v32, v36, v32, vcc_lo
	v_cmp_gt_i16_e32 vcc_lo, 0, v11
	v_add3_u32 v10, v10, v28, v32
	v_bfe_i32 v28, v29, 16, 8
	v_bfe_u32 v32, v33, 16, 8
	v_ashrrev_i32_e32 v29, 24, v29
	s_delay_alu instid0(VALU_DEP_2) | instskip(NEXT) | instid1(VALU_DEP_2)
	v_mul_i32_i24_e32 v28, v32, v28
	v_mul_i32_i24_e32 v29, v37, v29
	s_delay_alu instid0(VALU_DEP_2) | instskip(NEXT) | instid1(VALU_DEP_1)
	v_sub_nc_u32_e32 v32, 0, v28
	v_dual_cndmask_b32 v28, v28, v32, vcc_lo :: v_dual_sub_nc_u32 v32, 0, v29
	v_cmp_gt_i16_e32 vcc_lo, 0, v35
	s_delay_alu instid0(VALU_DEP_2) | instskip(SKIP_1) | instid1(VALU_DEP_2)
	v_cndmask_b32_e32 v29, v29, v32, vcc_lo
	v_bfe_i32 v32, v30, 0, 8
	v_add3_u32 v28, v10, v28, v29
	v_dual_lshrrev_b32 v10, 13, v11 :: v_dual_lshrrev_b32 v11, 25, v11
	s_delay_alu instid0(VALU_DEP_1)
	v_and_b32_e32 v10, 0xff8, v10
	global_load_i8 v29, v11, s[8:9]
	global_load_b64 v[10:11], v10, s[2:3]
	s_wait_loadcnt 0x0
	v_and_b32_e32 v36, 0xff, v10
	v_lshrrev_b32_e32 v35, 24, v11
	v_bfe_u32 v37, v10, 8, 8
	v_lshrrev_b32_e32 v33, 24, v10
	v_bfe_u32 v10, v10, 16, 8
	v_mul_i32_i24_e32 v32, v36, v32
	v_and_b32_e32 v36, 1, v29
	s_delay_alu instid0(VALU_DEP_1) | instskip(NEXT) | instid1(VALU_DEP_3)
	v_cmp_eq_u16_e32 vcc_lo, 0, v36
	v_sub_nc_u32_e32 v36, 0, v32
	s_delay_alu instid0(VALU_DEP_1) | instskip(SKIP_1) | instid1(VALU_DEP_1)
	v_cndmask_b32_e32 v32, v36, v32, vcc_lo
	v_bfe_i32 v36, v30, 8, 8
	v_mul_i32_i24_e32 v36, v37, v36
	v_and_b32_e32 v37, 2, v29
	s_delay_alu instid0(VALU_DEP_1) | instskip(NEXT) | instid1(VALU_DEP_3)
	v_cmp_eq_u16_e32 vcc_lo, 0, v37
	v_sub_nc_u32_e32 v37, 0, v36
	s_delay_alu instid0(VALU_DEP_1) | instskip(NEXT) | instid1(VALU_DEP_1)
	v_cndmask_b32_e32 v36, v37, v36, vcc_lo
	v_add3_u32 v28, v28, v32, v36
	v_bfe_i32 v32, v30, 16, 8
	v_ashrrev_i32_e32 v30, 24, v30
	s_delay_alu instid0(VALU_DEP_2) | instskip(SKIP_1) | instid1(VALU_DEP_3)
	v_mul_i32_i24_e32 v10, v10, v32
	v_and_b32_e32 v32, 4, v29
	v_mul_i32_i24_e32 v30, v33, v30
	s_delay_alu instid0(VALU_DEP_2) | instskip(NEXT) | instid1(VALU_DEP_4)
	v_cmp_eq_u16_e32 vcc_lo, 0, v32
	v_sub_nc_u32_e32 v32, 0, v10
	s_delay_alu instid0(VALU_DEP_1) | instskip(NEXT) | instid1(VALU_DEP_1)
	v_dual_cndmask_b32 v10, v32, v10, vcc_lo :: v_dual_bitop2_b32 v32, 8, v29 bitop3:0x40
	v_cmp_eq_u16_e32 vcc_lo, 0, v32
	v_sub_nc_u32_e32 v32, 0, v30
	s_delay_alu instid0(VALU_DEP_1) | instskip(SKIP_1) | instid1(VALU_DEP_2)
	v_cndmask_b32_e32 v30, v32, v30, vcc_lo
	v_bfe_u32 v32, v11, 8, 8
	v_add3_u32 v10, v28, v10, v30
	v_bfe_i32 v28, v31, 0, 8
	v_and_b32_e32 v30, 0xff, v11
	v_bfe_u32 v11, v11, 16, 8
	s_delay_alu instid0(VALU_DEP_2) | instskip(SKIP_1) | instid1(VALU_DEP_1)
	v_mul_i32_i24_e32 v28, v30, v28
	v_and_b32_e32 v30, 16, v29
	v_cmp_eq_u16_e32 vcc_lo, 0, v30
	s_delay_alu instid0(VALU_DEP_3) | instskip(NEXT) | instid1(VALU_DEP_1)
	v_sub_nc_u32_e32 v30, 0, v28
	v_cndmask_b32_e32 v28, v30, v28, vcc_lo
	v_bfe_i32 v30, v31, 8, 8
	s_delay_alu instid0(VALU_DEP_1) | instskip(SKIP_1) | instid1(VALU_DEP_1)
	v_mul_i32_i24_e32 v30, v32, v30
	v_and_b32_e32 v32, 32, v29
	v_cmp_eq_u16_e32 vcc_lo, 0, v32
	s_delay_alu instid0(VALU_DEP_3) | instskip(NEXT) | instid1(VALU_DEP_1)
	v_sub_nc_u32_e32 v32, 0, v30
	v_cndmask_b32_e32 v30, v32, v30, vcc_lo
	v_cmp_gt_i16_e32 vcc_lo, 0, v19
	v_ashrrev_i32_e32 v19, 24, v31
	s_delay_alu instid0(VALU_DEP_3) | instskip(SKIP_1) | instid1(VALU_DEP_3)
	v_add3_u32 v10, v10, v28, v30
	v_bfe_i32 v28, v31, 16, 8
	v_mul_i32_i24_e32 v19, v35, v19
	s_delay_alu instid0(VALU_DEP_2) | instskip(NEXT) | instid1(VALU_DEP_1)
	v_mul_i32_i24_e32 v11, v11, v28
	v_sub_nc_u32_e32 v28, 0, v11
	s_delay_alu instid0(VALU_DEP_1) | instskip(SKIP_1) | instid1(VALU_DEP_2)
	v_dual_cndmask_b32 v11, v11, v28 :: v_dual_sub_nc_u32 v28, 0, v19
	v_cmp_gt_i16_e32 vcc_lo, 0, v29
	v_cndmask_b32_e32 v19, v19, v28, vcc_lo
	v_cmp_le_u32_e32 vcc_lo, s12, v14
	s_delay_alu instid0(VALU_DEP_2) | instskip(SKIP_2) | instid1(VALU_DEP_2)
	v_add3_u32 v10, v10, v11, v19
	v_add3_u32 v11, v20, v21, v22
	s_or_b32 s4, vcc_lo, s4
	v_cvt_f32_i32_e32 v10, v10
	s_delay_alu instid0(VALU_DEP_2) | instskip(NEXT) | instid1(VALU_DEP_1)
	v_add3_u32 v11, v11, v23, v24
	v_add3_u32 v11, v11, v25, v26
	s_delay_alu instid0(VALU_DEP_1) | instskip(SKIP_2) | instid1(VALU_DEP_3)
	v_add3_u32 v19, v11, v27, v34
	v_lshrrev_b16 v11, 4, v18
	v_and_b32_e32 v18, 15, v18
	v_cvt_f32_i32_e32 v8, v19
	s_delay_alu instid0(VALU_DEP_3) | instskip(NEXT) | instid1(VALU_DEP_3)
	v_cvt_f32_ubyte0_e32 v9, v11
	v_cvt_f32_ubyte0_e32 v7, v18
	s_delay_alu instid0(VALU_DEP_1) | instskip(NEXT) | instid1(VALU_DEP_1)
	v_dual_add_f32 v9, 0.5, v9 :: v_dual_add_f32 v7, 0.5, v7
	v_mul_f32_e32 v9, v9, v10
	s_delay_alu instid0(VALU_DEP_1) | instskip(NEXT) | instid1(VALU_DEP_1)
	v_fmac_f32_e32 v9, v7, v8
	v_fmac_f32_e32 v15, v6, v9
	s_and_not1_b32 exec_lo, exec_lo, s4
	s_cbranch_execnz .LBB89_3
; %bb.4:
	s_or_b32 exec_lo, exec_lo, s4
.LBB89_5:
	s_delay_alu instid0(SALU_CYCLE_1) | instskip(SKIP_1) | instid1(VALU_DEP_1)
	s_or_b32 exec_lo, exec_lo, s11
	v_mbcnt_lo_u32_b32 v0, -1, 0
	v_xor_b32_e32 v2, 8, v0
	v_xor_b32_e32 v1, 16, v0
	;; [unrolled: 1-line block ×3, first 2 shown]
	s_delay_alu instid0(VALU_DEP_2) | instskip(SKIP_4) | instid1(VALU_DEP_2)
	v_cmp_gt_i32_e32 vcc_lo, 32, v1
	v_cndmask_b32_e32 v1, v0, v1, vcc_lo
	v_cmp_gt_i32_e32 vcc_lo, 32, v2
	v_cndmask_b32_e32 v2, v0, v2, vcc_lo
	v_cmp_gt_i32_e32 vcc_lo, 32, v3
	v_dual_lshlrev_b32 v2, 2, v2 :: v_dual_lshlrev_b32 v1, 2, v1
	ds_bpermute_b32 v1, v1, v15
	s_wait_dscnt 0x0
	v_add_f32_e32 v1, v15, v1
	ds_bpermute_b32 v2, v2, v1
	s_wait_dscnt 0x0
	v_dual_cndmask_b32 v3, v0, v3, vcc_lo :: v_dual_add_f32 v1, v1, v2
	s_delay_alu instid0(VALU_DEP_1) | instskip(SKIP_3) | instid1(VALU_DEP_1)
	v_lshlrev_b32_e32 v3, 2, v3
	ds_bpermute_b32 v2, v3, v1
	s_wait_dscnt 0x0
	v_dual_add_f32 v1, v1, v2 :: v_dual_bitop2_b32 v3, 2, v0 bitop3:0x14
	v_cmp_gt_i32_e32 vcc_lo, 32, v3
	v_cndmask_b32_e32 v3, v0, v3, vcc_lo
	s_delay_alu instid0(VALU_DEP_1) | instskip(SKIP_2) | instid1(VALU_DEP_1)
	v_lshlrev_b32_e32 v3, 2, v3
	ds_bpermute_b32 v2, v3, v1
	v_xor_b32_e32 v3, 1, v0
	v_cmp_gt_i32_e32 vcc_lo, 32, v3
	v_cndmask_b32_e32 v3, v0, v3, vcc_lo
	v_cmp_eq_u32_e32 vcc_lo, 0, v13
	s_wait_dscnt 0x0
	s_delay_alu instid0(VALU_DEP_2)
	v_dual_add_f32 v0, v1, v2 :: v_dual_lshlrev_b32 v1, 2, v3
	ds_bpermute_b32 v1, v1, v0
	s_and_b32 exec_lo, exec_lo, vcc_lo
	s_cbranch_execz .LBB89_7
; %bb.6:
	v_mad_u32 v2, s5, s10, v12
	s_wait_dscnt 0x0
	v_add_f32_e32 v0, v0, v1
	s_delay_alu instid0(VALU_DEP_1)
	v_cvt_f16_f32_e32 v0, v0
	s_wait_kmcnt 0x0
	global_store_b16 v2, v0, s[6:7] scale_offset
.LBB89_7:
	s_endpgm
	.section	.rodata,"a",@progbits
	.p2align	6, 0x0
	.amdhsa_kernel _ZL13mul_mat_vec_qIN3c104HalfELi256ELi8E12block_iq2_xsLi1EXadL_ZL19vec_dot_iq2_xs_q8_1PKvPK10block_q8_1RKiEEEvS4_S4_PT_iii
		.amdhsa_group_segment_fixed_size 0
		.amdhsa_private_segment_fixed_size 0
		.amdhsa_kernarg_size 296
		.amdhsa_user_sgpr_count 2
		.amdhsa_user_sgpr_dispatch_ptr 0
		.amdhsa_user_sgpr_queue_ptr 0
		.amdhsa_user_sgpr_kernarg_segment_ptr 1
		.amdhsa_user_sgpr_dispatch_id 0
		.amdhsa_user_sgpr_kernarg_preload_length 0
		.amdhsa_user_sgpr_kernarg_preload_offset 0
		.amdhsa_user_sgpr_private_segment_size 0
		.amdhsa_wavefront_size32 1
		.amdhsa_uses_dynamic_stack 0
		.amdhsa_enable_private_segment 0
		.amdhsa_system_sgpr_workgroup_id_x 1
		.amdhsa_system_sgpr_workgroup_id_y 1
		.amdhsa_system_sgpr_workgroup_id_z 0
		.amdhsa_system_sgpr_workgroup_info 0
		.amdhsa_system_vgpr_workitem_id 1
		.amdhsa_next_free_vgpr 40
		.amdhsa_next_free_sgpr 13
		.amdhsa_named_barrier_count 0
		.amdhsa_reserve_vcc 1
		.amdhsa_float_round_mode_32 0
		.amdhsa_float_round_mode_16_64 0
		.amdhsa_float_denorm_mode_32 3
		.amdhsa_float_denorm_mode_16_64 3
		.amdhsa_fp16_overflow 0
		.amdhsa_memory_ordered 1
		.amdhsa_forward_progress 1
		.amdhsa_inst_pref_size 20
		.amdhsa_round_robin_scheduling 0
		.amdhsa_exception_fp_ieee_invalid_op 0
		.amdhsa_exception_fp_denorm_src 0
		.amdhsa_exception_fp_ieee_div_zero 0
		.amdhsa_exception_fp_ieee_overflow 0
		.amdhsa_exception_fp_ieee_underflow 0
		.amdhsa_exception_fp_ieee_inexact 0
		.amdhsa_exception_int_div_zero 0
	.end_amdhsa_kernel
	.section	.text._ZL13mul_mat_vec_qIN3c104HalfELi256ELi8E12block_iq2_xsLi1EXadL_ZL19vec_dot_iq2_xs_q8_1PKvPK10block_q8_1RKiEEEvS4_S4_PT_iii,"axG",@progbits,_ZL13mul_mat_vec_qIN3c104HalfELi256ELi8E12block_iq2_xsLi1EXadL_ZL19vec_dot_iq2_xs_q8_1PKvPK10block_q8_1RKiEEEvS4_S4_PT_iii,comdat
.Lfunc_end89:
	.size	_ZL13mul_mat_vec_qIN3c104HalfELi256ELi8E12block_iq2_xsLi1EXadL_ZL19vec_dot_iq2_xs_q8_1PKvPK10block_q8_1RKiEEEvS4_S4_PT_iii, .Lfunc_end89-_ZL13mul_mat_vec_qIN3c104HalfELi256ELi8E12block_iq2_xsLi1EXadL_ZL19vec_dot_iq2_xs_q8_1PKvPK10block_q8_1RKiEEEvS4_S4_PT_iii
                                        ; -- End function
	.set _ZL13mul_mat_vec_qIN3c104HalfELi256ELi8E12block_iq2_xsLi1EXadL_ZL19vec_dot_iq2_xs_q8_1PKvPK10block_q8_1RKiEEEvS4_S4_PT_iii.num_vgpr, 40
	.set _ZL13mul_mat_vec_qIN3c104HalfELi256ELi8E12block_iq2_xsLi1EXadL_ZL19vec_dot_iq2_xs_q8_1PKvPK10block_q8_1RKiEEEvS4_S4_PT_iii.num_agpr, 0
	.set _ZL13mul_mat_vec_qIN3c104HalfELi256ELi8E12block_iq2_xsLi1EXadL_ZL19vec_dot_iq2_xs_q8_1PKvPK10block_q8_1RKiEEEvS4_S4_PT_iii.numbered_sgpr, 13
	.set _ZL13mul_mat_vec_qIN3c104HalfELi256ELi8E12block_iq2_xsLi1EXadL_ZL19vec_dot_iq2_xs_q8_1PKvPK10block_q8_1RKiEEEvS4_S4_PT_iii.num_named_barrier, 0
	.set _ZL13mul_mat_vec_qIN3c104HalfELi256ELi8E12block_iq2_xsLi1EXadL_ZL19vec_dot_iq2_xs_q8_1PKvPK10block_q8_1RKiEEEvS4_S4_PT_iii.private_seg_size, 0
	.set _ZL13mul_mat_vec_qIN3c104HalfELi256ELi8E12block_iq2_xsLi1EXadL_ZL19vec_dot_iq2_xs_q8_1PKvPK10block_q8_1RKiEEEvS4_S4_PT_iii.uses_vcc, 1
	.set _ZL13mul_mat_vec_qIN3c104HalfELi256ELi8E12block_iq2_xsLi1EXadL_ZL19vec_dot_iq2_xs_q8_1PKvPK10block_q8_1RKiEEEvS4_S4_PT_iii.uses_flat_scratch, 0
	.set _ZL13mul_mat_vec_qIN3c104HalfELi256ELi8E12block_iq2_xsLi1EXadL_ZL19vec_dot_iq2_xs_q8_1PKvPK10block_q8_1RKiEEEvS4_S4_PT_iii.has_dyn_sized_stack, 0
	.set _ZL13mul_mat_vec_qIN3c104HalfELi256ELi8E12block_iq2_xsLi1EXadL_ZL19vec_dot_iq2_xs_q8_1PKvPK10block_q8_1RKiEEEvS4_S4_PT_iii.has_recursion, 0
	.set _ZL13mul_mat_vec_qIN3c104HalfELi256ELi8E12block_iq2_xsLi1EXadL_ZL19vec_dot_iq2_xs_q8_1PKvPK10block_q8_1RKiEEEvS4_S4_PT_iii.has_indirect_call, 0
	.section	.AMDGPU.csdata,"",@progbits
; Kernel info:
; codeLenInByte = 2496
; TotalNumSgprs: 15
; NumVgprs: 40
; ScratchSize: 0
; MemoryBound: 0
; FloatMode: 240
; IeeeMode: 1
; LDSByteSize: 0 bytes/workgroup (compile time only)
; SGPRBlocks: 0
; VGPRBlocks: 2
; NumSGPRsForWavesPerEU: 15
; NumVGPRsForWavesPerEU: 40
; NamedBarCnt: 0
; Occupancy: 16
; WaveLimiterHint : 0
; COMPUTE_PGM_RSRC2:SCRATCH_EN: 0
; COMPUTE_PGM_RSRC2:USER_SGPR: 2
; COMPUTE_PGM_RSRC2:TRAP_HANDLER: 0
; COMPUTE_PGM_RSRC2:TGID_X_EN: 1
; COMPUTE_PGM_RSRC2:TGID_Y_EN: 1
; COMPUTE_PGM_RSRC2:TGID_Z_EN: 0
; COMPUTE_PGM_RSRC2:TIDIG_COMP_CNT: 1
	.section	.text._ZL13mul_mat_vec_qIN3c104HalfELi256ELi8E13block_iq3_xxsLi1EXadL_ZL20vec_dot_iq3_xxs_q8_1PKvPK10block_q8_1RKiEEEvS4_S4_PT_iii,"axG",@progbits,_ZL13mul_mat_vec_qIN3c104HalfELi256ELi8E13block_iq3_xxsLi1EXadL_ZL20vec_dot_iq3_xxs_q8_1PKvPK10block_q8_1RKiEEEvS4_S4_PT_iii,comdat
	.globl	_ZL13mul_mat_vec_qIN3c104HalfELi256ELi8E13block_iq3_xxsLi1EXadL_ZL20vec_dot_iq3_xxs_q8_1PKvPK10block_q8_1RKiEEEvS4_S4_PT_iii ; -- Begin function _ZL13mul_mat_vec_qIN3c104HalfELi256ELi8E13block_iq3_xxsLi1EXadL_ZL20vec_dot_iq3_xxs_q8_1PKvPK10block_q8_1RKiEEEvS4_S4_PT_iii
	.p2align	8
	.type	_ZL13mul_mat_vec_qIN3c104HalfELi256ELi8E13block_iq3_xxsLi1EXadL_ZL20vec_dot_iq3_xxs_q8_1PKvPK10block_q8_1RKiEEEvS4_S4_PT_iii,@function
_ZL13mul_mat_vec_qIN3c104HalfELi256ELi8E13block_iq3_xxsLi1EXadL_ZL20vec_dot_iq3_xxs_q8_1PKvPK10block_q8_1RKiEEEvS4_S4_PT_iii: ; @_ZL13mul_mat_vec_qIN3c104HalfELi256ELi8E13block_iq3_xxsLi1EXadL_ZL20vec_dot_iq3_xxs_q8_1PKvPK10block_q8_1RKiEEEvS4_S4_PT_iii
; %bb.0:
	s_clause 0x1
	s_load_u16 s2, s[0:1], 0x36
	s_load_b96 s[4:6], s[0:1], 0x18
	s_bfe_u32 s7, ttmp6, 0x4000c
	s_bfe_u32 s8, ttmp6, 0x40010
	s_add_co_i32 s7, s7, 1
	s_add_co_i32 s8, s8, 1
	s_and_b32 s3, ttmp6, 15
	s_mul_i32 s7, ttmp9, s7
	s_mul_i32 s8, ttmp7, s8
	s_bfe_u32 s9, ttmp6, 0x40004
	s_add_co_i32 s3, s3, s7
	s_getreg_b32 s7, hwreg(HW_REG_IB_STS2, 6, 4)
	s_add_co_i32 s9, s9, s8
	v_bfe_u32 v1, v0, 10, 10
	s_cmp_eq_u32 s7, 0
	s_cselect_b32 s3, ttmp9, s3
	s_cselect_b32 s12, ttmp7, s9
	s_wait_kmcnt 0x0
	v_mad_u32 v14, s3, s2, v1
	s_cmp_lt_u32 s12, s6
	s_cselect_b32 s2, -1, 0
	s_delay_alu instid0(VALU_DEP_1) | instskip(SKIP_1) | instid1(SALU_CYCLE_1)
	v_cmp_gt_u32_e32 vcc_lo, s5, v14
	s_and_b32 s2, s2, vcc_lo
	s_and_saveexec_b32 s3, s2
	s_cbranch_execz .LBB90_9
; %bb.1:
	s_load_b64 s[6:7], s[0:1], 0x10
	s_ashr_i32 s2, s4, 31
	v_bfe_u32 v16, v0, 3, 7
	s_lshr_b32 s2, s2, 24
	v_and_b32_e32 v15, 0x3ff, v0
	v_mov_b32_e32 v18, 0
	s_add_co_i32 s2, s4, s2
	s_mov_b32 s13, exec_lo
	s_ashr_i32 s14, s2, 8
	s_delay_alu instid0(SALU_CYCLE_1)
	v_cmpx_gt_u32_e64 s14, v16
	s_cbranch_execz .LBB90_7
; %bb.2:
	s_wait_xcnt 0x0
	s_load_b128 s[0:3], s[0:1], 0x0
	v_dual_mov_b32 v1, 0 :: v_dual_bitop2_b32 v4, 7, v15 bitop3:0x40
	s_addk_co_i32 s4, 0x1ff
	v_mul_lo_u32 v17, v14, s14
	s_ashr_i32 s8, s4, 31
	s_delay_alu instid0(VALU_DEP_2)
	v_lshlrev_b32_e32 v0, 3, v4
	s_lshr_b32 s8, s8, 23
	v_mov_b32_e32 v18, v1
	s_add_co_i32 s4, s4, s8
	s_mov_b32 s15, 0
	s_get_pc_i64 s[8:9]
	s_add_nc_u64 s[8:9], s[8:9], _ZL8ksigns64@rel64+4
	s_wait_kmcnt 0x0
	v_mad_nc_u64_u32 v[2:3], v4, 36, s[2:3]
	v_lshlrev_b32_e32 v4, 1, v4
	v_add_nc_u64_e32 v[6:7], s[0:1], v[0:1]
	s_ashr_i32 s2, s4, 9
	v_add_nc_u32_e32 v19, v16, v17
	s_mul_i32 s2, s12, s2
	v_lshlrev_b32_e32 v0, 1, v4
	s_lshl_b32 s4, s2, 4
	s_get_pc_i64 s[2:3]
	s_add_nc_u64 s[2:3], s[2:3], _ZL11iq3xxs_grid@rel64+4
	v_add_nc_u64_e32 v[4:5], 2, v[6:7]
	v_lshl_add_u32 v20, v16, 3, s4
	v_add_nc_u64_e32 v[6:7], 4, v[2:3]
.LBB90_3:                               ; =>This Loop Header: Depth=1
                                        ;     Child Loop BB90_4 Depth 2
	v_dual_mov_b32 v21, 0 :: v_dual_add_nc_u32 v8, v16, v17
	s_delay_alu instid0(VALU_DEP_4) | instskip(SKIP_1) | instid1(VALU_DEP_2)
	v_mad_nc_i64_i32 v[12:13], 0x62, v19, v[4:5]
	s_mov_b64 s[10:11], 0
	v_mad_nc_i64_i32 v[8:9], 0x62, v8, s[0:1]
	s_delay_alu instid0(VALU_DEP_1)
	v_add_nc_u64_e32 v[10:11], v[8:9], v[0:1]
	global_load_b32 v22, v[10:11], off offset:66
	s_wait_xcnt 0x0
	v_mad_nc_i64_i32 v[10:11], v20, 36, v[6:7]
.LBB90_4:                               ;   Parent Loop BB90_3 Depth=1
                                        ; =>  This Inner Loop Header: Depth=2
	global_load_u16 v23, v[12:13], off
	s_wait_loadcnt 0x1
	v_and_b32_e32 v26, 0x7f, v22
	v_add_nc_u64_e32 v[24:25], s[10:11], v[10:11]
	s_wait_xcnt 0x0
	v_add_nc_u64_e32 v[12:13], 2, v[12:13]
	v_lshrrev_b32_e32 v22, 7, v22
	s_add_nc_u64 s[10:11], s[10:11], 8
	global_load_b64 v[26:27], v26, s[8:9] scale_offset
	s_cmp_lg_u32 s10, 32
	s_wait_loadcnt 0x1
	v_lshrrev_b16 v28, 8, v23
	v_and_b32_e32 v23, 0xff, v23
	s_delay_alu instid0(VALU_DEP_2)
	v_and_b32_e32 v30, 0xffff, v28
	s_wait_loadcnt 0x0
	v_and_b32_e32 v33, 0xff0000, v27
	v_and_b32_e32 v34, 0xff00, v27
	s_clause 0x1
	global_load_b32 v31, v23, s[2:3] scale_offset
	global_load_b32 v32, v30, s[2:3] scale_offset
	global_load_b64 v[28:29], v[24:25], off
	s_wait_xcnt 0x0
	v_and_b32_e32 v24, 0xff0000, v26
	v_and_b32_e32 v23, 0xff000000, v26
	;; [unrolled: 1-line block ×4, first 2 shown]
	s_wait_loadcnt 0x1
	v_xor_b32_e32 v32, v27, v32
	v_xor_b32_e32 v31, v26, v31
	s_wait_loadcnt 0x0
	v_lshrrev_b16 v35, 8, v28
	v_lshrrev_b16 v36, 8, v29
	v_dual_ashrrev_i32 v37, 24, v28 :: v_dual_ashrrev_i32 v39, 24, v29
	v_dual_sub_nc_u32 v24, v31, v24 :: v_dual_sub_nc_u32 v26, v31, v26
	v_bfe_i32 v38, v28, 16, 8
	v_bfe_i32 v28, v28, 0, 8
	;; [unrolled: 1-line block ×4, first 2 shown]
	v_perm_b32 v24, v24, v26, 0xc060c00
	v_dual_sub_nc_u32 v26, v32, v33 :: v_dual_sub_nc_u32 v23, v31, v23
	v_sub_nc_u32_e32 v25, v31, v25
	v_bfe_i32 v35, v35, 0, 8
	v_bfe_i32 v36, v36, 0, 8
	s_delay_alu instid0(VALU_DEP_4) | instskip(SKIP_3) | instid1(VALU_DEP_3)
	v_ashrrev_i32_e32 v23, 24, v23
	v_dual_sub_nc_u32 v27, v32, v27 :: v_dual_sub_nc_u32 v31, v32, v34
	v_sub_nc_u32_e32 v30, v32, v30
	v_lshrrev_b16 v25, 8, v25
	v_perm_b32 v26, v26, v27, 0xc060c00
	s_delay_alu instid0(VALU_DEP_4)
	v_lshrrev_b16 v27, 8, v31
	v_bfe_i32 v31, v24, 0, 8
	v_ashrrev_i32_e32 v30, 24, v30
	v_bfe_i32 v24, v24, 16, 8
	v_bfe_i32 v32, v26, 16, 8
	;; [unrolled: 1-line block ×3, first 2 shown]
	v_mul_i32_i24_e32 v28, v31, v28
	v_bfe_i32 v26, v26, 0, 8
	v_bfe_i32 v27, v27, 0, 8
	v_mul_i32_i24_e32 v30, v30, v39
	v_mul_i32_i24_e32 v31, v32, v40
	;; [unrolled: 1-line block ×5, first 2 shown]
	v_mad_i32_i24 v23, v23, v37, v30
	v_mad_i32_i24 v24, v24, v38, v31
	s_delay_alu instid0(VALU_DEP_2) | instskip(NEXT) | instid1(VALU_DEP_2)
	v_add3_u32 v23, v25, v27, v23
	v_add3_u32 v24, v28, v26, v24
	s_delay_alu instid0(VALU_DEP_1)
	v_add3_u32 v21, v24, v23, v21
	s_cbranch_scc1 .LBB90_4
; %bb.5:                                ;   in Loop: Header=BB90_3 Depth=1
	v_lshl_add_u32 v10, v16, 3, s4
	v_dual_add_nc_u32 v19, 4, v19 :: v_dual_add_nc_u32 v16, 4, v16
	v_add_nc_u32_e32 v20, 32, v20
	s_delay_alu instid0(VALU_DEP_3)
	v_mad_nc_i64_i32 v[10:11], v10, 36, v[2:3]
	global_load_u16 v12, v[8:9], off
	global_load_b32 v13, v[10:11], off
	s_wait_xcnt 0x1
	v_cvt_f32_u32_e32 v8, v22
	v_cmp_le_u32_e32 vcc_lo, s14, v16
	s_delay_alu instid0(VALU_DEP_2) | instskip(SKIP_3) | instid1(VALU_DEP_1)
	v_add_f32_e32 v8, 0.5, v8
	s_or_b32 s15, vcc_lo, s15
	s_wait_loadcnt 0x1
	v_cvt_f32_f16_e32 v9, v12
	v_mul_f32_e32 v8, v8, v9
	s_wait_loadcnt 0x0
	v_cvt_f32_f16_e32 v9, v13
	s_delay_alu instid0(VALU_DEP_1) | instskip(SKIP_1) | instid1(VALU_DEP_2)
	v_mul_f32_e32 v8, v8, v9
	v_cvt_f32_i32_e32 v9, v21
	v_mul_f32_e32 v8, 0.5, v8
	s_delay_alu instid0(VALU_DEP_1)
	v_fmac_f32_e32 v18, v8, v9
	s_and_not1_b32 exec_lo, exec_lo, s15
	s_cbranch_execnz .LBB90_3
; %bb.6:
	s_or_b32 exec_lo, exec_lo, s15
.LBB90_7:
	s_delay_alu instid0(SALU_CYCLE_1) | instskip(SKIP_1) | instid1(VALU_DEP_1)
	s_or_b32 exec_lo, exec_lo, s13
	v_mbcnt_lo_u32_b32 v0, -1, 0
	v_xor_b32_e32 v2, 8, v0
	v_xor_b32_e32 v1, 16, v0
	;; [unrolled: 1-line block ×3, first 2 shown]
	s_delay_alu instid0(VALU_DEP_2) | instskip(SKIP_4) | instid1(VALU_DEP_2)
	v_cmp_gt_i32_e32 vcc_lo, 32, v1
	v_cndmask_b32_e32 v1, v0, v1, vcc_lo
	v_cmp_gt_i32_e32 vcc_lo, 32, v2
	v_cndmask_b32_e32 v2, v0, v2, vcc_lo
	v_cmp_gt_i32_e32 vcc_lo, 32, v3
	v_dual_lshlrev_b32 v2, 2, v2 :: v_dual_lshlrev_b32 v1, 2, v1
	ds_bpermute_b32 v1, v1, v18
	s_wait_dscnt 0x0
	v_add_f32_e32 v1, v18, v1
	ds_bpermute_b32 v2, v2, v1
	s_wait_dscnt 0x0
	v_dual_cndmask_b32 v3, v0, v3, vcc_lo :: v_dual_add_f32 v1, v1, v2
	s_delay_alu instid0(VALU_DEP_1) | instskip(SKIP_3) | instid1(VALU_DEP_1)
	v_lshlrev_b32_e32 v3, 2, v3
	ds_bpermute_b32 v2, v3, v1
	s_wait_dscnt 0x0
	v_dual_add_f32 v1, v1, v2 :: v_dual_bitop2_b32 v3, 2, v0 bitop3:0x14
	v_cmp_gt_i32_e32 vcc_lo, 32, v3
	v_cndmask_b32_e32 v3, v0, v3, vcc_lo
	s_delay_alu instid0(VALU_DEP_1) | instskip(SKIP_2) | instid1(VALU_DEP_1)
	v_lshlrev_b32_e32 v3, 2, v3
	ds_bpermute_b32 v2, v3, v1
	v_xor_b32_e32 v3, 1, v0
	v_cmp_gt_i32_e32 vcc_lo, 32, v3
	v_cndmask_b32_e32 v3, v0, v3, vcc_lo
	v_cmp_eq_u32_e32 vcc_lo, 0, v15
	s_wait_dscnt 0x0
	s_delay_alu instid0(VALU_DEP_2)
	v_dual_add_f32 v0, v1, v2 :: v_dual_lshlrev_b32 v1, 2, v3
	ds_bpermute_b32 v1, v1, v0
	s_and_b32 exec_lo, exec_lo, vcc_lo
	s_cbranch_execz .LBB90_9
; %bb.8:
	v_mad_u32 v2, s5, s12, v14
	s_wait_dscnt 0x0
	v_add_f32_e32 v0, v0, v1
	s_delay_alu instid0(VALU_DEP_1)
	v_cvt_f16_f32_e32 v0, v0
	s_wait_kmcnt 0x0
	global_store_b16 v2, v0, s[6:7] scale_offset
.LBB90_9:
	s_endpgm
	.section	.rodata,"a",@progbits
	.p2align	6, 0x0
	.amdhsa_kernel _ZL13mul_mat_vec_qIN3c104HalfELi256ELi8E13block_iq3_xxsLi1EXadL_ZL20vec_dot_iq3_xxs_q8_1PKvPK10block_q8_1RKiEEEvS4_S4_PT_iii
		.amdhsa_group_segment_fixed_size 0
		.amdhsa_private_segment_fixed_size 0
		.amdhsa_kernarg_size 296
		.amdhsa_user_sgpr_count 2
		.amdhsa_user_sgpr_dispatch_ptr 0
		.amdhsa_user_sgpr_queue_ptr 0
		.amdhsa_user_sgpr_kernarg_segment_ptr 1
		.amdhsa_user_sgpr_dispatch_id 0
		.amdhsa_user_sgpr_kernarg_preload_length 0
		.amdhsa_user_sgpr_kernarg_preload_offset 0
		.amdhsa_user_sgpr_private_segment_size 0
		.amdhsa_wavefront_size32 1
		.amdhsa_uses_dynamic_stack 0
		.amdhsa_enable_private_segment 0
		.amdhsa_system_sgpr_workgroup_id_x 1
		.amdhsa_system_sgpr_workgroup_id_y 1
		.amdhsa_system_sgpr_workgroup_id_z 0
		.amdhsa_system_sgpr_workgroup_info 0
		.amdhsa_system_vgpr_workitem_id 1
		.amdhsa_next_free_vgpr 41
		.amdhsa_next_free_sgpr 16
		.amdhsa_named_barrier_count 0
		.amdhsa_reserve_vcc 1
		.amdhsa_float_round_mode_32 0
		.amdhsa_float_round_mode_16_64 0
		.amdhsa_float_denorm_mode_32 3
		.amdhsa_float_denorm_mode_16_64 3
		.amdhsa_fp16_overflow 0
		.amdhsa_memory_ordered 1
		.amdhsa_forward_progress 1
		.amdhsa_inst_pref_size 11
		.amdhsa_round_robin_scheduling 0
		.amdhsa_exception_fp_ieee_invalid_op 0
		.amdhsa_exception_fp_denorm_src 0
		.amdhsa_exception_fp_ieee_div_zero 0
		.amdhsa_exception_fp_ieee_overflow 0
		.amdhsa_exception_fp_ieee_underflow 0
		.amdhsa_exception_fp_ieee_inexact 0
		.amdhsa_exception_int_div_zero 0
	.end_amdhsa_kernel
	.section	.text._ZL13mul_mat_vec_qIN3c104HalfELi256ELi8E13block_iq3_xxsLi1EXadL_ZL20vec_dot_iq3_xxs_q8_1PKvPK10block_q8_1RKiEEEvS4_S4_PT_iii,"axG",@progbits,_ZL13mul_mat_vec_qIN3c104HalfELi256ELi8E13block_iq3_xxsLi1EXadL_ZL20vec_dot_iq3_xxs_q8_1PKvPK10block_q8_1RKiEEEvS4_S4_PT_iii,comdat
.Lfunc_end90:
	.size	_ZL13mul_mat_vec_qIN3c104HalfELi256ELi8E13block_iq3_xxsLi1EXadL_ZL20vec_dot_iq3_xxs_q8_1PKvPK10block_q8_1RKiEEEvS4_S4_PT_iii, .Lfunc_end90-_ZL13mul_mat_vec_qIN3c104HalfELi256ELi8E13block_iq3_xxsLi1EXadL_ZL20vec_dot_iq3_xxs_q8_1PKvPK10block_q8_1RKiEEEvS4_S4_PT_iii
                                        ; -- End function
	.set _ZL13mul_mat_vec_qIN3c104HalfELi256ELi8E13block_iq3_xxsLi1EXadL_ZL20vec_dot_iq3_xxs_q8_1PKvPK10block_q8_1RKiEEEvS4_S4_PT_iii.num_vgpr, 41
	.set _ZL13mul_mat_vec_qIN3c104HalfELi256ELi8E13block_iq3_xxsLi1EXadL_ZL20vec_dot_iq3_xxs_q8_1PKvPK10block_q8_1RKiEEEvS4_S4_PT_iii.num_agpr, 0
	.set _ZL13mul_mat_vec_qIN3c104HalfELi256ELi8E13block_iq3_xxsLi1EXadL_ZL20vec_dot_iq3_xxs_q8_1PKvPK10block_q8_1RKiEEEvS4_S4_PT_iii.numbered_sgpr, 16
	.set _ZL13mul_mat_vec_qIN3c104HalfELi256ELi8E13block_iq3_xxsLi1EXadL_ZL20vec_dot_iq3_xxs_q8_1PKvPK10block_q8_1RKiEEEvS4_S4_PT_iii.num_named_barrier, 0
	.set _ZL13mul_mat_vec_qIN3c104HalfELi256ELi8E13block_iq3_xxsLi1EXadL_ZL20vec_dot_iq3_xxs_q8_1PKvPK10block_q8_1RKiEEEvS4_S4_PT_iii.private_seg_size, 0
	.set _ZL13mul_mat_vec_qIN3c104HalfELi256ELi8E13block_iq3_xxsLi1EXadL_ZL20vec_dot_iq3_xxs_q8_1PKvPK10block_q8_1RKiEEEvS4_S4_PT_iii.uses_vcc, 1
	.set _ZL13mul_mat_vec_qIN3c104HalfELi256ELi8E13block_iq3_xxsLi1EXadL_ZL20vec_dot_iq3_xxs_q8_1PKvPK10block_q8_1RKiEEEvS4_S4_PT_iii.uses_flat_scratch, 0
	.set _ZL13mul_mat_vec_qIN3c104HalfELi256ELi8E13block_iq3_xxsLi1EXadL_ZL20vec_dot_iq3_xxs_q8_1PKvPK10block_q8_1RKiEEEvS4_S4_PT_iii.has_dyn_sized_stack, 0
	.set _ZL13mul_mat_vec_qIN3c104HalfELi256ELi8E13block_iq3_xxsLi1EXadL_ZL20vec_dot_iq3_xxs_q8_1PKvPK10block_q8_1RKiEEEvS4_S4_PT_iii.has_recursion, 0
	.set _ZL13mul_mat_vec_qIN3c104HalfELi256ELi8E13block_iq3_xxsLi1EXadL_ZL20vec_dot_iq3_xxs_q8_1PKvPK10block_q8_1RKiEEEvS4_S4_PT_iii.has_indirect_call, 0
	.section	.AMDGPU.csdata,"",@progbits
; Kernel info:
; codeLenInByte = 1320
; TotalNumSgprs: 18
; NumVgprs: 41
; ScratchSize: 0
; MemoryBound: 0
; FloatMode: 240
; IeeeMode: 1
; LDSByteSize: 0 bytes/workgroup (compile time only)
; SGPRBlocks: 0
; VGPRBlocks: 2
; NumSGPRsForWavesPerEU: 18
; NumVGPRsForWavesPerEU: 41
; NamedBarCnt: 0
; Occupancy: 16
; WaveLimiterHint : 0
; COMPUTE_PGM_RSRC2:SCRATCH_EN: 0
; COMPUTE_PGM_RSRC2:USER_SGPR: 2
; COMPUTE_PGM_RSRC2:TRAP_HANDLER: 0
; COMPUTE_PGM_RSRC2:TGID_X_EN: 1
; COMPUTE_PGM_RSRC2:TGID_Y_EN: 1
; COMPUTE_PGM_RSRC2:TGID_Z_EN: 0
; COMPUTE_PGM_RSRC2:TIDIG_COMP_CNT: 1
	.section	.text._ZL13mul_mat_vec_qIN3c104HalfELi256ELi8E11block_iq1_sLi1EXadL_ZL18vec_dot_iq1_s_q8_1PKvPK10block_q8_1RKiEEEvS4_S4_PT_iii,"axG",@progbits,_ZL13mul_mat_vec_qIN3c104HalfELi256ELi8E11block_iq1_sLi1EXadL_ZL18vec_dot_iq1_s_q8_1PKvPK10block_q8_1RKiEEEvS4_S4_PT_iii,comdat
	.globl	_ZL13mul_mat_vec_qIN3c104HalfELi256ELi8E11block_iq1_sLi1EXadL_ZL18vec_dot_iq1_s_q8_1PKvPK10block_q8_1RKiEEEvS4_S4_PT_iii ; -- Begin function _ZL13mul_mat_vec_qIN3c104HalfELi256ELi8E11block_iq1_sLi1EXadL_ZL18vec_dot_iq1_s_q8_1PKvPK10block_q8_1RKiEEEvS4_S4_PT_iii
	.p2align	8
	.type	_ZL13mul_mat_vec_qIN3c104HalfELi256ELi8E11block_iq1_sLi1EXadL_ZL18vec_dot_iq1_s_q8_1PKvPK10block_q8_1RKiEEEvS4_S4_PT_iii,@function
_ZL13mul_mat_vec_qIN3c104HalfELi256ELi8E11block_iq1_sLi1EXadL_ZL18vec_dot_iq1_s_q8_1PKvPK10block_q8_1RKiEEEvS4_S4_PT_iii: ; @_ZL13mul_mat_vec_qIN3c104HalfELi256ELi8E11block_iq1_sLi1EXadL_ZL18vec_dot_iq1_s_q8_1PKvPK10block_q8_1RKiEEEvS4_S4_PT_iii
; %bb.0:
	s_clause 0x1
	s_load_u16 s2, s[0:1], 0x36
	s_load_b96 s[4:6], s[0:1], 0x18
	s_bfe_u32 s7, ttmp6, 0x4000c
	s_bfe_u32 s8, ttmp6, 0x40010
	s_add_co_i32 s7, s7, 1
	s_add_co_i32 s8, s8, 1
	s_and_b32 s3, ttmp6, 15
	s_mul_i32 s7, ttmp9, s7
	s_mul_i32 s8, ttmp7, s8
	s_bfe_u32 s9, ttmp6, 0x40004
	s_add_co_i32 s3, s3, s7
	s_getreg_b32 s7, hwreg(HW_REG_IB_STS2, 6, 4)
	s_add_co_i32 s9, s9, s8
	v_bfe_u32 v1, v0, 10, 10
	s_cmp_eq_u32 s7, 0
	s_cselect_b32 s3, ttmp9, s3
	s_cselect_b32 s8, ttmp7, s9
	s_wait_kmcnt 0x0
	v_mad_u32 v18, s3, s2, v1
	s_cmp_lt_u32 s8, s6
	s_cselect_b32 s2, -1, 0
	s_delay_alu instid0(VALU_DEP_1) | instskip(SKIP_1) | instid1(SALU_CYCLE_1)
	v_cmp_gt_u32_e32 vcc_lo, s5, v18
	s_and_b32 s2, s2, vcc_lo
	s_and_saveexec_b32 s3, s2
	s_cbranch_execz .LBB91_7
; %bb.1:
	s_load_b64 s[6:7], s[0:1], 0x10
	s_ashr_i32 s2, s4, 31
	v_bfe_u32 v20, v0, 3, 7
	s_lshr_b32 s2, s2, 24
	v_and_b32_e32 v19, 0x3ff, v0
	v_mov_b32_e32 v21, 0
	s_add_co_i32 s2, s4, s2
	s_mov_b32 s9, exec_lo
	s_ashr_i32 s10, s2, 8
	s_delay_alu instid0(SALU_CYCLE_1)
	v_cmpx_gt_u32_e64 s10, v20
	s_cbranch_execz .LBB91_5
; %bb.2:
	s_wait_xcnt 0x0
	s_load_b128 s[0:3], s[0:1], 0x0
	s_addk_co_i32 s4, 0x1ff
	v_dual_lshlrev_b32 v1, 3, v20 :: v_dual_bitop2_b32 v0, 7, v19 bitop3:0x40
	s_ashr_i32 s11, s4, 31
	v_mul_lo_u32 v22, v18, s10
	s_lshr_b32 s11, s11, 23
	s_delay_alu instid0(VALU_DEP_2) | instskip(SKIP_3) | instid1(VALU_DEP_2)
	v_dual_mov_b32 v9, 0 :: v_dual_lshlrev_b32 v2, 1, v0
	s_add_co_i32 s4, s4, s11
	v_lshlrev_b32_e32 v12, 1, v0
	s_ashr_i32 s4, s4, 9
	v_lshlrev_b32_e32 v8, 1, v2
	s_mul_i32 s4, s8, s4
	v_dual_mov_b32 v13, v9 :: v_dual_mov_b32 v21, v9
	v_lshl_add_u32 v23, s4, 4, v1
	s_mov_b32 s4, 0
	s_mov_b32 s11, 0xb7000000
	s_wait_kmcnt 0x0
	v_mad_nc_u64_u32 v[10:11], v0, 36, s[2:3]
	s_get_pc_i64 s[2:3]
	s_add_nc_u64 s[2:3], s[2:3], _ZL13iq1s_grid_gpu@rel64+4
.LBB91_3:                               ; =>This Inner Loop Header: Depth=1
	v_add_nc_u32_e32 v0, v22, v20
	s_delay_alu instid0(VALU_DEP_2) | instskip(SKIP_1) | instid1(VALU_DEP_3)
	v_mad_nc_i64_i32 v[14:15], v23, 36, v[10:11]
	v_dual_add_nc_u32 v20, 4, v20 :: v_dual_add_nc_u32 v23, 32, v23
	v_mad_nc_i64_i32 v[16:17], v0, 50, s[0:1]
	s_delay_alu instid0(VALU_DEP_2) | instskip(SKIP_1) | instid1(VALU_DEP_2)
	v_cmp_le_u32_e32 vcc_lo, s10, v20
	s_or_b32 s4, vcc_lo, s4
	v_add_nc_u64_e32 v[0:1], v[16:17], v[8:9]
	v_add_nc_u64_e32 v[2:3], v[16:17], v[12:13]
	s_clause 0x1
	global_load_b32 v25, v[0:1], off offset:2
	global_load_u16 v24, v[2:3], off offset:34
	s_clause 0x1
	global_load_b128 v[0:3], v[14:15], off offset:4
	global_load_b128 v[4:7], v[14:15], off offset:20
	global_load_u16 v26, v[16:17], off
	s_wait_loadcnt 0x4
	s_wait_xcnt 0x0
	v_and_b32_e32 v17, 0xff, v25
	s_wait_loadcnt 0x3
	v_dual_lshlrev_b32 v27, 8, v24 :: v_dual_lshlrev_b32 v29, 5, v24
	v_bfe_u32 v28, v25, 8, 8
	v_lshrrev_b32_e32 v16, 24, v25
	v_bfe_u32 v25, v25, 16, 8
	v_dual_lshlrev_b32 v30, 2, v24 :: v_dual_lshrrev_b32 v31, 1, v24
	v_and_or_b32 v17, 0x700, v27, v17
	v_and_or_b32 v27, 0x700, v29, v28
	s_wait_loadcnt 0x2
	v_ashrrev_i32_e32 v33, 24, v1
	v_and_or_b32 v25, 0x700, v30, v25
	v_and_or_b32 v16, 0x700, v31, v16
	v_dual_lshlrev_b32 v17, 3, v17 :: v_dual_lshlrev_b32 v27, 3, v27
	v_bfe_i32 v34, v1, 16, 8
	s_delay_alu instid0(VALU_DEP_3)
	v_dual_lshlrev_b32 v25, 3, v25 :: v_dual_lshlrev_b32 v16, 3, v16
	s_clause 0x3
	global_load_b32 v28, v17, s[2:3]
	global_load_b32 v29, v27, s[2:3]
	;; [unrolled: 1-line block ×4, first 2 shown]
	global_load_b32 v32, v[14:15], off
	s_wait_xcnt 0x0
	v_lshrrev_b16 v14, 8, v0
	v_lshrrev_b16 v15, 8, v1
	v_bfe_i32 v25, v0, 16, 8
	v_bfe_i32 v27, v0, 0, 8
	v_ashrrev_i32_e32 v0, 24, v0
	v_bfe_i32 v1, v1, 0, 8
	v_lshrrev_b16 v17, 8, v3
	v_dual_ashrrev_i32 v35, 24, v2 :: v_dual_ashrrev_i32 v37, 24, v3
	v_bfe_i32 v38, v3, 16, 8
	v_bfe_i32 v3, v3, 0, 8
	v_lshrrev_b16 v16, 8, v2
	v_bfe_i32 v36, v2, 16, 8
	v_bfe_i32 v2, v2, 0, 8
	s_wait_loadcnt 0x6
	v_lshrrev_b16 v39, 8, v4
	v_dual_ashrrev_i32 v43, 24, v4 :: v_dual_ashrrev_i32 v45, 24, v5
	v_bfe_i32 v44, v4, 16, 8
	v_bfe_i32 v4, v4, 0, 8
	v_lshrrev_b16 v40, 8, v5
	v_bfe_i32 v46, v5, 16, 8
	v_bfe_i32 v5, v5, 0, 8
	v_lshrrev_b16 v41, 8, v6
	v_dual_ashrrev_i32 v47, 24, v6 :: v_dual_ashrrev_i32 v49, 24, v7
	v_bfe_i32 v48, v6, 16, 8
	v_bfe_i32 v6, v6, 0, 8
	v_lshrrev_b16 v42, 8, v7
	v_bfe_i32 v50, v7, 16, 8
	v_bfe_i32 v7, v7, 0, 8
	v_bfe_i32 v14, v14, 0, 8
	v_bfe_i32 v15, v15, 0, 8
	v_bfe_i32 v16, v16, 0, 8
	v_bfe_i32 v17, v17, 0, 8
	v_bfe_i32 v39, v39, 0, 8
	v_bfe_i32 v40, v40, 0, 8
	v_bfe_i32 v41, v41, 0, 8
	v_bfe_i32 v42, v42, 0, 8
	s_wait_loadcnt 0x4
	v_bfe_u32 v51, v28, 24, 4
	v_and_b32_e32 v52, 0xf0f0f0f, v28
	v_dual_lshrrev_b32 v53, 4, v28 :: v_dual_lshrrev_b32 v54, 28, v28
	v_bfe_u32 v55, v28, 16, 4
	s_wait_loadcnt 0x3
	v_dual_lshrrev_b32 v60, 4, v29 :: v_dual_bitop2_b32 v56, 15, v28 bitop3:0x40
	v_bfe_u32 v57, v28, 20, 4
	v_bfe_u32 v28, v28, 4, 4
	;; [unrolled: 1-line block ×3, first 2 shown]
	v_and_b32_e32 v59, 0xf0f0f0f, v29
	v_lshrrev_b32_e32 v61, 28, v29
	v_mul_i32_i24_e32 v34, v57, v34
	v_mul_i32_i24_e32 v1, v28, v1
	v_and_b32_e32 v28, 15, v29
	v_bfe_u32 v57, v29, 16, 4
	v_mul_i32_i24_e32 v33, v54, v33
	v_bfe_u32 v54, v29, 20, 4
	v_bfe_u32 v29, v29, 4, 4
	v_mul_i32_i24_e32 v35, v35, v58
	s_wait_loadcnt 0x2
	v_lshrrev_b32_e32 v58, 4, v30
	v_mul_i32_i24_e32 v2, v2, v28
	v_bfe_u32 v28, v30, 24, 4
	v_mul_i32_i24_e32 v3, v29, v3
	v_and_b32_e32 v29, 15, v30
	v_mul_i32_i24_e32 v36, v36, v57
	v_and_b32_e32 v57, 0xf0f0f0f, v30
	v_mul_i32_i24_e32 v38, v54, v38
	v_bfe_u32 v54, v30, 16, 4
	v_mul_i32_i24_e32 v37, v61, v37
	v_lshrrev_b32_e32 v61, 28, v30
	v_mul_i32_i24_e32 v4, v4, v29
	v_bfe_u32 v29, v30, 20, 4
	v_bfe_u32 v30, v30, 4, 4
	v_mul_i32_i24_e32 v44, v44, v54
	s_wait_loadcnt 0x1
	v_bfe_u32 v54, v31, 24, 4
	v_mul_i32_i24_e32 v28, v43, v28
	v_mul_i32_i24_e32 v29, v29, v46
	;; [unrolled: 1-line block ×3, first 2 shown]
	v_and_b32_e32 v30, 15, v31
	v_bfe_u32 v46, v31, 16, 4
	v_and_b32_e32 v43, 0xf0f0f0f, v31
	v_mul_i32_i24_e32 v45, v61, v45
	v_lshrrev_b32_e32 v61, 4, v31
	v_mul_i32_i24_e32 v6, v6, v30
	v_lshrrev_b32_e32 v30, 28, v31
	v_mul_i32_i24_e32 v46, v48, v46
	v_bfe_u32 v48, v31, 20, 4
	v_bfe_u32 v31, v31, 4, 4
	v_lshrrev_b16 v53, 8, v53
	v_lshrrev_b16 v52, 8, v52
	;; [unrolled: 1-line block ×4, first 2 shown]
	v_mul_i32_i24_e32 v7, v31, v7
	v_mul_i32_i24_e32 v31, v48, v50
	v_and_b32_e32 v48, 15, v53
	v_lshrrev_b16 v57, 8, v57
	v_lshrrev_b16 v58, 8, v58
	v_mul_i32_i24_e32 v30, v30, v49
	v_and_b32_e32 v49, 0xffff, v52
	v_and_b32_e32 v50, 15, v60
	;; [unrolled: 1-line block ×3, first 2 shown]
	v_mad_i32_i24 v1, v56, v27, v1
	v_and_b32_e32 v27, 0xffff, v48
	v_lshrrev_b16 v43, 8, v43
	v_lshrrev_b16 v61, 8, v61
	v_mul_i32_i24_e32 v47, v47, v54
	v_and_b32_e32 v53, 15, v58
	v_and_b32_e32 v54, 0xffff, v57
	v_mad_i32_i24 v0, v51, v0, v33
	v_mul_i32_i24_e32 v14, v49, v14
	v_mul_i32_i24_e32 v16, v16, v52
	v_and_b32_e32 v33, 0xffff, v50
	v_mul_i32_i24_e32 v15, v27, v15
	v_add3_u32 v1, v1, v2, v3
	v_and_b32_e32 v57, 15, v61
	v_and_b32_e32 v43, 0xffff, v43
	v_mad_i32_i24 v25, v55, v25, v34
	v_mul_i32_i24_e32 v34, v39, v54
	v_add3_u32 v0, v0, v35, v37
	v_mul_i32_i24_e32 v17, v33, v17
	v_add3_u32 v14, v14, v15, v16
	v_add3_u32 v1, v1, v4, v5
	v_lshrrev_b32_e32 v5, 11, v24
	v_and_b32_e32 v39, 0xffff, v53
	v_mul_i32_i24_e32 v27, v41, v43
	v_and_b32_e32 v41, 0xffff, v57
	v_add3_u32 v15, v25, v36, v38
	v_add3_u32 v0, v0, v28, v45
	v_mul_i32_i24_e32 v2, v39, v40
	v_add3_u32 v3, v14, v17, v34
	v_mul_i32_i24_e32 v14, v41, v42
	v_add3_u32 v4, v15, v44, v29
	v_add3_u32 v0, v0, v47, v30
	;; [unrolled: 1-line block ×4, first 2 shown]
	v_and_b32_e32 v3, 0x8000, v24
	v_add3_u32 v4, v4, v46, v31
	v_and_or_b32 v5, v5, 14, 1
	s_delay_alu instid0(VALU_DEP_4)
	v_add3_u32 v0, v2, v14, v0
	s_wait_loadcnt 0x0
	v_lshrrev_b32_e32 v2, 16, v32
	v_cvt_f32_u32_e32 v3, v3
	v_cvt_f32_ubyte0_e32 v5, v5
	v_add3_u32 v4, v1, v4, v0
	v_cvt_f32_f16_e32 v1, v32
	v_cvt_f32_f16_e32 v0, v2
	v_fmaak_f32 v2, s11, v3, 0xbf600000
	s_delay_alu instid0(VALU_DEP_4) | instskip(SKIP_1) | instid1(VALU_DEP_2)
	v_cvt_f32_i32_e32 v3, v4
	v_cvt_f32_f16_e32 v4, v26
	v_pk_mul_f32 v[0:1], v[2:3], v[0:1]
	s_delay_alu instid0(VALU_DEP_1) | instskip(NEXT) | instid1(VALU_DEP_1)
	v_dual_mul_f32 v2, v5, v4 :: v_dual_add_f32 v0, v0, v1
	v_fmac_f32_e32 v21, v2, v0
	s_and_not1_b32 exec_lo, exec_lo, s4
	s_cbranch_execnz .LBB91_3
; %bb.4:
	s_or_b32 exec_lo, exec_lo, s4
.LBB91_5:
	s_delay_alu instid0(SALU_CYCLE_1) | instskip(SKIP_1) | instid1(VALU_DEP_1)
	s_or_b32 exec_lo, exec_lo, s9
	v_mbcnt_lo_u32_b32 v0, -1, 0
	v_xor_b32_e32 v2, 8, v0
	v_xor_b32_e32 v1, 16, v0
	;; [unrolled: 1-line block ×3, first 2 shown]
	s_delay_alu instid0(VALU_DEP_2) | instskip(SKIP_4) | instid1(VALU_DEP_2)
	v_cmp_gt_i32_e32 vcc_lo, 32, v1
	v_cndmask_b32_e32 v1, v0, v1, vcc_lo
	v_cmp_gt_i32_e32 vcc_lo, 32, v2
	v_cndmask_b32_e32 v2, v0, v2, vcc_lo
	v_cmp_gt_i32_e32 vcc_lo, 32, v3
	v_dual_lshlrev_b32 v2, 2, v2 :: v_dual_lshlrev_b32 v1, 2, v1
	ds_bpermute_b32 v1, v1, v21
	s_wait_dscnt 0x0
	v_add_f32_e32 v1, v21, v1
	ds_bpermute_b32 v2, v2, v1
	s_wait_dscnt 0x0
	v_dual_cndmask_b32 v3, v0, v3, vcc_lo :: v_dual_add_f32 v1, v1, v2
	s_delay_alu instid0(VALU_DEP_1) | instskip(SKIP_3) | instid1(VALU_DEP_1)
	v_lshlrev_b32_e32 v3, 2, v3
	ds_bpermute_b32 v2, v3, v1
	s_wait_dscnt 0x0
	v_dual_add_f32 v1, v1, v2 :: v_dual_bitop2_b32 v3, 2, v0 bitop3:0x14
	v_cmp_gt_i32_e32 vcc_lo, 32, v3
	v_cndmask_b32_e32 v3, v0, v3, vcc_lo
	s_delay_alu instid0(VALU_DEP_1) | instskip(SKIP_2) | instid1(VALU_DEP_1)
	v_lshlrev_b32_e32 v3, 2, v3
	ds_bpermute_b32 v2, v3, v1
	v_xor_b32_e32 v3, 1, v0
	v_cmp_gt_i32_e32 vcc_lo, 32, v3
	v_cndmask_b32_e32 v3, v0, v3, vcc_lo
	v_cmp_eq_u32_e32 vcc_lo, 0, v19
	s_wait_dscnt 0x0
	s_delay_alu instid0(VALU_DEP_2)
	v_dual_add_f32 v0, v1, v2 :: v_dual_lshlrev_b32 v1, 2, v3
	ds_bpermute_b32 v1, v1, v0
	s_and_b32 exec_lo, exec_lo, vcc_lo
	s_cbranch_execz .LBB91_7
; %bb.6:
	v_mad_u32 v2, s5, s8, v18
	s_wait_dscnt 0x0
	v_add_f32_e32 v0, v0, v1
	s_delay_alu instid0(VALU_DEP_1)
	v_cvt_f16_f32_e32 v0, v0
	s_wait_kmcnt 0x0
	global_store_b16 v2, v0, s[6:7] scale_offset
.LBB91_7:
	s_endpgm
	.section	.rodata,"a",@progbits
	.p2align	6, 0x0
	.amdhsa_kernel _ZL13mul_mat_vec_qIN3c104HalfELi256ELi8E11block_iq1_sLi1EXadL_ZL18vec_dot_iq1_s_q8_1PKvPK10block_q8_1RKiEEEvS4_S4_PT_iii
		.amdhsa_group_segment_fixed_size 0
		.amdhsa_private_segment_fixed_size 0
		.amdhsa_kernarg_size 296
		.amdhsa_user_sgpr_count 2
		.amdhsa_user_sgpr_dispatch_ptr 0
		.amdhsa_user_sgpr_queue_ptr 0
		.amdhsa_user_sgpr_kernarg_segment_ptr 1
		.amdhsa_user_sgpr_dispatch_id 0
		.amdhsa_user_sgpr_kernarg_preload_length 0
		.amdhsa_user_sgpr_kernarg_preload_offset 0
		.amdhsa_user_sgpr_private_segment_size 0
		.amdhsa_wavefront_size32 1
		.amdhsa_uses_dynamic_stack 0
		.amdhsa_enable_private_segment 0
		.amdhsa_system_sgpr_workgroup_id_x 1
		.amdhsa_system_sgpr_workgroup_id_y 1
		.amdhsa_system_sgpr_workgroup_id_z 0
		.amdhsa_system_sgpr_workgroup_info 0
		.amdhsa_system_vgpr_workitem_id 1
		.amdhsa_next_free_vgpr 62
		.amdhsa_next_free_sgpr 12
		.amdhsa_named_barrier_count 0
		.amdhsa_reserve_vcc 1
		.amdhsa_float_round_mode_32 0
		.amdhsa_float_round_mode_16_64 0
		.amdhsa_float_denorm_mode_32 3
		.amdhsa_float_denorm_mode_16_64 3
		.amdhsa_fp16_overflow 0
		.amdhsa_memory_ordered 1
		.amdhsa_forward_progress 1
		.amdhsa_inst_pref_size 16
		.amdhsa_round_robin_scheduling 0
		.amdhsa_exception_fp_ieee_invalid_op 0
		.amdhsa_exception_fp_denorm_src 0
		.amdhsa_exception_fp_ieee_div_zero 0
		.amdhsa_exception_fp_ieee_overflow 0
		.amdhsa_exception_fp_ieee_underflow 0
		.amdhsa_exception_fp_ieee_inexact 0
		.amdhsa_exception_int_div_zero 0
	.end_amdhsa_kernel
	.section	.text._ZL13mul_mat_vec_qIN3c104HalfELi256ELi8E11block_iq1_sLi1EXadL_ZL18vec_dot_iq1_s_q8_1PKvPK10block_q8_1RKiEEEvS4_S4_PT_iii,"axG",@progbits,_ZL13mul_mat_vec_qIN3c104HalfELi256ELi8E11block_iq1_sLi1EXadL_ZL18vec_dot_iq1_s_q8_1PKvPK10block_q8_1RKiEEEvS4_S4_PT_iii,comdat
.Lfunc_end91:
	.size	_ZL13mul_mat_vec_qIN3c104HalfELi256ELi8E11block_iq1_sLi1EXadL_ZL18vec_dot_iq1_s_q8_1PKvPK10block_q8_1RKiEEEvS4_S4_PT_iii, .Lfunc_end91-_ZL13mul_mat_vec_qIN3c104HalfELi256ELi8E11block_iq1_sLi1EXadL_ZL18vec_dot_iq1_s_q8_1PKvPK10block_q8_1RKiEEEvS4_S4_PT_iii
                                        ; -- End function
	.set _ZL13mul_mat_vec_qIN3c104HalfELi256ELi8E11block_iq1_sLi1EXadL_ZL18vec_dot_iq1_s_q8_1PKvPK10block_q8_1RKiEEEvS4_S4_PT_iii.num_vgpr, 62
	.set _ZL13mul_mat_vec_qIN3c104HalfELi256ELi8E11block_iq1_sLi1EXadL_ZL18vec_dot_iq1_s_q8_1PKvPK10block_q8_1RKiEEEvS4_S4_PT_iii.num_agpr, 0
	.set _ZL13mul_mat_vec_qIN3c104HalfELi256ELi8E11block_iq1_sLi1EXadL_ZL18vec_dot_iq1_s_q8_1PKvPK10block_q8_1RKiEEEvS4_S4_PT_iii.numbered_sgpr, 12
	.set _ZL13mul_mat_vec_qIN3c104HalfELi256ELi8E11block_iq1_sLi1EXadL_ZL18vec_dot_iq1_s_q8_1PKvPK10block_q8_1RKiEEEvS4_S4_PT_iii.num_named_barrier, 0
	.set _ZL13mul_mat_vec_qIN3c104HalfELi256ELi8E11block_iq1_sLi1EXadL_ZL18vec_dot_iq1_s_q8_1PKvPK10block_q8_1RKiEEEvS4_S4_PT_iii.private_seg_size, 0
	.set _ZL13mul_mat_vec_qIN3c104HalfELi256ELi8E11block_iq1_sLi1EXadL_ZL18vec_dot_iq1_s_q8_1PKvPK10block_q8_1RKiEEEvS4_S4_PT_iii.uses_vcc, 1
	.set _ZL13mul_mat_vec_qIN3c104HalfELi256ELi8E11block_iq1_sLi1EXadL_ZL18vec_dot_iq1_s_q8_1PKvPK10block_q8_1RKiEEEvS4_S4_PT_iii.uses_flat_scratch, 0
	.set _ZL13mul_mat_vec_qIN3c104HalfELi256ELi8E11block_iq1_sLi1EXadL_ZL18vec_dot_iq1_s_q8_1PKvPK10block_q8_1RKiEEEvS4_S4_PT_iii.has_dyn_sized_stack, 0
	.set _ZL13mul_mat_vec_qIN3c104HalfELi256ELi8E11block_iq1_sLi1EXadL_ZL18vec_dot_iq1_s_q8_1PKvPK10block_q8_1RKiEEEvS4_S4_PT_iii.has_recursion, 0
	.set _ZL13mul_mat_vec_qIN3c104HalfELi256ELi8E11block_iq1_sLi1EXadL_ZL18vec_dot_iq1_s_q8_1PKvPK10block_q8_1RKiEEEvS4_S4_PT_iii.has_indirect_call, 0
	.section	.AMDGPU.csdata,"",@progbits
; Kernel info:
; codeLenInByte = 1964
; TotalNumSgprs: 14
; NumVgprs: 62
; ScratchSize: 0
; MemoryBound: 0
; FloatMode: 240
; IeeeMode: 1
; LDSByteSize: 0 bytes/workgroup (compile time only)
; SGPRBlocks: 0
; VGPRBlocks: 3
; NumSGPRsForWavesPerEU: 14
; NumVGPRsForWavesPerEU: 62
; NamedBarCnt: 0
; Occupancy: 16
; WaveLimiterHint : 0
; COMPUTE_PGM_RSRC2:SCRATCH_EN: 0
; COMPUTE_PGM_RSRC2:USER_SGPR: 2
; COMPUTE_PGM_RSRC2:TRAP_HANDLER: 0
; COMPUTE_PGM_RSRC2:TGID_X_EN: 1
; COMPUTE_PGM_RSRC2:TGID_Y_EN: 1
; COMPUTE_PGM_RSRC2:TGID_Z_EN: 0
; COMPUTE_PGM_RSRC2:TIDIG_COMP_CNT: 1
	.section	.text._ZL13mul_mat_vec_qIN3c104HalfELi32ELi4E12block_iq4_nlLi2EXadL_ZL19vec_dot_iq4_nl_q8_1PKvPK10block_q8_1RKiEEEvS4_S4_PT_iii,"axG",@progbits,_ZL13mul_mat_vec_qIN3c104HalfELi32ELi4E12block_iq4_nlLi2EXadL_ZL19vec_dot_iq4_nl_q8_1PKvPK10block_q8_1RKiEEEvS4_S4_PT_iii,comdat
	.globl	_ZL13mul_mat_vec_qIN3c104HalfELi32ELi4E12block_iq4_nlLi2EXadL_ZL19vec_dot_iq4_nl_q8_1PKvPK10block_q8_1RKiEEEvS4_S4_PT_iii ; -- Begin function _ZL13mul_mat_vec_qIN3c104HalfELi32ELi4E12block_iq4_nlLi2EXadL_ZL19vec_dot_iq4_nl_q8_1PKvPK10block_q8_1RKiEEEvS4_S4_PT_iii
	.p2align	8
	.type	_ZL13mul_mat_vec_qIN3c104HalfELi32ELi4E12block_iq4_nlLi2EXadL_ZL19vec_dot_iq4_nl_q8_1PKvPK10block_q8_1RKiEEEvS4_S4_PT_iii,@function
_ZL13mul_mat_vec_qIN3c104HalfELi32ELi4E12block_iq4_nlLi2EXadL_ZL19vec_dot_iq4_nl_q8_1PKvPK10block_q8_1RKiEEEvS4_S4_PT_iii: ; @_ZL13mul_mat_vec_qIN3c104HalfELi32ELi4E12block_iq4_nlLi2EXadL_ZL19vec_dot_iq4_nl_q8_1PKvPK10block_q8_1RKiEEEvS4_S4_PT_iii
; %bb.0:
	s_clause 0x1
	s_load_u16 s2, s[0:1], 0x36
	s_load_b96 s[4:6], s[0:1], 0x18
	s_bfe_u32 s7, ttmp6, 0x4000c
	s_bfe_u32 s8, ttmp6, 0x40010
	s_add_co_i32 s7, s7, 1
	s_add_co_i32 s8, s8, 1
	s_and_b32 s3, ttmp6, 15
	s_mul_i32 s7, ttmp9, s7
	s_mul_i32 s8, ttmp7, s8
	s_bfe_u32 s9, ttmp6, 0x40004
	s_add_co_i32 s3, s3, s7
	s_getreg_b32 s7, hwreg(HW_REG_IB_STS2, 6, 4)
	s_add_co_i32 s9, s9, s8
	v_bfe_u32 v1, v0, 10, 10
	s_cmp_eq_u32 s7, 0
	s_cselect_b32 s3, ttmp9, s3
	s_cselect_b32 s10, ttmp7, s9
	s_wait_kmcnt 0x0
	v_mad_u32 v4, s3, s2, v1
	s_cmp_lt_u32 s10, s6
	s_cselect_b32 s2, -1, 0
	s_delay_alu instid0(VALU_DEP_1) | instskip(SKIP_1) | instid1(SALU_CYCLE_1)
	v_cmp_gt_u32_e32 vcc_lo, s5, v4
	s_and_b32 s2, s2, vcc_lo
	s_and_saveexec_b32 s3, s2
	s_cbranch_execz .LBB92_7
; %bb.1:
	s_load_b64 s[6:7], s[0:1], 0x10
	s_ashr_i32 s2, s4, 31
	v_bfe_u32 v6, v0, 1, 9
	s_lshr_b32 s2, s2, 27
	v_and_b32_e32 v5, 0x3ff, v0
	v_mov_b32_e32 v7, 0
	s_add_co_i32 s2, s4, s2
	s_mov_b32 s11, exec_lo
	s_ashr_i32 s12, s2, 5
	s_delay_alu instid0(SALU_CYCLE_1)
	v_cmpx_gt_u32_e64 s12, v6
	s_cbranch_execz .LBB92_5
; %bb.2:
	v_dual_mov_b32 v1, 0 :: v_dual_lshlrev_b32 v0, 1, v5
	s_wait_xcnt 0x0
	s_load_b128 s[0:3], s[0:1], 0x0
	s_addk_co_i32 s4, 0x1ff
	v_mul_lo_u32 v8, v4, s12
	v_dual_mov_b32 v3, v1 :: v_dual_bitop2_b32 v0, 2, v0 bitop3:0x40
	s_ashr_i32 s8, s4, 31
	v_mov_b32_e32 v7, v1
	s_lshr_b32 s13, s8, 23
	s_delay_alu instid0(VALU_DEP_2)
	v_dual_lshlrev_b32 v10, 1, v0 :: v_dual_lshlrev_b32 v2, 2, v0
	s_add_co_i32 s4, s4, s13
	s_get_pc_i64 s[8:9]
	s_add_nc_u64 s[8:9], s[8:9], _ZL13kvalues_iq4nl@rel64+4
	s_ashr_i32 s4, s4, 9
	v_lshlrev_b32_e32 v0, 1, v10
	s_mul_i32 s4, s10, s4
	s_delay_alu instid0(SALU_CYCLE_1)
	s_lshl_b32 s13, s4, 4
	s_mov_b32 s4, 0
.LBB92_3:                               ; =>This Inner Loop Header: Depth=1
	v_add_nc_u32_e32 v9, v8, v6
	s_wait_kmcnt 0x0
	s_delay_alu instid0(VALU_DEP_1) | instskip(NEXT) | instid1(VALU_DEP_1)
	v_mad_nc_i64_i32 v[10:11], v9, 18, s[0:1]
	v_add_nc_u64_e32 v[12:13], v[10:11], v[0:1]
	global_load_b64 v[12:13], v[12:13], off offset:2
	v_dual_add_nc_u32 v9, s13, v6 :: v_dual_add_nc_u32 v6, 16, v6
	s_delay_alu instid0(VALU_DEP_1)
	v_cmp_le_u32_e32 vcc_lo, s12, v6
	s_or_b32 s4, vcc_lo, s4
	s_wait_loadcnt 0x0
	v_lshrrev_b32_e32 v25, 28, v12
	v_mad_nc_i64_i32 v[14:15], v9, 36, s[2:3]
	v_and_b32_e32 v20, 15, v12
	v_bfe_u32 v21, v12, 8, 4
	v_bfe_u32 v22, v12, 16, 4
	v_bfe_u32 v9, v12, 24, 4
	v_bfe_u32 v23, v12, 12, 4
	v_bfe_u32 v24, v12, 20, 4
	v_bfe_u32 v12, v12, 4, 4
	v_dual_lshrrev_b32 v32, 28, v13 :: v_dual_bitop2_b32 v27, 15, v13 bitop3:0x40
	v_bfe_u32 v28, v13, 8, 4
	v_add_nc_u64_e32 v[16:17], v[14:15], v[2:3]
	v_bfe_u32 v29, v13, 16, 4
	v_bfe_u32 v30, v13, 12, 4
	;; [unrolled: 1-line block ×4, first 2 shown]
	global_load_b64 v[18:19], v[16:17], off offset:4
	s_clause 0x7
	global_load_i8 v33, v20, s[8:9]
	global_load_i8 v34, v21, s[8:9]
	;; [unrolled: 1-line block ×8, first 2 shown]
	s_wait_xcnt 0x0
	v_bfe_u32 v9, v13, 4, 4
	s_clause 0x7
	global_load_i8 v20, v27, s[8:9]
	global_load_i8 v21, v28, s[8:9]
	;; [unrolled: 1-line block ×8, first 2 shown]
	global_load_b64 v[12:13], v[16:17], off offset:20
	global_load_u16 v43, v[10:11], off
	global_load_b32 v44, v[14:15], off
	s_wait_loadcnt 0x11
	s_wait_xcnt 0x3
	v_perm_b32 v9, v34, v33, 0xc0c0400
	s_wait_loadcnt 0xe
	s_wait_xcnt 0x1
	v_perm_b32 v11, v37, v36, 0xc0c0400
	;; [unrolled: 3-line block ×3, first 2 shown]
	v_perm_b32 v14, v39, v38, 0x4000c0c
	v_perm_b32 v10, v40, v35, 0x4000c0c
	;; [unrolled: 1-line block ×3, first 2 shown]
	s_delay_alu instid0(VALU_DEP_3) | instskip(NEXT) | instid1(VALU_DEP_3)
	v_or_b32_e32 v11, v14, v11
	v_or_b32_e32 v9, v10, v9
	v_perm_b32 v10, v21, v20, 0xc0c0400
	s_wait_loadcnt 0x3
	v_perm_b32 v14, v23, v42, 0xc0c0400
	s_delay_alu instid0(VALU_DEP_3) | instskip(NEXT) | instid1(VALU_DEP_3)
	v_dot4_i32_iu8 v9, v18, v9, 0 neg_lo:[1,1,0]
	v_or_b32_e32 v10, v15, v10
	s_wait_loadcnt 0x2
	s_delay_alu instid0(VALU_DEP_2) | instskip(SKIP_2) | instid1(VALU_DEP_2)
	v_dot4_i32_iu8 v9, v12, v11, v9 neg_lo:[1,1,0]
	s_wait_loadcnt 0x0
	v_cvt_f32_f16_e32 v12, v44
	v_dot4_i32_iu8 v9, v19, v10, v9 neg_lo:[1,1,0]
	v_cvt_f32_f16_e32 v10, v43
	s_delay_alu instid0(VALU_DEP_1) | instskip(NEXT) | instid1(VALU_DEP_1)
	v_dual_mul_f32 v10, v10, v12 :: v_dual_bitop2_b32 v11, v16, v14 bitop3:0x54
	v_dot4_i32_iu8 v9, v13, v11, v9 neg_lo:[1,1,0]
	s_delay_alu instid0(VALU_DEP_1) | instskip(NEXT) | instid1(VALU_DEP_1)
	v_cvt_f32_i32_e32 v9, v9
	v_fmac_f32_e32 v7, v10, v9
	s_and_not1_b32 exec_lo, exec_lo, s4
	s_cbranch_execnz .LBB92_3
; %bb.4:
	s_or_b32 exec_lo, exec_lo, s4
.LBB92_5:
	s_delay_alu instid0(SALU_CYCLE_1) | instskip(SKIP_1) | instid1(VALU_DEP_1)
	s_or_b32 exec_lo, exec_lo, s11
	v_mbcnt_lo_u32_b32 v0, -1, 0
	v_xor_b32_e32 v2, 8, v0
	v_xor_b32_e32 v1, 16, v0
	;; [unrolled: 1-line block ×3, first 2 shown]
	s_delay_alu instid0(VALU_DEP_2) | instskip(SKIP_4) | instid1(VALU_DEP_2)
	v_cmp_gt_i32_e32 vcc_lo, 32, v1
	v_cndmask_b32_e32 v1, v0, v1, vcc_lo
	v_cmp_gt_i32_e32 vcc_lo, 32, v2
	v_cndmask_b32_e32 v2, v0, v2, vcc_lo
	v_cmp_gt_i32_e32 vcc_lo, 32, v3
	v_dual_lshlrev_b32 v2, 2, v2 :: v_dual_lshlrev_b32 v1, 2, v1
	ds_bpermute_b32 v1, v1, v7
	s_wait_dscnt 0x0
	v_add_f32_e32 v1, v7, v1
	ds_bpermute_b32 v2, v2, v1
	s_wait_dscnt 0x0
	v_dual_cndmask_b32 v3, v0, v3, vcc_lo :: v_dual_add_f32 v1, v1, v2
	s_delay_alu instid0(VALU_DEP_1) | instskip(SKIP_3) | instid1(VALU_DEP_1)
	v_lshlrev_b32_e32 v3, 2, v3
	ds_bpermute_b32 v2, v3, v1
	s_wait_dscnt 0x0
	v_dual_add_f32 v1, v1, v2 :: v_dual_bitop2_b32 v3, 2, v0 bitop3:0x14
	v_cmp_gt_i32_e32 vcc_lo, 32, v3
	v_cndmask_b32_e32 v3, v0, v3, vcc_lo
	s_delay_alu instid0(VALU_DEP_1) | instskip(SKIP_2) | instid1(VALU_DEP_1)
	v_lshlrev_b32_e32 v3, 2, v3
	ds_bpermute_b32 v2, v3, v1
	v_xor_b32_e32 v3, 1, v0
	v_cmp_gt_i32_e32 vcc_lo, 32, v3
	v_cndmask_b32_e32 v3, v0, v3, vcc_lo
	v_cmp_eq_u32_e32 vcc_lo, 0, v5
	s_wait_dscnt 0x0
	s_delay_alu instid0(VALU_DEP_2)
	v_dual_add_f32 v0, v1, v2 :: v_dual_lshlrev_b32 v1, 2, v3
	ds_bpermute_b32 v1, v1, v0
	s_and_b32 exec_lo, exec_lo, vcc_lo
	s_cbranch_execz .LBB92_7
; %bb.6:
	v_mad_u32 v2, s5, s10, v4
	s_wait_dscnt 0x0
	v_add_f32_e32 v0, v0, v1
	s_delay_alu instid0(VALU_DEP_1)
	v_cvt_f16_f32_e32 v0, v0
	s_wait_kmcnt 0x0
	global_store_b16 v2, v0, s[6:7] scale_offset
.LBB92_7:
	s_endpgm
	.section	.rodata,"a",@progbits
	.p2align	6, 0x0
	.amdhsa_kernel _ZL13mul_mat_vec_qIN3c104HalfELi32ELi4E12block_iq4_nlLi2EXadL_ZL19vec_dot_iq4_nl_q8_1PKvPK10block_q8_1RKiEEEvS4_S4_PT_iii
		.amdhsa_group_segment_fixed_size 0
		.amdhsa_private_segment_fixed_size 0
		.amdhsa_kernarg_size 296
		.amdhsa_user_sgpr_count 2
		.amdhsa_user_sgpr_dispatch_ptr 0
		.amdhsa_user_sgpr_queue_ptr 0
		.amdhsa_user_sgpr_kernarg_segment_ptr 1
		.amdhsa_user_sgpr_dispatch_id 0
		.amdhsa_user_sgpr_kernarg_preload_length 0
		.amdhsa_user_sgpr_kernarg_preload_offset 0
		.amdhsa_user_sgpr_private_segment_size 0
		.amdhsa_wavefront_size32 1
		.amdhsa_uses_dynamic_stack 0
		.amdhsa_enable_private_segment 0
		.amdhsa_system_sgpr_workgroup_id_x 1
		.amdhsa_system_sgpr_workgroup_id_y 1
		.amdhsa_system_sgpr_workgroup_id_z 0
		.amdhsa_system_sgpr_workgroup_info 0
		.amdhsa_system_vgpr_workitem_id 1
		.amdhsa_next_free_vgpr 45
		.amdhsa_next_free_sgpr 14
		.amdhsa_named_barrier_count 0
		.amdhsa_reserve_vcc 1
		.amdhsa_float_round_mode_32 0
		.amdhsa_float_round_mode_16_64 0
		.amdhsa_float_denorm_mode_32 3
		.amdhsa_float_denorm_mode_16_64 3
		.amdhsa_fp16_overflow 0
		.amdhsa_memory_ordered 1
		.amdhsa_forward_progress 1
		.amdhsa_inst_pref_size 10
		.amdhsa_round_robin_scheduling 0
		.amdhsa_exception_fp_ieee_invalid_op 0
		.amdhsa_exception_fp_denorm_src 0
		.amdhsa_exception_fp_ieee_div_zero 0
		.amdhsa_exception_fp_ieee_overflow 0
		.amdhsa_exception_fp_ieee_underflow 0
		.amdhsa_exception_fp_ieee_inexact 0
		.amdhsa_exception_int_div_zero 0
	.end_amdhsa_kernel
	.section	.text._ZL13mul_mat_vec_qIN3c104HalfELi32ELi4E12block_iq4_nlLi2EXadL_ZL19vec_dot_iq4_nl_q8_1PKvPK10block_q8_1RKiEEEvS4_S4_PT_iii,"axG",@progbits,_ZL13mul_mat_vec_qIN3c104HalfELi32ELi4E12block_iq4_nlLi2EXadL_ZL19vec_dot_iq4_nl_q8_1PKvPK10block_q8_1RKiEEEvS4_S4_PT_iii,comdat
.Lfunc_end92:
	.size	_ZL13mul_mat_vec_qIN3c104HalfELi32ELi4E12block_iq4_nlLi2EXadL_ZL19vec_dot_iq4_nl_q8_1PKvPK10block_q8_1RKiEEEvS4_S4_PT_iii, .Lfunc_end92-_ZL13mul_mat_vec_qIN3c104HalfELi32ELi4E12block_iq4_nlLi2EXadL_ZL19vec_dot_iq4_nl_q8_1PKvPK10block_q8_1RKiEEEvS4_S4_PT_iii
                                        ; -- End function
	.set _ZL13mul_mat_vec_qIN3c104HalfELi32ELi4E12block_iq4_nlLi2EXadL_ZL19vec_dot_iq4_nl_q8_1PKvPK10block_q8_1RKiEEEvS4_S4_PT_iii.num_vgpr, 45
	.set _ZL13mul_mat_vec_qIN3c104HalfELi32ELi4E12block_iq4_nlLi2EXadL_ZL19vec_dot_iq4_nl_q8_1PKvPK10block_q8_1RKiEEEvS4_S4_PT_iii.num_agpr, 0
	.set _ZL13mul_mat_vec_qIN3c104HalfELi32ELi4E12block_iq4_nlLi2EXadL_ZL19vec_dot_iq4_nl_q8_1PKvPK10block_q8_1RKiEEEvS4_S4_PT_iii.numbered_sgpr, 14
	.set _ZL13mul_mat_vec_qIN3c104HalfELi32ELi4E12block_iq4_nlLi2EXadL_ZL19vec_dot_iq4_nl_q8_1PKvPK10block_q8_1RKiEEEvS4_S4_PT_iii.num_named_barrier, 0
	.set _ZL13mul_mat_vec_qIN3c104HalfELi32ELi4E12block_iq4_nlLi2EXadL_ZL19vec_dot_iq4_nl_q8_1PKvPK10block_q8_1RKiEEEvS4_S4_PT_iii.private_seg_size, 0
	.set _ZL13mul_mat_vec_qIN3c104HalfELi32ELi4E12block_iq4_nlLi2EXadL_ZL19vec_dot_iq4_nl_q8_1PKvPK10block_q8_1RKiEEEvS4_S4_PT_iii.uses_vcc, 1
	.set _ZL13mul_mat_vec_qIN3c104HalfELi32ELi4E12block_iq4_nlLi2EXadL_ZL19vec_dot_iq4_nl_q8_1PKvPK10block_q8_1RKiEEEvS4_S4_PT_iii.uses_flat_scratch, 0
	.set _ZL13mul_mat_vec_qIN3c104HalfELi32ELi4E12block_iq4_nlLi2EXadL_ZL19vec_dot_iq4_nl_q8_1PKvPK10block_q8_1RKiEEEvS4_S4_PT_iii.has_dyn_sized_stack, 0
	.set _ZL13mul_mat_vec_qIN3c104HalfELi32ELi4E12block_iq4_nlLi2EXadL_ZL19vec_dot_iq4_nl_q8_1PKvPK10block_q8_1RKiEEEvS4_S4_PT_iii.has_recursion, 0
	.set _ZL13mul_mat_vec_qIN3c104HalfELi32ELi4E12block_iq4_nlLi2EXadL_ZL19vec_dot_iq4_nl_q8_1PKvPK10block_q8_1RKiEEEvS4_S4_PT_iii.has_indirect_call, 0
	.section	.AMDGPU.csdata,"",@progbits
; Kernel info:
; codeLenInByte = 1248
; TotalNumSgprs: 16
; NumVgprs: 45
; ScratchSize: 0
; MemoryBound: 0
; FloatMode: 240
; IeeeMode: 1
; LDSByteSize: 0 bytes/workgroup (compile time only)
; SGPRBlocks: 0
; VGPRBlocks: 2
; NumSGPRsForWavesPerEU: 16
; NumVGPRsForWavesPerEU: 45
; NamedBarCnt: 0
; Occupancy: 16
; WaveLimiterHint : 0
; COMPUTE_PGM_RSRC2:SCRATCH_EN: 0
; COMPUTE_PGM_RSRC2:USER_SGPR: 2
; COMPUTE_PGM_RSRC2:TRAP_HANDLER: 0
; COMPUTE_PGM_RSRC2:TGID_X_EN: 1
; COMPUTE_PGM_RSRC2:TGID_Y_EN: 1
; COMPUTE_PGM_RSRC2:TGID_Z_EN: 0
; COMPUTE_PGM_RSRC2:TIDIG_COMP_CNT: 1
	.section	.text._ZL13mul_mat_vec_qIN3c104HalfELi256ELi8E11block_iq3_sLi1EXadL_ZL18vec_dot_iq3_s_q8_1PKvPK10block_q8_1RKiEEEvS4_S4_PT_iii,"axG",@progbits,_ZL13mul_mat_vec_qIN3c104HalfELi256ELi8E11block_iq3_sLi1EXadL_ZL18vec_dot_iq3_s_q8_1PKvPK10block_q8_1RKiEEEvS4_S4_PT_iii,comdat
	.globl	_ZL13mul_mat_vec_qIN3c104HalfELi256ELi8E11block_iq3_sLi1EXadL_ZL18vec_dot_iq3_s_q8_1PKvPK10block_q8_1RKiEEEvS4_S4_PT_iii ; -- Begin function _ZL13mul_mat_vec_qIN3c104HalfELi256ELi8E11block_iq3_sLi1EXadL_ZL18vec_dot_iq3_s_q8_1PKvPK10block_q8_1RKiEEEvS4_S4_PT_iii
	.p2align	8
	.type	_ZL13mul_mat_vec_qIN3c104HalfELi256ELi8E11block_iq3_sLi1EXadL_ZL18vec_dot_iq3_s_q8_1PKvPK10block_q8_1RKiEEEvS4_S4_PT_iii,@function
_ZL13mul_mat_vec_qIN3c104HalfELi256ELi8E11block_iq3_sLi1EXadL_ZL18vec_dot_iq3_s_q8_1PKvPK10block_q8_1RKiEEEvS4_S4_PT_iii: ; @_ZL13mul_mat_vec_qIN3c104HalfELi256ELi8E11block_iq3_sLi1EXadL_ZL18vec_dot_iq3_s_q8_1PKvPK10block_q8_1RKiEEEvS4_S4_PT_iii
; %bb.0:
	s_clause 0x1
	s_load_u16 s2, s[0:1], 0x36
	s_load_b96 s[4:6], s[0:1], 0x18
	s_bfe_u32 s7, ttmp6, 0x4000c
	s_bfe_u32 s8, ttmp6, 0x40010
	s_add_co_i32 s7, s7, 1
	s_add_co_i32 s8, s8, 1
	s_and_b32 s3, ttmp6, 15
	s_mul_i32 s7, ttmp9, s7
	s_mul_i32 s8, ttmp7, s8
	s_bfe_u32 s9, ttmp6, 0x40004
	s_add_co_i32 s3, s3, s7
	s_getreg_b32 s7, hwreg(HW_REG_IB_STS2, 6, 4)
	s_add_co_i32 s9, s9, s8
	v_bfe_u32 v1, v0, 10, 10
	s_cmp_eq_u32 s7, 0
	s_cselect_b32 s3, ttmp9, s3
	s_cselect_b32 s8, ttmp7, s9
	s_wait_kmcnt 0x0
	v_mad_u32 v22, s3, s2, v1
	s_cmp_lt_u32 s8, s6
	s_cselect_b32 s2, -1, 0
	s_delay_alu instid0(VALU_DEP_1) | instskip(SKIP_1) | instid1(SALU_CYCLE_1)
	v_cmp_gt_u32_e32 vcc_lo, s5, v22
	s_and_b32 s2, s2, vcc_lo
	s_and_saveexec_b32 s3, s2
	s_cbranch_execz .LBB93_9
; %bb.1:
	s_load_b64 s[6:7], s[0:1], 0x10
	s_ashr_i32 s2, s4, 31
	v_bfe_u32 v24, v0, 3, 7
	s_lshr_b32 s2, s2, 24
	v_and_b32_e32 v23, 0x3ff, v0
	v_mov_b32_e32 v1, 0
	s_add_co_i32 s2, s4, s2
	s_mov_b32 s9, exec_lo
	s_ashr_i32 s10, s2, 8
	s_delay_alu instid0(SALU_CYCLE_1)
	v_cmpx_gt_u32_e64 s10, v24
	s_cbranch_execz .LBB93_7
; %bb.2:
	s_wait_xcnt 0x0
	s_load_b128 s[0:3], s[0:1], 0x0
	v_dual_mov_b32 v1, 0 :: v_dual_bitop2_b32 v2, 7, v23 bitop3:0x40
	v_lshlrev_b32_e32 v12, 2, v23
	v_mul_lo_u32 v25, v22, s10
	s_addk_co_i32 s4, 0x1ff
	s_delay_alu instid0(VALU_DEP_3)
	v_dual_mov_b32 v7, v1 :: v_dual_lshlrev_b32 v6, 2, v2
	v_lshlrev_b32_e32 v0, 3, v2
	s_ashr_i32 s11, s4, 31
	v_bfe_u32 v4, v23, 1, 2
	s_lshr_b32 s11, s11, 23
	v_dual_mov_b32 v3, v1 :: v_dual_mov_b32 v5, v1
	s_add_co_i32 s4, s4, s11
	v_add_nc_u32_e32 v26, v24, v25
	s_ashr_i32 s4, s4, 9
	s_delay_alu instid0(SALU_CYCLE_1)
	s_mul_i32 s4, s8, s4
	s_wait_kmcnt 0x0
	v_add_nc_u64_e32 v[8:9], s[0:1], v[6:7]
	v_add_nc_u64_e32 v[10:11], s[0:1], v[0:1]
	v_mad_nc_u64_u32 v[6:7], v2, 36, s[2:3]
	v_and_b32_e32 v0, 4, v12
	s_lshl_b32 s11, s4, 4
	s_mov_b32 s4, 0
	s_get_pc_i64 s[2:3]
	s_add_nc_u64 s[2:3], s[2:3], _ZL10iq3xs_grid@rel64+4
	v_add_nc_u64_e32 v[8:9], 0x4a, v[8:9]
	v_add_nc_u64_e32 v[10:11], 2, v[10:11]
.LBB93_3:                               ; =>This Loop Header: Depth=1
                                        ;     Child Loop BB93_4 Depth 2
	v_dual_mov_b32 v27, 0 :: v_dual_add_nc_u32 v12, v24, v25
	s_delay_alu instid0(VALU_DEP_3) | instskip(NEXT) | instid1(VALU_DEP_3)
	v_mad_nc_i64_i32 v[16:17], 0x6e, v26, v[8:9]
	v_mad_nc_i64_i32 v[18:19], 0x6e, v26, v[10:11]
	s_mov_b32 s12, 7
	s_delay_alu instid0(VALU_DEP_3) | instskip(NEXT) | instid1(VALU_DEP_1)
	v_mad_nc_i64_i32 v[12:13], 0x6e, v12, s[0:1]
	v_add_nc_u64_e32 v[14:15], v[12:13], v[2:3]
	global_load_u8 v28, v[14:15], off offset:66
	s_wait_xcnt 0x0
	v_lshl_add_u32 v14, v24, 3, s11
	s_delay_alu instid0(VALU_DEP_1) | instskip(NEXT) | instid1(VALU_DEP_1)
	v_mad_nc_i64_i32 v[14:15], v14, 36, v[6:7]
	v_add_nc_u64_e32 v[20:21], 4, v[14:15]
.LBB93_4:                               ;   Parent Loop BB93_3 Depth=1
                                        ; =>  This Inner Loop Header: Depth=2
	global_load_u16 v29, v[18:19], off
	s_add_co_i32 s13, s12, 1
	s_wait_loadcnt 0x1
	v_dual_lshlrev_b32 v30, s12, v28 :: v_dual_lshlrev_b32 v31, s13, v28
	global_load_u8 v32, v[16:17], off
	s_wait_xcnt 0x0
	v_add_nc_u64_e32 v[16:17], 1, v[16:17]
	v_add_nc_u64_e32 v[18:19], 2, v[18:19]
	s_add_co_i32 s12, s12, -2
	s_delay_alu instid0(SALU_CYCLE_1) | instskip(SKIP_3) | instid1(VALU_DEP_2)
	s_cmp_lg_u32 s12, -1
	s_wait_loadcnt 0x1
	v_lshrrev_b16 v33, 8, v29
	v_and_b32_e32 v29, 0xff, v29
	v_and_b32_e32 v33, 0xffff, v33
	s_delay_alu instid0(VALU_DEP_2) | instskip(NEXT) | instid1(VALU_DEP_2)
	v_and_or_b32 v29, 0x100, v31, v29
	v_and_or_b32 v33, 0x100, v30, v33
	s_clause 0x1
	global_load_b32 v34, v29, s[2:3] scale_offset
	global_load_b32 v35, v33, s[2:3] scale_offset
	global_load_b64 v[30:31], v[20:21], off
	s_wait_loadcnt 0x3
	s_wait_xcnt 0x2
	v_and_b32_e32 v29, 15, v32
	v_lshrrev_b16 v32, 4, v32
	s_wait_xcnt 0x0
	v_add_nc_u64_e32 v[20:21], 8, v[20:21]
	s_delay_alu instid0(VALU_DEP_2) | instskip(NEXT) | instid1(VALU_DEP_1)
	v_and_b32_e32 v32, 0xffff, v32
	v_mul_lo_u32 v32, 0x1010101, v32
	s_delay_alu instid0(VALU_DEP_1)
	v_bitop3_b32 v44, v32, 0x8040201, v32 bitop3:0xc
	v_bitop3_b32 v45, v32, 0x40000, v32 bitop3:0xc
	;; [unrolled: 1-line block ×4, first 2 shown]
	s_wait_loadcnt 0x0
	v_ashrrev_i32_e32 v37, 24, v30
	v_and_b32_e32 v29, 0xffff, v29
	v_lshrrev_b16 v33, 8, v30
	v_lshrrev_b16 v36, 8, v31
	v_bfe_i32 v40, v31, 16, 8
	v_bfe_i32 v38, v30, 16, 8
	v_mul_lo_u32 v29, 0x1010101, v29
	v_bfe_i32 v30, v30, 0, 8
	v_bfe_i32 v33, v33, 0, 8
	;; [unrolled: 1-line block ×3, first 2 shown]
	s_delay_alu instid0(VALU_DEP_4) | instskip(SKIP_3) | instid1(VALU_DEP_4)
	v_bitop3_b32 v41, v29, 0x8040201, v29 bitop3:0xc
	v_bitop3_b32 v42, v29, 0x40000, v29 bitop3:0xc
	;; [unrolled: 1-line block ×4, first 2 shown]
	v_cmp_gt_u32_e32 vcc_lo, 0x1000000, v41
	v_cndmask_b32_e64 v41, 0, -1, vcc_lo
	v_cmp_eq_u32_e32 vcc_lo, 0, v42
	v_ashrrev_i32_e32 v39, 24, v31
	v_bfe_i32 v31, v31, 0, 8
	s_delay_alu instid0(VALU_DEP_4)
	v_lshlrev_b32_e32 v41, 24, v41
	v_cndmask_b32_e64 v42, 0, 0xff0000, vcc_lo
	v_cmp_eq_u32_e32 vcc_lo, 0, v43
	v_cndmask_b32_e64 v43, 0, 0xff00, vcc_lo
	v_cmp_eq_u32_e32 vcc_lo, 0, v29
	v_cndmask_b32_e64 v29, 0, 0xff, vcc_lo
	v_cmp_gt_u32_e32 vcc_lo, 0x1000000, v44
	s_delay_alu instid0(VALU_DEP_2) | instskip(SKIP_2) | instid1(VALU_DEP_3)
	v_or3_b32 v47, v43, v29, v42
	v_cndmask_b32_e64 v44, 0, -1, vcc_lo
	v_cmp_eq_u32_e32 vcc_lo, 0, v45
	v_bitop3_b32 v34, v47, v34, v41 bitop3:0x36
	s_delay_alu instid0(VALU_DEP_3) | instskip(SKIP_2) | instid1(VALU_DEP_4)
	v_lshlrev_b32_e32 v44, 24, v44
	v_cndmask_b32_e64 v45, 0, 0xff0000, vcc_lo
	v_cmp_eq_u32_e32 vcc_lo, 0, v46
	v_dual_sub_nc_u32 v42, v34, v42 :: v_dual_sub_nc_u32 v29, v34, v29
	v_cndmask_b32_e64 v46, 0, 0xff00, vcc_lo
	v_cmp_eq_u32_e32 vcc_lo, 0, v32
	v_cndmask_b32_e64 v32, 0, 0xff, vcc_lo
	s_delay_alu instid0(VALU_DEP_1) | instskip(NEXT) | instid1(VALU_DEP_1)
	v_or3_b32 v48, v46, v32, v45
	v_bitop3_b32 v35, v48, v35, v44 bitop3:0x36
	v_dual_sub_nc_u32 v41, v34, v41 :: v_dual_sub_nc_u32 v34, v34, v43
	v_perm_b32 v29, v42, v29, 0xc060c00
	s_delay_alu instid0(VALU_DEP_3) | instskip(SKIP_1) | instid1(VALU_DEP_4)
	v_dual_sub_nc_u32 v42, v35, v45 :: v_dual_sub_nc_u32 v43, v35, v46
	v_sub_nc_u32_e32 v32, v35, v32
	v_dual_sub_nc_u32 v35, v35, v44 :: v_dual_ashrrev_i32 v41, 24, v41
	v_lshrrev_b16 v34, 8, v34
	s_delay_alu instid0(VALU_DEP_3) | instskip(SKIP_1) | instid1(VALU_DEP_4)
	v_perm_b32 v32, v42, v32, 0xc060c00
	v_lshrrev_b16 v42, 8, v43
	v_ashrrev_i32_e32 v35, 24, v35
	v_bfe_i32 v43, v29, 0, 8
	v_bfe_i32 v29, v29, 16, 8
	;; [unrolled: 1-line block ×6, first 2 shown]
	v_mul_i32_i24_e32 v35, v35, v39
	v_mul_i32_i24_e32 v39, v44, v40
	;; [unrolled: 1-line block ×6, first 2 shown]
	v_mad_i32_i24 v34, v41, v37, v35
	v_mad_i32_i24 v29, v29, v38, v39
	s_delay_alu instid0(VALU_DEP_2) | instskip(NEXT) | instid1(VALU_DEP_2)
	v_add3_u32 v32, v33, v32, v34
	v_add3_u32 v29, v30, v31, v29
	s_delay_alu instid0(VALU_DEP_1)
	v_add3_u32 v27, v29, v32, v27
	s_cbranch_scc1 .LBB93_4
; %bb.5:                                ;   in Loop: Header=BB93_3 Depth=1
	v_add_nc_u64_e32 v[16:17], v[12:13], v[4:5]
	s_clause 0x1
	global_load_u8 v18, v[16:17], off offset:106
	global_load_u16 v19, v[12:13], off
	global_load_b32 v20, v[14:15], off
	v_dual_add_nc_u32 v26, 4, v26 :: v_dual_add_nc_u32 v24, 4, v24
	s_delay_alu instid0(VALU_DEP_1)
	v_cmp_le_u32_e32 vcc_lo, s10, v24
	s_or_b32 s4, vcc_lo, s4
	s_wait_loadcnt 0x2
	s_wait_xcnt 0x1
	v_bfe_u32 v12, v18, v0, 4
	s_wait_loadcnt 0x1
	v_cvt_f32_f16_e32 v13, v19
	s_wait_loadcnt 0x0
	v_cvt_f32_f16_e32 v14, v20
	v_cvt_f32_ubyte0_e32 v12, v12
	s_delay_alu instid0(VALU_DEP_1) | instskip(NEXT) | instid1(VALU_DEP_1)
	v_add_f32_e32 v12, 0.5, v12
	v_mul_f32_e32 v12, v12, v13
	v_cvt_f32_i32_e32 v13, v27
	s_delay_alu instid0(VALU_DEP_2) | instskip(NEXT) | instid1(VALU_DEP_1)
	v_mul_f32_e32 v12, v12, v14
	v_mul_f32_e32 v12, 0.5, v12
	s_delay_alu instid0(VALU_DEP_1)
	v_fmac_f32_e32 v1, v12, v13
	s_and_not1_b32 exec_lo, exec_lo, s4
	s_cbranch_execnz .LBB93_3
; %bb.6:
	s_or_b32 exec_lo, exec_lo, s4
.LBB93_7:
	s_delay_alu instid0(SALU_CYCLE_1) | instskip(SKIP_1) | instid1(VALU_DEP_1)
	s_or_b32 exec_lo, exec_lo, s9
	v_mbcnt_lo_u32_b32 v0, -1, 0
	v_xor_b32_e32 v3, 8, v0
	v_xor_b32_e32 v2, 16, v0
	s_delay_alu instid0(VALU_DEP_1) | instskip(SKIP_1) | instid1(VALU_DEP_4)
	v_cmp_gt_i32_e32 vcc_lo, 32, v2
	v_cndmask_b32_e32 v2, v0, v2, vcc_lo
	v_cmp_gt_i32_e32 vcc_lo, 32, v3
	v_cndmask_b32_e32 v3, v0, v3, vcc_lo
	s_delay_alu instid0(VALU_DEP_1)
	v_dual_lshlrev_b32 v3, 2, v3 :: v_dual_lshlrev_b32 v2, 2, v2
	ds_bpermute_b32 v2, v2, v1
	s_wait_dscnt 0x0
	v_add_f32_e32 v1, v1, v2
	ds_bpermute_b32 v2, v3, v1
	v_xor_b32_e32 v3, 4, v0
	s_delay_alu instid0(VALU_DEP_1) | instskip(SKIP_2) | instid1(VALU_DEP_1)
	v_cmp_gt_i32_e32 vcc_lo, 32, v3
	s_wait_dscnt 0x0
	v_dual_cndmask_b32 v3, v0, v3, vcc_lo :: v_dual_add_f32 v1, v1, v2
	v_lshlrev_b32_e32 v3, 2, v3
	ds_bpermute_b32 v2, v3, v1
	s_wait_dscnt 0x0
	v_dual_add_f32 v1, v1, v2 :: v_dual_bitop2_b32 v3, 2, v0 bitop3:0x14
	s_delay_alu instid0(VALU_DEP_1) | instskip(SKIP_1) | instid1(VALU_DEP_1)
	v_cmp_gt_i32_e32 vcc_lo, 32, v3
	v_cndmask_b32_e32 v3, v0, v3, vcc_lo
	v_lshlrev_b32_e32 v3, 2, v3
	ds_bpermute_b32 v2, v3, v1
	v_xor_b32_e32 v3, 1, v0
	s_delay_alu instid0(VALU_DEP_1) | instskip(SKIP_3) | instid1(VALU_DEP_2)
	v_cmp_gt_i32_e32 vcc_lo, 32, v3
	v_cndmask_b32_e32 v3, v0, v3, vcc_lo
	v_cmp_eq_u32_e32 vcc_lo, 0, v23
	s_wait_dscnt 0x0
	v_dual_add_f32 v0, v1, v2 :: v_dual_lshlrev_b32 v1, 2, v3
	ds_bpermute_b32 v1, v1, v0
	s_and_b32 exec_lo, exec_lo, vcc_lo
	s_cbranch_execz .LBB93_9
; %bb.8:
	v_mad_u32 v2, s5, s8, v22
	s_wait_dscnt 0x0
	v_add_f32_e32 v0, v0, v1
	s_delay_alu instid0(VALU_DEP_1)
	v_cvt_f16_f32_e32 v0, v0
	s_wait_kmcnt 0x0
	global_store_b16 v2, v0, s[6:7] scale_offset
.LBB93_9:
	s_endpgm
	.section	.rodata,"a",@progbits
	.p2align	6, 0x0
	.amdhsa_kernel _ZL13mul_mat_vec_qIN3c104HalfELi256ELi8E11block_iq3_sLi1EXadL_ZL18vec_dot_iq3_s_q8_1PKvPK10block_q8_1RKiEEEvS4_S4_PT_iii
		.amdhsa_group_segment_fixed_size 0
		.amdhsa_private_segment_fixed_size 0
		.amdhsa_kernarg_size 296
		.amdhsa_user_sgpr_count 2
		.amdhsa_user_sgpr_dispatch_ptr 0
		.amdhsa_user_sgpr_queue_ptr 0
		.amdhsa_user_sgpr_kernarg_segment_ptr 1
		.amdhsa_user_sgpr_dispatch_id 0
		.amdhsa_user_sgpr_kernarg_preload_length 0
		.amdhsa_user_sgpr_kernarg_preload_offset 0
		.amdhsa_user_sgpr_private_segment_size 0
		.amdhsa_wavefront_size32 1
		.amdhsa_uses_dynamic_stack 0
		.amdhsa_enable_private_segment 0
		.amdhsa_system_sgpr_workgroup_id_x 1
		.amdhsa_system_sgpr_workgroup_id_y 1
		.amdhsa_system_sgpr_workgroup_id_z 0
		.amdhsa_system_sgpr_workgroup_info 0
		.amdhsa_system_vgpr_workitem_id 1
		.amdhsa_next_free_vgpr 49
		.amdhsa_next_free_sgpr 14
		.amdhsa_named_barrier_count 0
		.amdhsa_reserve_vcc 1
		.amdhsa_float_round_mode_32 0
		.amdhsa_float_round_mode_16_64 0
		.amdhsa_float_denorm_mode_32 3
		.amdhsa_float_denorm_mode_16_64 3
		.amdhsa_fp16_overflow 0
		.amdhsa_memory_ordered 1
		.amdhsa_forward_progress 1
		.amdhsa_inst_pref_size 14
		.amdhsa_round_robin_scheduling 0
		.amdhsa_exception_fp_ieee_invalid_op 0
		.amdhsa_exception_fp_denorm_src 0
		.amdhsa_exception_fp_ieee_div_zero 0
		.amdhsa_exception_fp_ieee_overflow 0
		.amdhsa_exception_fp_ieee_underflow 0
		.amdhsa_exception_fp_ieee_inexact 0
		.amdhsa_exception_int_div_zero 0
	.end_amdhsa_kernel
	.section	.text._ZL13mul_mat_vec_qIN3c104HalfELi256ELi8E11block_iq3_sLi1EXadL_ZL18vec_dot_iq3_s_q8_1PKvPK10block_q8_1RKiEEEvS4_S4_PT_iii,"axG",@progbits,_ZL13mul_mat_vec_qIN3c104HalfELi256ELi8E11block_iq3_sLi1EXadL_ZL18vec_dot_iq3_s_q8_1PKvPK10block_q8_1RKiEEEvS4_S4_PT_iii,comdat
.Lfunc_end93:
	.size	_ZL13mul_mat_vec_qIN3c104HalfELi256ELi8E11block_iq3_sLi1EXadL_ZL18vec_dot_iq3_s_q8_1PKvPK10block_q8_1RKiEEEvS4_S4_PT_iii, .Lfunc_end93-_ZL13mul_mat_vec_qIN3c104HalfELi256ELi8E11block_iq3_sLi1EXadL_ZL18vec_dot_iq3_s_q8_1PKvPK10block_q8_1RKiEEEvS4_S4_PT_iii
                                        ; -- End function
	.set _ZL13mul_mat_vec_qIN3c104HalfELi256ELi8E11block_iq3_sLi1EXadL_ZL18vec_dot_iq3_s_q8_1PKvPK10block_q8_1RKiEEEvS4_S4_PT_iii.num_vgpr, 49
	.set _ZL13mul_mat_vec_qIN3c104HalfELi256ELi8E11block_iq3_sLi1EXadL_ZL18vec_dot_iq3_s_q8_1PKvPK10block_q8_1RKiEEEvS4_S4_PT_iii.num_agpr, 0
	.set _ZL13mul_mat_vec_qIN3c104HalfELi256ELi8E11block_iq3_sLi1EXadL_ZL18vec_dot_iq3_s_q8_1PKvPK10block_q8_1RKiEEEvS4_S4_PT_iii.numbered_sgpr, 14
	.set _ZL13mul_mat_vec_qIN3c104HalfELi256ELi8E11block_iq3_sLi1EXadL_ZL18vec_dot_iq3_s_q8_1PKvPK10block_q8_1RKiEEEvS4_S4_PT_iii.num_named_barrier, 0
	.set _ZL13mul_mat_vec_qIN3c104HalfELi256ELi8E11block_iq3_sLi1EXadL_ZL18vec_dot_iq3_s_q8_1PKvPK10block_q8_1RKiEEEvS4_S4_PT_iii.private_seg_size, 0
	.set _ZL13mul_mat_vec_qIN3c104HalfELi256ELi8E11block_iq3_sLi1EXadL_ZL18vec_dot_iq3_s_q8_1PKvPK10block_q8_1RKiEEEvS4_S4_PT_iii.uses_vcc, 1
	.set _ZL13mul_mat_vec_qIN3c104HalfELi256ELi8E11block_iq3_sLi1EXadL_ZL18vec_dot_iq3_s_q8_1PKvPK10block_q8_1RKiEEEvS4_S4_PT_iii.uses_flat_scratch, 0
	.set _ZL13mul_mat_vec_qIN3c104HalfELi256ELi8E11block_iq3_sLi1EXadL_ZL18vec_dot_iq3_s_q8_1PKvPK10block_q8_1RKiEEEvS4_S4_PT_iii.has_dyn_sized_stack, 0
	.set _ZL13mul_mat_vec_qIN3c104HalfELi256ELi8E11block_iq3_sLi1EXadL_ZL18vec_dot_iq3_s_q8_1PKvPK10block_q8_1RKiEEEvS4_S4_PT_iii.has_recursion, 0
	.set _ZL13mul_mat_vec_qIN3c104HalfELi256ELi8E11block_iq3_sLi1EXadL_ZL18vec_dot_iq3_s_q8_1PKvPK10block_q8_1RKiEEEvS4_S4_PT_iii.has_indirect_call, 0
	.section	.AMDGPU.csdata,"",@progbits
; Kernel info:
; codeLenInByte = 1692
; TotalNumSgprs: 16
; NumVgprs: 49
; ScratchSize: 0
; MemoryBound: 0
; FloatMode: 240
; IeeeMode: 1
; LDSByteSize: 0 bytes/workgroup (compile time only)
; SGPRBlocks: 0
; VGPRBlocks: 3
; NumSGPRsForWavesPerEU: 16
; NumVGPRsForWavesPerEU: 49
; NamedBarCnt: 0
; Occupancy: 16
; WaveLimiterHint : 0
; COMPUTE_PGM_RSRC2:SCRATCH_EN: 0
; COMPUTE_PGM_RSRC2:USER_SGPR: 2
; COMPUTE_PGM_RSRC2:TRAP_HANDLER: 0
; COMPUTE_PGM_RSRC2:TGID_X_EN: 1
; COMPUTE_PGM_RSRC2:TGID_Y_EN: 1
; COMPUTE_PGM_RSRC2:TGID_Z_EN: 0
; COMPUTE_PGM_RSRC2:TIDIG_COMP_CNT: 1
	.section	.text._ZL13mul_mat_vec_qIN3c104HalfELi256ELi8E11block_iq2_sLi1EXadL_ZL18vec_dot_iq2_s_q8_1PKvPK10block_q8_1RKiEEEvS4_S4_PT_iii,"axG",@progbits,_ZL13mul_mat_vec_qIN3c104HalfELi256ELi8E11block_iq2_sLi1EXadL_ZL18vec_dot_iq2_s_q8_1PKvPK10block_q8_1RKiEEEvS4_S4_PT_iii,comdat
	.globl	_ZL13mul_mat_vec_qIN3c104HalfELi256ELi8E11block_iq2_sLi1EXadL_ZL18vec_dot_iq2_s_q8_1PKvPK10block_q8_1RKiEEEvS4_S4_PT_iii ; -- Begin function _ZL13mul_mat_vec_qIN3c104HalfELi256ELi8E11block_iq2_sLi1EXadL_ZL18vec_dot_iq2_s_q8_1PKvPK10block_q8_1RKiEEEvS4_S4_PT_iii
	.p2align	8
	.type	_ZL13mul_mat_vec_qIN3c104HalfELi256ELi8E11block_iq2_sLi1EXadL_ZL18vec_dot_iq2_s_q8_1PKvPK10block_q8_1RKiEEEvS4_S4_PT_iii,@function
_ZL13mul_mat_vec_qIN3c104HalfELi256ELi8E11block_iq2_sLi1EXadL_ZL18vec_dot_iq2_s_q8_1PKvPK10block_q8_1RKiEEEvS4_S4_PT_iii: ; @_ZL13mul_mat_vec_qIN3c104HalfELi256ELi8E11block_iq2_sLi1EXadL_ZL18vec_dot_iq2_s_q8_1PKvPK10block_q8_1RKiEEEvS4_S4_PT_iii
; %bb.0:
	s_clause 0x1
	s_load_u16 s2, s[0:1], 0x36
	s_load_b96 s[4:6], s[0:1], 0x18
	s_bfe_u32 s7, ttmp6, 0x4000c
	s_bfe_u32 s8, ttmp6, 0x40010
	s_add_co_i32 s7, s7, 1
	s_add_co_i32 s8, s8, 1
	s_and_b32 s3, ttmp6, 15
	s_mul_i32 s7, ttmp9, s7
	s_mul_i32 s8, ttmp7, s8
	s_bfe_u32 s9, ttmp6, 0x40004
	s_add_co_i32 s3, s3, s7
	s_getreg_b32 s7, hwreg(HW_REG_IB_STS2, 6, 4)
	s_add_co_i32 s9, s9, s8
	v_bfe_u32 v1, v0, 10, 10
	s_cmp_eq_u32 s7, 0
	s_cselect_b32 s3, ttmp9, s3
	s_cselect_b32 s8, ttmp7, s9
	s_wait_kmcnt 0x0
	v_mad_u32 v14, s3, s2, v1
	s_cmp_lt_u32 s8, s6
	s_cselect_b32 s2, -1, 0
	s_delay_alu instid0(VALU_DEP_1) | instskip(SKIP_1) | instid1(SALU_CYCLE_1)
	v_cmp_gt_u32_e32 vcc_lo, s5, v14
	s_and_b32 s2, s2, vcc_lo
	s_and_saveexec_b32 s3, s2
	s_cbranch_execz .LBB94_7
; %bb.1:
	s_load_b64 s[6:7], s[0:1], 0x10
	s_ashr_i32 s2, s4, 31
	v_bfe_u32 v16, v0, 3, 7
	s_lshr_b32 s2, s2, 24
	v_and_b32_e32 v15, 0x3ff, v0
	v_mov_b32_e32 v17, 0
	s_add_co_i32 s2, s4, s2
	s_mov_b32 s9, exec_lo
	s_ashr_i32 s10, s2, 8
	s_delay_alu instid0(SALU_CYCLE_1)
	v_cmpx_gt_u32_e64 s10, v16
	s_cbranch_execz .LBB94_5
; %bb.2:
	s_wait_xcnt 0x0
	s_load_b128 s[0:3], s[0:1], 0x0
	s_addk_co_i32 s4, 0x1ff
	v_dual_mov_b32 v5, 0 :: v_dual_bitop2_b32 v4, 7, v15 bitop3:0x40
	s_ashr_i32 s11, s4, 31
	v_mul_lo_u32 v18, v14, s10
	s_lshr_b32 s11, s11, 23
	s_delay_alu instid0(VALU_DEP_2)
	v_dual_mov_b32 v9, v5 :: v_dual_lshlrev_b32 v0, 3, v16
	s_add_co_i32 s4, s4, s11
	v_dual_mov_b32 v17, v5 :: v_dual_lshlrev_b32 v8, 2, v4
	s_ashr_i32 s4, s4, 9
	s_wait_kmcnt 0x0
	v_mad_nc_u64_u32 v[6:7], v4, 36, s[2:3]
	s_mul_i32 s2, s8, s4
	s_mov_b32 s4, 0
	v_lshl_add_u32 v19, s2, 4, v0
	s_get_pc_i64 s[2:3]
	s_add_nc_u64 s[2:3], s[2:3], _ZL9iq2s_grid@rel64+4
.LBB94_3:                               ; =>This Inner Loop Header: Depth=1
	v_add_nc_u32_e32 v0, v18, v16
	s_delay_alu instid0(VALU_DEP_2) | instskip(SKIP_1) | instid1(VALU_DEP_3)
	v_mad_nc_i64_i32 v[10:11], v19, 36, v[6:7]
	v_dual_add_nc_u32 v16, 4, v16 :: v_dual_add_nc_u32 v19, 32, v19
	v_mad_nc_i64_i32 v[12:13], 0x52, v0, s[0:1]
	s_delay_alu instid0(VALU_DEP_1)
	v_add_nc_u64_e32 v[0:1], v[12:13], v[8:9]
	v_add_nc_u64_e32 v[2:3], v[12:13], v[4:5]
	s_clause 0x3
	global_load_u8 v21, v[2:3], off offset:74
	global_load_u8 v31, v[2:3], off offset:66
	global_load_b32 v42, v[0:1], off offset:2
	global_load_b32 v34, v[0:1], off offset:34
	s_wait_loadcnt 0x2
	s_wait_xcnt 0x2
	v_lshlrev_b32_e32 v3, 8, v31
	s_wait_loadcnt 0x1
	v_and_b32_e32 v2, 0xff, v42
	s_wait_loadcnt 0x0
	v_dual_lshrrev_b32 v20, 24, v34 :: v_dual_bitop2_b32 v0, 15, v34 bitop3:0x40
	v_lshrrev_b32_e32 v30, 8, v34
	v_lshrrev_b32_e32 v32, 24, v42
	v_and_or_b32 v2, 0x300, v3, v2
	s_delay_alu instid0(VALU_DEP_4) | instskip(SKIP_2) | instid1(VALU_DEP_3)
	v_lshrrev_b16 v20, 4, v20
	v_mul_lo_u32 v0, 0x1010101, v0
	v_lshrrev_b16 v30, 4, v30
	v_and_b32_e32 v20, 0xffff, v20
	s_delay_alu instid0(VALU_DEP_2) | instskip(NEXT) | instid1(VALU_DEP_2)
	v_and_b32_e32 v30, 15, v30
	v_mul_lo_u32 v20, 0x1010101, v20
	v_bitop3_b32 v1, v0, 0x8040201, v0 bitop3:0xc
	s_delay_alu instid0(VALU_DEP_3) | instskip(NEXT) | instid1(VALU_DEP_2)
	v_and_b32_e32 v30, 0xffff, v30
	v_cmp_gt_u32_e32 vcc_lo, 0x1000000, v1
	s_delay_alu instid0(VALU_DEP_2) | instskip(SKIP_1) | instid1(VALU_DEP_1)
	v_mul_lo_u32 v30, 0x1010101, v30
	v_cndmask_b32_e64 v1, 0, -1, vcc_lo
	v_lshlrev_b32_e32 v3, 24, v1
	v_bitop3_b32 v1, v0, 0x40000, v0 bitop3:0xc
	s_delay_alu instid0(VALU_DEP_4) | instskip(NEXT) | instid1(VALU_DEP_2)
	v_bitop3_b32 v40, v30, 0x8040201, v30 bitop3:0xc
	v_cmp_eq_u32_e32 vcc_lo, 0, v1
	v_bitop3_b32 v1, v0, 0x200, v0 bitop3:0xc
	v_bitop3_b32 v0, v0, 1, v0 bitop3:0xc
	v_cndmask_b32_e64 v22, 0, 0xff0000, vcc_lo
	s_delay_alu instid0(VALU_DEP_3) | instskip(SKIP_1) | instid1(VALU_DEP_4)
	v_cmp_eq_u32_e32 vcc_lo, 0, v1
	v_cndmask_b32_e64 v24, 0, 0xff00, vcc_lo
	v_cmp_eq_u32_e32 vcc_lo, 0, v0
	v_lshrrev_b16 v0, 4, v34
	v_cndmask_b32_e64 v25, 0, 0xff, vcc_lo
	s_delay_alu instid0(VALU_DEP_2) | instskip(NEXT) | instid1(VALU_DEP_2)
	v_and_b32_e32 v0, 15, v0
	v_or3_b32 v23, v24, v25, v22
	s_delay_alu instid0(VALU_DEP_2) | instskip(NEXT) | instid1(VALU_DEP_1)
	v_and_b32_e32 v0, 0xffff, v0
	v_mul_lo_u32 v0, 0x1010101, v0
	s_delay_alu instid0(VALU_DEP_1) | instskip(NEXT) | instid1(VALU_DEP_1)
	v_bitop3_b32 v1, v0, 0x8040201, v0 bitop3:0xc
	v_cmp_gt_u32_e32 vcc_lo, 0x1000000, v1
	v_cndmask_b32_e64 v1, 0, -1, vcc_lo
	s_delay_alu instid0(VALU_DEP_1) | instskip(SKIP_1) | instid1(VALU_DEP_1)
	v_lshlrev_b32_e32 v27, 24, v1
	v_bitop3_b32 v1, v0, 0x40000, v0 bitop3:0xc
	v_cmp_eq_u32_e32 vcc_lo, 0, v1
	v_bitop3_b32 v1, v0, 0x200, v0 bitop3:0xc
	v_bitop3_b32 v0, v0, 1, v0 bitop3:0xc
	v_cndmask_b32_e64 v29, 0, 0xff0000, vcc_lo
	s_delay_alu instid0(VALU_DEP_3) | instskip(SKIP_1) | instid1(VALU_DEP_4)
	v_cmp_eq_u32_e32 vcc_lo, 0, v1
	v_cndmask_b32_e64 v33, 0, 0xff00, vcc_lo
	v_cmp_eq_u32_e32 vcc_lo, 0, v0
	global_load_b64 v[0:1], v2, s[2:3] scale_offset
	v_cndmask_b32_e64 v35, 0, 0xff, vcc_lo
	s_delay_alu instid0(VALU_DEP_1) | instskip(SKIP_2) | instid1(VALU_DEP_1)
	v_or3_b32 v36, v33, v35, v29
	s_wait_loadcnt 0x0
	v_bitop3_b32 v0, v23, v0, v3 bitop3:0x36
	v_dual_sub_nc_u32 v23, v0, v3 :: v_dual_sub_nc_u32 v2, v0, v22
	v_dual_sub_nc_u32 v22, v0, v24 :: v_dual_sub_nc_u32 v26, v0, v25
	v_bitop3_b32 v0, v36, v1, v27 bitop3:0x36
	s_delay_alu instid0(VALU_DEP_1) | instskip(SKIP_4) | instid1(VALU_DEP_4)
	v_dual_sub_nc_u32 v25, v0, v27 :: v_dual_sub_nc_u32 v1, v0, v29
	v_dual_sub_nc_u32 v27, v0, v35 :: v_dual_sub_nc_u32 v24, v0, v33
	v_lshlrev_b32_e32 v35, 6, v31
	v_bfe_u32 v33, v42, 8, 8
	v_perm_b32 v28, v2, v26, 0xc060c00
	v_perm_b32 v29, v1, v27, 0xc060c00
	global_load_b128 v[0:3], v[10:11], off offset:4
	v_perm_b32 v26, v26, v27, 0xc0c0400
	v_and_or_b32 v33, 0x300, v35, v33
	v_bfe_u32 v35, v34, 8, 4
	v_perm_b32 v28, v28, v29, 0xc0c0602
	v_perm_b32 v23, v23, v25, 0xc0c0703
	;; [unrolled: 1-line block ×3, first 2 shown]
	s_delay_alu instid0(VALU_DEP_4) | instskip(NEXT) | instid1(VALU_DEP_1)
	v_mul_lo_u32 v35, 0x1010101, v35
	v_bitop3_b32 v36, v35, 0x8040201, v35 bitop3:0xc
	v_bitop3_b32 v37, v35, 0x40000, v35 bitop3:0xc
	;; [unrolled: 1-line block ×4, first 2 shown]
	s_delay_alu instid0(VALU_DEP_4) | instskip(SKIP_2) | instid1(VALU_DEP_2)
	v_cmp_gt_u32_e32 vcc_lo, 0x1000000, v36
	v_cndmask_b32_e64 v36, 0, -1, vcc_lo
	v_cmp_eq_u32_e32 vcc_lo, 0, v37
	v_lshlrev_b32_e32 v36, 24, v36
	v_cndmask_b32_e64 v37, 0, 0xff0000, vcc_lo
	v_cmp_eq_u32_e32 vcc_lo, 0, v38
	v_cndmask_b32_e64 v38, 0, 0xff00, vcc_lo
	v_cmp_eq_u32_e32 vcc_lo, 0, v35
	v_cndmask_b32_e64 v35, 0, 0xff, vcc_lo
	v_cmp_gt_u32_e32 vcc_lo, 0x1000000, v40
	s_delay_alu instid0(VALU_DEP_2) | instskip(SKIP_1) | instid1(VALU_DEP_1)
	v_or3_b32 v39, v38, v35, v37
	v_cndmask_b32_e64 v40, 0, -1, vcc_lo
	v_lshlrev_b32_e32 v43, 24, v40
	v_bitop3_b32 v40, v30, 0x40000, v30 bitop3:0xc
	s_delay_alu instid0(VALU_DEP_1) | instskip(SKIP_3) | instid1(VALU_DEP_3)
	v_cmp_eq_u32_e32 vcc_lo, 0, v40
	v_bitop3_b32 v40, v30, 0x200, v30 bitop3:0xc
	v_bitop3_b32 v30, v30, 1, v30 bitop3:0xc
	v_cndmask_b32_e64 v44, 0, 0xff0000, vcc_lo
	v_cmp_eq_u32_e32 vcc_lo, 0, v40
	global_load_b64 v[40:41], v33, s[2:3] scale_offset
	v_cndmask_b32_e64 v45, 0, 0xff00, vcc_lo
	v_cmp_eq_u32_e32 vcc_lo, 0, v30
	v_cndmask_b32_e64 v46, 0, 0xff, vcc_lo
	s_delay_alu instid0(VALU_DEP_1) | instskip(SKIP_2) | instid1(VALU_DEP_1)
	v_or3_b32 v47, v45, v46, v44
	s_wait_loadcnt 0x0
	v_bitop3_b32 v39, v39, v40, v36 bitop3:0x36
	v_dual_sub_nc_u32 v33, v39, v36 :: v_dual_sub_nc_u32 v30, v39, v38
	v_sub_nc_u32_e32 v36, v39, v37
	v_bitop3_b32 v38, v47, v41, v43 bitop3:0x36
	v_sub_nc_u32_e32 v37, v39, v35
	v_bfe_u32 v41, v42, 16, 8
	v_dual_lshlrev_b32 v42, 4, v31 :: v_dual_lshlrev_b32 v31, 2, v31
	s_delay_alu instid0(VALU_DEP_4) | instskip(NEXT) | instid1(VALU_DEP_4)
	v_sub_nc_u32_e32 v40, v38, v44
	v_perm_b32 v39, v36, v37, 0xc060c00
	v_dual_sub_nc_u32 v36, v38, v43 :: v_dual_sub_nc_u32 v35, v38, v45
	v_sub_nc_u32_e32 v38, v38, v46
	v_and_or_b32 v41, 0x300, v42, v41
	v_bfe_u32 v42, v34, 16, 4
	v_and_or_b32 v31, 0x300, v31, v32
	v_bfe_u32 v32, v34, 24, 4
	v_perm_b32 v40, v40, v38, 0xc060c00
	v_perm_b32 v27, v38, v37, 0x4000c0c
	v_mul_lo_u32 v42, 0x1010101, v42
	v_perm_b32 v25, v36, v33, 0x7030c0c
	v_mul_lo_u32 v32, 0x1010101, v32
	v_perm_b32 v29, v40, v39, 0x6020c0c
	v_or_b32_e32 v26, v27, v26
	v_perm_b32 v24, v35, v30, 0x5010c0c
	v_or_b32_e32 v23, v25, v23
	s_delay_alu instid0(VALU_DEP_4) | instskip(NEXT) | instid1(VALU_DEP_3)
	v_or_b32_e32 v28, v29, v28
	v_or_b32_e32 v22, v24, v22
	v_bitop3_b32 v43, v42, 0x8040201, v42 bitop3:0xc
	s_delay_alu instid0(VALU_DEP_1) | instskip(SKIP_1) | instid1(VALU_DEP_1)
	v_cmp_gt_u32_e32 vcc_lo, 0x1000000, v43
	v_cndmask_b32_e64 v43, 0, -1, vcc_lo
	v_lshlrev_b32_e32 v44, 24, v43
	v_bitop3_b32 v43, v42, 0x40000, v42 bitop3:0xc
	s_delay_alu instid0(VALU_DEP_1) | instskip(SKIP_3) | instid1(VALU_DEP_3)
	v_cmp_eq_u32_e32 vcc_lo, 0, v43
	v_bitop3_b32 v43, v42, 0x200, v42 bitop3:0xc
	v_bitop3_b32 v42, v42, 1, v42 bitop3:0xc
	v_cndmask_b32_e64 v45, 0, 0xff0000, vcc_lo
	v_cmp_eq_u32_e32 vcc_lo, 0, v43
	v_cndmask_b32_e64 v46, 0, 0xff00, vcc_lo
	s_delay_alu instid0(VALU_DEP_4) | instskip(SKIP_3) | instid1(VALU_DEP_3)
	v_cmp_eq_u32_e32 vcc_lo, 0, v42
	v_bfe_u32 v42, v34, 20, 4
	v_bitop3_b32 v34, v32, 0x8040201, v32 bitop3:0xc
	v_cndmask_b32_e64 v47, 0, 0xff, vcc_lo
	v_mul_lo_u32 v42, 0x1010101, v42
	s_delay_alu instid0(VALU_DEP_2) | instskip(NEXT) | instid1(VALU_DEP_2)
	v_or3_b32 v48, v46, v47, v45
	v_bitop3_b32 v43, v42, 0x8040201, v42 bitop3:0xc
	s_delay_alu instid0(VALU_DEP_1) | instskip(SKIP_1) | instid1(VALU_DEP_1)
	v_cmp_gt_u32_e32 vcc_lo, 0x1000000, v43
	v_cndmask_b32_e64 v43, 0, -1, vcc_lo
	v_lshlrev_b32_e32 v49, 24, v43
	v_bitop3_b32 v43, v42, 0x40000, v42 bitop3:0xc
	s_delay_alu instid0(VALU_DEP_1) | instskip(SKIP_3) | instid1(VALU_DEP_3)
	v_cmp_eq_u32_e32 vcc_lo, 0, v43
	v_bitop3_b32 v43, v42, 0x200, v42 bitop3:0xc
	v_bitop3_b32 v42, v42, 1, v42 bitop3:0xc
	v_cndmask_b32_e64 v50, 0, 0xff0000, vcc_lo
	v_cmp_eq_u32_e32 vcc_lo, 0, v43
	v_cndmask_b32_e64 v51, 0, 0xff00, vcc_lo
	s_delay_alu instid0(VALU_DEP_4) | instskip(SKIP_3) | instid1(VALU_DEP_2)
	v_cmp_eq_u32_e32 vcc_lo, 0, v42
	global_load_b64 v[42:43], v41, s[2:3] scale_offset
	v_cndmask_b32_e64 v52, 0, 0xff, vcc_lo
	v_cmp_gt_u32_e32 vcc_lo, 0x1000000, v34
	v_or3_b32 v53, v51, v52, v50
	v_cndmask_b32_e64 v34, 0, -1, vcc_lo
	s_delay_alu instid0(VALU_DEP_1) | instskip(SKIP_2) | instid1(VALU_DEP_1)
	v_lshlrev_b32_e32 v34, 24, v34
	s_wait_loadcnt 0x0
	v_bitop3_b32 v41, v48, v42, v44 bitop3:0x36
	v_sub_nc_u32_e32 v54, v41, v46
	v_bitop3_b32 v46, v32, 0x40000, v32 bitop3:0xc
	v_dual_sub_nc_u32 v48, v41, v44 :: v_dual_sub_nc_u32 v42, v41, v45
	v_sub_nc_u32_e32 v41, v41, v47
	s_delay_alu instid0(VALU_DEP_3) | instskip(SKIP_2) | instid1(VALU_DEP_4)
	v_cmp_eq_u32_e32 vcc_lo, 0, v46
	v_bitop3_b32 v46, v32, 0x200, v32 bitop3:0xc
	v_bitop3_b32 v32, v32, 1, v32 bitop3:0xc
	v_perm_b32 v55, v42, v41, 0xc060c00
	v_bitop3_b32 v42, v53, v43, v49 bitop3:0x36
	v_cndmask_b32_e64 v53, 0, 0xff0000, vcc_lo
	v_cmp_eq_u32_e32 vcc_lo, 0, v46
	v_bitop3_b32 v46, v20, 0x8040201, v20 bitop3:0xc
	s_delay_alu instid0(VALU_DEP_4)
	v_dual_sub_nc_u32 v49, v42, v49 :: v_dual_sub_nc_u32 v43, v42, v50
	v_cndmask_b32_e64 v56, 0, 0xff00, vcc_lo
	v_cmp_eq_u32_e32 vcc_lo, 0, v32
	v_dual_sub_nc_u32 v50, v42, v51 :: v_dual_sub_nc_u32 v51, v42, v52
	v_cndmask_b32_e64 v32, 0, 0xff, vcc_lo
	v_cmp_gt_u32_e32 vcc_lo, 0x1000000, v46
	s_delay_alu instid0(VALU_DEP_3)
	v_perm_b32 v52, v43, v51, 0xc060c00
	s_clause 0x1
	global_load_b128 v[42:45], v[10:11], off offset:20
	global_load_b32 v10, v[10:11], off
	v_or3_b32 v57, v56, v32, v53
	v_cndmask_b32_e64 v46, 0, -1, vcc_lo
	v_perm_b32 v52, v55, v52, 0xc0c0602
	v_perm_b32 v41, v41, v51, 0xc0c0400
	;; [unrolled: 1-line block ×4, first 2 shown]
	v_lshlrev_b32_e32 v58, 24, v46
	v_bitop3_b32 v46, v20, 0x40000, v20 bitop3:0xc
	v_perm_b32 v25, v0, v1, 0xc0c0703
	v_perm_b32 v0, v0, v1, 0xc0c0501
	;; [unrolled: 1-line block ×3, first 2 shown]
	s_delay_alu instid0(VALU_DEP_4) | instskip(SKIP_2) | instid1(VALU_DEP_4)
	v_cmp_eq_u32_e32 vcc_lo, 0, v46
	v_bitop3_b32 v46, v20, 0x200, v20 bitop3:0xc
	v_bitop3_b32 v20, v20, 1, v20 bitop3:0xc
	v_or_b32_e32 v0, v1, v0
	v_lshrrev_b16 v1, 4, v21
	v_cndmask_b32_e64 v59, 0, 0xff0000, vcc_lo
	v_cmp_eq_u32_e32 vcc_lo, 0, v46
	global_load_b64 v[46:47], v31, s[2:3] scale_offset
	v_dot4_i32_iu8 v0, v22, v0, 0 neg_lo:[1,1,0]
	s_wait_xcnt 0x1
	v_cvt_f32_ubyte0_e32 v11, v1
	v_cndmask_b32_e64 v60, 0, 0xff00, vcc_lo
	v_cmp_eq_u32_e32 vcc_lo, 0, v20
	v_cndmask_b32_e64 v20, 0, 0xff, vcc_lo
	v_cmp_le_u32_e32 vcc_lo, s10, v16
	s_delay_alu instid0(VALU_DEP_2)
	v_or3_b32 v61, v60, v20, v59
	s_or_b32 s4, vcc_lo, s4
	s_wait_loadcnt 0x1
	v_cvt_f32_f16_e32 v10, v10
	s_wait_loadcnt 0x0
	v_bitop3_b32 v31, v57, v46, v34 bitop3:0x36
	s_delay_alu instid0(VALU_DEP_1) | instskip(SKIP_2) | instid1(VALU_DEP_1)
	v_dual_sub_nc_u32 v34, v31, v34 :: v_dual_sub_nc_u32 v46, v31, v53
	v_sub_nc_u32_e32 v53, v31, v56
	v_sub_nc_u32_e32 v31, v31, v32
	v_perm_b32 v32, v46, v31, 0xc060c00
	v_bitop3_b32 v46, v61, v47, v58 bitop3:0x36
	s_delay_alu instid0(VALU_DEP_1) | instskip(SKIP_1) | instid1(VALU_DEP_1)
	v_dual_sub_nc_u32 v56, v46, v59 :: v_dual_sub_nc_u32 v57, v46, v60
	v_dual_sub_nc_u32 v20, v46, v20 :: v_dual_sub_nc_u32 v47, v46, v58
	v_perm_b32 v46, v56, v20, 0xc060c00
	s_delay_alu instid0(VALU_DEP_2) | instskip(NEXT) | instid1(VALU_DEP_2)
	v_perm_b32 v34, v47, v34, 0x7030c0c
	v_perm_b32 v32, v46, v32, 0x6020c0c
	;; [unrolled: 1-line block ×3, first 2 shown]
	s_delay_alu instid0(VALU_DEP_2) | instskip(SKIP_1) | instid1(VALU_DEP_1)
	v_or_b32_e32 v32, v32, v52
	v_perm_b32 v52, v45, v44, 0x6020c0c
	v_or_b32_e32 v46, v52, v46
	v_perm_b32 v20, v20, v31, 0x4000c0c
	v_perm_b32 v31, v42, v43, 0xc0c0400
	s_delay_alu instid0(VALU_DEP_2) | instskip(SKIP_1) | instid1(VALU_DEP_1)
	v_or_b32_e32 v20, v20, v41
	v_perm_b32 v41, v45, v44, 0x4000c0c
	v_or_b32_e32 v31, v41, v31
	v_perm_b32 v41, v45, v44, 0x7030c0c
	s_delay_alu instid0(VALU_DEP_2) | instskip(SKIP_1) | instid1(VALU_DEP_1)
	v_dot4_i32_iu8 v20, v20, v31, 0 neg_lo:[1,1,0]
	v_perm_b32 v31, v48, v49, 0xc0c0703
	v_or_b32_e32 v31, v34, v31
	v_perm_b32 v34, v42, v43, 0xc0c0703
	s_delay_alu instid0(VALU_DEP_1) | instskip(SKIP_1) | instid1(VALU_DEP_2)
	v_or_b32_e32 v34, v41, v34
	v_perm_b32 v41, v57, v53, 0x5010c0c
	v_dot4_i32_iu8 v31, v31, v34, 0 neg_lo:[1,1,0]
	v_perm_b32 v34, v54, v50, 0xc0c0501
	s_delay_alu instid0(VALU_DEP_1) | instskip(SKIP_2) | instid1(VALU_DEP_1)
	v_or_b32_e32 v34, v41, v34
	v_perm_b32 v41, v42, v43, 0xc0c0501
	v_perm_b32 v42, v45, v44, 0x5010c0c
	v_or_b32_e32 v41, v42, v41
	s_delay_alu instid0(VALU_DEP_1) | instskip(NEXT) | instid1(VALU_DEP_1)
	v_dot4_i32_iu8 v34, v34, v41, 0 neg_lo:[1,1,0]
	v_add_nc_u32_e32 v31, v34, v31
	v_dot4_i32_iu8 v32, v32, v46, 0 neg_lo:[1,1,0]
	s_delay_alu instid0(VALU_DEP_1) | instskip(SKIP_1) | instid1(VALU_DEP_2)
	v_add3_u32 v20, v20, v32, v31
	v_perm_b32 v31, v3, v2, 0x6020c0c
	v_cvt_f32_i32_e32 v1, v20
	s_delay_alu instid0(VALU_DEP_2) | instskip(NEXT) | instid1(VALU_DEP_1)
	v_or_b32_e32 v29, v31, v29
	v_dot4_i32_iu8 v28, v28, v29, 0 neg_lo:[1,1,0]
	v_perm_b32 v29, v3, v2, 0x4000c0c
	s_delay_alu instid0(VALU_DEP_1) | instskip(NEXT) | instid1(VALU_DEP_1)
	v_or_b32_e32 v27, v29, v27
	v_dot4_i32_iu8 v26, v26, v27, 0 neg_lo:[1,1,0]
	v_perm_b32 v27, v3, v2, 0x7030c0c
	global_load_u16 v3, v[12:13], off
	v_and_b32_e32 v2, 15, v21
	v_or_b32_e32 v25, v27, v25
	s_delay_alu instid0(VALU_DEP_1) | instskip(NEXT) | instid1(VALU_DEP_1)
	v_dot4_i32_iu8 v23, v23, v25, 0 neg_lo:[1,1,0]
	v_add_nc_u32_e32 v0, v0, v23
	s_delay_alu instid0(VALU_DEP_1) | instskip(NEXT) | instid1(VALU_DEP_1)
	v_add3_u32 v0, v26, v28, v0
	v_cvt_f32_i32_e32 v0, v0
	s_wait_loadcnt 0x0
	v_cvt_f32_f16_e32 v3, v3
	s_delay_alu instid0(VALU_DEP_1) | instskip(SKIP_1) | instid1(VALU_DEP_2)
	v_mul_f32_e32 v3, v3, v10
	v_cvt_f32_ubyte0_e32 v10, v2
	v_mul_f32_e32 v3, 0x3e800000, v3
	s_delay_alu instid0(VALU_DEP_2) | instskip(NEXT) | instid1(VALU_DEP_1)
	v_pk_add_f32 v[10:11], v[10:11], 0.5 op_sel_hi:[1,0]
	v_pk_mul_f32 v[0:1], v[10:11], v[0:1]
	s_delay_alu instid0(VALU_DEP_1) | instskip(NEXT) | instid1(VALU_DEP_1)
	v_add_f32_e32 v0, v0, v1
	v_fmac_f32_e32 v17, v3, v0
	s_and_not1_b32 exec_lo, exec_lo, s4
	s_cbranch_execnz .LBB94_3
; %bb.4:
	s_or_b32 exec_lo, exec_lo, s4
.LBB94_5:
	s_delay_alu instid0(SALU_CYCLE_1) | instskip(SKIP_1) | instid1(VALU_DEP_1)
	s_or_b32 exec_lo, exec_lo, s9
	v_mbcnt_lo_u32_b32 v0, -1, 0
	v_xor_b32_e32 v2, 8, v0
	v_xor_b32_e32 v1, 16, v0
	;; [unrolled: 1-line block ×3, first 2 shown]
	s_delay_alu instid0(VALU_DEP_2) | instskip(SKIP_4) | instid1(VALU_DEP_2)
	v_cmp_gt_i32_e32 vcc_lo, 32, v1
	v_cndmask_b32_e32 v1, v0, v1, vcc_lo
	v_cmp_gt_i32_e32 vcc_lo, 32, v2
	v_cndmask_b32_e32 v2, v0, v2, vcc_lo
	v_cmp_gt_i32_e32 vcc_lo, 32, v3
	v_dual_lshlrev_b32 v2, 2, v2 :: v_dual_lshlrev_b32 v1, 2, v1
	ds_bpermute_b32 v1, v1, v17
	s_wait_dscnt 0x0
	v_add_f32_e32 v1, v17, v1
	ds_bpermute_b32 v2, v2, v1
	s_wait_dscnt 0x0
	v_dual_cndmask_b32 v3, v0, v3, vcc_lo :: v_dual_add_f32 v1, v1, v2
	s_delay_alu instid0(VALU_DEP_1) | instskip(SKIP_3) | instid1(VALU_DEP_1)
	v_lshlrev_b32_e32 v3, 2, v3
	ds_bpermute_b32 v2, v3, v1
	s_wait_dscnt 0x0
	v_dual_add_f32 v1, v1, v2 :: v_dual_bitop2_b32 v3, 2, v0 bitop3:0x14
	v_cmp_gt_i32_e32 vcc_lo, 32, v3
	v_cndmask_b32_e32 v3, v0, v3, vcc_lo
	s_delay_alu instid0(VALU_DEP_1) | instskip(SKIP_2) | instid1(VALU_DEP_1)
	v_lshlrev_b32_e32 v3, 2, v3
	ds_bpermute_b32 v2, v3, v1
	v_xor_b32_e32 v3, 1, v0
	v_cmp_gt_i32_e32 vcc_lo, 32, v3
	v_cndmask_b32_e32 v3, v0, v3, vcc_lo
	v_cmp_eq_u32_e32 vcc_lo, 0, v15
	s_wait_dscnt 0x0
	s_delay_alu instid0(VALU_DEP_2)
	v_dual_add_f32 v0, v1, v2 :: v_dual_lshlrev_b32 v1, 2, v3
	ds_bpermute_b32 v1, v1, v0
	s_and_b32 exec_lo, exec_lo, vcc_lo
	s_cbranch_execz .LBB94_7
; %bb.6:
	v_mad_u32 v2, s5, s8, v14
	s_wait_dscnt 0x0
	v_add_f32_e32 v0, v0, v1
	s_delay_alu instid0(VALU_DEP_1)
	v_cvt_f16_f32_e32 v0, v0
	s_wait_kmcnt 0x0
	global_store_b16 v2, v0, s[6:7] scale_offset
.LBB94_7:
	s_endpgm
	.section	.rodata,"a",@progbits
	.p2align	6, 0x0
	.amdhsa_kernel _ZL13mul_mat_vec_qIN3c104HalfELi256ELi8E11block_iq2_sLi1EXadL_ZL18vec_dot_iq2_s_q8_1PKvPK10block_q8_1RKiEEEvS4_S4_PT_iii
		.amdhsa_group_segment_fixed_size 0
		.amdhsa_private_segment_fixed_size 0
		.amdhsa_kernarg_size 296
		.amdhsa_user_sgpr_count 2
		.amdhsa_user_sgpr_dispatch_ptr 0
		.amdhsa_user_sgpr_queue_ptr 0
		.amdhsa_user_sgpr_kernarg_segment_ptr 1
		.amdhsa_user_sgpr_dispatch_id 0
		.amdhsa_user_sgpr_kernarg_preload_length 0
		.amdhsa_user_sgpr_kernarg_preload_offset 0
		.amdhsa_user_sgpr_private_segment_size 0
		.amdhsa_wavefront_size32 1
		.amdhsa_uses_dynamic_stack 0
		.amdhsa_enable_private_segment 0
		.amdhsa_system_sgpr_workgroup_id_x 1
		.amdhsa_system_sgpr_workgroup_id_y 1
		.amdhsa_system_sgpr_workgroup_id_z 0
		.amdhsa_system_sgpr_workgroup_info 0
		.amdhsa_system_vgpr_workitem_id 1
		.amdhsa_next_free_vgpr 62
		.amdhsa_next_free_sgpr 12
		.amdhsa_named_barrier_count 0
		.amdhsa_reserve_vcc 1
		.amdhsa_float_round_mode_32 0
		.amdhsa_float_round_mode_16_64 0
		.amdhsa_float_denorm_mode_32 3
		.amdhsa_float_denorm_mode_16_64 3
		.amdhsa_fp16_overflow 0
		.amdhsa_memory_ordered 1
		.amdhsa_forward_progress 1
		.amdhsa_inst_pref_size 26
		.amdhsa_round_robin_scheduling 0
		.amdhsa_exception_fp_ieee_invalid_op 0
		.amdhsa_exception_fp_denorm_src 0
		.amdhsa_exception_fp_ieee_div_zero 0
		.amdhsa_exception_fp_ieee_overflow 0
		.amdhsa_exception_fp_ieee_underflow 0
		.amdhsa_exception_fp_ieee_inexact 0
		.amdhsa_exception_int_div_zero 0
	.end_amdhsa_kernel
	.section	.text._ZL13mul_mat_vec_qIN3c104HalfELi256ELi8E11block_iq2_sLi1EXadL_ZL18vec_dot_iq2_s_q8_1PKvPK10block_q8_1RKiEEEvS4_S4_PT_iii,"axG",@progbits,_ZL13mul_mat_vec_qIN3c104HalfELi256ELi8E11block_iq2_sLi1EXadL_ZL18vec_dot_iq2_s_q8_1PKvPK10block_q8_1RKiEEEvS4_S4_PT_iii,comdat
.Lfunc_end94:
	.size	_ZL13mul_mat_vec_qIN3c104HalfELi256ELi8E11block_iq2_sLi1EXadL_ZL18vec_dot_iq2_s_q8_1PKvPK10block_q8_1RKiEEEvS4_S4_PT_iii, .Lfunc_end94-_ZL13mul_mat_vec_qIN3c104HalfELi256ELi8E11block_iq2_sLi1EXadL_ZL18vec_dot_iq2_s_q8_1PKvPK10block_q8_1RKiEEEvS4_S4_PT_iii
                                        ; -- End function
	.set _ZL13mul_mat_vec_qIN3c104HalfELi256ELi8E11block_iq2_sLi1EXadL_ZL18vec_dot_iq2_s_q8_1PKvPK10block_q8_1RKiEEEvS4_S4_PT_iii.num_vgpr, 62
	.set _ZL13mul_mat_vec_qIN3c104HalfELi256ELi8E11block_iq2_sLi1EXadL_ZL18vec_dot_iq2_s_q8_1PKvPK10block_q8_1RKiEEEvS4_S4_PT_iii.num_agpr, 0
	.set _ZL13mul_mat_vec_qIN3c104HalfELi256ELi8E11block_iq2_sLi1EXadL_ZL18vec_dot_iq2_s_q8_1PKvPK10block_q8_1RKiEEEvS4_S4_PT_iii.numbered_sgpr, 12
	.set _ZL13mul_mat_vec_qIN3c104HalfELi256ELi8E11block_iq2_sLi1EXadL_ZL18vec_dot_iq2_s_q8_1PKvPK10block_q8_1RKiEEEvS4_S4_PT_iii.num_named_barrier, 0
	.set _ZL13mul_mat_vec_qIN3c104HalfELi256ELi8E11block_iq2_sLi1EXadL_ZL18vec_dot_iq2_s_q8_1PKvPK10block_q8_1RKiEEEvS4_S4_PT_iii.private_seg_size, 0
	.set _ZL13mul_mat_vec_qIN3c104HalfELi256ELi8E11block_iq2_sLi1EXadL_ZL18vec_dot_iq2_s_q8_1PKvPK10block_q8_1RKiEEEvS4_S4_PT_iii.uses_vcc, 1
	.set _ZL13mul_mat_vec_qIN3c104HalfELi256ELi8E11block_iq2_sLi1EXadL_ZL18vec_dot_iq2_s_q8_1PKvPK10block_q8_1RKiEEEvS4_S4_PT_iii.uses_flat_scratch, 0
	.set _ZL13mul_mat_vec_qIN3c104HalfELi256ELi8E11block_iq2_sLi1EXadL_ZL18vec_dot_iq2_s_q8_1PKvPK10block_q8_1RKiEEEvS4_S4_PT_iii.has_dyn_sized_stack, 0
	.set _ZL13mul_mat_vec_qIN3c104HalfELi256ELi8E11block_iq2_sLi1EXadL_ZL18vec_dot_iq2_s_q8_1PKvPK10block_q8_1RKiEEEvS4_S4_PT_iii.has_recursion, 0
	.set _ZL13mul_mat_vec_qIN3c104HalfELi256ELi8E11block_iq2_sLi1EXadL_ZL18vec_dot_iq2_s_q8_1PKvPK10block_q8_1RKiEEEvS4_S4_PT_iii.has_indirect_call, 0
	.section	.AMDGPU.csdata,"",@progbits
; Kernel info:
; codeLenInByte = 3236
; TotalNumSgprs: 14
; NumVgprs: 62
; ScratchSize: 0
; MemoryBound: 0
; FloatMode: 240
; IeeeMode: 1
; LDSByteSize: 0 bytes/workgroup (compile time only)
; SGPRBlocks: 0
; VGPRBlocks: 3
; NumSGPRsForWavesPerEU: 14
; NumVGPRsForWavesPerEU: 62
; NamedBarCnt: 0
; Occupancy: 16
; WaveLimiterHint : 0
; COMPUTE_PGM_RSRC2:SCRATCH_EN: 0
; COMPUTE_PGM_RSRC2:USER_SGPR: 2
; COMPUTE_PGM_RSRC2:TRAP_HANDLER: 0
; COMPUTE_PGM_RSRC2:TGID_X_EN: 1
; COMPUTE_PGM_RSRC2:TGID_Y_EN: 1
; COMPUTE_PGM_RSRC2:TGID_Z_EN: 0
; COMPUTE_PGM_RSRC2:TIDIG_COMP_CNT: 1
	.section	.text._ZL13mul_mat_vec_qIN3c104HalfELi256ELi8E12block_iq4_xsLi1EXadL_ZL19vec_dot_iq4_xs_q8_1PKvPK10block_q8_1RKiEEEvS4_S4_PT_iii,"axG",@progbits,_ZL13mul_mat_vec_qIN3c104HalfELi256ELi8E12block_iq4_xsLi1EXadL_ZL19vec_dot_iq4_xs_q8_1PKvPK10block_q8_1RKiEEEvS4_S4_PT_iii,comdat
	.globl	_ZL13mul_mat_vec_qIN3c104HalfELi256ELi8E12block_iq4_xsLi1EXadL_ZL19vec_dot_iq4_xs_q8_1PKvPK10block_q8_1RKiEEEvS4_S4_PT_iii ; -- Begin function _ZL13mul_mat_vec_qIN3c104HalfELi256ELi8E12block_iq4_xsLi1EXadL_ZL19vec_dot_iq4_xs_q8_1PKvPK10block_q8_1RKiEEEvS4_S4_PT_iii
	.p2align	8
	.type	_ZL13mul_mat_vec_qIN3c104HalfELi256ELi8E12block_iq4_xsLi1EXadL_ZL19vec_dot_iq4_xs_q8_1PKvPK10block_q8_1RKiEEEvS4_S4_PT_iii,@function
_ZL13mul_mat_vec_qIN3c104HalfELi256ELi8E12block_iq4_xsLi1EXadL_ZL19vec_dot_iq4_xs_q8_1PKvPK10block_q8_1RKiEEEvS4_S4_PT_iii: ; @_ZL13mul_mat_vec_qIN3c104HalfELi256ELi8E12block_iq4_xsLi1EXadL_ZL19vec_dot_iq4_xs_q8_1PKvPK10block_q8_1RKiEEEvS4_S4_PT_iii
; %bb.0:
	s_clause 0x1
	s_load_u16 s2, s[0:1], 0x36
	s_load_b96 s[4:6], s[0:1], 0x18
	s_bfe_u32 s7, ttmp6, 0x4000c
	s_bfe_u32 s8, ttmp6, 0x40010
	s_add_co_i32 s7, s7, 1
	s_add_co_i32 s8, s8, 1
	s_and_b32 s3, ttmp6, 15
	s_mul_i32 s7, ttmp9, s7
	s_mul_i32 s8, ttmp7, s8
	s_bfe_u32 s9, ttmp6, 0x40004
	s_add_co_i32 s3, s3, s7
	s_getreg_b32 s7, hwreg(HW_REG_IB_STS2, 6, 4)
	s_add_co_i32 s9, s9, s8
	v_bfe_u32 v1, v0, 10, 10
	s_cmp_eq_u32 s7, 0
	s_cselect_b32 s3, ttmp9, s3
	s_cselect_b32 s8, ttmp7, s9
	s_wait_kmcnt 0x0
	v_mad_u32 v14, s3, s2, v1
	s_cmp_lt_u32 s8, s6
	s_cselect_b32 s2, -1, 0
	s_delay_alu instid0(VALU_DEP_1) | instskip(SKIP_1) | instid1(SALU_CYCLE_1)
	v_cmp_gt_u32_e32 vcc_lo, s5, v14
	s_and_b32 s2, s2, vcc_lo
	s_and_saveexec_b32 s3, s2
	s_cbranch_execz .LBB95_7
; %bb.1:
	s_load_b64 s[6:7], s[0:1], 0x10
	s_ashr_i32 s2, s4, 31
	v_bfe_u32 v16, v0, 3, 7
	s_lshr_b32 s2, s2, 24
	v_and_b32_e32 v15, 0x3ff, v0
	v_mov_b32_e32 v18, 0
	s_add_co_i32 s2, s4, s2
	s_mov_b32 s9, exec_lo
	s_ashr_i32 s10, s2, 8
	s_delay_alu instid0(SALU_CYCLE_1)
	v_cmpx_gt_u32_e64 s10, v16
	s_cbranch_execz .LBB95_5
; %bb.2:
	s_wait_xcnt 0x0
	s_load_b128 s[0:3], s[0:1], 0x0
	s_addk_co_i32 s4, 0x1ff
	v_dual_mov_b32 v9, 0 :: v_dual_bitop2_b32 v1, 7, v15 bitop3:0x40
	s_ashr_i32 s11, s4, 31
	v_mul_lo_u32 v17, v14, s10
	s_lshr_b32 s11, s11, 23
	v_dual_lshlrev_b32 v2, 2, v15 :: v_dual_lshlrev_b32 v3, 3, v16
	s_add_co_i32 s4, s4, s11
	v_lshlrev_b32_e32 v0, 2, v1
	s_ashr_i32 s4, s4, 9
	v_bfe_u32 v8, v15, 1, 2
	s_mul_i32 s4, s8, s4
	v_dual_lshlrev_b32 v20, 1, v1 :: v_dual_bitop2_b32 v19, 4, v2 bitop3:0x40
	v_lshlrev_b32_e32 v12, 2, v0
	v_lshl_add_u32 v21, s4, 4, v3
	v_dual_mov_b32 v13, v9 :: v_dual_mov_b32 v18, v9
	s_wait_kmcnt 0x0
	v_mad_nc_u64_u32 v[10:11], v1, 36, s[2:3]
	s_mov_b32 s4, 0
	s_get_pc_i64 s[2:3]
	s_add_nc_u64 s[2:3], s[2:3], _ZL13kvalues_iq4nl@rel64+4
.LBB95_3:                               ; =>This Inner Loop Header: Depth=1
	v_add_nc_u32_e32 v0, v17, v16
	s_delay_alu instid0(VALU_DEP_2) | instskip(SKIP_1) | instid1(VALU_DEP_3)
	v_mad_nc_i64_i32 v[28:29], v21, 36, v[10:11]
	v_dual_add_nc_u32 v16, 4, v16 :: v_dual_add_nc_u32 v21, 32, v21
	v_mad_nc_i64_i32 v[26:27], 0x88, v0, s[0:1]
	s_delay_alu instid0(VALU_DEP_2) | instskip(SKIP_1) | instid1(VALU_DEP_2)
	v_cmp_le_u32_e32 vcc_lo, s10, v16
	s_or_b32 s4, vcc_lo, s4
	v_add_nc_u64_e32 v[0:1], v[26:27], v[12:13]
	v_add_nc_u64_e32 v[2:3], v[26:27], v[8:9]
	s_clause 0x1
	global_load_b128 v[22:25], v[0:1], off offset:8
	global_load_u8 v30, v[2:3], off offset:4
	s_clause 0x2
	global_load_b32 v31, v[28:29], off
	global_load_b128 v[0:3], v[28:29], off offset:4
	global_load_b128 v[4:7], v[28:29], off offset:20
	global_load_b32 v32, v[26:27], off
	s_wait_loadcnt 0x5
	s_wait_xcnt 0x0
	v_and_b32_e32 v27, 15, v22
	v_bfe_u32 v28, v22, 8, 4
	v_bfe_u32 v29, v22, 16, 4
	;; [unrolled: 1-line block ×5, first 2 shown]
	v_dual_lshrrev_b32 v34, 28, v22 :: v_dual_bitop2_b32 v37, 15, v23 bitop3:0x40
	v_bfe_u32 v22, v22, 12, 4
	v_bfe_u32 v36, v23, 24, 4
	;; [unrolled: 1-line block ×5, first 2 shown]
	v_dual_lshrrev_b32 v41, 28, v23 :: v_dual_bitop2_b32 v44, 15, v24 bitop3:0x40
	v_bfe_u32 v42, v23, 4, 4
	v_bfe_u32 v23, v23, 12, 4
	v_bfe_u32 v43, v24, 24, 4
	v_bfe_u32 v45, v24, 8, 4
	v_bfe_u32 v46, v24, 16, 4
	v_bfe_u32 v47, v24, 20, 4
	v_dual_lshrrev_b32 v48, 28, v24 :: v_dual_bitop2_b32 v51, 15, v25 bitop3:0x40
	v_bfe_u32 v49, v24, 4, 4
	v_bfe_u32 v24, v24, 12, 4
	v_bfe_u32 v50, v25, 24, 4
	v_bfe_u32 v52, v25, 8, 4
	v_bfe_u32 v53, v25, 16, 4
	v_bfe_u32 v54, v25, 20, 4
	v_lshrrev_b32_e32 v55, 28, v25
	v_bfe_u32 v56, v25, 4, 4
	v_bfe_u32 v25, v25, 12, 4
	s_clause 0x1f
	global_load_i8 v57, v27, s[2:3]
	global_load_i8 v58, v28, s[2:3]
	global_load_i8 v59, v29, s[2:3]
	global_load_i8 v60, v35, s[2:3]
	global_load_i8 v61, v22, s[2:3]
	global_load_i8 v62, v33, s[2:3]
	global_load_i8 v63, v34, s[2:3]
	; meta instruction
	; meta instruction
	; meta instruction
	; meta instruction
	; meta instruction
	; meta instruction
	; meta instruction
	global_load_i8 v22, v26, s[2:3]
	global_load_i8 v27, v37, s[2:3]
	global_load_i8 v28, v38, s[2:3]
	global_load_i8 v29, v39, s[2:3]
	global_load_i8 v33, v42, s[2:3]
	global_load_i8 v34, v23, s[2:3]
	global_load_i8 v35, v40, s[2:3]
	; meta instruction
	; meta instruction
	; meta instruction
	; meta instruction
	; meta instruction
	; meta instruction
	; meta instruction
	;; [unrolled: 14-line block ×4, first 2 shown]
	global_load_i8 v25, v54, s[2:3]
	global_load_i8 v43, v55, s[2:3]
	;; [unrolled: 1-line block ×4, first 2 shown]
	s_wait_loadcnt 0x20
	s_wait_xcnt 0x1
	v_lshrrev_b32_e32 v50, 16, v32
	v_bfe_u32 v30, v30, v19, 4
	v_perm_b32 v0, v0, v0, 0x3020001
	v_perm_b32 v4, v4, v4, 0x3020001
	s_wait_loadcnt 0x1b
	v_perm_b32 v51, v60, v61, 0xc0c0400
	s_wait_loadcnt 0x19
	;; [unrolled: 2-line block ×7, first 2 shown]
	v_perm_b32 v26, v26, v29, 0x4000c0c
	v_lshrrev_b32_e32 v50, v20, v50
	s_wait_loadcnt 0xe
	v_perm_b32 v29, v38, v37, 0xc0c0400
	v_or_b32_e32 v37, v52, v51
	v_or_b32_e32 v23, v23, v28
	v_dual_lshlrev_b32 v50, 4, v50 :: v_dual_bitop2_b32 v26, v26, v27 bitop3:0x54
	s_wait_loadcnt 0xb
	v_perm_b32 v34, v42, v40, 0xc0c0400
	v_dot4_i32_iu8 v4, v4, v37, 0 neg_lo:[1,1,0]
	s_delay_alu instid0(VALU_DEP_3)
	v_and_or_b32 v30, v50, 48, v30
	v_perm_b32 v50, v57, v58, 0xc0c0400
	s_wait_loadcnt 0x9
	v_perm_b32 v24, v36, v24, 0x4000c0c
	s_wait_loadcnt 0x8
	v_perm_b32 v33, v41, v39, 0x4000c0c
	v_or_b32_e32 v22, v22, v50
	s_wait_loadcnt 0x6
	v_perm_b32 v35, v45, v44, 0xc0c0400
	v_or_b32_e32 v24, v24, v34
	s_delay_alu instid0(VALU_DEP_3) | instskip(NEXT) | instid1(VALU_DEP_1)
	v_dot4_i32_iu8 v0, v0, v22, 0 neg_lo:[1,1,0]
	v_dot4_i32_iu8 v0, v1, v26, v0 neg_lo:[1,1,0]
	;; [unrolled: 1-line block ×3, first 2 shown]
	v_subrev_nc_u32_e32 v4, 32, v30
	s_wait_loadcnt 0x1
	v_perm_b32 v36, v47, v46, 0x4000c0c
	s_wait_loadcnt 0x0
	v_perm_b32 v38, v49, v48, 0xc0c0400
	v_perm_b32 v22, v43, v25, 0x4000c0c
	v_dot4_i32_iu8 v1, v6, v24, v1 neg_lo:[1,1,0]
	v_cvt_f32_i32_e32 v4, v4
	v_or_b32_e32 v25, v33, v29
	v_or_b32_e32 v5, v36, v35
	v_or_b32_e32 v22, v22, v38
	s_delay_alu instid0(VALU_DEP_3) | instskip(SKIP_1) | instid1(VALU_DEP_3)
	v_dot4_i32_iu8 v0, v2, v25, v0 neg_lo:[1,1,0]
	v_cvt_f32_f16_e32 v2, v32
	v_dot4_i32_iu8 v1, v7, v22, v1 neg_lo:[1,1,0]
	s_delay_alu instid0(VALU_DEP_3) | instskip(SKIP_1) | instid1(VALU_DEP_4)
	v_dot4_i32_iu8 v0, v3, v5, v0 neg_lo:[1,1,0]
	v_cvt_f32_f16_e32 v3, v31
	v_mul_f32_e32 v2, v2, v4
	s_delay_alu instid0(VALU_DEP_1) | instskip(NEXT) | instid1(VALU_DEP_1)
	v_dual_mul_f32 v1, v2, v3 :: v_dual_add_nc_u32 v0, v1, v0
	v_cvt_f32_i32_e32 v0, v0
	s_delay_alu instid0(VALU_DEP_1)
	v_fmac_f32_e32 v18, v1, v0
	s_and_not1_b32 exec_lo, exec_lo, s4
	s_cbranch_execnz .LBB95_3
; %bb.4:
	s_or_b32 exec_lo, exec_lo, s4
.LBB95_5:
	s_delay_alu instid0(SALU_CYCLE_1) | instskip(SKIP_1) | instid1(VALU_DEP_1)
	s_or_b32 exec_lo, exec_lo, s9
	v_mbcnt_lo_u32_b32 v0, -1, 0
	v_xor_b32_e32 v2, 8, v0
	v_xor_b32_e32 v1, 16, v0
	;; [unrolled: 1-line block ×3, first 2 shown]
	s_delay_alu instid0(VALU_DEP_2) | instskip(SKIP_4) | instid1(VALU_DEP_2)
	v_cmp_gt_i32_e32 vcc_lo, 32, v1
	v_cndmask_b32_e32 v1, v0, v1, vcc_lo
	v_cmp_gt_i32_e32 vcc_lo, 32, v2
	v_cndmask_b32_e32 v2, v0, v2, vcc_lo
	v_cmp_gt_i32_e32 vcc_lo, 32, v3
	v_dual_lshlrev_b32 v2, 2, v2 :: v_dual_lshlrev_b32 v1, 2, v1
	ds_bpermute_b32 v1, v1, v18
	s_wait_dscnt 0x0
	v_add_f32_e32 v1, v18, v1
	ds_bpermute_b32 v2, v2, v1
	s_wait_dscnt 0x0
	v_dual_cndmask_b32 v3, v0, v3, vcc_lo :: v_dual_add_f32 v1, v1, v2
	s_delay_alu instid0(VALU_DEP_1) | instskip(SKIP_3) | instid1(VALU_DEP_1)
	v_lshlrev_b32_e32 v3, 2, v3
	ds_bpermute_b32 v2, v3, v1
	s_wait_dscnt 0x0
	v_dual_add_f32 v1, v1, v2 :: v_dual_bitop2_b32 v3, 2, v0 bitop3:0x14
	v_cmp_gt_i32_e32 vcc_lo, 32, v3
	v_cndmask_b32_e32 v3, v0, v3, vcc_lo
	s_delay_alu instid0(VALU_DEP_1) | instskip(SKIP_2) | instid1(VALU_DEP_1)
	v_lshlrev_b32_e32 v3, 2, v3
	ds_bpermute_b32 v2, v3, v1
	v_xor_b32_e32 v3, 1, v0
	v_cmp_gt_i32_e32 vcc_lo, 32, v3
	v_cndmask_b32_e32 v3, v0, v3, vcc_lo
	v_cmp_eq_u32_e32 vcc_lo, 0, v15
	s_wait_dscnt 0x0
	s_delay_alu instid0(VALU_DEP_2)
	v_dual_add_f32 v0, v1, v2 :: v_dual_lshlrev_b32 v1, 2, v3
	ds_bpermute_b32 v1, v1, v0
	s_and_b32 exec_lo, exec_lo, vcc_lo
	s_cbranch_execz .LBB95_7
; %bb.6:
	v_mad_u32 v2, s5, s8, v14
	s_wait_dscnt 0x0
	v_add_f32_e32 v0, v0, v1
	s_delay_alu instid0(VALU_DEP_1)
	v_cvt_f16_f32_e32 v0, v0
	s_wait_kmcnt 0x0
	global_store_b16 v2, v0, s[6:7] scale_offset
.LBB95_7:
	s_endpgm
	.section	.rodata,"a",@progbits
	.p2align	6, 0x0
	.amdhsa_kernel _ZL13mul_mat_vec_qIN3c104HalfELi256ELi8E12block_iq4_xsLi1EXadL_ZL19vec_dot_iq4_xs_q8_1PKvPK10block_q8_1RKiEEEvS4_S4_PT_iii
		.amdhsa_group_segment_fixed_size 0
		.amdhsa_private_segment_fixed_size 0
		.amdhsa_kernarg_size 296
		.amdhsa_user_sgpr_count 2
		.amdhsa_user_sgpr_dispatch_ptr 0
		.amdhsa_user_sgpr_queue_ptr 0
		.amdhsa_user_sgpr_kernarg_segment_ptr 1
		.amdhsa_user_sgpr_dispatch_id 0
		.amdhsa_user_sgpr_kernarg_preload_length 0
		.amdhsa_user_sgpr_kernarg_preload_offset 0
		.amdhsa_user_sgpr_private_segment_size 0
		.amdhsa_wavefront_size32 1
		.amdhsa_uses_dynamic_stack 0
		.amdhsa_enable_private_segment 0
		.amdhsa_system_sgpr_workgroup_id_x 1
		.amdhsa_system_sgpr_workgroup_id_y 1
		.amdhsa_system_sgpr_workgroup_id_z 0
		.amdhsa_system_sgpr_workgroup_info 0
		.amdhsa_system_vgpr_workitem_id 1
		.amdhsa_next_free_vgpr 64
		.amdhsa_next_free_sgpr 12
		.amdhsa_named_barrier_count 0
		.amdhsa_reserve_vcc 1
		.amdhsa_float_round_mode_32 0
		.amdhsa_float_round_mode_16_64 0
		.amdhsa_float_denorm_mode_32 3
		.amdhsa_float_denorm_mode_16_64 3
		.amdhsa_fp16_overflow 0
		.amdhsa_memory_ordered 1
		.amdhsa_forward_progress 1
		.amdhsa_inst_pref_size 15
		.amdhsa_round_robin_scheduling 0
		.amdhsa_exception_fp_ieee_invalid_op 0
		.amdhsa_exception_fp_denorm_src 0
		.amdhsa_exception_fp_ieee_div_zero 0
		.amdhsa_exception_fp_ieee_overflow 0
		.amdhsa_exception_fp_ieee_underflow 0
		.amdhsa_exception_fp_ieee_inexact 0
		.amdhsa_exception_int_div_zero 0
	.end_amdhsa_kernel
	.section	.text._ZL13mul_mat_vec_qIN3c104HalfELi256ELi8E12block_iq4_xsLi1EXadL_ZL19vec_dot_iq4_xs_q8_1PKvPK10block_q8_1RKiEEEvS4_S4_PT_iii,"axG",@progbits,_ZL13mul_mat_vec_qIN3c104HalfELi256ELi8E12block_iq4_xsLi1EXadL_ZL19vec_dot_iq4_xs_q8_1PKvPK10block_q8_1RKiEEEvS4_S4_PT_iii,comdat
.Lfunc_end95:
	.size	_ZL13mul_mat_vec_qIN3c104HalfELi256ELi8E12block_iq4_xsLi1EXadL_ZL19vec_dot_iq4_xs_q8_1PKvPK10block_q8_1RKiEEEvS4_S4_PT_iii, .Lfunc_end95-_ZL13mul_mat_vec_qIN3c104HalfELi256ELi8E12block_iq4_xsLi1EXadL_ZL19vec_dot_iq4_xs_q8_1PKvPK10block_q8_1RKiEEEvS4_S4_PT_iii
                                        ; -- End function
	.set _ZL13mul_mat_vec_qIN3c104HalfELi256ELi8E12block_iq4_xsLi1EXadL_ZL19vec_dot_iq4_xs_q8_1PKvPK10block_q8_1RKiEEEvS4_S4_PT_iii.num_vgpr, 64
	.set _ZL13mul_mat_vec_qIN3c104HalfELi256ELi8E12block_iq4_xsLi1EXadL_ZL19vec_dot_iq4_xs_q8_1PKvPK10block_q8_1RKiEEEvS4_S4_PT_iii.num_agpr, 0
	.set _ZL13mul_mat_vec_qIN3c104HalfELi256ELi8E12block_iq4_xsLi1EXadL_ZL19vec_dot_iq4_xs_q8_1PKvPK10block_q8_1RKiEEEvS4_S4_PT_iii.numbered_sgpr, 12
	.set _ZL13mul_mat_vec_qIN3c104HalfELi256ELi8E12block_iq4_xsLi1EXadL_ZL19vec_dot_iq4_xs_q8_1PKvPK10block_q8_1RKiEEEvS4_S4_PT_iii.num_named_barrier, 0
	.set _ZL13mul_mat_vec_qIN3c104HalfELi256ELi8E12block_iq4_xsLi1EXadL_ZL19vec_dot_iq4_xs_q8_1PKvPK10block_q8_1RKiEEEvS4_S4_PT_iii.private_seg_size, 0
	.set _ZL13mul_mat_vec_qIN3c104HalfELi256ELi8E12block_iq4_xsLi1EXadL_ZL19vec_dot_iq4_xs_q8_1PKvPK10block_q8_1RKiEEEvS4_S4_PT_iii.uses_vcc, 1
	.set _ZL13mul_mat_vec_qIN3c104HalfELi256ELi8E12block_iq4_xsLi1EXadL_ZL19vec_dot_iq4_xs_q8_1PKvPK10block_q8_1RKiEEEvS4_S4_PT_iii.uses_flat_scratch, 0
	.set _ZL13mul_mat_vec_qIN3c104HalfELi256ELi8E12block_iq4_xsLi1EXadL_ZL19vec_dot_iq4_xs_q8_1PKvPK10block_q8_1RKiEEEvS4_S4_PT_iii.has_dyn_sized_stack, 0
	.set _ZL13mul_mat_vec_qIN3c104HalfELi256ELi8E12block_iq4_xsLi1EXadL_ZL19vec_dot_iq4_xs_q8_1PKvPK10block_q8_1RKiEEEvS4_S4_PT_iii.has_recursion, 0
	.set _ZL13mul_mat_vec_qIN3c104HalfELi256ELi8E12block_iq4_xsLi1EXadL_ZL19vec_dot_iq4_xs_q8_1PKvPK10block_q8_1RKiEEEvS4_S4_PT_iii.has_indirect_call, 0
	.section	.AMDGPU.csdata,"",@progbits
; Kernel info:
; codeLenInByte = 1848
; TotalNumSgprs: 14
; NumVgprs: 64
; ScratchSize: 0
; MemoryBound: 0
; FloatMode: 240
; IeeeMode: 1
; LDSByteSize: 0 bytes/workgroup (compile time only)
; SGPRBlocks: 0
; VGPRBlocks: 3
; NumSGPRsForWavesPerEU: 14
; NumVGPRsForWavesPerEU: 64
; NamedBarCnt: 0
; Occupancy: 16
; WaveLimiterHint : 0
; COMPUTE_PGM_RSRC2:SCRATCH_EN: 0
; COMPUTE_PGM_RSRC2:USER_SGPR: 2
; COMPUTE_PGM_RSRC2:TRAP_HANDLER: 0
; COMPUTE_PGM_RSRC2:TGID_X_EN: 1
; COMPUTE_PGM_RSRC2:TGID_Y_EN: 1
; COMPUTE_PGM_RSRC2:TGID_Z_EN: 0
; COMPUTE_PGM_RSRC2:TIDIG_COMP_CNT: 1
	.section	.text._ZL13mul_mat_vec_qIN3c104HalfELi256ELi8E11block_iq1_mLi1EXadL_ZL18vec_dot_iq1_m_q8_1PKvPK10block_q8_1RKiEEEvS4_S4_PT_iii,"axG",@progbits,_ZL13mul_mat_vec_qIN3c104HalfELi256ELi8E11block_iq1_mLi1EXadL_ZL18vec_dot_iq1_m_q8_1PKvPK10block_q8_1RKiEEEvS4_S4_PT_iii,comdat
	.globl	_ZL13mul_mat_vec_qIN3c104HalfELi256ELi8E11block_iq1_mLi1EXadL_ZL18vec_dot_iq1_m_q8_1PKvPK10block_q8_1RKiEEEvS4_S4_PT_iii ; -- Begin function _ZL13mul_mat_vec_qIN3c104HalfELi256ELi8E11block_iq1_mLi1EXadL_ZL18vec_dot_iq1_m_q8_1PKvPK10block_q8_1RKiEEEvS4_S4_PT_iii
	.p2align	8
	.type	_ZL13mul_mat_vec_qIN3c104HalfELi256ELi8E11block_iq1_mLi1EXadL_ZL18vec_dot_iq1_m_q8_1PKvPK10block_q8_1RKiEEEvS4_S4_PT_iii,@function
_ZL13mul_mat_vec_qIN3c104HalfELi256ELi8E11block_iq1_mLi1EXadL_ZL18vec_dot_iq1_m_q8_1PKvPK10block_q8_1RKiEEEvS4_S4_PT_iii: ; @_ZL13mul_mat_vec_qIN3c104HalfELi256ELi8E11block_iq1_mLi1EXadL_ZL18vec_dot_iq1_m_q8_1PKvPK10block_q8_1RKiEEEvS4_S4_PT_iii
; %bb.0:
	s_clause 0x1
	s_load_u16 s2, s[0:1], 0x36
	s_load_b96 s[4:6], s[0:1], 0x18
	s_bfe_u32 s7, ttmp6, 0x4000c
	s_bfe_u32 s8, ttmp6, 0x40010
	s_add_co_i32 s7, s7, 1
	s_add_co_i32 s8, s8, 1
	s_and_b32 s3, ttmp6, 15
	s_mul_i32 s7, ttmp9, s7
	s_mul_i32 s8, ttmp7, s8
	s_bfe_u32 s9, ttmp6, 0x40004
	s_add_co_i32 s3, s3, s7
	s_getreg_b32 s7, hwreg(HW_REG_IB_STS2, 6, 4)
	s_add_co_i32 s9, s9, s8
	v_bfe_u32 v1, v0, 10, 10
	s_cmp_eq_u32 s7, 0
	s_cselect_b32 s3, ttmp9, s3
	s_cselect_b32 s9, ttmp7, s9
	s_wait_kmcnt 0x0
	v_mad_u32 v20, s3, s2, v1
	s_cmp_lt_u32 s9, s6
	s_cselect_b32 s2, -1, 0
	s_delay_alu instid0(VALU_DEP_1) | instskip(SKIP_1) | instid1(SALU_CYCLE_1)
	v_cmp_gt_u32_e32 vcc_lo, s5, v20
	s_and_b32 s2, s2, vcc_lo
	s_and_saveexec_b32 s3, s2
	s_cbranch_execz .LBB96_7
; %bb.1:
	s_load_b64 s[6:7], s[0:1], 0x10
	s_ashr_i32 s2, s4, 31
	v_bfe_u32 v22, v0, 3, 7
	s_lshr_b32 s2, s2, 24
	v_and_b32_e32 v21, 0x3ff, v0
	v_mov_b32_e32 v24, 0
	s_add_co_i32 s2, s4, s2
	s_mov_b32 s10, exec_lo
	s_ashr_i32 s11, s2, 8
	s_delay_alu instid0(SALU_CYCLE_1)
	v_cmpx_gt_u32_e64 s11, v22
	s_cbranch_execz .LBB96_5
; %bb.2:
	s_wait_xcnt 0x0
	s_load_b128 s[0:3], s[0:1], 0x0
	s_addk_co_i32 s4, 0x1ff
	v_dual_mov_b32 v9, 0 :: v_dual_bitop2_b32 v0, 7, v21 bitop3:0x40
	s_ashr_i32 s8, s4, 31
	v_dual_lshlrev_b32 v3, 3, v22 :: v_dual_bitop2_b32 v1, 1, v21 bitop3:0x40
	s_lshr_b32 s8, s8, 23
	v_mul_lo_u32 v23, v20, s11
	s_add_co_i32 s4, s4, s8
	v_bfe_u32 v2, v21, 1, 2
	v_cmp_eq_u32_e32 vcc_lo, 1, v1
	s_ashr_i32 s4, s4, 9
	v_dual_lshlrev_b32 v8, 1, v0 :: v_dual_lshlrev_b32 v12, 2, v0
	s_mul_i32 s4, s9, s4
	v_cndmask_b32_e64 v25, 0, 6, vcc_lo
	v_lshl_add_u32 v26, s4, 4, v3
	v_dual_mov_b32 v13, v9 :: v_dual_lshlrev_b32 v14, 1, v2
	s_wait_kmcnt 0x0
	v_mad_nc_u64_u32 v[10:11], v0, 36, s[2:3]
	v_dual_mov_b32 v15, v9 :: v_dual_mov_b32 v24, v9
	s_mov_b32 s12, 0
	s_mov_b32 s4, 0x3d000000
	;; [unrolled: 1-line block ×3, first 2 shown]
	s_get_pc_i64 s[2:3]
	s_add_nc_u64 s[2:3], s[2:3], _ZL13iq1s_grid_gpu@rel64+4
.LBB96_3:                               ; =>This Inner Loop Header: Depth=1
	v_add_nc_u32_e32 v0, v23, v22
	s_delay_alu instid0(VALU_DEP_3) | instskip(SKIP_2) | instid1(VALU_DEP_4)
	v_mad_nc_i64_i32 v[16:17], v26, 36, v[10:11]
	v_add_nc_u32_e32 v22, 4, v22
	v_add_nc_u32_e32 v26, 32, v26
	v_mad_nc_i64_i32 v[18:19], v0, 56, s[0:1]
	s_delay_alu instid0(VALU_DEP_3) | instskip(SKIP_1) | instid1(VALU_DEP_2)
	v_cmp_le_u32_e32 vcc_lo, s11, v22
	s_or_b32 s12, vcc_lo, s12
	v_add_nc_u64_e32 v[0:1], v[18:19], v[8:9]
	v_add_nc_u64_e32 v[2:3], v[18:19], v[12:13]
	s_clause 0x1
	global_load_u16 v27, v[0:1], off offset:32
	global_load_b32 v32, v[2:3], off
	v_add_nc_u64_e32 v[28:29], v[18:19], v[14:15]
	s_clause 0x1
	global_load_b128 v[0:3], v[16:17], off offset:4
	global_load_b128 v[4:7], v[16:17], off offset:20
	s_clause 0x1
	global_load_b64 v[30:31], v[18:19], off offset:48
	global_load_u16 v33, v[28:29], off offset:48
	s_wait_loadcnt 0x5
	s_wait_xcnt 0x1
	v_lshrrev_b16 v19, 8, v27
	s_wait_loadcnt 0x4
	s_wait_xcnt 0x0
	v_and_b32_e32 v28, 0xff, v32
	v_dual_lshlrev_b32 v29, 8, v27 :: v_dual_lshlrev_b32 v35, 4, v27
	v_bfe_u32 v34, v32, 8, 8
	v_and_b32_e32 v19, 0xffff, v19
	v_lshrrev_b32_e32 v18, 24, v32
	v_bfe_u32 v32, v32, 16, 8
	v_and_or_b32 v28, 0x700, v29, v28
	v_and_or_b32 v29, 0x700, v35, v34
	v_dual_lshlrev_b32 v34, 8, v19 :: v_dual_lshlrev_b32 v35, 4, v19
	s_wait_loadcnt 0x3
	v_bfe_i32 v39, v0, 0, 8
	s_delay_alu instid0(VALU_DEP_3) | instskip(NEXT) | instid1(VALU_DEP_3)
	v_dual_lshlrev_b32 v28, 3, v28 :: v_dual_lshlrev_b32 v29, 3, v29
	v_and_or_b32 v32, 0x700, v34, v32
	v_and_or_b32 v18, 0x700, v35, v18
	s_clause 0x1
	global_load_b32 v34, v28, s[2:3]
	global_load_b32 v35, v29, s[2:3]
	v_dual_ashrrev_i32 v42, 24, v2 :: v_dual_ashrrev_i32 v45, 24, v3
	s_wait_xcnt 0x1
	v_dual_lshlrev_b32 v28, 3, v32 :: v_dual_lshlrev_b32 v18, 3, v18
	s_clause 0x1
	global_load_b32 v29, v28, s[2:3]
	global_load_b32 v32, v18, s[2:3]
	global_load_b32 v36, v[16:17], off
	s_wait_xcnt 0x0
	v_lshrrev_b16 v16, 8, v0
	v_lshrrev_b16 v28, 8, v3
	;; [unrolled: 1-line block ×3, first 2 shown]
	v_bfe_i32 v43, v2, 0, 8
	v_bfe_i32 v44, v2, 16, 8
	;; [unrolled: 1-line block ×4, first 2 shown]
	s_wait_loadcnt 0x7
	v_lshrrev_b16 v2, 8, v4
	v_lshrrev_b16 v3, 8, v5
	v_bfe_i32 v16, v16, 0, 8
	v_bfe_i32 v28, v28, 0, 8
	v_lshrrev_b16 v17, 8, v1
	v_dual_ashrrev_i32 v37, 24, v0 :: v_dual_ashrrev_i32 v40, 24, v1
	v_bfe_i32 v38, v0, 16, 8
	v_dual_ashrrev_i32 v50, 24, v4 :: v_dual_ashrrev_i32 v53, 24, v5
	v_bfe_i32 v51, v4, 16, 8
	v_bfe_i32 v52, v4, 0, 8
	;; [unrolled: 1-line block ×5, first 2 shown]
	v_bfe_u32 v4, v27, 4, 4
	v_and_b32_e32 v5, 0xff, v27
	v_add_nc_u32_e32 v3, v16, v39
	v_bfe_i32 v41, v1, 16, 8
	v_bfe_i32 v1, v1, 0, 8
	;; [unrolled: 1-line block ×4, first 2 shown]
	v_and_b32_e32 v4, 8, v4
	v_and_b32_e32 v5, 8, v5
	v_add3_u32 v3, v3, v38, v37
	v_lshrrev_b16 v48, 8, v6
	v_lshrrev_b16 v49, 8, v7
	v_dual_ashrrev_i32 v56, 24, v6 :: v_dual_ashrrev_i32 v59, 24, v7
	v_bfe_i32 v57, v6, 0, 8
	v_bfe_i32 v58, v6, 16, 8
	;; [unrolled: 1-line block ×4, first 2 shown]
	v_add3_u32 v7, v3, v17, v1
	v_cvt_f32_ubyte0_e32 v3, v4
	v_bfe_i32 v49, v49, 0, 8
	v_bfe_i32 v48, v48, 0, 8
	s_wait_loadcnt 0x5
	v_lshrrev_b32_e32 v27, v25, v33
	s_wait_loadcnt 0x0
	v_cvt_f32_f16_e32 v0, v36
	v_bfe_i32 v36, v2, 0, 8
	v_add_nc_u32_e32 v2, v28, v43
	s_delay_alu instid0(VALU_DEP_1) | instskip(NEXT) | instid1(VALU_DEP_1)
	v_add3_u32 v2, v2, v47, v46
	v_add3_u32 v6, v2, v45, v18
	v_cvt_f32_ubyte0_e32 v2, v5
	s_delay_alu instid0(VALU_DEP_2) | instskip(SKIP_1) | instid1(VALU_DEP_3)
	v_add3_u32 v4, v6, v44, v42
	v_add3_u32 v6, v7, v41, v40
	v_pk_fma_f32 v[2:3], v[2:3], s[4:5], s[8:9] op_sel_hi:[1,0,0] neg_lo:[1,0,0] neg_hi:[1,0,0]
	v_pk_lshrrev_b16 v7, 4, v31
	v_lshrrev_b32_e32 v31, 28, v34
	v_cvt_f32_i32_e32 v5, v4
	v_cvt_f32_i32_e32 v4, v6
	v_add_nc_u32_e32 v6, v62, v52
	s_delay_alu instid0(VALU_DEP_4) | instskip(SKIP_1) | instid1(VALU_DEP_4)
	v_mul_i32_i24_e32 v31, v31, v40
	v_and_b32_e32 v40, 0xf0000f00, v7
	v_pk_mul_f32 v[2:3], v[2:3], v[4:5]
	v_add_nc_u32_e32 v4, v49, v57
	v_add3_u32 v6, v6, v55, v54
	v_pk_lshrrev_b16 v5, 0x8000c, v30
	v_bfe_u32 v30, v34, 24, 4
	v_lshrrev_b32_e32 v33, 28, v35
	v_add3_u32 v4, v4, v61, v60
	v_add3_u32 v6, v6, v53, v36
	v_dual_lshrrev_b32 v7, 4, v19 :: v_dual_bitop2_b32 v19, 8, v19 bitop3:0x40
	v_mul_i32_i24_e32 v30, v30, v37
	s_delay_alu instid0(VALU_DEP_4)
	v_add3_u32 v4, v4, v59, v48
	v_lshrrev_b32_e32 v37, 16, v5
	v_mul_i32_i24_e32 v33, v33, v45
	v_add3_u32 v6, v6, v51, v50
	v_and_b32_e32 v7, 8, v7
	v_add3_u32 v4, v4, v58, v56
	v_add_f32_e32 v2, 0, v2
	v_add3_u32 v30, v30, v31, v33
	v_bitop3_b16 v33, v37, v5, 0xf0 bitop3:0xec
	v_bfe_u32 v37, v34, 20, 4
	v_cvt_f32_i32_e32 v5, v4
	v_cvt_f32_i32_e32 v4, v6
	v_cvt_f32_ubyte0_e32 v6, v19
	v_bfe_u32 v19, v34, 16, 4
	v_mul_i32_i24_e32 v37, v37, v41
	v_lshrrev_b32_e32 v41, 16, v40
	v_cvt_f32_ubyte0_e32 v7, v7
	v_bfe_u32 v45, v29, 20, 4
	v_mul_i32_i24_e32 v19, v19, v38
	v_bfe_u32 v38, v35, 20, 4
	v_dual_lshlrev_b32 v31, 1, v27 :: v_dual_lshrrev_b32 v27, 2, v27
	v_pk_fma_f32 v[6:7], v[6:7], s[4:5], s[8:9] op_sel_hi:[1,0,0] neg_lo:[1,0,0] neg_hi:[1,0,0]
	v_mul_i32_i24_e32 v45, v45, v54
	s_delay_alu instid0(VALU_DEP_4)
	v_mul_i32_i24_e32 v38, v38, v46
	v_bfe_u32 v46, v32, 24, 4
	v_and_or_b32 v31, v31, 14, 1
	v_pk_mul_f32 v[4:5], v[6:7], v[4:5]
	v_and_or_b32 v27, v27, 14, 1
	v_add3_u32 v19, v19, v37, v38
	v_and_b32_e32 v37, 15, v34
	v_bfe_u32 v38, v34, 4, 4
	v_add_f32_e32 v4, 0, v4
	s_delay_alu instid0(VALU_DEP_3) | instskip(NEXT) | instid1(VALU_DEP_3)
	v_mul_i32_i24_e32 v37, v37, v39
	v_mul_i32_i24_e32 v1, v38, v1
	v_bfe_u32 v38, v35, 4, 4
	v_bfe_u32 v39, v35, 16, 4
	v_add_f32_e32 v4, v4, v5
	s_delay_alu instid0(VALU_DEP_3) | instskip(NEXT) | instid1(VALU_DEP_3)
	v_mul_i32_i24_e32 v38, v38, v47
	v_mad_i32_i24 v19, v44, v39, v19
	v_and_b32_e32 v44, 0xf0f0f0f, v35
	v_lshrrev_b32_e32 v39, 4, v35
	v_and_b32_e32 v47, 0xf0f0f0f, v32
	v_add3_u32 v1, v37, v1, v38
	v_and_b32_e32 v37, 0xf0f0f0f, v34
	v_lshrrev_b32_e32 v34, 4, v34
	v_lshrrev_b16 v44, 8, v44
	v_bfe_u32 v38, v35, 24, 4
	v_lshrrev_b16 v39, 8, v39
	v_and_b32_e32 v35, 15, v35
	v_lshrrev_b16 v34, 8, v34
	v_and_b32_e32 v44, 0xffff, v44
	v_mad_i32_i24 v30, v42, v38, v30
	v_and_b32_e32 v42, 15, v29
	v_lshrrev_b16 v37, 8, v37
	v_and_b32_e32 v34, 15, v34
	v_mul_i32_i24_e32 v18, v18, v44
	v_dual_lshrrev_b32 v44, 28, v29 :: v_dual_bitop2_b32 v39, 15, v39 bitop3:0x40
	v_lshrrev_b32_e32 v38, 4, v29
	v_and_b32_e32 v37, 0xffff, v37
	v_mad_i32_i24 v1, v43, v35, v1
	s_delay_alu instid0(VALU_DEP_4)
	v_mul_i32_i24_e32 v44, v44, v53
	v_lshrrev_b32_e32 v53, 28, v32
	v_mul_i32_i24_e32 v42, v52, v42
	v_lshrrev_b32_e32 v52, 4, v32
	v_and_b32_e32 v43, 0xf0f0f0f, v29
	v_and_b32_e32 v34, 0xffff, v34
	v_lshrrev_b16 v38, 8, v38
	v_bfe_u32 v35, v29, 24, 4
	v_lshrrev_b16 v52, 8, v52
	v_mul_i32_i24_e32 v16, v37, v16
	v_bfe_u32 v37, v29, 16, 4
	v_and_b32_e32 v39, 0xffff, v39
	v_lshrrev_b16 v43, 8, v43
	v_mul_i32_i24_e32 v17, v34, v17
	v_and_b32_e32 v34, 15, v38
	v_and_b32_e32 v38, 15, v52
	v_bfe_u32 v29, v29, 4, 4
	v_mul_i32_i24_e32 v37, v51, v37
	v_mul_i32_i24_e32 v35, v50, v35
	v_bfe_u32 v50, v32, 4, 4
	v_bfe_u32 v51, v32, 20, 4
	v_lshrrev_b16 v47, 8, v47
	v_mul_i32_i24_e32 v53, v53, v59
	v_mul_i32_i24_e32 v28, v39, v28
	v_and_b32_e32 v39, 0xffff, v43
	v_and_b32_e32 v34, 0xffff, v34
	;; [unrolled: 1-line block ×3, first 2 shown]
	v_mul_i32_i24_e32 v29, v29, v55
	v_mul_i32_i24_e32 v50, v50, v61
	;; [unrolled: 1-line block ×3, first 2 shown]
	v_and_b32_e32 v43, 0xffff, v47
	v_add3_u32 v35, v35, v44, v53
	v_add3_u32 v16, v16, v17, v28
	v_mul_i32_i24_e32 v17, v36, v39
	v_mul_i32_i24_e32 v28, v34, v62
	;; [unrolled: 1-line block ×3, first 2 shown]
	v_and_b32_e32 v54, 15, v32
	v_bfe_u32 v32, v32, 16, 4
	v_add3_u32 v29, v42, v29, v50
	v_add3_u32 v36, v37, v45, v51
	v_mul_i32_i24_e32 v37, v48, v43
	v_mad_i32_i24 v35, v56, v46, v35
	v_add3_u32 v16, v18, v16, v30
	v_add3_u32 v17, v17, v28, v34
	v_mad_i32_i24 v6, v58, v32, v36
	v_add_f32_e32 v18, v2, v3
	v_mad_i32_i24 v7, v57, v54, v29
	v_add3_u32 v1, v1, v19, v16
	v_add3_u32 v16, v37, v17, v35
	v_bitop3_b16 v17, v33, v41, v40 bitop3:0xfe
	v_cvt_f32_ubyte0_e32 v3, v31
	s_delay_alu instid0(VALU_DEP_4) | instskip(NEXT) | instid1(VALU_DEP_4)
	v_cvt_f32_i32_e32 v1, v1
	v_add3_u32 v6, v7, v6, v16
	s_delay_alu instid0(VALU_DEP_4) | instskip(NEXT) | instid1(VALU_DEP_3)
	v_cvt_f32_f16_e32 v2, v17
	v_add_f32_e32 v1, v18, v1
	s_delay_alu instid0(VALU_DEP_3) | instskip(SKIP_1) | instid1(VALU_DEP_3)
	v_cvt_f32_i32_e32 v5, v6
	v_cvt_f32_ubyte0_e32 v6, v27
	v_pk_mul_f32 v[0:1], v[0:1], v[2:3]
	s_delay_alu instid0(VALU_DEP_3) | instskip(NEXT) | instid1(VALU_DEP_1)
	v_add_f32_e32 v2, v4, v5
	v_fma_f32 v1, v2, v6, v1
	s_delay_alu instid0(VALU_DEP_1)
	v_fmac_f32_e32 v24, v0, v1
	s_and_not1_b32 exec_lo, exec_lo, s12
	s_cbranch_execnz .LBB96_3
; %bb.4:
	s_or_b32 exec_lo, exec_lo, s12
.LBB96_5:
	s_delay_alu instid0(SALU_CYCLE_1) | instskip(SKIP_1) | instid1(VALU_DEP_1)
	s_or_b32 exec_lo, exec_lo, s10
	v_mbcnt_lo_u32_b32 v0, -1, 0
	v_xor_b32_e32 v2, 8, v0
	v_xor_b32_e32 v1, 16, v0
	;; [unrolled: 1-line block ×3, first 2 shown]
	s_delay_alu instid0(VALU_DEP_2) | instskip(SKIP_4) | instid1(VALU_DEP_2)
	v_cmp_gt_i32_e32 vcc_lo, 32, v1
	v_cndmask_b32_e32 v1, v0, v1, vcc_lo
	v_cmp_gt_i32_e32 vcc_lo, 32, v2
	v_cndmask_b32_e32 v2, v0, v2, vcc_lo
	v_cmp_gt_i32_e32 vcc_lo, 32, v3
	v_dual_lshlrev_b32 v2, 2, v2 :: v_dual_lshlrev_b32 v1, 2, v1
	ds_bpermute_b32 v1, v1, v24
	s_wait_dscnt 0x0
	v_add_f32_e32 v1, v24, v1
	ds_bpermute_b32 v2, v2, v1
	s_wait_dscnt 0x0
	v_dual_cndmask_b32 v3, v0, v3, vcc_lo :: v_dual_add_f32 v1, v1, v2
	s_delay_alu instid0(VALU_DEP_1) | instskip(SKIP_3) | instid1(VALU_DEP_1)
	v_lshlrev_b32_e32 v3, 2, v3
	ds_bpermute_b32 v2, v3, v1
	s_wait_dscnt 0x0
	v_dual_add_f32 v1, v1, v2 :: v_dual_bitop2_b32 v3, 2, v0 bitop3:0x14
	v_cmp_gt_i32_e32 vcc_lo, 32, v3
	v_cndmask_b32_e32 v3, v0, v3, vcc_lo
	s_delay_alu instid0(VALU_DEP_1) | instskip(SKIP_2) | instid1(VALU_DEP_1)
	v_lshlrev_b32_e32 v3, 2, v3
	ds_bpermute_b32 v2, v3, v1
	v_xor_b32_e32 v3, 1, v0
	v_cmp_gt_i32_e32 vcc_lo, 32, v3
	v_cndmask_b32_e32 v3, v0, v3, vcc_lo
	v_cmp_eq_u32_e32 vcc_lo, 0, v21
	s_wait_dscnt 0x0
	s_delay_alu instid0(VALU_DEP_2)
	v_dual_add_f32 v0, v1, v2 :: v_dual_lshlrev_b32 v1, 2, v3
	ds_bpermute_b32 v1, v1, v0
	s_and_b32 exec_lo, exec_lo, vcc_lo
	s_cbranch_execz .LBB96_7
; %bb.6:
	v_mad_u32 v2, s5, s9, v20
	s_wait_dscnt 0x0
	v_add_f32_e32 v0, v0, v1
	s_delay_alu instid0(VALU_DEP_1)
	v_cvt_f16_f32_e32 v0, v0
	s_wait_kmcnt 0x0
	global_store_b16 v2, v0, s[6:7] scale_offset
.LBB96_7:
	s_endpgm
	.section	.rodata,"a",@progbits
	.p2align	6, 0x0
	.amdhsa_kernel _ZL13mul_mat_vec_qIN3c104HalfELi256ELi8E11block_iq1_mLi1EXadL_ZL18vec_dot_iq1_m_q8_1PKvPK10block_q8_1RKiEEEvS4_S4_PT_iii
		.amdhsa_group_segment_fixed_size 0
		.amdhsa_private_segment_fixed_size 0
		.amdhsa_kernarg_size 296
		.amdhsa_user_sgpr_count 2
		.amdhsa_user_sgpr_dispatch_ptr 0
		.amdhsa_user_sgpr_queue_ptr 0
		.amdhsa_user_sgpr_kernarg_segment_ptr 1
		.amdhsa_user_sgpr_dispatch_id 0
		.amdhsa_user_sgpr_kernarg_preload_length 0
		.amdhsa_user_sgpr_kernarg_preload_offset 0
		.amdhsa_user_sgpr_private_segment_size 0
		.amdhsa_wavefront_size32 1
		.amdhsa_uses_dynamic_stack 0
		.amdhsa_enable_private_segment 0
		.amdhsa_system_sgpr_workgroup_id_x 1
		.amdhsa_system_sgpr_workgroup_id_y 1
		.amdhsa_system_sgpr_workgroup_id_z 0
		.amdhsa_system_sgpr_workgroup_info 0
		.amdhsa_system_vgpr_workitem_id 1
		.amdhsa_next_free_vgpr 63
		.amdhsa_next_free_sgpr 13
		.amdhsa_named_barrier_count 0
		.amdhsa_reserve_vcc 1
		.amdhsa_float_round_mode_32 0
		.amdhsa_float_round_mode_16_64 0
		.amdhsa_float_denorm_mode_32 3
		.amdhsa_float_denorm_mode_16_64 3
		.amdhsa_fp16_overflow 0
		.amdhsa_memory_ordered 1
		.amdhsa_forward_progress 1
		.amdhsa_inst_pref_size 19
		.amdhsa_round_robin_scheduling 0
		.amdhsa_exception_fp_ieee_invalid_op 0
		.amdhsa_exception_fp_denorm_src 0
		.amdhsa_exception_fp_ieee_div_zero 0
		.amdhsa_exception_fp_ieee_overflow 0
		.amdhsa_exception_fp_ieee_underflow 0
		.amdhsa_exception_fp_ieee_inexact 0
		.amdhsa_exception_int_div_zero 0
	.end_amdhsa_kernel
	.section	.text._ZL13mul_mat_vec_qIN3c104HalfELi256ELi8E11block_iq1_mLi1EXadL_ZL18vec_dot_iq1_m_q8_1PKvPK10block_q8_1RKiEEEvS4_S4_PT_iii,"axG",@progbits,_ZL13mul_mat_vec_qIN3c104HalfELi256ELi8E11block_iq1_mLi1EXadL_ZL18vec_dot_iq1_m_q8_1PKvPK10block_q8_1RKiEEEvS4_S4_PT_iii,comdat
.Lfunc_end96:
	.size	_ZL13mul_mat_vec_qIN3c104HalfELi256ELi8E11block_iq1_mLi1EXadL_ZL18vec_dot_iq1_m_q8_1PKvPK10block_q8_1RKiEEEvS4_S4_PT_iii, .Lfunc_end96-_ZL13mul_mat_vec_qIN3c104HalfELi256ELi8E11block_iq1_mLi1EXadL_ZL18vec_dot_iq1_m_q8_1PKvPK10block_q8_1RKiEEEvS4_S4_PT_iii
                                        ; -- End function
	.set _ZL13mul_mat_vec_qIN3c104HalfELi256ELi8E11block_iq1_mLi1EXadL_ZL18vec_dot_iq1_m_q8_1PKvPK10block_q8_1RKiEEEvS4_S4_PT_iii.num_vgpr, 63
	.set _ZL13mul_mat_vec_qIN3c104HalfELi256ELi8E11block_iq1_mLi1EXadL_ZL18vec_dot_iq1_m_q8_1PKvPK10block_q8_1RKiEEEvS4_S4_PT_iii.num_agpr, 0
	.set _ZL13mul_mat_vec_qIN3c104HalfELi256ELi8E11block_iq1_mLi1EXadL_ZL18vec_dot_iq1_m_q8_1PKvPK10block_q8_1RKiEEEvS4_S4_PT_iii.numbered_sgpr, 13
	.set _ZL13mul_mat_vec_qIN3c104HalfELi256ELi8E11block_iq1_mLi1EXadL_ZL18vec_dot_iq1_m_q8_1PKvPK10block_q8_1RKiEEEvS4_S4_PT_iii.num_named_barrier, 0
	.set _ZL13mul_mat_vec_qIN3c104HalfELi256ELi8E11block_iq1_mLi1EXadL_ZL18vec_dot_iq1_m_q8_1PKvPK10block_q8_1RKiEEEvS4_S4_PT_iii.private_seg_size, 0
	.set _ZL13mul_mat_vec_qIN3c104HalfELi256ELi8E11block_iq1_mLi1EXadL_ZL18vec_dot_iq1_m_q8_1PKvPK10block_q8_1RKiEEEvS4_S4_PT_iii.uses_vcc, 1
	.set _ZL13mul_mat_vec_qIN3c104HalfELi256ELi8E11block_iq1_mLi1EXadL_ZL18vec_dot_iq1_m_q8_1PKvPK10block_q8_1RKiEEEvS4_S4_PT_iii.uses_flat_scratch, 0
	.set _ZL13mul_mat_vec_qIN3c104HalfELi256ELi8E11block_iq1_mLi1EXadL_ZL18vec_dot_iq1_m_q8_1PKvPK10block_q8_1RKiEEEvS4_S4_PT_iii.has_dyn_sized_stack, 0
	.set _ZL13mul_mat_vec_qIN3c104HalfELi256ELi8E11block_iq1_mLi1EXadL_ZL18vec_dot_iq1_m_q8_1PKvPK10block_q8_1RKiEEEvS4_S4_PT_iii.has_recursion, 0
	.set _ZL13mul_mat_vec_qIN3c104HalfELi256ELi8E11block_iq1_mLi1EXadL_ZL18vec_dot_iq1_m_q8_1PKvPK10block_q8_1RKiEEEvS4_S4_PT_iii.has_indirect_call, 0
	.section	.AMDGPU.csdata,"",@progbits
; Kernel info:
; codeLenInByte = 2360
; TotalNumSgprs: 15
; NumVgprs: 63
; ScratchSize: 0
; MemoryBound: 0
; FloatMode: 240
; IeeeMode: 1
; LDSByteSize: 0 bytes/workgroup (compile time only)
; SGPRBlocks: 0
; VGPRBlocks: 3
; NumSGPRsForWavesPerEU: 15
; NumVGPRsForWavesPerEU: 63
; NamedBarCnt: 0
; Occupancy: 16
; WaveLimiterHint : 0
; COMPUTE_PGM_RSRC2:SCRATCH_EN: 0
; COMPUTE_PGM_RSRC2:USER_SGPR: 2
; COMPUTE_PGM_RSRC2:TRAP_HANDLER: 0
; COMPUTE_PGM_RSRC2:TGID_X_EN: 1
; COMPUTE_PGM_RSRC2:TGID_Y_EN: 1
; COMPUTE_PGM_RSRC2:TGID_Z_EN: 0
; COMPUTE_PGM_RSRC2:TIDIG_COMP_CNT: 1
	.section	.text._ZL13quantize_q8_1IN3c108BFloat16EEvPKT_Pvii,"axG",@progbits,_ZL13quantize_q8_1IN3c108BFloat16EEvPKT_Pvii,comdat
	.globl	_ZL13quantize_q8_1IN3c108BFloat16EEvPKT_Pvii ; -- Begin function _ZL13quantize_q8_1IN3c108BFloat16EEvPKT_Pvii
	.p2align	8
	.type	_ZL13quantize_q8_1IN3c108BFloat16EEvPKT_Pvii,@function
_ZL13quantize_q8_1IN3c108BFloat16EEvPKT_Pvii: ; @_ZL13quantize_q8_1IN3c108BFloat16EEvPKT_Pvii
; %bb.0:
	s_clause 0x1
	s_load_b32 s5, s[0:1], 0x24
	s_load_b64 s[2:3], s[0:1], 0x10
	s_bfe_u32 s4, ttmp6, 0x4000c
	s_and_b32 s6, ttmp6, 15
	s_add_co_i32 s4, s4, 1
	v_and_b32_e32 v1, 0x3ff, v0
	s_mul_i32 s7, ttmp9, s4
	s_getreg_b32 s4, hwreg(HW_REG_IB_STS2, 6, 4)
	s_add_co_i32 s6, s6, s7
	s_wait_kmcnt 0x0
	s_and_b32 s5, s5, 0xffff
	s_cmp_eq_u32 s4, 0
	s_cselect_b32 s6, ttmp9, s6
	s_delay_alu instid0(SALU_CYCLE_1) | instskip(SKIP_1) | instid1(VALU_DEP_1)
	v_mad_u32 v1, s6, s5, v1
	s_mov_b32 s5, exec_lo
	v_cmpx_gt_u32_e64 s3, v1
	s_cbranch_execz .LBB97_7
; %bb.1:
	s_add_nc_u64 s[6:7], s[0:1], 24
	v_bfe_u32 v0, v0, 10, 10
	s_load_u16 s5, s[6:7], 0xe
	s_wait_xcnt 0x0
	s_bfe_u32 s6, ttmp6, 0x40010
	s_bfe_u32 s7, ttmp6, 0x40004
	s_add_co_i32 s6, s6, 1
	v_dual_mov_b32 v2, 0 :: v_dual_mov_b32 v3, 0
	s_mul_i32 s6, ttmp7, s6
	s_delay_alu instid0(SALU_CYCLE_1)
	s_add_co_i32 s7, s7, s6
	s_cmp_eq_u32 s4, 0
	s_cselect_b32 s4, ttmp7, s7
	s_wait_kmcnt 0x0
	v_mad_u32 v0, s4, s5, v0
	s_mov_b32 s4, exec_lo
	v_cmpx_gt_u32_e64 s2, v1
	s_cbranch_execz .LBB97_3
; %bb.2:
	s_load_b64 s[6:7], s[0:1], 0x0
	s_delay_alu instid0(VALU_DEP_2)
	v_mad_u32 v3, v0, s2, v1
	s_wait_kmcnt 0x0
	global_load_u16 v3, v3, s[6:7] scale_offset
	s_wait_loadcnt 0x0
	v_lshlrev_b32_e32 v3, 16, v3
.LBB97_3:
	s_or_b32 exec_lo, exec_lo, s4
	v_mbcnt_lo_u32_b32 v4, -1, 0
	s_delay_alu instid0(VALU_DEP_2)
	v_max_num_f32_e64 v8, |v3|, |v3|
	v_and_b32_e32 v6, 0x7fffffff, v3
	s_load_b64 s[0:1], s[0:1], 0x8
	s_mov_b32 s2, exec_lo
	v_xor_b32_e32 v7, 8, v4
	v_xor_b32_e32 v5, 16, v4
	s_delay_alu instid0(VALU_DEP_1) | instskip(SKIP_1) | instid1(VALU_DEP_4)
	v_cmp_gt_i32_e32 vcc_lo, 32, v5
	v_cndmask_b32_e32 v5, v4, v5, vcc_lo
	v_cmp_gt_i32_e32 vcc_lo, 32, v7
	s_delay_alu instid0(VALU_DEP_2) | instskip(NEXT) | instid1(VALU_DEP_1)
	v_dual_cndmask_b32 v7, v4, v7, vcc_lo :: v_dual_lshlrev_b32 v5, 2, v5
	v_lshlrev_b32_e32 v7, 2, v7
	ds_bpermute_b32 v6, v5, v6
	ds_bpermute_b32 v5, v5, v3
	s_wait_dscnt 0x1
	v_dual_max_num_f32 v6, v6, v6 :: v_dual_bitop2_b32 v10, 2, v4 bitop3:0x14
	s_wait_dscnt 0x0
	v_dual_add_f32 v5, v3, v5 :: v_dual_bitop2_b32 v9, 4, v4 bitop3:0x14
	s_delay_alu instid0(VALU_DEP_2) | instskip(NEXT) | instid1(VALU_DEP_2)
	v_max_num_f32_e32 v6, v8, v6
	v_cmp_gt_i32_e32 vcc_lo, 32, v9
	ds_bpermute_b32 v8, v7, v6
	ds_bpermute_b32 v7, v7, v5
	v_xor_b32_e32 v11, 1, v4
	s_wait_dscnt 0x1
	v_max_num_f32_e32 v8, v8, v8
	v_cndmask_b32_e32 v9, v4, v9, vcc_lo
	v_cmp_gt_i32_e32 vcc_lo, 32, v10
	s_wait_dscnt 0x0
	s_delay_alu instid0(VALU_DEP_3) | instskip(NEXT) | instid1(VALU_DEP_3)
	v_dual_add_f32 v5, v5, v7 :: v_dual_max_num_f32 v6, v6, v8
	v_dual_cndmask_b32 v10, v4, v10 :: v_dual_lshlrev_b32 v9, 2, v9
	v_cmp_gt_i32_e32 vcc_lo, 32, v11
	ds_bpermute_b32 v8, v9, v6
	ds_bpermute_b32 v7, v9, v5
	v_dual_lshlrev_b32 v10, 2, v10 :: v_dual_cndmask_b32 v4, v4, v11, vcc_lo
	s_delay_alu instid0(VALU_DEP_1) | instskip(SKIP_2) | instid1(VALU_DEP_1)
	v_lshlrev_b32_e32 v11, 2, v4
	s_wait_dscnt 0x1
	v_max_num_f32_e32 v8, v8, v8
	v_max_num_f32_e32 v6, v6, v8
	ds_bpermute_b32 v8, v10, v6
	s_wait_dscnt 0x0
	v_max_num_f32_e32 v8, v8, v8
	s_delay_alu instid0(VALU_DEP_1) | instskip(SKIP_3) | instid1(VALU_DEP_1)
	v_max_num_f32_e32 v4, v6, v8
	ds_bpermute_b32 v6, v11, v4
	s_wait_dscnt 0x0
	v_max_num_f32_e32 v6, v6, v6
	v_dual_max_num_f32 v8, v4, v6 :: v_dual_add_f32 v4, v5, v7
	s_delay_alu instid0(VALU_DEP_1) | instskip(SKIP_4) | instid1(TRANS32_DEP_1)
	v_div_scale_f32 v6, null, 0x42fe0000, 0x42fe0000, v8
	ds_bpermute_b32 v5, v10, v4
	v_div_scale_f32 v10, vcc_lo, v8, 0x42fe0000, v8
	v_rcp_f32_e32 v7, v6
	v_nop
	v_fma_f32 v9, -v6, v7, 1.0
	s_delay_alu instid0(VALU_DEP_1) | instskip(SKIP_1) | instid1(VALU_DEP_1)
	v_fmac_f32_e32 v7, v9, v7
	s_wait_dscnt 0x0
	v_dual_mul_f32 v9, v10, v7 :: v_dual_add_f32 v4, v4, v5
	s_delay_alu instid0(VALU_DEP_1) | instskip(SKIP_2) | instid1(VALU_DEP_1)
	v_fma_f32 v12, -v6, v9, v10
	ds_bpermute_b32 v5, v11, v4
	v_fmac_f32_e32 v9, v12, v7
	v_fma_f32 v6, -v6, v9, v10
	s_delay_alu instid0(VALU_DEP_1) | instskip(NEXT) | instid1(VALU_DEP_1)
	v_div_fmas_f32 v6, v6, v7, v9
	v_div_fixup_f32 v6, v6, 0x42fe0000, v8
	v_cmpx_neq_f32_e32 0, v8
	s_cbranch_execz .LBB97_5
; %bb.4:
	s_delay_alu instid0(VALU_DEP_2) | instskip(SKIP_1) | instid1(VALU_DEP_2)
	v_div_scale_f32 v2, null, v6, v6, v3
	v_div_scale_f32 v9, vcc_lo, v3, v6, v3
	v_rcp_f32_e32 v7, v2
	v_nop
	s_delay_alu instid0(TRANS32_DEP_1) | instskip(NEXT) | instid1(VALU_DEP_1)
	v_fma_f32 v8, -v2, v7, 1.0
	v_fmac_f32_e32 v7, v8, v7
	s_delay_alu instid0(VALU_DEP_1) | instskip(NEXT) | instid1(VALU_DEP_1)
	v_mul_f32_e32 v8, v9, v7
	v_fma_f32 v10, -v2, v8, v9
	s_delay_alu instid0(VALU_DEP_1) | instskip(NEXT) | instid1(VALU_DEP_1)
	v_fmac_f32_e32 v8, v10, v7
	v_fma_f32 v2, -v2, v8, v9
	s_delay_alu instid0(VALU_DEP_1) | instskip(NEXT) | instid1(VALU_DEP_1)
	v_div_fmas_f32 v2, v2, v7, v8
	v_div_fixup_f32 v2, v2, v6, v3
	s_delay_alu instid0(VALU_DEP_1) | instskip(NEXT) | instid1(VALU_DEP_1)
	v_trunc_f32_e32 v3, v2
	v_sub_f32_e32 v7, v2, v3
	s_delay_alu instid0(VALU_DEP_1) | instskip(NEXT) | instid1(VALU_DEP_1)
	v_cmp_ge_f32_e64 s4, |v7|, 0.5
	v_cndmask_b32_e64 v7, 0, 1.0, s4
	s_delay_alu instid0(VALU_DEP_1) | instskip(NEXT) | instid1(VALU_DEP_1)
	v_bfi_b32 v2, 0x7fffffff, v7, v2
	v_add_f32_e32 v2, v3, v2
	s_delay_alu instid0(VALU_DEP_1)
	v_cvt_i32_f32_e32 v2, v2
.LBB97_5:
	s_or_b32 exec_lo, exec_lo, s2
	v_mad_u32 v3, v0, s3, v1
	s_delay_alu instid0(VALU_DEP_1) | instskip(NEXT) | instid1(VALU_DEP_1)
	v_ashrrev_i32_e32 v0, 31, v3
	v_lshrrev_b32_e32 v0, 27, v0
	s_delay_alu instid0(VALU_DEP_1) | instskip(NEXT) | instid1(VALU_DEP_1)
	v_add_nc_u32_e32 v0, v3, v0
	v_ashrrev_i32_e32 v1, 5, v0
	v_and_b32_e32 v7, 0xffffffe0, v0
	s_wait_kmcnt 0x0
	s_delay_alu instid0(VALU_DEP_2) | instskip(NEXT) | instid1(VALU_DEP_2)
	v_mad_nc_i64_i32 v[0:1], v1, 36, s[0:1]
	v_sub_nc_u32_e32 v8, v3, v7
	s_delay_alu instid0(VALU_DEP_1) | instskip(SKIP_1) | instid1(VALU_DEP_2)
	v_ashrrev_i32_e32 v9, 31, v8
	v_cmp_gt_i32_e32 vcc_lo, 1, v8
	v_add_nc_u64_e32 v[10:11], v[0:1], v[8:9]
	global_store_b8 v[10:11], v2, off offset:4
	s_wait_xcnt 0x0
	s_and_b32 exec_lo, exec_lo, vcc_lo
	s_cbranch_execz .LBB97_7
; %bb.6:
	s_wait_dscnt 0x0
	v_add_f32_e32 v2, v4, v5
	s_delay_alu instid0(VALU_DEP_1)
	v_cvt_pk_f16_f32 v2, v6, v2
	global_store_b32 v[0:1], v2, off
.LBB97_7:
	s_endpgm
	.section	.rodata,"a",@progbits
	.p2align	6, 0x0
	.amdhsa_kernel _ZL13quantize_q8_1IN3c108BFloat16EEvPKT_Pvii
		.amdhsa_group_segment_fixed_size 0
		.amdhsa_private_segment_fixed_size 0
		.amdhsa_kernarg_size 280
		.amdhsa_user_sgpr_count 2
		.amdhsa_user_sgpr_dispatch_ptr 0
		.amdhsa_user_sgpr_queue_ptr 0
		.amdhsa_user_sgpr_kernarg_segment_ptr 1
		.amdhsa_user_sgpr_dispatch_id 0
		.amdhsa_user_sgpr_kernarg_preload_length 0
		.amdhsa_user_sgpr_kernarg_preload_offset 0
		.amdhsa_user_sgpr_private_segment_size 0
		.amdhsa_wavefront_size32 1
		.amdhsa_uses_dynamic_stack 0
		.amdhsa_enable_private_segment 0
		.amdhsa_system_sgpr_workgroup_id_x 1
		.amdhsa_system_sgpr_workgroup_id_y 1
		.amdhsa_system_sgpr_workgroup_id_z 0
		.amdhsa_system_sgpr_workgroup_info 0
		.amdhsa_system_vgpr_workitem_id 1
		.amdhsa_next_free_vgpr 13
		.amdhsa_next_free_sgpr 8
		.amdhsa_named_barrier_count 0
		.amdhsa_reserve_vcc 1
		.amdhsa_float_round_mode_32 0
		.amdhsa_float_round_mode_16_64 0
		.amdhsa_float_denorm_mode_32 3
		.amdhsa_float_denorm_mode_16_64 3
		.amdhsa_fp16_overflow 0
		.amdhsa_memory_ordered 1
		.amdhsa_forward_progress 1
		.amdhsa_inst_pref_size 8
		.amdhsa_round_robin_scheduling 0
		.amdhsa_exception_fp_ieee_invalid_op 0
		.amdhsa_exception_fp_denorm_src 0
		.amdhsa_exception_fp_ieee_div_zero 0
		.amdhsa_exception_fp_ieee_overflow 0
		.amdhsa_exception_fp_ieee_underflow 0
		.amdhsa_exception_fp_ieee_inexact 0
		.amdhsa_exception_int_div_zero 0
	.end_amdhsa_kernel
	.section	.text._ZL13quantize_q8_1IN3c108BFloat16EEvPKT_Pvii,"axG",@progbits,_ZL13quantize_q8_1IN3c108BFloat16EEvPKT_Pvii,comdat
.Lfunc_end97:
	.size	_ZL13quantize_q8_1IN3c108BFloat16EEvPKT_Pvii, .Lfunc_end97-_ZL13quantize_q8_1IN3c108BFloat16EEvPKT_Pvii
                                        ; -- End function
	.set _ZL13quantize_q8_1IN3c108BFloat16EEvPKT_Pvii.num_vgpr, 13
	.set _ZL13quantize_q8_1IN3c108BFloat16EEvPKT_Pvii.num_agpr, 0
	.set _ZL13quantize_q8_1IN3c108BFloat16EEvPKT_Pvii.numbered_sgpr, 8
	.set _ZL13quantize_q8_1IN3c108BFloat16EEvPKT_Pvii.num_named_barrier, 0
	.set _ZL13quantize_q8_1IN3c108BFloat16EEvPKT_Pvii.private_seg_size, 0
	.set _ZL13quantize_q8_1IN3c108BFloat16EEvPKT_Pvii.uses_vcc, 1
	.set _ZL13quantize_q8_1IN3c108BFloat16EEvPKT_Pvii.uses_flat_scratch, 0
	.set _ZL13quantize_q8_1IN3c108BFloat16EEvPKT_Pvii.has_dyn_sized_stack, 0
	.set _ZL13quantize_q8_1IN3c108BFloat16EEvPKT_Pvii.has_recursion, 0
	.set _ZL13quantize_q8_1IN3c108BFloat16EEvPKT_Pvii.has_indirect_call, 0
	.section	.AMDGPU.csdata,"",@progbits
; Kernel info:
; codeLenInByte = 992
; TotalNumSgprs: 10
; NumVgprs: 13
; ScratchSize: 0
; MemoryBound: 0
; FloatMode: 240
; IeeeMode: 1
; LDSByteSize: 0 bytes/workgroup (compile time only)
; SGPRBlocks: 0
; VGPRBlocks: 0
; NumSGPRsForWavesPerEU: 10
; NumVGPRsForWavesPerEU: 13
; NamedBarCnt: 0
; Occupancy: 16
; WaveLimiterHint : 0
; COMPUTE_PGM_RSRC2:SCRATCH_EN: 0
; COMPUTE_PGM_RSRC2:USER_SGPR: 2
; COMPUTE_PGM_RSRC2:TRAP_HANDLER: 0
; COMPUTE_PGM_RSRC2:TGID_X_EN: 1
; COMPUTE_PGM_RSRC2:TGID_Y_EN: 1
; COMPUTE_PGM_RSRC2:TGID_Z_EN: 0
; COMPUTE_PGM_RSRC2:TIDIG_COMP_CNT: 1
	.section	.text._ZL13mul_mat_vec_qIN3c108BFloat16ELi32ELi4E10block_q4_0Li2EXadL_ZL17vec_dot_q4_0_q8_1PKvPK10block_q8_1RKiEEEvS4_S4_PT_iii,"axG",@progbits,_ZL13mul_mat_vec_qIN3c108BFloat16ELi32ELi4E10block_q4_0Li2EXadL_ZL17vec_dot_q4_0_q8_1PKvPK10block_q8_1RKiEEEvS4_S4_PT_iii,comdat
	.globl	_ZL13mul_mat_vec_qIN3c108BFloat16ELi32ELi4E10block_q4_0Li2EXadL_ZL17vec_dot_q4_0_q8_1PKvPK10block_q8_1RKiEEEvS4_S4_PT_iii ; -- Begin function _ZL13mul_mat_vec_qIN3c108BFloat16ELi32ELi4E10block_q4_0Li2EXadL_ZL17vec_dot_q4_0_q8_1PKvPK10block_q8_1RKiEEEvS4_S4_PT_iii
	.p2align	8
	.type	_ZL13mul_mat_vec_qIN3c108BFloat16ELi32ELi4E10block_q4_0Li2EXadL_ZL17vec_dot_q4_0_q8_1PKvPK10block_q8_1RKiEEEvS4_S4_PT_iii,@function
_ZL13mul_mat_vec_qIN3c108BFloat16ELi32ELi4E10block_q4_0Li2EXadL_ZL17vec_dot_q4_0_q8_1PKvPK10block_q8_1RKiEEEvS4_S4_PT_iii: ; @_ZL13mul_mat_vec_qIN3c108BFloat16ELi32ELi4E10block_q4_0Li2EXadL_ZL17vec_dot_q4_0_q8_1PKvPK10block_q8_1RKiEEEvS4_S4_PT_iii
; %bb.0:
	s_clause 0x1
	s_load_u16 s2, s[0:1], 0x36
	s_load_b96 s[4:6], s[0:1], 0x18
	s_bfe_u32 s7, ttmp6, 0x4000c
	s_bfe_u32 s8, ttmp6, 0x40010
	s_add_co_i32 s7, s7, 1
	s_add_co_i32 s8, s8, 1
	s_and_b32 s3, ttmp6, 15
	s_mul_i32 s7, ttmp9, s7
	s_mul_i32 s8, ttmp7, s8
	s_bfe_u32 s9, ttmp6, 0x40004
	s_add_co_i32 s3, s3, s7
	s_getreg_b32 s7, hwreg(HW_REG_IB_STS2, 6, 4)
	s_add_co_i32 s9, s9, s8
	v_bfe_u32 v1, v0, 10, 10
	s_cmp_eq_u32 s7, 0
	s_cselect_b32 s3, ttmp9, s3
	s_cselect_b32 s8, ttmp7, s9
	s_wait_kmcnt 0x0
	v_mad_u32 v4, s3, s2, v1
	s_cmp_lt_u32 s8, s6
	s_cselect_b32 s2, -1, 0
	s_delay_alu instid0(VALU_DEP_1) | instskip(SKIP_1) | instid1(SALU_CYCLE_1)
	v_cmp_gt_u32_e32 vcc_lo, s5, v4
	s_and_b32 s2, s2, vcc_lo
	s_and_saveexec_b32 s3, s2
	s_cbranch_execz .LBB98_7
; %bb.1:
	s_load_b64 s[6:7], s[0:1], 0x10
	s_ashr_i32 s2, s4, 31
	v_bfe_u32 v6, v0, 1, 9
	s_lshr_b32 s2, s2, 27
	v_and_b32_e32 v5, 0x3ff, v0
	v_mov_b32_e32 v7, 0
	s_add_co_i32 s2, s4, s2
	s_mov_b32 s9, exec_lo
	s_ashr_i32 s10, s2, 5
	s_delay_alu instid0(SALU_CYCLE_1)
	v_cmpx_gt_u32_e64 s10, v6
	s_cbranch_execz .LBB98_5
; %bb.2:
	s_wait_xcnt 0x0
	s_load_b128 s[0:3], s[0:1], 0x0
	s_addk_co_i32 s4, 0x1ff
	v_mul_lo_u32 v8, v4, s10
	s_ashr_i32 s11, s4, 31
	v_dual_mov_b32 v1, 0 :: v_dual_lshlrev_b32 v0, 3, v5
	s_lshr_b32 s11, s11, 23
	v_mov_b32_e32 v3, 4.0
	s_add_co_i32 s4, s4, s11
	s_delay_alu instid0(VALU_DEP_2) | instskip(SKIP_3) | instid1(SALU_CYCLE_1)
	v_and_b32_e32 v0, 8, v0
	s_ashr_i32 s4, s4, 9
	v_mov_b32_e32 v7, v1
	s_mul_i32 s4, s8, s4
	s_lshl_b32 s11, s4, 4
	s_mov_b32 s4, 0
.LBB98_3:                               ; =>This Inner Loop Header: Depth=1
	v_dual_add_nc_u32 v2, v8, v6 :: v_dual_add_nc_u32 v9, s11, v6
	v_add_nc_u32_e32 v6, 16, v6
	s_wait_kmcnt 0x0
	s_delay_alu instid0(VALU_DEP_2) | instskip(NEXT) | instid1(VALU_DEP_3)
	v_mad_nc_i64_i32 v[10:11], v2, 18, s[0:1]
	v_mad_nc_i64_i32 v[12:13], v9, 36, s[2:3]
	s_delay_alu instid0(VALU_DEP_3) | instskip(SKIP_1) | instid1(VALU_DEP_3)
	v_cmp_le_u32_e32 vcc_lo, s10, v6
	s_or_b32 s4, vcc_lo, s4
	v_add_nc_u64_e32 v[14:15], v[10:11], v[0:1]
	s_delay_alu instid0(VALU_DEP_3)
	v_add_nc_u64_e32 v[16:17], v[12:13], v[0:1]
	global_load_b64 v[18:19], v[14:15], off offset:2
	s_clause 0x2
	global_load_b64 v[20:21], v[16:17], off offset:4
	global_load_b64 v[22:23], v[16:17], off offset:20
	global_load_b32 v2, v[12:13], off
	global_load_u16 v9, v[10:11], off
	s_wait_loadcnt 0x4
	s_wait_xcnt 0x4
	v_dual_lshrrev_b32 v14, 4, v18 :: v_dual_lshrrev_b32 v15, 28, v18
	s_wait_loadcnt 0x2
	s_wait_xcnt 0x0
	v_lshrrev_b16 v11, 8, v22
	v_bfe_u32 v12, v18, 24, 4
	v_and_b32_e32 v13, 0xf0f0f0f, v18
	v_bfe_u32 v16, v18, 16, 4
	v_and_b32_e32 v17, 15, v18
	v_bfe_u32 v26, v18, 20, 4
	v_bfe_u32 v18, v18, 4, 4
	v_dual_ashrrev_i32 v27, 24, v22 :: v_dual_lshrrev_b32 v31, 4, v19
	v_bfe_i32 v28, v22, 16, 8
	v_bfe_i32 v22, v22, 0, 8
	v_and_b32_e32 v30, 0xf0f0f0f, v19
	v_lshrrev_b16 v14, 8, v14
	v_lshrrev_b16 v10, 8, v20
	;; [unrolled: 1-line block ×3, first 2 shown]
	v_mul_i32_i24_e32 v18, v18, v22
	v_mul_i32_i24_e32 v22, v26, v28
	;; [unrolled: 1-line block ×3, first 2 shown]
	v_lshrrev_b16 v26, 8, v30
	v_lshrrev_b16 v27, 8, v31
	v_and_b32_e32 v14, 15, v14
	v_bfe_i32 v24, v20, 16, 8
	v_bfe_i32 v25, v20, 0, 8
	v_ashrrev_i32_e32 v20, 24, v20
	v_bfe_u32 v29, v19, 24, 4
	v_dual_lshrrev_b32 v32, 28, v19 :: v_dual_bitop2_b32 v34, 15, v19 bitop3:0x40
	v_dual_ashrrev_i32 v35, 24, v21 :: v_dual_ashrrev_i32 v39, 24, v23
	v_bfe_i32 v37, v21, 8, 8
	v_bfe_i32 v10, v10, 0, 8
	;; [unrolled: 1-line block ×3, first 2 shown]
	v_and_b32_e32 v13, 0xffff, v13
	v_and_b32_e32 v26, 0xffff, v26
	;; [unrolled: 1-line block ×4, first 2 shown]
	v_bfe_u32 v33, v19, 16, 4
	v_bfe_i32 v36, v21, 16, 8
	v_bfe_i32 v21, v21, 0, 8
	v_bfe_u32 v38, v19, 20, 4
	v_bfe_u32 v19, v19, 4, 4
	v_bfe_i32 v40, v23, 16, 8
	v_bfe_i32 v41, v23, 8, 8
	;; [unrolled: 1-line block ×3, first 2 shown]
	v_mul_i32_i24_e32 v29, v35, v29
	v_mul_i32_i24_e32 v30, v39, v32
	v_mad_i32_i24 v12, v12, v20, v15
	v_mul_i32_i24_e32 v10, v13, v10
	v_mul_i32_i24_e32 v13, v37, v26
	v_and_b32_e32 v15, 0xffff, v27
	v_mul_i32_i24_e32 v11, v14, v11
	v_mul_i32_i24_e32 v21, v21, v34
	;; [unrolled: 1-line block ×5, first 2 shown]
	v_mad_i32_i24 v14, v17, v25, v18
	v_mad_i32_i24 v16, v16, v24, v22
	v_add3_u32 v12, v12, v29, v30
	v_mul_i32_i24_e32 v15, v41, v15
	v_add3_u32 v10, v10, v11, v13
	v_add3_u32 v13, v14, v21, v19
	;; [unrolled: 1-line block ×3, first 2 shown]
	s_delay_alu instid0(VALU_DEP_3) | instskip(SKIP_2) | instid1(VALU_DEP_2)
	v_add3_u32 v10, v10, v15, v12
	s_wait_loadcnt 0x1
	v_lshrrev_b32_e32 v12, 16, v2
	v_add3_u32 v13, v13, v11, v10
	v_cvt_f32_f16_e32 v10, v2
	s_delay_alu instid0(VALU_DEP_3) | instskip(NEXT) | instid1(VALU_DEP_3)
	v_cvt_f32_f16_e32 v11, v12
	v_cvt_f32_i32_e32 v2, v13
	s_delay_alu instid0(VALU_DEP_1) | instskip(NEXT) | instid1(VALU_DEP_1)
	v_pk_mul_f32 v[10:11], v[2:3], v[10:11]
	v_sub_f32_e32 v2, v10, v11
	s_wait_loadcnt 0x0
	s_delay_alu instid0(VALU_DEP_1)
	v_fma_mix_f32 v7, v2, v9, v7 op_sel_hi:[0,1,0]
	s_and_not1_b32 exec_lo, exec_lo, s4
	s_cbranch_execnz .LBB98_3
; %bb.4:
	s_or_b32 exec_lo, exec_lo, s4
.LBB98_5:
	s_delay_alu instid0(SALU_CYCLE_1) | instskip(SKIP_1) | instid1(VALU_DEP_1)
	s_or_b32 exec_lo, exec_lo, s9
	v_mbcnt_lo_u32_b32 v0, -1, 0
	v_xor_b32_e32 v2, 8, v0
	v_xor_b32_e32 v1, 16, v0
	;; [unrolled: 1-line block ×3, first 2 shown]
	s_delay_alu instid0(VALU_DEP_2) | instskip(SKIP_4) | instid1(VALU_DEP_2)
	v_cmp_gt_i32_e32 vcc_lo, 32, v1
	v_cndmask_b32_e32 v1, v0, v1, vcc_lo
	v_cmp_gt_i32_e32 vcc_lo, 32, v2
	v_cndmask_b32_e32 v2, v0, v2, vcc_lo
	v_cmp_gt_i32_e32 vcc_lo, 32, v3
	v_dual_lshlrev_b32 v2, 2, v2 :: v_dual_lshlrev_b32 v1, 2, v1
	ds_bpermute_b32 v1, v1, v7
	s_wait_dscnt 0x0
	v_add_f32_e32 v1, v7, v1
	ds_bpermute_b32 v2, v2, v1
	s_wait_dscnt 0x0
	v_dual_cndmask_b32 v3, v0, v3, vcc_lo :: v_dual_add_f32 v1, v1, v2
	s_delay_alu instid0(VALU_DEP_1) | instskip(SKIP_3) | instid1(VALU_DEP_1)
	v_lshlrev_b32_e32 v3, 2, v3
	ds_bpermute_b32 v2, v3, v1
	s_wait_dscnt 0x0
	v_dual_add_f32 v1, v1, v2 :: v_dual_bitop2_b32 v3, 2, v0 bitop3:0x14
	v_cmp_gt_i32_e32 vcc_lo, 32, v3
	v_cndmask_b32_e32 v3, v0, v3, vcc_lo
	s_delay_alu instid0(VALU_DEP_1) | instskip(SKIP_2) | instid1(VALU_DEP_1)
	v_lshlrev_b32_e32 v3, 2, v3
	ds_bpermute_b32 v2, v3, v1
	v_xor_b32_e32 v3, 1, v0
	v_cmp_gt_i32_e32 vcc_lo, 32, v3
	v_cndmask_b32_e32 v3, v0, v3, vcc_lo
	v_cmp_eq_u32_e32 vcc_lo, 0, v5
	s_wait_dscnt 0x0
	s_delay_alu instid0(VALU_DEP_2)
	v_dual_add_f32 v0, v1, v2 :: v_dual_lshlrev_b32 v1, 2, v3
	ds_bpermute_b32 v1, v1, v0
	s_and_b32 exec_lo, exec_lo, vcc_lo
	s_cbranch_execz .LBB98_7
; %bb.6:
	s_wait_dscnt 0x0
	v_add_f32_e32 v0, v0, v1
	v_mad_u32 v2, s5, s8, v4
	s_delay_alu instid0(VALU_DEP_2) | instskip(NEXT) | instid1(VALU_DEP_1)
	v_bfe_u32 v1, v0, 16, 1
	v_add3_u32 v1, v0, v1, 0x7fff
	s_delay_alu instid0(VALU_DEP_1) | instskip(SKIP_1) | instid1(VALU_DEP_2)
	v_lshrrev_b32_e32 v1, 16, v1
	v_cmp_o_f32_e32 vcc_lo, v0, v0
	v_cndmask_b32_e32 v0, 0x7fc0, v1, vcc_lo
	s_wait_kmcnt 0x0
	global_store_b16 v2, v0, s[6:7] scale_offset
.LBB98_7:
	s_endpgm
	.section	.rodata,"a",@progbits
	.p2align	6, 0x0
	.amdhsa_kernel _ZL13mul_mat_vec_qIN3c108BFloat16ELi32ELi4E10block_q4_0Li2EXadL_ZL17vec_dot_q4_0_q8_1PKvPK10block_q8_1RKiEEEvS4_S4_PT_iii
		.amdhsa_group_segment_fixed_size 0
		.amdhsa_private_segment_fixed_size 0
		.amdhsa_kernarg_size 296
		.amdhsa_user_sgpr_count 2
		.amdhsa_user_sgpr_dispatch_ptr 0
		.amdhsa_user_sgpr_queue_ptr 0
		.amdhsa_user_sgpr_kernarg_segment_ptr 1
		.amdhsa_user_sgpr_dispatch_id 0
		.amdhsa_user_sgpr_kernarg_preload_length 0
		.amdhsa_user_sgpr_kernarg_preload_offset 0
		.amdhsa_user_sgpr_private_segment_size 0
		.amdhsa_wavefront_size32 1
		.amdhsa_uses_dynamic_stack 0
		.amdhsa_enable_private_segment 0
		.amdhsa_system_sgpr_workgroup_id_x 1
		.amdhsa_system_sgpr_workgroup_id_y 1
		.amdhsa_system_sgpr_workgroup_id_z 0
		.amdhsa_system_sgpr_workgroup_info 0
		.amdhsa_system_vgpr_workitem_id 1
		.amdhsa_next_free_vgpr 42
		.amdhsa_next_free_sgpr 12
		.amdhsa_named_barrier_count 0
		.amdhsa_reserve_vcc 1
		.amdhsa_float_round_mode_32 0
		.amdhsa_float_round_mode_16_64 0
		.amdhsa_float_denorm_mode_32 3
		.amdhsa_float_denorm_mode_16_64 3
		.amdhsa_fp16_overflow 0
		.amdhsa_memory_ordered 1
		.amdhsa_forward_progress 1
		.amdhsa_inst_pref_size 10
		.amdhsa_round_robin_scheduling 0
		.amdhsa_exception_fp_ieee_invalid_op 0
		.amdhsa_exception_fp_denorm_src 0
		.amdhsa_exception_fp_ieee_div_zero 0
		.amdhsa_exception_fp_ieee_overflow 0
		.amdhsa_exception_fp_ieee_underflow 0
		.amdhsa_exception_fp_ieee_inexact 0
		.amdhsa_exception_int_div_zero 0
	.end_amdhsa_kernel
	.section	.text._ZL13mul_mat_vec_qIN3c108BFloat16ELi32ELi4E10block_q4_0Li2EXadL_ZL17vec_dot_q4_0_q8_1PKvPK10block_q8_1RKiEEEvS4_S4_PT_iii,"axG",@progbits,_ZL13mul_mat_vec_qIN3c108BFloat16ELi32ELi4E10block_q4_0Li2EXadL_ZL17vec_dot_q4_0_q8_1PKvPK10block_q8_1RKiEEEvS4_S4_PT_iii,comdat
.Lfunc_end98:
	.size	_ZL13mul_mat_vec_qIN3c108BFloat16ELi32ELi4E10block_q4_0Li2EXadL_ZL17vec_dot_q4_0_q8_1PKvPK10block_q8_1RKiEEEvS4_S4_PT_iii, .Lfunc_end98-_ZL13mul_mat_vec_qIN3c108BFloat16ELi32ELi4E10block_q4_0Li2EXadL_ZL17vec_dot_q4_0_q8_1PKvPK10block_q8_1RKiEEEvS4_S4_PT_iii
                                        ; -- End function
	.set _ZL13mul_mat_vec_qIN3c108BFloat16ELi32ELi4E10block_q4_0Li2EXadL_ZL17vec_dot_q4_0_q8_1PKvPK10block_q8_1RKiEEEvS4_S4_PT_iii.num_vgpr, 42
	.set _ZL13mul_mat_vec_qIN3c108BFloat16ELi32ELi4E10block_q4_0Li2EXadL_ZL17vec_dot_q4_0_q8_1PKvPK10block_q8_1RKiEEEvS4_S4_PT_iii.num_agpr, 0
	.set _ZL13mul_mat_vec_qIN3c108BFloat16ELi32ELi4E10block_q4_0Li2EXadL_ZL17vec_dot_q4_0_q8_1PKvPK10block_q8_1RKiEEEvS4_S4_PT_iii.numbered_sgpr, 12
	.set _ZL13mul_mat_vec_qIN3c108BFloat16ELi32ELi4E10block_q4_0Li2EXadL_ZL17vec_dot_q4_0_q8_1PKvPK10block_q8_1RKiEEEvS4_S4_PT_iii.num_named_barrier, 0
	.set _ZL13mul_mat_vec_qIN3c108BFloat16ELi32ELi4E10block_q4_0Li2EXadL_ZL17vec_dot_q4_0_q8_1PKvPK10block_q8_1RKiEEEvS4_S4_PT_iii.private_seg_size, 0
	.set _ZL13mul_mat_vec_qIN3c108BFloat16ELi32ELi4E10block_q4_0Li2EXadL_ZL17vec_dot_q4_0_q8_1PKvPK10block_q8_1RKiEEEvS4_S4_PT_iii.uses_vcc, 1
	.set _ZL13mul_mat_vec_qIN3c108BFloat16ELi32ELi4E10block_q4_0Li2EXadL_ZL17vec_dot_q4_0_q8_1PKvPK10block_q8_1RKiEEEvS4_S4_PT_iii.uses_flat_scratch, 0
	.set _ZL13mul_mat_vec_qIN3c108BFloat16ELi32ELi4E10block_q4_0Li2EXadL_ZL17vec_dot_q4_0_q8_1PKvPK10block_q8_1RKiEEEvS4_S4_PT_iii.has_dyn_sized_stack, 0
	.set _ZL13mul_mat_vec_qIN3c108BFloat16ELi32ELi4E10block_q4_0Li2EXadL_ZL17vec_dot_q4_0_q8_1PKvPK10block_q8_1RKiEEEvS4_S4_PT_iii.has_recursion, 0
	.set _ZL13mul_mat_vec_qIN3c108BFloat16ELi32ELi4E10block_q4_0Li2EXadL_ZL17vec_dot_q4_0_q8_1PKvPK10block_q8_1RKiEEEvS4_S4_PT_iii.has_indirect_call, 0
	.section	.AMDGPU.csdata,"",@progbits
; Kernel info:
; codeLenInByte = 1224
; TotalNumSgprs: 14
; NumVgprs: 42
; ScratchSize: 0
; MemoryBound: 0
; FloatMode: 240
; IeeeMode: 1
; LDSByteSize: 0 bytes/workgroup (compile time only)
; SGPRBlocks: 0
; VGPRBlocks: 2
; NumSGPRsForWavesPerEU: 14
; NumVGPRsForWavesPerEU: 42
; NamedBarCnt: 0
; Occupancy: 16
; WaveLimiterHint : 0
; COMPUTE_PGM_RSRC2:SCRATCH_EN: 0
; COMPUTE_PGM_RSRC2:USER_SGPR: 2
; COMPUTE_PGM_RSRC2:TRAP_HANDLER: 0
; COMPUTE_PGM_RSRC2:TGID_X_EN: 1
; COMPUTE_PGM_RSRC2:TGID_Y_EN: 1
; COMPUTE_PGM_RSRC2:TGID_Z_EN: 0
; COMPUTE_PGM_RSRC2:TIDIG_COMP_CNT: 1
	.section	.text._ZL13mul_mat_vec_qIN3c108BFloat16ELi32ELi4E10block_q4_1Li2EXadL_ZL17vec_dot_q4_1_q8_1PKvPK10block_q8_1RKiEEEvS4_S4_PT_iii,"axG",@progbits,_ZL13mul_mat_vec_qIN3c108BFloat16ELi32ELi4E10block_q4_1Li2EXadL_ZL17vec_dot_q4_1_q8_1PKvPK10block_q8_1RKiEEEvS4_S4_PT_iii,comdat
	.globl	_ZL13mul_mat_vec_qIN3c108BFloat16ELi32ELi4E10block_q4_1Li2EXadL_ZL17vec_dot_q4_1_q8_1PKvPK10block_q8_1RKiEEEvS4_S4_PT_iii ; -- Begin function _ZL13mul_mat_vec_qIN3c108BFloat16ELi32ELi4E10block_q4_1Li2EXadL_ZL17vec_dot_q4_1_q8_1PKvPK10block_q8_1RKiEEEvS4_S4_PT_iii
	.p2align	8
	.type	_ZL13mul_mat_vec_qIN3c108BFloat16ELi32ELi4E10block_q4_1Li2EXadL_ZL17vec_dot_q4_1_q8_1PKvPK10block_q8_1RKiEEEvS4_S4_PT_iii,@function
_ZL13mul_mat_vec_qIN3c108BFloat16ELi32ELi4E10block_q4_1Li2EXadL_ZL17vec_dot_q4_1_q8_1PKvPK10block_q8_1RKiEEEvS4_S4_PT_iii: ; @_ZL13mul_mat_vec_qIN3c108BFloat16ELi32ELi4E10block_q4_1Li2EXadL_ZL17vec_dot_q4_1_q8_1PKvPK10block_q8_1RKiEEEvS4_S4_PT_iii
; %bb.0:
	s_clause 0x1
	s_load_u16 s2, s[0:1], 0x36
	s_load_b96 s[4:6], s[0:1], 0x18
	s_bfe_u32 s7, ttmp6, 0x4000c
	s_bfe_u32 s8, ttmp6, 0x40010
	s_add_co_i32 s7, s7, 1
	s_add_co_i32 s8, s8, 1
	s_and_b32 s3, ttmp6, 15
	s_mul_i32 s7, ttmp9, s7
	s_mul_i32 s8, ttmp7, s8
	s_bfe_u32 s9, ttmp6, 0x40004
	s_add_co_i32 s3, s3, s7
	s_getreg_b32 s7, hwreg(HW_REG_IB_STS2, 6, 4)
	s_add_co_i32 s9, s9, s8
	v_bfe_u32 v1, v0, 10, 10
	s_cmp_eq_u32 s7, 0
	s_cselect_b32 s3, ttmp9, s3
	s_cselect_b32 s8, ttmp7, s9
	s_wait_kmcnt 0x0
	v_mad_u32 v4, s3, s2, v1
	s_cmp_lt_u32 s8, s6
	s_cselect_b32 s2, -1, 0
	s_delay_alu instid0(VALU_DEP_1) | instskip(SKIP_1) | instid1(SALU_CYCLE_1)
	v_cmp_gt_u32_e32 vcc_lo, s5, v4
	s_and_b32 s2, s2, vcc_lo
	s_and_saveexec_b32 s3, s2
	s_cbranch_execz .LBB99_7
; %bb.1:
	s_load_b64 s[6:7], s[0:1], 0x10
	s_ashr_i32 s2, s4, 31
	v_bfe_u32 v6, v0, 1, 9
	s_lshr_b32 s2, s2, 27
	v_and_b32_e32 v5, 0x3ff, v0
	v_mov_b32_e32 v7, 0
	s_add_co_i32 s2, s4, s2
	s_mov_b32 s9, exec_lo
	s_ashr_i32 s10, s2, 5
	s_delay_alu instid0(SALU_CYCLE_1)
	v_cmpx_gt_u32_e64 s10, v6
	s_cbranch_execz .LBB99_5
; %bb.2:
	s_wait_xcnt 0x0
	s_load_b128 s[0:3], s[0:1], 0x0
	s_addk_co_i32 s4, 0x1ff
	v_mul_lo_u32 v8, v4, s10
	s_ashr_i32 s11, s4, 31
	v_dual_mov_b32 v1, 0 :: v_dual_lshlrev_b32 v0, 3, v5
	s_lshr_b32 s11, s11, 23
	v_mov_b32_e32 v3, 0.5
	s_add_co_i32 s4, s4, s11
	s_delay_alu instid0(VALU_DEP_2) | instskip(SKIP_3) | instid1(SALU_CYCLE_1)
	v_and_b32_e32 v0, 8, v0
	s_ashr_i32 s4, s4, 9
	v_mov_b32_e32 v7, v1
	s_mul_i32 s4, s8, s4
	s_lshl_b32 s11, s4, 4
	s_mov_b32 s4, 0
.LBB99_3:                               ; =>This Inner Loop Header: Depth=1
	v_dual_add_nc_u32 v2, v8, v6 :: v_dual_add_nc_u32 v9, s11, v6
	v_add_nc_u32_e32 v6, 16, v6
	s_wait_kmcnt 0x0
	s_delay_alu instid0(VALU_DEP_2) | instskip(NEXT) | instid1(VALU_DEP_3)
	v_mad_nc_i64_i32 v[10:11], v2, 20, s[0:1]
	v_mad_nc_i64_i32 v[12:13], v9, 36, s[2:3]
	s_delay_alu instid0(VALU_DEP_3) | instskip(SKIP_1) | instid1(VALU_DEP_3)
	v_cmp_le_u32_e32 vcc_lo, s10, v6
	s_or_b32 s4, vcc_lo, s4
	v_add_nc_u64_e32 v[14:15], v[10:11], v[0:1]
	s_delay_alu instid0(VALU_DEP_3)
	v_add_nc_u64_e32 v[16:17], v[12:13], v[0:1]
	global_load_b64 v[18:19], v[14:15], off offset:4
	s_clause 0x1
	global_load_b64 v[20:21], v[16:17], off offset:4
	global_load_b64 v[22:23], v[16:17], off offset:20
	global_load_b32 v2, v[10:11], off
	global_load_b32 v9, v[12:13], off
	s_wait_loadcnt 0x4
	s_wait_xcnt 0x4
	v_dual_lshrrev_b32 v14, 4, v18 :: v_dual_lshrrev_b32 v15, 28, v18
	s_wait_loadcnt 0x2
	s_wait_xcnt 0x1
	v_lshrrev_b16 v11, 8, v22
	s_wait_xcnt 0x0
	v_bfe_u32 v12, v18, 24, 4
	v_and_b32_e32 v13, 0xf0f0f0f, v18
	v_bfe_u32 v16, v18, 16, 4
	v_and_b32_e32 v17, 15, v18
	v_bfe_u32 v26, v18, 20, 4
	v_bfe_u32 v18, v18, 4, 4
	v_dual_ashrrev_i32 v27, 24, v22 :: v_dual_lshrrev_b32 v31, 4, v19
	v_bfe_i32 v28, v22, 16, 8
	v_bfe_i32 v22, v22, 0, 8
	v_and_b32_e32 v30, 0xf0f0f0f, v19
	v_lshrrev_b16 v14, 8, v14
	v_lshrrev_b16 v10, 8, v20
	;; [unrolled: 1-line block ×3, first 2 shown]
	v_mul_i32_i24_e32 v18, v18, v22
	v_mul_i32_i24_e32 v22, v26, v28
	;; [unrolled: 1-line block ×3, first 2 shown]
	v_lshrrev_b16 v26, 8, v30
	v_lshrrev_b16 v27, 8, v31
	v_and_b32_e32 v14, 15, v14
	v_bfe_i32 v24, v20, 16, 8
	v_bfe_i32 v25, v20, 0, 8
	v_ashrrev_i32_e32 v20, 24, v20
	v_bfe_u32 v29, v19, 24, 4
	v_dual_lshrrev_b32 v32, 28, v19 :: v_dual_bitop2_b32 v34, 15, v19 bitop3:0x40
	v_dual_ashrrev_i32 v35, 24, v21 :: v_dual_ashrrev_i32 v39, 24, v23
	v_bfe_i32 v37, v21, 8, 8
	v_bfe_i32 v10, v10, 0, 8
	;; [unrolled: 1-line block ×3, first 2 shown]
	v_and_b32_e32 v13, 0xffff, v13
	v_and_b32_e32 v26, 0xffff, v26
	;; [unrolled: 1-line block ×3, first 2 shown]
	s_wait_loadcnt 0x0
	v_pk_mul_f16 v2, v2, v9
	v_and_b32_e32 v27, 15, v27
	v_bfe_u32 v33, v19, 16, 4
	v_bfe_i32 v36, v21, 16, 8
	v_bfe_i32 v21, v21, 0, 8
	v_bfe_u32 v38, v19, 20, 4
	v_bfe_u32 v19, v19, 4, 4
	v_bfe_i32 v40, v23, 16, 8
	v_bfe_i32 v41, v23, 8, 8
	v_bfe_i32 v23, v23, 0, 8
	v_mul_i32_i24_e32 v29, v35, v29
	v_mul_i32_i24_e32 v30, v39, v32
	v_mad_i32_i24 v12, v12, v20, v15
	v_mul_i32_i24_e32 v10, v13, v10
	v_mul_i32_i24_e32 v13, v37, v26
	v_and_b32_e32 v15, 0xffff, v27
	v_mul_i32_i24_e32 v11, v14, v11
	v_mul_i32_i24_e32 v21, v21, v34
	;; [unrolled: 1-line block ×5, first 2 shown]
	v_mad_i32_i24 v14, v17, v25, v18
	v_mad_i32_i24 v16, v16, v24, v22
	v_add3_u32 v12, v12, v29, v30
	v_mul_i32_i24_e32 v15, v41, v15
	v_add3_u32 v10, v10, v11, v13
	v_add3_u32 v11, v14, v21, v19
	;; [unrolled: 1-line block ×3, first 2 shown]
	s_delay_alu instid0(VALU_DEP_3) | instskip(SKIP_1) | instid1(VALU_DEP_2)
	v_add3_u32 v10, v10, v15, v12
	v_lshrrev_b32_e32 v12, 16, v2
	v_add3_u32 v9, v11, v9, v10
	v_cvt_f32_f16_e32 v10, v2
	s_delay_alu instid0(VALU_DEP_3) | instskip(NEXT) | instid1(VALU_DEP_3)
	v_cvt_f32_f16_e32 v11, v12
	v_cvt_f32_i32_e32 v2, v9
	s_delay_alu instid0(VALU_DEP_1) | instskip(NEXT) | instid1(VALU_DEP_1)
	v_pk_mul_f32 v[10:11], v[2:3], v[10:11]
	v_add_f32_e32 v2, v11, v10
	s_delay_alu instid0(VALU_DEP_1)
	v_add_f32_e32 v7, v7, v2
	s_and_not1_b32 exec_lo, exec_lo, s4
	s_cbranch_execnz .LBB99_3
; %bb.4:
	s_or_b32 exec_lo, exec_lo, s4
.LBB99_5:
	s_delay_alu instid0(SALU_CYCLE_1) | instskip(SKIP_1) | instid1(VALU_DEP_1)
	s_or_b32 exec_lo, exec_lo, s9
	v_mbcnt_lo_u32_b32 v0, -1, 0
	v_xor_b32_e32 v2, 8, v0
	v_xor_b32_e32 v1, 16, v0
	;; [unrolled: 1-line block ×3, first 2 shown]
	s_delay_alu instid0(VALU_DEP_2) | instskip(SKIP_4) | instid1(VALU_DEP_2)
	v_cmp_gt_i32_e32 vcc_lo, 32, v1
	v_cndmask_b32_e32 v1, v0, v1, vcc_lo
	v_cmp_gt_i32_e32 vcc_lo, 32, v2
	v_cndmask_b32_e32 v2, v0, v2, vcc_lo
	v_cmp_gt_i32_e32 vcc_lo, 32, v3
	v_dual_lshlrev_b32 v2, 2, v2 :: v_dual_lshlrev_b32 v1, 2, v1
	ds_bpermute_b32 v1, v1, v7
	s_wait_dscnt 0x0
	v_add_f32_e32 v1, v7, v1
	ds_bpermute_b32 v2, v2, v1
	s_wait_dscnt 0x0
	v_dual_cndmask_b32 v3, v0, v3, vcc_lo :: v_dual_add_f32 v1, v1, v2
	s_delay_alu instid0(VALU_DEP_1) | instskip(SKIP_3) | instid1(VALU_DEP_1)
	v_lshlrev_b32_e32 v3, 2, v3
	ds_bpermute_b32 v2, v3, v1
	s_wait_dscnt 0x0
	v_dual_add_f32 v1, v1, v2 :: v_dual_bitop2_b32 v3, 2, v0 bitop3:0x14
	v_cmp_gt_i32_e32 vcc_lo, 32, v3
	v_cndmask_b32_e32 v3, v0, v3, vcc_lo
	s_delay_alu instid0(VALU_DEP_1) | instskip(SKIP_2) | instid1(VALU_DEP_1)
	v_lshlrev_b32_e32 v3, 2, v3
	ds_bpermute_b32 v2, v3, v1
	v_xor_b32_e32 v3, 1, v0
	v_cmp_gt_i32_e32 vcc_lo, 32, v3
	v_cndmask_b32_e32 v3, v0, v3, vcc_lo
	v_cmp_eq_u32_e32 vcc_lo, 0, v5
	s_wait_dscnt 0x0
	s_delay_alu instid0(VALU_DEP_2)
	v_dual_add_f32 v0, v1, v2 :: v_dual_lshlrev_b32 v1, 2, v3
	ds_bpermute_b32 v1, v1, v0
	s_and_b32 exec_lo, exec_lo, vcc_lo
	s_cbranch_execz .LBB99_7
; %bb.6:
	s_wait_dscnt 0x0
	v_add_f32_e32 v0, v0, v1
	v_mad_u32 v2, s5, s8, v4
	s_delay_alu instid0(VALU_DEP_2) | instskip(NEXT) | instid1(VALU_DEP_1)
	v_bfe_u32 v1, v0, 16, 1
	v_add3_u32 v1, v0, v1, 0x7fff
	s_delay_alu instid0(VALU_DEP_1) | instskip(SKIP_1) | instid1(VALU_DEP_2)
	v_lshrrev_b32_e32 v1, 16, v1
	v_cmp_o_f32_e32 vcc_lo, v0, v0
	v_cndmask_b32_e32 v0, 0x7fc0, v1, vcc_lo
	s_wait_kmcnt 0x0
	global_store_b16 v2, v0, s[6:7] scale_offset
.LBB99_7:
	s_endpgm
	.section	.rodata,"a",@progbits
	.p2align	6, 0x0
	.amdhsa_kernel _ZL13mul_mat_vec_qIN3c108BFloat16ELi32ELi4E10block_q4_1Li2EXadL_ZL17vec_dot_q4_1_q8_1PKvPK10block_q8_1RKiEEEvS4_S4_PT_iii
		.amdhsa_group_segment_fixed_size 0
		.amdhsa_private_segment_fixed_size 0
		.amdhsa_kernarg_size 296
		.amdhsa_user_sgpr_count 2
		.amdhsa_user_sgpr_dispatch_ptr 0
		.amdhsa_user_sgpr_queue_ptr 0
		.amdhsa_user_sgpr_kernarg_segment_ptr 1
		.amdhsa_user_sgpr_dispatch_id 0
		.amdhsa_user_sgpr_kernarg_preload_length 0
		.amdhsa_user_sgpr_kernarg_preload_offset 0
		.amdhsa_user_sgpr_private_segment_size 0
		.amdhsa_wavefront_size32 1
		.amdhsa_uses_dynamic_stack 0
		.amdhsa_enable_private_segment 0
		.amdhsa_system_sgpr_workgroup_id_x 1
		.amdhsa_system_sgpr_workgroup_id_y 1
		.amdhsa_system_sgpr_workgroup_id_z 0
		.amdhsa_system_sgpr_workgroup_info 0
		.amdhsa_system_vgpr_workitem_id 1
		.amdhsa_next_free_vgpr 42
		.amdhsa_next_free_sgpr 12
		.amdhsa_named_barrier_count 0
		.amdhsa_reserve_vcc 1
		.amdhsa_float_round_mode_32 0
		.amdhsa_float_round_mode_16_64 0
		.amdhsa_float_denorm_mode_32 3
		.amdhsa_float_denorm_mode_16_64 3
		.amdhsa_fp16_overflow 0
		.amdhsa_memory_ordered 1
		.amdhsa_forward_progress 1
		.amdhsa_inst_pref_size 10
		.amdhsa_round_robin_scheduling 0
		.amdhsa_exception_fp_ieee_invalid_op 0
		.amdhsa_exception_fp_denorm_src 0
		.amdhsa_exception_fp_ieee_div_zero 0
		.amdhsa_exception_fp_ieee_overflow 0
		.amdhsa_exception_fp_ieee_underflow 0
		.amdhsa_exception_fp_ieee_inexact 0
		.amdhsa_exception_int_div_zero 0
	.end_amdhsa_kernel
	.section	.text._ZL13mul_mat_vec_qIN3c108BFloat16ELi32ELi4E10block_q4_1Li2EXadL_ZL17vec_dot_q4_1_q8_1PKvPK10block_q8_1RKiEEEvS4_S4_PT_iii,"axG",@progbits,_ZL13mul_mat_vec_qIN3c108BFloat16ELi32ELi4E10block_q4_1Li2EXadL_ZL17vec_dot_q4_1_q8_1PKvPK10block_q8_1RKiEEEvS4_S4_PT_iii,comdat
.Lfunc_end99:
	.size	_ZL13mul_mat_vec_qIN3c108BFloat16ELi32ELi4E10block_q4_1Li2EXadL_ZL17vec_dot_q4_1_q8_1PKvPK10block_q8_1RKiEEEvS4_S4_PT_iii, .Lfunc_end99-_ZL13mul_mat_vec_qIN3c108BFloat16ELi32ELi4E10block_q4_1Li2EXadL_ZL17vec_dot_q4_1_q8_1PKvPK10block_q8_1RKiEEEvS4_S4_PT_iii
                                        ; -- End function
	.set _ZL13mul_mat_vec_qIN3c108BFloat16ELi32ELi4E10block_q4_1Li2EXadL_ZL17vec_dot_q4_1_q8_1PKvPK10block_q8_1RKiEEEvS4_S4_PT_iii.num_vgpr, 42
	.set _ZL13mul_mat_vec_qIN3c108BFloat16ELi32ELi4E10block_q4_1Li2EXadL_ZL17vec_dot_q4_1_q8_1PKvPK10block_q8_1RKiEEEvS4_S4_PT_iii.num_agpr, 0
	.set _ZL13mul_mat_vec_qIN3c108BFloat16ELi32ELi4E10block_q4_1Li2EXadL_ZL17vec_dot_q4_1_q8_1PKvPK10block_q8_1RKiEEEvS4_S4_PT_iii.numbered_sgpr, 12
	.set _ZL13mul_mat_vec_qIN3c108BFloat16ELi32ELi4E10block_q4_1Li2EXadL_ZL17vec_dot_q4_1_q8_1PKvPK10block_q8_1RKiEEEvS4_S4_PT_iii.num_named_barrier, 0
	.set _ZL13mul_mat_vec_qIN3c108BFloat16ELi32ELi4E10block_q4_1Li2EXadL_ZL17vec_dot_q4_1_q8_1PKvPK10block_q8_1RKiEEEvS4_S4_PT_iii.private_seg_size, 0
	.set _ZL13mul_mat_vec_qIN3c108BFloat16ELi32ELi4E10block_q4_1Li2EXadL_ZL17vec_dot_q4_1_q8_1PKvPK10block_q8_1RKiEEEvS4_S4_PT_iii.uses_vcc, 1
	.set _ZL13mul_mat_vec_qIN3c108BFloat16ELi32ELi4E10block_q4_1Li2EXadL_ZL17vec_dot_q4_1_q8_1PKvPK10block_q8_1RKiEEEvS4_S4_PT_iii.uses_flat_scratch, 0
	.set _ZL13mul_mat_vec_qIN3c108BFloat16ELi32ELi4E10block_q4_1Li2EXadL_ZL17vec_dot_q4_1_q8_1PKvPK10block_q8_1RKiEEEvS4_S4_PT_iii.has_dyn_sized_stack, 0
	.set _ZL13mul_mat_vec_qIN3c108BFloat16ELi32ELi4E10block_q4_1Li2EXadL_ZL17vec_dot_q4_1_q8_1PKvPK10block_q8_1RKiEEEvS4_S4_PT_iii.has_recursion, 0
	.set _ZL13mul_mat_vec_qIN3c108BFloat16ELi32ELi4E10block_q4_1Li2EXadL_ZL17vec_dot_q4_1_q8_1PKvPK10block_q8_1RKiEEEvS4_S4_PT_iii.has_indirect_call, 0
	.section	.AMDGPU.csdata,"",@progbits
; Kernel info:
; codeLenInByte = 1228
; TotalNumSgprs: 14
; NumVgprs: 42
; ScratchSize: 0
; MemoryBound: 0
; FloatMode: 240
; IeeeMode: 1
; LDSByteSize: 0 bytes/workgroup (compile time only)
; SGPRBlocks: 0
; VGPRBlocks: 2
; NumSGPRsForWavesPerEU: 14
; NumVGPRsForWavesPerEU: 42
; NamedBarCnt: 0
; Occupancy: 16
; WaveLimiterHint : 0
; COMPUTE_PGM_RSRC2:SCRATCH_EN: 0
; COMPUTE_PGM_RSRC2:USER_SGPR: 2
; COMPUTE_PGM_RSRC2:TRAP_HANDLER: 0
; COMPUTE_PGM_RSRC2:TGID_X_EN: 1
; COMPUTE_PGM_RSRC2:TGID_Y_EN: 1
; COMPUTE_PGM_RSRC2:TGID_Z_EN: 0
; COMPUTE_PGM_RSRC2:TIDIG_COMP_CNT: 1
	.section	.text._ZL13mul_mat_vec_qIN3c108BFloat16ELi32ELi4E10block_q5_0Li2EXadL_ZL17vec_dot_q5_0_q8_1PKvPK10block_q8_1RKiEEEvS4_S4_PT_iii,"axG",@progbits,_ZL13mul_mat_vec_qIN3c108BFloat16ELi32ELi4E10block_q5_0Li2EXadL_ZL17vec_dot_q5_0_q8_1PKvPK10block_q8_1RKiEEEvS4_S4_PT_iii,comdat
	.globl	_ZL13mul_mat_vec_qIN3c108BFloat16ELi32ELi4E10block_q5_0Li2EXadL_ZL17vec_dot_q5_0_q8_1PKvPK10block_q8_1RKiEEEvS4_S4_PT_iii ; -- Begin function _ZL13mul_mat_vec_qIN3c108BFloat16ELi32ELi4E10block_q5_0Li2EXadL_ZL17vec_dot_q5_0_q8_1PKvPK10block_q8_1RKiEEEvS4_S4_PT_iii
	.p2align	8
	.type	_ZL13mul_mat_vec_qIN3c108BFloat16ELi32ELi4E10block_q5_0Li2EXadL_ZL17vec_dot_q5_0_q8_1PKvPK10block_q8_1RKiEEEvS4_S4_PT_iii,@function
_ZL13mul_mat_vec_qIN3c108BFloat16ELi32ELi4E10block_q5_0Li2EXadL_ZL17vec_dot_q5_0_q8_1PKvPK10block_q8_1RKiEEEvS4_S4_PT_iii: ; @_ZL13mul_mat_vec_qIN3c108BFloat16ELi32ELi4E10block_q5_0Li2EXadL_ZL17vec_dot_q5_0_q8_1PKvPK10block_q8_1RKiEEEvS4_S4_PT_iii
; %bb.0:
	s_clause 0x1
	s_load_u16 s2, s[0:1], 0x36
	s_load_b96 s[4:6], s[0:1], 0x18
	s_bfe_u32 s7, ttmp6, 0x4000c
	s_bfe_u32 s8, ttmp6, 0x40010
	s_add_co_i32 s7, s7, 1
	s_add_co_i32 s8, s8, 1
	s_and_b32 s3, ttmp6, 15
	s_mul_i32 s7, ttmp9, s7
	s_mul_i32 s8, ttmp7, s8
	s_bfe_u32 s9, ttmp6, 0x40004
	s_add_co_i32 s3, s3, s7
	s_getreg_b32 s7, hwreg(HW_REG_IB_STS2, 6, 4)
	s_add_co_i32 s9, s9, s8
	v_bfe_u32 v1, v0, 10, 10
	s_cmp_eq_u32 s7, 0
	s_cselect_b32 s3, ttmp9, s3
	s_cselect_b32 s8, ttmp7, s9
	s_wait_kmcnt 0x0
	v_mad_u32 v4, s3, s2, v1
	s_cmp_lt_u32 s8, s6
	s_cselect_b32 s2, -1, 0
	s_delay_alu instid0(VALU_DEP_1) | instskip(SKIP_1) | instid1(SALU_CYCLE_1)
	v_cmp_gt_u32_e32 vcc_lo, s5, v4
	s_and_b32 s2, s2, vcc_lo
	s_and_saveexec_b32 s3, s2
	s_cbranch_execz .LBB100_7
; %bb.1:
	s_load_b64 s[6:7], s[0:1], 0x10
	s_ashr_i32 s2, s4, 31
	v_bfe_u32 v6, v0, 1, 9
	s_lshr_b32 s2, s2, 27
	v_and_b32_e32 v5, 0x3ff, v0
	v_mov_b32_e32 v7, 0
	s_add_co_i32 s2, s4, s2
	s_mov_b32 s9, exec_lo
	s_ashr_i32 s10, s2, 5
	s_delay_alu instid0(SALU_CYCLE_1)
	v_cmpx_gt_u32_e64 s10, v6
	s_cbranch_execz .LBB100_5
; %bb.2:
	s_wait_xcnt 0x0
	s_load_b128 s[0:3], s[0:1], 0x0
	v_dual_mov_b32 v1, 0 :: v_dual_lshlrev_b32 v0, 3, v5
	s_addk_co_i32 s4, 0x1ff
	v_mul_lo_u32 v8, v4, s10
	s_ashr_i32 s11, s4, 31
	s_delay_alu instid0(VALU_DEP_2) | instskip(SKIP_3) | instid1(VALU_DEP_2)
	v_dual_mov_b32 v7, v1 :: v_dual_bitop2_b32 v0, 8, v0 bitop3:0x40
	s_lshr_b32 s11, s11, 23
	v_mov_b32_e32 v3, 0x41000000
	s_add_co_i32 s4, s4, s11
	v_or_b32_e32 v9, 4, v0
	s_ashr_i32 s4, s4, 9
	s_delay_alu instid0(SALU_CYCLE_1) | instskip(NEXT) | instid1(SALU_CYCLE_1)
	s_mul_i32 s4, s8, s4
	s_lshl_b32 s11, s4, 4
	s_mov_b32 s4, 0
.LBB100_3:                              ; =>This Inner Loop Header: Depth=1
	v_dual_add_nc_u32 v2, v8, v6 :: v_dual_add_nc_u32 v12, s11, v6
	v_add_nc_u32_e32 v6, 16, v6
	s_wait_kmcnt 0x0
	s_delay_alu instid0(VALU_DEP_2) | instskip(NEXT) | instid1(VALU_DEP_3)
	v_mad_nc_i64_i32 v[10:11], v2, 22, s[0:1]
	v_mad_nc_i64_i32 v[12:13], v12, 36, s[2:3]
	s_delay_alu instid0(VALU_DEP_3)
	v_cmp_le_u32_e32 vcc_lo, s10, v6
	s_or_b32 s4, vcc_lo, s4
	global_load_b32 v2, v[10:11], off offset:2
	v_add_nc_u64_e32 v[14:15], v[10:11], v[0:1]
	v_add_nc_u64_e32 v[16:17], v[12:13], v[0:1]
	global_load_b64 v[18:19], v[14:15], off offset:6
	s_clause 0x2
	global_load_b64 v[20:21], v[16:17], off offset:4
	global_load_b64 v[22:23], v[16:17], off offset:20
	global_load_b32 v24, v[12:13], off
	global_load_u16 v25, v[10:11], off
	s_wait_loadcnt 0x5
	s_wait_xcnt 0x0
	v_dual_ashrrev_i32 v10, v0, v2 :: v_dual_ashrrev_i32 v2, v9, v2
	s_wait_loadcnt 0x4
	v_and_b32_e32 v35, 0xf0f0f0f, v18
	s_delay_alu instid0(VALU_DEP_2)
	v_dual_lshlrev_b32 v11, 4, v10 :: v_dual_lshlrev_b32 v12, 11, v10
	v_dual_lshlrev_b32 v13, 18, v10 :: v_dual_lshlrev_b32 v14, 25, v10
	v_dual_lshrrev_b32 v15, 12, v10 :: v_dual_lshrrev_b32 v16, 5, v10
	v_dual_lshlrev_b32 v26, 4, v2 :: v_dual_lshlrev_b32 v27, 11, v2
	v_dual_lshlrev_b32 v17, 2, v10 :: v_dual_lshlrev_b32 v10, 9, v10
	;; [unrolled: 1-line block ×3, first 2 shown]
	v_dual_lshrrev_b32 v30, 12, v2 :: v_dual_lshrrev_b32 v31, 5, v2
	v_and_b32_e32 v40, 0xf0f0f0f, v19
	v_dual_lshrrev_b32 v19, 4, v19 :: v_dual_bitop2_b32 v26, 16, v26 bitop3:0x40
	v_and_b32_e32 v12, 0x1000, v12
	v_and_b32_e32 v15, 16, v15
	v_and_or_b32 v14, 0x10000000, v14, v35
	v_dual_lshlrev_b32 v32, 2, v2 :: v_dual_bitop2_b32 v11, 16, v11 bitop3:0x40
	v_lshlrev_b32_e32 v2, 9, v2
	s_wait_loadcnt 0x3
	v_lshrrev_b16 v33, 8, v20
	v_bfe_i32 v36, v20, 0, 8
	v_bfe_i32 v37, v20, 16, 8
	v_dual_ashrrev_i32 v20, 24, v20 :: v_dual_lshrrev_b32 v18, 4, v18
	s_wait_loadcnt 0x2
	v_dual_ashrrev_i32 v44, 24, v23 :: v_dual_bitop2_b32 v30, 16, v30 bitop3:0x40
	v_and_b32_e32 v17, 0x100000, v17
	v_and_b32_e32 v10, 0x10000000, v10
	v_and_b32_e32 v28, 0x100000, v28
	v_and_b32_e32 v29, 0x10000000, v29
	v_lshrrev_b32_e32 v14, 24, v14
	v_or3_b32 v11, v11, v35, v12
	v_and_or_b32 v12, 0x1000, v16, v15
	v_and_or_b32 v15, 0x1000, v27, v26
	v_and_b32_e32 v32, 0x100000, v32
	v_and_b32_e32 v2, 0x10000000, v2
	;; [unrolled: 1-line block ×3, first 2 shown]
	v_and_or_b32 v16, 0x1000, v31, v30
	v_or3_b32 v10, v12, v17, v10
	v_or3_b32 v12, v15, v28, v29
	v_lshrrev_b16 v34, 8, v22
	v_dual_ashrrev_i32 v38, 24, v22 :: v_dual_ashrrev_i32 v41, 24, v21
	v_bfe_i32 v39, v22, 16, 8
	v_bfe_i32 v22, v22, 0, 8
	v_and_b32_e32 v13, 0x100000, v13
	v_and_b32_e32 v19, 0xf0f0f0f, v19
	v_or3_b32 v2, v16, v32, v2
	v_or_b32_e32 v17, v12, v40
	v_or_b32_e32 v16, v10, v18
	v_bitop3_b32 v10, v10, 31, v18 bitop3:0xc8
	v_bfe_i32 v42, v21, 16, 8
	v_bfe_i32 v43, v21, 8, 8
	;; [unrolled: 1-line block ×6, first 2 shown]
	v_lshrrev_b16 v27, 8, v11
	v_bitop3_b32 v12, v12, 31, v40 bitop3:0xc8
	v_or_b32_e32 v18, v2, v19
	v_or_b32_e32 v26, v11, v13
	v_bitop3_b32 v11, v11, 31, v13 bitop3:0xc8
	v_bitop3_b32 v2, v2, 31, v19 bitop3:0xc8
	v_mul_i32_i24_e32 v10, v10, v22
	v_mul_i32_i24_e32 v12, v21, v12
	v_and_b32_e32 v15, 0xffff, v27
	v_lshrrev_b32_e32 v22, 24, v17
	v_mul_i32_i24_e32 v2, v23, v2
	v_mad_i32_i24 v10, v11, v36, v10
	v_lshrrev_b32_e32 v19, 24, v16
	v_lshrrev_b16 v27, 8, v17
	v_bfe_i32 v33, v33, 0, 8
	v_bfe_i32 v34, v34, 0, 8
	v_add3_u32 v2, v10, v2, v12
	s_wait_loadcnt 0x1
	v_dual_lshrrev_b32 v12, 16, v24 :: v_dual_lshrrev_b32 v21, 24, v18
	v_bfe_u32 v13, v26, 16, 5
	v_lshrrev_b16 v26, 8, v16
	v_lshrrev_b16 v28, 8, v18
	v_bfe_u32 v16, v16, 16, 5
	v_mul_i32_i24_e32 v19, v19, v38
	v_mul_i32_i24_e32 v15, v15, v33
	v_and_b32_e32 v23, 0xffff, v26
	v_and_b32_e32 v26, 0xffff, v27
	;; [unrolled: 1-line block ×3, first 2 shown]
	v_bfe_u32 v17, v17, 16, 5
	v_bfe_u32 v18, v18, 16, 5
	v_mul_i32_i24_e32 v16, v16, v39
	v_mul_i32_i24_e32 v22, v41, v22
	v_mul_i32_i24_e32 v21, v44, v21
	v_mul_i32_i24_e32 v23, v23, v34
	v_mul_i32_i24_e32 v27, v46, v27
	v_mad_i32_i24 v14, v14, v20, v19
	v_mul_i32_i24_e32 v17, v42, v17
	v_mul_i32_i24_e32 v18, v45, v18
	;; [unrolled: 1-line block ×3, first 2 shown]
	v_mad_i32_i24 v13, v13, v37, v16
	v_add3_u32 v15, v15, v23, v27
	v_add3_u32 v14, v14, v21, v22
	s_delay_alu instid0(VALU_DEP_3) | instskip(NEXT) | instid1(VALU_DEP_2)
	v_add3_u32 v10, v13, v18, v17
	v_add3_u32 v11, v15, v11, v14
	s_delay_alu instid0(VALU_DEP_1) | instskip(SKIP_2) | instid1(VALU_DEP_3)
	v_add3_u32 v2, v2, v10, v11
	v_cvt_f32_f16_e32 v10, v24
	v_cvt_f32_f16_e32 v11, v12
	v_cvt_f32_i32_e32 v2, v2
	s_delay_alu instid0(VALU_DEP_1) | instskip(NEXT) | instid1(VALU_DEP_1)
	v_pk_mul_f32 v[10:11], v[2:3], v[10:11]
	v_sub_f32_e32 v2, v10, v11
	s_wait_loadcnt 0x0
	s_delay_alu instid0(VALU_DEP_1)
	v_fma_mix_f32 v7, v2, v25, v7 op_sel_hi:[0,1,0]
	s_and_not1_b32 exec_lo, exec_lo, s4
	s_cbranch_execnz .LBB100_3
; %bb.4:
	s_or_b32 exec_lo, exec_lo, s4
.LBB100_5:
	s_delay_alu instid0(SALU_CYCLE_1) | instskip(SKIP_1) | instid1(VALU_DEP_1)
	s_or_b32 exec_lo, exec_lo, s9
	v_mbcnt_lo_u32_b32 v0, -1, 0
	v_xor_b32_e32 v2, 8, v0
	v_xor_b32_e32 v1, 16, v0
	;; [unrolled: 1-line block ×3, first 2 shown]
	s_delay_alu instid0(VALU_DEP_2) | instskip(SKIP_4) | instid1(VALU_DEP_2)
	v_cmp_gt_i32_e32 vcc_lo, 32, v1
	v_cndmask_b32_e32 v1, v0, v1, vcc_lo
	v_cmp_gt_i32_e32 vcc_lo, 32, v2
	v_cndmask_b32_e32 v2, v0, v2, vcc_lo
	v_cmp_gt_i32_e32 vcc_lo, 32, v3
	v_dual_lshlrev_b32 v2, 2, v2 :: v_dual_lshlrev_b32 v1, 2, v1
	ds_bpermute_b32 v1, v1, v7
	s_wait_dscnt 0x0
	v_add_f32_e32 v1, v7, v1
	ds_bpermute_b32 v2, v2, v1
	s_wait_dscnt 0x0
	v_dual_cndmask_b32 v3, v0, v3, vcc_lo :: v_dual_add_f32 v1, v1, v2
	s_delay_alu instid0(VALU_DEP_1) | instskip(SKIP_3) | instid1(VALU_DEP_1)
	v_lshlrev_b32_e32 v3, 2, v3
	ds_bpermute_b32 v2, v3, v1
	s_wait_dscnt 0x0
	v_dual_add_f32 v1, v1, v2 :: v_dual_bitop2_b32 v3, 2, v0 bitop3:0x14
	v_cmp_gt_i32_e32 vcc_lo, 32, v3
	v_cndmask_b32_e32 v3, v0, v3, vcc_lo
	s_delay_alu instid0(VALU_DEP_1) | instskip(SKIP_2) | instid1(VALU_DEP_1)
	v_lshlrev_b32_e32 v3, 2, v3
	ds_bpermute_b32 v2, v3, v1
	v_xor_b32_e32 v3, 1, v0
	v_cmp_gt_i32_e32 vcc_lo, 32, v3
	v_cndmask_b32_e32 v3, v0, v3, vcc_lo
	v_cmp_eq_u32_e32 vcc_lo, 0, v5
	s_wait_dscnt 0x0
	s_delay_alu instid0(VALU_DEP_2)
	v_dual_add_f32 v0, v1, v2 :: v_dual_lshlrev_b32 v1, 2, v3
	ds_bpermute_b32 v1, v1, v0
	s_and_b32 exec_lo, exec_lo, vcc_lo
	s_cbranch_execz .LBB100_7
; %bb.6:
	s_wait_dscnt 0x0
	v_add_f32_e32 v0, v0, v1
	v_mad_u32 v2, s5, s8, v4
	s_delay_alu instid0(VALU_DEP_2) | instskip(NEXT) | instid1(VALU_DEP_1)
	v_bfe_u32 v1, v0, 16, 1
	v_add3_u32 v1, v0, v1, 0x7fff
	s_delay_alu instid0(VALU_DEP_1) | instskip(SKIP_1) | instid1(VALU_DEP_2)
	v_lshrrev_b32_e32 v1, 16, v1
	v_cmp_o_f32_e32 vcc_lo, v0, v0
	v_cndmask_b32_e32 v0, 0x7fc0, v1, vcc_lo
	s_wait_kmcnt 0x0
	global_store_b16 v2, v0, s[6:7] scale_offset
.LBB100_7:
	s_endpgm
	.section	.rodata,"a",@progbits
	.p2align	6, 0x0
	.amdhsa_kernel _ZL13mul_mat_vec_qIN3c108BFloat16ELi32ELi4E10block_q5_0Li2EXadL_ZL17vec_dot_q5_0_q8_1PKvPK10block_q8_1RKiEEEvS4_S4_PT_iii
		.amdhsa_group_segment_fixed_size 0
		.amdhsa_private_segment_fixed_size 0
		.amdhsa_kernarg_size 296
		.amdhsa_user_sgpr_count 2
		.amdhsa_user_sgpr_dispatch_ptr 0
		.amdhsa_user_sgpr_queue_ptr 0
		.amdhsa_user_sgpr_kernarg_segment_ptr 1
		.amdhsa_user_sgpr_dispatch_id 0
		.amdhsa_user_sgpr_kernarg_preload_length 0
		.amdhsa_user_sgpr_kernarg_preload_offset 0
		.amdhsa_user_sgpr_private_segment_size 0
		.amdhsa_wavefront_size32 1
		.amdhsa_uses_dynamic_stack 0
		.amdhsa_enable_private_segment 0
		.amdhsa_system_sgpr_workgroup_id_x 1
		.amdhsa_system_sgpr_workgroup_id_y 1
		.amdhsa_system_sgpr_workgroup_id_z 0
		.amdhsa_system_sgpr_workgroup_info 0
		.amdhsa_system_vgpr_workitem_id 1
		.amdhsa_next_free_vgpr 47
		.amdhsa_next_free_sgpr 12
		.amdhsa_named_barrier_count 0
		.amdhsa_reserve_vcc 1
		.amdhsa_float_round_mode_32 0
		.amdhsa_float_round_mode_16_64 0
		.amdhsa_float_denorm_mode_32 3
		.amdhsa_float_denorm_mode_16_64 3
		.amdhsa_fp16_overflow 0
		.amdhsa_memory_ordered 1
		.amdhsa_forward_progress 1
		.amdhsa_inst_pref_size 13
		.amdhsa_round_robin_scheduling 0
		.amdhsa_exception_fp_ieee_invalid_op 0
		.amdhsa_exception_fp_denorm_src 0
		.amdhsa_exception_fp_ieee_div_zero 0
		.amdhsa_exception_fp_ieee_overflow 0
		.amdhsa_exception_fp_ieee_underflow 0
		.amdhsa_exception_fp_ieee_inexact 0
		.amdhsa_exception_int_div_zero 0
	.end_amdhsa_kernel
	.section	.text._ZL13mul_mat_vec_qIN3c108BFloat16ELi32ELi4E10block_q5_0Li2EXadL_ZL17vec_dot_q5_0_q8_1PKvPK10block_q8_1RKiEEEvS4_S4_PT_iii,"axG",@progbits,_ZL13mul_mat_vec_qIN3c108BFloat16ELi32ELi4E10block_q5_0Li2EXadL_ZL17vec_dot_q5_0_q8_1PKvPK10block_q8_1RKiEEEvS4_S4_PT_iii,comdat
.Lfunc_end100:
	.size	_ZL13mul_mat_vec_qIN3c108BFloat16ELi32ELi4E10block_q5_0Li2EXadL_ZL17vec_dot_q5_0_q8_1PKvPK10block_q8_1RKiEEEvS4_S4_PT_iii, .Lfunc_end100-_ZL13mul_mat_vec_qIN3c108BFloat16ELi32ELi4E10block_q5_0Li2EXadL_ZL17vec_dot_q5_0_q8_1PKvPK10block_q8_1RKiEEEvS4_S4_PT_iii
                                        ; -- End function
	.set _ZL13mul_mat_vec_qIN3c108BFloat16ELi32ELi4E10block_q5_0Li2EXadL_ZL17vec_dot_q5_0_q8_1PKvPK10block_q8_1RKiEEEvS4_S4_PT_iii.num_vgpr, 47
	.set _ZL13mul_mat_vec_qIN3c108BFloat16ELi32ELi4E10block_q5_0Li2EXadL_ZL17vec_dot_q5_0_q8_1PKvPK10block_q8_1RKiEEEvS4_S4_PT_iii.num_agpr, 0
	.set _ZL13mul_mat_vec_qIN3c108BFloat16ELi32ELi4E10block_q5_0Li2EXadL_ZL17vec_dot_q5_0_q8_1PKvPK10block_q8_1RKiEEEvS4_S4_PT_iii.numbered_sgpr, 12
	.set _ZL13mul_mat_vec_qIN3c108BFloat16ELi32ELi4E10block_q5_0Li2EXadL_ZL17vec_dot_q5_0_q8_1PKvPK10block_q8_1RKiEEEvS4_S4_PT_iii.num_named_barrier, 0
	.set _ZL13mul_mat_vec_qIN3c108BFloat16ELi32ELi4E10block_q5_0Li2EXadL_ZL17vec_dot_q5_0_q8_1PKvPK10block_q8_1RKiEEEvS4_S4_PT_iii.private_seg_size, 0
	.set _ZL13mul_mat_vec_qIN3c108BFloat16ELi32ELi4E10block_q5_0Li2EXadL_ZL17vec_dot_q5_0_q8_1PKvPK10block_q8_1RKiEEEvS4_S4_PT_iii.uses_vcc, 1
	.set _ZL13mul_mat_vec_qIN3c108BFloat16ELi32ELi4E10block_q5_0Li2EXadL_ZL17vec_dot_q5_0_q8_1PKvPK10block_q8_1RKiEEEvS4_S4_PT_iii.uses_flat_scratch, 0
	.set _ZL13mul_mat_vec_qIN3c108BFloat16ELi32ELi4E10block_q5_0Li2EXadL_ZL17vec_dot_q5_0_q8_1PKvPK10block_q8_1RKiEEEvS4_S4_PT_iii.has_dyn_sized_stack, 0
	.set _ZL13mul_mat_vec_qIN3c108BFloat16ELi32ELi4E10block_q5_0Li2EXadL_ZL17vec_dot_q5_0_q8_1PKvPK10block_q8_1RKiEEEvS4_S4_PT_iii.has_recursion, 0
	.set _ZL13mul_mat_vec_qIN3c108BFloat16ELi32ELi4E10block_q5_0Li2EXadL_ZL17vec_dot_q5_0_q8_1PKvPK10block_q8_1RKiEEEvS4_S4_PT_iii.has_indirect_call, 0
	.section	.AMDGPU.csdata,"",@progbits
; Kernel info:
; codeLenInByte = 1552
; TotalNumSgprs: 14
; NumVgprs: 47
; ScratchSize: 0
; MemoryBound: 0
; FloatMode: 240
; IeeeMode: 1
; LDSByteSize: 0 bytes/workgroup (compile time only)
; SGPRBlocks: 0
; VGPRBlocks: 2
; NumSGPRsForWavesPerEU: 14
; NumVGPRsForWavesPerEU: 47
; NamedBarCnt: 0
; Occupancy: 16
; WaveLimiterHint : 0
; COMPUTE_PGM_RSRC2:SCRATCH_EN: 0
; COMPUTE_PGM_RSRC2:USER_SGPR: 2
; COMPUTE_PGM_RSRC2:TRAP_HANDLER: 0
; COMPUTE_PGM_RSRC2:TGID_X_EN: 1
; COMPUTE_PGM_RSRC2:TGID_Y_EN: 1
; COMPUTE_PGM_RSRC2:TGID_Z_EN: 0
; COMPUTE_PGM_RSRC2:TIDIG_COMP_CNT: 1
	.section	.text._ZL13mul_mat_vec_qIN3c108BFloat16ELi32ELi4E10block_q5_1Li2EXadL_ZL17vec_dot_q5_1_q8_1PKvPK10block_q8_1RKiEEEvS4_S4_PT_iii,"axG",@progbits,_ZL13mul_mat_vec_qIN3c108BFloat16ELi32ELi4E10block_q5_1Li2EXadL_ZL17vec_dot_q5_1_q8_1PKvPK10block_q8_1RKiEEEvS4_S4_PT_iii,comdat
	.globl	_ZL13mul_mat_vec_qIN3c108BFloat16ELi32ELi4E10block_q5_1Li2EXadL_ZL17vec_dot_q5_1_q8_1PKvPK10block_q8_1RKiEEEvS4_S4_PT_iii ; -- Begin function _ZL13mul_mat_vec_qIN3c108BFloat16ELi32ELi4E10block_q5_1Li2EXadL_ZL17vec_dot_q5_1_q8_1PKvPK10block_q8_1RKiEEEvS4_S4_PT_iii
	.p2align	8
	.type	_ZL13mul_mat_vec_qIN3c108BFloat16ELi32ELi4E10block_q5_1Li2EXadL_ZL17vec_dot_q5_1_q8_1PKvPK10block_q8_1RKiEEEvS4_S4_PT_iii,@function
_ZL13mul_mat_vec_qIN3c108BFloat16ELi32ELi4E10block_q5_1Li2EXadL_ZL17vec_dot_q5_1_q8_1PKvPK10block_q8_1RKiEEEvS4_S4_PT_iii: ; @_ZL13mul_mat_vec_qIN3c108BFloat16ELi32ELi4E10block_q5_1Li2EXadL_ZL17vec_dot_q5_1_q8_1PKvPK10block_q8_1RKiEEEvS4_S4_PT_iii
; %bb.0:
	s_clause 0x1
	s_load_u16 s2, s[0:1], 0x36
	s_load_b96 s[4:6], s[0:1], 0x18
	s_bfe_u32 s7, ttmp6, 0x4000c
	s_bfe_u32 s8, ttmp6, 0x40010
	s_add_co_i32 s7, s7, 1
	s_add_co_i32 s8, s8, 1
	s_and_b32 s3, ttmp6, 15
	s_mul_i32 s7, ttmp9, s7
	s_mul_i32 s8, ttmp7, s8
	s_bfe_u32 s9, ttmp6, 0x40004
	s_add_co_i32 s3, s3, s7
	s_getreg_b32 s7, hwreg(HW_REG_IB_STS2, 6, 4)
	s_add_co_i32 s9, s9, s8
	v_bfe_u32 v1, v0, 10, 10
	s_cmp_eq_u32 s7, 0
	s_cselect_b32 s3, ttmp9, s3
	s_cselect_b32 s8, ttmp7, s9
	s_wait_kmcnt 0x0
	v_mad_u32 v6, s3, s2, v1
	s_cmp_lt_u32 s8, s6
	s_cselect_b32 s2, -1, 0
	s_delay_alu instid0(VALU_DEP_1) | instskip(SKIP_1) | instid1(SALU_CYCLE_1)
	v_cmp_gt_u32_e32 vcc_lo, s5, v6
	s_and_b32 s2, s2, vcc_lo
	s_and_saveexec_b32 s3, s2
	s_cbranch_execz .LBB101_7
; %bb.1:
	s_load_b64 s[6:7], s[0:1], 0x10
	s_ashr_i32 s2, s4, 31
	v_bfe_u32 v8, v0, 1, 9
	s_lshr_b32 s2, s2, 27
	v_and_b32_e32 v7, 0x3ff, v0
	v_mov_b32_e32 v9, 0
	s_add_co_i32 s2, s4, s2
	s_mov_b32 s9, exec_lo
	s_ashr_i32 s10, s2, 5
	s_delay_alu instid0(SALU_CYCLE_1)
	v_cmpx_gt_u32_e64 s10, v8
	s_cbranch_execz .LBB101_5
; %bb.2:
	s_wait_xcnt 0x0
	s_load_b128 s[0:3], s[0:1], 0x0
	v_dual_mov_b32 v1, 0 :: v_dual_lshlrev_b32 v0, 3, v7
	s_addk_co_i32 s4, 0x1ff
	v_mul_lo_u32 v10, v6, s10
	s_ashr_i32 s11, s4, 31
	s_delay_alu instid0(VALU_DEP_2) | instskip(SKIP_3) | instid1(VALU_DEP_2)
	v_dual_mov_b32 v3, 0.5 :: v_dual_bitop2_b32 v0, 8, v0 bitop3:0x40
	s_lshr_b32 s11, s11, 23
	v_mov_b32_e32 v9, v1
	s_add_co_i32 s4, s4, s11
	v_or_b32_e32 v11, 4, v0
	s_ashr_i32 s4, s4, 9
	s_delay_alu instid0(SALU_CYCLE_1) | instskip(NEXT) | instid1(SALU_CYCLE_1)
	s_mul_i32 s4, s8, s4
	s_lshl_b32 s11, s4, 4
	s_mov_b32 s4, 0
.LBB101_3:                              ; =>This Inner Loop Header: Depth=1
	v_dual_add_nc_u32 v2, v10, v8 :: v_dual_add_nc_u32 v4, s11, v8
	v_add_nc_u32_e32 v8, 16, v8
	s_wait_kmcnt 0x0
	s_delay_alu instid0(VALU_DEP_2) | instskip(NEXT) | instid1(VALU_DEP_3)
	v_mad_nc_i64_i32 v[12:13], v2, 24, s[0:1]
	v_mad_nc_i64_i32 v[14:15], v4, 36, s[2:3]
	s_delay_alu instid0(VALU_DEP_3)
	v_cmp_le_u32_e32 vcc_lo, s10, v8
	s_or_b32 s4, vcc_lo, s4
	global_load_b64 v[4:5], v[12:13], off
	s_wait_xcnt 0x0
	v_add_nc_u64_e32 v[12:13], v[12:13], v[0:1]
	v_add_nc_u64_e32 v[16:17], v[14:15], v[0:1]
	global_load_b64 v[18:19], v[12:13], off offset:8
	s_clause 0x2
	global_load_b64 v[20:21], v[16:17], off offset:4
	global_load_b64 v[22:23], v[16:17], off offset:20
	global_load_b32 v2, v[14:15], off
	s_wait_loadcnt 0x4
	s_wait_xcnt 0x3
	v_dual_ashrrev_i32 v12, v0, v5 :: v_dual_ashrrev_i32 v5, v11, v5
	s_wait_xcnt 0x0
	s_delay_alu instid0(VALU_DEP_1)
	v_dual_lshlrev_b32 v13, 4, v12 :: v_dual_lshlrev_b32 v14, 11, v12
	v_dual_lshlrev_b32 v15, 18, v12 :: v_dual_lshlrev_b32 v16, 25, v12
	v_dual_lshrrev_b32 v17, 12, v12 :: v_dual_lshrrev_b32 v24, 5, v12
	v_dual_lshlrev_b32 v26, 4, v5 :: v_dual_lshlrev_b32 v27, 11, v5
	v_dual_lshrrev_b32 v30, 12, v5 :: v_dual_lshrrev_b32 v31, 5, v5
	s_wait_loadcnt 0x3
	v_and_b32_e32 v35, 0xf0f0f0f, v18
	v_dual_lshlrev_b32 v25, 2, v12 :: v_dual_lshlrev_b32 v12, 9, v12
	v_dual_lshlrev_b32 v28, 18, v5 :: v_dual_lshlrev_b32 v29, 25, v5
	;; [unrolled: 1-line block ×3, first 2 shown]
	v_and_b32_e32 v40, 0xf0f0f0f, v19
	v_dual_lshrrev_b32 v19, 4, v19 :: v_dual_bitop2_b32 v13, 16, v13 bitop3:0x40
	s_wait_loadcnt 0x1
	v_dual_ashrrev_i32 v44, 24, v23 :: v_dual_bitop2_b32 v17, 16, v17 bitop3:0x40
	v_and_b32_e32 v14, 0x1000, v14
	v_and_b32_e32 v30, 16, v30
	v_and_or_b32 v16, 0x10000000, v16, v35
	v_and_b32_e32 v26, 16, v26
	v_lshrrev_b16 v33, 8, v20
	v_bfe_i32 v36, v20, 0, 8
	v_bfe_i32 v37, v20, 16, 8
	v_dual_ashrrev_i32 v20, 24, v20 :: v_dual_lshrrev_b32 v18, 4, v18
	v_and_b32_e32 v25, 0x100000, v25
	v_and_b32_e32 v12, 0x10000000, v12
	;; [unrolled: 1-line block ×6, first 2 shown]
	v_or3_b32 v13, v13, v35, v14
	v_and_or_b32 v14, 0x1000, v24, v17
	v_and_or_b32 v24, 0x1000, v31, v30
	v_lshrrev_b32_e32 v16, 24, v16
	v_and_or_b32 v17, 0x1000, v27, v26
	v_and_b32_e32 v15, 0x100000, v15
	v_and_b32_e32 v18, 0xf0f0f0f, v18
	;; [unrolled: 1-line block ×3, first 2 shown]
	v_or3_b32 v12, v14, v25, v12
	v_or3_b32 v14, v17, v28, v29
	;; [unrolled: 1-line block ×3, first 2 shown]
	v_lshrrev_b16 v34, 8, v22
	v_dual_ashrrev_i32 v38, 24, v22 :: v_dual_ashrrev_i32 v41, 24, v21
	v_bfe_i32 v39, v22, 16, 8
	v_bfe_i32 v22, v22, 0, 8
	;; [unrolled: 1-line block ×5, first 2 shown]
	v_lshrrev_b16 v27, 8, v13
	v_or_b32_e32 v25, v5, v19
	v_or_b32_e32 v24, v12, v18
	v_bitop3_b32 v12, v12, 31, v18 bitop3:0xc8
	s_wait_loadcnt 0x0
	v_pk_mul_f16 v2, v4, v2
	v_or_b32_e32 v18, v14, v40
	v_or_b32_e32 v26, v13, v15
	v_bitop3_b32 v14, v14, 31, v40 bitop3:0xc8
	v_bfe_i32 v45, v23, 16, 8
	v_bfe_i32 v46, v23, 8, 8
	;; [unrolled: 1-line block ×3, first 2 shown]
	v_bitop3_b32 v13, v13, 31, v15 bitop3:0xc8
	v_and_b32_e32 v17, 0xffff, v27
	v_bitop3_b32 v5, v5, 31, v19 bitop3:0xc8
	v_mul_i32_i24_e32 v12, v12, v22
	v_lshrrev_b32_e32 v22, 24, v18
	v_bfe_u32 v15, v26, 16, 5
	v_lshrrev_b16 v27, 8, v18
	v_mul_i32_i24_e32 v14, v21, v14
	v_dual_lshrrev_b32 v21, 24, v25 :: v_dual_lshrrev_b32 v19, 24, v24
	v_lshrrev_b16 v26, 8, v24
	v_lshrrev_b16 v28, 8, v25
	v_bfe_i32 v33, v33, 0, 8
	v_bfe_i32 v34, v34, 0, 8
	v_mul_i32_i24_e32 v5, v23, v5
	v_and_b32_e32 v23, 0xffff, v26
	v_mul_i32_i24_e32 v19, v19, v38
	v_and_b32_e32 v26, 0xffff, v27
	v_and_b32_e32 v27, 0xffff, v28
	v_mul_i32_i24_e32 v17, v17, v33
	v_mul_i32_i24_e32 v22, v41, v22
	;; [unrolled: 1-line block ×5, first 2 shown]
	v_mad_i32_i24 v16, v16, v20, v19
	v_bfe_u32 v24, v24, 16, 5
	v_mad_i32_i24 v12, v13, v36, v12
	v_mul_i32_i24_e32 v13, v43, v26
	v_add3_u32 v17, v17, v23, v27
	v_add3_u32 v16, v16, v21, v22
	v_bfe_u32 v25, v25, 16, 5
	v_mul_i32_i24_e32 v24, v24, v39
	v_add3_u32 v4, v12, v5, v14
	s_delay_alu instid0(VALU_DEP_4) | instskip(SKIP_4) | instid1(VALU_DEP_3)
	v_add3_u32 v12, v17, v13, v16
	v_lshrrev_b32_e32 v13, 16, v2
	v_bfe_u32 v18, v18, 16, 5
	v_mul_i32_i24_e32 v25, v45, v25
	v_mad_i32_i24 v15, v15, v37, v24
	v_mul_i32_i24_e32 v18, v42, v18
	s_delay_alu instid0(VALU_DEP_1) | instskip(NEXT) | instid1(VALU_DEP_1)
	v_add3_u32 v5, v15, v25, v18
	v_add3_u32 v12, v4, v5, v12
	v_cvt_f32_f16_e32 v4, v2
	v_cvt_f32_f16_e32 v5, v13
	s_delay_alu instid0(VALU_DEP_3) | instskip(NEXT) | instid1(VALU_DEP_1)
	v_cvt_f32_i32_e32 v2, v12
	v_pk_mul_f32 v[4:5], v[2:3], v[4:5]
	s_delay_alu instid0(VALU_DEP_1) | instskip(NEXT) | instid1(VALU_DEP_1)
	v_add_f32_e32 v2, v5, v4
	v_add_f32_e32 v9, v9, v2
	s_and_not1_b32 exec_lo, exec_lo, s4
	s_cbranch_execnz .LBB101_3
; %bb.4:
	s_or_b32 exec_lo, exec_lo, s4
.LBB101_5:
	s_delay_alu instid0(SALU_CYCLE_1) | instskip(SKIP_1) | instid1(VALU_DEP_1)
	s_or_b32 exec_lo, exec_lo, s9
	v_mbcnt_lo_u32_b32 v0, -1, 0
	v_xor_b32_e32 v2, 8, v0
	v_xor_b32_e32 v1, 16, v0
	;; [unrolled: 1-line block ×3, first 2 shown]
	s_delay_alu instid0(VALU_DEP_2) | instskip(SKIP_4) | instid1(VALU_DEP_2)
	v_cmp_gt_i32_e32 vcc_lo, 32, v1
	v_cndmask_b32_e32 v1, v0, v1, vcc_lo
	v_cmp_gt_i32_e32 vcc_lo, 32, v2
	v_cndmask_b32_e32 v2, v0, v2, vcc_lo
	v_cmp_gt_i32_e32 vcc_lo, 32, v3
	v_dual_lshlrev_b32 v2, 2, v2 :: v_dual_lshlrev_b32 v1, 2, v1
	ds_bpermute_b32 v1, v1, v9
	s_wait_dscnt 0x0
	v_add_f32_e32 v1, v9, v1
	ds_bpermute_b32 v2, v2, v1
	s_wait_dscnt 0x0
	v_dual_cndmask_b32 v3, v0, v3, vcc_lo :: v_dual_add_f32 v1, v1, v2
	s_delay_alu instid0(VALU_DEP_1) | instskip(SKIP_3) | instid1(VALU_DEP_1)
	v_lshlrev_b32_e32 v3, 2, v3
	ds_bpermute_b32 v2, v3, v1
	s_wait_dscnt 0x0
	v_dual_add_f32 v1, v1, v2 :: v_dual_bitop2_b32 v3, 2, v0 bitop3:0x14
	v_cmp_gt_i32_e32 vcc_lo, 32, v3
	v_cndmask_b32_e32 v3, v0, v3, vcc_lo
	s_delay_alu instid0(VALU_DEP_1) | instskip(SKIP_2) | instid1(VALU_DEP_1)
	v_lshlrev_b32_e32 v3, 2, v3
	ds_bpermute_b32 v2, v3, v1
	v_xor_b32_e32 v3, 1, v0
	v_cmp_gt_i32_e32 vcc_lo, 32, v3
	v_cndmask_b32_e32 v3, v0, v3, vcc_lo
	v_cmp_eq_u32_e32 vcc_lo, 0, v7
	s_wait_dscnt 0x0
	s_delay_alu instid0(VALU_DEP_2)
	v_dual_add_f32 v0, v1, v2 :: v_dual_lshlrev_b32 v1, 2, v3
	ds_bpermute_b32 v1, v1, v0
	s_and_b32 exec_lo, exec_lo, vcc_lo
	s_cbranch_execz .LBB101_7
; %bb.6:
	s_wait_dscnt 0x0
	v_add_f32_e32 v0, v0, v1
	v_mad_u32 v2, s5, s8, v6
	s_delay_alu instid0(VALU_DEP_2) | instskip(NEXT) | instid1(VALU_DEP_1)
	v_bfe_u32 v1, v0, 16, 1
	v_add3_u32 v1, v0, v1, 0x7fff
	s_delay_alu instid0(VALU_DEP_1) | instskip(SKIP_1) | instid1(VALU_DEP_2)
	v_lshrrev_b32_e32 v1, 16, v1
	v_cmp_o_f32_e32 vcc_lo, v0, v0
	v_cndmask_b32_e32 v0, 0x7fc0, v1, vcc_lo
	s_wait_kmcnt 0x0
	global_store_b16 v2, v0, s[6:7] scale_offset
.LBB101_7:
	s_endpgm
	.section	.rodata,"a",@progbits
	.p2align	6, 0x0
	.amdhsa_kernel _ZL13mul_mat_vec_qIN3c108BFloat16ELi32ELi4E10block_q5_1Li2EXadL_ZL17vec_dot_q5_1_q8_1PKvPK10block_q8_1RKiEEEvS4_S4_PT_iii
		.amdhsa_group_segment_fixed_size 0
		.amdhsa_private_segment_fixed_size 0
		.amdhsa_kernarg_size 296
		.amdhsa_user_sgpr_count 2
		.amdhsa_user_sgpr_dispatch_ptr 0
		.amdhsa_user_sgpr_queue_ptr 0
		.amdhsa_user_sgpr_kernarg_segment_ptr 1
		.amdhsa_user_sgpr_dispatch_id 0
		.amdhsa_user_sgpr_kernarg_preload_length 0
		.amdhsa_user_sgpr_kernarg_preload_offset 0
		.amdhsa_user_sgpr_private_segment_size 0
		.amdhsa_wavefront_size32 1
		.amdhsa_uses_dynamic_stack 0
		.amdhsa_enable_private_segment 0
		.amdhsa_system_sgpr_workgroup_id_x 1
		.amdhsa_system_sgpr_workgroup_id_y 1
		.amdhsa_system_sgpr_workgroup_id_z 0
		.amdhsa_system_sgpr_workgroup_info 0
		.amdhsa_system_vgpr_workitem_id 1
		.amdhsa_next_free_vgpr 47
		.amdhsa_next_free_sgpr 12
		.amdhsa_named_barrier_count 0
		.amdhsa_reserve_vcc 1
		.amdhsa_float_round_mode_32 0
		.amdhsa_float_round_mode_16_64 0
		.amdhsa_float_denorm_mode_32 3
		.amdhsa_float_denorm_mode_16_64 3
		.amdhsa_fp16_overflow 0
		.amdhsa_memory_ordered 1
		.amdhsa_forward_progress 1
		.amdhsa_inst_pref_size 13
		.amdhsa_round_robin_scheduling 0
		.amdhsa_exception_fp_ieee_invalid_op 0
		.amdhsa_exception_fp_denorm_src 0
		.amdhsa_exception_fp_ieee_div_zero 0
		.amdhsa_exception_fp_ieee_overflow 0
		.amdhsa_exception_fp_ieee_underflow 0
		.amdhsa_exception_fp_ieee_inexact 0
		.amdhsa_exception_int_div_zero 0
	.end_amdhsa_kernel
	.section	.text._ZL13mul_mat_vec_qIN3c108BFloat16ELi32ELi4E10block_q5_1Li2EXadL_ZL17vec_dot_q5_1_q8_1PKvPK10block_q8_1RKiEEEvS4_S4_PT_iii,"axG",@progbits,_ZL13mul_mat_vec_qIN3c108BFloat16ELi32ELi4E10block_q5_1Li2EXadL_ZL17vec_dot_q5_1_q8_1PKvPK10block_q8_1RKiEEEvS4_S4_PT_iii,comdat
.Lfunc_end101:
	.size	_ZL13mul_mat_vec_qIN3c108BFloat16ELi32ELi4E10block_q5_1Li2EXadL_ZL17vec_dot_q5_1_q8_1PKvPK10block_q8_1RKiEEEvS4_S4_PT_iii, .Lfunc_end101-_ZL13mul_mat_vec_qIN3c108BFloat16ELi32ELi4E10block_q5_1Li2EXadL_ZL17vec_dot_q5_1_q8_1PKvPK10block_q8_1RKiEEEvS4_S4_PT_iii
                                        ; -- End function
	.set _ZL13mul_mat_vec_qIN3c108BFloat16ELi32ELi4E10block_q5_1Li2EXadL_ZL17vec_dot_q5_1_q8_1PKvPK10block_q8_1RKiEEEvS4_S4_PT_iii.num_vgpr, 47
	.set _ZL13mul_mat_vec_qIN3c108BFloat16ELi32ELi4E10block_q5_1Li2EXadL_ZL17vec_dot_q5_1_q8_1PKvPK10block_q8_1RKiEEEvS4_S4_PT_iii.num_agpr, 0
	.set _ZL13mul_mat_vec_qIN3c108BFloat16ELi32ELi4E10block_q5_1Li2EXadL_ZL17vec_dot_q5_1_q8_1PKvPK10block_q8_1RKiEEEvS4_S4_PT_iii.numbered_sgpr, 12
	.set _ZL13mul_mat_vec_qIN3c108BFloat16ELi32ELi4E10block_q5_1Li2EXadL_ZL17vec_dot_q5_1_q8_1PKvPK10block_q8_1RKiEEEvS4_S4_PT_iii.num_named_barrier, 0
	.set _ZL13mul_mat_vec_qIN3c108BFloat16ELi32ELi4E10block_q5_1Li2EXadL_ZL17vec_dot_q5_1_q8_1PKvPK10block_q8_1RKiEEEvS4_S4_PT_iii.private_seg_size, 0
	.set _ZL13mul_mat_vec_qIN3c108BFloat16ELi32ELi4E10block_q5_1Li2EXadL_ZL17vec_dot_q5_1_q8_1PKvPK10block_q8_1RKiEEEvS4_S4_PT_iii.uses_vcc, 1
	.set _ZL13mul_mat_vec_qIN3c108BFloat16ELi32ELi4E10block_q5_1Li2EXadL_ZL17vec_dot_q5_1_q8_1PKvPK10block_q8_1RKiEEEvS4_S4_PT_iii.uses_flat_scratch, 0
	.set _ZL13mul_mat_vec_qIN3c108BFloat16ELi32ELi4E10block_q5_1Li2EXadL_ZL17vec_dot_q5_1_q8_1PKvPK10block_q8_1RKiEEEvS4_S4_PT_iii.has_dyn_sized_stack, 0
	.set _ZL13mul_mat_vec_qIN3c108BFloat16ELi32ELi4E10block_q5_1Li2EXadL_ZL17vec_dot_q5_1_q8_1PKvPK10block_q8_1RKiEEEvS4_S4_PT_iii.has_recursion, 0
	.set _ZL13mul_mat_vec_qIN3c108BFloat16ELi32ELi4E10block_q5_1Li2EXadL_ZL17vec_dot_q5_1_q8_1PKvPK10block_q8_1RKiEEEvS4_S4_PT_iii.has_indirect_call, 0
	.section	.AMDGPU.csdata,"",@progbits
; Kernel info:
; codeLenInByte = 1540
; TotalNumSgprs: 14
; NumVgprs: 47
; ScratchSize: 0
; MemoryBound: 0
; FloatMode: 240
; IeeeMode: 1
; LDSByteSize: 0 bytes/workgroup (compile time only)
; SGPRBlocks: 0
; VGPRBlocks: 2
; NumSGPRsForWavesPerEU: 14
; NumVGPRsForWavesPerEU: 47
; NamedBarCnt: 0
; Occupancy: 16
; WaveLimiterHint : 0
; COMPUTE_PGM_RSRC2:SCRATCH_EN: 0
; COMPUTE_PGM_RSRC2:USER_SGPR: 2
; COMPUTE_PGM_RSRC2:TRAP_HANDLER: 0
; COMPUTE_PGM_RSRC2:TGID_X_EN: 1
; COMPUTE_PGM_RSRC2:TGID_Y_EN: 1
; COMPUTE_PGM_RSRC2:TGID_Z_EN: 0
; COMPUTE_PGM_RSRC2:TIDIG_COMP_CNT: 1
	.section	.text._ZL13mul_mat_vec_qIN3c108BFloat16ELi32ELi8E10block_q8_0Li2EXadL_ZL17vec_dot_q8_0_q8_1PKvPK10block_q8_1RKiEEEvS4_S4_PT_iii,"axG",@progbits,_ZL13mul_mat_vec_qIN3c108BFloat16ELi32ELi8E10block_q8_0Li2EXadL_ZL17vec_dot_q8_0_q8_1PKvPK10block_q8_1RKiEEEvS4_S4_PT_iii,comdat
	.globl	_ZL13mul_mat_vec_qIN3c108BFloat16ELi32ELi8E10block_q8_0Li2EXadL_ZL17vec_dot_q8_0_q8_1PKvPK10block_q8_1RKiEEEvS4_S4_PT_iii ; -- Begin function _ZL13mul_mat_vec_qIN3c108BFloat16ELi32ELi8E10block_q8_0Li2EXadL_ZL17vec_dot_q8_0_q8_1PKvPK10block_q8_1RKiEEEvS4_S4_PT_iii
	.p2align	8
	.type	_ZL13mul_mat_vec_qIN3c108BFloat16ELi32ELi8E10block_q8_0Li2EXadL_ZL17vec_dot_q8_0_q8_1PKvPK10block_q8_1RKiEEEvS4_S4_PT_iii,@function
_ZL13mul_mat_vec_qIN3c108BFloat16ELi32ELi8E10block_q8_0Li2EXadL_ZL17vec_dot_q8_0_q8_1PKvPK10block_q8_1RKiEEEvS4_S4_PT_iii: ; @_ZL13mul_mat_vec_qIN3c108BFloat16ELi32ELi8E10block_q8_0Li2EXadL_ZL17vec_dot_q8_0_q8_1PKvPK10block_q8_1RKiEEEvS4_S4_PT_iii
; %bb.0:
	s_clause 0x1
	s_load_u16 s2, s[0:1], 0x36
	s_load_b96 s[4:6], s[0:1], 0x18
	s_bfe_u32 s7, ttmp6, 0x4000c
	s_bfe_u32 s8, ttmp6, 0x40010
	s_add_co_i32 s7, s7, 1
	s_add_co_i32 s8, s8, 1
	s_and_b32 s3, ttmp6, 15
	s_mul_i32 s7, ttmp9, s7
	s_mul_i32 s8, ttmp7, s8
	s_bfe_u32 s9, ttmp6, 0x40004
	s_add_co_i32 s3, s3, s7
	s_getreg_b32 s7, hwreg(HW_REG_IB_STS2, 6, 4)
	s_add_co_i32 s9, s9, s8
	v_bfe_u32 v1, v0, 10, 10
	s_cmp_eq_u32 s7, 0
	s_cselect_b32 s3, ttmp9, s3
	s_cselect_b32 s8, ttmp7, s9
	s_wait_kmcnt 0x0
	v_mad_u32 v2, s3, s2, v1
	s_cmp_lt_u32 s8, s6
	s_cselect_b32 s2, -1, 0
	s_delay_alu instid0(VALU_DEP_1) | instskip(SKIP_1) | instid1(SALU_CYCLE_1)
	v_cmp_gt_u32_e32 vcc_lo, s5, v2
	s_and_b32 s2, s2, vcc_lo
	s_and_saveexec_b32 s3, s2
	s_cbranch_execz .LBB102_7
; %bb.1:
	s_load_b64 s[6:7], s[0:1], 0x10
	s_ashr_i32 s2, s4, 31
	v_bfe_u32 v4, v0, 2, 8
	s_lshr_b32 s2, s2, 27
	v_and_b32_e32 v3, 0x3ff, v0
	v_mov_b32_e32 v5, 0
	s_add_co_i32 s2, s4, s2
	s_mov_b32 s9, exec_lo
	s_ashr_i32 s10, s2, 5
	s_delay_alu instid0(SALU_CYCLE_1)
	v_cmpx_gt_u32_e64 s10, v4
	s_cbranch_execz .LBB102_5
; %bb.2:
	s_wait_xcnt 0x0
	s_load_b128 s[0:3], s[0:1], 0x0
	s_addk_co_i32 s4, 0x1ff
	v_mul_lo_u32 v6, v2, s10
	s_ashr_i32 s11, s4, 31
	v_dual_mov_b32 v1, 0 :: v_dual_lshlrev_b32 v0, 3, v3
	s_lshr_b32 s11, s11, 23
	s_delay_alu instid0(SALU_CYCLE_1) | instskip(NEXT) | instid1(VALU_DEP_1)
	s_add_co_i32 s4, s4, s11
	v_dual_mov_b32 v5, v1 :: v_dual_bitop2_b32 v0, 24, v0 bitop3:0x40
	s_ashr_i32 s4, s4, 9
	s_delay_alu instid0(SALU_CYCLE_1) | instskip(NEXT) | instid1(SALU_CYCLE_1)
	s_mul_i32 s4, s8, s4
	s_lshl_b32 s11, s4, 4
	s_mov_b32 s4, 0
.LBB102_3:                              ; =>This Inner Loop Header: Depth=1
	s_delay_alu instid0(VALU_DEP_3) | instskip(SKIP_1) | instid1(VALU_DEP_1)
	v_dual_add_nc_u32 v7, s11, v4 :: v_dual_add_nc_u32 v10, v6, v4
	s_wait_kmcnt 0x0
	v_mad_nc_i64_i32 v[8:9], v7, 36, s[2:3]
	s_delay_alu instid0(VALU_DEP_2) | instskip(NEXT) | instid1(VALU_DEP_2)
	v_mad_nc_i64_i32 v[10:11], v10, 34, s[0:1]
	v_add_nc_u64_e32 v[12:13], v[8:9], v[0:1]
	s_delay_alu instid0(VALU_DEP_2)
	v_add_nc_u64_e32 v[14:15], v[10:11], v[0:1]
	global_load_b64 v[16:17], v[12:13], off offset:4
	s_clause 0x2
	global_load_b32 v7, v[14:15], off offset:2
	global_load_b32 v18, v[14:15], off offset:6
	global_load_u16 v19, v[10:11], off
	global_load_b32 v20, v[8:9], off
	s_wait_loadcnt 0x4
	s_wait_xcnt 0x0
	v_lshrrev_b16 v8, 8, v16
	s_wait_loadcnt 0x3
	v_lshrrev_b16 v9, 8, v7
	v_bfe_i32 v10, v7, 0, 8
	v_dual_ashrrev_i32 v11, 24, v7 :: v_dual_ashrrev_i32 v13, 24, v16
	v_bfe_i32 v7, v7, 16, 8
	v_bfe_i32 v14, v16, 16, 8
	;; [unrolled: 1-line block ×3, first 2 shown]
	s_wait_loadcnt 0x2
	v_bfe_i32 v15, v18, 0, 8
	v_bfe_i32 v21, v18, 8, 8
	;; [unrolled: 1-line block ×4, first 2 shown]
	v_dual_ashrrev_i32 v18, 24, v18 :: v_dual_ashrrev_i32 v24, 24, v17
	v_bfe_i32 v9, v9, 0, 8
	v_bfe_i32 v8, v8, 0, 8
	v_mul_i32_i24_e32 v7, v14, v7
	v_mul_i32_i24_e32 v11, v13, v11
	v_bfe_i32 v16, v17, 0, 8
	v_bfe_i32 v13, v17, 16, 8
	v_mul_i32_i24_e32 v14, v22, v21
	v_mul_i32_i24_e32 v17, v24, v18
	v_mad_i32_i24 v7, v12, v10, v7
	v_mad_i32_i24 v8, v8, v9, v11
	v_mul_i32_i24_e32 v9, v13, v23
	v_mad_i32_i24 v10, v16, v15, v14
	s_wait_loadcnt 0x0
	v_cvt_f32_f16_e32 v11, v20
	v_add3_u32 v7, v7, v8, v17
	v_cvt_f32_f16_e32 v8, v19
	v_add_nc_u32_e32 v4, 8, v4
	s_delay_alu instid0(VALU_DEP_3) | instskip(NEXT) | instid1(VALU_DEP_3)
	v_add3_u32 v7, v7, v10, v9
	v_mul_f32_e32 v8, v8, v11
	s_delay_alu instid0(VALU_DEP_3) | instskip(NEXT) | instid1(VALU_DEP_3)
	v_cmp_le_u32_e32 vcc_lo, s10, v4
	v_cvt_f32_i32_e32 v7, v7
	s_or_b32 s4, vcc_lo, s4
	s_delay_alu instid0(VALU_DEP_1)
	v_fmac_f32_e32 v5, v8, v7
	s_and_not1_b32 exec_lo, exec_lo, s4
	s_cbranch_execnz .LBB102_3
; %bb.4:
	s_or_b32 exec_lo, exec_lo, s4
.LBB102_5:
	s_delay_alu instid0(SALU_CYCLE_1) | instskip(SKIP_1) | instid1(VALU_DEP_1)
	s_or_b32 exec_lo, exec_lo, s9
	v_mbcnt_lo_u32_b32 v0, -1, 0
	v_xor_b32_e32 v1, 16, v0
	v_xor_b32_e32 v4, 8, v0
	s_delay_alu instid0(VALU_DEP_2) | instskip(SKIP_1) | instid1(VALU_DEP_3)
	v_cmp_gt_i32_e32 vcc_lo, 32, v1
	v_cndmask_b32_e32 v1, v0, v1, vcc_lo
	v_cmp_gt_i32_e32 vcc_lo, 32, v4
	s_delay_alu instid0(VALU_DEP_2)
	v_dual_cndmask_b32 v4, v0, v4 :: v_dual_lshlrev_b32 v1, 2, v1
	ds_bpermute_b32 v1, v1, v5
	s_wait_dscnt 0x0
	v_dual_add_f32 v1, v5, v1 :: v_dual_lshlrev_b32 v4, 2, v4
	v_xor_b32_e32 v5, 4, v0
	ds_bpermute_b32 v4, v4, v1
	v_cmp_gt_i32_e32 vcc_lo, 32, v5
	v_cndmask_b32_e32 v5, v0, v5, vcc_lo
	s_wait_dscnt 0x0
	s_delay_alu instid0(VALU_DEP_1) | instskip(SKIP_2) | instid1(VALU_DEP_1)
	v_dual_lshlrev_b32 v5, 2, v5 :: v_dual_add_f32 v1, v1, v4
	ds_bpermute_b32 v4, v5, v1
	v_xor_b32_e32 v5, 2, v0
	v_cmp_gt_i32_e32 vcc_lo, 32, v5
	s_wait_dscnt 0x0
	v_dual_cndmask_b32 v5, v0, v5, vcc_lo :: v_dual_add_f32 v1, v1, v4
	s_delay_alu instid0(VALU_DEP_1) | instskip(SKIP_2) | instid1(VALU_DEP_1)
	v_lshlrev_b32_e32 v5, 2, v5
	ds_bpermute_b32 v4, v5, v1
	v_xor_b32_e32 v5, 1, v0
	v_cmp_gt_i32_e32 vcc_lo, 32, v5
	v_cndmask_b32_e32 v5, v0, v5, vcc_lo
	v_cmp_eq_u32_e32 vcc_lo, 0, v3
	s_wait_dscnt 0x0
	s_delay_alu instid0(VALU_DEP_2)
	v_dual_add_f32 v0, v1, v4 :: v_dual_lshlrev_b32 v1, 2, v5
	ds_bpermute_b32 v1, v1, v0
	s_and_b32 exec_lo, exec_lo, vcc_lo
	s_cbranch_execz .LBB102_7
; %bb.6:
	s_wait_dscnt 0x0
	v_add_f32_e32 v0, v0, v1
	v_mad_u32 v2, s5, s8, v2
	s_delay_alu instid0(VALU_DEP_2) | instskip(NEXT) | instid1(VALU_DEP_1)
	v_bfe_u32 v1, v0, 16, 1
	v_add3_u32 v1, v0, v1, 0x7fff
	s_delay_alu instid0(VALU_DEP_1) | instskip(SKIP_1) | instid1(VALU_DEP_2)
	v_lshrrev_b32_e32 v1, 16, v1
	v_cmp_o_f32_e32 vcc_lo, v0, v0
	v_cndmask_b32_e32 v0, 0x7fc0, v1, vcc_lo
	s_wait_kmcnt 0x0
	global_store_b16 v2, v0, s[6:7] scale_offset
.LBB102_7:
	s_endpgm
	.section	.rodata,"a",@progbits
	.p2align	6, 0x0
	.amdhsa_kernel _ZL13mul_mat_vec_qIN3c108BFloat16ELi32ELi8E10block_q8_0Li2EXadL_ZL17vec_dot_q8_0_q8_1PKvPK10block_q8_1RKiEEEvS4_S4_PT_iii
		.amdhsa_group_segment_fixed_size 0
		.amdhsa_private_segment_fixed_size 0
		.amdhsa_kernarg_size 296
		.amdhsa_user_sgpr_count 2
		.amdhsa_user_sgpr_dispatch_ptr 0
		.amdhsa_user_sgpr_queue_ptr 0
		.amdhsa_user_sgpr_kernarg_segment_ptr 1
		.amdhsa_user_sgpr_dispatch_id 0
		.amdhsa_user_sgpr_kernarg_preload_length 0
		.amdhsa_user_sgpr_kernarg_preload_offset 0
		.amdhsa_user_sgpr_private_segment_size 0
		.amdhsa_wavefront_size32 1
		.amdhsa_uses_dynamic_stack 0
		.amdhsa_enable_private_segment 0
		.amdhsa_system_sgpr_workgroup_id_x 1
		.amdhsa_system_sgpr_workgroup_id_y 1
		.amdhsa_system_sgpr_workgroup_id_z 0
		.amdhsa_system_sgpr_workgroup_info 0
		.amdhsa_system_vgpr_workitem_id 1
		.amdhsa_next_free_vgpr 25
		.amdhsa_next_free_sgpr 12
		.amdhsa_named_barrier_count 0
		.amdhsa_reserve_vcc 1
		.amdhsa_float_round_mode_32 0
		.amdhsa_float_round_mode_16_64 0
		.amdhsa_float_denorm_mode_32 3
		.amdhsa_float_denorm_mode_16_64 3
		.amdhsa_fp16_overflow 0
		.amdhsa_memory_ordered 1
		.amdhsa_forward_progress 1
		.amdhsa_inst_pref_size 8
		.amdhsa_round_robin_scheduling 0
		.amdhsa_exception_fp_ieee_invalid_op 0
		.amdhsa_exception_fp_denorm_src 0
		.amdhsa_exception_fp_ieee_div_zero 0
		.amdhsa_exception_fp_ieee_overflow 0
		.amdhsa_exception_fp_ieee_underflow 0
		.amdhsa_exception_fp_ieee_inexact 0
		.amdhsa_exception_int_div_zero 0
	.end_amdhsa_kernel
	.section	.text._ZL13mul_mat_vec_qIN3c108BFloat16ELi32ELi8E10block_q8_0Li2EXadL_ZL17vec_dot_q8_0_q8_1PKvPK10block_q8_1RKiEEEvS4_S4_PT_iii,"axG",@progbits,_ZL13mul_mat_vec_qIN3c108BFloat16ELi32ELi8E10block_q8_0Li2EXadL_ZL17vec_dot_q8_0_q8_1PKvPK10block_q8_1RKiEEEvS4_S4_PT_iii,comdat
.Lfunc_end102:
	.size	_ZL13mul_mat_vec_qIN3c108BFloat16ELi32ELi8E10block_q8_0Li2EXadL_ZL17vec_dot_q8_0_q8_1PKvPK10block_q8_1RKiEEEvS4_S4_PT_iii, .Lfunc_end102-_ZL13mul_mat_vec_qIN3c108BFloat16ELi32ELi8E10block_q8_0Li2EXadL_ZL17vec_dot_q8_0_q8_1PKvPK10block_q8_1RKiEEEvS4_S4_PT_iii
                                        ; -- End function
	.set _ZL13mul_mat_vec_qIN3c108BFloat16ELi32ELi8E10block_q8_0Li2EXadL_ZL17vec_dot_q8_0_q8_1PKvPK10block_q8_1RKiEEEvS4_S4_PT_iii.num_vgpr, 25
	.set _ZL13mul_mat_vec_qIN3c108BFloat16ELi32ELi8E10block_q8_0Li2EXadL_ZL17vec_dot_q8_0_q8_1PKvPK10block_q8_1RKiEEEvS4_S4_PT_iii.num_agpr, 0
	.set _ZL13mul_mat_vec_qIN3c108BFloat16ELi32ELi8E10block_q8_0Li2EXadL_ZL17vec_dot_q8_0_q8_1PKvPK10block_q8_1RKiEEEvS4_S4_PT_iii.numbered_sgpr, 12
	.set _ZL13mul_mat_vec_qIN3c108BFloat16ELi32ELi8E10block_q8_0Li2EXadL_ZL17vec_dot_q8_0_q8_1PKvPK10block_q8_1RKiEEEvS4_S4_PT_iii.num_named_barrier, 0
	.set _ZL13mul_mat_vec_qIN3c108BFloat16ELi32ELi8E10block_q8_0Li2EXadL_ZL17vec_dot_q8_0_q8_1PKvPK10block_q8_1RKiEEEvS4_S4_PT_iii.private_seg_size, 0
	.set _ZL13mul_mat_vec_qIN3c108BFloat16ELi32ELi8E10block_q8_0Li2EXadL_ZL17vec_dot_q8_0_q8_1PKvPK10block_q8_1RKiEEEvS4_S4_PT_iii.uses_vcc, 1
	.set _ZL13mul_mat_vec_qIN3c108BFloat16ELi32ELi8E10block_q8_0Li2EXadL_ZL17vec_dot_q8_0_q8_1PKvPK10block_q8_1RKiEEEvS4_S4_PT_iii.uses_flat_scratch, 0
	.set _ZL13mul_mat_vec_qIN3c108BFloat16ELi32ELi8E10block_q8_0Li2EXadL_ZL17vec_dot_q8_0_q8_1PKvPK10block_q8_1RKiEEEvS4_S4_PT_iii.has_dyn_sized_stack, 0
	.set _ZL13mul_mat_vec_qIN3c108BFloat16ELi32ELi8E10block_q8_0Li2EXadL_ZL17vec_dot_q8_0_q8_1PKvPK10block_q8_1RKiEEEvS4_S4_PT_iii.has_recursion, 0
	.set _ZL13mul_mat_vec_qIN3c108BFloat16ELi32ELi8E10block_q8_0Li2EXadL_ZL17vec_dot_q8_0_q8_1PKvPK10block_q8_1RKiEEEvS4_S4_PT_iii.has_indirect_call, 0
	.section	.AMDGPU.csdata,"",@progbits
; Kernel info:
; codeLenInByte = 956
; TotalNumSgprs: 14
; NumVgprs: 25
; ScratchSize: 0
; MemoryBound: 0
; FloatMode: 240
; IeeeMode: 1
; LDSByteSize: 0 bytes/workgroup (compile time only)
; SGPRBlocks: 0
; VGPRBlocks: 1
; NumSGPRsForWavesPerEU: 14
; NumVGPRsForWavesPerEU: 25
; NamedBarCnt: 0
; Occupancy: 16
; WaveLimiterHint : 0
; COMPUTE_PGM_RSRC2:SCRATCH_EN: 0
; COMPUTE_PGM_RSRC2:USER_SGPR: 2
; COMPUTE_PGM_RSRC2:TRAP_HANDLER: 0
; COMPUTE_PGM_RSRC2:TGID_X_EN: 1
; COMPUTE_PGM_RSRC2:TGID_Y_EN: 1
; COMPUTE_PGM_RSRC2:TGID_Z_EN: 0
; COMPUTE_PGM_RSRC2:TIDIG_COMP_CNT: 1
	.section	.text._ZL13mul_mat_vec_qIN3c108BFloat16ELi256ELi16E10block_q2_KLi1EXadL_ZL17vec_dot_q2_K_q8_1PKvPK10block_q8_1RKiEEEvS4_S4_PT_iii,"axG",@progbits,_ZL13mul_mat_vec_qIN3c108BFloat16ELi256ELi16E10block_q2_KLi1EXadL_ZL17vec_dot_q2_K_q8_1PKvPK10block_q8_1RKiEEEvS4_S4_PT_iii,comdat
	.globl	_ZL13mul_mat_vec_qIN3c108BFloat16ELi256ELi16E10block_q2_KLi1EXadL_ZL17vec_dot_q2_K_q8_1PKvPK10block_q8_1RKiEEEvS4_S4_PT_iii ; -- Begin function _ZL13mul_mat_vec_qIN3c108BFloat16ELi256ELi16E10block_q2_KLi1EXadL_ZL17vec_dot_q2_K_q8_1PKvPK10block_q8_1RKiEEEvS4_S4_PT_iii
	.p2align	8
	.type	_ZL13mul_mat_vec_qIN3c108BFloat16ELi256ELi16E10block_q2_KLi1EXadL_ZL17vec_dot_q2_K_q8_1PKvPK10block_q8_1RKiEEEvS4_S4_PT_iii,@function
_ZL13mul_mat_vec_qIN3c108BFloat16ELi256ELi16E10block_q2_KLi1EXadL_ZL17vec_dot_q2_K_q8_1PKvPK10block_q8_1RKiEEEvS4_S4_PT_iii: ; @_ZL13mul_mat_vec_qIN3c108BFloat16ELi256ELi16E10block_q2_KLi1EXadL_ZL17vec_dot_q2_K_q8_1PKvPK10block_q8_1RKiEEEvS4_S4_PT_iii
; %bb.0:
	s_clause 0x1
	s_load_u16 s2, s[0:1], 0x36
	s_load_b96 s[4:6], s[0:1], 0x18
	s_bfe_u32 s7, ttmp6, 0x4000c
	s_bfe_u32 s8, ttmp6, 0x40010
	s_add_co_i32 s7, s7, 1
	s_add_co_i32 s8, s8, 1
	s_and_b32 s3, ttmp6, 15
	s_mul_i32 s7, ttmp9, s7
	s_mul_i32 s8, ttmp7, s8
	s_bfe_u32 s9, ttmp6, 0x40004
	s_add_co_i32 s3, s3, s7
	s_getreg_b32 s7, hwreg(HW_REG_IB_STS2, 6, 4)
	s_add_co_i32 s9, s9, s8
	v_bfe_u32 v1, v0, 10, 10
	s_cmp_eq_u32 s7, 0
	s_cselect_b32 s3, ttmp9, s3
	s_cselect_b32 s8, ttmp7, s9
	s_wait_kmcnt 0x0
	v_mad_u32 v12, s3, s2, v1
	s_cmp_lt_u32 s8, s6
	s_cselect_b32 s2, -1, 0
	s_delay_alu instid0(VALU_DEP_1) | instskip(SKIP_1) | instid1(SALU_CYCLE_1)
	v_cmp_gt_u32_e32 vcc_lo, s5, v12
	s_and_b32 s2, s2, vcc_lo
	s_and_saveexec_b32 s3, s2
	s_cbranch_execz .LBB103_7
; %bb.1:
	s_load_b64 s[6:7], s[0:1], 0x10
	s_ashr_i32 s2, s4, 31
	v_bfe_u32 v14, v0, 4, 6
	s_lshr_b32 s2, s2, 24
	v_and_b32_e32 v13, 0x3ff, v0
	v_mov_b32_e32 v16, 0
	s_add_co_i32 s2, s4, s2
	s_mov_b32 s9, exec_lo
	s_ashr_i32 s10, s2, 8
	s_delay_alu instid0(SALU_CYCLE_1)
	v_cmpx_gt_u32_e64 s10, v14
	s_cbranch_execz .LBB103_5
; %bb.2:
	s_wait_xcnt 0x0
	s_load_b128 s[0:3], s[0:1], 0x0
	v_dual_lshrrev_b32 v2, 1, v13 :: v_dual_bitop2_b32 v0, 15, v13 bitop3:0x40
	s_addk_co_i32 s4, 0x1ff
	v_mul_lo_u32 v15, v12, s10
	s_ashr_i32 s11, s4, 31
	s_delay_alu instid0(VALU_DEP_2) | instskip(SKIP_1) | instid1(SALU_CYCLE_1)
	v_sub_co_u32 v1, vcc_lo, v0, 8
	s_lshr_b32 s11, s11, 23
	s_add_co_i32 s4, s4, s11
	v_dual_cndmask_b32 v6, v1, v0 :: v_dual_mov_b32 v1, 0
	v_and_b32_e32 v3, 4, v2
	v_lshlrev_b32_e32 v8, 3, v14
	s_ashr_i32 s4, s4, 9
	s_delay_alu instid0(VALU_DEP_3)
	v_dual_sub_nc_u32 v2, v0, v6 :: v_dual_lshlrev_b32 v0, 2, v0
	v_cmp_lt_u32_e32 vcc_lo, 3, v6
	v_mov_b32_e32 v7, v1
	s_wait_kmcnt 0x0
	v_mad_nc_u64_u32 v[4:5], v3, 36, s[2:3]
	s_mul_i32 s2, s8, s4
	v_mov_b32_e32 v16, v1
	v_add_co_ci_u32_e64 v2, null, 0, v2, vcc_lo
	v_lshlrev_b64_e32 v[6:7], 2, v[6:7]
	v_lshl_add_u32 v17, s2, 4, v8
	s_mov_b32 s2, 0
	s_delay_alu instid0(VALU_DEP_3)
	v_ashrrev_i32_e32 v3, 31, v2
.LBB103_3:                              ; =>This Inner Loop Header: Depth=1
	v_add_nc_u32_e32 v10, v15, v14
	s_delay_alu instid0(VALU_DEP_2)
	v_mad_nc_i64_i32 v[8:9], v17, 36, v[4:5]
	s_clause 0x2
	global_load_b32 v24, v[8:9], off
	global_load_b32 v25, v[8:9], off offset:36
	global_load_b32 v26, v[8:9], off offset:72
	v_mad_nc_i64_i32 v[10:11], 0x54, v10, s[0:1]
	v_add_nc_u64_e32 v[18:19], v[8:9], v[6:7]
	s_delay_alu instid0(VALU_DEP_2)
	v_add_nc_u64_e32 v[20:21], v[10:11], v[0:1]
	v_add_nc_u64_e32 v[22:23], v[10:11], v[2:3]
	s_clause 0x3
	global_load_b32 v27, v[18:19], off offset:4
	global_load_b32 v28, v[18:19], off offset:40
	;; [unrolled: 1-line block ×4, first 2 shown]
	s_clause 0x4
	global_load_b32 v31, v[20:21], off offset:16
	global_load_u8 v32, v[22:23], off
	global_load_u8 v33, v[22:23], off offset:2
	global_load_u8 v34, v[22:23], off offset:4
	;; [unrolled: 1-line block ×3, first 2 shown]
	global_load_b32 v36, v[8:9], off offset:108
	global_load_b32 v37, v[10:11], off offset:80
	s_wait_loadcnt 0xd
	s_wait_xcnt 0x0
	v_cvt_f32_f16_e32 v10, v24
	s_wait_loadcnt 0xc
	v_cvt_f32_f16_e32 v11, v25
	s_wait_loadcnt 0xb
	;; [unrolled: 2-line block ×3, first 2 shown]
	v_lshrrev_b16 v18, 8, v27
	s_wait_loadcnt 0x8
	v_dual_ashrrev_i32 v26, 24, v28 :: v_dual_lshlrev_b32 v38, 16, v29
	s_wait_loadcnt 0x7
	v_dual_lshlrev_b32 v39, 16, v30 :: v_dual_lshlrev_b32 v42, 8, v29
	s_wait_loadcnt 0x5
	v_lshrrev_b16 v46, 4, v32
	v_dual_lshlrev_b32 v22, 8, v28 :: v_dual_lshlrev_b32 v23, 16, v28
	v_bfe_i32 v21, v27, 0, 8
	s_wait_loadcnt 0x1
	v_cvt_f32_f16_e32 v9, v36
	v_and_b32_e32 v46, 0xffff, v46
	v_bfe_i32 v36, v29, 0, 8
	v_bfe_i32 v41, v29, 8, 8
	v_bfe_i32 v45, v29, 16, 8
	v_dual_ashrrev_i32 v29, 24, v29 :: v_dual_bitop2_b32 v48, 3, v31 bitop3:0x40
	v_mul_lo_u32 v46, 0x1010101, v46
	v_and_b32_e32 v55, 15, v33
	v_lshrrev_b16 v33, 4, v33
	v_perm_b32 v38, v42, v38, 0xc0c0703
	v_and_b32_e32 v42, 15, v35
	v_lshrrev_b16 v35, 4, v35
	v_ashrrev_i32_e32 v19, 24, v27
	v_and_b32_e32 v33, 0xffff, v33
	v_bfe_i32 v20, v27, 16, 8
	v_bfe_i32 v24, v28, 8, 8
	;; [unrolled: 1-line block ×6, first 2 shown]
	v_lshlrev_b32_e32 v43, 8, v30
	v_bfe_i32 v44, v30, 16, 8
	v_ashrrev_i32_e32 v30, 24, v30
	v_bfe_u32 v47, v31, 2, 2
	v_bfe_u32 v49, v31, 10, 2
	;; [unrolled: 1-line block ×7, first 2 shown]
	v_dual_lshrrev_b32 v59, 30, v31 :: v_dual_bitop2_b32 v32, 15, v32 bitop3:0x40
	v_perm_b32 v22, v22, v23, 0xc0c0703
	v_bfe_u32 v23, v31, 6, 2
	v_bfe_u32 v56, v31, 4, 2
	;; [unrolled: 1-line block ×7, first 2 shown]
	v_bfe_i32 v18, v18, 0, 8
	v_mul_i32_i24_e32 v48, v21, v48
	v_and_b32_e32 v35, 0xffff, v35
	v_mul_lo_u32 v33, 0x1010101, v33
	v_mul_i32_i24_e32 v47, v25, v47
	v_mul_i32_i24_e32 v27, v27, v53
	;; [unrolled: 1-line block ×5, first 2 shown]
	v_perm_b32 v39, v43, v39, 0xc0c0703
	v_and_b32_e32 v43, 15, v34
	v_lshrrev_b16 v34, 4, v34
	v_mul_i32_i24_e32 v54, v20, v54
	v_mul_i32_i24_e32 v52, v19, v52
	v_mad_i32_i24 v48, v18, v50, v48
	v_mul_lo_u32 v35, 0x1010101, v35
	v_mul_i32_i24_e32 v51, v26, v51
	v_mul_i32_i24_e32 v41, v41, v58
	;; [unrolled: 1-line block ×4, first 2 shown]
	v_mad_i32_i24 v24, v24, v49, v47
	v_mad_i32_i24 v45, v36, v56, v45
	;; [unrolled: 1-line block ×3, first 2 shown]
	v_and_b32_e32 v32, 0xffff, v32
	v_and_b32_e32 v34, 0xffff, v34
	v_add3_u32 v47, v48, v54, v52
	v_add3_u32 v24, v24, v27, v51
	;; [unrolled: 1-line block ×4, first 2 shown]
	v_lshrrev_b32_e32 v44, 24, v33
	v_and_b32_e32 v43, 0xffff, v43
	v_mul_lo_u32 v34, 0x1010101, v34
	v_mul_lo_u32 v31, v47, v32
	v_lshrrev_b32_e32 v32, 24, v46
	v_and_b32_e32 v55, 0xffff, v55
	v_mul_lo_u32 v27, v27, v43
	v_lshrrev_b16 v40, 8, v46
	v_bfe_i32 v43, v33, 0, 8
	v_lshrrev_b32_e32 v47, 24, v35
	v_and_b32_e32 v42, 0xffff, v42
	v_mul_lo_u32 v24, v24, v55
	v_bfe_i32 v41, v46, 16, 8
	v_perm_b32 v33, v33, v33, 0xc0c0201
	v_bfe_i32 v45, v35, 0, 8
	v_mul_lo_u32 v23, v23, v42
	v_bfe_i32 v42, v46, 0, 8
	v_bfe_i32 v40, v40, 0, 8
	v_mul_i32_i24_e32 v25, v25, v43
	v_mul_i32_i24_e32 v19, v32, v19
	v_bfe_i32 v46, v34, 0, 8
	v_perm_b32 v35, v35, v35, 0xc0c0201
	v_mul_i32_i24_e32 v21, v42, v21
	v_mul_i32_i24_e32 v20, v41, v20
	v_dot4_i32_iu8 v22, v22, v33, v25 neg_lo:[1,1,0]
	v_mad_i32_i24 v18, v40, v18, v19
	v_mul_i32_i24_e32 v28, v28, v45
	v_perm_b32 v32, v34, v34, 0xc0c0201
	v_mul_i32_i24_e32 v25, v36, v46
	v_cvt_f32_i32_e32 v19, v24
	v_mad_i32_i24 v22, v26, v44, v22
	v_add3_u32 v20, v21, v20, v18
	v_cvt_f32_i32_e32 v18, v31
	v_dot4_i32_iu8 v24, v39, v35, v28 neg_lo:[1,1,0]
	v_dot4_i32_iu8 v25, v38, v32, v25 neg_lo:[1,1,0]
	v_cvt_f32_i32_e32 v21, v22
	v_cvt_f32_i32_e32 v20, v20
	v_pk_mul_f32 v[18:19], v[10:11], v[18:19]
	v_lshrrev_b32_e32 v48, 24, v34
	v_mad_i32_i24 v24, v30, v47, v24
	v_cvt_f32_i32_e32 v23, v23
	v_pk_mul_f32 v[10:11], v[10:11], v[20:21]
	v_cvt_f32_i32_e32 v22, v27
	s_delay_alu instid0(VALU_DEP_4) | instskip(SKIP_2) | instid1(VALU_DEP_4)
	v_cvt_f32_i32_e32 v21, v24
	v_mov_b32_e32 v24, v18
	v_mad_i32_i24 v25, v29, v48, v25
	v_pk_mul_f32 v[22:23], v[8:9], v[22:23]
	s_delay_alu instid0(VALU_DEP_2) | instskip(SKIP_1) | instid1(VALU_DEP_2)
	v_cvt_f32_i32_e32 v20, v25
	v_dual_mov_b32 v25, v10 :: v_dual_mov_b32 v10, v19
	v_pk_mul_f32 v[8:9], v[8:9], v[20:21]
	s_delay_alu instid0(VALU_DEP_2) | instskip(NEXT) | instid1(VALU_DEP_2)
	v_pk_add_f32 v[18:19], v[24:25], 0 op_sel_hi:[1,0]
	v_dual_mov_b32 v20, v22 :: v_dual_mov_b32 v21, v8
	s_delay_alu instid0(VALU_DEP_2) | instskip(SKIP_3) | instid1(VALU_DEP_3)
	v_pk_add_f32 v[10:11], v[18:19], v[10:11]
	s_wait_loadcnt 0x0
	v_dual_mov_b32 v8, v23 :: v_dual_lshrrev_b32 v19, 16, v37
	v_cvt_f32_f16_e32 v18, v37
	v_pk_add_f32 v[10:11], v[10:11], v[20:21]
	s_delay_alu instid0(VALU_DEP_3) | instskip(NEXT) | instid1(VALU_DEP_2)
	v_cvt_f32_f16_e32 v19, v19
	v_pk_add_f32 v[8:9], v[10:11], v[8:9]
	s_delay_alu instid0(VALU_DEP_1) | instskip(NEXT) | instid1(VALU_DEP_1)
	v_pk_mul_f32 v[8:9], v[8:9], v[18:19]
	v_dual_add_nc_u32 v14, 2, v14 :: v_dual_sub_f32 v8, v8, v9
	s_delay_alu instid0(VALU_DEP_1) | instskip(NEXT) | instid1(VALU_DEP_2)
	v_cmp_le_u32_e32 vcc_lo, s10, v14
	v_dual_add_f32 v16, v16, v8 :: v_dual_add_nc_u32 v17, 16, v17
	s_or_b32 s2, vcc_lo, s2
	s_delay_alu instid0(SALU_CYCLE_1)
	s_and_not1_b32 exec_lo, exec_lo, s2
	s_cbranch_execnz .LBB103_3
; %bb.4:
	s_or_b32 exec_lo, exec_lo, s2
.LBB103_5:
	s_delay_alu instid0(SALU_CYCLE_1) | instskip(SKIP_1) | instid1(VALU_DEP_1)
	s_or_b32 exec_lo, exec_lo, s9
	v_mbcnt_lo_u32_b32 v0, -1, 0
	v_xor_b32_e32 v2, 8, v0
	v_xor_b32_e32 v1, 16, v0
	;; [unrolled: 1-line block ×3, first 2 shown]
	s_delay_alu instid0(VALU_DEP_2) | instskip(SKIP_4) | instid1(VALU_DEP_2)
	v_cmp_gt_i32_e32 vcc_lo, 32, v1
	v_cndmask_b32_e32 v1, v0, v1, vcc_lo
	v_cmp_gt_i32_e32 vcc_lo, 32, v2
	v_cndmask_b32_e32 v2, v0, v2, vcc_lo
	v_cmp_gt_i32_e32 vcc_lo, 32, v3
	v_dual_lshlrev_b32 v2, 2, v2 :: v_dual_lshlrev_b32 v1, 2, v1
	ds_bpermute_b32 v1, v1, v16
	s_wait_dscnt 0x0
	v_add_f32_e32 v1, v16, v1
	ds_bpermute_b32 v2, v2, v1
	s_wait_dscnt 0x0
	v_dual_cndmask_b32 v3, v0, v3, vcc_lo :: v_dual_add_f32 v1, v1, v2
	s_delay_alu instid0(VALU_DEP_1) | instskip(SKIP_3) | instid1(VALU_DEP_1)
	v_lshlrev_b32_e32 v3, 2, v3
	ds_bpermute_b32 v2, v3, v1
	s_wait_dscnt 0x0
	v_dual_add_f32 v1, v1, v2 :: v_dual_bitop2_b32 v3, 2, v0 bitop3:0x14
	v_cmp_gt_i32_e32 vcc_lo, 32, v3
	v_cndmask_b32_e32 v3, v0, v3, vcc_lo
	s_delay_alu instid0(VALU_DEP_1) | instskip(SKIP_2) | instid1(VALU_DEP_1)
	v_lshlrev_b32_e32 v3, 2, v3
	ds_bpermute_b32 v2, v3, v1
	v_xor_b32_e32 v3, 1, v0
	v_cmp_gt_i32_e32 vcc_lo, 32, v3
	v_cndmask_b32_e32 v3, v0, v3, vcc_lo
	v_cmp_eq_u32_e32 vcc_lo, 0, v13
	s_wait_dscnt 0x0
	s_delay_alu instid0(VALU_DEP_2)
	v_dual_add_f32 v0, v1, v2 :: v_dual_lshlrev_b32 v1, 2, v3
	ds_bpermute_b32 v1, v1, v0
	s_and_b32 exec_lo, exec_lo, vcc_lo
	s_cbranch_execz .LBB103_7
; %bb.6:
	s_wait_dscnt 0x0
	v_add_f32_e32 v0, v0, v1
	v_mad_u32 v2, s5, s8, v12
	s_delay_alu instid0(VALU_DEP_2) | instskip(NEXT) | instid1(VALU_DEP_1)
	v_bfe_u32 v1, v0, 16, 1
	v_add3_u32 v1, v0, v1, 0x7fff
	s_delay_alu instid0(VALU_DEP_1) | instskip(SKIP_1) | instid1(VALU_DEP_2)
	v_lshrrev_b32_e32 v1, 16, v1
	v_cmp_o_f32_e32 vcc_lo, v0, v0
	v_cndmask_b32_e32 v0, 0x7fc0, v1, vcc_lo
	s_wait_kmcnt 0x0
	global_store_b16 v2, v0, s[6:7] scale_offset
.LBB103_7:
	s_endpgm
	.section	.rodata,"a",@progbits
	.p2align	6, 0x0
	.amdhsa_kernel _ZL13mul_mat_vec_qIN3c108BFloat16ELi256ELi16E10block_q2_KLi1EXadL_ZL17vec_dot_q2_K_q8_1PKvPK10block_q8_1RKiEEEvS4_S4_PT_iii
		.amdhsa_group_segment_fixed_size 0
		.amdhsa_private_segment_fixed_size 0
		.amdhsa_kernarg_size 296
		.amdhsa_user_sgpr_count 2
		.amdhsa_user_sgpr_dispatch_ptr 0
		.amdhsa_user_sgpr_queue_ptr 0
		.amdhsa_user_sgpr_kernarg_segment_ptr 1
		.amdhsa_user_sgpr_dispatch_id 0
		.amdhsa_user_sgpr_kernarg_preload_length 0
		.amdhsa_user_sgpr_kernarg_preload_offset 0
		.amdhsa_user_sgpr_private_segment_size 0
		.amdhsa_wavefront_size32 1
		.amdhsa_uses_dynamic_stack 0
		.amdhsa_enable_private_segment 0
		.amdhsa_system_sgpr_workgroup_id_x 1
		.amdhsa_system_sgpr_workgroup_id_y 1
		.amdhsa_system_sgpr_workgroup_id_z 0
		.amdhsa_system_sgpr_workgroup_info 0
		.amdhsa_system_vgpr_workitem_id 1
		.amdhsa_next_free_vgpr 62
		.amdhsa_next_free_sgpr 12
		.amdhsa_named_barrier_count 0
		.amdhsa_reserve_vcc 1
		.amdhsa_float_round_mode_32 0
		.amdhsa_float_round_mode_16_64 0
		.amdhsa_float_denorm_mode_32 3
		.amdhsa_float_denorm_mode_16_64 3
		.amdhsa_fp16_overflow 0
		.amdhsa_memory_ordered 1
		.amdhsa_forward_progress 1
		.amdhsa_inst_pref_size 16
		.amdhsa_round_robin_scheduling 0
		.amdhsa_exception_fp_ieee_invalid_op 0
		.amdhsa_exception_fp_denorm_src 0
		.amdhsa_exception_fp_ieee_div_zero 0
		.amdhsa_exception_fp_ieee_overflow 0
		.amdhsa_exception_fp_ieee_underflow 0
		.amdhsa_exception_fp_ieee_inexact 0
		.amdhsa_exception_int_div_zero 0
	.end_amdhsa_kernel
	.section	.text._ZL13mul_mat_vec_qIN3c108BFloat16ELi256ELi16E10block_q2_KLi1EXadL_ZL17vec_dot_q2_K_q8_1PKvPK10block_q8_1RKiEEEvS4_S4_PT_iii,"axG",@progbits,_ZL13mul_mat_vec_qIN3c108BFloat16ELi256ELi16E10block_q2_KLi1EXadL_ZL17vec_dot_q2_K_q8_1PKvPK10block_q8_1RKiEEEvS4_S4_PT_iii,comdat
.Lfunc_end103:
	.size	_ZL13mul_mat_vec_qIN3c108BFloat16ELi256ELi16E10block_q2_KLi1EXadL_ZL17vec_dot_q2_K_q8_1PKvPK10block_q8_1RKiEEEvS4_S4_PT_iii, .Lfunc_end103-_ZL13mul_mat_vec_qIN3c108BFloat16ELi256ELi16E10block_q2_KLi1EXadL_ZL17vec_dot_q2_K_q8_1PKvPK10block_q8_1RKiEEEvS4_S4_PT_iii
                                        ; -- End function
	.set _ZL13mul_mat_vec_qIN3c108BFloat16ELi256ELi16E10block_q2_KLi1EXadL_ZL17vec_dot_q2_K_q8_1PKvPK10block_q8_1RKiEEEvS4_S4_PT_iii.num_vgpr, 62
	.set _ZL13mul_mat_vec_qIN3c108BFloat16ELi256ELi16E10block_q2_KLi1EXadL_ZL17vec_dot_q2_K_q8_1PKvPK10block_q8_1RKiEEEvS4_S4_PT_iii.num_agpr, 0
	.set _ZL13mul_mat_vec_qIN3c108BFloat16ELi256ELi16E10block_q2_KLi1EXadL_ZL17vec_dot_q2_K_q8_1PKvPK10block_q8_1RKiEEEvS4_S4_PT_iii.numbered_sgpr, 12
	.set _ZL13mul_mat_vec_qIN3c108BFloat16ELi256ELi16E10block_q2_KLi1EXadL_ZL17vec_dot_q2_K_q8_1PKvPK10block_q8_1RKiEEEvS4_S4_PT_iii.num_named_barrier, 0
	.set _ZL13mul_mat_vec_qIN3c108BFloat16ELi256ELi16E10block_q2_KLi1EXadL_ZL17vec_dot_q2_K_q8_1PKvPK10block_q8_1RKiEEEvS4_S4_PT_iii.private_seg_size, 0
	.set _ZL13mul_mat_vec_qIN3c108BFloat16ELi256ELi16E10block_q2_KLi1EXadL_ZL17vec_dot_q2_K_q8_1PKvPK10block_q8_1RKiEEEvS4_S4_PT_iii.uses_vcc, 1
	.set _ZL13mul_mat_vec_qIN3c108BFloat16ELi256ELi16E10block_q2_KLi1EXadL_ZL17vec_dot_q2_K_q8_1PKvPK10block_q8_1RKiEEEvS4_S4_PT_iii.uses_flat_scratch, 0
	.set _ZL13mul_mat_vec_qIN3c108BFloat16ELi256ELi16E10block_q2_KLi1EXadL_ZL17vec_dot_q2_K_q8_1PKvPK10block_q8_1RKiEEEvS4_S4_PT_iii.has_dyn_sized_stack, 0
	.set _ZL13mul_mat_vec_qIN3c108BFloat16ELi256ELi16E10block_q2_KLi1EXadL_ZL17vec_dot_q2_K_q8_1PKvPK10block_q8_1RKiEEEvS4_S4_PT_iii.has_recursion, 0
	.set _ZL13mul_mat_vec_qIN3c108BFloat16ELi256ELi16E10block_q2_KLi1EXadL_ZL17vec_dot_q2_K_q8_1PKvPK10block_q8_1RKiEEEvS4_S4_PT_iii.has_indirect_call, 0
	.section	.AMDGPU.csdata,"",@progbits
; Kernel info:
; codeLenInByte = 1956
; TotalNumSgprs: 14
; NumVgprs: 62
; ScratchSize: 0
; MemoryBound: 0
; FloatMode: 240
; IeeeMode: 1
; LDSByteSize: 0 bytes/workgroup (compile time only)
; SGPRBlocks: 0
; VGPRBlocks: 3
; NumSGPRsForWavesPerEU: 14
; NumVGPRsForWavesPerEU: 62
; NamedBarCnt: 0
; Occupancy: 16
; WaveLimiterHint : 0
; COMPUTE_PGM_RSRC2:SCRATCH_EN: 0
; COMPUTE_PGM_RSRC2:USER_SGPR: 2
; COMPUTE_PGM_RSRC2:TRAP_HANDLER: 0
; COMPUTE_PGM_RSRC2:TGID_X_EN: 1
; COMPUTE_PGM_RSRC2:TGID_Y_EN: 1
; COMPUTE_PGM_RSRC2:TGID_Z_EN: 0
; COMPUTE_PGM_RSRC2:TIDIG_COMP_CNT: 1
	.section	.text._ZL13mul_mat_vec_qIN3c108BFloat16ELi256ELi16E10block_q3_KLi1EXadL_ZL17vec_dot_q3_K_q8_1PKvPK10block_q8_1RKiEEEvS4_S4_PT_iii,"axG",@progbits,_ZL13mul_mat_vec_qIN3c108BFloat16ELi256ELi16E10block_q3_KLi1EXadL_ZL17vec_dot_q3_K_q8_1PKvPK10block_q8_1RKiEEEvS4_S4_PT_iii,comdat
	.globl	_ZL13mul_mat_vec_qIN3c108BFloat16ELi256ELi16E10block_q3_KLi1EXadL_ZL17vec_dot_q3_K_q8_1PKvPK10block_q8_1RKiEEEvS4_S4_PT_iii ; -- Begin function _ZL13mul_mat_vec_qIN3c108BFloat16ELi256ELi16E10block_q3_KLi1EXadL_ZL17vec_dot_q3_K_q8_1PKvPK10block_q8_1RKiEEEvS4_S4_PT_iii
	.p2align	8
	.type	_ZL13mul_mat_vec_qIN3c108BFloat16ELi256ELi16E10block_q3_KLi1EXadL_ZL17vec_dot_q3_K_q8_1PKvPK10block_q8_1RKiEEEvS4_S4_PT_iii,@function
_ZL13mul_mat_vec_qIN3c108BFloat16ELi256ELi16E10block_q3_KLi1EXadL_ZL17vec_dot_q3_K_q8_1PKvPK10block_q8_1RKiEEEvS4_S4_PT_iii: ; @_ZL13mul_mat_vec_qIN3c108BFloat16ELi256ELi16E10block_q3_KLi1EXadL_ZL17vec_dot_q3_K_q8_1PKvPK10block_q8_1RKiEEEvS4_S4_PT_iii
; %bb.0:
	s_clause 0x1
	s_load_u16 s2, s[0:1], 0x36
	s_load_b96 s[4:6], s[0:1], 0x18
	s_bfe_u32 s7, ttmp6, 0x4000c
	s_bfe_u32 s8, ttmp6, 0x40010
	s_add_co_i32 s7, s7, 1
	s_add_co_i32 s8, s8, 1
	s_and_b32 s3, ttmp6, 15
	s_mul_i32 s7, ttmp9, s7
	s_mul_i32 s8, ttmp7, s8
	s_bfe_u32 s9, ttmp6, 0x40004
	s_add_co_i32 s3, s3, s7
	s_getreg_b32 s7, hwreg(HW_REG_IB_STS2, 6, 4)
	s_add_co_i32 s9, s9, s8
	v_bfe_u32 v1, v0, 10, 10
	s_cmp_eq_u32 s7, 0
	s_cselect_b32 s3, ttmp9, s3
	s_cselect_b32 s8, ttmp7, s9
	s_wait_kmcnt 0x0
	v_mad_u32 v24, s3, s2, v1
	s_cmp_lt_u32 s8, s6
	s_cselect_b32 s2, -1, 0
	s_delay_alu instid0(VALU_DEP_1) | instskip(SKIP_1) | instid1(SALU_CYCLE_1)
	v_cmp_gt_u32_e32 vcc_lo, s5, v24
	s_and_b32 s2, s2, vcc_lo
	s_and_saveexec_b32 s3, s2
	s_cbranch_execz .LBB104_7
; %bb.1:
	s_load_b64 s[6:7], s[0:1], 0x10
	s_ashr_i32 s2, s4, 31
	v_bfe_u32 v26, v0, 4, 6
	s_lshr_b32 s2, s2, 24
	v_and_b32_e32 v25, 0x3ff, v0
	v_mov_b32_e32 v35, 0
	s_add_co_i32 s2, s4, s2
	s_mov_b32 s9, exec_lo
	s_ashr_i32 s10, s2, 8
	s_delay_alu instid0(SALU_CYCLE_1)
	v_cmpx_gt_u32_e64 s10, v26
	s_cbranch_execz .LBB104_5
; %bb.2:
	v_dual_lshrrev_b32 v3, 1, v25 :: v_dual_bitop2_b32 v0, 15, v25 bitop3:0x40
	s_wait_xcnt 0x0
	s_load_b128 s[0:3], s[0:1], 0x0
	s_addk_co_i32 s4, 0x1ff
	v_mul_lo_u32 v27, v24, s10
	v_sub_co_u32 v1, vcc_lo, v0, 8
	s_ashr_i32 s11, s4, 31
	v_and_b32_e32 v28, 4, v3
	s_lshr_b32 s11, s11, 23
	v_cndmask_b32_e32 v2, v1, v0, vcc_lo
	s_add_co_i32 s4, s4, s11
	s_delay_alu instid0(SALU_CYCLE_1) | instskip(NEXT) | instid1(VALU_DEP_1)
	s_ashr_i32 s4, s4, 9
	v_sub_nc_u32_e32 v1, v0, v2
	v_cmp_lt_u32_e32 vcc_lo, 3, v2
	s_mul_i32 s4, s8, s4
	s_delay_alu instid0(VALU_DEP_2) | instskip(SKIP_1) | instid1(VALU_DEP_2)
	v_add_co_ci_u32_e64 v12, null, 0, v1, vcc_lo
	v_dual_mov_b32 v1, 0 :: v_dual_lshlrev_b32 v0, 2, v0
	v_bfe_i32 v4, v12, 0, 8
	v_add_nc_u16 v13, v12, 2
	v_add_nc_u16 v16, v12, 4
	s_delay_alu instid0(VALU_DEP_4) | instskip(NEXT) | instid1(VALU_DEP_4)
	v_dual_mov_b32 v3, v1 :: v_dual_mov_b32 v35, v1
	v_lshrrev_b16 v4, 7, v4
	s_delay_alu instid0(VALU_DEP_4) | instskip(NEXT) | instid1(VALU_DEP_4)
	v_bfe_i32 v5, v13, 0, 8
	v_bfe_i32 v6, v16, 0, 8
	s_delay_alu instid0(VALU_DEP_4) | instskip(NEXT) | instid1(VALU_DEP_4)
	v_lshlrev_b64_e32 v[2:3], 2, v[2:3]
	v_and_b32_e32 v4, 0xff, v4
	s_delay_alu instid0(VALU_DEP_4) | instskip(NEXT) | instid1(VALU_DEP_4)
	v_lshrrev_b16 v5, 7, v5
	v_lshrrev_b16 v6, 7, v6
	s_delay_alu instid0(VALU_DEP_3) | instskip(SKIP_1) | instid1(VALU_DEP_4)
	v_lshrrev_b16 v7, 5, v4
	v_lshrrev_b16 v8, 6, v4
	v_and_b32_e32 v9, 0xff, v5
	s_delay_alu instid0(VALU_DEP_4)
	v_and_b32_e32 v14, 0xff, v6
	s_wait_kmcnt 0x0
	v_mad_nc_u64_u32 v[4:5], v28, 36, s[2:3]
	v_add_nc_u16 v7, v12, v7
	v_add_nc_u16 v6, v12, v8
	v_lshrrev_b16 v8, 5, v9
	v_lshrrev_b16 v9, 6, v9
	;; [unrolled: 1-line block ×3, first 2 shown]
	v_bfe_i32 v10, v7, 0, 8
	v_bfe_i32 v11, v6, 0, 8
	v_and_b32_e32 v6, 0xfc, v6
	v_add_nc_u16 v8, v13, v8
	v_add_nc_u16 v15, v13, v9
	v_lshrrev_b16 v9, 3, v10
	v_ashrrev_i16 v10, 2, v11
	v_sub_nc_u16 v11, v12, v6
	v_bfe_i32 v17, v8, 0, 8
	v_and_b32_e32 v18, 0xf8, v8
	v_and_b32_e32 v7, 0xf8, v7
	v_bfe_i32 v10, v10, 0, 16
	v_bfe_i32 v8, v11, 0, 8
	v_lshrrev_b16 v11, 3, v17
	v_sub_nc_u16 v17, v13, v18
	v_bfe_i32 v18, v15, 0, 8
	v_sub_nc_u16 v7, v12, v7
	v_lshlrev_b32_e32 v30, 1, v10
	v_lshrrev_b16 v14, 6, v14
	v_bfe_i32 v10, v17, 0, 8
	v_ashrrev_i16 v17, 2, v18
	v_add_nc_u16 v18, v16, v19
	v_add_nc_u16 v19, v12, 6
	v_and_b32_e32 v12, 0xfc, v15
	v_and_b32_e32 v9, 0xff, v9
	v_bfe_i32 v15, v17, 0, 16
	v_bfe_i32 v17, v18, 0, 8
	;; [unrolled: 1-line block ×3, first 2 shown]
	v_sub_nc_u16 v12, v13, v12
	v_bfe_i32 v6, v7, 0, 8
	v_and_b32_e32 v11, 0xff, v11
	v_lshrrev_b16 v13, 3, v17
	v_and_b32_e32 v17, 0xf8, v18
	v_bfe_i32 v12, v12, 0, 8
	v_lshlrev_b32_e32 v32, 1, v15
	v_add_nc_u16 v15, v16, v14
	v_lshrrev_b16 v14, 7, v20
	v_and_b32_e32 v18, 0xff, v13
	v_dual_lshlrev_b32 v29, 2, v9 :: v_dual_ashrrev_i32 v7, 31, v6
	s_delay_alu instid0(VALU_DEP_4) | instskip(NEXT) | instid1(VALU_DEP_4)
	v_bfe_i32 v20, v15, 0, 8
	v_and_b32_e32 v21, 0xff, v14
	v_sub_nc_u16 v14, v16, v17
	v_dual_ashrrev_i32 v9, 31, v8 :: v_dual_lshlrev_b32 v31, 2, v11
	v_ashrrev_i32_e32 v11, 31, v10
	v_lshrrev_b16 v17, 2, v20
	v_lshrrev_b16 v20, 6, v21
	v_bfe_i32 v14, v14, 0, 8
	v_ashrrev_i32_e32 v13, 31, v12
	s_mov_b32 s2, 0
	v_and_b32_e32 v17, 0xff, v17
	v_lshlrev_b32_e32 v33, 2, v18
	v_lshrrev_b16 v18, 5, v21
	v_and_b32_e32 v21, 0xfc, v15
	v_add_nc_u16 v20, v19, v20
	v_lshlrev_b32_e32 v34, 1, v17
	s_delay_alu instid0(VALU_DEP_4) | instskip(NEXT) | instid1(VALU_DEP_4)
	v_add_nc_u16 v18, v19, v18
	v_sub_nc_u16 v16, v16, v21
	s_delay_alu instid0(VALU_DEP_4) | instskip(SKIP_1) | instid1(VALU_DEP_4)
	v_bfe_i32 v21, v20, 0, 8
	v_and_b32_e32 v20, 0xfc, v20
	v_bfe_i32 v17, v18, 0, 8
	v_and_b32_e32 v18, 0xf8, v18
	s_delay_alu instid0(VALU_DEP_4)
	v_lshrrev_b16 v21, 2, v21
	v_bfe_i32 v16, v16, 0, 8
	v_ashrrev_i32_e32 v15, 31, v14
	v_lshrrev_b16 v22, 3, v17
	v_sub_nc_u16 v18, v19, v18
	v_sub_nc_u16 v19, v19, v20
	v_and_b32_e32 v21, 0xff, v21
	v_lshlrev_b32_e32 v23, 3, v26
	v_and_b32_e32 v22, 0xff, v22
	v_bfe_i32 v18, v18, 0, 8
	v_bfe_i32 v20, v19, 0, 8
	v_dual_ashrrev_i32 v17, 31, v16 :: v_dual_lshlrev_b32 v37, 1, v21
	s_delay_alu instid0(VALU_DEP_4) | instskip(NEXT) | instid1(VALU_DEP_3)
	v_lshlrev_b32_e32 v36, 2, v22
	v_dual_ashrrev_i32 v19, 31, v18 :: v_dual_ashrrev_i32 v21, 31, v20
	v_lshl_add_u32 v38, s4, 4, v23
.LBB104_3:                              ; =>This Inner Loop Header: Depth=1
	v_add_nc_u32_e32 v22, v27, v26
	s_delay_alu instid0(VALU_DEP_2) | instskip(SKIP_2) | instid1(VALU_DEP_4)
	v_mad_nc_i64_i32 v[44:45], v38, 36, v[4:5]
	v_add_nc_u32_e32 v38, 16, v38
	v_add_nc_u32_e32 v26, 2, v26
	v_mad_nc_i64_i32 v[22:23], 0x6e, v22, s[0:1]
	s_delay_alu instid0(VALU_DEP_2) | instskip(SKIP_2) | instid1(VALU_DEP_3)
	v_cmp_le_u32_e32 vcc_lo, s10, v26
	v_add_nc_u64_e32 v[46:47], v[44:45], v[2:3]
	s_or_b32 s2, vcc_lo, s2
	v_add_nc_u64_e32 v[40:41], v[22:23], v[0:1]
	global_load_u16 v39, v[22:23], off offset:108
	global_load_b32 v48, v[46:47], off offset:4
	global_load_b32 v42, v[40:41], off offset:32
	s_wait_xcnt 0x0
	v_add_nc_u64_e32 v[40:41], v[22:23], v[2:3]
	global_load_b32 v43, v[40:41], off
	s_clause 0x6
	global_load_b32 v50, v[44:45], off
	global_load_b32 v51, v[46:47], off offset:40
	global_load_b32 v52, v[44:45], off offset:36
	;; [unrolled: 1-line block ×6, first 2 shown]
	s_wait_xcnt 0x0
	v_add_nc_u64_e32 v[44:45], v[22:23], v[6:7]
	global_load_u8 v44, v[44:45], off offset:96
	s_wait_loadcnt 0xa
	v_lshrrev_b16 v49, 8, v48
	s_wait_loadcnt 0x9
	v_bfe_u32 v55, v42, 24, 2
	s_delay_alu instid0(VALU_DEP_2) | instskip(SKIP_2) | instid1(VALU_DEP_1)
	v_bfe_i32 v49, v49, 0, 8
	s_wait_loadcnt 0x8
	v_ashrrev_i32_e32 v46, v28, v43
	v_not_b32_e32 v43, v46
	v_bitop3_b32 v46, v46, 0x4040404, v46 bitop3:0xc
	s_wait_loadcnt 0x0
	v_bfe_u32 v47, v44, v29, 4
	v_add_nc_u64_e32 v[44:45], v[22:23], v[8:9]
	v_lshlrev_b32_e32 v57, 2, v43
	s_delay_alu instid0(VALU_DEP_1) | instskip(SKIP_4) | instid1(VALU_DEP_2)
	v_and_b32_e32 v57, 0x4040404, v57
	global_load_u8 v44, v[44:45], off offset:104
	s_wait_xcnt 0x0
	v_and_b32_e32 v45, 0x3030303, v42
	v_dual_lshrrev_b32 v59, 24, v57 :: v_dual_lshrrev_b32 v60, 16, v57
	v_lshrrev_b32_e32 v56, 16, v45
	v_lshrrev_b16 v58, 8, v57
	s_delay_alu instid0(VALU_DEP_3) | instskip(NEXT) | instid1(VALU_DEP_3)
	v_sub_nc_u16 v55, v55, v59
	v_sub_nc_u16 v56, v56, v60
	s_delay_alu instid0(VALU_DEP_2) | instskip(NEXT) | instid1(VALU_DEP_2)
	v_bfe_i32 v55, v55, 0, 16
	v_bfe_i32 v56, v56, 0, 8
	s_wait_loadcnt 0x0
	v_lshrrev_b32_e32 v44, v30, v44
	s_delay_alu instid0(VALU_DEP_1) | instskip(NEXT) | instid1(VALU_DEP_1)
	v_lshlrev_b32_e32 v44, 4, v44
	v_and_or_b32 v44, v44, 48, v47
	v_lshrrev_b16 v47, 8, v45
	v_sub_nc_u16 v45, v45, v57
	v_ashrrev_i32_e32 v57, 24, v48
	s_delay_alu instid0(VALU_DEP_4) | instskip(NEXT) | instid1(VALU_DEP_4)
	v_subrev_nc_u32_e32 v44, 32, v44
	v_sub_nc_u16 v47, v47, v58
	s_delay_alu instid0(VALU_DEP_4) | instskip(SKIP_4) | instid1(VALU_DEP_3)
	v_bfe_i32 v45, v45, 0, 8
	v_bfe_i32 v58, v48, 16, 8
	;; [unrolled: 1-line block ×3, first 2 shown]
	v_mul_i32_i24_e32 v55, v55, v57
	v_bfe_i32 v47, v47, 0, 16
	v_mul_i32_i24_e32 v45, v45, v48
	v_mul_i32_i24_e32 v48, v56, v58
	s_delay_alu instid0(VALU_DEP_3) | instskip(SKIP_1) | instid1(VALU_DEP_2)
	v_mad_i32_i24 v47, v47, v49, v55
	v_dual_lshlrev_b32 v55, 1, v43 :: v_dual_lshrrev_b32 v43, 1, v43
	v_add3_u32 v45, v45, v48, v47
	s_delay_alu instid0(VALU_DEP_2) | instskip(NEXT) | instid1(VALU_DEP_3)
	v_and_b32_e32 v55, 0x4040404, v55
	v_and_b32_e32 v43, 0x4040404, v43
	s_delay_alu instid0(VALU_DEP_3) | instskip(NEXT) | instid1(VALU_DEP_3)
	v_mul_lo_u32 v44, v44, v45
	v_lshrrev_b32_e32 v57, 24, v55
	v_lshrrev_b16 v56, 8, v55
	v_lshrrev_b32_e32 v58, 16, v55
	s_delay_alu instid0(VALU_DEP_4) | instskip(NEXT) | instid1(VALU_DEP_1)
	v_cvt_f32_i32_e32 v44, v44
	v_fma_mix_f32 v47, v50, v44, 0 op_sel_hi:[1,0,0]
	v_add_nc_u64_e32 v[44:45], v[22:23], v[10:11]
	global_load_u8 v44, v[44:45], off offset:96
	s_wait_loadcnt 0x0
	v_bfe_u32 v48, v44, v31, 4
	v_add_nc_u64_e32 v[44:45], v[22:23], v[12:13]
	global_load_u8 v44, v[44:45], off offset:104
	s_wait_loadcnt 0x0
	v_dual_lshrrev_b32 v45, 2, v42 :: v_dual_lshrrev_b32 v44, v32, v44
	s_delay_alu instid0(VALU_DEP_1) | instskip(NEXT) | instid1(VALU_DEP_1)
	v_lshlrev_b32_e32 v44, 4, v44
	v_and_or_b32 v44, v44, 48, v48
	s_delay_alu instid0(VALU_DEP_3) | instskip(SKIP_1) | instid1(VALU_DEP_3)
	v_and_b32_e32 v48, 0x3030303, v45
	v_bfe_u32 v45, v45, 24, 2
	v_subrev_nc_u32_e32 v44, 32, v44
	s_delay_alu instid0(VALU_DEP_3) | instskip(SKIP_1) | instid1(VALU_DEP_4)
	v_lshrrev_b16 v49, 8, v48
	v_lshrrev_b32_e32 v50, 16, v48
	v_sub_nc_u16 v45, v45, v57
	v_sub_nc_u16 v48, v48, v55
	v_bfe_i32 v55, v51, 8, 8
	v_sub_nc_u16 v49, v49, v56
	v_sub_nc_u16 v50, v50, v58
	v_lshlrev_b16 v45, 8, v45
	v_bfe_i32 v48, v48, 0, 8
	v_bfe_i32 v56, v51, 0, 8
	v_lshlrev_b16 v49, 8, v49
	s_delay_alu instid0(VALU_DEP_4) | instskip(NEXT) | instid1(VALU_DEP_3)
	v_bitop3_b16 v45, v50, v45, 0xff bitop3:0xec
	v_mul_i32_i24_e32 v48, v56, v48
	s_delay_alu instid0(VALU_DEP_3) | instskip(SKIP_1) | instid1(VALU_DEP_4)
	v_bfe_i32 v49, v49, 8, 8
	v_lshlrev_b32_e32 v56, 8, v51
	v_perm_b32 v45, v45, v50, 0xc0c0500
	s_delay_alu instid0(VALU_DEP_3) | instskip(NEXT) | instid1(VALU_DEP_3)
	v_mad_i32_i24 v48, v55, v49, v48
	v_perm_b32 v49, v51, v56, 0xc0c0703
	v_lshrrev_b32_e32 v51, 24, v46
	v_lshrrev_b16 v55, 8, v46
	s_delay_alu instid0(VALU_DEP_3) | instskip(NEXT) | instid1(VALU_DEP_1)
	v_dot4_i32_iu8 v45, v49, v45, v48 neg_lo:[1,1,0]
	v_mul_lo_u32 v44, v44, v45
	s_delay_alu instid0(VALU_DEP_1) | instskip(NEXT) | instid1(VALU_DEP_1)
	v_cvt_f32_i32_e32 v44, v44
	v_fma_mix_f32 v47, v52, v44, v47 op_sel_hi:[1,0,0]
	v_add_nc_u64_e32 v[44:45], v[22:23], v[14:15]
	v_lshrrev_b32_e32 v52, 16, v46
	global_load_u8 v44, v[44:45], off offset:96
	s_wait_loadcnt 0x0
	v_bfe_u32 v48, v44, v33, 4
	v_add_nc_u64_e32 v[44:45], v[22:23], v[16:17]
	global_load_u8 v44, v[44:45], off offset:104
	s_wait_loadcnt 0x0
	v_dual_lshrrev_b32 v45, 4, v42 :: v_dual_lshrrev_b32 v44, v34, v44
	s_delay_alu instid0(VALU_DEP_1) | instskip(NEXT) | instid1(VALU_DEP_1)
	v_lshlrev_b32_e32 v44, 4, v44
	v_and_or_b32 v44, v44, 48, v48
	s_delay_alu instid0(VALU_DEP_3) | instskip(SKIP_1) | instid1(VALU_DEP_3)
	v_bfe_u32 v48, v45, 24, 2
	v_and_b32_e32 v45, 0x3030303, v45
	v_subrev_nc_u32_e32 v44, 32, v44
	s_delay_alu instid0(VALU_DEP_3) | instskip(NEXT) | instid1(VALU_DEP_3)
	v_sub_nc_u16 v48, v48, v51
	v_lshrrev_b32_e32 v49, 16, v45
	v_lshrrev_b16 v50, 8, v45
	v_sub_nc_u16 v45, v45, v46
	v_lshlrev_b32_e32 v46, 16, v53
	v_lshlrev_b16 v48, 8, v48
	v_sub_nc_u16 v49, v49, v52
	v_sub_nc_u16 v50, v50, v55
	v_bfe_i32 v51, v53, 0, 8
	v_dual_lshlrev_b32 v52, 8, v53 :: v_dual_ashrrev_i32 v53, 24, v53
	v_bfe_i32 v48, v48, 8, 8
	s_delay_alu instid0(VALU_DEP_4) | instskip(SKIP_1) | instid1(VALU_DEP_4)
	v_lshlrev_b16 v50, 8, v50
	v_bfe_i32 v45, v45, 0, 8
	v_perm_b32 v46, v52, v46, 0xc0c0703
	s_delay_alu instid0(VALU_DEP_4) | instskip(NEXT) | instid1(VALU_DEP_1)
	v_mul_i32_i24_e32 v48, v53, v48
	v_mad_i32_i24 v45, v51, v45, v48
	v_perm_b32 v48, v49, v50, 0xc0c0401
	v_lshrrev_b16 v49, 8, v43
	s_delay_alu instid0(VALU_DEP_2) | instskip(SKIP_1) | instid1(VALU_DEP_2)
	v_dot4_i32_iu8 v45, v46, v48, v45 neg_lo:[1,1,0]
	v_lshrrev_b32_e32 v48, 16, v43
	v_mul_lo_u32 v44, v44, v45
	s_delay_alu instid0(VALU_DEP_1) | instskip(NEXT) | instid1(VALU_DEP_1)
	v_cvt_f32_i32_e32 v44, v44
	v_fma_mix_f32 v46, v54, v44, v47 op_sel_hi:[1,0,0]
	v_add_nc_u64_e32 v[44:45], v[22:23], v[18:19]
	v_add_nc_u64_e32 v[22:23], v[22:23], v[20:21]
	v_lshrrev_b32_e32 v47, 24, v43
	s_clause 0x1
	global_load_u8 v44, v[44:45], off offset:96
	global_load_u8 v22, v[22:23], off offset:104
	s_wait_xcnt 0x0
	v_dual_lshrrev_b32 v23, 6, v42 :: v_dual_lshrrev_b32 v42, 30, v42
	s_delay_alu instid0(VALU_DEP_1) | instskip(NEXT) | instid1(VALU_DEP_2)
	v_and_b32_e32 v23, 0x3030303, v23
	v_sub_nc_u16 v42, v42, v47
	v_bfe_i32 v47, v41, 0, 8
	s_delay_alu instid0(VALU_DEP_3) | instskip(NEXT) | instid1(VALU_DEP_3)
	v_lshrrev_b16 v45, 8, v23
	v_lshlrev_b16 v42, 8, v42
	s_delay_alu instid0(VALU_DEP_2) | instskip(NEXT) | instid1(VALU_DEP_2)
	v_sub_nc_u16 v45, v45, v49
	v_bfe_i32 v42, v42, 8, 8
	s_delay_alu instid0(VALU_DEP_2) | instskip(SKIP_4) | instid1(VALU_DEP_1)
	v_lshlrev_b16 v45, 8, v45
	s_wait_loadcnt 0x1
	v_bfe_u32 v44, v44, v36, 4
	s_wait_loadcnt 0x0
	v_lshrrev_b32_e32 v22, v37, v22
	v_lshlrev_b32_e32 v22, 4, v22
	s_delay_alu instid0(VALU_DEP_1) | instskip(SKIP_3) | instid1(VALU_DEP_4)
	v_and_or_b32 v22, v22, 48, v44
	v_lshrrev_b32_e32 v44, 16, v23
	v_sub_nc_u16 v23, v23, v43
	v_lshlrev_b32_e32 v43, 16, v41
	v_subrev_nc_u32_e32 v22, 32, v22
	s_delay_alu instid0(VALU_DEP_4) | instskip(SKIP_2) | instid1(VALU_DEP_2)
	v_sub_nc_u16 v44, v44, v48
	v_dual_lshlrev_b32 v48, 8, v41 :: v_dual_ashrrev_i32 v41, 24, v41
	v_bfe_i32 v23, v23, 0, 8
	v_mul_i32_i24_e32 v41, v41, v42
	s_delay_alu instid0(VALU_DEP_4) | instskip(NEXT) | instid1(VALU_DEP_2)
	v_perm_b32 v42, v44, v45, 0xc0c0401
	v_mad_i32_i24 v23, v47, v23, v41
	v_perm_b32 v41, v48, v43, 0xc0c0703
	s_delay_alu instid0(VALU_DEP_1) | instskip(NEXT) | instid1(VALU_DEP_1)
	v_dot4_i32_iu8 v23, v41, v42, v23 neg_lo:[1,1,0]
	v_mul_lo_u32 v22, v22, v23
	s_delay_alu instid0(VALU_DEP_1) | instskip(NEXT) | instid1(VALU_DEP_1)
	v_cvt_f32_i32_e32 v22, v22
	v_fma_mix_f32 v22, v40, v22, v46 op_sel_hi:[1,0,0]
	s_delay_alu instid0(VALU_DEP_1)
	v_fma_mix_f32 v35, v22, v39, v35 op_sel_hi:[0,1,0]
	s_and_not1_b32 exec_lo, exec_lo, s2
	s_cbranch_execnz .LBB104_3
; %bb.4:
	s_or_b32 exec_lo, exec_lo, s2
.LBB104_5:
	s_delay_alu instid0(SALU_CYCLE_1) | instskip(SKIP_1) | instid1(VALU_DEP_1)
	s_or_b32 exec_lo, exec_lo, s9
	v_mbcnt_lo_u32_b32 v0, -1, 0
	v_xor_b32_e32 v2, 8, v0
	v_xor_b32_e32 v1, 16, v0
	v_xor_b32_e32 v3, 4, v0
	s_delay_alu instid0(VALU_DEP_2) | instskip(SKIP_4) | instid1(VALU_DEP_2)
	v_cmp_gt_i32_e32 vcc_lo, 32, v1
	v_cndmask_b32_e32 v1, v0, v1, vcc_lo
	v_cmp_gt_i32_e32 vcc_lo, 32, v2
	v_cndmask_b32_e32 v2, v0, v2, vcc_lo
	v_cmp_gt_i32_e32 vcc_lo, 32, v3
	v_dual_lshlrev_b32 v2, 2, v2 :: v_dual_lshlrev_b32 v1, 2, v1
	ds_bpermute_b32 v1, v1, v35
	s_wait_dscnt 0x0
	v_add_f32_e32 v1, v35, v1
	ds_bpermute_b32 v2, v2, v1
	s_wait_dscnt 0x0
	v_dual_cndmask_b32 v3, v0, v3, vcc_lo :: v_dual_add_f32 v1, v1, v2
	s_delay_alu instid0(VALU_DEP_1) | instskip(SKIP_3) | instid1(VALU_DEP_1)
	v_lshlrev_b32_e32 v3, 2, v3
	ds_bpermute_b32 v2, v3, v1
	s_wait_dscnt 0x0
	v_dual_add_f32 v1, v1, v2 :: v_dual_bitop2_b32 v3, 2, v0 bitop3:0x14
	v_cmp_gt_i32_e32 vcc_lo, 32, v3
	v_cndmask_b32_e32 v3, v0, v3, vcc_lo
	s_delay_alu instid0(VALU_DEP_1) | instskip(SKIP_2) | instid1(VALU_DEP_1)
	v_lshlrev_b32_e32 v3, 2, v3
	ds_bpermute_b32 v2, v3, v1
	v_xor_b32_e32 v3, 1, v0
	v_cmp_gt_i32_e32 vcc_lo, 32, v3
	v_cndmask_b32_e32 v3, v0, v3, vcc_lo
	v_cmp_eq_u32_e32 vcc_lo, 0, v25
	s_wait_dscnt 0x0
	s_delay_alu instid0(VALU_DEP_2)
	v_dual_add_f32 v0, v1, v2 :: v_dual_lshlrev_b32 v1, 2, v3
	ds_bpermute_b32 v1, v1, v0
	s_and_b32 exec_lo, exec_lo, vcc_lo
	s_cbranch_execz .LBB104_7
; %bb.6:
	s_wait_dscnt 0x0
	v_add_f32_e32 v0, v0, v1
	v_mad_u32 v2, s5, s8, v24
	s_delay_alu instid0(VALU_DEP_2) | instskip(NEXT) | instid1(VALU_DEP_1)
	v_bfe_u32 v1, v0, 16, 1
	v_add3_u32 v1, v0, v1, 0x7fff
	s_delay_alu instid0(VALU_DEP_1) | instskip(SKIP_1) | instid1(VALU_DEP_2)
	v_lshrrev_b32_e32 v1, 16, v1
	v_cmp_o_f32_e32 vcc_lo, v0, v0
	v_cndmask_b32_e32 v0, 0x7fc0, v1, vcc_lo
	s_wait_kmcnt 0x0
	global_store_b16 v2, v0, s[6:7] scale_offset
.LBB104_7:
	s_endpgm
	.section	.rodata,"a",@progbits
	.p2align	6, 0x0
	.amdhsa_kernel _ZL13mul_mat_vec_qIN3c108BFloat16ELi256ELi16E10block_q3_KLi1EXadL_ZL17vec_dot_q3_K_q8_1PKvPK10block_q8_1RKiEEEvS4_S4_PT_iii
		.amdhsa_group_segment_fixed_size 0
		.amdhsa_private_segment_fixed_size 0
		.amdhsa_kernarg_size 296
		.amdhsa_user_sgpr_count 2
		.amdhsa_user_sgpr_dispatch_ptr 0
		.amdhsa_user_sgpr_queue_ptr 0
		.amdhsa_user_sgpr_kernarg_segment_ptr 1
		.amdhsa_user_sgpr_dispatch_id 0
		.amdhsa_user_sgpr_kernarg_preload_length 0
		.amdhsa_user_sgpr_kernarg_preload_offset 0
		.amdhsa_user_sgpr_private_segment_size 0
		.amdhsa_wavefront_size32 1
		.amdhsa_uses_dynamic_stack 0
		.amdhsa_enable_private_segment 0
		.amdhsa_system_sgpr_workgroup_id_x 1
		.amdhsa_system_sgpr_workgroup_id_y 1
		.amdhsa_system_sgpr_workgroup_id_z 0
		.amdhsa_system_sgpr_workgroup_info 0
		.amdhsa_system_vgpr_workitem_id 1
		.amdhsa_next_free_vgpr 61
		.amdhsa_next_free_sgpr 12
		.amdhsa_named_barrier_count 0
		.amdhsa_reserve_vcc 1
		.amdhsa_float_round_mode_32 0
		.amdhsa_float_round_mode_16_64 0
		.amdhsa_float_denorm_mode_32 3
		.amdhsa_float_denorm_mode_16_64 3
		.amdhsa_fp16_overflow 0
		.amdhsa_memory_ordered 1
		.amdhsa_forward_progress 1
		.amdhsa_inst_pref_size 23
		.amdhsa_round_robin_scheduling 0
		.amdhsa_exception_fp_ieee_invalid_op 0
		.amdhsa_exception_fp_denorm_src 0
		.amdhsa_exception_fp_ieee_div_zero 0
		.amdhsa_exception_fp_ieee_overflow 0
		.amdhsa_exception_fp_ieee_underflow 0
		.amdhsa_exception_fp_ieee_inexact 0
		.amdhsa_exception_int_div_zero 0
	.end_amdhsa_kernel
	.section	.text._ZL13mul_mat_vec_qIN3c108BFloat16ELi256ELi16E10block_q3_KLi1EXadL_ZL17vec_dot_q3_K_q8_1PKvPK10block_q8_1RKiEEEvS4_S4_PT_iii,"axG",@progbits,_ZL13mul_mat_vec_qIN3c108BFloat16ELi256ELi16E10block_q3_KLi1EXadL_ZL17vec_dot_q3_K_q8_1PKvPK10block_q8_1RKiEEEvS4_S4_PT_iii,comdat
.Lfunc_end104:
	.size	_ZL13mul_mat_vec_qIN3c108BFloat16ELi256ELi16E10block_q3_KLi1EXadL_ZL17vec_dot_q3_K_q8_1PKvPK10block_q8_1RKiEEEvS4_S4_PT_iii, .Lfunc_end104-_ZL13mul_mat_vec_qIN3c108BFloat16ELi256ELi16E10block_q3_KLi1EXadL_ZL17vec_dot_q3_K_q8_1PKvPK10block_q8_1RKiEEEvS4_S4_PT_iii
                                        ; -- End function
	.set _ZL13mul_mat_vec_qIN3c108BFloat16ELi256ELi16E10block_q3_KLi1EXadL_ZL17vec_dot_q3_K_q8_1PKvPK10block_q8_1RKiEEEvS4_S4_PT_iii.num_vgpr, 61
	.set _ZL13mul_mat_vec_qIN3c108BFloat16ELi256ELi16E10block_q3_KLi1EXadL_ZL17vec_dot_q3_K_q8_1PKvPK10block_q8_1RKiEEEvS4_S4_PT_iii.num_agpr, 0
	.set _ZL13mul_mat_vec_qIN3c108BFloat16ELi256ELi16E10block_q3_KLi1EXadL_ZL17vec_dot_q3_K_q8_1PKvPK10block_q8_1RKiEEEvS4_S4_PT_iii.numbered_sgpr, 12
	.set _ZL13mul_mat_vec_qIN3c108BFloat16ELi256ELi16E10block_q3_KLi1EXadL_ZL17vec_dot_q3_K_q8_1PKvPK10block_q8_1RKiEEEvS4_S4_PT_iii.num_named_barrier, 0
	.set _ZL13mul_mat_vec_qIN3c108BFloat16ELi256ELi16E10block_q3_KLi1EXadL_ZL17vec_dot_q3_K_q8_1PKvPK10block_q8_1RKiEEEvS4_S4_PT_iii.private_seg_size, 0
	.set _ZL13mul_mat_vec_qIN3c108BFloat16ELi256ELi16E10block_q3_KLi1EXadL_ZL17vec_dot_q3_K_q8_1PKvPK10block_q8_1RKiEEEvS4_S4_PT_iii.uses_vcc, 1
	.set _ZL13mul_mat_vec_qIN3c108BFloat16ELi256ELi16E10block_q3_KLi1EXadL_ZL17vec_dot_q3_K_q8_1PKvPK10block_q8_1RKiEEEvS4_S4_PT_iii.uses_flat_scratch, 0
	.set _ZL13mul_mat_vec_qIN3c108BFloat16ELi256ELi16E10block_q3_KLi1EXadL_ZL17vec_dot_q3_K_q8_1PKvPK10block_q8_1RKiEEEvS4_S4_PT_iii.has_dyn_sized_stack, 0
	.set _ZL13mul_mat_vec_qIN3c108BFloat16ELi256ELi16E10block_q3_KLi1EXadL_ZL17vec_dot_q3_K_q8_1PKvPK10block_q8_1RKiEEEvS4_S4_PT_iii.has_recursion, 0
	.set _ZL13mul_mat_vec_qIN3c108BFloat16ELi256ELi16E10block_q3_KLi1EXadL_ZL17vec_dot_q3_K_q8_1PKvPK10block_q8_1RKiEEEvS4_S4_PT_iii.has_indirect_call, 0
	.section	.AMDGPU.csdata,"",@progbits
; Kernel info:
; codeLenInByte = 2928
; TotalNumSgprs: 14
; NumVgprs: 61
; ScratchSize: 0
; MemoryBound: 0
; FloatMode: 240
; IeeeMode: 1
; LDSByteSize: 0 bytes/workgroup (compile time only)
; SGPRBlocks: 0
; VGPRBlocks: 3
; NumSGPRsForWavesPerEU: 14
; NumVGPRsForWavesPerEU: 61
; NamedBarCnt: 0
; Occupancy: 16
; WaveLimiterHint : 0
; COMPUTE_PGM_RSRC2:SCRATCH_EN: 0
; COMPUTE_PGM_RSRC2:USER_SGPR: 2
; COMPUTE_PGM_RSRC2:TRAP_HANDLER: 0
; COMPUTE_PGM_RSRC2:TGID_X_EN: 1
; COMPUTE_PGM_RSRC2:TGID_Y_EN: 1
; COMPUTE_PGM_RSRC2:TGID_Z_EN: 0
; COMPUTE_PGM_RSRC2:TIDIG_COMP_CNT: 1
	.section	.text._ZL13mul_mat_vec_qIN3c108BFloat16ELi256ELi32E10block_q4_KLi2EXadL_ZL17vec_dot_q4_K_q8_1PKvPK10block_q8_1RKiEEEvS4_S4_PT_iii,"axG",@progbits,_ZL13mul_mat_vec_qIN3c108BFloat16ELi256ELi32E10block_q4_KLi2EXadL_ZL17vec_dot_q4_K_q8_1PKvPK10block_q8_1RKiEEEvS4_S4_PT_iii,comdat
	.globl	_ZL13mul_mat_vec_qIN3c108BFloat16ELi256ELi32E10block_q4_KLi2EXadL_ZL17vec_dot_q4_K_q8_1PKvPK10block_q8_1RKiEEEvS4_S4_PT_iii ; -- Begin function _ZL13mul_mat_vec_qIN3c108BFloat16ELi256ELi32E10block_q4_KLi2EXadL_ZL17vec_dot_q4_K_q8_1PKvPK10block_q8_1RKiEEEvS4_S4_PT_iii
	.p2align	8
	.type	_ZL13mul_mat_vec_qIN3c108BFloat16ELi256ELi32E10block_q4_KLi2EXadL_ZL17vec_dot_q4_K_q8_1PKvPK10block_q8_1RKiEEEvS4_S4_PT_iii,@function
_ZL13mul_mat_vec_qIN3c108BFloat16ELi256ELi32E10block_q4_KLi2EXadL_ZL17vec_dot_q4_K_q8_1PKvPK10block_q8_1RKiEEEvS4_S4_PT_iii: ; @_ZL13mul_mat_vec_qIN3c108BFloat16ELi256ELi32E10block_q4_KLi2EXadL_ZL17vec_dot_q4_K_q8_1PKvPK10block_q8_1RKiEEEvS4_S4_PT_iii
; %bb.0:
	s_clause 0x1
	s_load_u16 s2, s[0:1], 0x36
	s_load_b96 s[8:10], s[0:1], 0x18
	s_bfe_u32 s4, ttmp6, 0x4000c
	s_bfe_u32 s5, ttmp6, 0x40010
	s_add_co_i32 s4, s4, 1
	s_add_co_i32 s5, s5, 1
	s_and_b32 s3, ttmp6, 15
	s_mul_i32 s4, ttmp9, s4
	s_mul_i32 s5, ttmp7, s5
	s_bfe_u32 s6, ttmp6, 0x40004
	s_add_co_i32 s3, s3, s4
	s_getreg_b32 s4, hwreg(HW_REG_IB_STS2, 6, 4)
	s_add_co_i32 s6, s6, s5
	v_bfe_u32 v1, v0, 10, 10
	s_cmp_eq_u32 s4, 0
	s_cselect_b32 s3, ttmp9, s3
	s_cselect_b32 s11, ttmp7, s6
	s_wait_kmcnt 0x0
	v_mad_u32 v14, s3, s2, v1
	s_cmp_lt_u32 s11, s10
	s_cselect_b32 s2, -1, 0
	s_delay_alu instid0(VALU_DEP_1) | instskip(SKIP_1) | instid1(SALU_CYCLE_1)
	v_cmp_gt_u32_e32 vcc_lo, s9, v14
	s_and_b32 s2, s2, vcc_lo
	s_and_saveexec_b32 s3, s2
	s_cbranch_execz .LBB105_11
; %bb.1:
	s_load_b64 s[2:3], s[0:1], 0x10
	s_ashr_i32 s4, s8, 31
	v_bfe_u32 v16, v0, 4, 6
	s_lshr_b32 s4, s4, 24
	v_and_b32_e32 v15, 0x3ff, v0
	v_mov_b32_e32 v18, 0
	s_add_co_i32 s4, s8, s4
	s_mov_b32 s10, exec_lo
	s_ashr_i32 s12, s4, 8
	s_delay_alu instid0(SALU_CYCLE_1)
	v_cmpx_gt_u32_e64 s12, v16
	s_cbranch_execz .LBB105_9
; %bb.2:
	s_load_b128 s[4:7], s[0:1], 0x0
	v_dual_lshlrev_b32 v0, 1, v15 :: v_dual_bitop2_b32 v8, 3, v15 bitop3:0x40
	s_addk_co_i32 s8, 0x1ff
	v_mul_lo_u32 v17, v14, s12
	s_wait_xcnt 0x0
	s_ashr_i32 s0, s8, 31
	v_bfe_u32 v6, v0, 3, 2
	v_dual_mov_b32 v1, 0 :: v_dual_bitop2_b32 v4, 30, v0 bitop3:0x40
	s_lshr_b32 s0, s0, 23
	s_delay_alu instid0(VALU_DEP_2)
	v_dual_lshlrev_b32 v7, 3, v16 :: v_dual_lshlrev_b32 v0, 5, v6
	v_lshlrev_b32_e32 v5, 1, v6
	s_add_co_i32 s8, s8, s0
	v_cmp_lt_u32_e32 vcc_lo, 15, v4
	s_ashr_i32 s0, s8, 9
	v_dual_lshlrev_b32 v2, 2, v8 :: v_dual_lshlrev_b32 v6, 1, v6
	s_mul_i32 s0, s11, s0
	v_mov_b32_e32 v3, v1
	s_wait_kmcnt 0x0
	v_mad_nc_u64_u32 v[4:5], v5, 36, s[6:7]
	v_lshl_add_u32 v19, s0, 4, v7
	v_dual_mov_b32 v7, v1 :: v_dual_lshlrev_b32 v8, 2, v8
	v_dual_mov_b32 v9, v1 :: v_dual_mov_b32 v18, v1
	s_mov_b32 s1, 0
	s_movk_i32 s6, 0xff
	s_branch .LBB105_4
.LBB105_3:                              ;   in Loop: Header=BB105_4 Depth=1
	s_or_b32 exec_lo, exec_lo, s0
	v_mad_nc_i64_i32 v[12:13], v19, 36, v[4:5]
	s_wait_loadcnt 0x0
	v_bfe_u32 v34, v20, 16, 4
	v_bfe_u32 v39, v21, 4, 4
	;; [unrolled: 1-line block ×3, first 2 shown]
	v_dual_lshrrev_b32 v38, 28, v20 :: v_dual_bitop2_b32 v33, 15, v20 bitop3:0x40
	v_and_b32_e32 v35, 0xff00ff, v22
	v_bfe_u32 v41, v20, 4, 4
	v_bfe_u32 v40, v21, 12, 4
	;; [unrolled: 1-line block ×3, first 2 shown]
	v_lshrrev_b32_e32 v37, 4, v20
	v_add_nc_u64_e32 v[24:25], v[12:13], v[8:9]
	s_clause 0x4
	global_load_b32 v23, v[24:25], off offset:4
	global_load_b32 v26, v[24:25], off offset:20
	;; [unrolled: 1-line block ×4, first 2 shown]
	global_load_b32 v29, v[12:13], off
	global_load_b32 v30, v[10:11], off
	global_load_b32 v31, v[12:13], off offset:36
	s_wait_xcnt 0x1
	v_and_b32_e32 v11, 0xf0f0f0f, v21
	s_wait_xcnt 0x0
	v_and_b32_e32 v13, 0xf0f0f0f, v20
	v_and_b32_e32 v25, 15, v21
	v_bfe_u32 v24, v20, 24, 4
	v_lshrrev_b16 v37, 8, v37
	v_lshrrev_b16 v11, 8, v11
	v_lshrrev_b16 v13, 8, v13
	v_bfe_u32 v12, v21, 24, 4
	v_bfe_u32 v20, v20, 20, 4
	v_dual_lshrrev_b32 v35, 16, v35 :: v_dual_bitop2_b32 v37, 15, v37 bitop3:0x40
	v_and_b32_e32 v11, 0xffff, v11
	v_and_b32_e32 v13, 0xffff, v13
	v_pk_lshrrev_b16 v10, 8, v22 op_sel_hi:[0,1]
	s_delay_alu instid0(VALU_DEP_4) | instskip(SKIP_2) | instid1(VALU_DEP_4)
	v_and_b32_e32 v37, 0xffff, v37
	v_lshrrev_b32_e32 v21, 28, v21
	v_bitop3_b32 v22, v22, s6, 0xff00ff bitop3:0x80
	v_dual_add_nc_u32 v16, 2, v16 :: v_dual_lshrrev_b32 v42, 16, v10
	v_and_b32_e32 v10, 0xff, v10
	v_add_nc_u32_e32 v19, 16, v19
	s_delay_alu instid0(VALU_DEP_3)
	v_cmp_le_u32_e64 s0, s12, v16
	s_or_b32 s1, s0, s1
	s_wait_loadcnt 0x6
	v_lshrrev_b16 v43, 8, v23
	s_wait_loadcnt 0x5
	v_lshrrev_b16 v44, 8, v26
	v_dual_ashrrev_i32 v46, 24, v23 :: v_dual_ashrrev_i32 v48, 24, v26
	v_bfe_i32 v47, v23, 0, 8
	v_bfe_i32 v49, v26, 16, 8
	s_wait_loadcnt 0x3
	v_bfe_i32 v50, v28, 0, 8
	v_bfe_i32 v51, v28, 8, 8
	;; [unrolled: 1-line block ×3, first 2 shown]
	v_dual_ashrrev_i32 v28, 24, v28 :: v_dual_ashrrev_i32 v54, 24, v27
	v_bfe_i32 v43, v43, 0, 8
	v_lshrrev_b16 v45, 8, v27
	v_bfe_i32 v23, v23, 16, 8
	v_bfe_i32 v26, v26, 0, 8
	;; [unrolled: 1-line block ×5, first 2 shown]
	v_mul_i32_i24_e32 v34, v49, v34
	v_mul_i32_i24_e32 v24, v48, v24
	v_mul_i32_i24_e32 v39, v50, v39
	v_add_nc_u32_e32 v50, v50, v28
	v_mul_i32_i24_e32 v11, v43, v11
	v_add_nc_u32_e32 v43, v43, v47
	v_mul_i32_i24_e32 v33, v26, v33
	v_bfe_i32 v45, v45, 0, 8
	v_mul_i32_i24_e32 v20, v27, v20
	v_mul_i32_i24_e32 v38, v54, v38
	;; [unrolled: 1-line block ×3, first 2 shown]
	v_mad_i32_i24 v32, v23, v32, v34
	v_mad_i32_i24 v12, v46, v12, v24
	v_add3_u32 v23, v43, v23, v46
	v_mul_i32_i24_e32 v40, v51, v40
	v_mad_i32_i24 v25, v47, v25, v33
	v_mad_i32_i24 v20, v53, v41, v20
	;; [unrolled: 1-line block ×3, first 2 shown]
	v_add3_u32 v33, v50, v51, v52
	v_add3_u32 v11, v11, v13, v12
	;; [unrolled: 1-line block ×3, first 2 shown]
	v_mul_i32_i24_e32 v36, v52, v36
	v_mad_i32_i24 v13, v28, v21, v40
	v_add3_u32 v20, v20, v24, v39
	v_add3_u32 v21, v33, v45, v53
	v_add3_u32 v11, v25, v32, v11
	v_add3_u32 v12, v12, v49, v48
	s_delay_alu instid0(VALU_DEP_4) | instskip(NEXT) | instid1(VALU_DEP_4)
	v_add3_u32 v13, v20, v13, v36
	v_add3_u32 v20, v21, v27, v54
	s_delay_alu instid0(VALU_DEP_4) | instskip(NEXT) | instid1(VALU_DEP_4)
	v_mul_lo_u32 v11, v11, v22
	v_mul_lo_u32 v21, v12, v35
	s_delay_alu instid0(VALU_DEP_4) | instskip(NEXT) | instid1(VALU_DEP_4)
	v_mul_lo_u32 v22, v13, v10
	v_mul_lo_u32 v23, v20, v42
	s_wait_loadcnt 0x2
	v_cvt_f32_f16_e32 v10, v29
	s_wait_loadcnt 0x0
	v_cvt_f32_f16_e32 v20, v31
	v_cvt_f32_i32_e32 v12, v11
	v_cvt_f32_i32_e32 v13, v21
	v_lshrrev_b32_e32 v21, 16, v30
	v_cvt_f32_i32_e32 v22, v22
	v_cvt_f32_i32_e32 v23, v23
	s_delay_alu instid0(VALU_DEP_4) | instskip(SKIP_2) | instid1(VALU_DEP_3)
	v_pk_fma_f32 v[10:11], v[10:11], v[12:13], 0 op_sel_hi:[0,1,0]
	v_cvt_f32_f16_e32 v12, v30
	v_cvt_f32_f16_e32 v13, v21
	v_pk_fma_f32 v[10:11], v[20:21], v[22:23], v[10:11] op_sel_hi:[0,1,1]
	s_delay_alu instid0(VALU_DEP_1) | instskip(NEXT) | instid1(VALU_DEP_1)
	v_pk_mul_f32 v[10:11], v[10:11], v[12:13]
	v_sub_f32_e32 v10, v10, v11
	s_delay_alu instid0(VALU_DEP_1)
	v_add_f32_e32 v18, v18, v10
	s_and_not1_b32 exec_lo, exec_lo, s1
	s_cbranch_execz .LBB105_8
.LBB105_4:                              ; =>This Inner Loop Header: Depth=1
	v_add_nc_u32_e32 v10, v17, v16
                                        ; implicit-def: $vgpr22
	s_delay_alu instid0(VALU_DEP_1) | instskip(NEXT) | instid1(VALU_DEP_1)
	v_mad_nc_i64_i32 v[10:11], 0x90, v10, s[4:5]
	v_add_nc_u64_e32 v[12:13], v[10:11], v[0:1]
	s_delay_alu instid0(VALU_DEP_1)
	v_add_nc_u64_e32 v[12:13], v[12:13], v[2:3]
	s_clause 0x1
	global_load_b32 v21, v[12:13], off offset:16
	global_load_b32 v20, v[12:13], off offset:32
	s_wait_xcnt 0x0
	v_add_nc_u64_e32 v[12:13], v[10:11], v[6:7]
	s_and_saveexec_b32 s0, vcc_lo
	s_delay_alu instid0(SALU_CYCLE_1)
	s_xor_b32 s0, exec_lo, s0
	s_cbranch_execz .LBB105_6
; %bb.5:                                ;   in Loop: Header=BB105_4 Depth=1
	s_clause 0x2
	global_load_u16 v22, v[12:13], off
	global_load_u16 v23, v[12:13], off offset:8
	global_load_u16 v24, v[12:13], off offset:4
	s_wait_loadcnt 0x1
	s_wait_xcnt 0x0
	v_pk_lshrrev_b16 v12, 4, v23 op_sel:[1,0] op_sel_hi:[0,0]
	s_wait_loadcnt 0x0
	v_perm_b32 v13, v24, v22, 0x5040100
	s_delay_alu instid0(VALU_DEP_2) | instskip(NEXT) | instid1(VALU_DEP_2)
	v_and_b32_e32 v12, 0xf0f0f0f, v12
	v_pk_lshrrev_b16 v13, 2, v13 op_sel_hi:[0,1]
	s_delay_alu instid0(VALU_DEP_1)
	v_and_or_b32 v22, 0x30303030, v13, v12
                                        ; implicit-def: $vgpr12_vgpr13
.LBB105_6:                              ;   in Loop: Header=BB105_4 Depth=1
	s_and_not1_saveexec_b32 s0, s0
	s_cbranch_execz .LBB105_3
; %bb.7:                                ;   in Loop: Header=BB105_4 Depth=1
	s_clause 0x1
	global_load_u16 v22, v[12:13], off offset:4
	global_load_u16 v23, v[12:13], off offset:8
	s_wait_loadcnt 0x0
	v_perm_b32 v12, v23, v22, 0x5040100
	s_delay_alu instid0(VALU_DEP_1)
	v_and_b32_e32 v22, 0x3f3f3f3f, v12
	s_branch .LBB105_3
.LBB105_8:
	s_or_b32 exec_lo, exec_lo, s1
.LBB105_9:
	s_delay_alu instid0(SALU_CYCLE_1) | instskip(SKIP_1) | instid1(VALU_DEP_1)
	s_or_b32 exec_lo, exec_lo, s10
	v_mbcnt_lo_u32_b32 v0, -1, 0
	v_xor_b32_e32 v2, 8, v0
	v_xor_b32_e32 v1, 16, v0
	;; [unrolled: 1-line block ×3, first 2 shown]
	s_delay_alu instid0(VALU_DEP_2) | instskip(SKIP_4) | instid1(VALU_DEP_2)
	v_cmp_gt_i32_e32 vcc_lo, 32, v1
	v_cndmask_b32_e32 v1, v0, v1, vcc_lo
	v_cmp_gt_i32_e32 vcc_lo, 32, v2
	v_cndmask_b32_e32 v2, v0, v2, vcc_lo
	v_cmp_gt_i32_e32 vcc_lo, 32, v3
	v_dual_lshlrev_b32 v2, 2, v2 :: v_dual_lshlrev_b32 v1, 2, v1
	ds_bpermute_b32 v1, v1, v18
	s_wait_dscnt 0x0
	v_add_f32_e32 v1, v18, v1
	ds_bpermute_b32 v2, v2, v1
	s_wait_dscnt 0x0
	v_dual_cndmask_b32 v3, v0, v3, vcc_lo :: v_dual_add_f32 v1, v1, v2
	s_delay_alu instid0(VALU_DEP_1) | instskip(SKIP_3) | instid1(VALU_DEP_1)
	v_lshlrev_b32_e32 v3, 2, v3
	ds_bpermute_b32 v2, v3, v1
	s_wait_dscnt 0x0
	v_dual_add_f32 v1, v1, v2 :: v_dual_bitop2_b32 v3, 2, v0 bitop3:0x14
	v_cmp_gt_i32_e32 vcc_lo, 32, v3
	v_cndmask_b32_e32 v3, v0, v3, vcc_lo
	s_delay_alu instid0(VALU_DEP_1) | instskip(SKIP_2) | instid1(VALU_DEP_1)
	v_lshlrev_b32_e32 v3, 2, v3
	ds_bpermute_b32 v2, v3, v1
	v_xor_b32_e32 v3, 1, v0
	v_cmp_gt_i32_e32 vcc_lo, 32, v3
	v_cndmask_b32_e32 v3, v0, v3, vcc_lo
	v_cmp_eq_u32_e32 vcc_lo, 0, v15
	s_wait_dscnt 0x0
	s_delay_alu instid0(VALU_DEP_2)
	v_dual_add_f32 v0, v1, v2 :: v_dual_lshlrev_b32 v1, 2, v3
	ds_bpermute_b32 v1, v1, v0
	s_and_b32 exec_lo, exec_lo, vcc_lo
	s_cbranch_execz .LBB105_11
; %bb.10:
	s_wait_dscnt 0x0
	v_add_f32_e32 v0, v0, v1
	v_mad_u32 v2, s9, s11, v14
	s_delay_alu instid0(VALU_DEP_2) | instskip(NEXT) | instid1(VALU_DEP_1)
	v_bfe_u32 v1, v0, 16, 1
	v_add3_u32 v1, v0, v1, 0x7fff
	s_delay_alu instid0(VALU_DEP_1) | instskip(SKIP_1) | instid1(VALU_DEP_2)
	v_lshrrev_b32_e32 v1, 16, v1
	v_cmp_o_f32_e32 vcc_lo, v0, v0
	v_cndmask_b32_e32 v0, 0x7fc0, v1, vcc_lo
	s_wait_kmcnt 0x0
	global_store_b16 v2, v0, s[2:3] scale_offset
.LBB105_11:
	s_endpgm
	.section	.rodata,"a",@progbits
	.p2align	6, 0x0
	.amdhsa_kernel _ZL13mul_mat_vec_qIN3c108BFloat16ELi256ELi32E10block_q4_KLi2EXadL_ZL17vec_dot_q4_K_q8_1PKvPK10block_q8_1RKiEEEvS4_S4_PT_iii
		.amdhsa_group_segment_fixed_size 0
		.amdhsa_private_segment_fixed_size 0
		.amdhsa_kernarg_size 296
		.amdhsa_user_sgpr_count 2
		.amdhsa_user_sgpr_dispatch_ptr 0
		.amdhsa_user_sgpr_queue_ptr 0
		.amdhsa_user_sgpr_kernarg_segment_ptr 1
		.amdhsa_user_sgpr_dispatch_id 0
		.amdhsa_user_sgpr_kernarg_preload_length 0
		.amdhsa_user_sgpr_kernarg_preload_offset 0
		.amdhsa_user_sgpr_private_segment_size 0
		.amdhsa_wavefront_size32 1
		.amdhsa_uses_dynamic_stack 0
		.amdhsa_enable_private_segment 0
		.amdhsa_system_sgpr_workgroup_id_x 1
		.amdhsa_system_sgpr_workgroup_id_y 1
		.amdhsa_system_sgpr_workgroup_id_z 0
		.amdhsa_system_sgpr_workgroup_info 0
		.amdhsa_system_vgpr_workitem_id 1
		.amdhsa_next_free_vgpr 55
		.amdhsa_next_free_sgpr 13
		.amdhsa_named_barrier_count 0
		.amdhsa_reserve_vcc 1
		.amdhsa_float_round_mode_32 0
		.amdhsa_float_round_mode_16_64 0
		.amdhsa_float_denorm_mode_32 3
		.amdhsa_float_denorm_mode_16_64 3
		.amdhsa_fp16_overflow 0
		.amdhsa_memory_ordered 1
		.amdhsa_forward_progress 1
		.amdhsa_inst_pref_size 14
		.amdhsa_round_robin_scheduling 0
		.amdhsa_exception_fp_ieee_invalid_op 0
		.amdhsa_exception_fp_denorm_src 0
		.amdhsa_exception_fp_ieee_div_zero 0
		.amdhsa_exception_fp_ieee_overflow 0
		.amdhsa_exception_fp_ieee_underflow 0
		.amdhsa_exception_fp_ieee_inexact 0
		.amdhsa_exception_int_div_zero 0
	.end_amdhsa_kernel
	.section	.text._ZL13mul_mat_vec_qIN3c108BFloat16ELi256ELi32E10block_q4_KLi2EXadL_ZL17vec_dot_q4_K_q8_1PKvPK10block_q8_1RKiEEEvS4_S4_PT_iii,"axG",@progbits,_ZL13mul_mat_vec_qIN3c108BFloat16ELi256ELi32E10block_q4_KLi2EXadL_ZL17vec_dot_q4_K_q8_1PKvPK10block_q8_1RKiEEEvS4_S4_PT_iii,comdat
.Lfunc_end105:
	.size	_ZL13mul_mat_vec_qIN3c108BFloat16ELi256ELi32E10block_q4_KLi2EXadL_ZL17vec_dot_q4_K_q8_1PKvPK10block_q8_1RKiEEEvS4_S4_PT_iii, .Lfunc_end105-_ZL13mul_mat_vec_qIN3c108BFloat16ELi256ELi32E10block_q4_KLi2EXadL_ZL17vec_dot_q4_K_q8_1PKvPK10block_q8_1RKiEEEvS4_S4_PT_iii
                                        ; -- End function
	.set _ZL13mul_mat_vec_qIN3c108BFloat16ELi256ELi32E10block_q4_KLi2EXadL_ZL17vec_dot_q4_K_q8_1PKvPK10block_q8_1RKiEEEvS4_S4_PT_iii.num_vgpr, 55
	.set _ZL13mul_mat_vec_qIN3c108BFloat16ELi256ELi32E10block_q4_KLi2EXadL_ZL17vec_dot_q4_K_q8_1PKvPK10block_q8_1RKiEEEvS4_S4_PT_iii.num_agpr, 0
	.set _ZL13mul_mat_vec_qIN3c108BFloat16ELi256ELi32E10block_q4_KLi2EXadL_ZL17vec_dot_q4_K_q8_1PKvPK10block_q8_1RKiEEEvS4_S4_PT_iii.numbered_sgpr, 13
	.set _ZL13mul_mat_vec_qIN3c108BFloat16ELi256ELi32E10block_q4_KLi2EXadL_ZL17vec_dot_q4_K_q8_1PKvPK10block_q8_1RKiEEEvS4_S4_PT_iii.num_named_barrier, 0
	.set _ZL13mul_mat_vec_qIN3c108BFloat16ELi256ELi32E10block_q4_KLi2EXadL_ZL17vec_dot_q4_K_q8_1PKvPK10block_q8_1RKiEEEvS4_S4_PT_iii.private_seg_size, 0
	.set _ZL13mul_mat_vec_qIN3c108BFloat16ELi256ELi32E10block_q4_KLi2EXadL_ZL17vec_dot_q4_K_q8_1PKvPK10block_q8_1RKiEEEvS4_S4_PT_iii.uses_vcc, 1
	.set _ZL13mul_mat_vec_qIN3c108BFloat16ELi256ELi32E10block_q4_KLi2EXadL_ZL17vec_dot_q4_K_q8_1PKvPK10block_q8_1RKiEEEvS4_S4_PT_iii.uses_flat_scratch, 0
	.set _ZL13mul_mat_vec_qIN3c108BFloat16ELi256ELi32E10block_q4_KLi2EXadL_ZL17vec_dot_q4_K_q8_1PKvPK10block_q8_1RKiEEEvS4_S4_PT_iii.has_dyn_sized_stack, 0
	.set _ZL13mul_mat_vec_qIN3c108BFloat16ELi256ELi32E10block_q4_KLi2EXadL_ZL17vec_dot_q4_K_q8_1PKvPK10block_q8_1RKiEEEvS4_S4_PT_iii.has_recursion, 0
	.set _ZL13mul_mat_vec_qIN3c108BFloat16ELi256ELi32E10block_q4_KLi2EXadL_ZL17vec_dot_q4_K_q8_1PKvPK10block_q8_1RKiEEEvS4_S4_PT_iii.has_indirect_call, 0
	.section	.AMDGPU.csdata,"",@progbits
; Kernel info:
; codeLenInByte = 1748
; TotalNumSgprs: 15
; NumVgprs: 55
; ScratchSize: 0
; MemoryBound: 0
; FloatMode: 240
; IeeeMode: 1
; LDSByteSize: 0 bytes/workgroup (compile time only)
; SGPRBlocks: 0
; VGPRBlocks: 3
; NumSGPRsForWavesPerEU: 15
; NumVGPRsForWavesPerEU: 55
; NamedBarCnt: 0
; Occupancy: 16
; WaveLimiterHint : 0
; COMPUTE_PGM_RSRC2:SCRATCH_EN: 0
; COMPUTE_PGM_RSRC2:USER_SGPR: 2
; COMPUTE_PGM_RSRC2:TRAP_HANDLER: 0
; COMPUTE_PGM_RSRC2:TGID_X_EN: 1
; COMPUTE_PGM_RSRC2:TGID_Y_EN: 1
; COMPUTE_PGM_RSRC2:TGID_Z_EN: 0
; COMPUTE_PGM_RSRC2:TIDIG_COMP_CNT: 1
	.section	.text._ZL13mul_mat_vec_qIN3c108BFloat16ELi256ELi32E10block_q5_KLi2EXadL_ZL17vec_dot_q5_K_q8_1PKvPK10block_q8_1RKiEEEvS4_S4_PT_iii,"axG",@progbits,_ZL13mul_mat_vec_qIN3c108BFloat16ELi256ELi32E10block_q5_KLi2EXadL_ZL17vec_dot_q5_K_q8_1PKvPK10block_q8_1RKiEEEvS4_S4_PT_iii,comdat
	.globl	_ZL13mul_mat_vec_qIN3c108BFloat16ELi256ELi32E10block_q5_KLi2EXadL_ZL17vec_dot_q5_K_q8_1PKvPK10block_q8_1RKiEEEvS4_S4_PT_iii ; -- Begin function _ZL13mul_mat_vec_qIN3c108BFloat16ELi256ELi32E10block_q5_KLi2EXadL_ZL17vec_dot_q5_K_q8_1PKvPK10block_q8_1RKiEEEvS4_S4_PT_iii
	.p2align	8
	.type	_ZL13mul_mat_vec_qIN3c108BFloat16ELi256ELi32E10block_q5_KLi2EXadL_ZL17vec_dot_q5_K_q8_1PKvPK10block_q8_1RKiEEEvS4_S4_PT_iii,@function
_ZL13mul_mat_vec_qIN3c108BFloat16ELi256ELi32E10block_q5_KLi2EXadL_ZL17vec_dot_q5_K_q8_1PKvPK10block_q8_1RKiEEEvS4_S4_PT_iii: ; @_ZL13mul_mat_vec_qIN3c108BFloat16ELi256ELi32E10block_q5_KLi2EXadL_ZL17vec_dot_q5_K_q8_1PKvPK10block_q8_1RKiEEEvS4_S4_PT_iii
; %bb.0:
	s_clause 0x1
	s_load_u16 s2, s[0:1], 0x36
	s_load_b96 s[8:10], s[0:1], 0x18
	s_bfe_u32 s4, ttmp6, 0x4000c
	s_bfe_u32 s5, ttmp6, 0x40010
	s_add_co_i32 s4, s4, 1
	s_add_co_i32 s5, s5, 1
	s_and_b32 s3, ttmp6, 15
	s_mul_i32 s4, ttmp9, s4
	s_mul_i32 s5, ttmp7, s5
	s_bfe_u32 s6, ttmp6, 0x40004
	s_add_co_i32 s3, s3, s4
	s_getreg_b32 s4, hwreg(HW_REG_IB_STS2, 6, 4)
	s_add_co_i32 s6, s6, s5
	v_bfe_u32 v1, v0, 10, 10
	s_cmp_eq_u32 s4, 0
	s_cselect_b32 s3, ttmp9, s3
	s_cselect_b32 s11, ttmp7, s6
	s_wait_kmcnt 0x0
	v_mad_u32 v14, s3, s2, v1
	s_cmp_lt_u32 s11, s10
	s_cselect_b32 s2, -1, 0
	s_delay_alu instid0(VALU_DEP_1) | instskip(SKIP_1) | instid1(SALU_CYCLE_1)
	v_cmp_gt_u32_e32 vcc_lo, s9, v14
	s_and_b32 s2, s2, vcc_lo
	s_and_saveexec_b32 s3, s2
	s_cbranch_execz .LBB106_11
; %bb.1:
	s_load_b64 s[2:3], s[0:1], 0x10
	s_ashr_i32 s4, s8, 31
	v_bfe_u32 v16, v0, 4, 6
	s_lshr_b32 s4, s4, 24
	v_and_b32_e32 v15, 0x3ff, v0
	v_mov_b32_e32 v18, 0
	s_add_co_i32 s4, s8, s4
	s_mov_b32 s10, exec_lo
	s_ashr_i32 s12, s4, 8
	s_delay_alu instid0(SALU_CYCLE_1)
	v_cmpx_gt_u32_e64 s12, v16
	s_cbranch_execz .LBB106_9
; %bb.2:
	s_load_b128 s[4:7], s[0:1], 0x0
	v_dual_lshlrev_b32 v0, 1, v15 :: v_dual_bitop2_b32 v8, 3, v15 bitop3:0x40
	s_addk_co_i32 s8, 0x1ff
	v_mul_lo_u32 v17, v14, s12
	s_wait_xcnt 0x0
	s_ashr_i32 s0, s8, 31
	v_bfe_u32 v6, v0, 3, 2
	v_dual_mov_b32 v1, 0 :: v_dual_bitop2_b32 v4, 30, v0 bitop3:0x40
	s_lshr_b32 s0, s0, 23
	s_delay_alu instid0(VALU_DEP_2)
	v_dual_lshlrev_b32 v7, 3, v16 :: v_dual_lshlrev_b32 v0, 5, v6
	v_lshlrev_b32_e32 v19, 1, v6
	s_add_co_i32 s8, s8, s0
	v_cmp_lt_u32_e32 vcc_lo, 15, v4
	s_ashr_i32 s0, s8, 9
	v_dual_lshlrev_b32 v2, 2, v8 :: v_dual_lshlrev_b32 v6, 1, v6
	s_mul_i32 s0, s11, s0
	v_mov_b32_e32 v3, v1
	s_wait_kmcnt 0x0
	v_mad_nc_u64_u32 v[4:5], v19, 36, s[6:7]
	v_lshl_add_u32 v20, s0, 4, v7
	v_dual_mov_b32 v7, v1 :: v_dual_lshlrev_b32 v8, 2, v8
	v_dual_mov_b32 v9, v1 :: v_dual_mov_b32 v18, v1
	s_mov_b32 s1, 0
	s_movk_i32 s6, 0xff
	s_branch .LBB106_4
.LBB106_3:                              ;   in Loop: Header=BB106_4 Depth=1
	s_or_b32 exec_lo, exec_lo, s0
	v_mad_nc_i64_i32 v[12:13], v20, 36, v[4:5]
	v_add_nc_u32_e32 v16, 2, v16
	v_add_nc_u32_e32 v20, 16, v20
	s_delay_alu instid0(VALU_DEP_2) | instskip(NEXT) | instid1(VALU_DEP_4)
	v_cmp_le_u32_e64 s0, s12, v16
	v_add_nc_u64_e32 v[26:27], v[12:13], v[8:9]
	s_clause 0x4
	global_load_b32 v28, v[26:27], off offset:4
	global_load_b32 v29, v[26:27], off offset:20
	;; [unrolled: 1-line block ×4, first 2 shown]
	global_load_b32 v32, v[12:13], off
	global_load_b32 v33, v[10:11], off
	global_load_b32 v34, v[12:13], off offset:36
	s_wait_loadcnt 0x7
	s_wait_xcnt 0x0
	v_dual_ashrrev_i32 v11, v19, v25 :: v_dual_ashrrev_i32 v12, v19, v24
	v_and_b32_e32 v13, 0xf0f0f0f, v23
	v_and_b32_e32 v24, 0xf0f0f0f, v22
	v_dual_lshrrev_b32 v23, 4, v23 :: v_dual_lshrrev_b32 v22, 4, v22
	s_delay_alu instid0(VALU_DEP_4) | instskip(SKIP_1) | instid1(VALU_DEP_3)
	v_dual_lshlrev_b32 v26, 4, v12 :: v_dual_lshlrev_b32 v27, 4, v11
	v_dual_lshlrev_b32 v12, 3, v12 :: v_dual_lshlrev_b32 v11, 3, v11
	v_and_b32_e32 v22, 0xf0f0f0f, v22
	s_delay_alu instid0(VALU_DEP_4) | instskip(NEXT) | instid1(VALU_DEP_4)
	v_and_b32_e32 v23, 0xf0f0f0f, v23
	v_and_b32_e32 v27, 0x10101010, v27
	;; [unrolled: 1-line block ×5, first 2 shown]
	v_pk_lshrrev_b16 v10, 8, v21 op_sel_hi:[0,1]
	v_or_b32_e32 v37, v27, v24
	v_bitop3_b32 v24, v27, 31, v24 bitop3:0xc8
	v_or_b32_e32 v27, v11, v22
	v_or_b32_e32 v36, v26, v13
	v_bitop3_b32 v13, v26, 31, v13 bitop3:0xc8
	v_or_b32_e32 v26, v12, v23
	v_bitop3_b32 v11, v11, 31, v22 bitop3:0xc8
	v_dual_lshrrev_b32 v42, 24, v27 :: v_dual_lshrrev_b32 v38, 24, v37
	v_lshrrev_b16 v39, 8, v37
	v_bfe_u32 v37, v37, 16, 5
	v_bitop3_b32 v12, v12, 31, v23 bitop3:0xc8
	v_dual_lshrrev_b32 v40, 24, v26 :: v_dual_lshrrev_b32 v22, 24, v36
	v_lshrrev_b16 v23, 8, v36
	v_bfe_u32 v36, v36, 16, 5
	v_lshrrev_b16 v41, 8, v26
	v_lshrrev_b16 v43, 8, v27
	v_bfe_u32 v27, v27, 16, 5
	v_and_b32_e32 v39, 0xffff, v39
	v_and_b32_e32 v23, 0xffff, v23
	v_bfe_u32 v26, v26, 16, 5
	v_and_b32_e32 v43, 0xffff, v43
	v_and_b32_e32 v41, 0xffff, v41
	;; [unrolled: 1-line block ×3, first 2 shown]
	v_bitop3_b32 v21, v21, s6, 0xff00ff bitop3:0x80
	v_lshrrev_b32_e32 v35, 16, v10
	v_and_b32_e32 v10, 0xff, v10
	s_or_b32 s1, s0, s1
	v_lshrrev_b32_e32 v25, 16, v25
	s_wait_loadcnt 0x6
	v_lshrrev_b16 v44, 8, v28
	s_wait_loadcnt 0x5
	v_bfe_i32 v48, v29, 16, 8
	v_lshrrev_b16 v45, 8, v29
	s_wait_loadcnt 0x4
	v_lshrrev_b16 v46, 8, v30
	v_dual_ashrrev_i32 v47, 24, v29 :: v_dual_ashrrev_i32 v49, 24, v28
	v_bfe_i32 v29, v29, 0, 8
	v_bfe_i32 v50, v28, 0, 8
	;; [unrolled: 1-line block ×3, first 2 shown]
	v_mul_i32_i24_e32 v37, v48, v37
	v_bfe_i32 v44, v44, 0, 8
	s_wait_loadcnt 0x3
	v_dual_ashrrev_i32 v51, 24, v31 :: v_dual_ashrrev_i32 v54, 24, v30
	v_bfe_i32 v52, v31, 16, 8
	v_bfe_i32 v55, v30, 0, 8
	;; [unrolled: 1-line block ×3, first 2 shown]
	v_mul_i32_i24_e32 v24, v29, v24
	v_mul_i32_i24_e32 v38, v47, v38
	v_bfe_i32 v46, v46, 0, 8
	v_mad_i32_i24 v36, v28, v36, v37
	v_add_nc_u32_e32 v37, v50, v44
	v_bfe_i32 v53, v31, 8, 8
	v_bfe_i32 v31, v31, 0, 8
	;; [unrolled: 1-line block ×3, first 2 shown]
	v_mul_i32_i24_e32 v27, v52, v27
	v_mul_i32_i24_e32 v42, v51, v42
	;; [unrolled: 1-line block ×4, first 2 shown]
	v_mad_i32_i24 v13, v50, v13, v24
	v_mad_i32_i24 v22, v49, v22, v38
	v_add_nc_u32_e32 v24, v55, v46
	v_add3_u32 v28, v37, v28, v49
	v_mul_i32_i24_e32 v11, v31, v11
	v_mul_i32_i24_e32 v43, v53, v43
	;; [unrolled: 1-line block ×3, first 2 shown]
	v_mad_i32_i24 v26, v30, v26, v27
	v_mad_i32_i24 v27, v54, v40, v42
	v_add3_u32 v24, v24, v30, v54
	v_add3_u32 v22, v23, v39, v22
	;; [unrolled: 1-line block ×3, first 2 shown]
	v_mad_i32_i24 v11, v55, v12, v11
	v_add3_u32 v12, v38, v43, v27
	v_add3_u32 v24, v24, v51, v31
	;; [unrolled: 1-line block ×4, first 2 shown]
	s_delay_alu instid0(VALU_DEP_4) | instskip(NEXT) | instid1(VALU_DEP_4)
	v_add3_u32 v11, v11, v26, v12
	v_add3_u32 v12, v24, v53, v52
	s_delay_alu instid0(VALU_DEP_4) | instskip(NEXT) | instid1(VALU_DEP_4)
	v_mul_lo_u32 v13, v13, v21
	v_mul_lo_u32 v21, v22, v25
	s_wait_loadcnt 0x0
	v_cvt_f32_f16_e32 v22, v34
	v_mul_lo_u32 v11, v11, v10
	v_mul_lo_u32 v23, v12, v35
	v_cvt_f32_f16_e32 v10, v32
	v_cvt_f32_i32_e32 v12, v13
	v_cvt_f32_i32_e32 v13, v21
	v_lshrrev_b32_e32 v21, 16, v33
	v_cvt_f32_i32_e32 v24, v11
	v_cvt_f32_i32_e32 v25, v23
	s_delay_alu instid0(VALU_DEP_4) | instskip(SKIP_2) | instid1(VALU_DEP_3)
	v_pk_fma_f32 v[10:11], v[10:11], v[12:13], 0 op_sel_hi:[0,1,0]
	v_cvt_f32_f16_e32 v12, v33
	v_cvt_f32_f16_e32 v13, v21
	v_pk_fma_f32 v[10:11], v[22:23], v[24:25], v[10:11] op_sel_hi:[0,1,1]
	s_delay_alu instid0(VALU_DEP_1) | instskip(NEXT) | instid1(VALU_DEP_1)
	v_pk_mul_f32 v[10:11], v[10:11], v[12:13]
	v_sub_f32_e32 v10, v10, v11
	s_delay_alu instid0(VALU_DEP_1)
	v_add_f32_e32 v18, v18, v10
	s_and_not1_b32 exec_lo, exec_lo, s1
	s_cbranch_execz .LBB106_8
.LBB106_4:                              ; =>This Inner Loop Header: Depth=1
	v_add_nc_u32_e32 v10, v17, v16
                                        ; implicit-def: $vgpr21
	s_delay_alu instid0(VALU_DEP_1) | instskip(NEXT) | instid1(VALU_DEP_1)
	v_mad_nc_i64_i32 v[10:11], 0xb0, v10, s[4:5]
	v_add_nc_u64_e32 v[12:13], v[10:11], v[0:1]
	v_add_nc_u64_e32 v[26:27], v[10:11], v[2:3]
	s_delay_alu instid0(VALU_DEP_2)
	v_add_nc_u64_e32 v[12:13], v[12:13], v[2:3]
	s_clause 0x3
	global_load_b32 v23, v[12:13], off offset:48
	global_load_b32 v22, v[12:13], off offset:64
	;; [unrolled: 1-line block ×4, first 2 shown]
	s_wait_xcnt 0x2
	v_add_nc_u64_e32 v[12:13], v[10:11], v[6:7]
	s_wait_xcnt 0x0
	s_and_saveexec_b32 s0, vcc_lo
	s_delay_alu instid0(SALU_CYCLE_1)
	s_xor_b32 s0, exec_lo, s0
	s_cbranch_execz .LBB106_6
; %bb.5:                                ;   in Loop: Header=BB106_4 Depth=1
	s_clause 0x2
	global_load_u16 v21, v[12:13], off
	global_load_u16 v26, v[12:13], off offset:8
	global_load_u16 v27, v[12:13], off offset:4
	s_wait_loadcnt 0x1
	s_wait_xcnt 0x0
	v_pk_lshrrev_b16 v12, 4, v26 op_sel:[1,0] op_sel_hi:[0,0]
	s_wait_loadcnt 0x0
	v_perm_b32 v13, v27, v21, 0x5040100
	s_delay_alu instid0(VALU_DEP_2) | instskip(NEXT) | instid1(VALU_DEP_2)
	v_and_b32_e32 v12, 0xf0f0f0f, v12
	v_pk_lshrrev_b16 v13, 2, v13 op_sel_hi:[0,1]
	s_delay_alu instid0(VALU_DEP_1)
	v_and_or_b32 v21, 0x30303030, v13, v12
                                        ; implicit-def: $vgpr12_vgpr13
.LBB106_6:                              ;   in Loop: Header=BB106_4 Depth=1
	s_and_not1_saveexec_b32 s0, s0
	s_cbranch_execz .LBB106_3
; %bb.7:                                ;   in Loop: Header=BB106_4 Depth=1
	s_clause 0x1
	global_load_u16 v21, v[12:13], off offset:4
	global_load_u16 v26, v[12:13], off offset:8
	s_wait_loadcnt 0x0
	v_perm_b32 v12, v26, v21, 0x5040100
	s_delay_alu instid0(VALU_DEP_1)
	v_and_b32_e32 v21, 0x3f3f3f3f, v12
	s_branch .LBB106_3
.LBB106_8:
	s_or_b32 exec_lo, exec_lo, s1
.LBB106_9:
	s_delay_alu instid0(SALU_CYCLE_1) | instskip(SKIP_1) | instid1(VALU_DEP_1)
	s_or_b32 exec_lo, exec_lo, s10
	v_mbcnt_lo_u32_b32 v0, -1, 0
	v_xor_b32_e32 v2, 8, v0
	v_xor_b32_e32 v1, 16, v0
	;; [unrolled: 1-line block ×3, first 2 shown]
	s_delay_alu instid0(VALU_DEP_2) | instskip(SKIP_4) | instid1(VALU_DEP_2)
	v_cmp_gt_i32_e32 vcc_lo, 32, v1
	v_cndmask_b32_e32 v1, v0, v1, vcc_lo
	v_cmp_gt_i32_e32 vcc_lo, 32, v2
	v_cndmask_b32_e32 v2, v0, v2, vcc_lo
	v_cmp_gt_i32_e32 vcc_lo, 32, v3
	v_dual_lshlrev_b32 v2, 2, v2 :: v_dual_lshlrev_b32 v1, 2, v1
	ds_bpermute_b32 v1, v1, v18
	s_wait_dscnt 0x0
	v_add_f32_e32 v1, v18, v1
	ds_bpermute_b32 v2, v2, v1
	s_wait_dscnt 0x0
	v_dual_cndmask_b32 v3, v0, v3, vcc_lo :: v_dual_add_f32 v1, v1, v2
	s_delay_alu instid0(VALU_DEP_1) | instskip(SKIP_3) | instid1(VALU_DEP_1)
	v_lshlrev_b32_e32 v3, 2, v3
	ds_bpermute_b32 v2, v3, v1
	s_wait_dscnt 0x0
	v_dual_add_f32 v1, v1, v2 :: v_dual_bitop2_b32 v3, 2, v0 bitop3:0x14
	v_cmp_gt_i32_e32 vcc_lo, 32, v3
	v_cndmask_b32_e32 v3, v0, v3, vcc_lo
	s_delay_alu instid0(VALU_DEP_1) | instskip(SKIP_2) | instid1(VALU_DEP_1)
	v_lshlrev_b32_e32 v3, 2, v3
	ds_bpermute_b32 v2, v3, v1
	v_xor_b32_e32 v3, 1, v0
	v_cmp_gt_i32_e32 vcc_lo, 32, v3
	v_cndmask_b32_e32 v3, v0, v3, vcc_lo
	v_cmp_eq_u32_e32 vcc_lo, 0, v15
	s_wait_dscnt 0x0
	s_delay_alu instid0(VALU_DEP_2)
	v_dual_add_f32 v0, v1, v2 :: v_dual_lshlrev_b32 v1, 2, v3
	ds_bpermute_b32 v1, v1, v0
	s_and_b32 exec_lo, exec_lo, vcc_lo
	s_cbranch_execz .LBB106_11
; %bb.10:
	s_wait_dscnt 0x0
	v_add_f32_e32 v0, v0, v1
	v_mad_u32 v2, s9, s11, v14
	s_delay_alu instid0(VALU_DEP_2) | instskip(NEXT) | instid1(VALU_DEP_1)
	v_bfe_u32 v1, v0, 16, 1
	v_add3_u32 v1, v0, v1, 0x7fff
	s_delay_alu instid0(VALU_DEP_1) | instskip(SKIP_1) | instid1(VALU_DEP_2)
	v_lshrrev_b32_e32 v1, 16, v1
	v_cmp_o_f32_e32 vcc_lo, v0, v0
	v_cndmask_b32_e32 v0, 0x7fc0, v1, vcc_lo
	s_wait_kmcnt 0x0
	global_store_b16 v2, v0, s[2:3] scale_offset
.LBB106_11:
	s_endpgm
	.section	.rodata,"a",@progbits
	.p2align	6, 0x0
	.amdhsa_kernel _ZL13mul_mat_vec_qIN3c108BFloat16ELi256ELi32E10block_q5_KLi2EXadL_ZL17vec_dot_q5_K_q8_1PKvPK10block_q8_1RKiEEEvS4_S4_PT_iii
		.amdhsa_group_segment_fixed_size 0
		.amdhsa_private_segment_fixed_size 0
		.amdhsa_kernarg_size 296
		.amdhsa_user_sgpr_count 2
		.amdhsa_user_sgpr_dispatch_ptr 0
		.amdhsa_user_sgpr_queue_ptr 0
		.amdhsa_user_sgpr_kernarg_segment_ptr 1
		.amdhsa_user_sgpr_dispatch_id 0
		.amdhsa_user_sgpr_kernarg_preload_length 0
		.amdhsa_user_sgpr_kernarg_preload_offset 0
		.amdhsa_user_sgpr_private_segment_size 0
		.amdhsa_wavefront_size32 1
		.amdhsa_uses_dynamic_stack 0
		.amdhsa_enable_private_segment 0
		.amdhsa_system_sgpr_workgroup_id_x 1
		.amdhsa_system_sgpr_workgroup_id_y 1
		.amdhsa_system_sgpr_workgroup_id_z 0
		.amdhsa_system_sgpr_workgroup_info 0
		.amdhsa_system_vgpr_workitem_id 1
		.amdhsa_next_free_vgpr 56
		.amdhsa_next_free_sgpr 13
		.amdhsa_named_barrier_count 0
		.amdhsa_reserve_vcc 1
		.amdhsa_float_round_mode_32 0
		.amdhsa_float_round_mode_16_64 0
		.amdhsa_float_denorm_mode_32 3
		.amdhsa_float_denorm_mode_16_64 3
		.amdhsa_fp16_overflow 0
		.amdhsa_memory_ordered 1
		.amdhsa_forward_progress 1
		.amdhsa_inst_pref_size 15
		.amdhsa_round_robin_scheduling 0
		.amdhsa_exception_fp_ieee_invalid_op 0
		.amdhsa_exception_fp_denorm_src 0
		.amdhsa_exception_fp_ieee_div_zero 0
		.amdhsa_exception_fp_ieee_overflow 0
		.amdhsa_exception_fp_ieee_underflow 0
		.amdhsa_exception_fp_ieee_inexact 0
		.amdhsa_exception_int_div_zero 0
	.end_amdhsa_kernel
	.section	.text._ZL13mul_mat_vec_qIN3c108BFloat16ELi256ELi32E10block_q5_KLi2EXadL_ZL17vec_dot_q5_K_q8_1PKvPK10block_q8_1RKiEEEvS4_S4_PT_iii,"axG",@progbits,_ZL13mul_mat_vec_qIN3c108BFloat16ELi256ELi32E10block_q5_KLi2EXadL_ZL17vec_dot_q5_K_q8_1PKvPK10block_q8_1RKiEEEvS4_S4_PT_iii,comdat
.Lfunc_end106:
	.size	_ZL13mul_mat_vec_qIN3c108BFloat16ELi256ELi32E10block_q5_KLi2EXadL_ZL17vec_dot_q5_K_q8_1PKvPK10block_q8_1RKiEEEvS4_S4_PT_iii, .Lfunc_end106-_ZL13mul_mat_vec_qIN3c108BFloat16ELi256ELi32E10block_q5_KLi2EXadL_ZL17vec_dot_q5_K_q8_1PKvPK10block_q8_1RKiEEEvS4_S4_PT_iii
                                        ; -- End function
	.set _ZL13mul_mat_vec_qIN3c108BFloat16ELi256ELi32E10block_q5_KLi2EXadL_ZL17vec_dot_q5_K_q8_1PKvPK10block_q8_1RKiEEEvS4_S4_PT_iii.num_vgpr, 56
	.set _ZL13mul_mat_vec_qIN3c108BFloat16ELi256ELi32E10block_q5_KLi2EXadL_ZL17vec_dot_q5_K_q8_1PKvPK10block_q8_1RKiEEEvS4_S4_PT_iii.num_agpr, 0
	.set _ZL13mul_mat_vec_qIN3c108BFloat16ELi256ELi32E10block_q5_KLi2EXadL_ZL17vec_dot_q5_K_q8_1PKvPK10block_q8_1RKiEEEvS4_S4_PT_iii.numbered_sgpr, 13
	.set _ZL13mul_mat_vec_qIN3c108BFloat16ELi256ELi32E10block_q5_KLi2EXadL_ZL17vec_dot_q5_K_q8_1PKvPK10block_q8_1RKiEEEvS4_S4_PT_iii.num_named_barrier, 0
	.set _ZL13mul_mat_vec_qIN3c108BFloat16ELi256ELi32E10block_q5_KLi2EXadL_ZL17vec_dot_q5_K_q8_1PKvPK10block_q8_1RKiEEEvS4_S4_PT_iii.private_seg_size, 0
	.set _ZL13mul_mat_vec_qIN3c108BFloat16ELi256ELi32E10block_q5_KLi2EXadL_ZL17vec_dot_q5_K_q8_1PKvPK10block_q8_1RKiEEEvS4_S4_PT_iii.uses_vcc, 1
	.set _ZL13mul_mat_vec_qIN3c108BFloat16ELi256ELi32E10block_q5_KLi2EXadL_ZL17vec_dot_q5_K_q8_1PKvPK10block_q8_1RKiEEEvS4_S4_PT_iii.uses_flat_scratch, 0
	.set _ZL13mul_mat_vec_qIN3c108BFloat16ELi256ELi32E10block_q5_KLi2EXadL_ZL17vec_dot_q5_K_q8_1PKvPK10block_q8_1RKiEEEvS4_S4_PT_iii.has_dyn_sized_stack, 0
	.set _ZL13mul_mat_vec_qIN3c108BFloat16ELi256ELi32E10block_q5_KLi2EXadL_ZL17vec_dot_q5_K_q8_1PKvPK10block_q8_1RKiEEEvS4_S4_PT_iii.has_recursion, 0
	.set _ZL13mul_mat_vec_qIN3c108BFloat16ELi256ELi32E10block_q5_KLi2EXadL_ZL17vec_dot_q5_K_q8_1PKvPK10block_q8_1RKiEEEvS4_S4_PT_iii.has_indirect_call, 0
	.section	.AMDGPU.csdata,"",@progbits
; Kernel info:
; codeLenInByte = 1884
; TotalNumSgprs: 15
; NumVgprs: 56
; ScratchSize: 0
; MemoryBound: 0
; FloatMode: 240
; IeeeMode: 1
; LDSByteSize: 0 bytes/workgroup (compile time only)
; SGPRBlocks: 0
; VGPRBlocks: 3
; NumSGPRsForWavesPerEU: 15
; NumVGPRsForWavesPerEU: 56
; NamedBarCnt: 0
; Occupancy: 16
; WaveLimiterHint : 0
; COMPUTE_PGM_RSRC2:SCRATCH_EN: 0
; COMPUTE_PGM_RSRC2:USER_SGPR: 2
; COMPUTE_PGM_RSRC2:TRAP_HANDLER: 0
; COMPUTE_PGM_RSRC2:TGID_X_EN: 1
; COMPUTE_PGM_RSRC2:TGID_Y_EN: 1
; COMPUTE_PGM_RSRC2:TGID_Z_EN: 0
; COMPUTE_PGM_RSRC2:TIDIG_COMP_CNT: 1
	.section	.text._ZL13mul_mat_vec_qIN3c108BFloat16ELi256ELi32E10block_q6_KLi1EXadL_ZL17vec_dot_q6_K_q8_1PKvPK10block_q8_1RKiEEEvS4_S4_PT_iii,"axG",@progbits,_ZL13mul_mat_vec_qIN3c108BFloat16ELi256ELi32E10block_q6_KLi1EXadL_ZL17vec_dot_q6_K_q8_1PKvPK10block_q8_1RKiEEEvS4_S4_PT_iii,comdat
	.globl	_ZL13mul_mat_vec_qIN3c108BFloat16ELi256ELi32E10block_q6_KLi1EXadL_ZL17vec_dot_q6_K_q8_1PKvPK10block_q8_1RKiEEEvS4_S4_PT_iii ; -- Begin function _ZL13mul_mat_vec_qIN3c108BFloat16ELi256ELi32E10block_q6_KLi1EXadL_ZL17vec_dot_q6_K_q8_1PKvPK10block_q8_1RKiEEEvS4_S4_PT_iii
	.p2align	8
	.type	_ZL13mul_mat_vec_qIN3c108BFloat16ELi256ELi32E10block_q6_KLi1EXadL_ZL17vec_dot_q6_K_q8_1PKvPK10block_q8_1RKiEEEvS4_S4_PT_iii,@function
_ZL13mul_mat_vec_qIN3c108BFloat16ELi256ELi32E10block_q6_KLi1EXadL_ZL17vec_dot_q6_K_q8_1PKvPK10block_q8_1RKiEEEvS4_S4_PT_iii: ; @_ZL13mul_mat_vec_qIN3c108BFloat16ELi256ELi32E10block_q6_KLi1EXadL_ZL17vec_dot_q6_K_q8_1PKvPK10block_q8_1RKiEEEvS4_S4_PT_iii
; %bb.0:
	s_clause 0x1
	s_load_u16 s2, s[0:1], 0x36
	s_load_b96 s[8:10], s[0:1], 0x18
	s_bfe_u32 s4, ttmp6, 0x4000c
	s_bfe_u32 s5, ttmp6, 0x40010
	s_add_co_i32 s4, s4, 1
	s_add_co_i32 s5, s5, 1
	s_and_b32 s3, ttmp6, 15
	s_mul_i32 s4, ttmp9, s4
	s_mul_i32 s5, ttmp7, s5
	s_bfe_u32 s6, ttmp6, 0x40004
	s_add_co_i32 s3, s3, s4
	s_getreg_b32 s4, hwreg(HW_REG_IB_STS2, 6, 4)
	s_add_co_i32 s6, s6, s5
	v_bfe_u32 v1, v0, 10, 10
	s_cmp_eq_u32 s4, 0
	s_cselect_b32 s3, ttmp9, s3
	s_cselect_b32 s11, ttmp7, s6
	s_wait_kmcnt 0x0
	v_mad_u32 v10, s3, s2, v1
	s_cmp_lt_u32 s11, s10
	s_cselect_b32 s2, -1, 0
	s_delay_alu instid0(VALU_DEP_1) | instskip(SKIP_1) | instid1(SALU_CYCLE_1)
	v_cmp_gt_u32_e32 vcc_lo, s9, v10
	s_and_b32 s2, s2, vcc_lo
	s_and_saveexec_b32 s3, s2
	s_cbranch_execz .LBB107_7
; %bb.1:
	s_load_b64 s[2:3], s[0:1], 0x10
	s_ashr_i32 s4, s8, 31
	v_bfe_u32 v12, v0, 5, 5
	s_lshr_b32 s4, s4, 24
	v_and_b32_e32 v11, 0x3ff, v0
	v_mov_b32_e32 v14, 0
	s_add_co_i32 s4, s8, s4
	s_mov_b32 s10, exec_lo
	s_ashr_i32 s12, s4, 8
	s_delay_alu instid0(SALU_CYCLE_1)
	v_cmpx_gt_u32_e64 s12, v12
	s_cbranch_execz .LBB107_5
; %bb.2:
	s_load_b128 s[4:7], s[0:1], 0x0
	v_dual_mov_b32 v1, 0 :: v_dual_bitop2_b32 v0, 31, v11 bitop3:0x40
	s_wait_xcnt 0x0
	s_add_co_i32 s1, s8, 0x1ff
	v_mul_lo_u32 v13, v10, s12
	s_ashr_i32 s8, s1, 31
	v_dual_mov_b32 v3, v1 :: v_dual_add_nc_u32 v2, 0xf0, v0
	v_cmp_gt_u32_e64 s0, 16, v0
	v_cmp_lt_u32_e32 vcc_lo, 15, v0
	v_dual_lshlrev_b32 v16, 3, v12 :: v_dual_bitop2_b32 v4, 7, v11 bitop3:0x40
	s_delay_alu instid0(VALU_DEP_3) | instskip(SKIP_3) | instid1(VALU_DEP_3)
	v_cndmask_b32_e64 v5, v2, v0, s0
	v_cndmask_b32_e64 v2, 0, 4, vcc_lo
	v_cndmask_b32_e64 v8, 0, 8, vcc_lo
	s_lshr_b32 s0, s8, 23
	v_and_b32_e32 v9, 0xf8, v5
	s_add_co_i32 s1, s1, s0
	s_wait_kmcnt 0x0
	v_mad_nc_u64_u32 v[6:7], v2, 36, s[6:7]
	v_dual_lshlrev_b32 v4, 2, v4 :: v_dual_bitop2_b32 v2, v8, v4 bitop3:0x54
	v_cmp_ne_u32_e32 vcc_lo, 0, v9
	v_bfe_u32 v14, v5, 2, 6
	s_ashr_i32 s0, s1, 9
	s_delay_alu instid0(VALU_DEP_3)
	v_dual_lshlrev_b32 v0, 2, v0 :: v_dual_lshlrev_b32 v2, 2, v2
	v_cndmask_b32_e64 v9, 0, 1, vcc_lo
	s_mul_i32 s0, s11, s0
	v_mov_b32_e32 v5, v1
	v_cndmask_b32_e64 v15, 0, 2, vcc_lo
	v_add_nc_u32_e32 v8, v14, v8
	v_mad_nc_u64_u32 v[6:7], v9, 36, v[6:7]
	v_mov_b32_e32 v9, v1
	v_lshl_add_u32 v16, s0, 4, v16
	v_mov_b32_e32 v14, v1
	s_mov_b32 s0, 0
.LBB107_3:                              ; =>This Inner Loop Header: Depth=1
	v_add_nc_u32_e32 v17, v13, v12
	s_delay_alu instid0(VALU_DEP_3) | instskip(SKIP_2) | instid1(VALU_DEP_4)
	v_mad_nc_i64_i32 v[18:19], v16, 36, v[6:7]
	v_add_nc_u32_e32 v12, 1, v12
	v_add_nc_u32_e32 v16, 8, v16
	v_mad_nc_i64_i32 v[20:21], 0xd2, v17, s[4:5]
	s_delay_alu instid0(VALU_DEP_3) | instskip(SKIP_2) | instid1(VALU_DEP_3)
	v_cmp_le_u32_e32 vcc_lo, s12, v12
	s_or_b32 s0, vcc_lo, s0
	v_add_nc_u64_e32 v[22:23], v[18:19], v[4:5]
	v_add_nc_u64_e32 v[24:25], v[20:21], v[0:1]
	;; [unrolled: 1-line block ×3, first 2 shown]
	global_load_b32 v17, v[22:23], off offset:4
	s_clause 0x1
	global_load_b32 v28, v[24:25], off
	global_load_b32 v29, v[26:27], off offset:128
	global_load_b32 v30, v[22:23], off offset:76
	s_wait_xcnt 0x0
	v_add_nc_u64_e32 v[22:23], v[20:21], v[8:9]
	s_clause 0x1
	global_load_i8 v24, v[22:23], off offset:192
	global_load_i8 v25, v[22:23], off offset:196
	s_clause 0x1
	global_load_b32 v26, v[18:19], off
	global_load_b32 v27, v[18:19], off offset:72
	global_load_u16 v31, v[20:21], off offset:208
	s_wait_loadcnt 0x8
	s_wait_xcnt 0x1
	v_ashrrev_i32_e32 v19, 24, v17
	s_wait_loadcnt 0x7
	v_and_b32_e32 v32, 0xf0f0f0f, v28
	s_wait_loadcnt 0x6
	v_dual_ashrrev_i32 v29, v15, v29 :: v_dual_lshrrev_b32 v28, 4, v28
	v_lshrrev_b16 v18, 8, v17
	s_wait_xcnt 0x0
	v_bfe_i32 v20, v17, 16, 8
	v_bfe_i32 v17, v17, 0, 8
	v_lshlrev_b32_e32 v33, 4, v29
	v_and_b32_e32 v28, 0xf0f0f0f, v28
	s_wait_loadcnt 0x5
	v_bfe_i32 v22, v30, 0, 8
	v_bfe_i32 v18, v18, 0, 8
	;; [unrolled: 1-line block ×3, first 2 shown]
	v_and_or_b32 v32, 0x30303030, v33, v32
	v_ashrrev_i32_e32 v23, 24, v30
	v_bfe_i32 v30, v30, 16, 8
	s_delay_alu instid0(VALU_DEP_3) | instskip(SKIP_3) | instid1(VALU_DEP_4)
	v_lshrrev_b32_e32 v33, 16, v32
	v_and_or_b32 v28, 0x30303030, v29, v28
	v_lshlrev_b16 v29, 8, v32
	v_and_b32_e32 v32, 0x3f00, v32
	v_lshlrev_b16 v36, 8, v33
	s_delay_alu instid0(VALU_DEP_4)
	v_lshrrev_b32_e32 v34, 16, v28
	v_lshlrev_b16 v35, 8, v28
	v_and_b32_e32 v33, 0x3f00, v33
	v_add_nc_u16 v29, 0xe000, v29
	v_add_nc_u16 v32, 0xe000, v32
	v_lshlrev_b16 v37, 8, v34
	v_add_nc_u16 v35, 0xe000, v35
	v_add_nc_u16 v33, 0xe000, v33
	v_ashrrev_i16 v29, 8, v29
	v_add_nc_u16 v36, 0xe000, v36
	v_add_nc_u16 v37, 0xe000, v37
	v_lshrrev_b16 v35, 8, v35
	v_ashrrev_i16 v33, 8, v33
	v_ashrrev_i16 v32, 8, v32
	v_ashrrev_i16 v36, 8, v36
	v_lshrrev_b16 v37, 8, v37
	v_bitop3_b16 v28, v28, v35, 0x3f00 bitop3:0xec
	v_bfe_i32 v29, v29, 0, 16
	v_bfe_i32 v33, v33, 0, 16
	v_bfe_i32 v32, v32, 0, 16
	v_bitop3_b16 v34, v34, v37, 0x3f00 bitop3:0xec
	v_add_nc_u16 v28, 0xe000, v28
	v_bfe_i32 v35, v36, 0, 16
	v_mul_i32_i24_e32 v17, v29, v17
	v_mul_i32_i24_e32 v19, v33, v19
	v_add_nc_u16 v29, 0xe000, v34
	v_bfe_i32 v33, v28, 0, 8
	v_mul_i32_i24_e32 v20, v35, v20
	v_bfe_i32 v28, v28, 8, 8
	v_mad_i32_i24 v18, v32, v18, v19
	v_bfe_i32 v19, v29, 0, 8
	v_bfe_i32 v29, v29, 8, 8
	v_mul_i32_i24_e32 v22, v22, v33
	s_delay_alu instid0(VALU_DEP_4) | instskip(NEXT) | instid1(VALU_DEP_4)
	v_add3_u32 v17, v17, v20, v18
	v_mul_i32_i24_e32 v18, v30, v19
	s_delay_alu instid0(VALU_DEP_4) | instskip(NEXT) | instid1(VALU_DEP_4)
	v_mul_i32_i24_e32 v19, v23, v29
	v_mad_i32_i24 v20, v21, v28, v22
	s_wait_loadcnt 0x4
	v_mul_lo_u32 v17, v17, v24
	s_delay_alu instid0(VALU_DEP_2) | instskip(SKIP_1) | instid1(VALU_DEP_1)
	v_add3_u32 v18, v20, v18, v19
	s_wait_loadcnt 0x3
	v_mul_lo_u32 v18, v18, v25
	s_delay_alu instid0(VALU_DEP_3) | instskip(SKIP_1) | instid1(VALU_DEP_1)
	v_cvt_f32_i32_e32 v17, v17
	s_wait_loadcnt 0x2
	v_fma_mix_f32 v17, v26, v17, 0 op_sel_hi:[1,0,0]
	s_delay_alu instid0(VALU_DEP_3) | instskip(SKIP_1) | instid1(VALU_DEP_1)
	v_cvt_f32_i32_e32 v18, v18
	s_wait_loadcnt 0x1
	v_fma_mix_f32 v17, v27, v18, v17 op_sel_hi:[1,0,0]
	s_wait_loadcnt 0x0
	s_delay_alu instid0(VALU_DEP_1)
	v_fma_mix_f32 v14, v17, v31, v14 op_sel_hi:[0,1,0]
	s_and_not1_b32 exec_lo, exec_lo, s0
	s_cbranch_execnz .LBB107_3
; %bb.4:
	s_or_b32 exec_lo, exec_lo, s0
.LBB107_5:
	s_delay_alu instid0(SALU_CYCLE_1) | instskip(SKIP_1) | instid1(VALU_DEP_1)
	s_or_b32 exec_lo, exec_lo, s10
	v_mbcnt_lo_u32_b32 v0, -1, 0
	v_xor_b32_e32 v2, 8, v0
	v_xor_b32_e32 v1, 16, v0
	;; [unrolled: 1-line block ×3, first 2 shown]
	s_delay_alu instid0(VALU_DEP_2) | instskip(SKIP_4) | instid1(VALU_DEP_2)
	v_cmp_gt_i32_e32 vcc_lo, 32, v1
	v_cndmask_b32_e32 v1, v0, v1, vcc_lo
	v_cmp_gt_i32_e32 vcc_lo, 32, v2
	v_cndmask_b32_e32 v2, v0, v2, vcc_lo
	v_cmp_gt_i32_e32 vcc_lo, 32, v3
	v_dual_lshlrev_b32 v2, 2, v2 :: v_dual_lshlrev_b32 v1, 2, v1
	ds_bpermute_b32 v1, v1, v14
	s_wait_dscnt 0x0
	v_add_f32_e32 v1, v14, v1
	ds_bpermute_b32 v2, v2, v1
	s_wait_dscnt 0x0
	v_dual_cndmask_b32 v3, v0, v3, vcc_lo :: v_dual_add_f32 v1, v1, v2
	s_delay_alu instid0(VALU_DEP_1) | instskip(SKIP_3) | instid1(VALU_DEP_1)
	v_lshlrev_b32_e32 v3, 2, v3
	ds_bpermute_b32 v2, v3, v1
	s_wait_dscnt 0x0
	v_dual_add_f32 v1, v1, v2 :: v_dual_bitop2_b32 v3, 2, v0 bitop3:0x14
	v_cmp_gt_i32_e32 vcc_lo, 32, v3
	v_cndmask_b32_e32 v3, v0, v3, vcc_lo
	s_delay_alu instid0(VALU_DEP_1) | instskip(SKIP_2) | instid1(VALU_DEP_1)
	v_lshlrev_b32_e32 v3, 2, v3
	ds_bpermute_b32 v2, v3, v1
	v_xor_b32_e32 v3, 1, v0
	v_cmp_gt_i32_e32 vcc_lo, 32, v3
	v_cndmask_b32_e32 v3, v0, v3, vcc_lo
	v_cmp_eq_u32_e32 vcc_lo, 0, v11
	s_wait_dscnt 0x0
	s_delay_alu instid0(VALU_DEP_2)
	v_dual_add_f32 v0, v1, v2 :: v_dual_lshlrev_b32 v1, 2, v3
	ds_bpermute_b32 v1, v1, v0
	s_and_b32 exec_lo, exec_lo, vcc_lo
	s_cbranch_execz .LBB107_7
; %bb.6:
	s_wait_dscnt 0x0
	v_add_f32_e32 v0, v0, v1
	v_mad_u32 v2, s9, s11, v10
	s_delay_alu instid0(VALU_DEP_2) | instskip(NEXT) | instid1(VALU_DEP_1)
	v_bfe_u32 v1, v0, 16, 1
	v_add3_u32 v1, v0, v1, 0x7fff
	s_delay_alu instid0(VALU_DEP_1) | instskip(SKIP_1) | instid1(VALU_DEP_2)
	v_lshrrev_b32_e32 v1, 16, v1
	v_cmp_o_f32_e32 vcc_lo, v0, v0
	v_cndmask_b32_e32 v0, 0x7fc0, v1, vcc_lo
	s_wait_kmcnt 0x0
	global_store_b16 v2, v0, s[2:3] scale_offset
.LBB107_7:
	s_endpgm
	.section	.rodata,"a",@progbits
	.p2align	6, 0x0
	.amdhsa_kernel _ZL13mul_mat_vec_qIN3c108BFloat16ELi256ELi32E10block_q6_KLi1EXadL_ZL17vec_dot_q6_K_q8_1PKvPK10block_q8_1RKiEEEvS4_S4_PT_iii
		.amdhsa_group_segment_fixed_size 0
		.amdhsa_private_segment_fixed_size 0
		.amdhsa_kernarg_size 296
		.amdhsa_user_sgpr_count 2
		.amdhsa_user_sgpr_dispatch_ptr 0
		.amdhsa_user_sgpr_queue_ptr 0
		.amdhsa_user_sgpr_kernarg_segment_ptr 1
		.amdhsa_user_sgpr_dispatch_id 0
		.amdhsa_user_sgpr_kernarg_preload_length 0
		.amdhsa_user_sgpr_kernarg_preload_offset 0
		.amdhsa_user_sgpr_private_segment_size 0
		.amdhsa_wavefront_size32 1
		.amdhsa_uses_dynamic_stack 0
		.amdhsa_enable_private_segment 0
		.amdhsa_system_sgpr_workgroup_id_x 1
		.amdhsa_system_sgpr_workgroup_id_y 1
		.amdhsa_system_sgpr_workgroup_id_z 0
		.amdhsa_system_sgpr_workgroup_info 0
		.amdhsa_system_vgpr_workitem_id 1
		.amdhsa_next_free_vgpr 38
		.amdhsa_next_free_sgpr 13
		.amdhsa_named_barrier_count 0
		.amdhsa_reserve_vcc 1
		.amdhsa_float_round_mode_32 0
		.amdhsa_float_round_mode_16_64 0
		.amdhsa_float_denorm_mode_32 3
		.amdhsa_float_denorm_mode_16_64 3
		.amdhsa_fp16_overflow 0
		.amdhsa_memory_ordered 1
		.amdhsa_forward_progress 1
		.amdhsa_inst_pref_size 12
		.amdhsa_round_robin_scheduling 0
		.amdhsa_exception_fp_ieee_invalid_op 0
		.amdhsa_exception_fp_denorm_src 0
		.amdhsa_exception_fp_ieee_div_zero 0
		.amdhsa_exception_fp_ieee_overflow 0
		.amdhsa_exception_fp_ieee_underflow 0
		.amdhsa_exception_fp_ieee_inexact 0
		.amdhsa_exception_int_div_zero 0
	.end_amdhsa_kernel
	.section	.text._ZL13mul_mat_vec_qIN3c108BFloat16ELi256ELi32E10block_q6_KLi1EXadL_ZL17vec_dot_q6_K_q8_1PKvPK10block_q8_1RKiEEEvS4_S4_PT_iii,"axG",@progbits,_ZL13mul_mat_vec_qIN3c108BFloat16ELi256ELi32E10block_q6_KLi1EXadL_ZL17vec_dot_q6_K_q8_1PKvPK10block_q8_1RKiEEEvS4_S4_PT_iii,comdat
.Lfunc_end107:
	.size	_ZL13mul_mat_vec_qIN3c108BFloat16ELi256ELi32E10block_q6_KLi1EXadL_ZL17vec_dot_q6_K_q8_1PKvPK10block_q8_1RKiEEEvS4_S4_PT_iii, .Lfunc_end107-_ZL13mul_mat_vec_qIN3c108BFloat16ELi256ELi32E10block_q6_KLi1EXadL_ZL17vec_dot_q6_K_q8_1PKvPK10block_q8_1RKiEEEvS4_S4_PT_iii
                                        ; -- End function
	.set _ZL13mul_mat_vec_qIN3c108BFloat16ELi256ELi32E10block_q6_KLi1EXadL_ZL17vec_dot_q6_K_q8_1PKvPK10block_q8_1RKiEEEvS4_S4_PT_iii.num_vgpr, 38
	.set _ZL13mul_mat_vec_qIN3c108BFloat16ELi256ELi32E10block_q6_KLi1EXadL_ZL17vec_dot_q6_K_q8_1PKvPK10block_q8_1RKiEEEvS4_S4_PT_iii.num_agpr, 0
	.set _ZL13mul_mat_vec_qIN3c108BFloat16ELi256ELi32E10block_q6_KLi1EXadL_ZL17vec_dot_q6_K_q8_1PKvPK10block_q8_1RKiEEEvS4_S4_PT_iii.numbered_sgpr, 13
	.set _ZL13mul_mat_vec_qIN3c108BFloat16ELi256ELi32E10block_q6_KLi1EXadL_ZL17vec_dot_q6_K_q8_1PKvPK10block_q8_1RKiEEEvS4_S4_PT_iii.num_named_barrier, 0
	.set _ZL13mul_mat_vec_qIN3c108BFloat16ELi256ELi32E10block_q6_KLi1EXadL_ZL17vec_dot_q6_K_q8_1PKvPK10block_q8_1RKiEEEvS4_S4_PT_iii.private_seg_size, 0
	.set _ZL13mul_mat_vec_qIN3c108BFloat16ELi256ELi32E10block_q6_KLi1EXadL_ZL17vec_dot_q6_K_q8_1PKvPK10block_q8_1RKiEEEvS4_S4_PT_iii.uses_vcc, 1
	.set _ZL13mul_mat_vec_qIN3c108BFloat16ELi256ELi32E10block_q6_KLi1EXadL_ZL17vec_dot_q6_K_q8_1PKvPK10block_q8_1RKiEEEvS4_S4_PT_iii.uses_flat_scratch, 0
	.set _ZL13mul_mat_vec_qIN3c108BFloat16ELi256ELi32E10block_q6_KLi1EXadL_ZL17vec_dot_q6_K_q8_1PKvPK10block_q8_1RKiEEEvS4_S4_PT_iii.has_dyn_sized_stack, 0
	.set _ZL13mul_mat_vec_qIN3c108BFloat16ELi256ELi32E10block_q6_KLi1EXadL_ZL17vec_dot_q6_K_q8_1PKvPK10block_q8_1RKiEEEvS4_S4_PT_iii.has_recursion, 0
	.set _ZL13mul_mat_vec_qIN3c108BFloat16ELi256ELi32E10block_q6_KLi1EXadL_ZL17vec_dot_q6_K_q8_1PKvPK10block_q8_1RKiEEEvS4_S4_PT_iii.has_indirect_call, 0
	.section	.AMDGPU.csdata,"",@progbits
; Kernel info:
; codeLenInByte = 1512
; TotalNumSgprs: 15
; NumVgprs: 38
; ScratchSize: 0
; MemoryBound: 0
; FloatMode: 240
; IeeeMode: 1
; LDSByteSize: 0 bytes/workgroup (compile time only)
; SGPRBlocks: 0
; VGPRBlocks: 2
; NumSGPRsForWavesPerEU: 15
; NumVGPRsForWavesPerEU: 38
; NamedBarCnt: 0
; Occupancy: 16
; WaveLimiterHint : 0
; COMPUTE_PGM_RSRC2:SCRATCH_EN: 0
; COMPUTE_PGM_RSRC2:USER_SGPR: 2
; COMPUTE_PGM_RSRC2:TRAP_HANDLER: 0
; COMPUTE_PGM_RSRC2:TGID_X_EN: 1
; COMPUTE_PGM_RSRC2:TGID_Y_EN: 1
; COMPUTE_PGM_RSRC2:TGID_Z_EN: 0
; COMPUTE_PGM_RSRC2:TIDIG_COMP_CNT: 1
	.section	.text._ZL13mul_mat_vec_qIN3c108BFloat16ELi256ELi8E13block_iq2_xxsLi1EXadL_ZL20vec_dot_iq2_xxs_q8_1PKvPK10block_q8_1RKiEEEvS4_S4_PT_iii,"axG",@progbits,_ZL13mul_mat_vec_qIN3c108BFloat16ELi256ELi8E13block_iq2_xxsLi1EXadL_ZL20vec_dot_iq2_xxs_q8_1PKvPK10block_q8_1RKiEEEvS4_S4_PT_iii,comdat
	.globl	_ZL13mul_mat_vec_qIN3c108BFloat16ELi256ELi8E13block_iq2_xxsLi1EXadL_ZL20vec_dot_iq2_xxs_q8_1PKvPK10block_q8_1RKiEEEvS4_S4_PT_iii ; -- Begin function _ZL13mul_mat_vec_qIN3c108BFloat16ELi256ELi8E13block_iq2_xxsLi1EXadL_ZL20vec_dot_iq2_xxs_q8_1PKvPK10block_q8_1RKiEEEvS4_S4_PT_iii
	.p2align	8
	.type	_ZL13mul_mat_vec_qIN3c108BFloat16ELi256ELi8E13block_iq2_xxsLi1EXadL_ZL20vec_dot_iq2_xxs_q8_1PKvPK10block_q8_1RKiEEEvS4_S4_PT_iii,@function
_ZL13mul_mat_vec_qIN3c108BFloat16ELi256ELi8E13block_iq2_xxsLi1EXadL_ZL20vec_dot_iq2_xxs_q8_1PKvPK10block_q8_1RKiEEEvS4_S4_PT_iii: ; @_ZL13mul_mat_vec_qIN3c108BFloat16ELi256ELi8E13block_iq2_xxsLi1EXadL_ZL20vec_dot_iq2_xxs_q8_1PKvPK10block_q8_1RKiEEEvS4_S4_PT_iii
; %bb.0:
	s_clause 0x1
	s_load_u16 s2, s[0:1], 0x36
	s_load_b96 s[12:14], s[0:1], 0x18
	s_bfe_u32 s4, ttmp6, 0x4000c
	s_bfe_u32 s5, ttmp6, 0x40010
	s_add_co_i32 s4, s4, 1
	s_add_co_i32 s5, s5, 1
	s_and_b32 s3, ttmp6, 15
	s_mul_i32 s4, ttmp9, s4
	s_mul_i32 s5, ttmp7, s5
	s_bfe_u32 s6, ttmp6, 0x40004
	s_add_co_i32 s3, s3, s4
	s_getreg_b32 s4, hwreg(HW_REG_IB_STS2, 6, 4)
	s_add_co_i32 s6, s6, s5
	v_bfe_u32 v1, v0, 10, 10
	s_cmp_eq_u32 s4, 0
	s_cselect_b32 s3, ttmp9, s3
	s_cselect_b32 s18, ttmp7, s6
	s_wait_kmcnt 0x0
	v_mad_u32 v16, s3, s2, v1
	s_cmp_lt_u32 s18, s14
	s_cselect_b32 s2, -1, 0
	s_delay_alu instid0(VALU_DEP_1) | instskip(SKIP_1) | instid1(SALU_CYCLE_1)
	v_cmp_gt_u32_e32 vcc_lo, s13, v16
	s_and_b32 s2, s2, vcc_lo
	s_and_saveexec_b32 s3, s2
	s_cbranch_execz .LBB108_7
; %bb.1:
	s_load_b64 s[14:15], s[0:1], 0x10
	s_ashr_i32 s2, s12, 31
	v_bfe_u32 v18, v0, 3, 7
	s_lshr_b32 s2, s2, 24
	v_and_b32_e32 v17, 0x3ff, v0
	v_mov_b32_e32 v19, 0
	s_add_co_i32 s2, s12, s2
	s_mov_b32 s19, exec_lo
	s_ashr_i32 s20, s2, 8
	s_delay_alu instid0(SALU_CYCLE_1)
	v_cmpx_gt_u32_e64 s20, v18
	s_cbranch_execz .LBB108_5
; %bb.2:
	s_load_b128 s[8:11], s[0:1], 0x0
	s_wait_xcnt 0x0
	s_add_co_i32 s0, s12, 0x1ff
	v_dual_lshlrev_b32 v2, 3, v18 :: v_dual_bitop2_b32 v1, 7, v17 bitop3:0x40
	s_ashr_i32 s1, s0, 31
	v_mul_lo_u32 v20, v16, s20
	s_lshr_b32 s1, s1, 23
	s_delay_alu instid0(VALU_DEP_2) | instskip(SKIP_3) | instid1(VALU_DEP_1)
	v_dual_mov_b32 v11, 0 :: v_dual_lshlrev_b32 v0, 2, v1
	s_add_co_i32 s0, s0, s1
	s_mov_b32 s12, 0
	s_ashr_i32 s0, s0, 9
	v_dual_mov_b32 v19, v11 :: v_dual_lshlrev_b32 v10, 1, v0
	s_mul_i32 s0, s18, s0
	s_get_pc_i64 s[16:17]
	s_add_nc_u64 s[16:17], s[16:17], _ZL12ksigns_iq2xs@rel64+4
	v_lshl_add_u32 v21, s0, 4, v2
	s_wait_kmcnt 0x0
	v_mad_nc_u64_u32 v[8:9], v1, 36, s[10:11]
	s_get_pc_i64 s[10:11]
	s_add_nc_u64 s[10:11], s[10:11], _ZL11iq2xxs_grid@rel64+4
.LBB108_3:                              ; =>This Inner Loop Header: Depth=1
	v_add_nc_u32_e32 v0, v20, v18
	s_delay_alu instid0(VALU_DEP_2) | instskip(SKIP_1) | instid1(VALU_DEP_3)
	v_mad_nc_i64_i32 v[14:15], v21, 36, v[8:9]
	v_add_nc_u32_e32 v21, 32, v21
	v_mad_nc_i64_i32 v[12:13], 0x42, v0, s[8:9]
	s_clause 0x2
	global_load_b128 v[0:3], v[14:15], off offset:4
	global_load_b128 v[4:7], v[14:15], off offset:20
	global_load_u16 v22, v[14:15], off
	s_wait_xcnt 0x0
	v_add_nc_u64_e32 v[14:15], v[12:13], v[10:11]
	s_clause 0x2
	global_load_b32 v23, v[14:15], off offset:2
	global_load_b32 v24, v[14:15], off offset:6
	global_load_u16 v25, v[12:13], off
	s_wait_loadcnt 0x5
	s_wait_xcnt 0x1
	v_dual_ashrrev_i32 v15, 24, v0 :: v_dual_ashrrev_i32 v33, 24, v2
	v_bfe_i32 v30, v2, 0, 8
	v_bfe_i32 v31, v2, 8, 8
	;; [unrolled: 1-line block ×3, first 2 shown]
	s_wait_xcnt 0x0
	v_bfe_i32 v12, v0, 0, 8
	v_bfe_i32 v13, v0, 8, 8
	;; [unrolled: 1-line block ×6, first 2 shown]
	s_wait_loadcnt 0x2
	v_and_b32_e32 v2, 0xff, v23
	s_wait_loadcnt 0x1
	v_and_b32_e32 v50, 0x7f, v24
	v_ashrrev_i32_e32 v29, 24, v1
	global_load_b64 v[0:1], v2, s[10:11] scale_offset
	global_load_i8 v53, v50, s[16:17]
	v_bfe_i32 v47, v7, 0, 8
	v_bfe_i32 v48, v7, 8, 8
	;; [unrolled: 1-line block ×3, first 2 shown]
	v_dual_ashrrev_i32 v7, 24, v7 :: v_dual_lshrrev_b32 v52, 28, v24
	v_bfe_i32 v34, v3, 0, 8
	v_bfe_i32 v35, v3, 8, 8
	;; [unrolled: 1-line block ×3, first 2 shown]
	v_ashrrev_i32_e32 v37, 24, v3
	v_cvt_f32_ubyte0_e32 v52, v52
	v_dual_lshrrev_b32 v3, 5, v23 :: v_dual_lshrrev_b32 v51, 13, v23
	s_wait_loadcnt 0x2
	v_cvt_f32_f16_e32 v25, v25
	v_bfe_i32 v38, v4, 0, 8
	v_add_f32_e32 v52, 0.5, v52
	s_wait_xcnt 0x1
	v_and_b32_e32 v2, 0x7f8, v3
	v_and_b32_e32 v51, 0x7f8, v51
	v_bfe_i32 v39, v4, 8, 8
	v_bfe_i32 v40, v4, 16, 8
	v_ashrrev_i32_e32 v4, 24, v4
	global_load_b64 v[2:3], v2, s[10:11]
	v_bfe_i32 v41, v5, 0, 8
	v_bfe_i32 v42, v5, 8, 8
	;; [unrolled: 1-line block ×3, first 2 shown]
	v_ashrrev_i32_e32 v5, 24, v5
	v_bfe_i32 v44, v6, 0, 8
	v_bfe_i32 v45, v6, 8, 8
	;; [unrolled: 1-line block ×3, first 2 shown]
	v_ashrrev_i32_e32 v6, 24, v6
	v_cvt_f32_f16_e32 v22, v22
	s_wait_loadcnt 0x2
	v_lshrrev_b32_e32 v54, 24, v1
	v_dual_mul_f32 v25, v52, v25 :: v_dual_lshrrev_b32 v52, 24, v0
	v_and_b32_e32 v55, 0xff, v0
	v_bfe_u32 v57, v0, 8, 8
	v_bfe_u32 v0, v0, 16, 8
	v_and_b32_e32 v59, 0xff, v1
	v_bfe_u32 v60, v1, 8, 8
	v_bfe_u32 v1, v1, 16, 8
	v_mul_i32_i24_e32 v12, v55, v12
	v_mul_i32_i24_e32 v14, v0, v14
	;; [unrolled: 1-line block ×3, first 2 shown]
	s_wait_loadcnt 0x1
	v_and_b32_e32 v61, 4, v53
	v_mul_i32_i24_e32 v28, v1, v28
	global_load_b64 v[0:1], v51, s[10:11]
	v_and_b32_e32 v56, 1, v53
	v_and_b32_e32 v58, 2, v53
	;; [unrolled: 1-line block ×3, first 2 shown]
	v_mul_i32_i24_e32 v15, v52, v15
	v_sub_nc_u32_e32 v63, 0, v12
	v_cmp_eq_u16_e32 vcc_lo, 0, v56
	v_sub_nc_u32_e32 v56, 0, v13
	v_cmp_eq_u16_e64 s0, 0, v58
	v_sub_nc_u32_e32 v58, 0, v14
	v_cmp_eq_u16_e64 s1, 0, v61
	;; [unrolled: 2-line block ×3, first 2 shown]
	v_dual_cndmask_b32 v12, v63, v12, vcc_lo :: v_dual_cndmask_b32 v13, v56, v13, s0
	v_mul_i32_i24_e32 v27, v60, v27
	s_delay_alu instid0(VALU_DEP_3) | instskip(SKIP_1) | instid1(VALU_DEP_4)
	v_dual_cndmask_b32 v14, v58, v14, s1 :: v_dual_cndmask_b32 v15, v61, v15, s2
	v_mul_i32_i24_e32 v26, v59, v26
	v_add_nc_u32_e32 v12, v13, v12
	v_mul_i32_i24_e32 v29, v54, v29
	s_wait_loadcnt 0x0
	s_delay_alu instid0(VALU_DEP_3)
	v_dual_sub_nc_u32 v63, 0, v26 :: v_dual_lshrrev_b32 v51, 24, v0
	v_lshrrev_b32_e32 v55, 24, v1
	v_and_b32_e32 v56, 0xff, v0
	v_bfe_u32 v58, v0, 8, 8
	v_bfe_u32 v13, v0, 16, 8
	v_and_b32_e32 v0, 32, v53
	v_add3_u32 v12, v12, v14, v15
	v_and_b32_e32 v14, 0xff, v1
	v_bfe_u32 v15, v1, 8, 8
	v_bfe_u32 v61, v1, 16, 8
	v_sub_nc_u32_e32 v1, 0, v27
	v_cmp_eq_u16_e32 vcc_lo, 0, v0
	v_and_b32_e32 v0, 16, v53
	v_mul_i32_i24_e32 v38, v56, v38
	v_mul_i32_i24_e32 v39, v58, v39
	v_mul_i32_i24_e32 v13, v13, v40
	v_mul_i32_i24_e32 v14, v14, v41
	v_cmp_eq_u16_e64 s0, 0, v0
	v_lshrrev_b32_e32 v0, 21, v23
	v_cndmask_b32_e32 v23, v1, v27, vcc_lo
	v_cmp_gt_u32_e32 vcc_lo, 64, v50
	s_delay_alu instid0(VALU_DEP_4) | instskip(NEXT) | instid1(VALU_DEP_4)
	v_dual_sub_nc_u32 v27, 0, v29 :: v_dual_cndmask_b32 v26, v63, v26, s0
	v_and_b32_e32 v0, 0x7f8, v0
	v_cmp_gt_i16_e64 s0, 0, v53
	v_bfe_u32 v53, v24, 7, 7
	v_mul_i32_i24_e32 v15, v15, v42
	v_add3_u32 v12, v12, v26, v23
	global_load_b64 v[0:1], v0, s[10:11]
	v_lshrrev_b32_e32 v52, 24, v2
	v_and_b32_e32 v57, 0xff, v2
	v_bfe_u32 v59, v2, 8, 8
	v_bfe_u32 v2, v2, 16, 8
	v_lshrrev_b32_e32 v54, 24, v3
	v_mul_i32_i24_e32 v33, v52, v33
	v_mul_i32_i24_e32 v30, v57, v30
	v_bfe_u32 v57, v24, 14, 7
	v_mul_i32_i24_e32 v2, v2, v32
	global_load_i8 v32, v53, s[16:17]
	v_bfe_u32 v24, v24, 21, 7
	v_mul_i32_i24_e32 v31, v59, v31
	global_load_i8 v52, v57, s[16:17]
	v_and_b32_e32 v60, 0xff, v3
	v_bfe_u32 v62, v3, 8, 8
	global_load_i8 v59, v24, s[16:17]
	v_bfe_u32 v3, v3, 16, 8
	v_sub_nc_u32_e32 v26, 0, v28
	v_mul_i32_i24_e32 v34, v60, v34
	v_cndmask_b32_e64 v27, v29, v27, s0
	v_mul_i32_i24_e32 v37, v54, v37
	v_mul_i32_i24_e32 v3, v3, v36
	;; [unrolled: 1-line block ×6, first 2 shown]
	s_wait_loadcnt 0x3
	v_dual_lshrrev_b32 v23, 24, v0 :: v_dual_lshrrev_b32 v50, 24, v1
	v_cndmask_b32_e32 v26, v26, v28, vcc_lo
	v_and_b32_e32 v28, 0xff, v0
	v_bfe_u32 v29, v0, 8, 8
	v_bfe_u32 v0, v0, 16, 8
	v_mul_i32_i24_e32 v7, v50, v7
	v_sub_nc_u32_e32 v50, 0, v30
	v_add3_u32 v12, v12, v26, v27
	v_and_b32_e32 v26, 0xff, v1
	s_wait_loadcnt 0x2
	v_and_b32_e32 v60, 1, v32
	v_and_b32_e32 v36, 2, v32
	;; [unrolled: 1-line block ×4, first 2 shown]
	v_bfe_u32 v27, v1, 8, 8
	v_cmp_eq_u16_e32 vcc_lo, 0, v60
	v_sub_nc_u32_e32 v60, 0, v31
	v_cmp_eq_u16_e64 s0, 0, v36
	v_bfe_u32 v1, v1, 16, 8
	v_and_b32_e32 v58, 16, v32
	v_and_b32_e32 v40, 32, v32
	s_wait_loadcnt 0x1
	v_dual_cndmask_b32 v30, v50, v30, vcc_lo :: v_dual_bitop2_b32 v41, 2, v52 bitop3:0x40
	v_dual_sub_nc_u32 v50, 0, v3 :: v_dual_bitop2_b32 v61, 8, v52 bitop3:0x40
	v_dual_cndmask_b32 v31, v60, v31, s0 :: v_dual_bitop2_b32 v55, 16, v52 bitop3:0x40
	v_sub_nc_u32_e32 v36, 0, v2
	v_cmp_eq_u16_e64 s1, 0, v54
	v_sub_nc_u32_e32 v54, 0, v33
	v_cmp_eq_u16_e64 s2, 0, v56
	v_and_b32_e32 v42, 4, v52
	v_mul_i32_i24_e32 v1, v1, v49
	s_wait_loadcnt 0x0
	v_dual_cndmask_b32 v2, v36, v2, s1 :: v_dual_bitop2_b32 v49, 32, v59 bitop3:0x40
	v_sub_nc_u32_e32 v56, 0, v35
	v_cmp_gt_i16_e64 s4, 0, v32
	v_sub_nc_u32_e32 v32, 0, v39
	v_cmp_eq_u16_e64 s3, 0, v40
	v_cmp_eq_u16_e64 s5, 0, v41
	v_sub_nc_u32_e32 v41, 0, v34
	v_add3_u32 v12, v12, v30, v31
	v_cmp_eq_u16_e32 vcc_lo, 0, v61
	v_dual_sub_nc_u32 v61, 0, v15 :: v_dual_cndmask_b32 v33, v54, v33, s2
	v_cmp_eq_u16_e64 s1, 0, v58
	v_dual_sub_nc_u32 v40, 0, v37 :: v_dual_bitop2_b32 v51, 1, v52 bitop3:0x40
	v_mul_i32_i24_e32 v0, v0, v46
	s_delay_alu instid0(VALU_DEP_3)
	v_dual_cndmask_b32 v35, v56, v35, s3 :: v_dual_cndmask_b32 v34, v41, v34, s1
	v_add3_u32 v2, v12, v2, v33
	v_cmp_gt_u32_e64 s1, 64, v53
	v_mul_i32_i24_e32 v28, v28, v44
	v_dual_sub_nc_u32 v60, 0, v38 :: v_dual_bitop2_b32 v44, 32, v52 bitop3:0x40
	v_mul_i32_i24_e32 v6, v23, v6
	s_delay_alu instid0(VALU_DEP_4)
	v_dual_sub_nc_u32 v12, 0, v0 :: v_dual_cndmask_b32 v3, v50, v3, s1
	v_cndmask_b32_e64 v33, v37, v40, s4
	v_add3_u32 v2, v2, v34, v35
	v_cmp_eq_u16_e64 s1, 0, v51
	v_mul_i32_i24_e32 v29, v29, v45
	v_dual_sub_nc_u32 v30, 0, v13 :: v_dual_bitop2_b32 v45, 1, v59 bitop3:0x40
	v_dual_sub_nc_u32 v31, 0, v4 :: v_dual_bitop2_b32 v46, 2, v59 bitop3:0x40
	v_dual_sub_nc_u32 v34, 0, v6 :: v_dual_cndmask_b32 v32, v32, v39, s5
	v_add3_u32 v2, v2, v3, v33
	v_cmp_eq_u16_e64 s2, 0, v42
	v_cndmask_b32_e64 v35, v60, v38, s1
	v_mul_i32_i24_e32 v26, v26, v47
	v_mul_i32_i24_e32 v27, v27, v48
	v_and_b32_e32 v48, 16, v59
	v_cmp_eq_u16_e64 s0, 0, v44
	v_cmp_eq_u16_e64 s7, 0, v46
	v_dual_sub_nc_u32 v46, 0, v14 :: v_dual_cndmask_b32 v3, v30, v13, s2
	v_cndmask_b32_e32 v4, v31, v4, vcc_lo
	v_add3_u32 v2, v2, v35, v32
	v_cmp_eq_u16_e32 vcc_lo, 0, v55
	v_dual_sub_nc_u32 v44, 0, v5 :: v_dual_bitop2_b32 v23, 4, v59 bitop3:0x40
	v_cmp_gt_i16_e64 s6, 0, v52
	v_dual_sub_nc_u32 v36, 0, v43 :: v_dual_sub_nc_u32 v54, 0, v28
	v_dual_sub_nc_u32 v13, 0, v26 :: v_dual_cndmask_b32 v15, v61, v15, s0
	v_cndmask_b32_e32 v14, v46, v14, vcc_lo
	v_add3_u32 v2, v2, v3, v4
	v_cmp_gt_u32_e32 vcc_lo, 64, v57
	v_dual_sub_nc_u32 v52, 0, v29 :: v_dual_bitop2_b32 v47, 8, v59 bitop3:0x40
	v_dual_sub_nc_u32 v3, 0, v27 :: v_dual_cndmask_b32 v5, v5, v44, s6
	v_cndmask_b32_e32 v4, v36, v43, vcc_lo
	v_add3_u32 v2, v2, v14, v15
	v_cmp_eq_u16_e64 s0, 0, v45
	v_cmp_eq_u16_e64 s1, 0, v47
	v_cndmask_b32_e64 v15, v52, v29, s7
	v_cmp_eq_u16_e32 vcc_lo, 0, v49
	v_add3_u32 v2, v2, v4, v5
	v_cndmask_b32_e64 v14, v54, v28, s0
	v_cmp_eq_u16_e64 s0, 0, v23
	v_dual_sub_nc_u32 v4, 0, v1 :: v_dual_cndmask_b32 v5, v34, v6, s1
	v_sub_nc_u32_e32 v6, 0, v7
	s_delay_alu instid0(VALU_DEP_4) | instskip(NEXT) | instid1(VALU_DEP_4)
	v_add3_u32 v2, v2, v14, v15
	v_cndmask_b32_e64 v0, v12, v0, s0
	v_cmp_eq_u16_e64 s0, 0, v48
	v_cndmask_b32_e32 v3, v3, v27, vcc_lo
	v_cmp_gt_i16_e32 vcc_lo, 0, v59
	s_delay_alu instid0(VALU_DEP_4) | instskip(NEXT) | instid1(VALU_DEP_4)
	v_add3_u32 v0, v2, v0, v5
	v_cndmask_b32_e64 v12, v13, v26, s0
	v_cmp_gt_u32_e64 s0, 64, v24
	v_cndmask_b32_e32 v2, v7, v6, vcc_lo
	s_delay_alu instid0(VALU_DEP_3) | instskip(NEXT) | instid1(VALU_DEP_3)
	v_add3_u32 v0, v0, v12, v3
	v_dual_cndmask_b32 v1, v4, v1, s0 :: v_dual_mul_f32 v3, v25, v22
	v_add_nc_u32_e32 v18, 4, v18
	s_delay_alu instid0(VALU_DEP_2) | instskip(NEXT) | instid1(VALU_DEP_3)
	v_add3_u32 v0, v0, v1, v2
	v_mul_f32_e32 v1, 0x3e800000, v3
	s_delay_alu instid0(VALU_DEP_3) | instskip(NEXT) | instid1(VALU_DEP_3)
	v_cmp_le_u32_e32 vcc_lo, s20, v18
	v_cvt_f32_i32_e32 v0, v0
	s_or_b32 s12, vcc_lo, s12
	s_delay_alu instid0(VALU_DEP_1)
	v_fmac_f32_e32 v19, v1, v0
	s_and_not1_b32 exec_lo, exec_lo, s12
	s_cbranch_execnz .LBB108_3
; %bb.4:
	s_or_b32 exec_lo, exec_lo, s12
.LBB108_5:
	s_delay_alu instid0(SALU_CYCLE_1) | instskip(SKIP_1) | instid1(VALU_DEP_1)
	s_or_b32 exec_lo, exec_lo, s19
	v_mbcnt_lo_u32_b32 v0, -1, 0
	v_xor_b32_e32 v2, 8, v0
	v_xor_b32_e32 v1, 16, v0
	;; [unrolled: 1-line block ×3, first 2 shown]
	s_delay_alu instid0(VALU_DEP_2) | instskip(SKIP_4) | instid1(VALU_DEP_2)
	v_cmp_gt_i32_e32 vcc_lo, 32, v1
	v_cndmask_b32_e32 v1, v0, v1, vcc_lo
	v_cmp_gt_i32_e32 vcc_lo, 32, v2
	v_cndmask_b32_e32 v2, v0, v2, vcc_lo
	v_cmp_gt_i32_e32 vcc_lo, 32, v3
	v_dual_lshlrev_b32 v2, 2, v2 :: v_dual_lshlrev_b32 v1, 2, v1
	ds_bpermute_b32 v1, v1, v19
	s_wait_dscnt 0x0
	v_add_f32_e32 v1, v19, v1
	ds_bpermute_b32 v2, v2, v1
	s_wait_dscnt 0x0
	v_dual_cndmask_b32 v3, v0, v3, vcc_lo :: v_dual_add_f32 v1, v1, v2
	s_delay_alu instid0(VALU_DEP_1) | instskip(SKIP_3) | instid1(VALU_DEP_1)
	v_lshlrev_b32_e32 v3, 2, v3
	ds_bpermute_b32 v2, v3, v1
	s_wait_dscnt 0x0
	v_dual_add_f32 v1, v1, v2 :: v_dual_bitop2_b32 v3, 2, v0 bitop3:0x14
	v_cmp_gt_i32_e32 vcc_lo, 32, v3
	v_cndmask_b32_e32 v3, v0, v3, vcc_lo
	s_delay_alu instid0(VALU_DEP_1) | instskip(SKIP_2) | instid1(VALU_DEP_1)
	v_lshlrev_b32_e32 v3, 2, v3
	ds_bpermute_b32 v2, v3, v1
	v_xor_b32_e32 v3, 1, v0
	v_cmp_gt_i32_e32 vcc_lo, 32, v3
	v_cndmask_b32_e32 v3, v0, v3, vcc_lo
	v_cmp_eq_u32_e32 vcc_lo, 0, v17
	s_wait_dscnt 0x0
	s_delay_alu instid0(VALU_DEP_2)
	v_dual_add_f32 v0, v1, v2 :: v_dual_lshlrev_b32 v1, 2, v3
	ds_bpermute_b32 v1, v1, v0
	s_and_b32 exec_lo, exec_lo, vcc_lo
	s_cbranch_execz .LBB108_7
; %bb.6:
	s_wait_dscnt 0x0
	v_add_f32_e32 v0, v0, v1
	v_mad_u32 v2, s13, s18, v16
	s_delay_alu instid0(VALU_DEP_2) | instskip(NEXT) | instid1(VALU_DEP_1)
	v_bfe_u32 v1, v0, 16, 1
	v_add3_u32 v1, v0, v1, 0x7fff
	s_delay_alu instid0(VALU_DEP_1) | instskip(SKIP_1) | instid1(VALU_DEP_2)
	v_lshrrev_b32_e32 v1, 16, v1
	v_cmp_o_f32_e32 vcc_lo, v0, v0
	v_cndmask_b32_e32 v0, 0x7fc0, v1, vcc_lo
	s_wait_kmcnt 0x0
	global_store_b16 v2, v0, s[14:15] scale_offset
.LBB108_7:
	s_endpgm
	.section	.rodata,"a",@progbits
	.p2align	6, 0x0
	.amdhsa_kernel _ZL13mul_mat_vec_qIN3c108BFloat16ELi256ELi8E13block_iq2_xxsLi1EXadL_ZL20vec_dot_iq2_xxs_q8_1PKvPK10block_q8_1RKiEEEvS4_S4_PT_iii
		.amdhsa_group_segment_fixed_size 0
		.amdhsa_private_segment_fixed_size 0
		.amdhsa_kernarg_size 296
		.amdhsa_user_sgpr_count 2
		.amdhsa_user_sgpr_dispatch_ptr 0
		.amdhsa_user_sgpr_queue_ptr 0
		.amdhsa_user_sgpr_kernarg_segment_ptr 1
		.amdhsa_user_sgpr_dispatch_id 0
		.amdhsa_user_sgpr_kernarg_preload_length 0
		.amdhsa_user_sgpr_kernarg_preload_offset 0
		.amdhsa_user_sgpr_private_segment_size 0
		.amdhsa_wavefront_size32 1
		.amdhsa_uses_dynamic_stack 0
		.amdhsa_enable_private_segment 0
		.amdhsa_system_sgpr_workgroup_id_x 1
		.amdhsa_system_sgpr_workgroup_id_y 1
		.amdhsa_system_sgpr_workgroup_id_z 0
		.amdhsa_system_sgpr_workgroup_info 0
		.amdhsa_system_vgpr_workitem_id 1
		.amdhsa_next_free_vgpr 64
		.amdhsa_next_free_sgpr 21
		.amdhsa_named_barrier_count 0
		.amdhsa_reserve_vcc 1
		.amdhsa_float_round_mode_32 0
		.amdhsa_float_round_mode_16_64 0
		.amdhsa_float_denorm_mode_32 3
		.amdhsa_float_denorm_mode_16_64 3
		.amdhsa_fp16_overflow 0
		.amdhsa_memory_ordered 1
		.amdhsa_forward_progress 1
		.amdhsa_inst_pref_size 20
		.amdhsa_round_robin_scheduling 0
		.amdhsa_exception_fp_ieee_invalid_op 0
		.amdhsa_exception_fp_denorm_src 0
		.amdhsa_exception_fp_ieee_div_zero 0
		.amdhsa_exception_fp_ieee_overflow 0
		.amdhsa_exception_fp_ieee_underflow 0
		.amdhsa_exception_fp_ieee_inexact 0
		.amdhsa_exception_int_div_zero 0
	.end_amdhsa_kernel
	.section	.text._ZL13mul_mat_vec_qIN3c108BFloat16ELi256ELi8E13block_iq2_xxsLi1EXadL_ZL20vec_dot_iq2_xxs_q8_1PKvPK10block_q8_1RKiEEEvS4_S4_PT_iii,"axG",@progbits,_ZL13mul_mat_vec_qIN3c108BFloat16ELi256ELi8E13block_iq2_xxsLi1EXadL_ZL20vec_dot_iq2_xxs_q8_1PKvPK10block_q8_1RKiEEEvS4_S4_PT_iii,comdat
.Lfunc_end108:
	.size	_ZL13mul_mat_vec_qIN3c108BFloat16ELi256ELi8E13block_iq2_xxsLi1EXadL_ZL20vec_dot_iq2_xxs_q8_1PKvPK10block_q8_1RKiEEEvS4_S4_PT_iii, .Lfunc_end108-_ZL13mul_mat_vec_qIN3c108BFloat16ELi256ELi8E13block_iq2_xxsLi1EXadL_ZL20vec_dot_iq2_xxs_q8_1PKvPK10block_q8_1RKiEEEvS4_S4_PT_iii
                                        ; -- End function
	.set _ZL13mul_mat_vec_qIN3c108BFloat16ELi256ELi8E13block_iq2_xxsLi1EXadL_ZL20vec_dot_iq2_xxs_q8_1PKvPK10block_q8_1RKiEEEvS4_S4_PT_iii.num_vgpr, 64
	.set _ZL13mul_mat_vec_qIN3c108BFloat16ELi256ELi8E13block_iq2_xxsLi1EXadL_ZL20vec_dot_iq2_xxs_q8_1PKvPK10block_q8_1RKiEEEvS4_S4_PT_iii.num_agpr, 0
	.set _ZL13mul_mat_vec_qIN3c108BFloat16ELi256ELi8E13block_iq2_xxsLi1EXadL_ZL20vec_dot_iq2_xxs_q8_1PKvPK10block_q8_1RKiEEEvS4_S4_PT_iii.numbered_sgpr, 21
	.set _ZL13mul_mat_vec_qIN3c108BFloat16ELi256ELi8E13block_iq2_xxsLi1EXadL_ZL20vec_dot_iq2_xxs_q8_1PKvPK10block_q8_1RKiEEEvS4_S4_PT_iii.num_named_barrier, 0
	.set _ZL13mul_mat_vec_qIN3c108BFloat16ELi256ELi8E13block_iq2_xxsLi1EXadL_ZL20vec_dot_iq2_xxs_q8_1PKvPK10block_q8_1RKiEEEvS4_S4_PT_iii.private_seg_size, 0
	.set _ZL13mul_mat_vec_qIN3c108BFloat16ELi256ELi8E13block_iq2_xxsLi1EXadL_ZL20vec_dot_iq2_xxs_q8_1PKvPK10block_q8_1RKiEEEvS4_S4_PT_iii.uses_vcc, 1
	.set _ZL13mul_mat_vec_qIN3c108BFloat16ELi256ELi8E13block_iq2_xxsLi1EXadL_ZL20vec_dot_iq2_xxs_q8_1PKvPK10block_q8_1RKiEEEvS4_S4_PT_iii.uses_flat_scratch, 0
	.set _ZL13mul_mat_vec_qIN3c108BFloat16ELi256ELi8E13block_iq2_xxsLi1EXadL_ZL20vec_dot_iq2_xxs_q8_1PKvPK10block_q8_1RKiEEEvS4_S4_PT_iii.has_dyn_sized_stack, 0
	.set _ZL13mul_mat_vec_qIN3c108BFloat16ELi256ELi8E13block_iq2_xxsLi1EXadL_ZL20vec_dot_iq2_xxs_q8_1PKvPK10block_q8_1RKiEEEvS4_S4_PT_iii.has_recursion, 0
	.set _ZL13mul_mat_vec_qIN3c108BFloat16ELi256ELi8E13block_iq2_xxsLi1EXadL_ZL20vec_dot_iq2_xxs_q8_1PKvPK10block_q8_1RKiEEEvS4_S4_PT_iii.has_indirect_call, 0
	.section	.AMDGPU.csdata,"",@progbits
; Kernel info:
; codeLenInByte = 2496
; TotalNumSgprs: 23
; NumVgprs: 64
; ScratchSize: 0
; MemoryBound: 0
; FloatMode: 240
; IeeeMode: 1
; LDSByteSize: 0 bytes/workgroup (compile time only)
; SGPRBlocks: 0
; VGPRBlocks: 3
; NumSGPRsForWavesPerEU: 23
; NumVGPRsForWavesPerEU: 64
; NamedBarCnt: 0
; Occupancy: 16
; WaveLimiterHint : 0
; COMPUTE_PGM_RSRC2:SCRATCH_EN: 0
; COMPUTE_PGM_RSRC2:USER_SGPR: 2
; COMPUTE_PGM_RSRC2:TRAP_HANDLER: 0
; COMPUTE_PGM_RSRC2:TGID_X_EN: 1
; COMPUTE_PGM_RSRC2:TGID_Y_EN: 1
; COMPUTE_PGM_RSRC2:TGID_Z_EN: 0
; COMPUTE_PGM_RSRC2:TIDIG_COMP_CNT: 1
	.section	.text._ZL13mul_mat_vec_qIN3c108BFloat16ELi256ELi8E12block_iq2_xsLi1EXadL_ZL19vec_dot_iq2_xs_q8_1PKvPK10block_q8_1RKiEEEvS4_S4_PT_iii,"axG",@progbits,_ZL13mul_mat_vec_qIN3c108BFloat16ELi256ELi8E12block_iq2_xsLi1EXadL_ZL19vec_dot_iq2_xs_q8_1PKvPK10block_q8_1RKiEEEvS4_S4_PT_iii,comdat
	.globl	_ZL13mul_mat_vec_qIN3c108BFloat16ELi256ELi8E12block_iq2_xsLi1EXadL_ZL19vec_dot_iq2_xs_q8_1PKvPK10block_q8_1RKiEEEvS4_S4_PT_iii ; -- Begin function _ZL13mul_mat_vec_qIN3c108BFloat16ELi256ELi8E12block_iq2_xsLi1EXadL_ZL19vec_dot_iq2_xs_q8_1PKvPK10block_q8_1RKiEEEvS4_S4_PT_iii
	.p2align	8
	.type	_ZL13mul_mat_vec_qIN3c108BFloat16ELi256ELi8E12block_iq2_xsLi1EXadL_ZL19vec_dot_iq2_xs_q8_1PKvPK10block_q8_1RKiEEEvS4_S4_PT_iii,@function
_ZL13mul_mat_vec_qIN3c108BFloat16ELi256ELi8E12block_iq2_xsLi1EXadL_ZL19vec_dot_iq2_xs_q8_1PKvPK10block_q8_1RKiEEEvS4_S4_PT_iii: ; @_ZL13mul_mat_vec_qIN3c108BFloat16ELi256ELi8E12block_iq2_xsLi1EXadL_ZL19vec_dot_iq2_xs_q8_1PKvPK10block_q8_1RKiEEEvS4_S4_PT_iii
; %bb.0:
	s_clause 0x1
	s_load_u16 s2, s[0:1], 0x36
	s_load_b96 s[4:6], s[0:1], 0x18
	s_bfe_u32 s7, ttmp6, 0x4000c
	s_bfe_u32 s8, ttmp6, 0x40010
	s_add_co_i32 s7, s7, 1
	s_add_co_i32 s8, s8, 1
	s_and_b32 s3, ttmp6, 15
	s_mul_i32 s7, ttmp9, s7
	s_mul_i32 s8, ttmp7, s8
	s_bfe_u32 s9, ttmp6, 0x40004
	s_add_co_i32 s3, s3, s7
	s_getreg_b32 s7, hwreg(HW_REG_IB_STS2, 6, 4)
	s_add_co_i32 s9, s9, s8
	v_bfe_u32 v1, v0, 10, 10
	s_cmp_eq_u32 s7, 0
	s_cselect_b32 s3, ttmp9, s3
	s_cselect_b32 s10, ttmp7, s9
	s_wait_kmcnt 0x0
	v_mad_u32 v12, s3, s2, v1
	s_cmp_lt_u32 s10, s6
	s_cselect_b32 s2, -1, 0
	s_delay_alu instid0(VALU_DEP_1) | instskip(SKIP_1) | instid1(SALU_CYCLE_1)
	v_cmp_gt_u32_e32 vcc_lo, s5, v12
	s_and_b32 s2, s2, vcc_lo
	s_and_saveexec_b32 s3, s2
	s_cbranch_execz .LBB109_7
; %bb.1:
	s_load_b64 s[6:7], s[0:1], 0x10
	s_ashr_i32 s2, s4, 31
	v_bfe_u32 v14, v0, 3, 7
	s_lshr_b32 s2, s2, 24
	v_and_b32_e32 v13, 0x3ff, v0
	v_mov_b32_e32 v15, 0
	s_add_co_i32 s2, s4, s2
	s_mov_b32 s11, exec_lo
	s_ashr_i32 s12, s2, 8
	s_delay_alu instid0(SALU_CYCLE_1)
	v_cmpx_gt_u32_e64 s12, v14
	s_cbranch_execz .LBB109_5
; %bb.2:
	s_wait_xcnt 0x0
	s_load_b128 s[0:3], s[0:1], 0x0
	s_addk_co_i32 s4, 0x1ff
	v_dual_lshlrev_b32 v5, 3, v14 :: v_dual_bitop2_b32 v0, 7, v13 bitop3:0x40
	s_ashr_i32 s8, s4, 31
	v_mul_lo_u32 v16, v12, s12
	s_lshr_b32 s8, s8, 23
	s_delay_alu instid0(VALU_DEP_2)
	v_dual_mov_b32 v1, 0 :: v_dual_lshlrev_b32 v4, 2, v0
	s_add_co_i32 s4, s4, s8
	s_get_pc_i64 s[8:9]
	s_add_nc_u64 s[8:9], s[8:9], _ZL12ksigns_iq2xs@rel64+4
	s_ashr_i32 s4, s4, 9
	v_lshlrev_b32_e32 v4, 1, v4
	s_mul_i32 s4, s10, s4
	v_mov_b32_e32 v15, v1
	v_lshl_add_u32 v17, s4, 4, v5
	v_mov_b32_e32 v5, v1
	s_mov_b32 s4, 0
	s_wait_kmcnt 0x0
	v_mad_nc_u64_u32 v[2:3], v0, 36, s[2:3]
	s_get_pc_i64 s[2:3]
	s_add_nc_u64 s[2:3], s[2:3], _ZL10iq2xs_grid@rel64+4
.LBB109_3:                              ; =>This Inner Loop Header: Depth=1
	v_dual_add_nc_u32 v6, v16, v14 :: v_dual_add_nc_u32 v14, 4, v14
	s_delay_alu instid0(VALU_DEP_1) | instskip(NEXT) | instid1(VALU_DEP_3)
	v_mad_nc_i64_i32 v[8:9], 0x4a, v6, s[0:1]
	v_mad_nc_i64_i32 v[6:7], v17, 36, v[2:3]
	v_add_nc_u32_e32 v17, 32, v17
	s_delay_alu instid0(VALU_DEP_3)
	v_add_nc_u64_e32 v[22:23], v[8:9], v[0:1]
	v_add_nc_u64_e32 v[20:21], v[8:9], v[4:5]
	s_clause 0x1
	global_load_u8 v18, v[22:23], off offset:66
	global_load_b64 v[10:11], v[20:21], off offset:2
	s_wait_loadcnt 0x0
	v_and_b32_e32 v20, 0x1ff, v10
	v_bfe_u32 v21, v10, 9, 7
	global_load_i8 v22, v21, s[8:9]
	global_load_b128 v[26:29], v[6:7], off offset:4
	global_load_b64 v[20:21], v20, s[2:3] scale_offset
	v_dual_lshrrev_b32 v30, 16, v10 :: v_dual_lshrrev_b32 v19, 16, v11
	s_wait_loadcnt 0x1
	v_bfe_i32 v23, v26, 0, 8
	s_wait_loadcnt 0x0
	v_and_b32_e32 v31, 0xff, v20
	v_lshrrev_b32_e32 v25, 24, v21
	v_bfe_u32 v32, v20, 8, 8
	v_lshrrev_b32_e32 v24, 24, v20
	v_bfe_u32 v20, v20, 16, 8
	v_mul_i32_i24_e32 v23, v31, v23
	v_and_b32_e32 v31, 1, v22
	s_delay_alu instid0(VALU_DEP_1) | instskip(NEXT) | instid1(VALU_DEP_3)
	v_cmp_eq_u16_e32 vcc_lo, 0, v31
	v_sub_nc_u32_e32 v31, 0, v23
	s_delay_alu instid0(VALU_DEP_1) | instskip(SKIP_1) | instid1(VALU_DEP_1)
	v_cndmask_b32_e32 v23, v31, v23, vcc_lo
	v_bfe_i32 v31, v26, 8, 8
	v_mul_i32_i24_e32 v31, v32, v31
	v_and_b32_e32 v32, 2, v22
	s_delay_alu instid0(VALU_DEP_1) | instskip(NEXT) | instid1(VALU_DEP_3)
	v_cmp_eq_u16_e32 vcc_lo, 0, v32
	v_sub_nc_u32_e32 v32, 0, v31
	s_delay_alu instid0(VALU_DEP_1) | instskip(SKIP_1) | instid1(VALU_DEP_2)
	v_cndmask_b32_e32 v31, v32, v31, vcc_lo
	v_bfe_u32 v32, v11, 9, 7
	v_add_nc_u32_e32 v23, v31, v23
	v_bfe_i32 v31, v26, 16, 8
	v_ashrrev_i32_e32 v26, 24, v26
	s_delay_alu instid0(VALU_DEP_2) | instskip(SKIP_1) | instid1(VALU_DEP_3)
	v_mul_i32_i24_e32 v20, v20, v31
	v_and_b32_e32 v31, 4, v22
	v_mul_i32_i24_e32 v24, v24, v26
	v_and_b32_e32 v26, 8, v22
	s_delay_alu instid0(VALU_DEP_3) | instskip(SKIP_1) | instid1(VALU_DEP_1)
	v_cmp_eq_u16_e32 vcc_lo, 0, v31
	v_sub_nc_u32_e32 v31, 0, v20
	v_cndmask_b32_e32 v20, v31, v20, vcc_lo
	s_delay_alu instid0(VALU_DEP_4) | instskip(SKIP_1) | instid1(VALU_DEP_1)
	v_cmp_eq_u16_e32 vcc_lo, 0, v26
	v_sub_nc_u32_e32 v26, 0, v24
	v_cndmask_b32_e32 v24, v26, v24, vcc_lo
	v_bfe_u32 v26, v21, 8, 8
	s_delay_alu instid0(VALU_DEP_2) | instskip(SKIP_3) | instid1(VALU_DEP_2)
	v_add3_u32 v20, v23, v20, v24
	v_bfe_i32 v23, v27, 0, 8
	v_and_b32_e32 v24, 0xff, v21
	v_bfe_u32 v21, v21, 16, 8
	v_mul_i32_i24_e32 v23, v24, v23
	v_and_b32_e32 v24, 16, v22
	s_delay_alu instid0(VALU_DEP_1) | instskip(NEXT) | instid1(VALU_DEP_3)
	v_cmp_eq_u16_e32 vcc_lo, 0, v24
	v_sub_nc_u32_e32 v24, 0, v23
	s_delay_alu instid0(VALU_DEP_1) | instskip(SKIP_1) | instid1(VALU_DEP_1)
	v_cndmask_b32_e32 v23, v24, v23, vcc_lo
	v_bfe_i32 v24, v27, 8, 8
	v_mul_i32_i24_e32 v24, v26, v24
	v_and_b32_e32 v26, 32, v22
	s_delay_alu instid0(VALU_DEP_1) | instskip(NEXT) | instid1(VALU_DEP_3)
	v_cmp_eq_u16_e32 vcc_lo, 0, v26
	v_sub_nc_u32_e32 v26, 0, v24
	s_delay_alu instid0(VALU_DEP_1) | instskip(SKIP_1) | instid1(VALU_DEP_2)
	v_cndmask_b32_e32 v24, v26, v24, vcc_lo
	v_cmp_gt_i16_e32 vcc_lo, 0, v10
	v_add3_u32 v20, v20, v23, v24
	v_bfe_i32 v23, v27, 16, 8
	s_delay_alu instid0(VALU_DEP_1) | instskip(NEXT) | instid1(VALU_DEP_1)
	v_mul_i32_i24_e32 v21, v21, v23
	v_sub_nc_u32_e32 v23, 0, v21
	s_delay_alu instid0(VALU_DEP_1) | instskip(SKIP_2) | instid1(VALU_DEP_2)
	v_cndmask_b32_e32 v21, v21, v23, vcc_lo
	v_ashrrev_i32_e32 v23, 24, v27
	v_cmp_gt_i16_e32 vcc_lo, 0, v22
	v_mul_i32_i24_e32 v23, v25, v23
	s_delay_alu instid0(VALU_DEP_1) | instskip(NEXT) | instid1(VALU_DEP_1)
	v_sub_nc_u32_e32 v24, 0, v23
	v_cndmask_b32_e32 v22, v23, v24, vcc_lo
	s_delay_alu instid0(VALU_DEP_1) | instskip(SKIP_2) | instid1(VALU_DEP_2)
	v_add3_u32 v20, v20, v21, v22
	v_dual_lshrrev_b32 v21, 13, v10 :: v_dual_lshrrev_b32 v10, 25, v10
	v_bfe_i32 v22, v28, 0, 8
	v_and_b32_e32 v21, 0xff8, v21
	global_load_i8 v10, v10, s[8:9]
	global_load_b64 v[26:27], v21, s[2:3]
	s_wait_loadcnt 0x0
	v_and_b32_e32 v21, 0xff, v26
	v_bfe_u32 v23, v26, 8, 8
	v_bfe_u32 v25, v26, 16, 8
	v_dual_lshrrev_b32 v24, 24, v26 :: v_dual_lshrrev_b32 v31, 24, v27
	s_delay_alu instid0(VALU_DEP_4) | instskip(SKIP_2) | instid1(VALU_DEP_2)
	v_mul_i32_i24_e32 v21, v21, v22
	v_and_b32_e32 v22, 1, v10
	v_and_b32_e32 v26, 0xff, v27
	v_cmp_eq_u16_e32 vcc_lo, 0, v22
	s_delay_alu instid0(VALU_DEP_4) | instskip(NEXT) | instid1(VALU_DEP_1)
	v_sub_nc_u32_e32 v22, 0, v21
	v_cndmask_b32_e32 v21, v22, v21, vcc_lo
	v_bfe_i32 v22, v28, 8, 8
	s_delay_alu instid0(VALU_DEP_1) | instskip(SKIP_1) | instid1(VALU_DEP_1)
	v_mul_i32_i24_e32 v22, v23, v22
	v_and_b32_e32 v23, 2, v10
	v_cmp_eq_u16_e32 vcc_lo, 0, v23
	s_delay_alu instid0(VALU_DEP_3) | instskip(NEXT) | instid1(VALU_DEP_1)
	v_sub_nc_u32_e32 v23, 0, v22
	v_cndmask_b32_e32 v22, v23, v22, vcc_lo
	v_bfe_i32 v23, v28, 16, 8
	s_delay_alu instid0(VALU_DEP_1) | instskip(SKIP_1) | instid1(VALU_DEP_1)
	v_mul_i32_i24_e32 v23, v25, v23
	v_and_b32_e32 v25, 4, v10
	v_cmp_eq_u16_e32 vcc_lo, 0, v25
	s_delay_alu instid0(VALU_DEP_3) | instskip(NEXT) | instid1(VALU_DEP_1)
	v_sub_nc_u32_e32 v25, 0, v23
	v_dual_cndmask_b32 v23, v25, v23, vcc_lo :: v_dual_ashrrev_i32 v25, 24, v28
	v_bfe_u32 v28, v27, 8, 8
	v_bfe_u32 v27, v27, 16, 8
	s_delay_alu instid0(VALU_DEP_3) | instskip(SKIP_1) | instid1(VALU_DEP_1)
	v_mul_i32_i24_e32 v24, v24, v25
	v_and_b32_e32 v25, 8, v10
	v_cmp_eq_u16_e32 vcc_lo, 0, v25
	s_delay_alu instid0(VALU_DEP_3) | instskip(NEXT) | instid1(VALU_DEP_1)
	v_sub_nc_u32_e32 v25, 0, v24
	v_cndmask_b32_e32 v24, v25, v24, vcc_lo
	v_bfe_i32 v25, v29, 0, 8
	s_delay_alu instid0(VALU_DEP_1) | instskip(SKIP_1) | instid1(VALU_DEP_1)
	v_mul_i32_i24_e32 v25, v26, v25
	v_and_b32_e32 v26, 16, v10
	v_cmp_eq_u16_e32 vcc_lo, 0, v26
	s_delay_alu instid0(VALU_DEP_3) | instskip(NEXT) | instid1(VALU_DEP_1)
	v_sub_nc_u32_e32 v26, 0, v25
	v_cndmask_b32_e32 v25, v26, v25, vcc_lo
	v_bfe_i32 v26, v29, 8, 8
	s_delay_alu instid0(VALU_DEP_1) | instskip(SKIP_1) | instid1(VALU_DEP_1)
	v_mul_i32_i24_e32 v26, v28, v26
	v_and_b32_e32 v28, 32, v10
	v_cmp_eq_u16_e32 vcc_lo, 0, v28
	s_delay_alu instid0(VALU_DEP_3) | instskip(NEXT) | instid1(VALU_DEP_1)
	v_sub_nc_u32_e32 v28, 0, v26
	v_cndmask_b32_e32 v26, v28, v26, vcc_lo
	v_bfe_i32 v28, v29, 16, 8
	v_cmp_gt_i16_e32 vcc_lo, 0, v30
	s_delay_alu instid0(VALU_DEP_2) | instskip(NEXT) | instid1(VALU_DEP_1)
	v_mul_i32_i24_e32 v27, v27, v28
	v_sub_nc_u32_e32 v28, 0, v27
	s_delay_alu instid0(VALU_DEP_1) | instskip(SKIP_2) | instid1(VALU_DEP_3)
	v_dual_cndmask_b32 v27, v27, v28 :: v_dual_ashrrev_i32 v28, 24, v29
	v_cmp_gt_i16_e32 vcc_lo, 0, v10
	v_and_b32_e32 v10, 0x1ff, v11
	v_mul_i32_i24_e32 v28, v31, v28
	s_delay_alu instid0(VALU_DEP_1) | instskip(NEXT) | instid1(VALU_DEP_1)
	v_sub_nc_u32_e32 v29, 0, v28
	v_cndmask_b32_e32 v34, v28, v29, vcc_lo
	global_load_i8 v35, v32, s[8:9]
	global_load_b128 v[28:31], v[6:7], off offset:20
	global_load_b64 v[32:33], v10, s[2:3] scale_offset
	global_load_u16 v8, v[8:9], off
	global_load_u16 v6, v[6:7], off
	s_wait_loadcnt 0x3
	v_bfe_i32 v36, v28, 0, 8
	s_wait_loadcnt 0x2
	v_and_b32_e32 v38, 0xff, v32
	v_bfe_u32 v39, v32, 8, 8
	v_lshrrev_b32_e32 v10, 24, v32
	v_bfe_u32 v32, v32, 16, 8
	v_lshrrev_b32_e32 v37, 24, v33
	v_mul_i32_i24_e32 v36, v38, v36
	v_and_b32_e32 v38, 1, v35
	s_wait_loadcnt 0x1
	s_wait_xcnt 0x1
	v_cvt_f32_f16_e32 v8, v8
	s_wait_loadcnt 0x0
	v_cvt_f32_f16_e32 v6, v6
	v_cmp_eq_u16_e32 vcc_lo, 0, v38
	s_delay_alu instid0(VALU_DEP_2) | instskip(NEXT) | instid1(VALU_DEP_1)
	v_dual_sub_nc_u32 v38, 0, v36 :: v_dual_mul_f32 v6, v8, v6
	v_cndmask_b32_e32 v36, v38, v36, vcc_lo
	v_bfe_i32 v38, v28, 8, 8
	s_delay_alu instid0(VALU_DEP_3) | instskip(NEXT) | instid1(VALU_DEP_2)
	v_mul_f32_e32 v6, 0x3e800000, v6
	v_mul_i32_i24_e32 v38, v39, v38
	v_and_b32_e32 v39, 2, v35
	s_delay_alu instid0(VALU_DEP_1) | instskip(NEXT) | instid1(VALU_DEP_3)
	v_cmp_eq_u16_e32 vcc_lo, 0, v39
	v_sub_nc_u32_e32 v39, 0, v38
	s_delay_alu instid0(VALU_DEP_1) | instskip(NEXT) | instid1(VALU_DEP_1)
	v_cndmask_b32_e32 v38, v39, v38, vcc_lo
	v_add_nc_u32_e32 v36, v38, v36
	v_bfe_i32 v38, v28, 16, 8
	v_ashrrev_i32_e32 v28, 24, v28
	s_delay_alu instid0(VALU_DEP_2) | instskip(SKIP_1) | instid1(VALU_DEP_3)
	v_mul_i32_i24_e32 v32, v32, v38
	v_and_b32_e32 v38, 4, v35
	v_mul_i32_i24_e32 v10, v10, v28
	v_and_b32_e32 v28, 8, v35
	s_delay_alu instid0(VALU_DEP_3) | instskip(SKIP_1) | instid1(VALU_DEP_1)
	v_cmp_eq_u16_e32 vcc_lo, 0, v38
	v_sub_nc_u32_e32 v38, 0, v32
	v_cndmask_b32_e32 v32, v38, v32, vcc_lo
	s_delay_alu instid0(VALU_DEP_4) | instskip(SKIP_1) | instid1(VALU_DEP_1)
	v_cmp_eq_u16_e32 vcc_lo, 0, v28
	v_sub_nc_u32_e32 v28, 0, v10
	v_cndmask_b32_e32 v10, v28, v10, vcc_lo
	v_bfe_i32 v28, v29, 0, 8
	s_delay_alu instid0(VALU_DEP_2) | instskip(SKIP_2) | instid1(VALU_DEP_2)
	v_add3_u32 v10, v36, v32, v10
	v_and_b32_e32 v32, 0xff, v33
	v_bfe_u32 v36, v33, 8, 8
	v_mul_i32_i24_e32 v28, v32, v28
	v_and_b32_e32 v32, 16, v35
	s_delay_alu instid0(VALU_DEP_1) | instskip(NEXT) | instid1(VALU_DEP_3)
	v_cmp_eq_u16_e32 vcc_lo, 0, v32
	v_sub_nc_u32_e32 v32, 0, v28
	s_delay_alu instid0(VALU_DEP_1) | instskip(SKIP_1) | instid1(VALU_DEP_1)
	v_cndmask_b32_e32 v28, v32, v28, vcc_lo
	v_bfe_i32 v32, v29, 8, 8
	v_mul_i32_i24_e32 v32, v36, v32
	v_and_b32_e32 v36, 32, v35
	s_delay_alu instid0(VALU_DEP_1) | instskip(NEXT) | instid1(VALU_DEP_3)
	v_cmp_eq_u16_e32 vcc_lo, 0, v36
	v_sub_nc_u32_e32 v36, 0, v32
	s_delay_alu instid0(VALU_DEP_1) | instskip(SKIP_1) | instid1(VALU_DEP_2)
	v_cndmask_b32_e32 v32, v36, v32, vcc_lo
	v_cmp_gt_i16_e32 vcc_lo, 0, v11
	v_add3_u32 v10, v10, v28, v32
	v_bfe_i32 v28, v29, 16, 8
	v_bfe_u32 v32, v33, 16, 8
	v_ashrrev_i32_e32 v29, 24, v29
	s_delay_alu instid0(VALU_DEP_2) | instskip(NEXT) | instid1(VALU_DEP_2)
	v_mul_i32_i24_e32 v28, v32, v28
	v_mul_i32_i24_e32 v29, v37, v29
	s_delay_alu instid0(VALU_DEP_2) | instskip(NEXT) | instid1(VALU_DEP_1)
	v_sub_nc_u32_e32 v32, 0, v28
	v_dual_cndmask_b32 v28, v28, v32, vcc_lo :: v_dual_sub_nc_u32 v32, 0, v29
	v_cmp_gt_i16_e32 vcc_lo, 0, v35
	s_delay_alu instid0(VALU_DEP_2) | instskip(SKIP_1) | instid1(VALU_DEP_2)
	v_cndmask_b32_e32 v29, v29, v32, vcc_lo
	v_bfe_i32 v32, v30, 0, 8
	v_add3_u32 v28, v10, v28, v29
	v_dual_lshrrev_b32 v10, 13, v11 :: v_dual_lshrrev_b32 v11, 25, v11
	s_delay_alu instid0(VALU_DEP_1)
	v_and_b32_e32 v10, 0xff8, v10
	global_load_i8 v29, v11, s[8:9]
	global_load_b64 v[10:11], v10, s[2:3]
	s_wait_loadcnt 0x0
	v_and_b32_e32 v36, 0xff, v10
	v_lshrrev_b32_e32 v35, 24, v11
	v_bfe_u32 v37, v10, 8, 8
	v_lshrrev_b32_e32 v33, 24, v10
	v_bfe_u32 v10, v10, 16, 8
	v_mul_i32_i24_e32 v32, v36, v32
	v_and_b32_e32 v36, 1, v29
	s_delay_alu instid0(VALU_DEP_1) | instskip(NEXT) | instid1(VALU_DEP_3)
	v_cmp_eq_u16_e32 vcc_lo, 0, v36
	v_sub_nc_u32_e32 v36, 0, v32
	s_delay_alu instid0(VALU_DEP_1) | instskip(SKIP_1) | instid1(VALU_DEP_1)
	v_cndmask_b32_e32 v32, v36, v32, vcc_lo
	v_bfe_i32 v36, v30, 8, 8
	v_mul_i32_i24_e32 v36, v37, v36
	v_and_b32_e32 v37, 2, v29
	s_delay_alu instid0(VALU_DEP_1) | instskip(NEXT) | instid1(VALU_DEP_3)
	v_cmp_eq_u16_e32 vcc_lo, 0, v37
	v_sub_nc_u32_e32 v37, 0, v36
	s_delay_alu instid0(VALU_DEP_1) | instskip(NEXT) | instid1(VALU_DEP_1)
	v_cndmask_b32_e32 v36, v37, v36, vcc_lo
	v_add3_u32 v28, v28, v32, v36
	v_bfe_i32 v32, v30, 16, 8
	v_ashrrev_i32_e32 v30, 24, v30
	s_delay_alu instid0(VALU_DEP_2) | instskip(SKIP_1) | instid1(VALU_DEP_3)
	v_mul_i32_i24_e32 v10, v10, v32
	v_and_b32_e32 v32, 4, v29
	v_mul_i32_i24_e32 v30, v33, v30
	s_delay_alu instid0(VALU_DEP_2) | instskip(NEXT) | instid1(VALU_DEP_4)
	v_cmp_eq_u16_e32 vcc_lo, 0, v32
	v_sub_nc_u32_e32 v32, 0, v10
	s_delay_alu instid0(VALU_DEP_1) | instskip(NEXT) | instid1(VALU_DEP_1)
	v_dual_cndmask_b32 v10, v32, v10, vcc_lo :: v_dual_bitop2_b32 v32, 8, v29 bitop3:0x40
	v_cmp_eq_u16_e32 vcc_lo, 0, v32
	v_sub_nc_u32_e32 v32, 0, v30
	s_delay_alu instid0(VALU_DEP_1) | instskip(SKIP_1) | instid1(VALU_DEP_2)
	v_cndmask_b32_e32 v30, v32, v30, vcc_lo
	v_bfe_u32 v32, v11, 8, 8
	v_add3_u32 v10, v28, v10, v30
	v_bfe_i32 v28, v31, 0, 8
	v_and_b32_e32 v30, 0xff, v11
	v_bfe_u32 v11, v11, 16, 8
	s_delay_alu instid0(VALU_DEP_2) | instskip(SKIP_1) | instid1(VALU_DEP_1)
	v_mul_i32_i24_e32 v28, v30, v28
	v_and_b32_e32 v30, 16, v29
	v_cmp_eq_u16_e32 vcc_lo, 0, v30
	s_delay_alu instid0(VALU_DEP_3) | instskip(NEXT) | instid1(VALU_DEP_1)
	v_sub_nc_u32_e32 v30, 0, v28
	v_cndmask_b32_e32 v28, v30, v28, vcc_lo
	v_bfe_i32 v30, v31, 8, 8
	s_delay_alu instid0(VALU_DEP_1) | instskip(SKIP_1) | instid1(VALU_DEP_1)
	v_mul_i32_i24_e32 v30, v32, v30
	v_and_b32_e32 v32, 32, v29
	v_cmp_eq_u16_e32 vcc_lo, 0, v32
	s_delay_alu instid0(VALU_DEP_3) | instskip(NEXT) | instid1(VALU_DEP_1)
	v_sub_nc_u32_e32 v32, 0, v30
	v_cndmask_b32_e32 v30, v32, v30, vcc_lo
	v_cmp_gt_i16_e32 vcc_lo, 0, v19
	v_ashrrev_i32_e32 v19, 24, v31
	s_delay_alu instid0(VALU_DEP_3) | instskip(SKIP_1) | instid1(VALU_DEP_3)
	v_add3_u32 v10, v10, v28, v30
	v_bfe_i32 v28, v31, 16, 8
	v_mul_i32_i24_e32 v19, v35, v19
	s_delay_alu instid0(VALU_DEP_2) | instskip(NEXT) | instid1(VALU_DEP_1)
	v_mul_i32_i24_e32 v11, v11, v28
	v_sub_nc_u32_e32 v28, 0, v11
	s_delay_alu instid0(VALU_DEP_1) | instskip(SKIP_1) | instid1(VALU_DEP_2)
	v_dual_cndmask_b32 v11, v11, v28 :: v_dual_sub_nc_u32 v28, 0, v19
	v_cmp_gt_i16_e32 vcc_lo, 0, v29
	v_cndmask_b32_e32 v19, v19, v28, vcc_lo
	v_cmp_le_u32_e32 vcc_lo, s12, v14
	s_delay_alu instid0(VALU_DEP_2) | instskip(SKIP_2) | instid1(VALU_DEP_2)
	v_add3_u32 v10, v10, v11, v19
	v_add3_u32 v11, v20, v21, v22
	s_or_b32 s4, vcc_lo, s4
	v_cvt_f32_i32_e32 v10, v10
	s_delay_alu instid0(VALU_DEP_2) | instskip(NEXT) | instid1(VALU_DEP_1)
	v_add3_u32 v11, v11, v23, v24
	v_add3_u32 v11, v11, v25, v26
	s_delay_alu instid0(VALU_DEP_1) | instskip(SKIP_2) | instid1(VALU_DEP_3)
	v_add3_u32 v19, v11, v27, v34
	v_lshrrev_b16 v11, 4, v18
	v_and_b32_e32 v18, 15, v18
	v_cvt_f32_i32_e32 v8, v19
	s_delay_alu instid0(VALU_DEP_3) | instskip(NEXT) | instid1(VALU_DEP_3)
	v_cvt_f32_ubyte0_e32 v9, v11
	v_cvt_f32_ubyte0_e32 v7, v18
	s_delay_alu instid0(VALU_DEP_1) | instskip(NEXT) | instid1(VALU_DEP_1)
	v_dual_add_f32 v9, 0.5, v9 :: v_dual_add_f32 v7, 0.5, v7
	v_mul_f32_e32 v9, v9, v10
	s_delay_alu instid0(VALU_DEP_1) | instskip(NEXT) | instid1(VALU_DEP_1)
	v_fmac_f32_e32 v9, v7, v8
	v_fmac_f32_e32 v15, v6, v9
	s_and_not1_b32 exec_lo, exec_lo, s4
	s_cbranch_execnz .LBB109_3
; %bb.4:
	s_or_b32 exec_lo, exec_lo, s4
.LBB109_5:
	s_delay_alu instid0(SALU_CYCLE_1) | instskip(SKIP_1) | instid1(VALU_DEP_1)
	s_or_b32 exec_lo, exec_lo, s11
	v_mbcnt_lo_u32_b32 v0, -1, 0
	v_xor_b32_e32 v2, 8, v0
	v_xor_b32_e32 v1, 16, v0
	v_xor_b32_e32 v3, 4, v0
	s_delay_alu instid0(VALU_DEP_2) | instskip(SKIP_4) | instid1(VALU_DEP_2)
	v_cmp_gt_i32_e32 vcc_lo, 32, v1
	v_cndmask_b32_e32 v1, v0, v1, vcc_lo
	v_cmp_gt_i32_e32 vcc_lo, 32, v2
	v_cndmask_b32_e32 v2, v0, v2, vcc_lo
	v_cmp_gt_i32_e32 vcc_lo, 32, v3
	v_dual_lshlrev_b32 v2, 2, v2 :: v_dual_lshlrev_b32 v1, 2, v1
	ds_bpermute_b32 v1, v1, v15
	s_wait_dscnt 0x0
	v_add_f32_e32 v1, v15, v1
	ds_bpermute_b32 v2, v2, v1
	s_wait_dscnt 0x0
	v_dual_cndmask_b32 v3, v0, v3, vcc_lo :: v_dual_add_f32 v1, v1, v2
	s_delay_alu instid0(VALU_DEP_1) | instskip(SKIP_3) | instid1(VALU_DEP_1)
	v_lshlrev_b32_e32 v3, 2, v3
	ds_bpermute_b32 v2, v3, v1
	s_wait_dscnt 0x0
	v_dual_add_f32 v1, v1, v2 :: v_dual_bitop2_b32 v3, 2, v0 bitop3:0x14
	v_cmp_gt_i32_e32 vcc_lo, 32, v3
	v_cndmask_b32_e32 v3, v0, v3, vcc_lo
	s_delay_alu instid0(VALU_DEP_1) | instskip(SKIP_2) | instid1(VALU_DEP_1)
	v_lshlrev_b32_e32 v3, 2, v3
	ds_bpermute_b32 v2, v3, v1
	v_xor_b32_e32 v3, 1, v0
	v_cmp_gt_i32_e32 vcc_lo, 32, v3
	v_cndmask_b32_e32 v3, v0, v3, vcc_lo
	v_cmp_eq_u32_e32 vcc_lo, 0, v13
	s_wait_dscnt 0x0
	s_delay_alu instid0(VALU_DEP_2)
	v_dual_add_f32 v0, v1, v2 :: v_dual_lshlrev_b32 v1, 2, v3
	ds_bpermute_b32 v1, v1, v0
	s_and_b32 exec_lo, exec_lo, vcc_lo
	s_cbranch_execz .LBB109_7
; %bb.6:
	s_wait_dscnt 0x0
	v_add_f32_e32 v0, v0, v1
	v_mad_u32 v2, s5, s10, v12
	s_delay_alu instid0(VALU_DEP_2) | instskip(NEXT) | instid1(VALU_DEP_1)
	v_bfe_u32 v1, v0, 16, 1
	v_add3_u32 v1, v0, v1, 0x7fff
	s_delay_alu instid0(VALU_DEP_1) | instskip(SKIP_1) | instid1(VALU_DEP_2)
	v_lshrrev_b32_e32 v1, 16, v1
	v_cmp_o_f32_e32 vcc_lo, v0, v0
	v_cndmask_b32_e32 v0, 0x7fc0, v1, vcc_lo
	s_wait_kmcnt 0x0
	global_store_b16 v2, v0, s[6:7] scale_offset
.LBB109_7:
	s_endpgm
	.section	.rodata,"a",@progbits
	.p2align	6, 0x0
	.amdhsa_kernel _ZL13mul_mat_vec_qIN3c108BFloat16ELi256ELi8E12block_iq2_xsLi1EXadL_ZL19vec_dot_iq2_xs_q8_1PKvPK10block_q8_1RKiEEEvS4_S4_PT_iii
		.amdhsa_group_segment_fixed_size 0
		.amdhsa_private_segment_fixed_size 0
		.amdhsa_kernarg_size 296
		.amdhsa_user_sgpr_count 2
		.amdhsa_user_sgpr_dispatch_ptr 0
		.amdhsa_user_sgpr_queue_ptr 0
		.amdhsa_user_sgpr_kernarg_segment_ptr 1
		.amdhsa_user_sgpr_dispatch_id 0
		.amdhsa_user_sgpr_kernarg_preload_length 0
		.amdhsa_user_sgpr_kernarg_preload_offset 0
		.amdhsa_user_sgpr_private_segment_size 0
		.amdhsa_wavefront_size32 1
		.amdhsa_uses_dynamic_stack 0
		.amdhsa_enable_private_segment 0
		.amdhsa_system_sgpr_workgroup_id_x 1
		.amdhsa_system_sgpr_workgroup_id_y 1
		.amdhsa_system_sgpr_workgroup_id_z 0
		.amdhsa_system_sgpr_workgroup_info 0
		.amdhsa_system_vgpr_workitem_id 1
		.amdhsa_next_free_vgpr 40
		.amdhsa_next_free_sgpr 13
		.amdhsa_named_barrier_count 0
		.amdhsa_reserve_vcc 1
		.amdhsa_float_round_mode_32 0
		.amdhsa_float_round_mode_16_64 0
		.amdhsa_float_denorm_mode_32 3
		.amdhsa_float_denorm_mode_16_64 3
		.amdhsa_fp16_overflow 0
		.amdhsa_memory_ordered 1
		.amdhsa_forward_progress 1
		.amdhsa_inst_pref_size 20
		.amdhsa_round_robin_scheduling 0
		.amdhsa_exception_fp_ieee_invalid_op 0
		.amdhsa_exception_fp_denorm_src 0
		.amdhsa_exception_fp_ieee_div_zero 0
		.amdhsa_exception_fp_ieee_overflow 0
		.amdhsa_exception_fp_ieee_underflow 0
		.amdhsa_exception_fp_ieee_inexact 0
		.amdhsa_exception_int_div_zero 0
	.end_amdhsa_kernel
	.section	.text._ZL13mul_mat_vec_qIN3c108BFloat16ELi256ELi8E12block_iq2_xsLi1EXadL_ZL19vec_dot_iq2_xs_q8_1PKvPK10block_q8_1RKiEEEvS4_S4_PT_iii,"axG",@progbits,_ZL13mul_mat_vec_qIN3c108BFloat16ELi256ELi8E12block_iq2_xsLi1EXadL_ZL19vec_dot_iq2_xs_q8_1PKvPK10block_q8_1RKiEEEvS4_S4_PT_iii,comdat
.Lfunc_end109:
	.size	_ZL13mul_mat_vec_qIN3c108BFloat16ELi256ELi8E12block_iq2_xsLi1EXadL_ZL19vec_dot_iq2_xs_q8_1PKvPK10block_q8_1RKiEEEvS4_S4_PT_iii, .Lfunc_end109-_ZL13mul_mat_vec_qIN3c108BFloat16ELi256ELi8E12block_iq2_xsLi1EXadL_ZL19vec_dot_iq2_xs_q8_1PKvPK10block_q8_1RKiEEEvS4_S4_PT_iii
                                        ; -- End function
	.set _ZL13mul_mat_vec_qIN3c108BFloat16ELi256ELi8E12block_iq2_xsLi1EXadL_ZL19vec_dot_iq2_xs_q8_1PKvPK10block_q8_1RKiEEEvS4_S4_PT_iii.num_vgpr, 40
	.set _ZL13mul_mat_vec_qIN3c108BFloat16ELi256ELi8E12block_iq2_xsLi1EXadL_ZL19vec_dot_iq2_xs_q8_1PKvPK10block_q8_1RKiEEEvS4_S4_PT_iii.num_agpr, 0
	.set _ZL13mul_mat_vec_qIN3c108BFloat16ELi256ELi8E12block_iq2_xsLi1EXadL_ZL19vec_dot_iq2_xs_q8_1PKvPK10block_q8_1RKiEEEvS4_S4_PT_iii.numbered_sgpr, 13
	.set _ZL13mul_mat_vec_qIN3c108BFloat16ELi256ELi8E12block_iq2_xsLi1EXadL_ZL19vec_dot_iq2_xs_q8_1PKvPK10block_q8_1RKiEEEvS4_S4_PT_iii.num_named_barrier, 0
	.set _ZL13mul_mat_vec_qIN3c108BFloat16ELi256ELi8E12block_iq2_xsLi1EXadL_ZL19vec_dot_iq2_xs_q8_1PKvPK10block_q8_1RKiEEEvS4_S4_PT_iii.private_seg_size, 0
	.set _ZL13mul_mat_vec_qIN3c108BFloat16ELi256ELi8E12block_iq2_xsLi1EXadL_ZL19vec_dot_iq2_xs_q8_1PKvPK10block_q8_1RKiEEEvS4_S4_PT_iii.uses_vcc, 1
	.set _ZL13mul_mat_vec_qIN3c108BFloat16ELi256ELi8E12block_iq2_xsLi1EXadL_ZL19vec_dot_iq2_xs_q8_1PKvPK10block_q8_1RKiEEEvS4_S4_PT_iii.uses_flat_scratch, 0
	.set _ZL13mul_mat_vec_qIN3c108BFloat16ELi256ELi8E12block_iq2_xsLi1EXadL_ZL19vec_dot_iq2_xs_q8_1PKvPK10block_q8_1RKiEEEvS4_S4_PT_iii.has_dyn_sized_stack, 0
	.set _ZL13mul_mat_vec_qIN3c108BFloat16ELi256ELi8E12block_iq2_xsLi1EXadL_ZL19vec_dot_iq2_xs_q8_1PKvPK10block_q8_1RKiEEEvS4_S4_PT_iii.has_recursion, 0
	.set _ZL13mul_mat_vec_qIN3c108BFloat16ELi256ELi8E12block_iq2_xsLi1EXadL_ZL19vec_dot_iq2_xs_q8_1PKvPK10block_q8_1RKiEEEvS4_S4_PT_iii.has_indirect_call, 0
	.section	.AMDGPU.csdata,"",@progbits
; Kernel info:
; codeLenInByte = 2532
; TotalNumSgprs: 15
; NumVgprs: 40
; ScratchSize: 0
; MemoryBound: 0
; FloatMode: 240
; IeeeMode: 1
; LDSByteSize: 0 bytes/workgroup (compile time only)
; SGPRBlocks: 0
; VGPRBlocks: 2
; NumSGPRsForWavesPerEU: 15
; NumVGPRsForWavesPerEU: 40
; NamedBarCnt: 0
; Occupancy: 16
; WaveLimiterHint : 0
; COMPUTE_PGM_RSRC2:SCRATCH_EN: 0
; COMPUTE_PGM_RSRC2:USER_SGPR: 2
; COMPUTE_PGM_RSRC2:TRAP_HANDLER: 0
; COMPUTE_PGM_RSRC2:TGID_X_EN: 1
; COMPUTE_PGM_RSRC2:TGID_Y_EN: 1
; COMPUTE_PGM_RSRC2:TGID_Z_EN: 0
; COMPUTE_PGM_RSRC2:TIDIG_COMP_CNT: 1
	.section	.text._ZL13mul_mat_vec_qIN3c108BFloat16ELi256ELi8E13block_iq3_xxsLi1EXadL_ZL20vec_dot_iq3_xxs_q8_1PKvPK10block_q8_1RKiEEEvS4_S4_PT_iii,"axG",@progbits,_ZL13mul_mat_vec_qIN3c108BFloat16ELi256ELi8E13block_iq3_xxsLi1EXadL_ZL20vec_dot_iq3_xxs_q8_1PKvPK10block_q8_1RKiEEEvS4_S4_PT_iii,comdat
	.globl	_ZL13mul_mat_vec_qIN3c108BFloat16ELi256ELi8E13block_iq3_xxsLi1EXadL_ZL20vec_dot_iq3_xxs_q8_1PKvPK10block_q8_1RKiEEEvS4_S4_PT_iii ; -- Begin function _ZL13mul_mat_vec_qIN3c108BFloat16ELi256ELi8E13block_iq3_xxsLi1EXadL_ZL20vec_dot_iq3_xxs_q8_1PKvPK10block_q8_1RKiEEEvS4_S4_PT_iii
	.p2align	8
	.type	_ZL13mul_mat_vec_qIN3c108BFloat16ELi256ELi8E13block_iq3_xxsLi1EXadL_ZL20vec_dot_iq3_xxs_q8_1PKvPK10block_q8_1RKiEEEvS4_S4_PT_iii,@function
_ZL13mul_mat_vec_qIN3c108BFloat16ELi256ELi8E13block_iq3_xxsLi1EXadL_ZL20vec_dot_iq3_xxs_q8_1PKvPK10block_q8_1RKiEEEvS4_S4_PT_iii: ; @_ZL13mul_mat_vec_qIN3c108BFloat16ELi256ELi8E13block_iq3_xxsLi1EXadL_ZL20vec_dot_iq3_xxs_q8_1PKvPK10block_q8_1RKiEEEvS4_S4_PT_iii
; %bb.0:
	s_clause 0x1
	s_load_u16 s2, s[0:1], 0x36
	s_load_b96 s[4:6], s[0:1], 0x18
	s_bfe_u32 s7, ttmp6, 0x4000c
	s_bfe_u32 s8, ttmp6, 0x40010
	s_add_co_i32 s7, s7, 1
	s_add_co_i32 s8, s8, 1
	s_and_b32 s3, ttmp6, 15
	s_mul_i32 s7, ttmp9, s7
	s_mul_i32 s8, ttmp7, s8
	s_bfe_u32 s9, ttmp6, 0x40004
	s_add_co_i32 s3, s3, s7
	s_getreg_b32 s7, hwreg(HW_REG_IB_STS2, 6, 4)
	s_add_co_i32 s9, s9, s8
	v_bfe_u32 v1, v0, 10, 10
	s_cmp_eq_u32 s7, 0
	s_cselect_b32 s3, ttmp9, s3
	s_cselect_b32 s12, ttmp7, s9
	s_wait_kmcnt 0x0
	v_mad_u32 v14, s3, s2, v1
	s_cmp_lt_u32 s12, s6
	s_cselect_b32 s2, -1, 0
	s_delay_alu instid0(VALU_DEP_1) | instskip(SKIP_1) | instid1(SALU_CYCLE_1)
	v_cmp_gt_u32_e32 vcc_lo, s5, v14
	s_and_b32 s2, s2, vcc_lo
	s_and_saveexec_b32 s3, s2
	s_cbranch_execz .LBB110_9
; %bb.1:
	s_load_b64 s[6:7], s[0:1], 0x10
	s_ashr_i32 s2, s4, 31
	v_bfe_u32 v16, v0, 3, 7
	s_lshr_b32 s2, s2, 24
	v_and_b32_e32 v15, 0x3ff, v0
	v_mov_b32_e32 v18, 0
	s_add_co_i32 s2, s4, s2
	s_mov_b32 s13, exec_lo
	s_ashr_i32 s14, s2, 8
	s_delay_alu instid0(SALU_CYCLE_1)
	v_cmpx_gt_u32_e64 s14, v16
	s_cbranch_execz .LBB110_7
; %bb.2:
	s_wait_xcnt 0x0
	s_load_b128 s[0:3], s[0:1], 0x0
	v_dual_mov_b32 v1, 0 :: v_dual_bitop2_b32 v4, 7, v15 bitop3:0x40
	s_addk_co_i32 s4, 0x1ff
	v_mul_lo_u32 v17, v14, s14
	s_ashr_i32 s8, s4, 31
	s_delay_alu instid0(VALU_DEP_2)
	v_lshlrev_b32_e32 v0, 3, v4
	s_lshr_b32 s8, s8, 23
	v_mov_b32_e32 v18, v1
	s_add_co_i32 s4, s4, s8
	s_mov_b32 s15, 0
	s_get_pc_i64 s[8:9]
	s_add_nc_u64 s[8:9], s[8:9], _ZL8ksigns64@rel64+4
	s_wait_kmcnt 0x0
	v_mad_nc_u64_u32 v[2:3], v4, 36, s[2:3]
	v_lshlrev_b32_e32 v4, 1, v4
	v_add_nc_u64_e32 v[6:7], s[0:1], v[0:1]
	s_ashr_i32 s2, s4, 9
	v_add_nc_u32_e32 v19, v16, v17
	s_mul_i32 s2, s12, s2
	v_lshlrev_b32_e32 v0, 1, v4
	s_lshl_b32 s4, s2, 4
	s_get_pc_i64 s[2:3]
	s_add_nc_u64 s[2:3], s[2:3], _ZL11iq3xxs_grid@rel64+4
	v_add_nc_u64_e32 v[4:5], 2, v[6:7]
	v_lshl_add_u32 v20, v16, 3, s4
	v_add_nc_u64_e32 v[6:7], 4, v[2:3]
.LBB110_3:                              ; =>This Loop Header: Depth=1
                                        ;     Child Loop BB110_4 Depth 2
	v_dual_mov_b32 v21, 0 :: v_dual_add_nc_u32 v8, v16, v17
	s_delay_alu instid0(VALU_DEP_4) | instskip(SKIP_1) | instid1(VALU_DEP_2)
	v_mad_nc_i64_i32 v[12:13], 0x62, v19, v[4:5]
	s_mov_b64 s[10:11], 0
	v_mad_nc_i64_i32 v[8:9], 0x62, v8, s[0:1]
	s_delay_alu instid0(VALU_DEP_1)
	v_add_nc_u64_e32 v[10:11], v[8:9], v[0:1]
	global_load_b32 v22, v[10:11], off offset:66
	s_wait_xcnt 0x0
	v_mad_nc_i64_i32 v[10:11], v20, 36, v[6:7]
.LBB110_4:                              ;   Parent Loop BB110_3 Depth=1
                                        ; =>  This Inner Loop Header: Depth=2
	global_load_u16 v23, v[12:13], off
	s_wait_loadcnt 0x1
	v_and_b32_e32 v26, 0x7f, v22
	v_add_nc_u64_e32 v[24:25], s[10:11], v[10:11]
	s_wait_xcnt 0x0
	v_add_nc_u64_e32 v[12:13], 2, v[12:13]
	v_lshrrev_b32_e32 v22, 7, v22
	s_add_nc_u64 s[10:11], s[10:11], 8
	global_load_b64 v[26:27], v26, s[8:9] scale_offset
	s_cmp_lg_u32 s10, 32
	s_wait_loadcnt 0x1
	v_lshrrev_b16 v28, 8, v23
	v_and_b32_e32 v23, 0xff, v23
	s_delay_alu instid0(VALU_DEP_2)
	v_and_b32_e32 v30, 0xffff, v28
	s_wait_loadcnt 0x0
	v_and_b32_e32 v33, 0xff0000, v27
	v_and_b32_e32 v34, 0xff00, v27
	s_clause 0x1
	global_load_b32 v31, v23, s[2:3] scale_offset
	global_load_b32 v32, v30, s[2:3] scale_offset
	global_load_b64 v[28:29], v[24:25], off
	s_wait_xcnt 0x0
	v_and_b32_e32 v24, 0xff0000, v26
	v_and_b32_e32 v23, 0xff000000, v26
	;; [unrolled: 1-line block ×4, first 2 shown]
	s_wait_loadcnt 0x1
	v_xor_b32_e32 v32, v27, v32
	v_xor_b32_e32 v31, v26, v31
	s_wait_loadcnt 0x0
	v_lshrrev_b16 v35, 8, v28
	v_lshrrev_b16 v36, 8, v29
	v_dual_ashrrev_i32 v37, 24, v28 :: v_dual_ashrrev_i32 v39, 24, v29
	v_dual_sub_nc_u32 v24, v31, v24 :: v_dual_sub_nc_u32 v26, v31, v26
	v_bfe_i32 v38, v28, 16, 8
	v_bfe_i32 v28, v28, 0, 8
	;; [unrolled: 1-line block ×4, first 2 shown]
	v_perm_b32 v24, v24, v26, 0xc060c00
	v_dual_sub_nc_u32 v26, v32, v33 :: v_dual_sub_nc_u32 v23, v31, v23
	v_sub_nc_u32_e32 v25, v31, v25
	v_bfe_i32 v35, v35, 0, 8
	v_bfe_i32 v36, v36, 0, 8
	s_delay_alu instid0(VALU_DEP_4) | instskip(SKIP_3) | instid1(VALU_DEP_3)
	v_ashrrev_i32_e32 v23, 24, v23
	v_dual_sub_nc_u32 v27, v32, v27 :: v_dual_sub_nc_u32 v31, v32, v34
	v_sub_nc_u32_e32 v30, v32, v30
	v_lshrrev_b16 v25, 8, v25
	v_perm_b32 v26, v26, v27, 0xc060c00
	s_delay_alu instid0(VALU_DEP_4)
	v_lshrrev_b16 v27, 8, v31
	v_bfe_i32 v31, v24, 0, 8
	v_ashrrev_i32_e32 v30, 24, v30
	v_bfe_i32 v24, v24, 16, 8
	v_bfe_i32 v32, v26, 16, 8
	;; [unrolled: 1-line block ×3, first 2 shown]
	v_mul_i32_i24_e32 v28, v31, v28
	v_bfe_i32 v26, v26, 0, 8
	v_bfe_i32 v27, v27, 0, 8
	v_mul_i32_i24_e32 v30, v30, v39
	v_mul_i32_i24_e32 v31, v32, v40
	;; [unrolled: 1-line block ×5, first 2 shown]
	v_mad_i32_i24 v23, v23, v37, v30
	v_mad_i32_i24 v24, v24, v38, v31
	s_delay_alu instid0(VALU_DEP_2) | instskip(NEXT) | instid1(VALU_DEP_2)
	v_add3_u32 v23, v25, v27, v23
	v_add3_u32 v24, v28, v26, v24
	s_delay_alu instid0(VALU_DEP_1)
	v_add3_u32 v21, v24, v23, v21
	s_cbranch_scc1 .LBB110_4
; %bb.5:                                ;   in Loop: Header=BB110_3 Depth=1
	v_lshl_add_u32 v10, v16, 3, s4
	v_dual_add_nc_u32 v19, 4, v19 :: v_dual_add_nc_u32 v16, 4, v16
	v_add_nc_u32_e32 v20, 32, v20
	s_delay_alu instid0(VALU_DEP_3)
	v_mad_nc_i64_i32 v[10:11], v10, 36, v[2:3]
	global_load_u16 v12, v[8:9], off
	global_load_b32 v13, v[10:11], off
	s_wait_xcnt 0x1
	v_cvt_f32_u32_e32 v8, v22
	v_cmp_le_u32_e32 vcc_lo, s14, v16
	s_delay_alu instid0(VALU_DEP_2) | instskip(SKIP_3) | instid1(VALU_DEP_1)
	v_add_f32_e32 v8, 0.5, v8
	s_or_b32 s15, vcc_lo, s15
	s_wait_loadcnt 0x1
	v_cvt_f32_f16_e32 v9, v12
	v_mul_f32_e32 v8, v8, v9
	s_wait_loadcnt 0x0
	v_cvt_f32_f16_e32 v9, v13
	s_delay_alu instid0(VALU_DEP_1) | instskip(SKIP_1) | instid1(VALU_DEP_2)
	v_mul_f32_e32 v8, v8, v9
	v_cvt_f32_i32_e32 v9, v21
	v_mul_f32_e32 v8, 0.5, v8
	s_delay_alu instid0(VALU_DEP_1)
	v_fmac_f32_e32 v18, v8, v9
	s_and_not1_b32 exec_lo, exec_lo, s15
	s_cbranch_execnz .LBB110_3
; %bb.6:
	s_or_b32 exec_lo, exec_lo, s15
.LBB110_7:
	s_delay_alu instid0(SALU_CYCLE_1) | instskip(SKIP_1) | instid1(VALU_DEP_1)
	s_or_b32 exec_lo, exec_lo, s13
	v_mbcnt_lo_u32_b32 v0, -1, 0
	v_xor_b32_e32 v2, 8, v0
	v_xor_b32_e32 v1, 16, v0
	;; [unrolled: 1-line block ×3, first 2 shown]
	s_delay_alu instid0(VALU_DEP_2) | instskip(SKIP_4) | instid1(VALU_DEP_2)
	v_cmp_gt_i32_e32 vcc_lo, 32, v1
	v_cndmask_b32_e32 v1, v0, v1, vcc_lo
	v_cmp_gt_i32_e32 vcc_lo, 32, v2
	v_cndmask_b32_e32 v2, v0, v2, vcc_lo
	v_cmp_gt_i32_e32 vcc_lo, 32, v3
	v_dual_lshlrev_b32 v2, 2, v2 :: v_dual_lshlrev_b32 v1, 2, v1
	ds_bpermute_b32 v1, v1, v18
	s_wait_dscnt 0x0
	v_add_f32_e32 v1, v18, v1
	ds_bpermute_b32 v2, v2, v1
	s_wait_dscnt 0x0
	v_dual_cndmask_b32 v3, v0, v3, vcc_lo :: v_dual_add_f32 v1, v1, v2
	s_delay_alu instid0(VALU_DEP_1) | instskip(SKIP_3) | instid1(VALU_DEP_1)
	v_lshlrev_b32_e32 v3, 2, v3
	ds_bpermute_b32 v2, v3, v1
	s_wait_dscnt 0x0
	v_dual_add_f32 v1, v1, v2 :: v_dual_bitop2_b32 v3, 2, v0 bitop3:0x14
	v_cmp_gt_i32_e32 vcc_lo, 32, v3
	v_cndmask_b32_e32 v3, v0, v3, vcc_lo
	s_delay_alu instid0(VALU_DEP_1) | instskip(SKIP_2) | instid1(VALU_DEP_1)
	v_lshlrev_b32_e32 v3, 2, v3
	ds_bpermute_b32 v2, v3, v1
	v_xor_b32_e32 v3, 1, v0
	v_cmp_gt_i32_e32 vcc_lo, 32, v3
	v_cndmask_b32_e32 v3, v0, v3, vcc_lo
	v_cmp_eq_u32_e32 vcc_lo, 0, v15
	s_wait_dscnt 0x0
	s_delay_alu instid0(VALU_DEP_2)
	v_dual_add_f32 v0, v1, v2 :: v_dual_lshlrev_b32 v1, 2, v3
	ds_bpermute_b32 v1, v1, v0
	s_and_b32 exec_lo, exec_lo, vcc_lo
	s_cbranch_execz .LBB110_9
; %bb.8:
	s_wait_dscnt 0x0
	v_add_f32_e32 v0, v0, v1
	v_mad_u32 v2, s5, s12, v14
	s_delay_alu instid0(VALU_DEP_2) | instskip(NEXT) | instid1(VALU_DEP_1)
	v_bfe_u32 v1, v0, 16, 1
	v_add3_u32 v1, v0, v1, 0x7fff
	s_delay_alu instid0(VALU_DEP_1) | instskip(SKIP_1) | instid1(VALU_DEP_2)
	v_lshrrev_b32_e32 v1, 16, v1
	v_cmp_o_f32_e32 vcc_lo, v0, v0
	v_cndmask_b32_e32 v0, 0x7fc0, v1, vcc_lo
	s_wait_kmcnt 0x0
	global_store_b16 v2, v0, s[6:7] scale_offset
.LBB110_9:
	s_endpgm
	.section	.rodata,"a",@progbits
	.p2align	6, 0x0
	.amdhsa_kernel _ZL13mul_mat_vec_qIN3c108BFloat16ELi256ELi8E13block_iq3_xxsLi1EXadL_ZL20vec_dot_iq3_xxs_q8_1PKvPK10block_q8_1RKiEEEvS4_S4_PT_iii
		.amdhsa_group_segment_fixed_size 0
		.amdhsa_private_segment_fixed_size 0
		.amdhsa_kernarg_size 296
		.amdhsa_user_sgpr_count 2
		.amdhsa_user_sgpr_dispatch_ptr 0
		.amdhsa_user_sgpr_queue_ptr 0
		.amdhsa_user_sgpr_kernarg_segment_ptr 1
		.amdhsa_user_sgpr_dispatch_id 0
		.amdhsa_user_sgpr_kernarg_preload_length 0
		.amdhsa_user_sgpr_kernarg_preload_offset 0
		.amdhsa_user_sgpr_private_segment_size 0
		.amdhsa_wavefront_size32 1
		.amdhsa_uses_dynamic_stack 0
		.amdhsa_enable_private_segment 0
		.amdhsa_system_sgpr_workgroup_id_x 1
		.amdhsa_system_sgpr_workgroup_id_y 1
		.amdhsa_system_sgpr_workgroup_id_z 0
		.amdhsa_system_sgpr_workgroup_info 0
		.amdhsa_system_vgpr_workitem_id 1
		.amdhsa_next_free_vgpr 41
		.amdhsa_next_free_sgpr 16
		.amdhsa_named_barrier_count 0
		.amdhsa_reserve_vcc 1
		.amdhsa_float_round_mode_32 0
		.amdhsa_float_round_mode_16_64 0
		.amdhsa_float_denorm_mode_32 3
		.amdhsa_float_denorm_mode_16_64 3
		.amdhsa_fp16_overflow 0
		.amdhsa_memory_ordered 1
		.amdhsa_forward_progress 1
		.amdhsa_inst_pref_size 11
		.amdhsa_round_robin_scheduling 0
		.amdhsa_exception_fp_ieee_invalid_op 0
		.amdhsa_exception_fp_denorm_src 0
		.amdhsa_exception_fp_ieee_div_zero 0
		.amdhsa_exception_fp_ieee_overflow 0
		.amdhsa_exception_fp_ieee_underflow 0
		.amdhsa_exception_fp_ieee_inexact 0
		.amdhsa_exception_int_div_zero 0
	.end_amdhsa_kernel
	.section	.text._ZL13mul_mat_vec_qIN3c108BFloat16ELi256ELi8E13block_iq3_xxsLi1EXadL_ZL20vec_dot_iq3_xxs_q8_1PKvPK10block_q8_1RKiEEEvS4_S4_PT_iii,"axG",@progbits,_ZL13mul_mat_vec_qIN3c108BFloat16ELi256ELi8E13block_iq3_xxsLi1EXadL_ZL20vec_dot_iq3_xxs_q8_1PKvPK10block_q8_1RKiEEEvS4_S4_PT_iii,comdat
.Lfunc_end110:
	.size	_ZL13mul_mat_vec_qIN3c108BFloat16ELi256ELi8E13block_iq3_xxsLi1EXadL_ZL20vec_dot_iq3_xxs_q8_1PKvPK10block_q8_1RKiEEEvS4_S4_PT_iii, .Lfunc_end110-_ZL13mul_mat_vec_qIN3c108BFloat16ELi256ELi8E13block_iq3_xxsLi1EXadL_ZL20vec_dot_iq3_xxs_q8_1PKvPK10block_q8_1RKiEEEvS4_S4_PT_iii
                                        ; -- End function
	.set _ZL13mul_mat_vec_qIN3c108BFloat16ELi256ELi8E13block_iq3_xxsLi1EXadL_ZL20vec_dot_iq3_xxs_q8_1PKvPK10block_q8_1RKiEEEvS4_S4_PT_iii.num_vgpr, 41
	.set _ZL13mul_mat_vec_qIN3c108BFloat16ELi256ELi8E13block_iq3_xxsLi1EXadL_ZL20vec_dot_iq3_xxs_q8_1PKvPK10block_q8_1RKiEEEvS4_S4_PT_iii.num_agpr, 0
	.set _ZL13mul_mat_vec_qIN3c108BFloat16ELi256ELi8E13block_iq3_xxsLi1EXadL_ZL20vec_dot_iq3_xxs_q8_1PKvPK10block_q8_1RKiEEEvS4_S4_PT_iii.numbered_sgpr, 16
	.set _ZL13mul_mat_vec_qIN3c108BFloat16ELi256ELi8E13block_iq3_xxsLi1EXadL_ZL20vec_dot_iq3_xxs_q8_1PKvPK10block_q8_1RKiEEEvS4_S4_PT_iii.num_named_barrier, 0
	.set _ZL13mul_mat_vec_qIN3c108BFloat16ELi256ELi8E13block_iq3_xxsLi1EXadL_ZL20vec_dot_iq3_xxs_q8_1PKvPK10block_q8_1RKiEEEvS4_S4_PT_iii.private_seg_size, 0
	.set _ZL13mul_mat_vec_qIN3c108BFloat16ELi256ELi8E13block_iq3_xxsLi1EXadL_ZL20vec_dot_iq3_xxs_q8_1PKvPK10block_q8_1RKiEEEvS4_S4_PT_iii.uses_vcc, 1
	.set _ZL13mul_mat_vec_qIN3c108BFloat16ELi256ELi8E13block_iq3_xxsLi1EXadL_ZL20vec_dot_iq3_xxs_q8_1PKvPK10block_q8_1RKiEEEvS4_S4_PT_iii.uses_flat_scratch, 0
	.set _ZL13mul_mat_vec_qIN3c108BFloat16ELi256ELi8E13block_iq3_xxsLi1EXadL_ZL20vec_dot_iq3_xxs_q8_1PKvPK10block_q8_1RKiEEEvS4_S4_PT_iii.has_dyn_sized_stack, 0
	.set _ZL13mul_mat_vec_qIN3c108BFloat16ELi256ELi8E13block_iq3_xxsLi1EXadL_ZL20vec_dot_iq3_xxs_q8_1PKvPK10block_q8_1RKiEEEvS4_S4_PT_iii.has_recursion, 0
	.set _ZL13mul_mat_vec_qIN3c108BFloat16ELi256ELi8E13block_iq3_xxsLi1EXadL_ZL20vec_dot_iq3_xxs_q8_1PKvPK10block_q8_1RKiEEEvS4_S4_PT_iii.has_indirect_call, 0
	.section	.AMDGPU.csdata,"",@progbits
; Kernel info:
; codeLenInByte = 1356
; TotalNumSgprs: 18
; NumVgprs: 41
; ScratchSize: 0
; MemoryBound: 0
; FloatMode: 240
; IeeeMode: 1
; LDSByteSize: 0 bytes/workgroup (compile time only)
; SGPRBlocks: 0
; VGPRBlocks: 2
; NumSGPRsForWavesPerEU: 18
; NumVGPRsForWavesPerEU: 41
; NamedBarCnt: 0
; Occupancy: 16
; WaveLimiterHint : 0
; COMPUTE_PGM_RSRC2:SCRATCH_EN: 0
; COMPUTE_PGM_RSRC2:USER_SGPR: 2
; COMPUTE_PGM_RSRC2:TRAP_HANDLER: 0
; COMPUTE_PGM_RSRC2:TGID_X_EN: 1
; COMPUTE_PGM_RSRC2:TGID_Y_EN: 1
; COMPUTE_PGM_RSRC2:TGID_Z_EN: 0
; COMPUTE_PGM_RSRC2:TIDIG_COMP_CNT: 1
	.section	.text._ZL13mul_mat_vec_qIN3c108BFloat16ELi256ELi8E11block_iq1_sLi1EXadL_ZL18vec_dot_iq1_s_q8_1PKvPK10block_q8_1RKiEEEvS4_S4_PT_iii,"axG",@progbits,_ZL13mul_mat_vec_qIN3c108BFloat16ELi256ELi8E11block_iq1_sLi1EXadL_ZL18vec_dot_iq1_s_q8_1PKvPK10block_q8_1RKiEEEvS4_S4_PT_iii,comdat
	.globl	_ZL13mul_mat_vec_qIN3c108BFloat16ELi256ELi8E11block_iq1_sLi1EXadL_ZL18vec_dot_iq1_s_q8_1PKvPK10block_q8_1RKiEEEvS4_S4_PT_iii ; -- Begin function _ZL13mul_mat_vec_qIN3c108BFloat16ELi256ELi8E11block_iq1_sLi1EXadL_ZL18vec_dot_iq1_s_q8_1PKvPK10block_q8_1RKiEEEvS4_S4_PT_iii
	.p2align	8
	.type	_ZL13mul_mat_vec_qIN3c108BFloat16ELi256ELi8E11block_iq1_sLi1EXadL_ZL18vec_dot_iq1_s_q8_1PKvPK10block_q8_1RKiEEEvS4_S4_PT_iii,@function
_ZL13mul_mat_vec_qIN3c108BFloat16ELi256ELi8E11block_iq1_sLi1EXadL_ZL18vec_dot_iq1_s_q8_1PKvPK10block_q8_1RKiEEEvS4_S4_PT_iii: ; @_ZL13mul_mat_vec_qIN3c108BFloat16ELi256ELi8E11block_iq1_sLi1EXadL_ZL18vec_dot_iq1_s_q8_1PKvPK10block_q8_1RKiEEEvS4_S4_PT_iii
; %bb.0:
	s_clause 0x1
	s_load_u16 s2, s[0:1], 0x36
	s_load_b96 s[4:6], s[0:1], 0x18
	s_bfe_u32 s7, ttmp6, 0x4000c
	s_bfe_u32 s8, ttmp6, 0x40010
	s_add_co_i32 s7, s7, 1
	s_add_co_i32 s8, s8, 1
	s_and_b32 s3, ttmp6, 15
	s_mul_i32 s7, ttmp9, s7
	s_mul_i32 s8, ttmp7, s8
	s_bfe_u32 s9, ttmp6, 0x40004
	s_add_co_i32 s3, s3, s7
	s_getreg_b32 s7, hwreg(HW_REG_IB_STS2, 6, 4)
	s_add_co_i32 s9, s9, s8
	v_bfe_u32 v1, v0, 10, 10
	s_cmp_eq_u32 s7, 0
	s_cselect_b32 s3, ttmp9, s3
	s_cselect_b32 s8, ttmp7, s9
	s_wait_kmcnt 0x0
	v_mad_u32 v18, s3, s2, v1
	s_cmp_lt_u32 s8, s6
	s_cselect_b32 s2, -1, 0
	s_delay_alu instid0(VALU_DEP_1) | instskip(SKIP_1) | instid1(SALU_CYCLE_1)
	v_cmp_gt_u32_e32 vcc_lo, s5, v18
	s_and_b32 s2, s2, vcc_lo
	s_and_saveexec_b32 s3, s2
	s_cbranch_execz .LBB111_7
; %bb.1:
	s_load_b64 s[6:7], s[0:1], 0x10
	s_ashr_i32 s2, s4, 31
	v_bfe_u32 v20, v0, 3, 7
	s_lshr_b32 s2, s2, 24
	v_and_b32_e32 v19, 0x3ff, v0
	v_mov_b32_e32 v21, 0
	s_add_co_i32 s2, s4, s2
	s_mov_b32 s9, exec_lo
	s_ashr_i32 s10, s2, 8
	s_delay_alu instid0(SALU_CYCLE_1)
	v_cmpx_gt_u32_e64 s10, v20
	s_cbranch_execz .LBB111_5
; %bb.2:
	s_wait_xcnt 0x0
	s_load_b128 s[0:3], s[0:1], 0x0
	s_addk_co_i32 s4, 0x1ff
	v_dual_lshlrev_b32 v1, 3, v20 :: v_dual_bitop2_b32 v0, 7, v19 bitop3:0x40
	s_ashr_i32 s11, s4, 31
	v_mul_lo_u32 v22, v18, s10
	s_lshr_b32 s11, s11, 23
	s_delay_alu instid0(VALU_DEP_2) | instskip(SKIP_3) | instid1(VALU_DEP_2)
	v_dual_mov_b32 v9, 0 :: v_dual_lshlrev_b32 v2, 1, v0
	s_add_co_i32 s4, s4, s11
	v_lshlrev_b32_e32 v12, 1, v0
	s_ashr_i32 s4, s4, 9
	v_lshlrev_b32_e32 v8, 1, v2
	s_mul_i32 s4, s8, s4
	v_dual_mov_b32 v13, v9 :: v_dual_mov_b32 v21, v9
	v_lshl_add_u32 v23, s4, 4, v1
	s_mov_b32 s4, 0
	s_mov_b32 s11, 0xb7000000
	s_wait_kmcnt 0x0
	v_mad_nc_u64_u32 v[10:11], v0, 36, s[2:3]
	s_get_pc_i64 s[2:3]
	s_add_nc_u64 s[2:3], s[2:3], _ZL13iq1s_grid_gpu@rel64+4
.LBB111_3:                              ; =>This Inner Loop Header: Depth=1
	v_add_nc_u32_e32 v0, v22, v20
	s_delay_alu instid0(VALU_DEP_2) | instskip(SKIP_1) | instid1(VALU_DEP_3)
	v_mad_nc_i64_i32 v[14:15], v23, 36, v[10:11]
	v_dual_add_nc_u32 v20, 4, v20 :: v_dual_add_nc_u32 v23, 32, v23
	v_mad_nc_i64_i32 v[16:17], v0, 50, s[0:1]
	s_delay_alu instid0(VALU_DEP_2) | instskip(SKIP_1) | instid1(VALU_DEP_2)
	v_cmp_le_u32_e32 vcc_lo, s10, v20
	s_or_b32 s4, vcc_lo, s4
	v_add_nc_u64_e32 v[0:1], v[16:17], v[8:9]
	v_add_nc_u64_e32 v[2:3], v[16:17], v[12:13]
	s_clause 0x1
	global_load_b32 v25, v[0:1], off offset:2
	global_load_u16 v24, v[2:3], off offset:34
	s_clause 0x1
	global_load_b128 v[0:3], v[14:15], off offset:4
	global_load_b128 v[4:7], v[14:15], off offset:20
	global_load_u16 v26, v[16:17], off
	s_wait_loadcnt 0x4
	s_wait_xcnt 0x0
	v_and_b32_e32 v17, 0xff, v25
	s_wait_loadcnt 0x3
	v_dual_lshlrev_b32 v27, 8, v24 :: v_dual_lshlrev_b32 v29, 5, v24
	v_bfe_u32 v28, v25, 8, 8
	v_lshrrev_b32_e32 v16, 24, v25
	v_bfe_u32 v25, v25, 16, 8
	v_dual_lshlrev_b32 v30, 2, v24 :: v_dual_lshrrev_b32 v31, 1, v24
	v_and_or_b32 v17, 0x700, v27, v17
	v_and_or_b32 v27, 0x700, v29, v28
	s_wait_loadcnt 0x2
	v_ashrrev_i32_e32 v33, 24, v1
	v_and_or_b32 v25, 0x700, v30, v25
	v_and_or_b32 v16, 0x700, v31, v16
	v_dual_lshlrev_b32 v17, 3, v17 :: v_dual_lshlrev_b32 v27, 3, v27
	v_bfe_i32 v34, v1, 16, 8
	s_delay_alu instid0(VALU_DEP_3)
	v_dual_lshlrev_b32 v25, 3, v25 :: v_dual_lshlrev_b32 v16, 3, v16
	s_clause 0x3
	global_load_b32 v28, v17, s[2:3]
	global_load_b32 v29, v27, s[2:3]
	;; [unrolled: 1-line block ×4, first 2 shown]
	global_load_b32 v32, v[14:15], off
	s_wait_xcnt 0x0
	v_lshrrev_b16 v14, 8, v0
	v_lshrrev_b16 v15, 8, v1
	v_bfe_i32 v25, v0, 16, 8
	v_bfe_i32 v27, v0, 0, 8
	v_ashrrev_i32_e32 v0, 24, v0
	v_bfe_i32 v1, v1, 0, 8
	v_lshrrev_b16 v17, 8, v3
	v_dual_ashrrev_i32 v35, 24, v2 :: v_dual_ashrrev_i32 v37, 24, v3
	v_bfe_i32 v38, v3, 16, 8
	v_bfe_i32 v3, v3, 0, 8
	v_lshrrev_b16 v16, 8, v2
	v_bfe_i32 v36, v2, 16, 8
	v_bfe_i32 v2, v2, 0, 8
	s_wait_loadcnt 0x6
	v_lshrrev_b16 v39, 8, v4
	v_dual_ashrrev_i32 v43, 24, v4 :: v_dual_ashrrev_i32 v45, 24, v5
	v_bfe_i32 v44, v4, 16, 8
	v_bfe_i32 v4, v4, 0, 8
	v_lshrrev_b16 v40, 8, v5
	v_bfe_i32 v46, v5, 16, 8
	v_bfe_i32 v5, v5, 0, 8
	v_lshrrev_b16 v41, 8, v6
	v_dual_ashrrev_i32 v47, 24, v6 :: v_dual_ashrrev_i32 v49, 24, v7
	v_bfe_i32 v48, v6, 16, 8
	v_bfe_i32 v6, v6, 0, 8
	v_lshrrev_b16 v42, 8, v7
	v_bfe_i32 v50, v7, 16, 8
	v_bfe_i32 v7, v7, 0, 8
	;; [unrolled: 1-line block ×10, first 2 shown]
	s_wait_loadcnt 0x4
	v_bfe_u32 v51, v28, 24, 4
	v_and_b32_e32 v52, 0xf0f0f0f, v28
	v_dual_lshrrev_b32 v53, 4, v28 :: v_dual_lshrrev_b32 v54, 28, v28
	v_bfe_u32 v55, v28, 16, 4
	s_wait_loadcnt 0x3
	v_dual_lshrrev_b32 v60, 4, v29 :: v_dual_bitop2_b32 v56, 15, v28 bitop3:0x40
	v_bfe_u32 v57, v28, 20, 4
	v_bfe_u32 v28, v28, 4, 4
	;; [unrolled: 1-line block ×3, first 2 shown]
	v_and_b32_e32 v59, 0xf0f0f0f, v29
	v_lshrrev_b32_e32 v61, 28, v29
	v_mul_i32_i24_e32 v34, v57, v34
	v_mul_i32_i24_e32 v1, v28, v1
	v_and_b32_e32 v28, 15, v29
	v_bfe_u32 v57, v29, 16, 4
	v_mul_i32_i24_e32 v33, v54, v33
	v_bfe_u32 v54, v29, 20, 4
	v_bfe_u32 v29, v29, 4, 4
	v_mul_i32_i24_e32 v35, v35, v58
	s_wait_loadcnt 0x2
	v_lshrrev_b32_e32 v58, 4, v30
	v_mul_i32_i24_e32 v2, v2, v28
	v_bfe_u32 v28, v30, 24, 4
	v_mul_i32_i24_e32 v3, v29, v3
	v_and_b32_e32 v29, 15, v30
	v_mul_i32_i24_e32 v36, v36, v57
	v_and_b32_e32 v57, 0xf0f0f0f, v30
	v_mul_i32_i24_e32 v38, v54, v38
	v_bfe_u32 v54, v30, 16, 4
	v_mul_i32_i24_e32 v37, v61, v37
	v_lshrrev_b32_e32 v61, 28, v30
	v_mul_i32_i24_e32 v4, v4, v29
	v_bfe_u32 v29, v30, 20, 4
	v_bfe_u32 v30, v30, 4, 4
	v_mul_i32_i24_e32 v44, v44, v54
	s_wait_loadcnt 0x1
	v_bfe_u32 v54, v31, 24, 4
	v_mul_i32_i24_e32 v28, v43, v28
	v_mul_i32_i24_e32 v29, v29, v46
	v_mul_i32_i24_e32 v5, v30, v5
	v_and_b32_e32 v30, 15, v31
	v_bfe_u32 v46, v31, 16, 4
	v_and_b32_e32 v43, 0xf0f0f0f, v31
	v_mul_i32_i24_e32 v45, v61, v45
	v_lshrrev_b32_e32 v61, 4, v31
	v_mul_i32_i24_e32 v6, v6, v30
	v_lshrrev_b32_e32 v30, 28, v31
	v_mul_i32_i24_e32 v46, v48, v46
	v_bfe_u32 v48, v31, 20, 4
	v_bfe_u32 v31, v31, 4, 4
	v_lshrrev_b16 v53, 8, v53
	v_lshrrev_b16 v52, 8, v52
	;; [unrolled: 1-line block ×4, first 2 shown]
	v_mul_i32_i24_e32 v7, v31, v7
	v_mul_i32_i24_e32 v31, v48, v50
	v_and_b32_e32 v48, 15, v53
	v_lshrrev_b16 v57, 8, v57
	v_lshrrev_b16 v58, 8, v58
	v_mul_i32_i24_e32 v30, v30, v49
	v_and_b32_e32 v49, 0xffff, v52
	v_and_b32_e32 v50, 15, v60
	;; [unrolled: 1-line block ×3, first 2 shown]
	v_mad_i32_i24 v1, v56, v27, v1
	v_and_b32_e32 v27, 0xffff, v48
	v_lshrrev_b16 v43, 8, v43
	v_lshrrev_b16 v61, 8, v61
	v_mul_i32_i24_e32 v47, v47, v54
	v_and_b32_e32 v53, 15, v58
	v_and_b32_e32 v54, 0xffff, v57
	v_mad_i32_i24 v0, v51, v0, v33
	v_mul_i32_i24_e32 v14, v49, v14
	v_mul_i32_i24_e32 v16, v16, v52
	v_and_b32_e32 v33, 0xffff, v50
	v_mul_i32_i24_e32 v15, v27, v15
	v_add3_u32 v1, v1, v2, v3
	v_and_b32_e32 v57, 15, v61
	v_and_b32_e32 v43, 0xffff, v43
	v_mad_i32_i24 v25, v55, v25, v34
	v_mul_i32_i24_e32 v34, v39, v54
	v_add3_u32 v0, v0, v35, v37
	v_mul_i32_i24_e32 v17, v33, v17
	v_add3_u32 v14, v14, v15, v16
	v_add3_u32 v1, v1, v4, v5
	v_lshrrev_b32_e32 v5, 11, v24
	v_and_b32_e32 v39, 0xffff, v53
	v_mul_i32_i24_e32 v27, v41, v43
	v_and_b32_e32 v41, 0xffff, v57
	v_add3_u32 v15, v25, v36, v38
	v_add3_u32 v0, v0, v28, v45
	v_mul_i32_i24_e32 v2, v39, v40
	v_add3_u32 v3, v14, v17, v34
	v_mul_i32_i24_e32 v14, v41, v42
	v_add3_u32 v4, v15, v44, v29
	v_add3_u32 v0, v0, v47, v30
	;; [unrolled: 1-line block ×4, first 2 shown]
	v_and_b32_e32 v3, 0x8000, v24
	v_add3_u32 v4, v4, v46, v31
	v_and_or_b32 v5, v5, 14, 1
	s_delay_alu instid0(VALU_DEP_4)
	v_add3_u32 v0, v2, v14, v0
	s_wait_loadcnt 0x0
	v_lshrrev_b32_e32 v2, 16, v32
	v_cvt_f32_u32_e32 v3, v3
	v_cvt_f32_ubyte0_e32 v5, v5
	v_add3_u32 v4, v1, v4, v0
	v_cvt_f32_f16_e32 v1, v32
	v_cvt_f32_f16_e32 v0, v2
	v_fmaak_f32 v2, s11, v3, 0xbf600000
	s_delay_alu instid0(VALU_DEP_4) | instskip(SKIP_1) | instid1(VALU_DEP_2)
	v_cvt_f32_i32_e32 v3, v4
	v_cvt_f32_f16_e32 v4, v26
	v_pk_mul_f32 v[0:1], v[2:3], v[0:1]
	s_delay_alu instid0(VALU_DEP_1) | instskip(NEXT) | instid1(VALU_DEP_1)
	v_dual_mul_f32 v2, v5, v4 :: v_dual_add_f32 v0, v0, v1
	v_fmac_f32_e32 v21, v2, v0
	s_and_not1_b32 exec_lo, exec_lo, s4
	s_cbranch_execnz .LBB111_3
; %bb.4:
	s_or_b32 exec_lo, exec_lo, s4
.LBB111_5:
	s_delay_alu instid0(SALU_CYCLE_1) | instskip(SKIP_1) | instid1(VALU_DEP_1)
	s_or_b32 exec_lo, exec_lo, s9
	v_mbcnt_lo_u32_b32 v0, -1, 0
	v_xor_b32_e32 v2, 8, v0
	v_xor_b32_e32 v1, 16, v0
	;; [unrolled: 1-line block ×3, first 2 shown]
	s_delay_alu instid0(VALU_DEP_2) | instskip(SKIP_4) | instid1(VALU_DEP_2)
	v_cmp_gt_i32_e32 vcc_lo, 32, v1
	v_cndmask_b32_e32 v1, v0, v1, vcc_lo
	v_cmp_gt_i32_e32 vcc_lo, 32, v2
	v_cndmask_b32_e32 v2, v0, v2, vcc_lo
	v_cmp_gt_i32_e32 vcc_lo, 32, v3
	v_dual_lshlrev_b32 v2, 2, v2 :: v_dual_lshlrev_b32 v1, 2, v1
	ds_bpermute_b32 v1, v1, v21
	s_wait_dscnt 0x0
	v_add_f32_e32 v1, v21, v1
	ds_bpermute_b32 v2, v2, v1
	s_wait_dscnt 0x0
	v_dual_cndmask_b32 v3, v0, v3, vcc_lo :: v_dual_add_f32 v1, v1, v2
	s_delay_alu instid0(VALU_DEP_1) | instskip(SKIP_3) | instid1(VALU_DEP_1)
	v_lshlrev_b32_e32 v3, 2, v3
	ds_bpermute_b32 v2, v3, v1
	s_wait_dscnt 0x0
	v_dual_add_f32 v1, v1, v2 :: v_dual_bitop2_b32 v3, 2, v0 bitop3:0x14
	v_cmp_gt_i32_e32 vcc_lo, 32, v3
	v_cndmask_b32_e32 v3, v0, v3, vcc_lo
	s_delay_alu instid0(VALU_DEP_1) | instskip(SKIP_2) | instid1(VALU_DEP_1)
	v_lshlrev_b32_e32 v3, 2, v3
	ds_bpermute_b32 v2, v3, v1
	v_xor_b32_e32 v3, 1, v0
	v_cmp_gt_i32_e32 vcc_lo, 32, v3
	v_cndmask_b32_e32 v3, v0, v3, vcc_lo
	v_cmp_eq_u32_e32 vcc_lo, 0, v19
	s_wait_dscnt 0x0
	s_delay_alu instid0(VALU_DEP_2)
	v_dual_add_f32 v0, v1, v2 :: v_dual_lshlrev_b32 v1, 2, v3
	ds_bpermute_b32 v1, v1, v0
	s_and_b32 exec_lo, exec_lo, vcc_lo
	s_cbranch_execz .LBB111_7
; %bb.6:
	s_wait_dscnt 0x0
	v_add_f32_e32 v0, v0, v1
	v_mad_u32 v2, s5, s8, v18
	s_delay_alu instid0(VALU_DEP_2) | instskip(NEXT) | instid1(VALU_DEP_1)
	v_bfe_u32 v1, v0, 16, 1
	v_add3_u32 v1, v0, v1, 0x7fff
	s_delay_alu instid0(VALU_DEP_1) | instskip(SKIP_1) | instid1(VALU_DEP_2)
	v_lshrrev_b32_e32 v1, 16, v1
	v_cmp_o_f32_e32 vcc_lo, v0, v0
	v_cndmask_b32_e32 v0, 0x7fc0, v1, vcc_lo
	s_wait_kmcnt 0x0
	global_store_b16 v2, v0, s[6:7] scale_offset
.LBB111_7:
	s_endpgm
	.section	.rodata,"a",@progbits
	.p2align	6, 0x0
	.amdhsa_kernel _ZL13mul_mat_vec_qIN3c108BFloat16ELi256ELi8E11block_iq1_sLi1EXadL_ZL18vec_dot_iq1_s_q8_1PKvPK10block_q8_1RKiEEEvS4_S4_PT_iii
		.amdhsa_group_segment_fixed_size 0
		.amdhsa_private_segment_fixed_size 0
		.amdhsa_kernarg_size 296
		.amdhsa_user_sgpr_count 2
		.amdhsa_user_sgpr_dispatch_ptr 0
		.amdhsa_user_sgpr_queue_ptr 0
		.amdhsa_user_sgpr_kernarg_segment_ptr 1
		.amdhsa_user_sgpr_dispatch_id 0
		.amdhsa_user_sgpr_kernarg_preload_length 0
		.amdhsa_user_sgpr_kernarg_preload_offset 0
		.amdhsa_user_sgpr_private_segment_size 0
		.amdhsa_wavefront_size32 1
		.amdhsa_uses_dynamic_stack 0
		.amdhsa_enable_private_segment 0
		.amdhsa_system_sgpr_workgroup_id_x 1
		.amdhsa_system_sgpr_workgroup_id_y 1
		.amdhsa_system_sgpr_workgroup_id_z 0
		.amdhsa_system_sgpr_workgroup_info 0
		.amdhsa_system_vgpr_workitem_id 1
		.amdhsa_next_free_vgpr 62
		.amdhsa_next_free_sgpr 12
		.amdhsa_named_barrier_count 0
		.amdhsa_reserve_vcc 1
		.amdhsa_float_round_mode_32 0
		.amdhsa_float_round_mode_16_64 0
		.amdhsa_float_denorm_mode_32 3
		.amdhsa_float_denorm_mode_16_64 3
		.amdhsa_fp16_overflow 0
		.amdhsa_memory_ordered 1
		.amdhsa_forward_progress 1
		.amdhsa_inst_pref_size 16
		.amdhsa_round_robin_scheduling 0
		.amdhsa_exception_fp_ieee_invalid_op 0
		.amdhsa_exception_fp_denorm_src 0
		.amdhsa_exception_fp_ieee_div_zero 0
		.amdhsa_exception_fp_ieee_overflow 0
		.amdhsa_exception_fp_ieee_underflow 0
		.amdhsa_exception_fp_ieee_inexact 0
		.amdhsa_exception_int_div_zero 0
	.end_amdhsa_kernel
	.section	.text._ZL13mul_mat_vec_qIN3c108BFloat16ELi256ELi8E11block_iq1_sLi1EXadL_ZL18vec_dot_iq1_s_q8_1PKvPK10block_q8_1RKiEEEvS4_S4_PT_iii,"axG",@progbits,_ZL13mul_mat_vec_qIN3c108BFloat16ELi256ELi8E11block_iq1_sLi1EXadL_ZL18vec_dot_iq1_s_q8_1PKvPK10block_q8_1RKiEEEvS4_S4_PT_iii,comdat
.Lfunc_end111:
	.size	_ZL13mul_mat_vec_qIN3c108BFloat16ELi256ELi8E11block_iq1_sLi1EXadL_ZL18vec_dot_iq1_s_q8_1PKvPK10block_q8_1RKiEEEvS4_S4_PT_iii, .Lfunc_end111-_ZL13mul_mat_vec_qIN3c108BFloat16ELi256ELi8E11block_iq1_sLi1EXadL_ZL18vec_dot_iq1_s_q8_1PKvPK10block_q8_1RKiEEEvS4_S4_PT_iii
                                        ; -- End function
	.set _ZL13mul_mat_vec_qIN3c108BFloat16ELi256ELi8E11block_iq1_sLi1EXadL_ZL18vec_dot_iq1_s_q8_1PKvPK10block_q8_1RKiEEEvS4_S4_PT_iii.num_vgpr, 62
	.set _ZL13mul_mat_vec_qIN3c108BFloat16ELi256ELi8E11block_iq1_sLi1EXadL_ZL18vec_dot_iq1_s_q8_1PKvPK10block_q8_1RKiEEEvS4_S4_PT_iii.num_agpr, 0
	.set _ZL13mul_mat_vec_qIN3c108BFloat16ELi256ELi8E11block_iq1_sLi1EXadL_ZL18vec_dot_iq1_s_q8_1PKvPK10block_q8_1RKiEEEvS4_S4_PT_iii.numbered_sgpr, 12
	.set _ZL13mul_mat_vec_qIN3c108BFloat16ELi256ELi8E11block_iq1_sLi1EXadL_ZL18vec_dot_iq1_s_q8_1PKvPK10block_q8_1RKiEEEvS4_S4_PT_iii.num_named_barrier, 0
	.set _ZL13mul_mat_vec_qIN3c108BFloat16ELi256ELi8E11block_iq1_sLi1EXadL_ZL18vec_dot_iq1_s_q8_1PKvPK10block_q8_1RKiEEEvS4_S4_PT_iii.private_seg_size, 0
	.set _ZL13mul_mat_vec_qIN3c108BFloat16ELi256ELi8E11block_iq1_sLi1EXadL_ZL18vec_dot_iq1_s_q8_1PKvPK10block_q8_1RKiEEEvS4_S4_PT_iii.uses_vcc, 1
	.set _ZL13mul_mat_vec_qIN3c108BFloat16ELi256ELi8E11block_iq1_sLi1EXadL_ZL18vec_dot_iq1_s_q8_1PKvPK10block_q8_1RKiEEEvS4_S4_PT_iii.uses_flat_scratch, 0
	.set _ZL13mul_mat_vec_qIN3c108BFloat16ELi256ELi8E11block_iq1_sLi1EXadL_ZL18vec_dot_iq1_s_q8_1PKvPK10block_q8_1RKiEEEvS4_S4_PT_iii.has_dyn_sized_stack, 0
	.set _ZL13mul_mat_vec_qIN3c108BFloat16ELi256ELi8E11block_iq1_sLi1EXadL_ZL18vec_dot_iq1_s_q8_1PKvPK10block_q8_1RKiEEEvS4_S4_PT_iii.has_recursion, 0
	.set _ZL13mul_mat_vec_qIN3c108BFloat16ELi256ELi8E11block_iq1_sLi1EXadL_ZL18vec_dot_iq1_s_q8_1PKvPK10block_q8_1RKiEEEvS4_S4_PT_iii.has_indirect_call, 0
	.section	.AMDGPU.csdata,"",@progbits
; Kernel info:
; codeLenInByte = 2000
; TotalNumSgprs: 14
; NumVgprs: 62
; ScratchSize: 0
; MemoryBound: 0
; FloatMode: 240
; IeeeMode: 1
; LDSByteSize: 0 bytes/workgroup (compile time only)
; SGPRBlocks: 0
; VGPRBlocks: 3
; NumSGPRsForWavesPerEU: 14
; NumVGPRsForWavesPerEU: 62
; NamedBarCnt: 0
; Occupancy: 16
; WaveLimiterHint : 0
; COMPUTE_PGM_RSRC2:SCRATCH_EN: 0
; COMPUTE_PGM_RSRC2:USER_SGPR: 2
; COMPUTE_PGM_RSRC2:TRAP_HANDLER: 0
; COMPUTE_PGM_RSRC2:TGID_X_EN: 1
; COMPUTE_PGM_RSRC2:TGID_Y_EN: 1
; COMPUTE_PGM_RSRC2:TGID_Z_EN: 0
; COMPUTE_PGM_RSRC2:TIDIG_COMP_CNT: 1
	.section	.text._ZL13mul_mat_vec_qIN3c108BFloat16ELi32ELi4E12block_iq4_nlLi2EXadL_ZL19vec_dot_iq4_nl_q8_1PKvPK10block_q8_1RKiEEEvS4_S4_PT_iii,"axG",@progbits,_ZL13mul_mat_vec_qIN3c108BFloat16ELi32ELi4E12block_iq4_nlLi2EXadL_ZL19vec_dot_iq4_nl_q8_1PKvPK10block_q8_1RKiEEEvS4_S4_PT_iii,comdat
	.globl	_ZL13mul_mat_vec_qIN3c108BFloat16ELi32ELi4E12block_iq4_nlLi2EXadL_ZL19vec_dot_iq4_nl_q8_1PKvPK10block_q8_1RKiEEEvS4_S4_PT_iii ; -- Begin function _ZL13mul_mat_vec_qIN3c108BFloat16ELi32ELi4E12block_iq4_nlLi2EXadL_ZL19vec_dot_iq4_nl_q8_1PKvPK10block_q8_1RKiEEEvS4_S4_PT_iii
	.p2align	8
	.type	_ZL13mul_mat_vec_qIN3c108BFloat16ELi32ELi4E12block_iq4_nlLi2EXadL_ZL19vec_dot_iq4_nl_q8_1PKvPK10block_q8_1RKiEEEvS4_S4_PT_iii,@function
_ZL13mul_mat_vec_qIN3c108BFloat16ELi32ELi4E12block_iq4_nlLi2EXadL_ZL19vec_dot_iq4_nl_q8_1PKvPK10block_q8_1RKiEEEvS4_S4_PT_iii: ; @_ZL13mul_mat_vec_qIN3c108BFloat16ELi32ELi4E12block_iq4_nlLi2EXadL_ZL19vec_dot_iq4_nl_q8_1PKvPK10block_q8_1RKiEEEvS4_S4_PT_iii
; %bb.0:
	s_clause 0x1
	s_load_u16 s2, s[0:1], 0x36
	s_load_b96 s[4:6], s[0:1], 0x18
	s_bfe_u32 s7, ttmp6, 0x4000c
	s_bfe_u32 s8, ttmp6, 0x40010
	s_add_co_i32 s7, s7, 1
	s_add_co_i32 s8, s8, 1
	s_and_b32 s3, ttmp6, 15
	s_mul_i32 s7, ttmp9, s7
	s_mul_i32 s8, ttmp7, s8
	s_bfe_u32 s9, ttmp6, 0x40004
	s_add_co_i32 s3, s3, s7
	s_getreg_b32 s7, hwreg(HW_REG_IB_STS2, 6, 4)
	s_add_co_i32 s9, s9, s8
	v_bfe_u32 v1, v0, 10, 10
	s_cmp_eq_u32 s7, 0
	s_cselect_b32 s3, ttmp9, s3
	s_cselect_b32 s10, ttmp7, s9
	s_wait_kmcnt 0x0
	v_mad_u32 v4, s3, s2, v1
	s_cmp_lt_u32 s10, s6
	s_cselect_b32 s2, -1, 0
	s_delay_alu instid0(VALU_DEP_1) | instskip(SKIP_1) | instid1(SALU_CYCLE_1)
	v_cmp_gt_u32_e32 vcc_lo, s5, v4
	s_and_b32 s2, s2, vcc_lo
	s_and_saveexec_b32 s3, s2
	s_cbranch_execz .LBB112_7
; %bb.1:
	s_load_b64 s[6:7], s[0:1], 0x10
	s_ashr_i32 s2, s4, 31
	v_bfe_u32 v6, v0, 1, 9
	s_lshr_b32 s2, s2, 27
	v_and_b32_e32 v5, 0x3ff, v0
	v_mov_b32_e32 v7, 0
	s_add_co_i32 s2, s4, s2
	s_mov_b32 s11, exec_lo
	s_ashr_i32 s12, s2, 5
	s_delay_alu instid0(SALU_CYCLE_1)
	v_cmpx_gt_u32_e64 s12, v6
	s_cbranch_execz .LBB112_5
; %bb.2:
	v_dual_mov_b32 v1, 0 :: v_dual_lshlrev_b32 v0, 1, v5
	s_wait_xcnt 0x0
	s_load_b128 s[0:3], s[0:1], 0x0
	s_addk_co_i32 s4, 0x1ff
	v_mul_lo_u32 v8, v4, s12
	v_dual_mov_b32 v3, v1 :: v_dual_bitop2_b32 v0, 2, v0 bitop3:0x40
	s_ashr_i32 s8, s4, 31
	v_mov_b32_e32 v7, v1
	s_lshr_b32 s13, s8, 23
	s_delay_alu instid0(VALU_DEP_2)
	v_dual_lshlrev_b32 v10, 1, v0 :: v_dual_lshlrev_b32 v2, 2, v0
	s_add_co_i32 s4, s4, s13
	s_get_pc_i64 s[8:9]
	s_add_nc_u64 s[8:9], s[8:9], _ZL13kvalues_iq4nl@rel64+4
	s_ashr_i32 s4, s4, 9
	v_lshlrev_b32_e32 v0, 1, v10
	s_mul_i32 s4, s10, s4
	s_delay_alu instid0(SALU_CYCLE_1)
	s_lshl_b32 s13, s4, 4
	s_mov_b32 s4, 0
.LBB112_3:                              ; =>This Inner Loop Header: Depth=1
	v_add_nc_u32_e32 v9, v8, v6
	s_wait_kmcnt 0x0
	s_delay_alu instid0(VALU_DEP_1) | instskip(NEXT) | instid1(VALU_DEP_1)
	v_mad_nc_i64_i32 v[10:11], v9, 18, s[0:1]
	v_add_nc_u64_e32 v[12:13], v[10:11], v[0:1]
	global_load_b64 v[12:13], v[12:13], off offset:2
	v_dual_add_nc_u32 v9, s13, v6 :: v_dual_add_nc_u32 v6, 16, v6
	s_delay_alu instid0(VALU_DEP_1)
	v_cmp_le_u32_e32 vcc_lo, s12, v6
	s_or_b32 s4, vcc_lo, s4
	s_wait_loadcnt 0x0
	v_lshrrev_b32_e32 v25, 28, v12
	v_mad_nc_i64_i32 v[14:15], v9, 36, s[2:3]
	v_and_b32_e32 v20, 15, v12
	v_bfe_u32 v21, v12, 8, 4
	v_bfe_u32 v22, v12, 16, 4
	;; [unrolled: 1-line block ×6, first 2 shown]
	v_dual_lshrrev_b32 v32, 28, v13 :: v_dual_bitop2_b32 v27, 15, v13 bitop3:0x40
	v_bfe_u32 v28, v13, 8, 4
	v_add_nc_u64_e32 v[16:17], v[14:15], v[2:3]
	v_bfe_u32 v29, v13, 16, 4
	v_bfe_u32 v30, v13, 12, 4
	v_bfe_u32 v31, v13, 20, 4
	v_bfe_u32 v26, v13, 24, 4
	global_load_b64 v[18:19], v[16:17], off offset:4
	s_clause 0x7
	global_load_i8 v33, v20, s[8:9]
	global_load_i8 v34, v21, s[8:9]
	;; [unrolled: 1-line block ×8, first 2 shown]
	s_wait_xcnt 0x0
	v_bfe_u32 v9, v13, 4, 4
	s_clause 0x7
	global_load_i8 v20, v27, s[8:9]
	global_load_i8 v21, v28, s[8:9]
	global_load_i8 v22, v29, s[8:9]
	global_load_i8 v23, v30, s[8:9]
	global_load_i8 v24, v31, s[8:9]
	global_load_i8 v25, v32, s[8:9]
	global_load_i8 v41, v26, s[8:9]
	global_load_i8 v42, v9, s[8:9]
	global_load_b64 v[12:13], v[16:17], off offset:20
	global_load_u16 v43, v[10:11], off
	global_load_b32 v44, v[14:15], off
	s_wait_loadcnt 0x11
	s_wait_xcnt 0x3
	v_perm_b32 v9, v34, v33, 0xc0c0400
	s_wait_loadcnt 0xe
	s_wait_xcnt 0x1
	v_perm_b32 v11, v37, v36, 0xc0c0400
	;; [unrolled: 3-line block ×3, first 2 shown]
	v_perm_b32 v14, v39, v38, 0x4000c0c
	v_perm_b32 v10, v40, v35, 0x4000c0c
	;; [unrolled: 1-line block ×3, first 2 shown]
	s_delay_alu instid0(VALU_DEP_3) | instskip(NEXT) | instid1(VALU_DEP_3)
	v_or_b32_e32 v11, v14, v11
	v_or_b32_e32 v9, v10, v9
	v_perm_b32 v10, v21, v20, 0xc0c0400
	s_wait_loadcnt 0x3
	v_perm_b32 v14, v23, v42, 0xc0c0400
	s_delay_alu instid0(VALU_DEP_3) | instskip(NEXT) | instid1(VALU_DEP_3)
	v_dot4_i32_iu8 v9, v18, v9, 0 neg_lo:[1,1,0]
	v_or_b32_e32 v10, v15, v10
	s_wait_loadcnt 0x2
	s_delay_alu instid0(VALU_DEP_2) | instskip(SKIP_2) | instid1(VALU_DEP_2)
	v_dot4_i32_iu8 v9, v12, v11, v9 neg_lo:[1,1,0]
	s_wait_loadcnt 0x0
	v_cvt_f32_f16_e32 v12, v44
	v_dot4_i32_iu8 v9, v19, v10, v9 neg_lo:[1,1,0]
	v_cvt_f32_f16_e32 v10, v43
	s_delay_alu instid0(VALU_DEP_1) | instskip(NEXT) | instid1(VALU_DEP_1)
	v_dual_mul_f32 v10, v10, v12 :: v_dual_bitop2_b32 v11, v16, v14 bitop3:0x54
	v_dot4_i32_iu8 v9, v13, v11, v9 neg_lo:[1,1,0]
	s_delay_alu instid0(VALU_DEP_1) | instskip(NEXT) | instid1(VALU_DEP_1)
	v_cvt_f32_i32_e32 v9, v9
	v_fmac_f32_e32 v7, v10, v9
	s_and_not1_b32 exec_lo, exec_lo, s4
	s_cbranch_execnz .LBB112_3
; %bb.4:
	s_or_b32 exec_lo, exec_lo, s4
.LBB112_5:
	s_delay_alu instid0(SALU_CYCLE_1) | instskip(SKIP_1) | instid1(VALU_DEP_1)
	s_or_b32 exec_lo, exec_lo, s11
	v_mbcnt_lo_u32_b32 v0, -1, 0
	v_xor_b32_e32 v2, 8, v0
	v_xor_b32_e32 v1, 16, v0
	;; [unrolled: 1-line block ×3, first 2 shown]
	s_delay_alu instid0(VALU_DEP_2) | instskip(SKIP_4) | instid1(VALU_DEP_2)
	v_cmp_gt_i32_e32 vcc_lo, 32, v1
	v_cndmask_b32_e32 v1, v0, v1, vcc_lo
	v_cmp_gt_i32_e32 vcc_lo, 32, v2
	v_cndmask_b32_e32 v2, v0, v2, vcc_lo
	v_cmp_gt_i32_e32 vcc_lo, 32, v3
	v_dual_lshlrev_b32 v2, 2, v2 :: v_dual_lshlrev_b32 v1, 2, v1
	ds_bpermute_b32 v1, v1, v7
	s_wait_dscnt 0x0
	v_add_f32_e32 v1, v7, v1
	ds_bpermute_b32 v2, v2, v1
	s_wait_dscnt 0x0
	v_dual_cndmask_b32 v3, v0, v3, vcc_lo :: v_dual_add_f32 v1, v1, v2
	s_delay_alu instid0(VALU_DEP_1) | instskip(SKIP_3) | instid1(VALU_DEP_1)
	v_lshlrev_b32_e32 v3, 2, v3
	ds_bpermute_b32 v2, v3, v1
	s_wait_dscnt 0x0
	v_dual_add_f32 v1, v1, v2 :: v_dual_bitop2_b32 v3, 2, v0 bitop3:0x14
	v_cmp_gt_i32_e32 vcc_lo, 32, v3
	v_cndmask_b32_e32 v3, v0, v3, vcc_lo
	s_delay_alu instid0(VALU_DEP_1) | instskip(SKIP_2) | instid1(VALU_DEP_1)
	v_lshlrev_b32_e32 v3, 2, v3
	ds_bpermute_b32 v2, v3, v1
	v_xor_b32_e32 v3, 1, v0
	v_cmp_gt_i32_e32 vcc_lo, 32, v3
	v_cndmask_b32_e32 v3, v0, v3, vcc_lo
	v_cmp_eq_u32_e32 vcc_lo, 0, v5
	s_wait_dscnt 0x0
	s_delay_alu instid0(VALU_DEP_2)
	v_dual_add_f32 v0, v1, v2 :: v_dual_lshlrev_b32 v1, 2, v3
	ds_bpermute_b32 v1, v1, v0
	s_and_b32 exec_lo, exec_lo, vcc_lo
	s_cbranch_execz .LBB112_7
; %bb.6:
	s_wait_dscnt 0x0
	v_add_f32_e32 v0, v0, v1
	v_mad_u32 v2, s5, s10, v4
	s_delay_alu instid0(VALU_DEP_2) | instskip(NEXT) | instid1(VALU_DEP_1)
	v_bfe_u32 v1, v0, 16, 1
	v_add3_u32 v1, v0, v1, 0x7fff
	s_delay_alu instid0(VALU_DEP_1) | instskip(SKIP_1) | instid1(VALU_DEP_2)
	v_lshrrev_b32_e32 v1, 16, v1
	v_cmp_o_f32_e32 vcc_lo, v0, v0
	v_cndmask_b32_e32 v0, 0x7fc0, v1, vcc_lo
	s_wait_kmcnt 0x0
	global_store_b16 v2, v0, s[6:7] scale_offset
.LBB112_7:
	s_endpgm
	.section	.rodata,"a",@progbits
	.p2align	6, 0x0
	.amdhsa_kernel _ZL13mul_mat_vec_qIN3c108BFloat16ELi32ELi4E12block_iq4_nlLi2EXadL_ZL19vec_dot_iq4_nl_q8_1PKvPK10block_q8_1RKiEEEvS4_S4_PT_iii
		.amdhsa_group_segment_fixed_size 0
		.amdhsa_private_segment_fixed_size 0
		.amdhsa_kernarg_size 296
		.amdhsa_user_sgpr_count 2
		.amdhsa_user_sgpr_dispatch_ptr 0
		.amdhsa_user_sgpr_queue_ptr 0
		.amdhsa_user_sgpr_kernarg_segment_ptr 1
		.amdhsa_user_sgpr_dispatch_id 0
		.amdhsa_user_sgpr_kernarg_preload_length 0
		.amdhsa_user_sgpr_kernarg_preload_offset 0
		.amdhsa_user_sgpr_private_segment_size 0
		.amdhsa_wavefront_size32 1
		.amdhsa_uses_dynamic_stack 0
		.amdhsa_enable_private_segment 0
		.amdhsa_system_sgpr_workgroup_id_x 1
		.amdhsa_system_sgpr_workgroup_id_y 1
		.amdhsa_system_sgpr_workgroup_id_z 0
		.amdhsa_system_sgpr_workgroup_info 0
		.amdhsa_system_vgpr_workitem_id 1
		.amdhsa_next_free_vgpr 45
		.amdhsa_next_free_sgpr 14
		.amdhsa_named_barrier_count 0
		.amdhsa_reserve_vcc 1
		.amdhsa_float_round_mode_32 0
		.amdhsa_float_round_mode_16_64 0
		.amdhsa_float_denorm_mode_32 3
		.amdhsa_float_denorm_mode_16_64 3
		.amdhsa_fp16_overflow 0
		.amdhsa_memory_ordered 1
		.amdhsa_forward_progress 1
		.amdhsa_inst_pref_size 11
		.amdhsa_round_robin_scheduling 0
		.amdhsa_exception_fp_ieee_invalid_op 0
		.amdhsa_exception_fp_denorm_src 0
		.amdhsa_exception_fp_ieee_div_zero 0
		.amdhsa_exception_fp_ieee_overflow 0
		.amdhsa_exception_fp_ieee_underflow 0
		.amdhsa_exception_fp_ieee_inexact 0
		.amdhsa_exception_int_div_zero 0
	.end_amdhsa_kernel
	.section	.text._ZL13mul_mat_vec_qIN3c108BFloat16ELi32ELi4E12block_iq4_nlLi2EXadL_ZL19vec_dot_iq4_nl_q8_1PKvPK10block_q8_1RKiEEEvS4_S4_PT_iii,"axG",@progbits,_ZL13mul_mat_vec_qIN3c108BFloat16ELi32ELi4E12block_iq4_nlLi2EXadL_ZL19vec_dot_iq4_nl_q8_1PKvPK10block_q8_1RKiEEEvS4_S4_PT_iii,comdat
.Lfunc_end112:
	.size	_ZL13mul_mat_vec_qIN3c108BFloat16ELi32ELi4E12block_iq4_nlLi2EXadL_ZL19vec_dot_iq4_nl_q8_1PKvPK10block_q8_1RKiEEEvS4_S4_PT_iii, .Lfunc_end112-_ZL13mul_mat_vec_qIN3c108BFloat16ELi32ELi4E12block_iq4_nlLi2EXadL_ZL19vec_dot_iq4_nl_q8_1PKvPK10block_q8_1RKiEEEvS4_S4_PT_iii
                                        ; -- End function
	.set _ZL13mul_mat_vec_qIN3c108BFloat16ELi32ELi4E12block_iq4_nlLi2EXadL_ZL19vec_dot_iq4_nl_q8_1PKvPK10block_q8_1RKiEEEvS4_S4_PT_iii.num_vgpr, 45
	.set _ZL13mul_mat_vec_qIN3c108BFloat16ELi32ELi4E12block_iq4_nlLi2EXadL_ZL19vec_dot_iq4_nl_q8_1PKvPK10block_q8_1RKiEEEvS4_S4_PT_iii.num_agpr, 0
	.set _ZL13mul_mat_vec_qIN3c108BFloat16ELi32ELi4E12block_iq4_nlLi2EXadL_ZL19vec_dot_iq4_nl_q8_1PKvPK10block_q8_1RKiEEEvS4_S4_PT_iii.numbered_sgpr, 14
	.set _ZL13mul_mat_vec_qIN3c108BFloat16ELi32ELi4E12block_iq4_nlLi2EXadL_ZL19vec_dot_iq4_nl_q8_1PKvPK10block_q8_1RKiEEEvS4_S4_PT_iii.num_named_barrier, 0
	.set _ZL13mul_mat_vec_qIN3c108BFloat16ELi32ELi4E12block_iq4_nlLi2EXadL_ZL19vec_dot_iq4_nl_q8_1PKvPK10block_q8_1RKiEEEvS4_S4_PT_iii.private_seg_size, 0
	.set _ZL13mul_mat_vec_qIN3c108BFloat16ELi32ELi4E12block_iq4_nlLi2EXadL_ZL19vec_dot_iq4_nl_q8_1PKvPK10block_q8_1RKiEEEvS4_S4_PT_iii.uses_vcc, 1
	.set _ZL13mul_mat_vec_qIN3c108BFloat16ELi32ELi4E12block_iq4_nlLi2EXadL_ZL19vec_dot_iq4_nl_q8_1PKvPK10block_q8_1RKiEEEvS4_S4_PT_iii.uses_flat_scratch, 0
	.set _ZL13mul_mat_vec_qIN3c108BFloat16ELi32ELi4E12block_iq4_nlLi2EXadL_ZL19vec_dot_iq4_nl_q8_1PKvPK10block_q8_1RKiEEEvS4_S4_PT_iii.has_dyn_sized_stack, 0
	.set _ZL13mul_mat_vec_qIN3c108BFloat16ELi32ELi4E12block_iq4_nlLi2EXadL_ZL19vec_dot_iq4_nl_q8_1PKvPK10block_q8_1RKiEEEvS4_S4_PT_iii.has_recursion, 0
	.set _ZL13mul_mat_vec_qIN3c108BFloat16ELi32ELi4E12block_iq4_nlLi2EXadL_ZL19vec_dot_iq4_nl_q8_1PKvPK10block_q8_1RKiEEEvS4_S4_PT_iii.has_indirect_call, 0
	.section	.AMDGPU.csdata,"",@progbits
; Kernel info:
; codeLenInByte = 1284
; TotalNumSgprs: 16
; NumVgprs: 45
; ScratchSize: 0
; MemoryBound: 0
; FloatMode: 240
; IeeeMode: 1
; LDSByteSize: 0 bytes/workgroup (compile time only)
; SGPRBlocks: 0
; VGPRBlocks: 2
; NumSGPRsForWavesPerEU: 16
; NumVGPRsForWavesPerEU: 45
; NamedBarCnt: 0
; Occupancy: 16
; WaveLimiterHint : 0
; COMPUTE_PGM_RSRC2:SCRATCH_EN: 0
; COMPUTE_PGM_RSRC2:USER_SGPR: 2
; COMPUTE_PGM_RSRC2:TRAP_HANDLER: 0
; COMPUTE_PGM_RSRC2:TGID_X_EN: 1
; COMPUTE_PGM_RSRC2:TGID_Y_EN: 1
; COMPUTE_PGM_RSRC2:TGID_Z_EN: 0
; COMPUTE_PGM_RSRC2:TIDIG_COMP_CNT: 1
	.section	.text._ZL13mul_mat_vec_qIN3c108BFloat16ELi256ELi8E11block_iq3_sLi1EXadL_ZL18vec_dot_iq3_s_q8_1PKvPK10block_q8_1RKiEEEvS4_S4_PT_iii,"axG",@progbits,_ZL13mul_mat_vec_qIN3c108BFloat16ELi256ELi8E11block_iq3_sLi1EXadL_ZL18vec_dot_iq3_s_q8_1PKvPK10block_q8_1RKiEEEvS4_S4_PT_iii,comdat
	.globl	_ZL13mul_mat_vec_qIN3c108BFloat16ELi256ELi8E11block_iq3_sLi1EXadL_ZL18vec_dot_iq3_s_q8_1PKvPK10block_q8_1RKiEEEvS4_S4_PT_iii ; -- Begin function _ZL13mul_mat_vec_qIN3c108BFloat16ELi256ELi8E11block_iq3_sLi1EXadL_ZL18vec_dot_iq3_s_q8_1PKvPK10block_q8_1RKiEEEvS4_S4_PT_iii
	.p2align	8
	.type	_ZL13mul_mat_vec_qIN3c108BFloat16ELi256ELi8E11block_iq3_sLi1EXadL_ZL18vec_dot_iq3_s_q8_1PKvPK10block_q8_1RKiEEEvS4_S4_PT_iii,@function
_ZL13mul_mat_vec_qIN3c108BFloat16ELi256ELi8E11block_iq3_sLi1EXadL_ZL18vec_dot_iq3_s_q8_1PKvPK10block_q8_1RKiEEEvS4_S4_PT_iii: ; @_ZL13mul_mat_vec_qIN3c108BFloat16ELi256ELi8E11block_iq3_sLi1EXadL_ZL18vec_dot_iq3_s_q8_1PKvPK10block_q8_1RKiEEEvS4_S4_PT_iii
; %bb.0:
	s_clause 0x1
	s_load_u16 s2, s[0:1], 0x36
	s_load_b96 s[4:6], s[0:1], 0x18
	s_bfe_u32 s7, ttmp6, 0x4000c
	s_bfe_u32 s8, ttmp6, 0x40010
	s_add_co_i32 s7, s7, 1
	s_add_co_i32 s8, s8, 1
	s_and_b32 s3, ttmp6, 15
	s_mul_i32 s7, ttmp9, s7
	s_mul_i32 s8, ttmp7, s8
	s_bfe_u32 s9, ttmp6, 0x40004
	s_add_co_i32 s3, s3, s7
	s_getreg_b32 s7, hwreg(HW_REG_IB_STS2, 6, 4)
	s_add_co_i32 s9, s9, s8
	v_bfe_u32 v1, v0, 10, 10
	s_cmp_eq_u32 s7, 0
	s_cselect_b32 s3, ttmp9, s3
	s_cselect_b32 s8, ttmp7, s9
	s_wait_kmcnt 0x0
	v_mad_u32 v22, s3, s2, v1
	s_cmp_lt_u32 s8, s6
	s_cselect_b32 s2, -1, 0
	s_delay_alu instid0(VALU_DEP_1) | instskip(SKIP_1) | instid1(SALU_CYCLE_1)
	v_cmp_gt_u32_e32 vcc_lo, s5, v22
	s_and_b32 s2, s2, vcc_lo
	s_and_saveexec_b32 s3, s2
	s_cbranch_execz .LBB113_9
; %bb.1:
	s_load_b64 s[6:7], s[0:1], 0x10
	s_ashr_i32 s2, s4, 31
	v_bfe_u32 v24, v0, 3, 7
	s_lshr_b32 s2, s2, 24
	v_and_b32_e32 v23, 0x3ff, v0
	v_mov_b32_e32 v1, 0
	s_add_co_i32 s2, s4, s2
	s_mov_b32 s9, exec_lo
	s_ashr_i32 s10, s2, 8
	s_delay_alu instid0(SALU_CYCLE_1)
	v_cmpx_gt_u32_e64 s10, v24
	s_cbranch_execz .LBB113_7
; %bb.2:
	s_wait_xcnt 0x0
	s_load_b128 s[0:3], s[0:1], 0x0
	v_dual_mov_b32 v1, 0 :: v_dual_bitop2_b32 v2, 7, v23 bitop3:0x40
	v_lshlrev_b32_e32 v12, 2, v23
	v_mul_lo_u32 v25, v22, s10
	s_addk_co_i32 s4, 0x1ff
	s_delay_alu instid0(VALU_DEP_3)
	v_dual_mov_b32 v7, v1 :: v_dual_lshlrev_b32 v6, 2, v2
	v_lshlrev_b32_e32 v0, 3, v2
	s_ashr_i32 s11, s4, 31
	v_bfe_u32 v4, v23, 1, 2
	s_lshr_b32 s11, s11, 23
	v_dual_mov_b32 v3, v1 :: v_dual_mov_b32 v5, v1
	s_add_co_i32 s4, s4, s11
	v_add_nc_u32_e32 v26, v24, v25
	s_ashr_i32 s4, s4, 9
	s_delay_alu instid0(SALU_CYCLE_1)
	s_mul_i32 s4, s8, s4
	s_wait_kmcnt 0x0
	v_add_nc_u64_e32 v[8:9], s[0:1], v[6:7]
	v_add_nc_u64_e32 v[10:11], s[0:1], v[0:1]
	v_mad_nc_u64_u32 v[6:7], v2, 36, s[2:3]
	v_and_b32_e32 v0, 4, v12
	s_lshl_b32 s11, s4, 4
	s_mov_b32 s4, 0
	s_get_pc_i64 s[2:3]
	s_add_nc_u64 s[2:3], s[2:3], _ZL10iq3xs_grid@rel64+4
	v_add_nc_u64_e32 v[8:9], 0x4a, v[8:9]
	v_add_nc_u64_e32 v[10:11], 2, v[10:11]
.LBB113_3:                              ; =>This Loop Header: Depth=1
                                        ;     Child Loop BB113_4 Depth 2
	v_dual_mov_b32 v27, 0 :: v_dual_add_nc_u32 v12, v24, v25
	s_delay_alu instid0(VALU_DEP_3) | instskip(NEXT) | instid1(VALU_DEP_3)
	v_mad_nc_i64_i32 v[16:17], 0x6e, v26, v[8:9]
	v_mad_nc_i64_i32 v[18:19], 0x6e, v26, v[10:11]
	s_mov_b32 s12, 7
	s_delay_alu instid0(VALU_DEP_3) | instskip(NEXT) | instid1(VALU_DEP_1)
	v_mad_nc_i64_i32 v[12:13], 0x6e, v12, s[0:1]
	v_add_nc_u64_e32 v[14:15], v[12:13], v[2:3]
	global_load_u8 v28, v[14:15], off offset:66
	s_wait_xcnt 0x0
	v_lshl_add_u32 v14, v24, 3, s11
	s_delay_alu instid0(VALU_DEP_1) | instskip(NEXT) | instid1(VALU_DEP_1)
	v_mad_nc_i64_i32 v[14:15], v14, 36, v[6:7]
	v_add_nc_u64_e32 v[20:21], 4, v[14:15]
.LBB113_4:                              ;   Parent Loop BB113_3 Depth=1
                                        ; =>  This Inner Loop Header: Depth=2
	global_load_u16 v29, v[18:19], off
	s_add_co_i32 s13, s12, 1
	s_wait_loadcnt 0x1
	v_dual_lshlrev_b32 v30, s12, v28 :: v_dual_lshlrev_b32 v31, s13, v28
	global_load_u8 v32, v[16:17], off
	s_wait_xcnt 0x0
	v_add_nc_u64_e32 v[16:17], 1, v[16:17]
	v_add_nc_u64_e32 v[18:19], 2, v[18:19]
	s_add_co_i32 s12, s12, -2
	s_delay_alu instid0(SALU_CYCLE_1) | instskip(SKIP_3) | instid1(VALU_DEP_2)
	s_cmp_lg_u32 s12, -1
	s_wait_loadcnt 0x1
	v_lshrrev_b16 v33, 8, v29
	v_and_b32_e32 v29, 0xff, v29
	v_and_b32_e32 v33, 0xffff, v33
	s_delay_alu instid0(VALU_DEP_2) | instskip(NEXT) | instid1(VALU_DEP_2)
	v_and_or_b32 v29, 0x100, v31, v29
	v_and_or_b32 v33, 0x100, v30, v33
	s_clause 0x1
	global_load_b32 v34, v29, s[2:3] scale_offset
	global_load_b32 v35, v33, s[2:3] scale_offset
	global_load_b64 v[30:31], v[20:21], off
	s_wait_loadcnt 0x3
	s_wait_xcnt 0x2
	v_and_b32_e32 v29, 15, v32
	v_lshrrev_b16 v32, 4, v32
	s_wait_xcnt 0x0
	v_add_nc_u64_e32 v[20:21], 8, v[20:21]
	s_delay_alu instid0(VALU_DEP_2) | instskip(NEXT) | instid1(VALU_DEP_1)
	v_and_b32_e32 v32, 0xffff, v32
	v_mul_lo_u32 v32, 0x1010101, v32
	s_delay_alu instid0(VALU_DEP_1)
	v_bitop3_b32 v44, v32, 0x8040201, v32 bitop3:0xc
	v_bitop3_b32 v45, v32, 0x40000, v32 bitop3:0xc
	;; [unrolled: 1-line block ×4, first 2 shown]
	s_wait_loadcnt 0x0
	v_ashrrev_i32_e32 v37, 24, v30
	v_and_b32_e32 v29, 0xffff, v29
	v_lshrrev_b16 v33, 8, v30
	v_lshrrev_b16 v36, 8, v31
	v_bfe_i32 v40, v31, 16, 8
	v_bfe_i32 v38, v30, 16, 8
	v_mul_lo_u32 v29, 0x1010101, v29
	v_bfe_i32 v30, v30, 0, 8
	v_bfe_i32 v33, v33, 0, 8
	;; [unrolled: 1-line block ×3, first 2 shown]
	s_delay_alu instid0(VALU_DEP_4) | instskip(SKIP_3) | instid1(VALU_DEP_4)
	v_bitop3_b32 v41, v29, 0x8040201, v29 bitop3:0xc
	v_bitop3_b32 v42, v29, 0x40000, v29 bitop3:0xc
	v_bitop3_b32 v43, v29, 0x200, v29 bitop3:0xc
	v_bitop3_b32 v29, v29, 1, v29 bitop3:0xc
	v_cmp_gt_u32_e32 vcc_lo, 0x1000000, v41
	v_cndmask_b32_e64 v41, 0, -1, vcc_lo
	v_cmp_eq_u32_e32 vcc_lo, 0, v42
	v_ashrrev_i32_e32 v39, 24, v31
	v_bfe_i32 v31, v31, 0, 8
	s_delay_alu instid0(VALU_DEP_4)
	v_lshlrev_b32_e32 v41, 24, v41
	v_cndmask_b32_e64 v42, 0, 0xff0000, vcc_lo
	v_cmp_eq_u32_e32 vcc_lo, 0, v43
	v_cndmask_b32_e64 v43, 0, 0xff00, vcc_lo
	v_cmp_eq_u32_e32 vcc_lo, 0, v29
	v_cndmask_b32_e64 v29, 0, 0xff, vcc_lo
	v_cmp_gt_u32_e32 vcc_lo, 0x1000000, v44
	s_delay_alu instid0(VALU_DEP_2) | instskip(SKIP_2) | instid1(VALU_DEP_3)
	v_or3_b32 v47, v43, v29, v42
	v_cndmask_b32_e64 v44, 0, -1, vcc_lo
	v_cmp_eq_u32_e32 vcc_lo, 0, v45
	v_bitop3_b32 v34, v47, v34, v41 bitop3:0x36
	s_delay_alu instid0(VALU_DEP_3) | instskip(SKIP_2) | instid1(VALU_DEP_4)
	v_lshlrev_b32_e32 v44, 24, v44
	v_cndmask_b32_e64 v45, 0, 0xff0000, vcc_lo
	v_cmp_eq_u32_e32 vcc_lo, 0, v46
	v_dual_sub_nc_u32 v42, v34, v42 :: v_dual_sub_nc_u32 v29, v34, v29
	v_cndmask_b32_e64 v46, 0, 0xff00, vcc_lo
	v_cmp_eq_u32_e32 vcc_lo, 0, v32
	v_cndmask_b32_e64 v32, 0, 0xff, vcc_lo
	s_delay_alu instid0(VALU_DEP_1) | instskip(NEXT) | instid1(VALU_DEP_1)
	v_or3_b32 v48, v46, v32, v45
	v_bitop3_b32 v35, v48, v35, v44 bitop3:0x36
	v_dual_sub_nc_u32 v41, v34, v41 :: v_dual_sub_nc_u32 v34, v34, v43
	v_perm_b32 v29, v42, v29, 0xc060c00
	s_delay_alu instid0(VALU_DEP_3) | instskip(SKIP_1) | instid1(VALU_DEP_4)
	v_dual_sub_nc_u32 v42, v35, v45 :: v_dual_sub_nc_u32 v43, v35, v46
	v_sub_nc_u32_e32 v32, v35, v32
	v_dual_sub_nc_u32 v35, v35, v44 :: v_dual_ashrrev_i32 v41, 24, v41
	v_lshrrev_b16 v34, 8, v34
	s_delay_alu instid0(VALU_DEP_3) | instskip(SKIP_1) | instid1(VALU_DEP_4)
	v_perm_b32 v32, v42, v32, 0xc060c00
	v_lshrrev_b16 v42, 8, v43
	v_ashrrev_i32_e32 v35, 24, v35
	v_bfe_i32 v43, v29, 0, 8
	v_bfe_i32 v29, v29, 16, 8
	;; [unrolled: 1-line block ×6, first 2 shown]
	v_mul_i32_i24_e32 v35, v35, v39
	v_mul_i32_i24_e32 v39, v44, v40
	;; [unrolled: 1-line block ×6, first 2 shown]
	v_mad_i32_i24 v34, v41, v37, v35
	v_mad_i32_i24 v29, v29, v38, v39
	s_delay_alu instid0(VALU_DEP_2) | instskip(NEXT) | instid1(VALU_DEP_2)
	v_add3_u32 v32, v33, v32, v34
	v_add3_u32 v29, v30, v31, v29
	s_delay_alu instid0(VALU_DEP_1)
	v_add3_u32 v27, v29, v32, v27
	s_cbranch_scc1 .LBB113_4
; %bb.5:                                ;   in Loop: Header=BB113_3 Depth=1
	v_add_nc_u64_e32 v[16:17], v[12:13], v[4:5]
	s_clause 0x1
	global_load_u8 v18, v[16:17], off offset:106
	global_load_u16 v19, v[12:13], off
	global_load_b32 v20, v[14:15], off
	v_dual_add_nc_u32 v26, 4, v26 :: v_dual_add_nc_u32 v24, 4, v24
	s_delay_alu instid0(VALU_DEP_1)
	v_cmp_le_u32_e32 vcc_lo, s10, v24
	s_or_b32 s4, vcc_lo, s4
	s_wait_loadcnt 0x2
	s_wait_xcnt 0x1
	v_bfe_u32 v12, v18, v0, 4
	s_wait_loadcnt 0x1
	v_cvt_f32_f16_e32 v13, v19
	s_wait_loadcnt 0x0
	v_cvt_f32_f16_e32 v14, v20
	v_cvt_f32_ubyte0_e32 v12, v12
	s_delay_alu instid0(VALU_DEP_1) | instskip(NEXT) | instid1(VALU_DEP_1)
	v_add_f32_e32 v12, 0.5, v12
	v_mul_f32_e32 v12, v12, v13
	v_cvt_f32_i32_e32 v13, v27
	s_delay_alu instid0(VALU_DEP_2) | instskip(NEXT) | instid1(VALU_DEP_1)
	v_mul_f32_e32 v12, v12, v14
	v_mul_f32_e32 v12, 0.5, v12
	s_delay_alu instid0(VALU_DEP_1)
	v_fmac_f32_e32 v1, v12, v13
	s_and_not1_b32 exec_lo, exec_lo, s4
	s_cbranch_execnz .LBB113_3
; %bb.6:
	s_or_b32 exec_lo, exec_lo, s4
.LBB113_7:
	s_delay_alu instid0(SALU_CYCLE_1) | instskip(SKIP_1) | instid1(VALU_DEP_1)
	s_or_b32 exec_lo, exec_lo, s9
	v_mbcnt_lo_u32_b32 v0, -1, 0
	v_xor_b32_e32 v3, 8, v0
	v_xor_b32_e32 v2, 16, v0
	s_delay_alu instid0(VALU_DEP_1) | instskip(SKIP_1) | instid1(VALU_DEP_4)
	v_cmp_gt_i32_e32 vcc_lo, 32, v2
	v_cndmask_b32_e32 v2, v0, v2, vcc_lo
	v_cmp_gt_i32_e32 vcc_lo, 32, v3
	v_cndmask_b32_e32 v3, v0, v3, vcc_lo
	s_delay_alu instid0(VALU_DEP_1)
	v_dual_lshlrev_b32 v3, 2, v3 :: v_dual_lshlrev_b32 v2, 2, v2
	ds_bpermute_b32 v2, v2, v1
	s_wait_dscnt 0x0
	v_add_f32_e32 v1, v1, v2
	ds_bpermute_b32 v2, v3, v1
	v_xor_b32_e32 v3, 4, v0
	s_delay_alu instid0(VALU_DEP_1) | instskip(SKIP_2) | instid1(VALU_DEP_1)
	v_cmp_gt_i32_e32 vcc_lo, 32, v3
	s_wait_dscnt 0x0
	v_dual_cndmask_b32 v3, v0, v3, vcc_lo :: v_dual_add_f32 v1, v1, v2
	v_lshlrev_b32_e32 v3, 2, v3
	ds_bpermute_b32 v2, v3, v1
	s_wait_dscnt 0x0
	v_dual_add_f32 v1, v1, v2 :: v_dual_bitop2_b32 v3, 2, v0 bitop3:0x14
	s_delay_alu instid0(VALU_DEP_1) | instskip(SKIP_1) | instid1(VALU_DEP_1)
	v_cmp_gt_i32_e32 vcc_lo, 32, v3
	v_cndmask_b32_e32 v3, v0, v3, vcc_lo
	v_lshlrev_b32_e32 v3, 2, v3
	ds_bpermute_b32 v2, v3, v1
	v_xor_b32_e32 v3, 1, v0
	s_delay_alu instid0(VALU_DEP_1) | instskip(SKIP_3) | instid1(VALU_DEP_2)
	v_cmp_gt_i32_e32 vcc_lo, 32, v3
	v_cndmask_b32_e32 v3, v0, v3, vcc_lo
	v_cmp_eq_u32_e32 vcc_lo, 0, v23
	s_wait_dscnt 0x0
	v_dual_add_f32 v0, v1, v2 :: v_dual_lshlrev_b32 v1, 2, v3
	ds_bpermute_b32 v1, v1, v0
	s_and_b32 exec_lo, exec_lo, vcc_lo
	s_cbranch_execz .LBB113_9
; %bb.8:
	s_wait_dscnt 0x0
	v_add_f32_e32 v0, v0, v1
	v_mad_u32 v2, s5, s8, v22
	s_delay_alu instid0(VALU_DEP_2) | instskip(NEXT) | instid1(VALU_DEP_1)
	v_bfe_u32 v1, v0, 16, 1
	v_add3_u32 v1, v0, v1, 0x7fff
	s_delay_alu instid0(VALU_DEP_1) | instskip(SKIP_1) | instid1(VALU_DEP_2)
	v_lshrrev_b32_e32 v1, 16, v1
	v_cmp_o_f32_e32 vcc_lo, v0, v0
	v_cndmask_b32_e32 v0, 0x7fc0, v1, vcc_lo
	s_wait_kmcnt 0x0
	global_store_b16 v2, v0, s[6:7] scale_offset
.LBB113_9:
	s_endpgm
	.section	.rodata,"a",@progbits
	.p2align	6, 0x0
	.amdhsa_kernel _ZL13mul_mat_vec_qIN3c108BFloat16ELi256ELi8E11block_iq3_sLi1EXadL_ZL18vec_dot_iq3_s_q8_1PKvPK10block_q8_1RKiEEEvS4_S4_PT_iii
		.amdhsa_group_segment_fixed_size 0
		.amdhsa_private_segment_fixed_size 0
		.amdhsa_kernarg_size 296
		.amdhsa_user_sgpr_count 2
		.amdhsa_user_sgpr_dispatch_ptr 0
		.amdhsa_user_sgpr_queue_ptr 0
		.amdhsa_user_sgpr_kernarg_segment_ptr 1
		.amdhsa_user_sgpr_dispatch_id 0
		.amdhsa_user_sgpr_kernarg_preload_length 0
		.amdhsa_user_sgpr_kernarg_preload_offset 0
		.amdhsa_user_sgpr_private_segment_size 0
		.amdhsa_wavefront_size32 1
		.amdhsa_uses_dynamic_stack 0
		.amdhsa_enable_private_segment 0
		.amdhsa_system_sgpr_workgroup_id_x 1
		.amdhsa_system_sgpr_workgroup_id_y 1
		.amdhsa_system_sgpr_workgroup_id_z 0
		.amdhsa_system_sgpr_workgroup_info 0
		.amdhsa_system_vgpr_workitem_id 1
		.amdhsa_next_free_vgpr 49
		.amdhsa_next_free_sgpr 14
		.amdhsa_named_barrier_count 0
		.amdhsa_reserve_vcc 1
		.amdhsa_float_round_mode_32 0
		.amdhsa_float_round_mode_16_64 0
		.amdhsa_float_denorm_mode_32 3
		.amdhsa_float_denorm_mode_16_64 3
		.amdhsa_fp16_overflow 0
		.amdhsa_memory_ordered 1
		.amdhsa_forward_progress 1
		.amdhsa_inst_pref_size 14
		.amdhsa_round_robin_scheduling 0
		.amdhsa_exception_fp_ieee_invalid_op 0
		.amdhsa_exception_fp_denorm_src 0
		.amdhsa_exception_fp_ieee_div_zero 0
		.amdhsa_exception_fp_ieee_overflow 0
		.amdhsa_exception_fp_ieee_underflow 0
		.amdhsa_exception_fp_ieee_inexact 0
		.amdhsa_exception_int_div_zero 0
	.end_amdhsa_kernel
	.section	.text._ZL13mul_mat_vec_qIN3c108BFloat16ELi256ELi8E11block_iq3_sLi1EXadL_ZL18vec_dot_iq3_s_q8_1PKvPK10block_q8_1RKiEEEvS4_S4_PT_iii,"axG",@progbits,_ZL13mul_mat_vec_qIN3c108BFloat16ELi256ELi8E11block_iq3_sLi1EXadL_ZL18vec_dot_iq3_s_q8_1PKvPK10block_q8_1RKiEEEvS4_S4_PT_iii,comdat
.Lfunc_end113:
	.size	_ZL13mul_mat_vec_qIN3c108BFloat16ELi256ELi8E11block_iq3_sLi1EXadL_ZL18vec_dot_iq3_s_q8_1PKvPK10block_q8_1RKiEEEvS4_S4_PT_iii, .Lfunc_end113-_ZL13mul_mat_vec_qIN3c108BFloat16ELi256ELi8E11block_iq3_sLi1EXadL_ZL18vec_dot_iq3_s_q8_1PKvPK10block_q8_1RKiEEEvS4_S4_PT_iii
                                        ; -- End function
	.set _ZL13mul_mat_vec_qIN3c108BFloat16ELi256ELi8E11block_iq3_sLi1EXadL_ZL18vec_dot_iq3_s_q8_1PKvPK10block_q8_1RKiEEEvS4_S4_PT_iii.num_vgpr, 49
	.set _ZL13mul_mat_vec_qIN3c108BFloat16ELi256ELi8E11block_iq3_sLi1EXadL_ZL18vec_dot_iq3_s_q8_1PKvPK10block_q8_1RKiEEEvS4_S4_PT_iii.num_agpr, 0
	.set _ZL13mul_mat_vec_qIN3c108BFloat16ELi256ELi8E11block_iq3_sLi1EXadL_ZL18vec_dot_iq3_s_q8_1PKvPK10block_q8_1RKiEEEvS4_S4_PT_iii.numbered_sgpr, 14
	.set _ZL13mul_mat_vec_qIN3c108BFloat16ELi256ELi8E11block_iq3_sLi1EXadL_ZL18vec_dot_iq3_s_q8_1PKvPK10block_q8_1RKiEEEvS4_S4_PT_iii.num_named_barrier, 0
	.set _ZL13mul_mat_vec_qIN3c108BFloat16ELi256ELi8E11block_iq3_sLi1EXadL_ZL18vec_dot_iq3_s_q8_1PKvPK10block_q8_1RKiEEEvS4_S4_PT_iii.private_seg_size, 0
	.set _ZL13mul_mat_vec_qIN3c108BFloat16ELi256ELi8E11block_iq3_sLi1EXadL_ZL18vec_dot_iq3_s_q8_1PKvPK10block_q8_1RKiEEEvS4_S4_PT_iii.uses_vcc, 1
	.set _ZL13mul_mat_vec_qIN3c108BFloat16ELi256ELi8E11block_iq3_sLi1EXadL_ZL18vec_dot_iq3_s_q8_1PKvPK10block_q8_1RKiEEEvS4_S4_PT_iii.uses_flat_scratch, 0
	.set _ZL13mul_mat_vec_qIN3c108BFloat16ELi256ELi8E11block_iq3_sLi1EXadL_ZL18vec_dot_iq3_s_q8_1PKvPK10block_q8_1RKiEEEvS4_S4_PT_iii.has_dyn_sized_stack, 0
	.set _ZL13mul_mat_vec_qIN3c108BFloat16ELi256ELi8E11block_iq3_sLi1EXadL_ZL18vec_dot_iq3_s_q8_1PKvPK10block_q8_1RKiEEEvS4_S4_PT_iii.has_recursion, 0
	.set _ZL13mul_mat_vec_qIN3c108BFloat16ELi256ELi8E11block_iq3_sLi1EXadL_ZL18vec_dot_iq3_s_q8_1PKvPK10block_q8_1RKiEEEvS4_S4_PT_iii.has_indirect_call, 0
	.section	.AMDGPU.csdata,"",@progbits
; Kernel info:
; codeLenInByte = 1728
; TotalNumSgprs: 16
; NumVgprs: 49
; ScratchSize: 0
; MemoryBound: 0
; FloatMode: 240
; IeeeMode: 1
; LDSByteSize: 0 bytes/workgroup (compile time only)
; SGPRBlocks: 0
; VGPRBlocks: 3
; NumSGPRsForWavesPerEU: 16
; NumVGPRsForWavesPerEU: 49
; NamedBarCnt: 0
; Occupancy: 16
; WaveLimiterHint : 0
; COMPUTE_PGM_RSRC2:SCRATCH_EN: 0
; COMPUTE_PGM_RSRC2:USER_SGPR: 2
; COMPUTE_PGM_RSRC2:TRAP_HANDLER: 0
; COMPUTE_PGM_RSRC2:TGID_X_EN: 1
; COMPUTE_PGM_RSRC2:TGID_Y_EN: 1
; COMPUTE_PGM_RSRC2:TGID_Z_EN: 0
; COMPUTE_PGM_RSRC2:TIDIG_COMP_CNT: 1
	.section	.text._ZL13mul_mat_vec_qIN3c108BFloat16ELi256ELi8E11block_iq2_sLi1EXadL_ZL18vec_dot_iq2_s_q8_1PKvPK10block_q8_1RKiEEEvS4_S4_PT_iii,"axG",@progbits,_ZL13mul_mat_vec_qIN3c108BFloat16ELi256ELi8E11block_iq2_sLi1EXadL_ZL18vec_dot_iq2_s_q8_1PKvPK10block_q8_1RKiEEEvS4_S4_PT_iii,comdat
	.globl	_ZL13mul_mat_vec_qIN3c108BFloat16ELi256ELi8E11block_iq2_sLi1EXadL_ZL18vec_dot_iq2_s_q8_1PKvPK10block_q8_1RKiEEEvS4_S4_PT_iii ; -- Begin function _ZL13mul_mat_vec_qIN3c108BFloat16ELi256ELi8E11block_iq2_sLi1EXadL_ZL18vec_dot_iq2_s_q8_1PKvPK10block_q8_1RKiEEEvS4_S4_PT_iii
	.p2align	8
	.type	_ZL13mul_mat_vec_qIN3c108BFloat16ELi256ELi8E11block_iq2_sLi1EXadL_ZL18vec_dot_iq2_s_q8_1PKvPK10block_q8_1RKiEEEvS4_S4_PT_iii,@function
_ZL13mul_mat_vec_qIN3c108BFloat16ELi256ELi8E11block_iq2_sLi1EXadL_ZL18vec_dot_iq2_s_q8_1PKvPK10block_q8_1RKiEEEvS4_S4_PT_iii: ; @_ZL13mul_mat_vec_qIN3c108BFloat16ELi256ELi8E11block_iq2_sLi1EXadL_ZL18vec_dot_iq2_s_q8_1PKvPK10block_q8_1RKiEEEvS4_S4_PT_iii
; %bb.0:
	s_clause 0x1
	s_load_u16 s2, s[0:1], 0x36
	s_load_b96 s[4:6], s[0:1], 0x18
	s_bfe_u32 s7, ttmp6, 0x4000c
	s_bfe_u32 s8, ttmp6, 0x40010
	s_add_co_i32 s7, s7, 1
	s_add_co_i32 s8, s8, 1
	s_and_b32 s3, ttmp6, 15
	s_mul_i32 s7, ttmp9, s7
	s_mul_i32 s8, ttmp7, s8
	s_bfe_u32 s9, ttmp6, 0x40004
	s_add_co_i32 s3, s3, s7
	s_getreg_b32 s7, hwreg(HW_REG_IB_STS2, 6, 4)
	s_add_co_i32 s9, s9, s8
	v_bfe_u32 v1, v0, 10, 10
	s_cmp_eq_u32 s7, 0
	s_cselect_b32 s3, ttmp9, s3
	s_cselect_b32 s8, ttmp7, s9
	s_wait_kmcnt 0x0
	v_mad_u32 v14, s3, s2, v1
	s_cmp_lt_u32 s8, s6
	s_cselect_b32 s2, -1, 0
	s_delay_alu instid0(VALU_DEP_1) | instskip(SKIP_1) | instid1(SALU_CYCLE_1)
	v_cmp_gt_u32_e32 vcc_lo, s5, v14
	s_and_b32 s2, s2, vcc_lo
	s_and_saveexec_b32 s3, s2
	s_cbranch_execz .LBB114_7
; %bb.1:
	s_load_b64 s[6:7], s[0:1], 0x10
	s_ashr_i32 s2, s4, 31
	v_bfe_u32 v16, v0, 3, 7
	s_lshr_b32 s2, s2, 24
	v_and_b32_e32 v15, 0x3ff, v0
	v_mov_b32_e32 v17, 0
	s_add_co_i32 s2, s4, s2
	s_mov_b32 s9, exec_lo
	s_ashr_i32 s10, s2, 8
	s_delay_alu instid0(SALU_CYCLE_1)
	v_cmpx_gt_u32_e64 s10, v16
	s_cbranch_execz .LBB114_5
; %bb.2:
	s_wait_xcnt 0x0
	s_load_b128 s[0:3], s[0:1], 0x0
	s_addk_co_i32 s4, 0x1ff
	v_dual_mov_b32 v5, 0 :: v_dual_bitop2_b32 v4, 7, v15 bitop3:0x40
	s_ashr_i32 s11, s4, 31
	v_mul_lo_u32 v18, v14, s10
	s_lshr_b32 s11, s11, 23
	s_delay_alu instid0(VALU_DEP_2)
	v_dual_mov_b32 v9, v5 :: v_dual_lshlrev_b32 v0, 3, v16
	s_add_co_i32 s4, s4, s11
	v_dual_mov_b32 v17, v5 :: v_dual_lshlrev_b32 v8, 2, v4
	s_ashr_i32 s4, s4, 9
	s_wait_kmcnt 0x0
	v_mad_nc_u64_u32 v[6:7], v4, 36, s[2:3]
	s_mul_i32 s2, s8, s4
	s_mov_b32 s4, 0
	v_lshl_add_u32 v19, s2, 4, v0
	s_get_pc_i64 s[2:3]
	s_add_nc_u64 s[2:3], s[2:3], _ZL9iq2s_grid@rel64+4
.LBB114_3:                              ; =>This Inner Loop Header: Depth=1
	v_add_nc_u32_e32 v0, v18, v16
	s_delay_alu instid0(VALU_DEP_2) | instskip(SKIP_1) | instid1(VALU_DEP_3)
	v_mad_nc_i64_i32 v[10:11], v19, 36, v[6:7]
	v_dual_add_nc_u32 v16, 4, v16 :: v_dual_add_nc_u32 v19, 32, v19
	v_mad_nc_i64_i32 v[12:13], 0x52, v0, s[0:1]
	s_delay_alu instid0(VALU_DEP_1)
	v_add_nc_u64_e32 v[0:1], v[12:13], v[8:9]
	v_add_nc_u64_e32 v[2:3], v[12:13], v[4:5]
	s_clause 0x3
	global_load_u8 v21, v[2:3], off offset:74
	global_load_u8 v31, v[2:3], off offset:66
	global_load_b32 v42, v[0:1], off offset:2
	global_load_b32 v34, v[0:1], off offset:34
	s_wait_loadcnt 0x2
	s_wait_xcnt 0x2
	v_lshlrev_b32_e32 v3, 8, v31
	s_wait_loadcnt 0x1
	v_and_b32_e32 v2, 0xff, v42
	s_wait_loadcnt 0x0
	v_dual_lshrrev_b32 v20, 24, v34 :: v_dual_bitop2_b32 v0, 15, v34 bitop3:0x40
	v_lshrrev_b32_e32 v30, 8, v34
	v_lshrrev_b32_e32 v32, 24, v42
	v_and_or_b32 v2, 0x300, v3, v2
	s_delay_alu instid0(VALU_DEP_4) | instskip(SKIP_2) | instid1(VALU_DEP_3)
	v_lshrrev_b16 v20, 4, v20
	v_mul_lo_u32 v0, 0x1010101, v0
	v_lshrrev_b16 v30, 4, v30
	v_and_b32_e32 v20, 0xffff, v20
	s_delay_alu instid0(VALU_DEP_2) | instskip(NEXT) | instid1(VALU_DEP_2)
	v_and_b32_e32 v30, 15, v30
	v_mul_lo_u32 v20, 0x1010101, v20
	v_bitop3_b32 v1, v0, 0x8040201, v0 bitop3:0xc
	s_delay_alu instid0(VALU_DEP_3) | instskip(NEXT) | instid1(VALU_DEP_2)
	v_and_b32_e32 v30, 0xffff, v30
	v_cmp_gt_u32_e32 vcc_lo, 0x1000000, v1
	s_delay_alu instid0(VALU_DEP_2) | instskip(SKIP_1) | instid1(VALU_DEP_1)
	v_mul_lo_u32 v30, 0x1010101, v30
	v_cndmask_b32_e64 v1, 0, -1, vcc_lo
	v_lshlrev_b32_e32 v3, 24, v1
	v_bitop3_b32 v1, v0, 0x40000, v0 bitop3:0xc
	s_delay_alu instid0(VALU_DEP_4) | instskip(NEXT) | instid1(VALU_DEP_2)
	v_bitop3_b32 v40, v30, 0x8040201, v30 bitop3:0xc
	v_cmp_eq_u32_e32 vcc_lo, 0, v1
	v_bitop3_b32 v1, v0, 0x200, v0 bitop3:0xc
	v_bitop3_b32 v0, v0, 1, v0 bitop3:0xc
	v_cndmask_b32_e64 v22, 0, 0xff0000, vcc_lo
	s_delay_alu instid0(VALU_DEP_3) | instskip(SKIP_1) | instid1(VALU_DEP_4)
	v_cmp_eq_u32_e32 vcc_lo, 0, v1
	v_cndmask_b32_e64 v24, 0, 0xff00, vcc_lo
	v_cmp_eq_u32_e32 vcc_lo, 0, v0
	v_lshrrev_b16 v0, 4, v34
	v_cndmask_b32_e64 v25, 0, 0xff, vcc_lo
	s_delay_alu instid0(VALU_DEP_2) | instskip(NEXT) | instid1(VALU_DEP_2)
	v_and_b32_e32 v0, 15, v0
	v_or3_b32 v23, v24, v25, v22
	s_delay_alu instid0(VALU_DEP_2) | instskip(NEXT) | instid1(VALU_DEP_1)
	v_and_b32_e32 v0, 0xffff, v0
	v_mul_lo_u32 v0, 0x1010101, v0
	s_delay_alu instid0(VALU_DEP_1) | instskip(NEXT) | instid1(VALU_DEP_1)
	v_bitop3_b32 v1, v0, 0x8040201, v0 bitop3:0xc
	v_cmp_gt_u32_e32 vcc_lo, 0x1000000, v1
	v_cndmask_b32_e64 v1, 0, -1, vcc_lo
	s_delay_alu instid0(VALU_DEP_1) | instskip(SKIP_1) | instid1(VALU_DEP_1)
	v_lshlrev_b32_e32 v27, 24, v1
	v_bitop3_b32 v1, v0, 0x40000, v0 bitop3:0xc
	v_cmp_eq_u32_e32 vcc_lo, 0, v1
	v_bitop3_b32 v1, v0, 0x200, v0 bitop3:0xc
	v_bitop3_b32 v0, v0, 1, v0 bitop3:0xc
	v_cndmask_b32_e64 v29, 0, 0xff0000, vcc_lo
	s_delay_alu instid0(VALU_DEP_3) | instskip(SKIP_1) | instid1(VALU_DEP_4)
	v_cmp_eq_u32_e32 vcc_lo, 0, v1
	v_cndmask_b32_e64 v33, 0, 0xff00, vcc_lo
	v_cmp_eq_u32_e32 vcc_lo, 0, v0
	global_load_b64 v[0:1], v2, s[2:3] scale_offset
	v_cndmask_b32_e64 v35, 0, 0xff, vcc_lo
	s_delay_alu instid0(VALU_DEP_1) | instskip(SKIP_2) | instid1(VALU_DEP_1)
	v_or3_b32 v36, v33, v35, v29
	s_wait_loadcnt 0x0
	v_bitop3_b32 v0, v23, v0, v3 bitop3:0x36
	v_dual_sub_nc_u32 v23, v0, v3 :: v_dual_sub_nc_u32 v2, v0, v22
	v_dual_sub_nc_u32 v22, v0, v24 :: v_dual_sub_nc_u32 v26, v0, v25
	v_bitop3_b32 v0, v36, v1, v27 bitop3:0x36
	s_delay_alu instid0(VALU_DEP_1) | instskip(SKIP_4) | instid1(VALU_DEP_4)
	v_dual_sub_nc_u32 v25, v0, v27 :: v_dual_sub_nc_u32 v1, v0, v29
	v_dual_sub_nc_u32 v27, v0, v35 :: v_dual_sub_nc_u32 v24, v0, v33
	v_lshlrev_b32_e32 v35, 6, v31
	v_bfe_u32 v33, v42, 8, 8
	v_perm_b32 v28, v2, v26, 0xc060c00
	v_perm_b32 v29, v1, v27, 0xc060c00
	global_load_b128 v[0:3], v[10:11], off offset:4
	v_perm_b32 v26, v26, v27, 0xc0c0400
	v_and_or_b32 v33, 0x300, v35, v33
	v_bfe_u32 v35, v34, 8, 4
	v_perm_b32 v28, v28, v29, 0xc0c0602
	v_perm_b32 v23, v23, v25, 0xc0c0703
	v_perm_b32 v22, v22, v24, 0xc0c0501
	s_delay_alu instid0(VALU_DEP_4) | instskip(NEXT) | instid1(VALU_DEP_1)
	v_mul_lo_u32 v35, 0x1010101, v35
	v_bitop3_b32 v36, v35, 0x8040201, v35 bitop3:0xc
	v_bitop3_b32 v37, v35, 0x40000, v35 bitop3:0xc
	;; [unrolled: 1-line block ×4, first 2 shown]
	s_delay_alu instid0(VALU_DEP_4) | instskip(SKIP_2) | instid1(VALU_DEP_2)
	v_cmp_gt_u32_e32 vcc_lo, 0x1000000, v36
	v_cndmask_b32_e64 v36, 0, -1, vcc_lo
	v_cmp_eq_u32_e32 vcc_lo, 0, v37
	v_lshlrev_b32_e32 v36, 24, v36
	v_cndmask_b32_e64 v37, 0, 0xff0000, vcc_lo
	v_cmp_eq_u32_e32 vcc_lo, 0, v38
	v_cndmask_b32_e64 v38, 0, 0xff00, vcc_lo
	v_cmp_eq_u32_e32 vcc_lo, 0, v35
	v_cndmask_b32_e64 v35, 0, 0xff, vcc_lo
	v_cmp_gt_u32_e32 vcc_lo, 0x1000000, v40
	s_delay_alu instid0(VALU_DEP_2) | instskip(SKIP_1) | instid1(VALU_DEP_1)
	v_or3_b32 v39, v38, v35, v37
	v_cndmask_b32_e64 v40, 0, -1, vcc_lo
	v_lshlrev_b32_e32 v43, 24, v40
	v_bitop3_b32 v40, v30, 0x40000, v30 bitop3:0xc
	s_delay_alu instid0(VALU_DEP_1) | instskip(SKIP_3) | instid1(VALU_DEP_3)
	v_cmp_eq_u32_e32 vcc_lo, 0, v40
	v_bitop3_b32 v40, v30, 0x200, v30 bitop3:0xc
	v_bitop3_b32 v30, v30, 1, v30 bitop3:0xc
	v_cndmask_b32_e64 v44, 0, 0xff0000, vcc_lo
	v_cmp_eq_u32_e32 vcc_lo, 0, v40
	global_load_b64 v[40:41], v33, s[2:3] scale_offset
	v_cndmask_b32_e64 v45, 0, 0xff00, vcc_lo
	v_cmp_eq_u32_e32 vcc_lo, 0, v30
	v_cndmask_b32_e64 v46, 0, 0xff, vcc_lo
	s_delay_alu instid0(VALU_DEP_1) | instskip(SKIP_2) | instid1(VALU_DEP_1)
	v_or3_b32 v47, v45, v46, v44
	s_wait_loadcnt 0x0
	v_bitop3_b32 v39, v39, v40, v36 bitop3:0x36
	v_dual_sub_nc_u32 v33, v39, v36 :: v_dual_sub_nc_u32 v30, v39, v38
	v_sub_nc_u32_e32 v36, v39, v37
	v_bitop3_b32 v38, v47, v41, v43 bitop3:0x36
	v_sub_nc_u32_e32 v37, v39, v35
	v_bfe_u32 v41, v42, 16, 8
	v_dual_lshlrev_b32 v42, 4, v31 :: v_dual_lshlrev_b32 v31, 2, v31
	s_delay_alu instid0(VALU_DEP_4) | instskip(NEXT) | instid1(VALU_DEP_4)
	v_sub_nc_u32_e32 v40, v38, v44
	v_perm_b32 v39, v36, v37, 0xc060c00
	v_dual_sub_nc_u32 v36, v38, v43 :: v_dual_sub_nc_u32 v35, v38, v45
	v_sub_nc_u32_e32 v38, v38, v46
	v_and_or_b32 v41, 0x300, v42, v41
	v_bfe_u32 v42, v34, 16, 4
	v_and_or_b32 v31, 0x300, v31, v32
	v_bfe_u32 v32, v34, 24, 4
	v_perm_b32 v40, v40, v38, 0xc060c00
	v_perm_b32 v27, v38, v37, 0x4000c0c
	v_mul_lo_u32 v42, 0x1010101, v42
	v_perm_b32 v25, v36, v33, 0x7030c0c
	v_mul_lo_u32 v32, 0x1010101, v32
	v_perm_b32 v29, v40, v39, 0x6020c0c
	v_or_b32_e32 v26, v27, v26
	v_perm_b32 v24, v35, v30, 0x5010c0c
	v_or_b32_e32 v23, v25, v23
	s_delay_alu instid0(VALU_DEP_4) | instskip(NEXT) | instid1(VALU_DEP_3)
	v_or_b32_e32 v28, v29, v28
	v_or_b32_e32 v22, v24, v22
	v_bitop3_b32 v43, v42, 0x8040201, v42 bitop3:0xc
	s_delay_alu instid0(VALU_DEP_1) | instskip(SKIP_1) | instid1(VALU_DEP_1)
	v_cmp_gt_u32_e32 vcc_lo, 0x1000000, v43
	v_cndmask_b32_e64 v43, 0, -1, vcc_lo
	v_lshlrev_b32_e32 v44, 24, v43
	v_bitop3_b32 v43, v42, 0x40000, v42 bitop3:0xc
	s_delay_alu instid0(VALU_DEP_1) | instskip(SKIP_3) | instid1(VALU_DEP_3)
	v_cmp_eq_u32_e32 vcc_lo, 0, v43
	v_bitop3_b32 v43, v42, 0x200, v42 bitop3:0xc
	v_bitop3_b32 v42, v42, 1, v42 bitop3:0xc
	v_cndmask_b32_e64 v45, 0, 0xff0000, vcc_lo
	v_cmp_eq_u32_e32 vcc_lo, 0, v43
	v_cndmask_b32_e64 v46, 0, 0xff00, vcc_lo
	s_delay_alu instid0(VALU_DEP_4) | instskip(SKIP_3) | instid1(VALU_DEP_3)
	v_cmp_eq_u32_e32 vcc_lo, 0, v42
	v_bfe_u32 v42, v34, 20, 4
	v_bitop3_b32 v34, v32, 0x8040201, v32 bitop3:0xc
	v_cndmask_b32_e64 v47, 0, 0xff, vcc_lo
	v_mul_lo_u32 v42, 0x1010101, v42
	s_delay_alu instid0(VALU_DEP_2) | instskip(NEXT) | instid1(VALU_DEP_2)
	v_or3_b32 v48, v46, v47, v45
	v_bitop3_b32 v43, v42, 0x8040201, v42 bitop3:0xc
	s_delay_alu instid0(VALU_DEP_1) | instskip(SKIP_1) | instid1(VALU_DEP_1)
	v_cmp_gt_u32_e32 vcc_lo, 0x1000000, v43
	v_cndmask_b32_e64 v43, 0, -1, vcc_lo
	v_lshlrev_b32_e32 v49, 24, v43
	v_bitop3_b32 v43, v42, 0x40000, v42 bitop3:0xc
	s_delay_alu instid0(VALU_DEP_1) | instskip(SKIP_3) | instid1(VALU_DEP_3)
	v_cmp_eq_u32_e32 vcc_lo, 0, v43
	v_bitop3_b32 v43, v42, 0x200, v42 bitop3:0xc
	v_bitop3_b32 v42, v42, 1, v42 bitop3:0xc
	v_cndmask_b32_e64 v50, 0, 0xff0000, vcc_lo
	v_cmp_eq_u32_e32 vcc_lo, 0, v43
	v_cndmask_b32_e64 v51, 0, 0xff00, vcc_lo
	s_delay_alu instid0(VALU_DEP_4) | instskip(SKIP_3) | instid1(VALU_DEP_2)
	v_cmp_eq_u32_e32 vcc_lo, 0, v42
	global_load_b64 v[42:43], v41, s[2:3] scale_offset
	v_cndmask_b32_e64 v52, 0, 0xff, vcc_lo
	v_cmp_gt_u32_e32 vcc_lo, 0x1000000, v34
	v_or3_b32 v53, v51, v52, v50
	v_cndmask_b32_e64 v34, 0, -1, vcc_lo
	s_delay_alu instid0(VALU_DEP_1) | instskip(SKIP_2) | instid1(VALU_DEP_1)
	v_lshlrev_b32_e32 v34, 24, v34
	s_wait_loadcnt 0x0
	v_bitop3_b32 v41, v48, v42, v44 bitop3:0x36
	v_sub_nc_u32_e32 v54, v41, v46
	v_bitop3_b32 v46, v32, 0x40000, v32 bitop3:0xc
	v_dual_sub_nc_u32 v48, v41, v44 :: v_dual_sub_nc_u32 v42, v41, v45
	v_sub_nc_u32_e32 v41, v41, v47
	s_delay_alu instid0(VALU_DEP_3) | instskip(SKIP_2) | instid1(VALU_DEP_4)
	v_cmp_eq_u32_e32 vcc_lo, 0, v46
	v_bitop3_b32 v46, v32, 0x200, v32 bitop3:0xc
	v_bitop3_b32 v32, v32, 1, v32 bitop3:0xc
	v_perm_b32 v55, v42, v41, 0xc060c00
	v_bitop3_b32 v42, v53, v43, v49 bitop3:0x36
	v_cndmask_b32_e64 v53, 0, 0xff0000, vcc_lo
	v_cmp_eq_u32_e32 vcc_lo, 0, v46
	v_bitop3_b32 v46, v20, 0x8040201, v20 bitop3:0xc
	s_delay_alu instid0(VALU_DEP_4)
	v_dual_sub_nc_u32 v49, v42, v49 :: v_dual_sub_nc_u32 v43, v42, v50
	v_cndmask_b32_e64 v56, 0, 0xff00, vcc_lo
	v_cmp_eq_u32_e32 vcc_lo, 0, v32
	v_dual_sub_nc_u32 v50, v42, v51 :: v_dual_sub_nc_u32 v51, v42, v52
	v_cndmask_b32_e64 v32, 0, 0xff, vcc_lo
	v_cmp_gt_u32_e32 vcc_lo, 0x1000000, v46
	s_delay_alu instid0(VALU_DEP_3)
	v_perm_b32 v52, v43, v51, 0xc060c00
	s_clause 0x1
	global_load_b128 v[42:45], v[10:11], off offset:20
	global_load_b32 v10, v[10:11], off
	v_or3_b32 v57, v56, v32, v53
	v_cndmask_b32_e64 v46, 0, -1, vcc_lo
	v_perm_b32 v52, v55, v52, 0xc0c0602
	v_perm_b32 v41, v41, v51, 0xc0c0400
	v_perm_b32 v29, v0, v1, 0xc0c0602
	v_perm_b32 v27, v0, v1, 0xc0c0400
	v_lshlrev_b32_e32 v58, 24, v46
	v_bitop3_b32 v46, v20, 0x40000, v20 bitop3:0xc
	v_perm_b32 v25, v0, v1, 0xc0c0703
	v_perm_b32 v0, v0, v1, 0xc0c0501
	;; [unrolled: 1-line block ×3, first 2 shown]
	s_delay_alu instid0(VALU_DEP_4) | instskip(SKIP_2) | instid1(VALU_DEP_4)
	v_cmp_eq_u32_e32 vcc_lo, 0, v46
	v_bitop3_b32 v46, v20, 0x200, v20 bitop3:0xc
	v_bitop3_b32 v20, v20, 1, v20 bitop3:0xc
	v_or_b32_e32 v0, v1, v0
	v_lshrrev_b16 v1, 4, v21
	v_cndmask_b32_e64 v59, 0, 0xff0000, vcc_lo
	v_cmp_eq_u32_e32 vcc_lo, 0, v46
	global_load_b64 v[46:47], v31, s[2:3] scale_offset
	v_dot4_i32_iu8 v0, v22, v0, 0 neg_lo:[1,1,0]
	s_wait_xcnt 0x1
	v_cvt_f32_ubyte0_e32 v11, v1
	v_cndmask_b32_e64 v60, 0, 0xff00, vcc_lo
	v_cmp_eq_u32_e32 vcc_lo, 0, v20
	v_cndmask_b32_e64 v20, 0, 0xff, vcc_lo
	v_cmp_le_u32_e32 vcc_lo, s10, v16
	s_delay_alu instid0(VALU_DEP_2)
	v_or3_b32 v61, v60, v20, v59
	s_or_b32 s4, vcc_lo, s4
	s_wait_loadcnt 0x1
	v_cvt_f32_f16_e32 v10, v10
	s_wait_loadcnt 0x0
	v_bitop3_b32 v31, v57, v46, v34 bitop3:0x36
	s_delay_alu instid0(VALU_DEP_1) | instskip(SKIP_2) | instid1(VALU_DEP_1)
	v_dual_sub_nc_u32 v34, v31, v34 :: v_dual_sub_nc_u32 v46, v31, v53
	v_sub_nc_u32_e32 v53, v31, v56
	v_sub_nc_u32_e32 v31, v31, v32
	v_perm_b32 v32, v46, v31, 0xc060c00
	v_bitop3_b32 v46, v61, v47, v58 bitop3:0x36
	s_delay_alu instid0(VALU_DEP_1) | instskip(SKIP_1) | instid1(VALU_DEP_1)
	v_dual_sub_nc_u32 v56, v46, v59 :: v_dual_sub_nc_u32 v57, v46, v60
	v_dual_sub_nc_u32 v20, v46, v20 :: v_dual_sub_nc_u32 v47, v46, v58
	v_perm_b32 v46, v56, v20, 0xc060c00
	s_delay_alu instid0(VALU_DEP_2) | instskip(NEXT) | instid1(VALU_DEP_2)
	v_perm_b32 v34, v47, v34, 0x7030c0c
	v_perm_b32 v32, v46, v32, 0x6020c0c
	;; [unrolled: 1-line block ×3, first 2 shown]
	s_delay_alu instid0(VALU_DEP_2) | instskip(SKIP_1) | instid1(VALU_DEP_1)
	v_or_b32_e32 v32, v32, v52
	v_perm_b32 v52, v45, v44, 0x6020c0c
	v_or_b32_e32 v46, v52, v46
	v_perm_b32 v20, v20, v31, 0x4000c0c
	v_perm_b32 v31, v42, v43, 0xc0c0400
	s_delay_alu instid0(VALU_DEP_2) | instskip(SKIP_1) | instid1(VALU_DEP_1)
	v_or_b32_e32 v20, v20, v41
	v_perm_b32 v41, v45, v44, 0x4000c0c
	v_or_b32_e32 v31, v41, v31
	v_perm_b32 v41, v45, v44, 0x7030c0c
	s_delay_alu instid0(VALU_DEP_2) | instskip(SKIP_1) | instid1(VALU_DEP_1)
	v_dot4_i32_iu8 v20, v20, v31, 0 neg_lo:[1,1,0]
	v_perm_b32 v31, v48, v49, 0xc0c0703
	v_or_b32_e32 v31, v34, v31
	v_perm_b32 v34, v42, v43, 0xc0c0703
	s_delay_alu instid0(VALU_DEP_1) | instskip(SKIP_1) | instid1(VALU_DEP_2)
	v_or_b32_e32 v34, v41, v34
	v_perm_b32 v41, v57, v53, 0x5010c0c
	v_dot4_i32_iu8 v31, v31, v34, 0 neg_lo:[1,1,0]
	v_perm_b32 v34, v54, v50, 0xc0c0501
	s_delay_alu instid0(VALU_DEP_1) | instskip(SKIP_2) | instid1(VALU_DEP_1)
	v_or_b32_e32 v34, v41, v34
	v_perm_b32 v41, v42, v43, 0xc0c0501
	v_perm_b32 v42, v45, v44, 0x5010c0c
	v_or_b32_e32 v41, v42, v41
	s_delay_alu instid0(VALU_DEP_1) | instskip(NEXT) | instid1(VALU_DEP_1)
	v_dot4_i32_iu8 v34, v34, v41, 0 neg_lo:[1,1,0]
	v_add_nc_u32_e32 v31, v34, v31
	v_dot4_i32_iu8 v32, v32, v46, 0 neg_lo:[1,1,0]
	s_delay_alu instid0(VALU_DEP_1) | instskip(SKIP_1) | instid1(VALU_DEP_2)
	v_add3_u32 v20, v20, v32, v31
	v_perm_b32 v31, v3, v2, 0x6020c0c
	v_cvt_f32_i32_e32 v1, v20
	s_delay_alu instid0(VALU_DEP_2) | instskip(NEXT) | instid1(VALU_DEP_1)
	v_or_b32_e32 v29, v31, v29
	v_dot4_i32_iu8 v28, v28, v29, 0 neg_lo:[1,1,0]
	v_perm_b32 v29, v3, v2, 0x4000c0c
	s_delay_alu instid0(VALU_DEP_1) | instskip(NEXT) | instid1(VALU_DEP_1)
	v_or_b32_e32 v27, v29, v27
	v_dot4_i32_iu8 v26, v26, v27, 0 neg_lo:[1,1,0]
	v_perm_b32 v27, v3, v2, 0x7030c0c
	global_load_u16 v3, v[12:13], off
	v_and_b32_e32 v2, 15, v21
	v_or_b32_e32 v25, v27, v25
	s_delay_alu instid0(VALU_DEP_1) | instskip(NEXT) | instid1(VALU_DEP_1)
	v_dot4_i32_iu8 v23, v23, v25, 0 neg_lo:[1,1,0]
	v_add_nc_u32_e32 v0, v0, v23
	s_delay_alu instid0(VALU_DEP_1) | instskip(NEXT) | instid1(VALU_DEP_1)
	v_add3_u32 v0, v26, v28, v0
	v_cvt_f32_i32_e32 v0, v0
	s_wait_loadcnt 0x0
	v_cvt_f32_f16_e32 v3, v3
	s_delay_alu instid0(VALU_DEP_1) | instskip(SKIP_1) | instid1(VALU_DEP_2)
	v_mul_f32_e32 v3, v3, v10
	v_cvt_f32_ubyte0_e32 v10, v2
	v_mul_f32_e32 v3, 0x3e800000, v3
	s_delay_alu instid0(VALU_DEP_2) | instskip(NEXT) | instid1(VALU_DEP_1)
	v_pk_add_f32 v[10:11], v[10:11], 0.5 op_sel_hi:[1,0]
	v_pk_mul_f32 v[0:1], v[10:11], v[0:1]
	s_delay_alu instid0(VALU_DEP_1) | instskip(NEXT) | instid1(VALU_DEP_1)
	v_add_f32_e32 v0, v0, v1
	v_fmac_f32_e32 v17, v3, v0
	s_and_not1_b32 exec_lo, exec_lo, s4
	s_cbranch_execnz .LBB114_3
; %bb.4:
	s_or_b32 exec_lo, exec_lo, s4
.LBB114_5:
	s_delay_alu instid0(SALU_CYCLE_1) | instskip(SKIP_1) | instid1(VALU_DEP_1)
	s_or_b32 exec_lo, exec_lo, s9
	v_mbcnt_lo_u32_b32 v0, -1, 0
	v_xor_b32_e32 v2, 8, v0
	v_xor_b32_e32 v1, 16, v0
	;; [unrolled: 1-line block ×3, first 2 shown]
	s_delay_alu instid0(VALU_DEP_2) | instskip(SKIP_4) | instid1(VALU_DEP_2)
	v_cmp_gt_i32_e32 vcc_lo, 32, v1
	v_cndmask_b32_e32 v1, v0, v1, vcc_lo
	v_cmp_gt_i32_e32 vcc_lo, 32, v2
	v_cndmask_b32_e32 v2, v0, v2, vcc_lo
	v_cmp_gt_i32_e32 vcc_lo, 32, v3
	v_dual_lshlrev_b32 v2, 2, v2 :: v_dual_lshlrev_b32 v1, 2, v1
	ds_bpermute_b32 v1, v1, v17
	s_wait_dscnt 0x0
	v_add_f32_e32 v1, v17, v1
	ds_bpermute_b32 v2, v2, v1
	s_wait_dscnt 0x0
	v_dual_cndmask_b32 v3, v0, v3, vcc_lo :: v_dual_add_f32 v1, v1, v2
	s_delay_alu instid0(VALU_DEP_1) | instskip(SKIP_3) | instid1(VALU_DEP_1)
	v_lshlrev_b32_e32 v3, 2, v3
	ds_bpermute_b32 v2, v3, v1
	s_wait_dscnt 0x0
	v_dual_add_f32 v1, v1, v2 :: v_dual_bitop2_b32 v3, 2, v0 bitop3:0x14
	v_cmp_gt_i32_e32 vcc_lo, 32, v3
	v_cndmask_b32_e32 v3, v0, v3, vcc_lo
	s_delay_alu instid0(VALU_DEP_1) | instskip(SKIP_2) | instid1(VALU_DEP_1)
	v_lshlrev_b32_e32 v3, 2, v3
	ds_bpermute_b32 v2, v3, v1
	v_xor_b32_e32 v3, 1, v0
	v_cmp_gt_i32_e32 vcc_lo, 32, v3
	v_cndmask_b32_e32 v3, v0, v3, vcc_lo
	v_cmp_eq_u32_e32 vcc_lo, 0, v15
	s_wait_dscnt 0x0
	s_delay_alu instid0(VALU_DEP_2)
	v_dual_add_f32 v0, v1, v2 :: v_dual_lshlrev_b32 v1, 2, v3
	ds_bpermute_b32 v1, v1, v0
	s_and_b32 exec_lo, exec_lo, vcc_lo
	s_cbranch_execz .LBB114_7
; %bb.6:
	s_wait_dscnt 0x0
	v_add_f32_e32 v0, v0, v1
	v_mad_u32 v2, s5, s8, v14
	s_delay_alu instid0(VALU_DEP_2) | instskip(NEXT) | instid1(VALU_DEP_1)
	v_bfe_u32 v1, v0, 16, 1
	v_add3_u32 v1, v0, v1, 0x7fff
	s_delay_alu instid0(VALU_DEP_1) | instskip(SKIP_1) | instid1(VALU_DEP_2)
	v_lshrrev_b32_e32 v1, 16, v1
	v_cmp_o_f32_e32 vcc_lo, v0, v0
	v_cndmask_b32_e32 v0, 0x7fc0, v1, vcc_lo
	s_wait_kmcnt 0x0
	global_store_b16 v2, v0, s[6:7] scale_offset
.LBB114_7:
	s_endpgm
	.section	.rodata,"a",@progbits
	.p2align	6, 0x0
	.amdhsa_kernel _ZL13mul_mat_vec_qIN3c108BFloat16ELi256ELi8E11block_iq2_sLi1EXadL_ZL18vec_dot_iq2_s_q8_1PKvPK10block_q8_1RKiEEEvS4_S4_PT_iii
		.amdhsa_group_segment_fixed_size 0
		.amdhsa_private_segment_fixed_size 0
		.amdhsa_kernarg_size 296
		.amdhsa_user_sgpr_count 2
		.amdhsa_user_sgpr_dispatch_ptr 0
		.amdhsa_user_sgpr_queue_ptr 0
		.amdhsa_user_sgpr_kernarg_segment_ptr 1
		.amdhsa_user_sgpr_dispatch_id 0
		.amdhsa_user_sgpr_kernarg_preload_length 0
		.amdhsa_user_sgpr_kernarg_preload_offset 0
		.amdhsa_user_sgpr_private_segment_size 0
		.amdhsa_wavefront_size32 1
		.amdhsa_uses_dynamic_stack 0
		.amdhsa_enable_private_segment 0
		.amdhsa_system_sgpr_workgroup_id_x 1
		.amdhsa_system_sgpr_workgroup_id_y 1
		.amdhsa_system_sgpr_workgroup_id_z 0
		.amdhsa_system_sgpr_workgroup_info 0
		.amdhsa_system_vgpr_workitem_id 1
		.amdhsa_next_free_vgpr 62
		.amdhsa_next_free_sgpr 12
		.amdhsa_named_barrier_count 0
		.amdhsa_reserve_vcc 1
		.amdhsa_float_round_mode_32 0
		.amdhsa_float_round_mode_16_64 0
		.amdhsa_float_denorm_mode_32 3
		.amdhsa_float_denorm_mode_16_64 3
		.amdhsa_fp16_overflow 0
		.amdhsa_memory_ordered 1
		.amdhsa_forward_progress 1
		.amdhsa_inst_pref_size 26
		.amdhsa_round_robin_scheduling 0
		.amdhsa_exception_fp_ieee_invalid_op 0
		.amdhsa_exception_fp_denorm_src 0
		.amdhsa_exception_fp_ieee_div_zero 0
		.amdhsa_exception_fp_ieee_overflow 0
		.amdhsa_exception_fp_ieee_underflow 0
		.amdhsa_exception_fp_ieee_inexact 0
		.amdhsa_exception_int_div_zero 0
	.end_amdhsa_kernel
	.section	.text._ZL13mul_mat_vec_qIN3c108BFloat16ELi256ELi8E11block_iq2_sLi1EXadL_ZL18vec_dot_iq2_s_q8_1PKvPK10block_q8_1RKiEEEvS4_S4_PT_iii,"axG",@progbits,_ZL13mul_mat_vec_qIN3c108BFloat16ELi256ELi8E11block_iq2_sLi1EXadL_ZL18vec_dot_iq2_s_q8_1PKvPK10block_q8_1RKiEEEvS4_S4_PT_iii,comdat
.Lfunc_end114:
	.size	_ZL13mul_mat_vec_qIN3c108BFloat16ELi256ELi8E11block_iq2_sLi1EXadL_ZL18vec_dot_iq2_s_q8_1PKvPK10block_q8_1RKiEEEvS4_S4_PT_iii, .Lfunc_end114-_ZL13mul_mat_vec_qIN3c108BFloat16ELi256ELi8E11block_iq2_sLi1EXadL_ZL18vec_dot_iq2_s_q8_1PKvPK10block_q8_1RKiEEEvS4_S4_PT_iii
                                        ; -- End function
	.set _ZL13mul_mat_vec_qIN3c108BFloat16ELi256ELi8E11block_iq2_sLi1EXadL_ZL18vec_dot_iq2_s_q8_1PKvPK10block_q8_1RKiEEEvS4_S4_PT_iii.num_vgpr, 62
	.set _ZL13mul_mat_vec_qIN3c108BFloat16ELi256ELi8E11block_iq2_sLi1EXadL_ZL18vec_dot_iq2_s_q8_1PKvPK10block_q8_1RKiEEEvS4_S4_PT_iii.num_agpr, 0
	.set _ZL13mul_mat_vec_qIN3c108BFloat16ELi256ELi8E11block_iq2_sLi1EXadL_ZL18vec_dot_iq2_s_q8_1PKvPK10block_q8_1RKiEEEvS4_S4_PT_iii.numbered_sgpr, 12
	.set _ZL13mul_mat_vec_qIN3c108BFloat16ELi256ELi8E11block_iq2_sLi1EXadL_ZL18vec_dot_iq2_s_q8_1PKvPK10block_q8_1RKiEEEvS4_S4_PT_iii.num_named_barrier, 0
	.set _ZL13mul_mat_vec_qIN3c108BFloat16ELi256ELi8E11block_iq2_sLi1EXadL_ZL18vec_dot_iq2_s_q8_1PKvPK10block_q8_1RKiEEEvS4_S4_PT_iii.private_seg_size, 0
	.set _ZL13mul_mat_vec_qIN3c108BFloat16ELi256ELi8E11block_iq2_sLi1EXadL_ZL18vec_dot_iq2_s_q8_1PKvPK10block_q8_1RKiEEEvS4_S4_PT_iii.uses_vcc, 1
	.set _ZL13mul_mat_vec_qIN3c108BFloat16ELi256ELi8E11block_iq2_sLi1EXadL_ZL18vec_dot_iq2_s_q8_1PKvPK10block_q8_1RKiEEEvS4_S4_PT_iii.uses_flat_scratch, 0
	.set _ZL13mul_mat_vec_qIN3c108BFloat16ELi256ELi8E11block_iq2_sLi1EXadL_ZL18vec_dot_iq2_s_q8_1PKvPK10block_q8_1RKiEEEvS4_S4_PT_iii.has_dyn_sized_stack, 0
	.set _ZL13mul_mat_vec_qIN3c108BFloat16ELi256ELi8E11block_iq2_sLi1EXadL_ZL18vec_dot_iq2_s_q8_1PKvPK10block_q8_1RKiEEEvS4_S4_PT_iii.has_recursion, 0
	.set _ZL13mul_mat_vec_qIN3c108BFloat16ELi256ELi8E11block_iq2_sLi1EXadL_ZL18vec_dot_iq2_s_q8_1PKvPK10block_q8_1RKiEEEvS4_S4_PT_iii.has_indirect_call, 0
	.section	.AMDGPU.csdata,"",@progbits
; Kernel info:
; codeLenInByte = 3272
; TotalNumSgprs: 14
; NumVgprs: 62
; ScratchSize: 0
; MemoryBound: 0
; FloatMode: 240
; IeeeMode: 1
; LDSByteSize: 0 bytes/workgroup (compile time only)
; SGPRBlocks: 0
; VGPRBlocks: 3
; NumSGPRsForWavesPerEU: 14
; NumVGPRsForWavesPerEU: 62
; NamedBarCnt: 0
; Occupancy: 16
; WaveLimiterHint : 0
; COMPUTE_PGM_RSRC2:SCRATCH_EN: 0
; COMPUTE_PGM_RSRC2:USER_SGPR: 2
; COMPUTE_PGM_RSRC2:TRAP_HANDLER: 0
; COMPUTE_PGM_RSRC2:TGID_X_EN: 1
; COMPUTE_PGM_RSRC2:TGID_Y_EN: 1
; COMPUTE_PGM_RSRC2:TGID_Z_EN: 0
; COMPUTE_PGM_RSRC2:TIDIG_COMP_CNT: 1
	.section	.text._ZL13mul_mat_vec_qIN3c108BFloat16ELi256ELi8E12block_iq4_xsLi1EXadL_ZL19vec_dot_iq4_xs_q8_1PKvPK10block_q8_1RKiEEEvS4_S4_PT_iii,"axG",@progbits,_ZL13mul_mat_vec_qIN3c108BFloat16ELi256ELi8E12block_iq4_xsLi1EXadL_ZL19vec_dot_iq4_xs_q8_1PKvPK10block_q8_1RKiEEEvS4_S4_PT_iii,comdat
	.globl	_ZL13mul_mat_vec_qIN3c108BFloat16ELi256ELi8E12block_iq4_xsLi1EXadL_ZL19vec_dot_iq4_xs_q8_1PKvPK10block_q8_1RKiEEEvS4_S4_PT_iii ; -- Begin function _ZL13mul_mat_vec_qIN3c108BFloat16ELi256ELi8E12block_iq4_xsLi1EXadL_ZL19vec_dot_iq4_xs_q8_1PKvPK10block_q8_1RKiEEEvS4_S4_PT_iii
	.p2align	8
	.type	_ZL13mul_mat_vec_qIN3c108BFloat16ELi256ELi8E12block_iq4_xsLi1EXadL_ZL19vec_dot_iq4_xs_q8_1PKvPK10block_q8_1RKiEEEvS4_S4_PT_iii,@function
_ZL13mul_mat_vec_qIN3c108BFloat16ELi256ELi8E12block_iq4_xsLi1EXadL_ZL19vec_dot_iq4_xs_q8_1PKvPK10block_q8_1RKiEEEvS4_S4_PT_iii: ; @_ZL13mul_mat_vec_qIN3c108BFloat16ELi256ELi8E12block_iq4_xsLi1EXadL_ZL19vec_dot_iq4_xs_q8_1PKvPK10block_q8_1RKiEEEvS4_S4_PT_iii
; %bb.0:
	s_clause 0x1
	s_load_u16 s2, s[0:1], 0x36
	s_load_b96 s[4:6], s[0:1], 0x18
	s_bfe_u32 s7, ttmp6, 0x4000c
	s_bfe_u32 s8, ttmp6, 0x40010
	s_add_co_i32 s7, s7, 1
	s_add_co_i32 s8, s8, 1
	s_and_b32 s3, ttmp6, 15
	s_mul_i32 s7, ttmp9, s7
	s_mul_i32 s8, ttmp7, s8
	s_bfe_u32 s9, ttmp6, 0x40004
	s_add_co_i32 s3, s3, s7
	s_getreg_b32 s7, hwreg(HW_REG_IB_STS2, 6, 4)
	s_add_co_i32 s9, s9, s8
	v_bfe_u32 v1, v0, 10, 10
	s_cmp_eq_u32 s7, 0
	s_cselect_b32 s3, ttmp9, s3
	s_cselect_b32 s8, ttmp7, s9
	s_wait_kmcnt 0x0
	v_mad_u32 v14, s3, s2, v1
	s_cmp_lt_u32 s8, s6
	s_cselect_b32 s2, -1, 0
	s_delay_alu instid0(VALU_DEP_1) | instskip(SKIP_1) | instid1(SALU_CYCLE_1)
	v_cmp_gt_u32_e32 vcc_lo, s5, v14
	s_and_b32 s2, s2, vcc_lo
	s_and_saveexec_b32 s3, s2
	s_cbranch_execz .LBB115_7
; %bb.1:
	s_load_b64 s[6:7], s[0:1], 0x10
	s_ashr_i32 s2, s4, 31
	v_bfe_u32 v16, v0, 3, 7
	s_lshr_b32 s2, s2, 24
	v_and_b32_e32 v15, 0x3ff, v0
	v_mov_b32_e32 v18, 0
	s_add_co_i32 s2, s4, s2
	s_mov_b32 s9, exec_lo
	s_ashr_i32 s10, s2, 8
	s_delay_alu instid0(SALU_CYCLE_1)
	v_cmpx_gt_u32_e64 s10, v16
	s_cbranch_execz .LBB115_5
; %bb.2:
	s_wait_xcnt 0x0
	s_load_b128 s[0:3], s[0:1], 0x0
	s_addk_co_i32 s4, 0x1ff
	v_dual_mov_b32 v9, 0 :: v_dual_bitop2_b32 v1, 7, v15 bitop3:0x40
	s_ashr_i32 s11, s4, 31
	v_mul_lo_u32 v17, v14, s10
	s_lshr_b32 s11, s11, 23
	v_dual_lshlrev_b32 v2, 2, v15 :: v_dual_lshlrev_b32 v3, 3, v16
	s_add_co_i32 s4, s4, s11
	v_lshlrev_b32_e32 v0, 2, v1
	s_ashr_i32 s4, s4, 9
	v_bfe_u32 v8, v15, 1, 2
	s_mul_i32 s4, s8, s4
	v_dual_lshlrev_b32 v20, 1, v1 :: v_dual_bitop2_b32 v19, 4, v2 bitop3:0x40
	v_lshlrev_b32_e32 v12, 2, v0
	v_lshl_add_u32 v21, s4, 4, v3
	v_dual_mov_b32 v13, v9 :: v_dual_mov_b32 v18, v9
	s_wait_kmcnt 0x0
	v_mad_nc_u64_u32 v[10:11], v1, 36, s[2:3]
	s_mov_b32 s4, 0
	s_get_pc_i64 s[2:3]
	s_add_nc_u64 s[2:3], s[2:3], _ZL13kvalues_iq4nl@rel64+4
.LBB115_3:                              ; =>This Inner Loop Header: Depth=1
	v_add_nc_u32_e32 v0, v17, v16
	s_delay_alu instid0(VALU_DEP_2) | instskip(SKIP_1) | instid1(VALU_DEP_3)
	v_mad_nc_i64_i32 v[28:29], v21, 36, v[10:11]
	v_dual_add_nc_u32 v16, 4, v16 :: v_dual_add_nc_u32 v21, 32, v21
	v_mad_nc_i64_i32 v[26:27], 0x88, v0, s[0:1]
	s_delay_alu instid0(VALU_DEP_2) | instskip(SKIP_1) | instid1(VALU_DEP_2)
	v_cmp_le_u32_e32 vcc_lo, s10, v16
	s_or_b32 s4, vcc_lo, s4
	v_add_nc_u64_e32 v[0:1], v[26:27], v[12:13]
	v_add_nc_u64_e32 v[2:3], v[26:27], v[8:9]
	s_clause 0x1
	global_load_b128 v[22:25], v[0:1], off offset:8
	global_load_u8 v30, v[2:3], off offset:4
	s_clause 0x2
	global_load_b32 v31, v[28:29], off
	global_load_b128 v[0:3], v[28:29], off offset:4
	global_load_b128 v[4:7], v[28:29], off offset:20
	global_load_b32 v32, v[26:27], off
	s_wait_loadcnt 0x5
	s_wait_xcnt 0x0
	v_and_b32_e32 v27, 15, v22
	v_bfe_u32 v28, v22, 8, 4
	v_bfe_u32 v29, v22, 16, 4
	;; [unrolled: 1-line block ×5, first 2 shown]
	v_dual_lshrrev_b32 v34, 28, v22 :: v_dual_bitop2_b32 v37, 15, v23 bitop3:0x40
	v_bfe_u32 v22, v22, 12, 4
	v_bfe_u32 v36, v23, 24, 4
	;; [unrolled: 1-line block ×5, first 2 shown]
	v_dual_lshrrev_b32 v41, 28, v23 :: v_dual_bitop2_b32 v44, 15, v24 bitop3:0x40
	v_bfe_u32 v42, v23, 4, 4
	v_bfe_u32 v23, v23, 12, 4
	v_bfe_u32 v43, v24, 24, 4
	v_bfe_u32 v45, v24, 8, 4
	v_bfe_u32 v46, v24, 16, 4
	v_bfe_u32 v47, v24, 20, 4
	v_dual_lshrrev_b32 v48, 28, v24 :: v_dual_bitop2_b32 v51, 15, v25 bitop3:0x40
	v_bfe_u32 v49, v24, 4, 4
	v_bfe_u32 v24, v24, 12, 4
	;; [unrolled: 1-line block ×6, first 2 shown]
	v_lshrrev_b32_e32 v55, 28, v25
	v_bfe_u32 v56, v25, 4, 4
	v_bfe_u32 v25, v25, 12, 4
	s_clause 0x1f
	global_load_i8 v57, v27, s[2:3]
	global_load_i8 v58, v28, s[2:3]
	global_load_i8 v59, v29, s[2:3]
	global_load_i8 v60, v35, s[2:3]
	global_load_i8 v61, v22, s[2:3]
	global_load_i8 v62, v33, s[2:3]
	global_load_i8 v63, v34, s[2:3]
	; meta instruction
	; meta instruction
	; meta instruction
	; meta instruction
	; meta instruction
	; meta instruction
	; meta instruction
	global_load_i8 v22, v26, s[2:3]
	global_load_i8 v27, v37, s[2:3]
	global_load_i8 v28, v38, s[2:3]
	global_load_i8 v29, v39, s[2:3]
	global_load_i8 v33, v42, s[2:3]
	global_load_i8 v34, v23, s[2:3]
	global_load_i8 v35, v40, s[2:3]
	; meta instruction
	; meta instruction
	; meta instruction
	; meta instruction
	; meta instruction
	; meta instruction
	; meta instruction
	;; [unrolled: 14-line block ×4, first 2 shown]
	global_load_i8 v25, v54, s[2:3]
	global_load_i8 v43, v55, s[2:3]
	;; [unrolled: 1-line block ×4, first 2 shown]
	s_wait_loadcnt 0x20
	s_wait_xcnt 0x1
	v_lshrrev_b32_e32 v50, 16, v32
	v_bfe_u32 v30, v30, v19, 4
	v_perm_b32 v0, v0, v0, 0x3020001
	v_perm_b32 v4, v4, v4, 0x3020001
	s_wait_loadcnt 0x1b
	v_perm_b32 v51, v60, v61, 0xc0c0400
	s_wait_loadcnt 0x19
	;; [unrolled: 2-line block ×7, first 2 shown]
	v_perm_b32 v26, v26, v29, 0x4000c0c
	v_lshrrev_b32_e32 v50, v20, v50
	s_wait_loadcnt 0xe
	v_perm_b32 v29, v38, v37, 0xc0c0400
	v_or_b32_e32 v37, v52, v51
	v_or_b32_e32 v23, v23, v28
	v_dual_lshlrev_b32 v50, 4, v50 :: v_dual_bitop2_b32 v26, v26, v27 bitop3:0x54
	s_wait_loadcnt 0xb
	v_perm_b32 v34, v42, v40, 0xc0c0400
	v_dot4_i32_iu8 v4, v4, v37, 0 neg_lo:[1,1,0]
	s_delay_alu instid0(VALU_DEP_3)
	v_and_or_b32 v30, v50, 48, v30
	v_perm_b32 v50, v57, v58, 0xc0c0400
	s_wait_loadcnt 0x9
	v_perm_b32 v24, v36, v24, 0x4000c0c
	s_wait_loadcnt 0x8
	v_perm_b32 v33, v41, v39, 0x4000c0c
	v_or_b32_e32 v22, v22, v50
	s_wait_loadcnt 0x6
	v_perm_b32 v35, v45, v44, 0xc0c0400
	v_or_b32_e32 v24, v24, v34
	s_delay_alu instid0(VALU_DEP_3) | instskip(NEXT) | instid1(VALU_DEP_1)
	v_dot4_i32_iu8 v0, v0, v22, 0 neg_lo:[1,1,0]
	v_dot4_i32_iu8 v0, v1, v26, v0 neg_lo:[1,1,0]
	v_dot4_i32_iu8 v1, v5, v23, v4 neg_lo:[1,1,0]
	v_subrev_nc_u32_e32 v4, 32, v30
	s_wait_loadcnt 0x1
	v_perm_b32 v36, v47, v46, 0x4000c0c
	s_wait_loadcnt 0x0
	v_perm_b32 v38, v49, v48, 0xc0c0400
	v_perm_b32 v22, v43, v25, 0x4000c0c
	v_dot4_i32_iu8 v1, v6, v24, v1 neg_lo:[1,1,0]
	v_cvt_f32_i32_e32 v4, v4
	v_or_b32_e32 v25, v33, v29
	v_or_b32_e32 v5, v36, v35
	;; [unrolled: 1-line block ×3, first 2 shown]
	s_delay_alu instid0(VALU_DEP_3) | instskip(SKIP_1) | instid1(VALU_DEP_3)
	v_dot4_i32_iu8 v0, v2, v25, v0 neg_lo:[1,1,0]
	v_cvt_f32_f16_e32 v2, v32
	v_dot4_i32_iu8 v1, v7, v22, v1 neg_lo:[1,1,0]
	s_delay_alu instid0(VALU_DEP_3) | instskip(SKIP_1) | instid1(VALU_DEP_4)
	v_dot4_i32_iu8 v0, v3, v5, v0 neg_lo:[1,1,0]
	v_cvt_f32_f16_e32 v3, v31
	v_mul_f32_e32 v2, v2, v4
	s_delay_alu instid0(VALU_DEP_1) | instskip(NEXT) | instid1(VALU_DEP_1)
	v_dual_mul_f32 v1, v2, v3 :: v_dual_add_nc_u32 v0, v1, v0
	v_cvt_f32_i32_e32 v0, v0
	s_delay_alu instid0(VALU_DEP_1)
	v_fmac_f32_e32 v18, v1, v0
	s_and_not1_b32 exec_lo, exec_lo, s4
	s_cbranch_execnz .LBB115_3
; %bb.4:
	s_or_b32 exec_lo, exec_lo, s4
.LBB115_5:
	s_delay_alu instid0(SALU_CYCLE_1) | instskip(SKIP_1) | instid1(VALU_DEP_1)
	s_or_b32 exec_lo, exec_lo, s9
	v_mbcnt_lo_u32_b32 v0, -1, 0
	v_xor_b32_e32 v2, 8, v0
	v_xor_b32_e32 v1, 16, v0
	;; [unrolled: 1-line block ×3, first 2 shown]
	s_delay_alu instid0(VALU_DEP_2) | instskip(SKIP_4) | instid1(VALU_DEP_2)
	v_cmp_gt_i32_e32 vcc_lo, 32, v1
	v_cndmask_b32_e32 v1, v0, v1, vcc_lo
	v_cmp_gt_i32_e32 vcc_lo, 32, v2
	v_cndmask_b32_e32 v2, v0, v2, vcc_lo
	v_cmp_gt_i32_e32 vcc_lo, 32, v3
	v_dual_lshlrev_b32 v2, 2, v2 :: v_dual_lshlrev_b32 v1, 2, v1
	ds_bpermute_b32 v1, v1, v18
	s_wait_dscnt 0x0
	v_add_f32_e32 v1, v18, v1
	ds_bpermute_b32 v2, v2, v1
	s_wait_dscnt 0x0
	v_dual_cndmask_b32 v3, v0, v3, vcc_lo :: v_dual_add_f32 v1, v1, v2
	s_delay_alu instid0(VALU_DEP_1) | instskip(SKIP_3) | instid1(VALU_DEP_1)
	v_lshlrev_b32_e32 v3, 2, v3
	ds_bpermute_b32 v2, v3, v1
	s_wait_dscnt 0x0
	v_dual_add_f32 v1, v1, v2 :: v_dual_bitop2_b32 v3, 2, v0 bitop3:0x14
	v_cmp_gt_i32_e32 vcc_lo, 32, v3
	v_cndmask_b32_e32 v3, v0, v3, vcc_lo
	s_delay_alu instid0(VALU_DEP_1) | instskip(SKIP_2) | instid1(VALU_DEP_1)
	v_lshlrev_b32_e32 v3, 2, v3
	ds_bpermute_b32 v2, v3, v1
	v_xor_b32_e32 v3, 1, v0
	v_cmp_gt_i32_e32 vcc_lo, 32, v3
	v_cndmask_b32_e32 v3, v0, v3, vcc_lo
	v_cmp_eq_u32_e32 vcc_lo, 0, v15
	s_wait_dscnt 0x0
	s_delay_alu instid0(VALU_DEP_2)
	v_dual_add_f32 v0, v1, v2 :: v_dual_lshlrev_b32 v1, 2, v3
	ds_bpermute_b32 v1, v1, v0
	s_and_b32 exec_lo, exec_lo, vcc_lo
	s_cbranch_execz .LBB115_7
; %bb.6:
	s_wait_dscnt 0x0
	v_add_f32_e32 v0, v0, v1
	v_mad_u32 v2, s5, s8, v14
	s_delay_alu instid0(VALU_DEP_2) | instskip(NEXT) | instid1(VALU_DEP_1)
	v_bfe_u32 v1, v0, 16, 1
	v_add3_u32 v1, v0, v1, 0x7fff
	s_delay_alu instid0(VALU_DEP_1) | instskip(SKIP_1) | instid1(VALU_DEP_2)
	v_lshrrev_b32_e32 v1, 16, v1
	v_cmp_o_f32_e32 vcc_lo, v0, v0
	v_cndmask_b32_e32 v0, 0x7fc0, v1, vcc_lo
	s_wait_kmcnt 0x0
	global_store_b16 v2, v0, s[6:7] scale_offset
.LBB115_7:
	s_endpgm
	.section	.rodata,"a",@progbits
	.p2align	6, 0x0
	.amdhsa_kernel _ZL13mul_mat_vec_qIN3c108BFloat16ELi256ELi8E12block_iq4_xsLi1EXadL_ZL19vec_dot_iq4_xs_q8_1PKvPK10block_q8_1RKiEEEvS4_S4_PT_iii
		.amdhsa_group_segment_fixed_size 0
		.amdhsa_private_segment_fixed_size 0
		.amdhsa_kernarg_size 296
		.amdhsa_user_sgpr_count 2
		.amdhsa_user_sgpr_dispatch_ptr 0
		.amdhsa_user_sgpr_queue_ptr 0
		.amdhsa_user_sgpr_kernarg_segment_ptr 1
		.amdhsa_user_sgpr_dispatch_id 0
		.amdhsa_user_sgpr_kernarg_preload_length 0
		.amdhsa_user_sgpr_kernarg_preload_offset 0
		.amdhsa_user_sgpr_private_segment_size 0
		.amdhsa_wavefront_size32 1
		.amdhsa_uses_dynamic_stack 0
		.amdhsa_enable_private_segment 0
		.amdhsa_system_sgpr_workgroup_id_x 1
		.amdhsa_system_sgpr_workgroup_id_y 1
		.amdhsa_system_sgpr_workgroup_id_z 0
		.amdhsa_system_sgpr_workgroup_info 0
		.amdhsa_system_vgpr_workitem_id 1
		.amdhsa_next_free_vgpr 64
		.amdhsa_next_free_sgpr 12
		.amdhsa_named_barrier_count 0
		.amdhsa_reserve_vcc 1
		.amdhsa_float_round_mode_32 0
		.amdhsa_float_round_mode_16_64 0
		.amdhsa_float_denorm_mode_32 3
		.amdhsa_float_denorm_mode_16_64 3
		.amdhsa_fp16_overflow 0
		.amdhsa_memory_ordered 1
		.amdhsa_forward_progress 1
		.amdhsa_inst_pref_size 15
		.amdhsa_round_robin_scheduling 0
		.amdhsa_exception_fp_ieee_invalid_op 0
		.amdhsa_exception_fp_denorm_src 0
		.amdhsa_exception_fp_ieee_div_zero 0
		.amdhsa_exception_fp_ieee_overflow 0
		.amdhsa_exception_fp_ieee_underflow 0
		.amdhsa_exception_fp_ieee_inexact 0
		.amdhsa_exception_int_div_zero 0
	.end_amdhsa_kernel
	.section	.text._ZL13mul_mat_vec_qIN3c108BFloat16ELi256ELi8E12block_iq4_xsLi1EXadL_ZL19vec_dot_iq4_xs_q8_1PKvPK10block_q8_1RKiEEEvS4_S4_PT_iii,"axG",@progbits,_ZL13mul_mat_vec_qIN3c108BFloat16ELi256ELi8E12block_iq4_xsLi1EXadL_ZL19vec_dot_iq4_xs_q8_1PKvPK10block_q8_1RKiEEEvS4_S4_PT_iii,comdat
.Lfunc_end115:
	.size	_ZL13mul_mat_vec_qIN3c108BFloat16ELi256ELi8E12block_iq4_xsLi1EXadL_ZL19vec_dot_iq4_xs_q8_1PKvPK10block_q8_1RKiEEEvS4_S4_PT_iii, .Lfunc_end115-_ZL13mul_mat_vec_qIN3c108BFloat16ELi256ELi8E12block_iq4_xsLi1EXadL_ZL19vec_dot_iq4_xs_q8_1PKvPK10block_q8_1RKiEEEvS4_S4_PT_iii
                                        ; -- End function
	.set _ZL13mul_mat_vec_qIN3c108BFloat16ELi256ELi8E12block_iq4_xsLi1EXadL_ZL19vec_dot_iq4_xs_q8_1PKvPK10block_q8_1RKiEEEvS4_S4_PT_iii.num_vgpr, 64
	.set _ZL13mul_mat_vec_qIN3c108BFloat16ELi256ELi8E12block_iq4_xsLi1EXadL_ZL19vec_dot_iq4_xs_q8_1PKvPK10block_q8_1RKiEEEvS4_S4_PT_iii.num_agpr, 0
	.set _ZL13mul_mat_vec_qIN3c108BFloat16ELi256ELi8E12block_iq4_xsLi1EXadL_ZL19vec_dot_iq4_xs_q8_1PKvPK10block_q8_1RKiEEEvS4_S4_PT_iii.numbered_sgpr, 12
	.set _ZL13mul_mat_vec_qIN3c108BFloat16ELi256ELi8E12block_iq4_xsLi1EXadL_ZL19vec_dot_iq4_xs_q8_1PKvPK10block_q8_1RKiEEEvS4_S4_PT_iii.num_named_barrier, 0
	.set _ZL13mul_mat_vec_qIN3c108BFloat16ELi256ELi8E12block_iq4_xsLi1EXadL_ZL19vec_dot_iq4_xs_q8_1PKvPK10block_q8_1RKiEEEvS4_S4_PT_iii.private_seg_size, 0
	.set _ZL13mul_mat_vec_qIN3c108BFloat16ELi256ELi8E12block_iq4_xsLi1EXadL_ZL19vec_dot_iq4_xs_q8_1PKvPK10block_q8_1RKiEEEvS4_S4_PT_iii.uses_vcc, 1
	.set _ZL13mul_mat_vec_qIN3c108BFloat16ELi256ELi8E12block_iq4_xsLi1EXadL_ZL19vec_dot_iq4_xs_q8_1PKvPK10block_q8_1RKiEEEvS4_S4_PT_iii.uses_flat_scratch, 0
	.set _ZL13mul_mat_vec_qIN3c108BFloat16ELi256ELi8E12block_iq4_xsLi1EXadL_ZL19vec_dot_iq4_xs_q8_1PKvPK10block_q8_1RKiEEEvS4_S4_PT_iii.has_dyn_sized_stack, 0
	.set _ZL13mul_mat_vec_qIN3c108BFloat16ELi256ELi8E12block_iq4_xsLi1EXadL_ZL19vec_dot_iq4_xs_q8_1PKvPK10block_q8_1RKiEEEvS4_S4_PT_iii.has_recursion, 0
	.set _ZL13mul_mat_vec_qIN3c108BFloat16ELi256ELi8E12block_iq4_xsLi1EXadL_ZL19vec_dot_iq4_xs_q8_1PKvPK10block_q8_1RKiEEEvS4_S4_PT_iii.has_indirect_call, 0
	.section	.AMDGPU.csdata,"",@progbits
; Kernel info:
; codeLenInByte = 1884
; TotalNumSgprs: 14
; NumVgprs: 64
; ScratchSize: 0
; MemoryBound: 0
; FloatMode: 240
; IeeeMode: 1
; LDSByteSize: 0 bytes/workgroup (compile time only)
; SGPRBlocks: 0
; VGPRBlocks: 3
; NumSGPRsForWavesPerEU: 14
; NumVGPRsForWavesPerEU: 64
; NamedBarCnt: 0
; Occupancy: 16
; WaveLimiterHint : 0
; COMPUTE_PGM_RSRC2:SCRATCH_EN: 0
; COMPUTE_PGM_RSRC2:USER_SGPR: 2
; COMPUTE_PGM_RSRC2:TRAP_HANDLER: 0
; COMPUTE_PGM_RSRC2:TGID_X_EN: 1
; COMPUTE_PGM_RSRC2:TGID_Y_EN: 1
; COMPUTE_PGM_RSRC2:TGID_Z_EN: 0
; COMPUTE_PGM_RSRC2:TIDIG_COMP_CNT: 1
	.section	.text._ZL13mul_mat_vec_qIN3c108BFloat16ELi256ELi8E11block_iq1_mLi1EXadL_ZL18vec_dot_iq1_m_q8_1PKvPK10block_q8_1RKiEEEvS4_S4_PT_iii,"axG",@progbits,_ZL13mul_mat_vec_qIN3c108BFloat16ELi256ELi8E11block_iq1_mLi1EXadL_ZL18vec_dot_iq1_m_q8_1PKvPK10block_q8_1RKiEEEvS4_S4_PT_iii,comdat
	.globl	_ZL13mul_mat_vec_qIN3c108BFloat16ELi256ELi8E11block_iq1_mLi1EXadL_ZL18vec_dot_iq1_m_q8_1PKvPK10block_q8_1RKiEEEvS4_S4_PT_iii ; -- Begin function _ZL13mul_mat_vec_qIN3c108BFloat16ELi256ELi8E11block_iq1_mLi1EXadL_ZL18vec_dot_iq1_m_q8_1PKvPK10block_q8_1RKiEEEvS4_S4_PT_iii
	.p2align	8
	.type	_ZL13mul_mat_vec_qIN3c108BFloat16ELi256ELi8E11block_iq1_mLi1EXadL_ZL18vec_dot_iq1_m_q8_1PKvPK10block_q8_1RKiEEEvS4_S4_PT_iii,@function
_ZL13mul_mat_vec_qIN3c108BFloat16ELi256ELi8E11block_iq1_mLi1EXadL_ZL18vec_dot_iq1_m_q8_1PKvPK10block_q8_1RKiEEEvS4_S4_PT_iii: ; @_ZL13mul_mat_vec_qIN3c108BFloat16ELi256ELi8E11block_iq1_mLi1EXadL_ZL18vec_dot_iq1_m_q8_1PKvPK10block_q8_1RKiEEEvS4_S4_PT_iii
; %bb.0:
	s_clause 0x1
	s_load_u16 s2, s[0:1], 0x36
	s_load_b96 s[4:6], s[0:1], 0x18
	s_bfe_u32 s7, ttmp6, 0x4000c
	s_bfe_u32 s8, ttmp6, 0x40010
	s_add_co_i32 s7, s7, 1
	s_add_co_i32 s8, s8, 1
	s_and_b32 s3, ttmp6, 15
	s_mul_i32 s7, ttmp9, s7
	s_mul_i32 s8, ttmp7, s8
	s_bfe_u32 s9, ttmp6, 0x40004
	s_add_co_i32 s3, s3, s7
	s_getreg_b32 s7, hwreg(HW_REG_IB_STS2, 6, 4)
	s_add_co_i32 s9, s9, s8
	v_bfe_u32 v1, v0, 10, 10
	s_cmp_eq_u32 s7, 0
	s_cselect_b32 s3, ttmp9, s3
	s_cselect_b32 s9, ttmp7, s9
	s_wait_kmcnt 0x0
	v_mad_u32 v20, s3, s2, v1
	s_cmp_lt_u32 s9, s6
	s_cselect_b32 s2, -1, 0
	s_delay_alu instid0(VALU_DEP_1) | instskip(SKIP_1) | instid1(SALU_CYCLE_1)
	v_cmp_gt_u32_e32 vcc_lo, s5, v20
	s_and_b32 s2, s2, vcc_lo
	s_and_saveexec_b32 s3, s2
	s_cbranch_execz .LBB116_7
; %bb.1:
	s_load_b64 s[6:7], s[0:1], 0x10
	s_ashr_i32 s2, s4, 31
	v_bfe_u32 v22, v0, 3, 7
	s_lshr_b32 s2, s2, 24
	v_and_b32_e32 v21, 0x3ff, v0
	v_mov_b32_e32 v24, 0
	s_add_co_i32 s2, s4, s2
	s_mov_b32 s10, exec_lo
	s_ashr_i32 s11, s2, 8
	s_delay_alu instid0(SALU_CYCLE_1)
	v_cmpx_gt_u32_e64 s11, v22
	s_cbranch_execz .LBB116_5
; %bb.2:
	s_wait_xcnt 0x0
	s_load_b128 s[0:3], s[0:1], 0x0
	s_addk_co_i32 s4, 0x1ff
	v_dual_mov_b32 v9, 0 :: v_dual_bitop2_b32 v0, 7, v21 bitop3:0x40
	s_ashr_i32 s8, s4, 31
	v_dual_lshlrev_b32 v3, 3, v22 :: v_dual_bitop2_b32 v1, 1, v21 bitop3:0x40
	s_lshr_b32 s8, s8, 23
	v_mul_lo_u32 v23, v20, s11
	s_add_co_i32 s4, s4, s8
	v_bfe_u32 v2, v21, 1, 2
	v_cmp_eq_u32_e32 vcc_lo, 1, v1
	s_ashr_i32 s4, s4, 9
	v_dual_lshlrev_b32 v8, 1, v0 :: v_dual_lshlrev_b32 v12, 2, v0
	s_mul_i32 s4, s9, s4
	v_cndmask_b32_e64 v25, 0, 6, vcc_lo
	v_lshl_add_u32 v26, s4, 4, v3
	v_dual_mov_b32 v13, v9 :: v_dual_lshlrev_b32 v14, 1, v2
	s_wait_kmcnt 0x0
	v_mad_nc_u64_u32 v[10:11], v0, 36, s[2:3]
	v_dual_mov_b32 v15, v9 :: v_dual_mov_b32 v24, v9
	s_mov_b32 s12, 0
	s_mov_b32 s4, 0x3d000000
	;; [unrolled: 1-line block ×3, first 2 shown]
	s_get_pc_i64 s[2:3]
	s_add_nc_u64 s[2:3], s[2:3], _ZL13iq1s_grid_gpu@rel64+4
.LBB116_3:                              ; =>This Inner Loop Header: Depth=1
	v_add_nc_u32_e32 v0, v23, v22
	s_delay_alu instid0(VALU_DEP_3) | instskip(SKIP_2) | instid1(VALU_DEP_4)
	v_mad_nc_i64_i32 v[16:17], v26, 36, v[10:11]
	v_add_nc_u32_e32 v22, 4, v22
	v_add_nc_u32_e32 v26, 32, v26
	v_mad_nc_i64_i32 v[18:19], v0, 56, s[0:1]
	s_delay_alu instid0(VALU_DEP_3) | instskip(SKIP_1) | instid1(VALU_DEP_2)
	v_cmp_le_u32_e32 vcc_lo, s11, v22
	s_or_b32 s12, vcc_lo, s12
	v_add_nc_u64_e32 v[0:1], v[18:19], v[8:9]
	v_add_nc_u64_e32 v[2:3], v[18:19], v[12:13]
	s_clause 0x1
	global_load_u16 v27, v[0:1], off offset:32
	global_load_b32 v32, v[2:3], off
	v_add_nc_u64_e32 v[28:29], v[18:19], v[14:15]
	s_clause 0x1
	global_load_b128 v[0:3], v[16:17], off offset:4
	global_load_b128 v[4:7], v[16:17], off offset:20
	s_clause 0x1
	global_load_b64 v[30:31], v[18:19], off offset:48
	global_load_u16 v33, v[28:29], off offset:48
	s_wait_loadcnt 0x5
	s_wait_xcnt 0x1
	v_lshrrev_b16 v19, 8, v27
	s_wait_loadcnt 0x4
	s_wait_xcnt 0x0
	v_and_b32_e32 v28, 0xff, v32
	v_dual_lshlrev_b32 v29, 8, v27 :: v_dual_lshlrev_b32 v35, 4, v27
	v_bfe_u32 v34, v32, 8, 8
	v_and_b32_e32 v19, 0xffff, v19
	v_lshrrev_b32_e32 v18, 24, v32
	v_bfe_u32 v32, v32, 16, 8
	v_and_or_b32 v28, 0x700, v29, v28
	v_and_or_b32 v29, 0x700, v35, v34
	v_dual_lshlrev_b32 v34, 8, v19 :: v_dual_lshlrev_b32 v35, 4, v19
	s_wait_loadcnt 0x3
	v_bfe_i32 v39, v0, 0, 8
	s_delay_alu instid0(VALU_DEP_3) | instskip(NEXT) | instid1(VALU_DEP_3)
	v_dual_lshlrev_b32 v28, 3, v28 :: v_dual_lshlrev_b32 v29, 3, v29
	v_and_or_b32 v32, 0x700, v34, v32
	v_and_or_b32 v18, 0x700, v35, v18
	s_clause 0x1
	global_load_b32 v34, v28, s[2:3]
	global_load_b32 v35, v29, s[2:3]
	v_dual_ashrrev_i32 v42, 24, v2 :: v_dual_ashrrev_i32 v45, 24, v3
	s_wait_xcnt 0x1
	v_dual_lshlrev_b32 v28, 3, v32 :: v_dual_lshlrev_b32 v18, 3, v18
	s_clause 0x1
	global_load_b32 v29, v28, s[2:3]
	global_load_b32 v32, v18, s[2:3]
	global_load_b32 v36, v[16:17], off
	s_wait_xcnt 0x0
	v_lshrrev_b16 v16, 8, v0
	v_lshrrev_b16 v28, 8, v3
	v_lshrrev_b16 v18, 8, v2
	v_bfe_i32 v43, v2, 0, 8
	v_bfe_i32 v44, v2, 16, 8
	;; [unrolled: 1-line block ×4, first 2 shown]
	s_wait_loadcnt 0x7
	v_lshrrev_b16 v2, 8, v4
	v_lshrrev_b16 v3, 8, v5
	v_bfe_i32 v16, v16, 0, 8
	v_bfe_i32 v28, v28, 0, 8
	v_lshrrev_b16 v17, 8, v1
	v_dual_ashrrev_i32 v37, 24, v0 :: v_dual_ashrrev_i32 v40, 24, v1
	v_bfe_i32 v38, v0, 16, 8
	v_dual_ashrrev_i32 v50, 24, v4 :: v_dual_ashrrev_i32 v53, 24, v5
	v_bfe_i32 v51, v4, 16, 8
	v_bfe_i32 v52, v4, 0, 8
	;; [unrolled: 1-line block ×5, first 2 shown]
	v_bfe_u32 v4, v27, 4, 4
	v_and_b32_e32 v5, 0xff, v27
	v_add_nc_u32_e32 v3, v16, v39
	v_bfe_i32 v41, v1, 16, 8
	v_bfe_i32 v1, v1, 0, 8
	;; [unrolled: 1-line block ×4, first 2 shown]
	v_and_b32_e32 v4, 8, v4
	v_and_b32_e32 v5, 8, v5
	v_add3_u32 v3, v3, v38, v37
	v_lshrrev_b16 v48, 8, v6
	v_lshrrev_b16 v49, 8, v7
	v_dual_ashrrev_i32 v56, 24, v6 :: v_dual_ashrrev_i32 v59, 24, v7
	v_bfe_i32 v57, v6, 0, 8
	v_bfe_i32 v58, v6, 16, 8
	;; [unrolled: 1-line block ×4, first 2 shown]
	v_add3_u32 v7, v3, v17, v1
	v_cvt_f32_ubyte0_e32 v3, v4
	v_bfe_i32 v49, v49, 0, 8
	v_bfe_i32 v48, v48, 0, 8
	s_wait_loadcnt 0x5
	v_lshrrev_b32_e32 v27, v25, v33
	s_wait_loadcnt 0x0
	v_cvt_f32_f16_e32 v0, v36
	v_bfe_i32 v36, v2, 0, 8
	v_add_nc_u32_e32 v2, v28, v43
	s_delay_alu instid0(VALU_DEP_1) | instskip(NEXT) | instid1(VALU_DEP_1)
	v_add3_u32 v2, v2, v47, v46
	v_add3_u32 v6, v2, v45, v18
	v_cvt_f32_ubyte0_e32 v2, v5
	s_delay_alu instid0(VALU_DEP_2) | instskip(SKIP_1) | instid1(VALU_DEP_3)
	v_add3_u32 v4, v6, v44, v42
	v_add3_u32 v6, v7, v41, v40
	v_pk_fma_f32 v[2:3], v[2:3], s[4:5], s[8:9] op_sel_hi:[1,0,0] neg_lo:[1,0,0] neg_hi:[1,0,0]
	v_pk_lshrrev_b16 v7, 4, v31
	v_lshrrev_b32_e32 v31, 28, v34
	v_cvt_f32_i32_e32 v5, v4
	v_cvt_f32_i32_e32 v4, v6
	v_add_nc_u32_e32 v6, v62, v52
	s_delay_alu instid0(VALU_DEP_4) | instskip(SKIP_1) | instid1(VALU_DEP_4)
	v_mul_i32_i24_e32 v31, v31, v40
	v_and_b32_e32 v40, 0xf0000f00, v7
	v_pk_mul_f32 v[2:3], v[2:3], v[4:5]
	v_add_nc_u32_e32 v4, v49, v57
	v_add3_u32 v6, v6, v55, v54
	v_pk_lshrrev_b16 v5, 0x8000c, v30
	v_bfe_u32 v30, v34, 24, 4
	v_lshrrev_b32_e32 v33, 28, v35
	v_add3_u32 v4, v4, v61, v60
	v_add3_u32 v6, v6, v53, v36
	v_dual_lshrrev_b32 v7, 4, v19 :: v_dual_bitop2_b32 v19, 8, v19 bitop3:0x40
	v_mul_i32_i24_e32 v30, v30, v37
	s_delay_alu instid0(VALU_DEP_4)
	v_add3_u32 v4, v4, v59, v48
	v_lshrrev_b32_e32 v37, 16, v5
	v_mul_i32_i24_e32 v33, v33, v45
	v_add3_u32 v6, v6, v51, v50
	v_and_b32_e32 v7, 8, v7
	v_add3_u32 v4, v4, v58, v56
	v_add_f32_e32 v2, 0, v2
	v_add3_u32 v30, v30, v31, v33
	v_bitop3_b16 v33, v37, v5, 0xf0 bitop3:0xec
	v_bfe_u32 v37, v34, 20, 4
	v_cvt_f32_i32_e32 v5, v4
	v_cvt_f32_i32_e32 v4, v6
	v_cvt_f32_ubyte0_e32 v6, v19
	v_bfe_u32 v19, v34, 16, 4
	v_mul_i32_i24_e32 v37, v37, v41
	v_lshrrev_b32_e32 v41, 16, v40
	v_cvt_f32_ubyte0_e32 v7, v7
	v_bfe_u32 v45, v29, 20, 4
	v_mul_i32_i24_e32 v19, v19, v38
	v_bfe_u32 v38, v35, 20, 4
	v_dual_lshlrev_b32 v31, 1, v27 :: v_dual_lshrrev_b32 v27, 2, v27
	v_pk_fma_f32 v[6:7], v[6:7], s[4:5], s[8:9] op_sel_hi:[1,0,0] neg_lo:[1,0,0] neg_hi:[1,0,0]
	v_mul_i32_i24_e32 v45, v45, v54
	s_delay_alu instid0(VALU_DEP_4)
	v_mul_i32_i24_e32 v38, v38, v46
	v_bfe_u32 v46, v32, 24, 4
	v_and_or_b32 v31, v31, 14, 1
	v_pk_mul_f32 v[4:5], v[6:7], v[4:5]
	v_and_or_b32 v27, v27, 14, 1
	v_add3_u32 v19, v19, v37, v38
	v_and_b32_e32 v37, 15, v34
	v_bfe_u32 v38, v34, 4, 4
	v_add_f32_e32 v4, 0, v4
	s_delay_alu instid0(VALU_DEP_3) | instskip(NEXT) | instid1(VALU_DEP_3)
	v_mul_i32_i24_e32 v37, v37, v39
	v_mul_i32_i24_e32 v1, v38, v1
	v_bfe_u32 v38, v35, 4, 4
	v_bfe_u32 v39, v35, 16, 4
	v_add_f32_e32 v4, v4, v5
	s_delay_alu instid0(VALU_DEP_3) | instskip(NEXT) | instid1(VALU_DEP_3)
	v_mul_i32_i24_e32 v38, v38, v47
	v_mad_i32_i24 v19, v44, v39, v19
	v_and_b32_e32 v44, 0xf0f0f0f, v35
	v_lshrrev_b32_e32 v39, 4, v35
	v_and_b32_e32 v47, 0xf0f0f0f, v32
	v_add3_u32 v1, v37, v1, v38
	v_and_b32_e32 v37, 0xf0f0f0f, v34
	v_lshrrev_b32_e32 v34, 4, v34
	v_lshrrev_b16 v44, 8, v44
	v_bfe_u32 v38, v35, 24, 4
	v_lshrrev_b16 v39, 8, v39
	v_and_b32_e32 v35, 15, v35
	v_lshrrev_b16 v34, 8, v34
	v_and_b32_e32 v44, 0xffff, v44
	v_mad_i32_i24 v30, v42, v38, v30
	v_and_b32_e32 v42, 15, v29
	v_lshrrev_b16 v37, 8, v37
	v_and_b32_e32 v34, 15, v34
	v_mul_i32_i24_e32 v18, v18, v44
	v_dual_lshrrev_b32 v44, 28, v29 :: v_dual_bitop2_b32 v39, 15, v39 bitop3:0x40
	v_lshrrev_b32_e32 v38, 4, v29
	v_and_b32_e32 v37, 0xffff, v37
	v_mad_i32_i24 v1, v43, v35, v1
	s_delay_alu instid0(VALU_DEP_4)
	v_mul_i32_i24_e32 v44, v44, v53
	v_lshrrev_b32_e32 v53, 28, v32
	v_mul_i32_i24_e32 v42, v52, v42
	v_lshrrev_b32_e32 v52, 4, v32
	v_and_b32_e32 v43, 0xf0f0f0f, v29
	v_and_b32_e32 v34, 0xffff, v34
	v_lshrrev_b16 v38, 8, v38
	v_bfe_u32 v35, v29, 24, 4
	v_lshrrev_b16 v52, 8, v52
	v_mul_i32_i24_e32 v16, v37, v16
	v_bfe_u32 v37, v29, 16, 4
	v_and_b32_e32 v39, 0xffff, v39
	v_lshrrev_b16 v43, 8, v43
	v_mul_i32_i24_e32 v17, v34, v17
	v_and_b32_e32 v34, 15, v38
	v_and_b32_e32 v38, 15, v52
	v_bfe_u32 v29, v29, 4, 4
	v_mul_i32_i24_e32 v37, v51, v37
	v_mul_i32_i24_e32 v35, v50, v35
	v_bfe_u32 v50, v32, 4, 4
	v_bfe_u32 v51, v32, 20, 4
	v_lshrrev_b16 v47, 8, v47
	v_mul_i32_i24_e32 v53, v53, v59
	v_mul_i32_i24_e32 v28, v39, v28
	v_and_b32_e32 v39, 0xffff, v43
	v_and_b32_e32 v34, 0xffff, v34
	;; [unrolled: 1-line block ×3, first 2 shown]
	v_mul_i32_i24_e32 v29, v29, v55
	v_mul_i32_i24_e32 v50, v50, v61
	;; [unrolled: 1-line block ×3, first 2 shown]
	v_and_b32_e32 v43, 0xffff, v47
	v_add3_u32 v35, v35, v44, v53
	v_add3_u32 v16, v16, v17, v28
	v_mul_i32_i24_e32 v17, v36, v39
	v_mul_i32_i24_e32 v28, v34, v62
	;; [unrolled: 1-line block ×3, first 2 shown]
	v_and_b32_e32 v54, 15, v32
	v_bfe_u32 v32, v32, 16, 4
	v_add3_u32 v29, v42, v29, v50
	v_add3_u32 v36, v37, v45, v51
	v_mul_i32_i24_e32 v37, v48, v43
	v_mad_i32_i24 v35, v56, v46, v35
	v_add3_u32 v16, v18, v16, v30
	v_add3_u32 v17, v17, v28, v34
	v_mad_i32_i24 v6, v58, v32, v36
	v_add_f32_e32 v18, v2, v3
	v_mad_i32_i24 v7, v57, v54, v29
	v_add3_u32 v1, v1, v19, v16
	v_add3_u32 v16, v37, v17, v35
	v_bitop3_b16 v17, v33, v41, v40 bitop3:0xfe
	v_cvt_f32_ubyte0_e32 v3, v31
	s_delay_alu instid0(VALU_DEP_4) | instskip(NEXT) | instid1(VALU_DEP_4)
	v_cvt_f32_i32_e32 v1, v1
	v_add3_u32 v6, v7, v6, v16
	s_delay_alu instid0(VALU_DEP_4) | instskip(NEXT) | instid1(VALU_DEP_3)
	v_cvt_f32_f16_e32 v2, v17
	v_add_f32_e32 v1, v18, v1
	s_delay_alu instid0(VALU_DEP_3) | instskip(SKIP_1) | instid1(VALU_DEP_3)
	v_cvt_f32_i32_e32 v5, v6
	v_cvt_f32_ubyte0_e32 v6, v27
	v_pk_mul_f32 v[0:1], v[0:1], v[2:3]
	s_delay_alu instid0(VALU_DEP_3) | instskip(NEXT) | instid1(VALU_DEP_1)
	v_add_f32_e32 v2, v4, v5
	v_fma_f32 v1, v2, v6, v1
	s_delay_alu instid0(VALU_DEP_1)
	v_fmac_f32_e32 v24, v0, v1
	s_and_not1_b32 exec_lo, exec_lo, s12
	s_cbranch_execnz .LBB116_3
; %bb.4:
	s_or_b32 exec_lo, exec_lo, s12
.LBB116_5:
	s_delay_alu instid0(SALU_CYCLE_1) | instskip(SKIP_1) | instid1(VALU_DEP_1)
	s_or_b32 exec_lo, exec_lo, s10
	v_mbcnt_lo_u32_b32 v0, -1, 0
	v_xor_b32_e32 v2, 8, v0
	v_xor_b32_e32 v1, 16, v0
	;; [unrolled: 1-line block ×3, first 2 shown]
	s_delay_alu instid0(VALU_DEP_2) | instskip(SKIP_4) | instid1(VALU_DEP_2)
	v_cmp_gt_i32_e32 vcc_lo, 32, v1
	v_cndmask_b32_e32 v1, v0, v1, vcc_lo
	v_cmp_gt_i32_e32 vcc_lo, 32, v2
	v_cndmask_b32_e32 v2, v0, v2, vcc_lo
	v_cmp_gt_i32_e32 vcc_lo, 32, v3
	v_dual_lshlrev_b32 v2, 2, v2 :: v_dual_lshlrev_b32 v1, 2, v1
	ds_bpermute_b32 v1, v1, v24
	s_wait_dscnt 0x0
	v_add_f32_e32 v1, v24, v1
	ds_bpermute_b32 v2, v2, v1
	s_wait_dscnt 0x0
	v_dual_cndmask_b32 v3, v0, v3, vcc_lo :: v_dual_add_f32 v1, v1, v2
	s_delay_alu instid0(VALU_DEP_1) | instskip(SKIP_3) | instid1(VALU_DEP_1)
	v_lshlrev_b32_e32 v3, 2, v3
	ds_bpermute_b32 v2, v3, v1
	s_wait_dscnt 0x0
	v_dual_add_f32 v1, v1, v2 :: v_dual_bitop2_b32 v3, 2, v0 bitop3:0x14
	v_cmp_gt_i32_e32 vcc_lo, 32, v3
	v_cndmask_b32_e32 v3, v0, v3, vcc_lo
	s_delay_alu instid0(VALU_DEP_1) | instskip(SKIP_2) | instid1(VALU_DEP_1)
	v_lshlrev_b32_e32 v3, 2, v3
	ds_bpermute_b32 v2, v3, v1
	v_xor_b32_e32 v3, 1, v0
	v_cmp_gt_i32_e32 vcc_lo, 32, v3
	v_cndmask_b32_e32 v3, v0, v3, vcc_lo
	v_cmp_eq_u32_e32 vcc_lo, 0, v21
	s_wait_dscnt 0x0
	s_delay_alu instid0(VALU_DEP_2)
	v_dual_add_f32 v0, v1, v2 :: v_dual_lshlrev_b32 v1, 2, v3
	ds_bpermute_b32 v1, v1, v0
	s_and_b32 exec_lo, exec_lo, vcc_lo
	s_cbranch_execz .LBB116_7
; %bb.6:
	s_wait_dscnt 0x0
	v_add_f32_e32 v0, v0, v1
	v_mad_u32 v2, s5, s9, v20
	s_delay_alu instid0(VALU_DEP_2) | instskip(NEXT) | instid1(VALU_DEP_1)
	v_bfe_u32 v1, v0, 16, 1
	v_add3_u32 v1, v0, v1, 0x7fff
	s_delay_alu instid0(VALU_DEP_1) | instskip(SKIP_1) | instid1(VALU_DEP_2)
	v_lshrrev_b32_e32 v1, 16, v1
	v_cmp_o_f32_e32 vcc_lo, v0, v0
	v_cndmask_b32_e32 v0, 0x7fc0, v1, vcc_lo
	s_wait_kmcnt 0x0
	global_store_b16 v2, v0, s[6:7] scale_offset
.LBB116_7:
	s_endpgm
	.section	.rodata,"a",@progbits
	.p2align	6, 0x0
	.amdhsa_kernel _ZL13mul_mat_vec_qIN3c108BFloat16ELi256ELi8E11block_iq1_mLi1EXadL_ZL18vec_dot_iq1_m_q8_1PKvPK10block_q8_1RKiEEEvS4_S4_PT_iii
		.amdhsa_group_segment_fixed_size 0
		.amdhsa_private_segment_fixed_size 0
		.amdhsa_kernarg_size 296
		.amdhsa_user_sgpr_count 2
		.amdhsa_user_sgpr_dispatch_ptr 0
		.amdhsa_user_sgpr_queue_ptr 0
		.amdhsa_user_sgpr_kernarg_segment_ptr 1
		.amdhsa_user_sgpr_dispatch_id 0
		.amdhsa_user_sgpr_kernarg_preload_length 0
		.amdhsa_user_sgpr_kernarg_preload_offset 0
		.amdhsa_user_sgpr_private_segment_size 0
		.amdhsa_wavefront_size32 1
		.amdhsa_uses_dynamic_stack 0
		.amdhsa_enable_private_segment 0
		.amdhsa_system_sgpr_workgroup_id_x 1
		.amdhsa_system_sgpr_workgroup_id_y 1
		.amdhsa_system_sgpr_workgroup_id_z 0
		.amdhsa_system_sgpr_workgroup_info 0
		.amdhsa_system_vgpr_workitem_id 1
		.amdhsa_next_free_vgpr 63
		.amdhsa_next_free_sgpr 13
		.amdhsa_named_barrier_count 0
		.amdhsa_reserve_vcc 1
		.amdhsa_float_round_mode_32 0
		.amdhsa_float_round_mode_16_64 0
		.amdhsa_float_denorm_mode_32 3
		.amdhsa_float_denorm_mode_16_64 3
		.amdhsa_fp16_overflow 0
		.amdhsa_memory_ordered 1
		.amdhsa_forward_progress 1
		.amdhsa_inst_pref_size 19
		.amdhsa_round_robin_scheduling 0
		.amdhsa_exception_fp_ieee_invalid_op 0
		.amdhsa_exception_fp_denorm_src 0
		.amdhsa_exception_fp_ieee_div_zero 0
		.amdhsa_exception_fp_ieee_overflow 0
		.amdhsa_exception_fp_ieee_underflow 0
		.amdhsa_exception_fp_ieee_inexact 0
		.amdhsa_exception_int_div_zero 0
	.end_amdhsa_kernel
	.section	.text._ZL13mul_mat_vec_qIN3c108BFloat16ELi256ELi8E11block_iq1_mLi1EXadL_ZL18vec_dot_iq1_m_q8_1PKvPK10block_q8_1RKiEEEvS4_S4_PT_iii,"axG",@progbits,_ZL13mul_mat_vec_qIN3c108BFloat16ELi256ELi8E11block_iq1_mLi1EXadL_ZL18vec_dot_iq1_m_q8_1PKvPK10block_q8_1RKiEEEvS4_S4_PT_iii,comdat
.Lfunc_end116:
	.size	_ZL13mul_mat_vec_qIN3c108BFloat16ELi256ELi8E11block_iq1_mLi1EXadL_ZL18vec_dot_iq1_m_q8_1PKvPK10block_q8_1RKiEEEvS4_S4_PT_iii, .Lfunc_end116-_ZL13mul_mat_vec_qIN3c108BFloat16ELi256ELi8E11block_iq1_mLi1EXadL_ZL18vec_dot_iq1_m_q8_1PKvPK10block_q8_1RKiEEEvS4_S4_PT_iii
                                        ; -- End function
	.set _ZL13mul_mat_vec_qIN3c108BFloat16ELi256ELi8E11block_iq1_mLi1EXadL_ZL18vec_dot_iq1_m_q8_1PKvPK10block_q8_1RKiEEEvS4_S4_PT_iii.num_vgpr, 63
	.set _ZL13mul_mat_vec_qIN3c108BFloat16ELi256ELi8E11block_iq1_mLi1EXadL_ZL18vec_dot_iq1_m_q8_1PKvPK10block_q8_1RKiEEEvS4_S4_PT_iii.num_agpr, 0
	.set _ZL13mul_mat_vec_qIN3c108BFloat16ELi256ELi8E11block_iq1_mLi1EXadL_ZL18vec_dot_iq1_m_q8_1PKvPK10block_q8_1RKiEEEvS4_S4_PT_iii.numbered_sgpr, 13
	.set _ZL13mul_mat_vec_qIN3c108BFloat16ELi256ELi8E11block_iq1_mLi1EXadL_ZL18vec_dot_iq1_m_q8_1PKvPK10block_q8_1RKiEEEvS4_S4_PT_iii.num_named_barrier, 0
	.set _ZL13mul_mat_vec_qIN3c108BFloat16ELi256ELi8E11block_iq1_mLi1EXadL_ZL18vec_dot_iq1_m_q8_1PKvPK10block_q8_1RKiEEEvS4_S4_PT_iii.private_seg_size, 0
	.set _ZL13mul_mat_vec_qIN3c108BFloat16ELi256ELi8E11block_iq1_mLi1EXadL_ZL18vec_dot_iq1_m_q8_1PKvPK10block_q8_1RKiEEEvS4_S4_PT_iii.uses_vcc, 1
	.set _ZL13mul_mat_vec_qIN3c108BFloat16ELi256ELi8E11block_iq1_mLi1EXadL_ZL18vec_dot_iq1_m_q8_1PKvPK10block_q8_1RKiEEEvS4_S4_PT_iii.uses_flat_scratch, 0
	.set _ZL13mul_mat_vec_qIN3c108BFloat16ELi256ELi8E11block_iq1_mLi1EXadL_ZL18vec_dot_iq1_m_q8_1PKvPK10block_q8_1RKiEEEvS4_S4_PT_iii.has_dyn_sized_stack, 0
	.set _ZL13mul_mat_vec_qIN3c108BFloat16ELi256ELi8E11block_iq1_mLi1EXadL_ZL18vec_dot_iq1_m_q8_1PKvPK10block_q8_1RKiEEEvS4_S4_PT_iii.has_recursion, 0
	.set _ZL13mul_mat_vec_qIN3c108BFloat16ELi256ELi8E11block_iq1_mLi1EXadL_ZL18vec_dot_iq1_m_q8_1PKvPK10block_q8_1RKiEEEvS4_S4_PT_iii.has_indirect_call, 0
	.section	.AMDGPU.csdata,"",@progbits
; Kernel info:
; codeLenInByte = 2396
; TotalNumSgprs: 15
; NumVgprs: 63
; ScratchSize: 0
; MemoryBound: 0
; FloatMode: 240
; IeeeMode: 1
; LDSByteSize: 0 bytes/workgroup (compile time only)
; SGPRBlocks: 0
; VGPRBlocks: 3
; NumSGPRsForWavesPerEU: 15
; NumVGPRsForWavesPerEU: 63
; NamedBarCnt: 0
; Occupancy: 16
; WaveLimiterHint : 0
; COMPUTE_PGM_RSRC2:SCRATCH_EN: 0
; COMPUTE_PGM_RSRC2:USER_SGPR: 2
; COMPUTE_PGM_RSRC2:TRAP_HANDLER: 0
; COMPUTE_PGM_RSRC2:TGID_X_EN: 1
; COMPUTE_PGM_RSRC2:TGID_Y_EN: 1
; COMPUTE_PGM_RSRC2:TGID_Z_EN: 0
; COMPUTE_PGM_RSRC2:TIDIG_COMP_CNT: 1
	.section	.text._ZL12mul_mat_q4_0IfLb0EEvPKvS1_PT_iiiii,"axG",@progbits,_ZL12mul_mat_q4_0IfLb0EEvPKvS1_PT_iiiii,comdat
	.globl	_ZL12mul_mat_q4_0IfLb0EEvPKvS1_PT_iiiii ; -- Begin function _ZL12mul_mat_q4_0IfLb0EEvPKvS1_PT_iiiii
	.p2align	8
	.type	_ZL12mul_mat_q4_0IfLb0EEvPKvS1_PT_iiiii,@function
_ZL12mul_mat_q4_0IfLb0EEvPKvS1_PT_iiiii: ; @_ZL12mul_mat_q4_0IfLb0EEvPKvS1_PT_iiiii
; %bb.0:
	s_clause 0x1
	s_load_b32 s10, s[0:1], 0x18
	s_load_b96 s[4:6], s[0:1], 0x20
	s_bfe_u32 s2, ttmp6, 0x4000c
	s_bfe_u32 s7, ttmp6, 0x40010
	s_add_co_i32 s2, s2, 1
	s_and_b32 s3, ttmp6, 15
	s_mul_i32 s2, ttmp9, s2
	s_add_co_i32 s7, s7, 1
	s_add_co_i32 s3, s3, s2
	s_mul_i32 s2, ttmp7, s7
	s_bfe_u32 s7, ttmp6, 0x40004
	s_getreg_b32 s8, hwreg(HW_REG_IB_STS2, 6, 4)
	s_add_co_i32 s7, s7, s2
	s_cmp_eq_u32 s8, 0
	v_bfe_u32 v17, v0, 10, 10
	s_cselect_b32 s7, ttmp7, s7
	v_and_b32_e32 v21, 0x3ff, v0
	s_cselect_b32 s2, ttmp9, s3
	s_lshl_b32 s7, s7, 6
	s_mov_b32 s3, 0
	s_wait_kmcnt 0x0
	s_cmp_gt_i32 s10, 31
	s_cbranch_scc1 .LBB117_4
; %bb.1:
	v_bfe_u32 v16, v0, 10, 10
	v_and_b32_e32 v18, 0x3ff, v0
	s_delay_alu instid0(VALU_DEP_2)
	v_add_nc_u32_e32 v39, s7, v16
	s_load_b64 s[8:9], s[0:1], 0x10
	s_and_not1_b32 vcc_lo, exec_lo, s3
	s_lshl_b32 s13, s2, 7
	s_cbranch_vccz .LBB117_5
; %bb.2:
	v_mov_b64_e32 v[0:1], 0
	v_mov_b64_e32 v[8:9], 0
	;; [unrolled: 1-line block ×16, first 2 shown]
	s_wait_xcnt 0x0
	s_mov_b32 s0, exec_lo
	v_cmpx_gt_u32_e64 s4, v39
	s_cbranch_execnz .LBB117_15
.LBB117_3:
	s_sendmsg sendmsg(MSG_DEALLOC_VGPRS)
	s_endpgm
.LBB117_4:
                                        ; implicit-def: $vgpr16
                                        ; implicit-def: $vgpr18
                                        ; implicit-def: $vgpr39
	s_load_b64 s[8:9], s[0:1], 0x10
	s_lshl_b32 s13, s2, 7
.LBB117_5:
	v_dual_add_nc_u32 v39, s7, v17 :: v_dual_mov_b32 v19, 0
	s_add_co_i32 s12, s4, -1
	s_ashr_i32 s11, s10, 31
	v_cvt_f64_i32_e32 v[2:3], s12
	s_delay_alu instid0(VALU_DEP_2) | instskip(SKIP_2) | instid1(VALU_DEP_3)
	v_dual_add_nc_u32 v1, 8, v39 :: v_dual_add_nc_u32 v8, 16, v39
	v_dual_add_nc_u32 v10, 24, v39 :: v_dual_add_nc_u32 v12, 32, v39
	v_cvt_f64_u32_e32 v[4:5], v39
	v_cvt_f64_u32_e32 v[6:7], v1
	s_delay_alu instid0(VALU_DEP_4)
	v_cvt_f64_u32_e32 v[8:9], v8
	s_ashr_i32 s14, s5, 31
	v_cvt_f64_u32_e32 v[12:13], v12
	s_lshr_b32 s11, s11, 27
	s_lshr_b32 s14, s14, 27
	s_add_co_i32 s10, s10, s11
	s_add_co_i32 s11, s5, s14
	s_ashr_i32 s5, s10, 5
	v_dual_add_nc_u32 v1, 40, v39 :: v_dual_add_nc_u32 v18, 48, v39
	v_mul_lo_u32 v38, s5, v17
	v_bfe_u32 v16, v0, 2, 8
	v_dual_lshlrev_b32 v30, 7, v17 :: v_dual_bitop2_b32 v28, 31, v0 bitop3:0x40
	s_delay_alu instid0(VALU_DEP_4) | instskip(SKIP_4) | instid1(VALU_DEP_3)
	v_cvt_f64_u32_e32 v[14:15], v1
	v_dual_lshlrev_b32 v1, 2, v21 :: v_dual_bitop2_b32 v20, 7, v0 bitop3:0x40
	s_lshl_b32 s15, s5, 3
	v_cvt_f64_u32_e32 v[22:23], v18
	v_dual_add_nc_u32 v24, 56, v39 :: v_dual_bitop2_b32 v29, 3, v0 bitop3:0x40
	v_dual_lshlrev_b32 v32, 2, v20 :: v_dual_bitop2_b32 v18, 12, v1 bitop3:0x40
	v_mad_u32_u24 v43, 0x84, v17, v1
	v_dual_mov_b32 v27, v19 :: v_dual_bitop2_b32 v26, 28, v1 bitop3:0x40
	v_lshl_or_b32 v1, v28, 2, 0x4200
	v_lshl_add_u32 v28, v17, 3, v16
	v_add_nc_u32_e32 v40, s15, v38
	v_cvt_f64_u32_e32 v[10:11], v10
	v_dual_min_num_f64 v[4:5], v[4:5], v[2:3] :: v_dual_lshlrev_b32 v33, 2, v29
	v_min_num_f64_e32 v[6:7], v[6:7], v[2:3]
	v_min_num_f64_e32 v[8:9], v[8:9], v[2:3]
	v_dual_min_num_f64 v[12:13], v[12:13], v[2:3] :: v_dual_add_nc_u32 v42, s15, v40
	v_cvt_f64_u32_e32 v[24:25], v24
	v_bfe_u32 v41, v0, 3, 7
	s_ashr_i32 s17, s11, 5
	v_and_b32_e32 v0, 0xfc, v0
	v_add_nc_u32_e32 v34, 0x400, v30
	v_add_nc_u32_e32 v35, 0x800, v30
	v_lshl_add_u32 v31, v17, 2, v41
	s_wait_xcnt 0x0
	s_load_b128 s[0:3], s[0:1], 0x0
	s_and_b32 s14, s10, 0xffffffe0
	s_mul_i32 s10, s5, s13
	v_min_num_f64_e32 v[14:15], v[14:15], v[2:3]
	v_mul_lo_u32 v62, s5, v31
	s_ashr_i32 s11, s10, 31
	v_add_nc_u32_e32 v188, 0x4200, v30
	v_min_num_f64_e32 v[22:23], v[22:23], v[2:3]
	v_mov_b64_e32 v[36:37], 0
	s_mul_u64 s[10:11], s[10:11], 18
	v_add_nc_u32_e32 v45, 0x420, v43
	v_add_nc_u32_e32 v47, 0x840, v43
	;; [unrolled: 1-line block ×8, first 2 shown]
	v_min_num_f64_e32 v[10:11], v[10:11], v[2:3]
	v_cvt_i32_f64_e32 v4, v[4:5]
	s_wait_kmcnt 0x0
	v_add_nc_u64_e32 v[54:55], s[2:3], v[26:27]
	v_cvt_i32_f64_e32 v5, v[6:7]
	v_cvt_i32_f64_e32 v6, v[8:9]
	;; [unrolled: 1-line block ×3, first 2 shown]
	v_and_b32_e32 v8, 0x7fc, v31
	v_mov_b64_e32 v[26:27], 0
	v_add_nc_u32_e32 v63, 0x2520, v43
	v_add_nc_u32_e32 v65, 0x2940, v43
	;; [unrolled: 1-line block ×3, first 2 shown]
	v_add3_u32 v8, v8, v32, 0x6200
	v_add_nc_u32_e32 v69, 0x3180, v43
	v_add_nc_u32_e32 v71, 0x35a0, v43
	;; [unrolled: 1-line block ×4, first 2 shown]
	v_mul_u32_u24_e32 v194, 0x84, v21
	v_cvt_i32_f64_e32 v12, v[14:15]
	v_add_nc_u32_e32 v15, 0x60, v31
	v_lshl_add_u32 v195, v17, 4, 0x7280
	v_mad_u32_u24 v196, 0x84, v21, 64
	s_add_nc_u64 s[0:1], s[0:1], s[10:11]
	s_mov_b32 s11, 0
	s_add_co_i32 s16, s5, 3
	s_mov_b32 s10, s11
	v_add_nc_u32_e32 v44, s15, v42
	v_min_num_f64_e32 v[2:3], v[24:25], v[2:3]
	s_delay_alu instid0(VALU_DEP_2)
	v_dual_add_nc_u32 v180, v1, v34 :: v_dual_add_nc_u32 v46, s15, v44
	v_mul_lo_u32 v79, s17, v4
	v_add_nc_u32_e32 v4, 0x1000, v30
	v_mul_lo_u32 v164, s17, v5
	v_mul_lo_u32 v165, s17, v6
	;; [unrolled: 1-line block ×3, first 2 shown]
	v_add_nc_u32_e32 v9, 32, v21
	v_cvt_i32_f64_e32 v14, v[22:23]
	v_and_b32_e32 v22, 63, v28
	v_and_b32_e32 v28, 0xffc, v15
	v_lshlrev_b32_e32 v15, 5, v15
	v_add_nc_u32_e32 v13, 64, v31
	v_add_nc_u32_e32 v6, 0x60, v21
	v_or_b32_e32 v25, s7, v22
	v_lshl_or_b32 v22, v22, 4, v33
	v_add_nc_u32_e32 v5, 0x1400, v30
	v_and_b32_e32 v24, 0xffc, v13
	v_and_b32_e32 v6, 0x1fc, v6
	v_lshlrev_b32_e32 v13, 5, v13
	v_add_nc_u32_e32 v75, 0x7280, v22
	v_and_b32_e32 v22, 0x1fc, v9
	v_add3_u32 v24, v24, v32, 0x6200
	v_mul_lo_u32 v168, s17, v12
	v_add_nc_u32_e32 v12, 0x1800, v30
	v_dual_lshrrev_b32 v171, 3, v9 :: v_dual_add_nc_u32 v183, v1, v4
	v_cvt_i32_f64_e32 v2, v[2:3]
	v_min_i32_e32 v3, s12, v25
	v_cvt_i32_f64_e32 v7, v[10:11]
	v_dual_lshlrev_b32 v10, 5, v31 :: v_dual_add_nc_u32 v11, 32, v31
	v_add3_u32 v25, v28, v32, 0x6200
	s_delay_alu instid0(VALU_DEP_4)
	v_mad_u32 v77, v3, s17, v29
	v_add_nc_u32_e32 v3, 0xc00, v30
	v_add_nc_u32_e32 v176, v24, v13
	v_and_b32_e32 v23, 0xffc, v11
	v_lshlrev_b32_e32 v11, 5, v11
	v_add_nc_u32_e32 v178, v25, v15
	v_add_nc_u32_e32 v182, v1, v3
	v_mul_lo_u32 v169, s17, v14
	v_dual_lshlrev_b32 v14, 5, v21 :: v_dual_add_nc_u32 v48, s15, v46
	v_add3_u32 v23, v23, v32, 0x6200
	v_dual_add_nc_u32 v184, v1, v5 :: v_dual_add_nc_u32 v185, v1, v12
	s_delay_alu instid0(VALU_DEP_3) | instskip(NEXT) | instid1(VALU_DEP_3)
	v_add_nc_u32_e32 v0, v14, v0
	v_dual_add_nc_u32 v50, s15, v48 :: v_dual_add_nc_u32 v174, v23, v11
	v_mov_b64_e32 v[28:29], 0
	v_mov_b64_e32 v[12:13], 0
	s_delay_alu instid0(VALU_DEP_4) | instskip(NEXT) | instid1(VALU_DEP_4)
	v_add_nc_u32_e32 v179, 0x6200, v0
	v_add_nc_u32_e32 v52, s15, v50
	;; [unrolled: 1-line block ×4, first 2 shown]
	v_mov_b64_e32 v[4:5], 0
	v_mov_b64_e32 v[32:33], 0
	v_add_nc_u32_e32 v56, s15, v52
	v_mov_b64_e32 v[24:25], 0
	v_mul_lo_u32 v170, s17, v2
	v_add_nc_u32_e32 v2, v14, v6
	v_mul_lo_u32 v166, s17, v7
	v_dual_add_nc_u32 v7, 64, v21 :: v_dual_add_nc_u32 v58, s15, v56
	v_add_nc_u32_e32 v181, v1, v35
	s_delay_alu instid0(VALU_DEP_4) | instskip(SKIP_1) | instid1(VALU_DEP_4)
	v_add_nc_u32_e32 v173, 0x6e00, v2
	v_add_nc_u32_e32 v189, 0x6e10, v2
	v_and_b32_e32 v7, 0x1fc, v7
	v_mov_b64_e32 v[34:35], 0
	v_mov_b64_e32 v[10:11], 0
	;; [unrolled: 1-line block ×4, first 2 shown]
	v_dual_add_nc_u32 v6, v14, v7 :: v_dual_add_nc_u32 v7, v14, v22
	v_add_nc_u32_e32 v14, 0x1c00, v30
	v_mov_b64_e32 v[22:23], 0
	s_mov_b32 s12, 0x41000000
	s_delay_alu instid0(VALU_DEP_3)
	v_add_nc_u32_e32 v175, 0x6a00, v6
	v_add_nc_u32_e32 v177, 0x6600, v7
	;; [unrolled: 1-line block ×4, first 2 shown]
	v_mov_b64_e32 v[6:7], 0
	v_add_nc_u32_e32 v60, s15, v58
	v_add_nc_u32_e32 v186, v1, v14
	v_mov_b64_e32 v[14:15], 0
	s_delay_alu instid0(VALU_DEP_3) | instskip(SKIP_2) | instid1(VALU_DEP_3)
	v_dual_add_nc_u32 v64, s15, v60 :: v_dual_add_nc_u32 v187, v1, v30
	v_mov_b64_e32 v[30:31], 0
	v_mov_b64_e32 v[0:1], 0
	v_add_nc_u32_e32 v66, s15, v64
	s_delay_alu instid0(VALU_DEP_1) | instskip(NEXT) | instid1(VALU_DEP_1)
	v_add_nc_u32_e32 v68, s15, v66
	v_dual_add_nc_u32 v70, s14, v62 :: v_dual_add_nc_u32 v72, s15, v68
	s_delay_alu instid0(VALU_DEP_1) | instskip(NEXT) | instid1(VALU_DEP_1)
	v_dual_add_nc_u32 v74, s14, v70 :: v_dual_add_nc_u32 v76, s15, v72
	v_add_nc_u32_e32 v78, s14, v74
	s_branch .LBB117_7
.LBB117_6:                              ;   in Loop: Header=BB117_7 Depth=1
	s_add_co_i32 s10, s10, 8
	s_add_co_i32 s16, s16, -8
	s_cmp_ge_i32 s10, s5
	s_cbranch_scc1 .LBB117_14
.LBB117_7:                              ; =>This Loop Header: Depth=1
                                        ;     Child Loop BB117_9 Depth 2
                                        ;     Child Loop BB117_12 Depth 2
	s_mul_u64 s[14:15], s[10:11], 18
	s_cmp_gt_u32 s16, 3
	s_add_nc_u64 s[14:15], s[0:1], s[14:15]
	s_delay_alu instid0(SALU_CYCLE_1) | instskip(NEXT) | instid1(VALU_DEP_1)
	v_mad_nc_u64_u32 v[80:81], v16, 18, s[14:15]
	v_mad_nc_u64_u32 v[82:83], v38, 18, v[80:81]
	s_delay_alu instid0(VALU_DEP_1)
	v_add_nc_u64_e32 v[82:83], v[82:83], v[18:19]
	global_load_b32 v82, v[82:83], off offset:2
	s_wait_loadcnt 0x0
	ds_store_b32 v43, v82
	s_wait_xcnt 0x0
	v_mad_nc_u64_u32 v[82:83], v40, 18, v[80:81]
	s_delay_alu instid0(VALU_DEP_1)
	v_add_nc_u64_e32 v[82:83], v[82:83], v[18:19]
	global_load_b32 v82, v[82:83], off offset:2
	s_wait_loadcnt 0x0
	ds_store_b32 v45, v82
	s_wait_xcnt 0x0
	v_mad_nc_u64_u32 v[82:83], v42, 18, v[80:81]
	s_delay_alu instid0(VALU_DEP_1)
	v_add_nc_u64_e32 v[82:83], v[82:83], v[18:19]
	global_load_b32 v82, v[82:83], off offset:2
	s_wait_loadcnt 0x0
	ds_store_b32 v47, v82
	s_wait_xcnt 0x0
	v_mad_nc_u64_u32 v[82:83], v44, 18, v[80:81]
	s_delay_alu instid0(VALU_DEP_1)
	v_add_nc_u64_e32 v[82:83], v[82:83], v[18:19]
	global_load_b32 v82, v[82:83], off offset:2
	s_wait_loadcnt 0x0
	ds_store_b32 v49, v82
	s_wait_xcnt 0x0
	v_mad_nc_u64_u32 v[82:83], v46, 18, v[80:81]
	s_delay_alu instid0(VALU_DEP_1)
	v_add_nc_u64_e32 v[82:83], v[82:83], v[18:19]
	global_load_b32 v82, v[82:83], off offset:2
	s_wait_loadcnt 0x0
	ds_store_b32 v51, v82
	s_wait_xcnt 0x0
	v_mad_nc_u64_u32 v[82:83], v48, 18, v[80:81]
	s_delay_alu instid0(VALU_DEP_1)
	v_add_nc_u64_e32 v[82:83], v[82:83], v[18:19]
	global_load_b32 v82, v[82:83], off offset:2
	s_wait_loadcnt 0x0
	ds_store_b32 v53, v82
	s_wait_xcnt 0x0
	v_mad_nc_u64_u32 v[82:83], v50, 18, v[80:81]
	s_delay_alu instid0(VALU_DEP_1)
	v_add_nc_u64_e32 v[82:83], v[82:83], v[18:19]
	global_load_b32 v82, v[82:83], off offset:2
	s_wait_loadcnt 0x0
	ds_store_b32 v57, v82
	s_wait_xcnt 0x0
	v_mad_nc_u64_u32 v[82:83], v52, 18, v[80:81]
	s_delay_alu instid0(VALU_DEP_1)
	v_add_nc_u64_e32 v[82:83], v[82:83], v[18:19]
	global_load_b32 v82, v[82:83], off offset:2
	s_wait_loadcnt 0x0
	ds_store_b32 v59, v82
	s_wait_xcnt 0x0
	v_mad_nc_u64_u32 v[82:83], v56, 18, v[80:81]
	s_delay_alu instid0(VALU_DEP_1)
	v_add_nc_u64_e32 v[82:83], v[82:83], v[18:19]
	global_load_b32 v82, v[82:83], off offset:2
	s_wait_loadcnt 0x0
	ds_store_b32 v61, v82
	s_wait_xcnt 0x0
	v_mad_nc_u64_u32 v[82:83], v58, 18, v[80:81]
	s_delay_alu instid0(VALU_DEP_1)
	v_add_nc_u64_e32 v[82:83], v[82:83], v[18:19]
	global_load_b32 v82, v[82:83], off offset:2
	s_wait_loadcnt 0x0
	ds_store_b32 v63, v82
	s_wait_xcnt 0x0
	v_mad_nc_u64_u32 v[82:83], v60, 18, v[80:81]
	s_delay_alu instid0(VALU_DEP_1)
	v_add_nc_u64_e32 v[82:83], v[82:83], v[18:19]
	global_load_b32 v82, v[82:83], off offset:2
	s_wait_loadcnt 0x0
	ds_store_b32 v65, v82
	s_wait_xcnt 0x0
	v_mad_nc_u64_u32 v[82:83], v64, 18, v[80:81]
	s_delay_alu instid0(VALU_DEP_1)
	v_add_nc_u64_e32 v[82:83], v[82:83], v[18:19]
	global_load_b32 v82, v[82:83], off offset:2
	s_wait_loadcnt 0x0
	ds_store_b32 v67, v82
	s_wait_xcnt 0x0
	v_mad_nc_u64_u32 v[82:83], v66, 18, v[80:81]
	s_delay_alu instid0(VALU_DEP_1)
	v_add_nc_u64_e32 v[82:83], v[82:83], v[18:19]
	global_load_b32 v82, v[82:83], off offset:2
	s_wait_loadcnt 0x0
	ds_store_b32 v69, v82
	s_wait_xcnt 0x0
	v_mad_nc_u64_u32 v[82:83], v68, 18, v[80:81]
	s_delay_alu instid0(VALU_DEP_1)
	v_add_nc_u64_e32 v[82:83], v[82:83], v[18:19]
	global_load_b32 v82, v[82:83], off offset:2
	s_wait_loadcnt 0x0
	ds_store_b32 v71, v82
	s_wait_xcnt 0x0
	v_mad_nc_u64_u32 v[82:83], v72, 18, v[80:81]
	v_mad_nc_u64_u32 v[80:81], v76, 18, v[80:81]
	s_delay_alu instid0(VALU_DEP_2) | instskip(NEXT) | instid1(VALU_DEP_2)
	v_add_nc_u64_e32 v[82:83], v[82:83], v[18:19]
	v_add_nc_u64_e32 v[80:81], v[80:81], v[18:19]
	s_clause 0x1
	global_load_b32 v82, v[82:83], off offset:2
	global_load_b32 v80, v[80:81], off offset:2
	s_wait_loadcnt 0x1
	ds_store_b32 v73, v82
	s_wait_loadcnt 0x0
	ds_store_b32 v193, v80
	s_wait_xcnt 0x0
	v_mad_nc_u64_u32 v[80:81], v20, 18, s[14:15]
	s_delay_alu instid0(VALU_DEP_1)
	v_mad_nc_u64_u32 v[82:83], v62, 18, v[80:81]
	global_load_u16 v82, v[82:83], off
	s_wait_loadcnt 0x0
	s_wait_xcnt 0x0
	v_cvt_f32_f16_e32 v82, v82
	ds_store_b32 v172, v82
	v_mad_nc_u64_u32 v[82:83], v70, 18, v[80:81]
	global_load_u16 v82, v[82:83], off
	s_wait_loadcnt 0x0
	s_wait_xcnt 0x0
	v_cvt_f32_f16_e32 v82, v82
	ds_store_b32 v174, v82
	v_mad_nc_u64_u32 v[82:83], v74, 18, v[80:81]
	v_mad_nc_u64_u32 v[80:81], v78, 18, v[80:81]
	s_clause 0x1
	global_load_u16 v82, v[82:83], off
	global_load_u16 v80, v[80:81], off
	s_wait_loadcnt 0x1
	s_wait_xcnt 0x1
	v_cvt_f32_f16_e32 v82, v82
	s_wait_loadcnt 0x0
	s_wait_xcnt 0x0
	v_cvt_f32_f16_e32 v80, v80
	ds_store_b32 v176, v82
	ds_store_b32 v178, v80
	s_cbranch_scc0 .LBB117_6
; %bb.8:                                ;   in Loop: Header=BB117_7 Depth=1
	v_dual_add_nc_u32 v80, s10, v41 :: v_dual_mov_b32 v150, v188
	v_dual_mov_b32 v156, v194 :: v_dual_add_nc_u32 v81, s10, v77
	s_mov_b32 s14, -4
	s_delay_alu instid0(VALU_DEP_2) | instskip(SKIP_2) | instid1(VALU_DEP_3)
	v_dual_mov_b32 v151, v195 :: v_dual_add_nc_u32 v82, v80, v79
	v_dual_mov_b32 v152, v179 :: v_dual_mov_b32 v153, v177
	v_mov_b32_e32 v154, v175
	v_mad_nc_i64_i32 v[82:83], v82, 36, v[54:55]
	v_mov_b32_e32 v155, v173
	global_load_b32 v82, v[82:83], off offset:4
	s_wait_loadcnt 0x0
	ds_store_b32 v187, v82
	v_add_nc_u32_e32 v82, v80, v164
	s_delay_alu instid0(VALU_DEP_1) | instskip(SKIP_4) | instid1(VALU_DEP_1)
	v_mad_nc_i64_i32 v[82:83], v82, 36, v[54:55]
	global_load_b32 v82, v[82:83], off offset:4
	s_wait_loadcnt 0x0
	ds_store_b32 v180, v82
	v_add_nc_u32_e32 v82, v80, v165
	v_mad_nc_i64_i32 v[82:83], v82, 36, v[54:55]
	global_load_b32 v82, v[82:83], off offset:4
	s_wait_loadcnt 0x0
	ds_store_b32 v181, v82
	v_add_nc_u32_e32 v82, v80, v166
	s_delay_alu instid0(VALU_DEP_1) | instskip(SKIP_4) | instid1(VALU_DEP_1)
	v_mad_nc_i64_i32 v[82:83], v82, 36, v[54:55]
	global_load_b32 v82, v[82:83], off offset:4
	s_wait_loadcnt 0x0
	ds_store_b32 v182, v82
	v_add_nc_u32_e32 v82, v80, v167
	v_mad_nc_i64_i32 v[82:83], v82, 36, v[54:55]
	global_load_b32 v82, v[82:83], off offset:4
	s_wait_loadcnt 0x0
	ds_store_b32 v183, v82
	v_add_nc_u32_e32 v82, v80, v168
	s_delay_alu instid0(VALU_DEP_1) | instskip(SKIP_4) | instid1(VALU_DEP_1)
	v_mad_nc_i64_i32 v[82:83], v82, 36, v[54:55]
	global_load_b32 v82, v[82:83], off offset:4
	s_wait_loadcnt 0x0
	ds_store_b32 v184, v82
	v_dual_add_nc_u32 v82, v80, v169 :: v_dual_add_nc_u32 v80, v80, v170
	v_mad_nc_i64_i32 v[82:83], v82, 36, v[54:55]
	global_load_b32 v82, v[82:83], off offset:4
	s_wait_loadcnt 0x0
	ds_store_b32 v185, v82
	v_mad_nc_i64_i32 v[82:83], v80, 36, v[54:55]
	global_load_b32 v80, v[82:83], off offset:4
	s_wait_xcnt 0x0
	v_mad_nc_u64_u32 v[82:83], v81, 36, s[2:3]
	s_wait_loadcnt 0x0
	ds_store_b32 v186, v80
	global_load_b32 v80, v[82:83], off
	s_wait_loadcnt 0x0
	ds_store_b32 v75, v80
	s_wait_dscnt 0x0
	s_barrier_signal -1
	s_barrier_wait -1
.LBB117_9:                              ;   Parent Loop BB117_7 Depth=1
                                        ; =>  This Inner Loop Header: Depth=2
	v_add_nc_u32_e32 v88, 0x1080, v156
	ds_load_2addr_b32 v[84:85], v150 offset1:3
	ds_load_2addr_b32 v[82:83], v150 offset0:4 offset1:7
	v_add_nc_u32_e32 v89, 0x1088, v156
	v_add_nc_u32_e32 v92, 0x2100, v156
	ds_load_2addr_b32 v[100:101], v156 offset1:1
	ds_load_2addr_b32 v[86:87], v156 offset0:2 offset1:3
	ds_load_b32 v80, v155
	v_add_nc_u32_e32 v93, 0x2108, v156
	v_add_nc_u32_e32 v96, 0x3180, v156
	;; [unrolled: 1-line block ×6, first 2 shown]
	ds_load_2addr_b32 v[104:105], v88 offset1:1
	ds_load_2addr_b32 v[90:91], v89 offset1:1
	;; [unrolled: 1-line block ×4, first 2 shown]
	ds_load_2addr_b32 v[94:95], v120 offset0:4 offset1:7
	ds_load_2addr_b32 v[110:111], v96 offset1:1
	ds_load_2addr_b32 v[96:97], v97 offset1:1
	;; [unrolled: 1-line block ×4, first 2 shown]
	v_add_nc_u32_e32 v226, 0x800, v150
	v_add_nc_u32_e32 v251, 0x1800, v150
	s_set_vgpr_msb 64                       ;  msbs: dst=1 src0=0 src1=0 src2=0
	v_add_nc_u32_e32 v0 /*v256*/, 0x1c00, v150
	s_set_vgpr_msb 0                        ;  msbs: dst=0 src0=0 src1=0 src2=0
	v_add_nc_u32_e32 v156, 16, v156
	s_add_co_i32 s14, s14, 4
	v_add_nc_u32_e32 v155, 4, v155
	s_cmp_lt_u32 s14, 12
	s_wait_dscnt 0xd
	v_bfe_i32 v92, v84, 0, 8
	v_bfe_i32 v93, v84, 8, 8
	s_wait_dscnt 0xb
	v_and_b32_e32 v200, 15, v100
	v_bfe_i32 v98, v84, 16, 8
	s_wait_dscnt 0x6
	v_dual_ashrrev_i32 v99, 24, v84 :: v_dual_bitop2_b32 v202, 15, v102 bitop3:0x40
	v_bfe_u32 v201, v100, 8, 4
	v_bfe_u32 v161, v100, 16, 4
	;; [unrolled: 1-line block ×3, first 2 shown]
	s_wait_dscnt 0x3
	v_dual_lshrrev_b32 v217, 28, v111 :: v_dual_bitop2_b32 v204, 15, v104 bitop3:0x40
	v_lshrrev_b32_e32 v227, 28, v110
	v_mul_i32_i24_e32 v108, v200, v92
	v_bfe_u32 v224, v111, 24, 4
	v_dual_ashrrev_i32 v122, 24, v94 :: v_dual_bitop2_b32 v223, 15, v111 bitop3:0x40
	s_wait_dscnt 0x0
	v_dual_ashrrev_i32 v236, 24, v112 :: v_dual_ashrrev_i32 v228, 24, v106
	v_mul_i32_i24_e32 v109, v161, v98
	v_mul_i32_i24_e32 v116, v162, v99
	v_bfe_u32 v230, v110, 20, 4
	v_bfe_i32 v123, v94, 16, 8
	v_bfe_u32 v222, v111, 16, 4
	v_bfe_i32 v231, v112, 16, 8
	;; [unrolled: 2-line block ×3, first 2 shown]
	v_mad_i32_i24 v108, v201, v93, v108
	v_mul_i32_i24_e32 v117, v122, v227
	v_mul_i32_i24_e32 v118, v236, v224
	;; [unrolled: 1-line block ×3, first 2 shown]
	v_bfe_u32 v233, v110, 4, 4
	v_bfe_i32 v124, v94, 0, 8
	v_bfe_i32 v232, v112, 0, 8
	v_bfe_u32 v219, v111, 4, 4
	v_bfe_i32 v229, v106, 0, 8
	v_add3_u32 v108, v108, v109, v116
	v_mul_i32_i24_e32 v109, v123, v230
	v_mul_i32_i24_e32 v116, v231, v222
	v_add3_u32 v117, v117, v118, v119
	v_mul_i32_i24_e32 v118, v225, v214
	v_bfe_i32 v235, v82, 0, 8
	v_bfe_i32 v234, v82, 8, 8
	v_bfe_u32 v84, v100, 4, 4
	v_bfe_u32 v121, v100, 12, 4
	v_mul_i32_i24_e32 v119, v124, v233
	v_add3_u32 v109, v109, v116, v118
	v_mul_i32_i24_e32 v116, v232, v223
	v_mul_i32_i24_e32 v118, v229, v219
	;; [unrolled: 1-line block ×4, first 2 shown]
	v_bfe_u32 v205, v104, 8, 4
	v_bfe_u32 v163, v104, 16, 4
	v_dual_lshrrev_b32 v208, 28, v96 :: v_dual_bitop2_b32 v159, 15, v110 bitop3:0x40
	v_bfe_u32 v199, v104, 24, 4
	v_add3_u32 v116, v119, v116, v118
	v_mul_i32_i24_e32 v118, v204, v92
	v_bfe_u32 v203, v102, 8, 4
	v_bfe_u32 v197, v102, 16, 4
	v_bfe_u32 v158, v110, 8, 4
	v_bfe_u32 v157, v110, 16, 4
	v_mul_i32_i24_e32 v119, v163, v98
	v_add3_u32 v129, v108, v115, v114
	v_mul_i32_i24_e32 v108, v202, v92
	v_mul_i32_i24_e32 v114, v199, v99
	v_mad_i32_i24 v115, v205, v93, v118
	v_bfe_u32 v160, v110, 24, 4
	v_mul_i32_i24_e32 v92, v159, v92
	v_bfe_u32 v212, v96, 24, 4
	v_dual_ashrrev_i32 v221, 24, v113 :: v_dual_bitop2_b32 v211, 15, v96 bitop3:0x40
	v_add3_u32 v130, v115, v119, v114
	v_mul_i32_i24_e32 v114, v197, v98
	v_mad_i32_i24 v108, v203, v93, v108
	v_dual_ashrrev_i32 v215, 24, v107 :: v_dual_lshrrev_b32 v137, 28, v100
	v_mad_i32_i24 v92, v158, v93, v92
	v_mul_i32_i24_e32 v93, v157, v98
	v_mul_i32_i24_e32 v98, v160, v99
	v_bfe_i32 v218, v113, 0, 8
	v_bfe_u32 v209, v96, 4, 4
	v_bfe_i32 v216, v107, 0, 8
	v_bfe_u32 v210, v96, 16, 4
	v_add3_u32 v237, v92, v93, v98
	v_mul_i32_i24_e32 v92, v221, v212
	v_mul_i32_i24_e32 v93, v215, v208
	v_bfe_i32 v220, v113, 16, 8
	v_bfe_u32 v207, v96, 20, 4
	v_bfe_i32 v213, v107, 16, 8
	v_bfe_u32 v198, v102, 24, 4
	v_add3_u32 v126, v117, v92, v93
	v_mul_i32_i24_e32 v92, v218, v211
	v_mul_i32_i24_e32 v93, v216, v209
	v_bfe_u32 v136, v100, 20, 4
	v_mul_i32_i24_e32 v115, v198, v99
	v_bfe_u32 v139, v104, 12, 4
	v_bfe_u32 v141, v102, 12, 4
	v_add3_u32 v125, v116, v92, v93
	v_mul_i32_i24_e32 v92, v220, v210
	v_mul_i32_i24_e32 v93, v213, v207
	v_bfe_u32 v142, v102, 4, 4
	v_bfe_u32 v244, v102, 20, 4
	v_lshrrev_b32_e32 v102, 28, v102
	v_bfe_u32 v138, v104, 4, 4
	v_add3_u32 v127, v109, v92, v93
	ds_load_2addr_b32 v[92:93], v226 offset0:4 offset1:7
	v_bfe_u32 v242, v104, 20, 4
	v_lshrrev_b32_e32 v243, 28, v104
	v_add3_u32 v128, v108, v114, v115
	s_set_vgpr_msb 64                       ;  msbs: dst=1 src0=0 src1=0 src2=0
	v_bfe_i32 v22 /*v278*/, v82, 16, 8
	v_dual_ashrrev_i32 v23 /*v279*/, 24, v82 :: v_dual_lshrrev_b32 v31 /*v287*/, 4, v97
	s_set_vgpr_msb 4                        ;  msbs: dst=0 src0=0 src1=1 src2=0
	v_bfe_u32 v247, v97, 24, 4
	v_bfe_i32 v248, v95, 16, 8
	v_mul_i32_i24_e32 v82, v136, v22 /*v278*/
	v_bfe_i32 v252, v95, 0, 8
	s_set_vgpr_msb 1                        ;  msbs: dst=0 src0=1 src1=0 src2=0
	v_bfe_u32 v206, v31 /*v287*/, 16, 4
	s_set_vgpr_msb 0                        ;  msbs: dst=0 src0=0 src1=0 src2=0
	v_bfe_u32 v241, v97, 4, 4
	s_set_vgpr_msb 64                       ;  msbs: dst=1 src0=0 src1=0 src2=0
	v_bfe_u32 v34 /*v290*/, v101, 8, 4
	v_bfe_u32 v35 /*v291*/, v101, 24, 4
	;; [unrolled: 1-line block ×6, first 2 shown]
	s_set_vgpr_msb 0                        ;  msbs: dst=0 src0=0 src1=0 src2=0
	v_lshrrev_b32_e32 v110, 4, v110
	s_wait_dscnt 0x0
	v_bfe_i32 v240, v92, 8, 8
	v_bfe_i32 v239, v92, 0, 8
	;; [unrolled: 1-line block ×3, first 2 shown]
	v_ashrrev_i32_e32 v92, 24, v92
	v_lshrrev_b16 v110, 8, v110
	v_mul_i32_i24_e32 v98, v240, v121
	v_bfe_i32 v112, v112, 8, 8
	v_mul_i32_i24_e32 v99, v238, v136
	v_mul_i32_i24_e32 v100, v92, v137
	v_bfe_i32 v113, v113, 8, 8
	v_mad_i32_i24 v98, v239, v84, v98
	v_bfe_i32 v106, v106, 8, 8
	v_bfe_i32 v107, v107, 8, 8
	s_delay_alu instid0(VALU_DEP_3) | instskip(SKIP_3) | instid1(VALU_DEP_3)
	v_add3_u32 v131, v98, v99, v100
	v_mul_i32_i24_e32 v98, v240, v139
	v_mul_i32_i24_e32 v99, v238, v242
	;; [unrolled: 1-line block ×3, first 2 shown]
	v_mad_i32_i24 v98, v239, v138, v98
	s_delay_alu instid0(VALU_DEP_1)
	v_add3_u32 v132, v98, v99, v100
	v_mul_i32_i24_e32 v98, v240, v141
	v_mul_i32_i24_e32 v99, v238, v244
	;; [unrolled: 1-line block ×5, first 2 shown]
	v_mad_i32_i24 v98, v239, v142, v98
	s_delay_alu instid0(VALU_DEP_1)
	v_add3_u32 v133, v98, v99, v100
	v_add_nc_u32_e32 v100, 0xc00, v150
	ds_load_2addr_b32 v[98:99], v100 offset0:4 offset1:7
	s_wait_dscnt 0x0
	v_bfe_i32 v250, v98, 8, 8
	v_bfe_i32 v249, v98, 0, 8
	;; [unrolled: 1-line block ×3, first 2 shown]
	v_ashrrev_i32_e32 v246, 24, v98
	s_delay_alu instid0(VALU_DEP_4) | instskip(NEXT) | instid1(VALU_DEP_3)
	v_mul_i32_i24_e32 v104, v250, v121
	v_mul_i32_i24_e32 v98, v245, v136
	s_delay_alu instid0(VALU_DEP_3) | instskip(NEXT) | instid1(VALU_DEP_3)
	v_mul_i32_i24_e32 v108, v246, v137
	v_mad_i32_i24 v104, v249, v84, v104
	s_delay_alu instid0(VALU_DEP_1) | instskip(SKIP_3) | instid1(VALU_DEP_3)
	v_add3_u32 v134, v104, v98, v108
	v_mul_i32_i24_e32 v98, v250, v139
	v_mul_i32_i24_e32 v104, v245, v242
	;; [unrolled: 1-line block ×3, first 2 shown]
	v_mad_i32_i24 v98, v249, v138, v98
	s_delay_alu instid0(VALU_DEP_1)
	v_add3_u32 v135, v98, v104, v108
	v_mul_i32_i24_e32 v98, v250, v141
	v_mul_i32_i24_e32 v104, v245, v244
	;; [unrolled: 1-line block ×5, first 2 shown]
	v_mad_i32_i24 v98, v249, v142, v98
	s_delay_alu instid0(VALU_DEP_1)
	v_add3_u32 v140, v98, v104, v108
	v_add_nc_u32_e32 v98, 0x1000, v150
	ds_load_2addr_b32 v[108:109], v98 offset0:4 offset1:7
	s_wait_dscnt 0x0
	s_set_vgpr_msb 64                       ;  msbs: dst=1 src0=0 src1=0 src2=0
	v_bfe_i32 v3 /*v259*/, v108, 8, 8
	v_bfe_i32 v2 /*v258*/, v108, 0, 8
	s_set_vgpr_msb 0                        ;  msbs: dst=0 src0=0 src1=0 src2=0
	v_bfe_i32 v255, v108, 16, 8
	v_ashrrev_i32_e32 v108, 24, v108
	s_set_vgpr_msb 1                        ;  msbs: dst=0 src0=1 src1=0 src2=0
	v_mul_i32_i24_e32 v104, v3 /*v259*/, v121
	s_set_vgpr_msb 0                        ;  msbs: dst=0 src0=0 src1=0 src2=0
	v_mul_i32_i24_e32 v114, v255, v136
	v_mul_i32_i24_e32 v115, v108, v137
	s_set_vgpr_msb 1                        ;  msbs: dst=0 src0=1 src1=0 src2=0
	v_mad_i32_i24 v104, v2 /*v258*/, v84, v104
	s_set_vgpr_msb 0                        ;  msbs: dst=0 src0=0 src1=0 src2=0
	s_delay_alu instid0(VALU_DEP_1)
	v_add3_u32 v144, v104, v114, v115
	s_set_vgpr_msb 1                        ;  msbs: dst=0 src0=1 src1=0 src2=0
	v_mul_i32_i24_e32 v104, v3 /*v259*/, v139
	s_set_vgpr_msb 0                        ;  msbs: dst=0 src0=0 src1=0 src2=0
	v_mul_i32_i24_e32 v114, v255, v242
	v_mul_i32_i24_e32 v115, v108, v243
	s_set_vgpr_msb 1                        ;  msbs: dst=0 src0=1 src1=0 src2=0
	v_mad_i32_i24 v104, v2 /*v258*/, v138, v104
	s_set_vgpr_msb 0                        ;  msbs: dst=0 src0=0 src1=0 src2=0
	s_delay_alu instid0(VALU_DEP_1)
	v_add3_u32 v145, v104, v114, v115
	s_set_vgpr_msb 1                        ;  msbs: dst=0 src0=1 src1=0 src2=0
	v_mul_i32_i24_e32 v104, v3 /*v259*/, v141
	s_set_vgpr_msb 0                        ;  msbs: dst=0 src0=0 src1=0 src2=0
	v_mul_i32_i24_e32 v114, v255, v244
	v_mul_i32_i24_e32 v115, v108, v102
	;; [unrolled: 1-line block ×3, first 2 shown]
	s_set_vgpr_msb 1                        ;  msbs: dst=0 src0=1 src1=0 src2=0
	v_mad_i32_i24 v104, v2 /*v258*/, v142, v104
	s_set_vgpr_msb 0                        ;  msbs: dst=0 src0=0 src1=0 src2=0
	s_delay_alu instid0(VALU_DEP_1)
	v_add3_u32 v146, v104, v114, v115
	v_add_nc_u32_e32 v104, 0x1400, v150
	ds_load_2addr_b32 v[114:115], v104 offset0:4 offset1:7
	s_wait_dscnt 0x0
	s_set_vgpr_msb 64                       ;  msbs: dst=1 src0=0 src1=0 src2=0
	v_bfe_i32 v7 /*v263*/, v114, 8, 8
	v_bfe_i32 v6 /*v262*/, v114, 0, 8
	;; [unrolled: 1-line block ×3, first 2 shown]
	v_ashrrev_i32_e32 v5 /*v261*/, 24, v114
	s_set_vgpr_msb 1                        ;  msbs: dst=0 src0=1 src1=0 src2=0
	v_mul_i32_i24_e32 v116, v7 /*v263*/, v121
	s_delay_alu instid0(VALU_DEP_3) | instskip(NEXT) | instid1(VALU_DEP_3)
	v_mul_i32_i24_e32 v114, v4 /*v260*/, v136
	v_mul_i32_i24_e32 v117, v5 /*v261*/, v137
	s_delay_alu instid0(VALU_DEP_3) | instskip(SKIP_1) | instid1(VALU_DEP_1)
	v_mad_i32_i24 v116, v6 /*v262*/, v84, v116
	s_set_vgpr_msb 0                        ;  msbs: dst=0 src0=0 src1=0 src2=0
	v_add3_u32 v147, v116, v114, v117
	s_set_vgpr_msb 1                        ;  msbs: dst=0 src0=1 src1=0 src2=0
	v_mul_i32_i24_e32 v114, v7 /*v263*/, v139
	v_mul_i32_i24_e32 v116, v4 /*v260*/, v242
	;; [unrolled: 1-line block ×3, first 2 shown]
	s_delay_alu instid0(VALU_DEP_3) | instskip(SKIP_1) | instid1(VALU_DEP_1)
	v_mad_i32_i24 v114, v6 /*v262*/, v138, v114
	s_set_vgpr_msb 0                        ;  msbs: dst=0 src0=0 src1=0 src2=0
	v_add3_u32 v148, v114, v116, v117
	s_set_vgpr_msb 1                        ;  msbs: dst=0 src0=1 src1=0 src2=0
	v_mul_i32_i24_e32 v114, v7 /*v263*/, v141
	v_mul_i32_i24_e32 v116, v4 /*v260*/, v244
	v_mul_i32_i24_e32 v117, v5 /*v261*/, v102
	s_delay_alu instid0(VALU_DEP_3) | instskip(SKIP_1) | instid1(VALU_DEP_1)
	v_mad_i32_i24 v114, v6 /*v262*/, v142, v114
	s_set_vgpr_msb 0                        ;  msbs: dst=0 src0=0 src1=0 src2=0
	v_add3_u32 v149, v114, v116, v117
	ds_load_2addr_b32 v[116:117], v251 offset0:4 offset1:7
	s_wait_dscnt 0x0
	s_set_vgpr_msb 64                       ;  msbs: dst=1 src0=0 src1=0 src2=0
	v_bfe_i32 v8 /*v264*/, v116, 8, 8
	v_bfe_i32 v9 /*v265*/, v116, 0, 8
	;; [unrolled: 1-line block ×3, first 2 shown]
	v_ashrrev_i32_e32 v11 /*v267*/, 24, v116
	s_set_vgpr_msb 1                        ;  msbs: dst=0 src0=1 src1=0 src2=0
	v_mul_i32_i24_e32 v114, v8 /*v264*/, v121
	s_delay_alu instid0(VALU_DEP_3) | instskip(NEXT) | instid1(VALU_DEP_3)
	v_mul_i32_i24_e32 v116, v10 /*v266*/, v136
	v_mul_i32_i24_e32 v118, v11 /*v267*/, v137
	s_delay_alu instid0(VALU_DEP_3) | instskip(SKIP_1) | instid1(VALU_DEP_1)
	v_mad_i32_i24 v114, v9 /*v265*/, v84, v114
	s_set_vgpr_msb 64                       ;  msbs: dst=1 src0=0 src1=0 src2=0
	v_add3_u32 v12 /*v268*/, v114, v116, v118
	s_set_vgpr_msb 1                        ;  msbs: dst=0 src0=1 src1=0 src2=0
	v_mul_i32_i24_e32 v114, v8 /*v264*/, v139
	v_mul_i32_i24_e32 v116, v10 /*v266*/, v242
	v_mul_i32_i24_e32 v118, v11 /*v267*/, v243
	s_delay_alu instid0(VALU_DEP_3) | instskip(SKIP_1) | instid1(VALU_DEP_1)
	v_mad_i32_i24 v114, v9 /*v265*/, v138, v114
	s_set_vgpr_msb 64                       ;  msbs: dst=1 src0=0 src1=0 src2=0
	v_add3_u32 v13 /*v269*/, v114, v116, v118
	s_set_vgpr_msb 1                        ;  msbs: dst=0 src0=1 src1=0 src2=0
	v_mul_i32_i24_e32 v114, v8 /*v264*/, v141
	v_mul_i32_i24_e32 v116, v10 /*v266*/, v244
	;; [unrolled: 1-line block ×3, first 2 shown]
	s_delay_alu instid0(VALU_DEP_3) | instskip(SKIP_1) | instid1(VALU_DEP_1)
	v_mad_i32_i24 v114, v9 /*v265*/, v142, v114
	s_set_vgpr_msb 64                       ;  msbs: dst=1 src0=0 src1=0 src2=0
	v_add3_u32 v14 /*v270*/, v114, v116, v118
	s_set_vgpr_msb 1                        ;  msbs: dst=0 src0=1 src1=0 src2=0
	ds_load_2addr_b32 v[118:119], v0 /*v256*/ offset0:4 offset1:7
	s_wait_dscnt 0x0
	s_set_vgpr_msb 64                       ;  msbs: dst=1 src0=0 src1=0 src2=0
	v_bfe_i32 v15 /*v271*/, v118, 8, 8
	v_bfe_i32 v16 /*v272*/, v118, 0, 8
	;; [unrolled: 1-line block ×3, first 2 shown]
	v_ashrrev_i32_e32 v18 /*v274*/, 24, v118
	s_set_vgpr_msb 1                        ;  msbs: dst=0 src0=1 src1=0 src2=0
	v_mul_i32_i24_e32 v114, v15 /*v271*/, v121
	s_delay_alu instid0(VALU_DEP_3) | instskip(NEXT) | instid1(VALU_DEP_3)
	v_mul_i32_i24_e32 v116, v17 /*v273*/, v136
	v_mul_i32_i24_e32 v118, v18 /*v274*/, v137
	s_delay_alu instid0(VALU_DEP_3) | instskip(SKIP_1) | instid1(VALU_DEP_1)
	v_mad_i32_i24 v114, v16 /*v272*/, v84, v114
	s_set_vgpr_msb 64                       ;  msbs: dst=1 src0=0 src1=0 src2=0
	v_add3_u32 v19 /*v275*/, v114, v116, v118
	s_set_vgpr_msb 1                        ;  msbs: dst=0 src0=1 src1=0 src2=0
	v_mul_i32_i24_e32 v114, v15 /*v271*/, v139
	v_mul_i32_i24_e32 v116, v17 /*v273*/, v242
	;; [unrolled: 1-line block ×3, first 2 shown]
	s_delay_alu instid0(VALU_DEP_3) | instskip(SKIP_1) | instid1(VALU_DEP_1)
	v_mad_i32_i24 v114, v16 /*v272*/, v138, v114
	s_set_vgpr_msb 64                       ;  msbs: dst=1 src0=0 src1=0 src2=0
	v_add3_u32 v20 /*v276*/, v114, v116, v118
	s_set_vgpr_msb 1                        ;  msbs: dst=0 src0=1 src1=0 src2=0
	v_mul_i32_i24_e32 v114, v15 /*v271*/, v141
	v_mul_i32_i24_e32 v116, v17 /*v273*/, v244
	;; [unrolled: 1-line block ×3, first 2 shown]
	s_delay_alu instid0(VALU_DEP_3) | instskip(SKIP_1) | instid1(VALU_DEP_1)
	v_mad_i32_i24 v114, v16 /*v272*/, v142, v114
	s_set_vgpr_msb 64                       ;  msbs: dst=1 src0=0 src1=0 src2=0
	v_add3_u32 v21 /*v277*/, v114, v116, v118
	s_set_vgpr_msb 4                        ;  msbs: dst=0 src0=0 src1=1 src2=0
	v_mul_i32_i24_e32 v114, v137, v23 /*v279*/
	s_set_vgpr_msb 0                        ;  msbs: dst=0 src0=0 src1=0 src2=0
	v_mul_i32_i24_e32 v116, v142, v235
	v_mul_i32_i24_e32 v118, v141, v234
	s_set_vgpr_msb 64                       ;  msbs: dst=1 src0=0 src1=0 src2=0
	v_add3_u32 v24 /*v280*/, v129, v82, v114
	s_set_vgpr_msb 0                        ;  msbs: dst=0 src0=0 src1=0 src2=0
	v_mul_i32_i24_e32 v82, v138, v235
	v_mul_i32_i24_e32 v114, v139, v234
	s_set_vgpr_msb 64                       ;  msbs: dst=1 src0=0 src1=0 src2=0
	v_add3_u32 v26 /*v282*/, v128, v118, v116
	s_set_vgpr_msb 0                        ;  msbs: dst=0 src0=0 src1=0 src2=0
	v_mul_i32_i24_e32 v116, v123, v136
	v_mul_i32_i24_e32 v118, v122, v137
	;; [unrolled: 1-line block ×3, first 2 shown]
	s_set_vgpr_msb 64                       ;  msbs: dst=1 src0=0 src1=0 src2=0
	v_add3_u32 v25 /*v281*/, v130, v114, v82
	s_set_vgpr_msb 0                        ;  msbs: dst=0 src0=0 src1=0 src2=0
	v_lshrrev_b16 v82, 8, v94
	v_add_nc_u32_e32 v130, 0x1c04, v150
	s_delay_alu instid0(VALU_DEP_2) | instskip(NEXT) | instid1(VALU_DEP_1)
	v_bfe_i32 v94, v82, 0, 8
	v_mul_i32_i24_e32 v82, v94, v121
	ds_load_2addr_b32 v[120:121], v120 offset1:3
	v_mul_i32_i24_e32 v114, v94, v141
	v_mad_i32_i24 v82, v124, v84, v82
	v_mul_i32_i24_e32 v84, v94, v139
	s_delay_alu instid0(VALU_DEP_3) | instskip(SKIP_1) | instid1(VALU_DEP_3)
	v_mad_i32_i24 v114, v124, v142, v114
	s_set_vgpr_msb 64                       ;  msbs: dst=1 src0=0 src1=0 src2=0
	v_add3_u32 v27 /*v283*/, v82, v116, v118
	s_set_vgpr_msb 0                        ;  msbs: dst=0 src0=0 src1=0 src2=0
	v_mad_i32_i24 v84, v124, v138, v84
	v_mul_i32_i24_e32 v82, v123, v242
	v_mul_i32_i24_e32 v116, v122, v243
	v_and_b32_e32 v118, 15, v97
	s_set_vgpr_msb 4                        ;  msbs: dst=0 src0=0 src1=1 src2=0
	v_mul_i32_i24_e32 v242, v242, v22 /*v278*/
	v_mul_i32_i24_e32 v243, v243, v23 /*v279*/
	s_set_vgpr_msb 0                        ;  msbs: dst=0 src0=0 src1=0 src2=0
	v_mul_i32_i24_e32 v108, v227, v108
	s_set_vgpr_msb 64                       ;  msbs: dst=1 src0=0 src1=0 src2=0
	v_add3_u32 v28 /*v284*/, v84, v82, v116
	s_set_vgpr_msb 0                        ;  msbs: dst=0 src0=0 src1=0 src2=0
	v_mul_i32_i24_e32 v82, v123, v244
	v_mul_i32_i24_e32 v84, v122, v102
	s_wait_dscnt 0x0
	s_set_vgpr_msb 64                       ;  msbs: dst=1 src0=0 src1=0 src2=0
	v_ashrrev_i32_e32 v1 /*v257*/, 24, v121
	s_set_vgpr_msb 0                        ;  msbs: dst=0 src0=0 src1=0 src2=0
	v_bfe_u32 v116, v97, 16, 4
	v_bfe_i32 v253, v121, 16, 8
	v_bfe_i32 v254, v121, 0, 8
	s_set_vgpr_msb 64                       ;  msbs: dst=1 src0=0 src1=0 src2=0
	v_add3_u32 v29 /*v285*/, v114, v82, v84
	s_set_vgpr_msb 0                        ;  msbs: dst=0 src0=0 src1=0 src2=0
	v_bfe_i32 v114, v120, 0, 8
	s_set_vgpr_msb 1                        ;  msbs: dst=0 src0=1 src1=0 src2=0
	v_mul_i32_i24_e32 v82, v1 /*v257*/, v247
	v_add_nc_u32_e32 v122, 0xc04, v150
	v_add_nc_u32_e32 v123, 0xc14, v150
	v_add3_u32 v242, v25 /*v281*/, v242, v243
	s_set_vgpr_msb 0                        ;  msbs: dst=0 src0=0 src1=0 src2=0
	v_mul_i32_i24_e32 v84, v159, v114
	s_set_vgpr_msb 4                        ;  msbs: dst=0 src0=0 src1=1 src2=0
	v_mul_i32_i24_e32 v243, v244, v22 /*v278*/
	v_mul_i32_i24_e32 v102, v102, v23 /*v279*/
	;; [unrolled: 1-line block ×3, first 2 shown]
	s_set_vgpr_msb 0x44                     ;  msbs: dst=1 src0=0 src1=1 src2=0
	v_mul_i32_i24_e32 v25 /*v281*/, v236, v40 /*v296*/
	s_set_vgpr_msb 64                       ;  msbs: dst=1 src0=0 src1=0 src2=0
	v_add3_u32 v30 /*v286*/, v126, v82, v84
	s_set_vgpr_msb 0                        ;  msbs: dst=0 src0=0 src1=0 src2=0
	v_mul_i32_i24_e32 v82, v253, v116
	v_mul_i32_i24_e32 v84, v248, v206
	v_add_nc_u32_e32 v126, 0x1404, v150
	s_set_vgpr_msb 1                        ;  msbs: dst=0 src0=1 src1=0 src2=0
	v_add3_u32 v102, v26 /*v282*/, v243, v102
	s_set_vgpr_msb 4                        ;  msbs: dst=0 src0=0 src1=1 src2=0
	v_mul_i32_i24_e32 v243, v112, v34 /*v290*/
	v_mul_i32_i24_e32 v236, v236, v43 /*v299*/
	s_set_vgpr_msb 64                       ;  msbs: dst=1 src0=0 src1=0 src2=0
	v_add3_u32 v32 /*v288*/, v127, v82, v84
	s_set_vgpr_msb 0                        ;  msbs: dst=0 src0=0 src1=0 src2=0
	v_mul_i32_i24_e32 v82, v254, v118
	v_mul_i32_i24_e32 v84, v252, v241
	v_add_nc_u32_e32 v127, 0x1414, v150
	s_set_vgpr_msb 1                        ;  msbs: dst=0 src0=1 src1=0 src2=0
	v_add3_u32 v243, v27 /*v283*/, v244, v243
	s_set_vgpr_msb 4                        ;  msbs: dst=0 src0=0 src1=1 src2=0
	v_mul_i32_i24_e32 v244, v112, v39 /*v295*/
	v_bfe_i32 v121, v121, 8, 8
	s_set_vgpr_msb 64                       ;  msbs: dst=1 src0=0 src1=0 src2=0
	v_add3_u32 v33 /*v289*/, v125, v82, v84
	s_set_vgpr_msb 0                        ;  msbs: dst=0 src0=0 src1=0 src2=0
	v_add_nc_u32_e32 v82, 0x804, v150
	v_add_nc_u32_e32 v84, 0x814, v150
	ds_load_2addr_b32 v[138:139], v82 offset1:1
	ds_load_2addr_b32 v[124:125], v84 offset1:1
	;; [unrolled: 1-line block ×4, first 2 shown]
	s_set_vgpr_msb 5                        ;  msbs: dst=0 src0=1 src1=1 src2=0
	v_add3_u32 v244, v28 /*v284*/, v25 /*v281*/, v244
	s_set_vgpr_msb 0x44                     ;  msbs: dst=1 src0=0 src1=1 src2=0
	v_mul_i32_i24_e32 v25 /*v281*/, v112, v42 /*v298*/
	s_set_vgpr_msb 64                       ;  msbs: dst=1 src0=0 src1=0 src2=0
	v_and_b32_e32 v65 /*v321*/, 15, v101
	v_bfe_u32 v28 /*v284*/, v105, 16, 4
	s_set_vgpr_msb 17                       ;  msbs: dst=0 src0=1 src1=0 src2=1
	v_add3_u32 v236, v29 /*v285*/, v236, v25 /*v281*/
	s_wait_dscnt 0x3
	s_set_vgpr_msb 64                       ;  msbs: dst=1 src0=0 src1=0 src2=0
	v_bfe_i32 v36 /*v292*/, v138, 8, 8
	s_wait_dscnt 0x1
	v_dual_ashrrev_i32 v37 /*v293*/, 24, v138 :: v_dual_ashrrev_i32 v46 /*v302*/, 24, v136
	v_bfe_i32 v45 /*v301*/, v136, 8, 8
	s_set_vgpr_msb 5                        ;  msbs: dst=0 src0=1 src1=1 src2=0
	v_mul_i32_i24_e32 v82, v36 /*v292*/, v34 /*v290*/
	s_delay_alu instid0(VALU_DEP_3) | instskip(SKIP_1) | instid1(VALU_DEP_1)
	v_mul_i32_i24_e32 v84, v37 /*v293*/, v35 /*v291*/
	s_set_vgpr_msb 64                       ;  msbs: dst=1 src0=0 src1=0 src2=0
	v_add3_u32 v38 /*v294*/, v131, v84, v82
	s_set_vgpr_msb 5                        ;  msbs: dst=0 src0=1 src1=1 src2=0
	v_mul_i32_i24_e32 v82, v36 /*v292*/, v39 /*v295*/
	v_mul_i32_i24_e32 v84, v37 /*v293*/, v40 /*v296*/
	s_set_vgpr_msb 0                        ;  msbs: dst=0 src0=0 src1=0 src2=0
	v_add_nc_u32_e32 v131, 0x1c14, v150
	s_set_vgpr_msb 64                       ;  msbs: dst=1 src0=0 src1=0 src2=0
	s_delay_alu instid0(VALU_DEP_2) | instskip(SKIP_4) | instid1(VALU_DEP_1)
	v_add3_u32 v41 /*v297*/, v132, v84, v82
	s_set_vgpr_msb 5                        ;  msbs: dst=0 src0=1 src1=1 src2=0
	v_mul_i32_i24_e32 v82, v36 /*v292*/, v42 /*v298*/
	v_mul_i32_i24_e32 v84, v37 /*v293*/, v43 /*v299*/
	s_set_vgpr_msb 64                       ;  msbs: dst=1 src0=0 src1=0 src2=0
	v_add3_u32 v44 /*v300*/, v133, v84, v82
	s_set_vgpr_msb 5                        ;  msbs: dst=0 src0=1 src1=1 src2=0
	v_mul_i32_i24_e32 v82, v45 /*v301*/, v34 /*v290*/
	v_mul_i32_i24_e32 v84, v46 /*v302*/, v35 /*v291*/
	s_set_vgpr_msb 64                       ;  msbs: dst=1 src0=0 src1=0 src2=0
	s_delay_alu instid0(VALU_DEP_1) | instskip(SKIP_4) | instid1(VALU_DEP_1)
	v_add3_u32 v47 /*v303*/, v134, v84, v82
	s_set_vgpr_msb 5                        ;  msbs: dst=0 src0=1 src1=1 src2=0
	v_mul_i32_i24_e32 v82, v45 /*v301*/, v39 /*v295*/
	v_mul_i32_i24_e32 v84, v46 /*v302*/, v40 /*v296*/
	s_set_vgpr_msb 64                       ;  msbs: dst=1 src0=0 src1=0 src2=0
	v_add3_u32 v48 /*v304*/, v135, v84, v82
	s_set_vgpr_msb 5                        ;  msbs: dst=0 src0=1 src1=1 src2=0
	v_mul_i32_i24_e32 v82, v45 /*v301*/, v42 /*v298*/
	v_mul_i32_i24_e32 v84, v46 /*v302*/, v43 /*v299*/
	s_set_vgpr_msb 64                       ;  msbs: dst=1 src0=0 src1=0 src2=0
	s_delay_alu instid0(VALU_DEP_1)
	v_add3_u32 v49 /*v305*/, v140, v84, v82
	s_set_vgpr_msb 0                        ;  msbs: dst=0 src0=0 src1=0 src2=0
	v_add_nc_u32_e32 v82, 0x1004, v150
	v_add_nc_u32_e32 v84, 0x1014, v150
	ds_load_2addr_b32 v[142:143], v82 offset1:1
	ds_load_2addr_b32 v[128:129], v84 offset1:1
	;; [unrolled: 1-line block ×4, first 2 shown]
	s_wait_dscnt 0x3
	s_set_vgpr_msb 64                       ;  msbs: dst=1 src0=0 src1=0 src2=0
	v_bfe_i32 v50 /*v306*/, v142, 8, 8
	s_wait_dscnt 0x1
	v_dual_ashrrev_i32 v51 /*v307*/, 24, v142 :: v_dual_ashrrev_i32 v56 /*v312*/, 24, v140
	v_bfe_i32 v55 /*v311*/, v140, 8, 8
	s_set_vgpr_msb 5                        ;  msbs: dst=0 src0=1 src1=1 src2=0
	v_mul_i32_i24_e32 v82, v50 /*v306*/, v34 /*v290*/
	s_delay_alu instid0(VALU_DEP_3) | instskip(SKIP_1) | instid1(VALU_DEP_1)
	v_mul_i32_i24_e32 v84, v51 /*v307*/, v35 /*v291*/
	s_set_vgpr_msb 64                       ;  msbs: dst=1 src0=0 src1=0 src2=0
	v_add3_u32 v52 /*v308*/, v144, v84, v82
	s_set_vgpr_msb 5                        ;  msbs: dst=0 src0=1 src1=1 src2=0
	v_mul_i32_i24_e32 v82, v50 /*v306*/, v39 /*v295*/
	v_mul_i32_i24_e32 v84, v51 /*v307*/, v40 /*v296*/
	s_set_vgpr_msb 64                       ;  msbs: dst=1 src0=0 src1=0 src2=0
	s_delay_alu instid0(VALU_DEP_1) | instskip(SKIP_4) | instid1(VALU_DEP_1)
	v_add3_u32 v53 /*v309*/, v145, v84, v82
	s_set_vgpr_msb 5                        ;  msbs: dst=0 src0=1 src1=1 src2=0
	v_mul_i32_i24_e32 v82, v50 /*v306*/, v42 /*v298*/
	v_mul_i32_i24_e32 v84, v51 /*v307*/, v43 /*v299*/
	s_set_vgpr_msb 64                       ;  msbs: dst=1 src0=0 src1=0 src2=0
	v_add3_u32 v54 /*v310*/, v146, v84, v82
	s_set_vgpr_msb 5                        ;  msbs: dst=0 src0=1 src1=1 src2=0
	v_mul_i32_i24_e32 v82, v55 /*v311*/, v34 /*v290*/
	v_mul_i32_i24_e32 v84, v56 /*v312*/, v35 /*v291*/
	s_set_vgpr_msb 64                       ;  msbs: dst=1 src0=0 src1=0 src2=0
	s_delay_alu instid0(VALU_DEP_1) | instskip(SKIP_4) | instid1(VALU_DEP_1)
	v_add3_u32 v57 /*v313*/, v147, v84, v82
	s_set_vgpr_msb 5                        ;  msbs: dst=0 src0=1 src1=1 src2=0
	v_mul_i32_i24_e32 v82, v55 /*v311*/, v39 /*v295*/
	v_mul_i32_i24_e32 v84, v56 /*v312*/, v40 /*v296*/
	s_set_vgpr_msb 64                       ;  msbs: dst=1 src0=0 src1=0 src2=0
	v_add3_u32 v58 /*v314*/, v148, v84, v82
	s_set_vgpr_msb 5                        ;  msbs: dst=0 src0=1 src1=1 src2=0
	v_mul_i32_i24_e32 v82, v55 /*v311*/, v42 /*v298*/
	v_mul_i32_i24_e32 v84, v56 /*v312*/, v43 /*v299*/
	s_set_vgpr_msb 64                       ;  msbs: dst=1 src0=0 src1=0 src2=0
	s_delay_alu instid0(VALU_DEP_1)
	v_add3_u32 v59 /*v315*/, v149, v84, v82
	s_set_vgpr_msb 0                        ;  msbs: dst=0 src0=0 src1=0 src2=0
	v_add_nc_u32_e32 v82, 0x1804, v150
	v_add_nc_u32_e32 v84, 0x1814, v150
	ds_load_2addr_b32 v[146:147], v82 offset1:1
	ds_load_2addr_b32 v[132:133], v84 offset1:1
	;; [unrolled: 1-line block ×4, first 2 shown]
	s_wait_dscnt 0x3
	s_set_vgpr_msb 64                       ;  msbs: dst=1 src0=0 src1=0 src2=0
	v_bfe_i32 v60 /*v316*/, v146, 8, 8
	s_wait_dscnt 0x1
	v_dual_ashrrev_i32 v61 /*v317*/, 24, v146 :: v_dual_ashrrev_i32 v63 /*v319*/, 24, v144
	v_bfe_i32 v62 /*v318*/, v144, 8, 8
	s_set_vgpr_msb 5                        ;  msbs: dst=0 src0=1 src1=1 src2=0
	v_mul_i32_i24_e32 v82, v60 /*v316*/, v34 /*v290*/
	s_delay_alu instid0(VALU_DEP_3) | instskip(SKIP_1) | instid1(VALU_DEP_1)
	v_mul_i32_i24_e32 v84, v61 /*v317*/, v35 /*v291*/
	s_set_vgpr_msb 0x41                     ;  msbs: dst=1 src0=1 src1=0 src2=0
	v_add3_u32 v12 /*v268*/, v12 /*v268*/, v84, v82
	s_set_vgpr_msb 5                        ;  msbs: dst=0 src0=1 src1=1 src2=0
	v_mul_i32_i24_e32 v82, v60 /*v316*/, v39 /*v295*/
	v_mul_i32_i24_e32 v84, v61 /*v317*/, v40 /*v296*/
	s_set_vgpr_msb 0x41                     ;  msbs: dst=1 src0=1 src1=0 src2=0
	s_delay_alu instid0(VALU_DEP_1) | instskip(SKIP_4) | instid1(VALU_DEP_1)
	v_add3_u32 v13 /*v269*/, v13 /*v269*/, v84, v82
	s_set_vgpr_msb 5                        ;  msbs: dst=0 src0=1 src1=1 src2=0
	v_mul_i32_i24_e32 v82, v60 /*v316*/, v42 /*v298*/
	v_mul_i32_i24_e32 v84, v61 /*v317*/, v43 /*v299*/
	s_set_vgpr_msb 0x41                     ;  msbs: dst=1 src0=1 src1=0 src2=0
	v_add3_u32 v14 /*v270*/, v14 /*v270*/, v84, v82
	s_set_vgpr_msb 5                        ;  msbs: dst=0 src0=1 src1=1 src2=0
	v_mul_i32_i24_e32 v82, v62 /*v318*/, v34 /*v290*/
	v_mul_i32_i24_e32 v84, v63 /*v319*/, v35 /*v291*/
	s_set_vgpr_msb 0x41                     ;  msbs: dst=1 src0=1 src1=0 src2=0
	s_delay_alu instid0(VALU_DEP_1) | instskip(SKIP_4) | instid1(VALU_DEP_1)
	v_add3_u32 v19 /*v275*/, v19 /*v275*/, v84, v82
	s_set_vgpr_msb 5                        ;  msbs: dst=0 src0=1 src1=1 src2=0
	v_mul_i32_i24_e32 v82, v62 /*v318*/, v39 /*v295*/
	v_mul_i32_i24_e32 v84, v63 /*v319*/, v40 /*v296*/
	s_set_vgpr_msb 0x41                     ;  msbs: dst=1 src0=1 src1=0 src2=0
	v_add3_u32 v20 /*v276*/, v20 /*v276*/, v84, v82
	s_set_vgpr_msb 5                        ;  msbs: dst=0 src0=1 src1=1 src2=0
	v_mul_i32_i24_e32 v82, v62 /*v318*/, v42 /*v298*/
	v_mul_i32_i24_e32 v84, v63 /*v319*/, v43 /*v299*/
	s_set_vgpr_msb 0x41                     ;  msbs: dst=1 src0=1 src1=0 src2=0
	s_delay_alu instid0(VALU_DEP_1)
	v_add3_u32 v21 /*v277*/, v21 /*v277*/, v84, v82
	s_set_vgpr_msb 0                        ;  msbs: dst=0 src0=0 src1=0 src2=0
	ds_load_2addr_b32 v[148:149], v150 offset0:1 offset1:2
	ds_load_2addr_b32 v[134:135], v150 offset0:5 offset1:6
	ds_load_b32 v82, v152
	ds_load_b32 v84, v153
	v_dual_add_nc_u32 v153, 4, v153 :: v_dual_bitop2_b32 v110, 15, v110 bitop3:0x40
	v_dual_add_nc_u32 v152, 4, v152 :: v_dual_add_nc_u32 v150, 32, v150
	s_delay_alu instid0(VALU_DEP_2) | instskip(NEXT) | instid1(VALU_DEP_1)
	v_and_b32_e32 v110, 0xffff, v110
	v_mul_i32_i24_e32 v234, v110, v234
	v_mul_i32_i24_e32 v240, v110, v240
	;; [unrolled: 1-line block ×3, first 2 shown]
	s_set_vgpr_msb 0x44                     ;  msbs: dst=1 src0=0 src1=1 src2=0
	v_mul_i32_i24_e32 v3 /*v259*/, v110, v3 /*v259*/
	v_mul_i32_i24_e32 v7 /*v263*/, v110, v7 /*v263*/
	s_set_vgpr_msb 0                        ;  msbs: dst=0 src0=0 src1=0 src2=0
	v_add3_u32 v234, v237, v234, v235
	v_and_b32_e32 v235, 0xf0f0f0f, v111
	v_lshrrev_b32_e32 v111, 4, v111
	s_wait_dscnt 0x3
	s_set_vgpr_msb 0x44                     ;  msbs: dst=1 src0=0 src1=1 src2=0
	v_bfe_i32 v64 /*v320*/, v148, 0, 8
	v_bfe_i32 v66 /*v322*/, v148, 8, 8
	v_mul_i32_i24_e32 v8 /*v264*/, v110, v8 /*v264*/
	s_set_vgpr_msb 0                        ;  msbs: dst=0 src0=0 src1=0 src2=0
	v_lshrrev_b16 v235, 8, v235
	v_lshrrev_b16 v111, 8, v111
	s_set_vgpr_msb 0x45                     ;  msbs: dst=1 src0=1 src1=1 src2=0
	v_mul_i32_i24_e32 v67 /*v323*/, v64 /*v320*/, v65 /*v321*/
	v_mul_i32_i24_e32 v68 /*v324*/, v66 /*v322*/, v34 /*v290*/
	s_set_vgpr_msb 0                        ;  msbs: dst=0 src0=0 src1=0 src2=0
	v_mad_i32_i24 v239, v233, v239, v240
	v_and_b32_e32 v235, 0xffff, v235
	v_and_b32_e32 v111, 15, v111
	v_mad_i32_i24 v240, v233, v249, v250
	s_set_vgpr_msb 20                       ;  msbs: dst=0 src0=0 src1=1 src2=1
	v_mad_i32_i24 v249, v233, v2 /*v258*/, v3 /*v259*/
	v_mad_i32_i24 v250, v233, v6 /*v262*/, v7 /*v263*/
	s_set_vgpr_msb 0                        ;  msbs: dst=0 src0=0 src1=0 src2=0
	v_mul_i32_i24_e32 v112, v112, v235
	s_set_vgpr_msb 0x54                     ;  msbs: dst=1 src0=0 src1=1 src2=1
	v_mad_i32_i24 v2 /*v258*/, v233, v9 /*v265*/, v8 /*v264*/
	s_set_vgpr_msb 0x55                     ;  msbs: dst=1 src0=1 src1=1 src2=1
	v_add3_u32 v24 /*v280*/, v24 /*v280*/, v68 /*v324*/, v67 /*v323*/
	s_set_vgpr_msb 0                        ;  msbs: dst=0 src0=0 src1=0 src2=0
	v_add3_u32 v92, v239, v238, v92
	v_bfe_i32 v238, v122, 0, 8
	v_mad_i32_i24 v94, v94, v110, v112
	v_and_b32_e32 v112, 0xf0f0f0f, v96
	v_lshrrev_b32_e32 v96, 4, v96
	v_and_b32_e32 v237, 0xffff, v111
	s_set_vgpr_msb 4                        ;  msbs: dst=0 src0=0 src1=1 src2=0
	v_mul_i32_i24_e32 v110, v110, v15 /*v271*/
	s_set_vgpr_msb 64                       ;  msbs: dst=1 src0=0 src1=0 src2=0
	v_lshrrev_b32_e32 v15 /*v271*/, 28, v105
	s_set_vgpr_msb 0                        ;  msbs: dst=0 src0=0 src1=0 src2=0
	v_lshrrev_b16 v112, 8, v112
	v_lshrrev_b16 v96, 8, v96
	s_set_vgpr_msb 64                       ;  msbs: dst=1 src0=0 src1=0 src2=0
	v_mul_i32_i24_e32 v25 /*v281*/, v106, v237
	s_set_vgpr_msb 4                        ;  msbs: dst=0 src0=0 src1=1 src2=0
	v_mad_i32_i24 v110, v233, v16 /*v272*/, v110
	s_set_vgpr_msb 0                        ;  msbs: dst=0 src0=0 src1=0 src2=0
	v_ashrrev_i32_e32 v233, 24, v148
	v_and_b32_e32 v112, 0xffff, v112
	v_bfe_i32 v148, v148, 16, 8
	v_dual_ashrrev_i32 v239, 24, v122 :: v_dual_bitop2_b32 v96, 15, v96 bitop3:0x40
	s_set_vgpr_msb 0x44                     ;  msbs: dst=1 src0=0 src1=1 src2=0
	v_mul_i32_i24_e32 v3 /*v259*/, v233, v35 /*v291*/
	s_set_vgpr_msb 0                        ;  msbs: dst=0 src0=0 src1=0 src2=0
	v_mul_i32_i24_e32 v111, v113, v112
	v_add3_u32 v240, v240, v245, v246
	v_ashrrev_i32_e32 v246, 24, v128
	v_bfe_i32 v245, v128, 0, 8
	v_add3_u32 v249, v249, v255, v108
	s_set_vgpr_msb 4                        ;  msbs: dst=0 src0=0 src1=1 src2=0
	v_add3_u32 v94, v94, v25 /*v281*/, v111
	v_bfe_u32 v111, v101, 16, 4
	s_set_vgpr_msb 64                       ;  msbs: dst=1 src0=0 src1=0 src2=0
	v_bfe_i32 v25 /*v281*/, v138, 0, 8
	s_set_vgpr_msb 0                        ;  msbs: dst=0 src0=0 src1=0 src2=0
	v_bfe_i32 v138, v138, 16, 8
	v_bfe_i32 v255, v126, 0, 8
	s_set_vgpr_msb 64                       ;  msbs: dst=1 src0=0 src1=0 src2=0
	v_mul_i32_i24_e32 v6 /*v262*/, v148, v111
	s_set_vgpr_msb 0x45                     ;  msbs: dst=1 src0=1 src1=1 src2=0
	v_mul_i32_i24_e32 v26 /*v282*/, v25 /*v281*/, v65 /*v321*/
	s_set_vgpr_msb 64                       ;  msbs: dst=1 src0=0 src1=0 src2=0
	v_mul_i32_i24_e32 v27 /*v283*/, v138, v111
	s_set_vgpr_msb 0x44                     ;  msbs: dst=1 src0=0 src1=1 src2=0
	v_mul_i32_i24_e32 v34 /*v290*/, v138, v28 /*v284*/
	s_set_vgpr_msb 0x55                     ;  msbs: dst=1 src0=1 src1=1 src2=1
	v_add3_u32 v3 /*v259*/, v24 /*v280*/, v6 /*v262*/, v3 /*v259*/
	v_mul_i32_i24_e32 v6 /*v262*/, v66 /*v322*/, v39 /*v295*/
	v_add3_u32 v26 /*v282*/, v38 /*v294*/, v26 /*v282*/, v27 /*v283*/
	s_set_vgpr_msb 64                       ;  msbs: dst=1 src0=0 src1=0 src2=0
	v_and_b32_e32 v27 /*v283*/, 15, v105
	v_bfe_u32 v38 /*v294*/, v103, 16, 4
	s_set_vgpr_msb 0x44                     ;  msbs: dst=1 src0=0 src1=1 src2=0
	v_mul_i32_i24_e32 v39 /*v295*/, v246, v15 /*v271*/
	s_set_vgpr_msb 0x45                     ;  msbs: dst=1 src0=1 src1=1 src2=0
	v_mul_i32_i24_e32 v29 /*v285*/, v25 /*v281*/, v27 /*v283*/
	s_set_vgpr_msb 0x44                     ;  msbs: dst=1 src0=0 src1=1 src2=0
	v_mul_i32_i24_e32 v67 /*v323*/, v138, v38 /*v294*/
	s_set_vgpr_msb 0x45                     ;  msbs: dst=1 src0=1 src1=1 src2=0
	v_mul_i32_i24_e32 v7 /*v263*/, v64 /*v320*/, v27 /*v283*/
	s_set_vgpr_msb 0                        ;  msbs: dst=0 src0=0 src1=0 src2=0
	v_mul_i32_i24_e32 v138, v138, v222
	s_set_vgpr_msb 0x55                     ;  msbs: dst=1 src0=1 src1=1 src2=1
	v_add3_u32 v29 /*v285*/, v41 /*v297*/, v29 /*v285*/, v34 /*v290*/
	s_set_vgpr_msb 64                       ;  msbs: dst=1 src0=0 src1=0 src2=0
	v_and_b32_e32 v34 /*v290*/, 15, v103
	s_set_vgpr_msb 20                       ;  msbs: dst=0 src0=0 src1=1 src2=1
	v_add3_u32 v242, v242, v6 /*v262*/, v7 /*v263*/
	s_set_vgpr_msb 0x55                     ;  msbs: dst=1 src0=1 src1=1 src2=1
	v_mul_i32_i24_e32 v6 /*v262*/, v66 /*v322*/, v42 /*v298*/
	v_mul_i32_i24_e32 v41 /*v297*/, v25 /*v281*/, v34 /*v290*/
	;; [unrolled: 1-line block ×3, first 2 shown]
	s_delay_alu instid0(VALU_DEP_2)
	v_add3_u32 v41 /*v297*/, v44 /*v300*/, v41 /*v297*/, v67 /*v323*/
	s_set_vgpr_msb 64                       ;  msbs: dst=1 src0=0 src1=0 src2=0
	v_bfe_i32 v44 /*v300*/, v136, 0, 8
	s_set_vgpr_msb 20                       ;  msbs: dst=0 src0=0 src1=1 src2=1
	v_bfe_i32 v136, v136, 16, 8
	v_add3_u32 v102, v102, v6 /*v262*/, v7 /*v263*/
	s_set_vgpr_msb 64                       ;  msbs: dst=1 src0=0 src1=0 src2=0
	v_ashrrev_i32_e32 v7 /*v263*/, 24, v124
	s_set_vgpr_msb 0x44                     ;  msbs: dst=1 src0=0 src1=1 src2=0
	v_mul_i32_i24_e32 v6 /*v262*/, v232, v65 /*v321*/
	s_set_vgpr_msb 0x45                     ;  msbs: dst=1 src0=1 src1=1 src2=0
	v_mul_i32_i24_e32 v67 /*v323*/, v44 /*v300*/, v65 /*v321*/
	s_set_vgpr_msb 64                       ;  msbs: dst=1 src0=0 src1=0 src2=0
	v_mul_i32_i24_e32 v68 /*v324*/, v136, v111
	s_set_vgpr_msb 0x55                     ;  msbs: dst=1 src0=1 src1=1 src2=1
	s_delay_alu instid0(VALU_DEP_1) | instskip(SKIP_4) | instid1(VALU_DEP_1)
	v_add3_u32 v47 /*v303*/, v47 /*v303*/, v67 /*v323*/, v68 /*v324*/
	v_mul_i32_i24_e32 v67 /*v323*/, v44 /*v300*/, v27 /*v283*/
	s_set_vgpr_msb 0x44                     ;  msbs: dst=1 src0=0 src1=1 src2=0
	v_mul_i32_i24_e32 v68 /*v324*/, v136, v28 /*v284*/
	s_set_vgpr_msb 0x55                     ;  msbs: dst=1 src0=1 src1=1 src2=1
	v_add3_u32 v48 /*v304*/, v48 /*v304*/, v67 /*v323*/, v68 /*v324*/
	v_mul_i32_i24_e32 v67 /*v323*/, v44 /*v300*/, v34 /*v290*/
	s_set_vgpr_msb 0x44                     ;  msbs: dst=1 src0=0 src1=1 src2=0
	v_mul_i32_i24_e32 v68 /*v324*/, v136, v38 /*v294*/
	s_set_vgpr_msb 0                        ;  msbs: dst=0 src0=0 src1=0 src2=0
	v_mul_i32_i24_e32 v136, v136, v222
	s_set_vgpr_msb 0x55                     ;  msbs: dst=1 src0=1 src1=1 src2=1
	s_delay_alu instid0(VALU_DEP_2)
	v_add3_u32 v49 /*v305*/, v49 /*v305*/, v67 /*v323*/, v68 /*v324*/
	s_set_vgpr_msb 64                       ;  msbs: dst=1 src0=0 src1=0 src2=0
	v_bfe_i32 v67 /*v323*/, v142, 0, 8
	s_set_vgpr_msb 0                        ;  msbs: dst=0 src0=0 src1=0 src2=0
	v_bfe_i32 v142, v142, 16, 8
	s_set_vgpr_msb 0x45                     ;  msbs: dst=1 src0=1 src1=1 src2=0
	s_delay_alu instid0(VALU_DEP_2) | instskip(SKIP_1) | instid1(VALU_DEP_2)
	v_mul_i32_i24_e32 v68 /*v324*/, v67 /*v323*/, v65 /*v321*/
	s_set_vgpr_msb 64                       ;  msbs: dst=1 src0=0 src1=0 src2=0
	v_mul_i32_i24_e32 v69 /*v325*/, v142, v111
	s_set_vgpr_msb 0x55                     ;  msbs: dst=1 src0=1 src1=1 src2=1
	s_delay_alu instid0(VALU_DEP_1) | instskip(SKIP_4) | instid1(VALU_DEP_1)
	v_add3_u32 v52 /*v308*/, v52 /*v308*/, v68 /*v324*/, v69 /*v325*/
	v_mul_i32_i24_e32 v68 /*v324*/, v67 /*v323*/, v27 /*v283*/
	s_set_vgpr_msb 0x44                     ;  msbs: dst=1 src0=0 src1=1 src2=0
	v_mul_i32_i24_e32 v69 /*v325*/, v142, v28 /*v284*/
	s_set_vgpr_msb 0x55                     ;  msbs: dst=1 src0=1 src1=1 src2=1
	v_add3_u32 v53 /*v309*/, v53 /*v309*/, v68 /*v324*/, v69 /*v325*/
	v_mul_i32_i24_e32 v68 /*v324*/, v67 /*v323*/, v34 /*v290*/
	s_set_vgpr_msb 0x44                     ;  msbs: dst=1 src0=0 src1=1 src2=0
	v_mul_i32_i24_e32 v69 /*v325*/, v142, v38 /*v294*/
	s_set_vgpr_msb 0                        ;  msbs: dst=0 src0=0 src1=0 src2=0
	v_mul_i32_i24_e32 v142, v142, v222
	s_set_vgpr_msb 0x55                     ;  msbs: dst=1 src0=1 src1=1 src2=1
	s_delay_alu instid0(VALU_DEP_2)
	v_add3_u32 v54 /*v310*/, v54 /*v310*/, v68 /*v324*/, v69 /*v325*/
	s_set_vgpr_msb 64                       ;  msbs: dst=1 src0=0 src1=0 src2=0
	v_bfe_i32 v68 /*v324*/, v140, 0, 8
	s_set_vgpr_msb 0                        ;  msbs: dst=0 src0=0 src1=0 src2=0
	v_bfe_i32 v140, v140, 16, 8
	s_set_vgpr_msb 0x45                     ;  msbs: dst=1 src0=1 src1=1 src2=0
	s_delay_alu instid0(VALU_DEP_2) | instskip(SKIP_1) | instid1(VALU_DEP_2)
	;; [unrolled: 25-line block ×4, first 2 shown]
	v_mul_i32_i24_e32 v71 /*v327*/, v70 /*v326*/, v65 /*v321*/
	s_set_vgpr_msb 64                       ;  msbs: dst=1 src0=0 src1=0 src2=0
	v_mul_i32_i24_e32 v72 /*v328*/, v144, v111
	s_set_vgpr_msb 0                        ;  msbs: dst=0 src0=0 src1=0 src2=0
	v_mul_i32_i24_e32 v111, v231, v111
	s_set_vgpr_msb 0x55                     ;  msbs: dst=1 src0=1 src1=1 src2=1
	s_delay_alu instid0(VALU_DEP_2) | instskip(SKIP_1) | instid1(VALU_DEP_2)
	v_add3_u32 v19 /*v275*/, v19 /*v275*/, v71 /*v327*/, v72 /*v328*/
	s_set_vgpr_msb 4                        ;  msbs: dst=0 src0=0 src1=1 src2=0
	v_add3_u32 v243, v243, v6 /*v262*/, v111
	v_mul_i32_i24_e32 v111, v232, v27 /*v283*/
	s_set_vgpr_msb 0x44                     ;  msbs: dst=1 src0=0 src1=1 src2=0
	v_mul_i32_i24_e32 v6 /*v262*/, v231, v28 /*v284*/
	s_set_vgpr_msb 4                        ;  msbs: dst=0 src0=0 src1=1 src2=0
	v_mul_i32_i24_e32 v231, v231, v38 /*v294*/
	s_set_vgpr_msb 0x45                     ;  msbs: dst=1 src0=1 src1=1 src2=0
	v_mul_i32_i24_e32 v71 /*v327*/, v70 /*v326*/, v27 /*v283*/
	s_set_vgpr_msb 0x44                     ;  msbs: dst=1 src0=0 src1=1 src2=0
	v_mul_i32_i24_e32 v72 /*v328*/, v144, v28 /*v284*/
	s_set_vgpr_msb 16                       ;  msbs: dst=0 src0=0 src1=0 src2=1
	v_add3_u32 v244, v244, v111, v6 /*v262*/
	s_set_vgpr_msb 4                        ;  msbs: dst=0 src0=0 src1=1 src2=0
	v_mul_i32_i24_e32 v111, v232, v34 /*v290*/
	v_mul_i32_i24_e32 v232, v227, v23 /*v279*/
	s_set_vgpr_msb 64                       ;  msbs: dst=1 src0=0 src1=0 src2=0
	v_bfe_i32 v6 /*v262*/, v124, 0, 8
	v_lshrrev_b32_e32 v23 /*v279*/, 28, v103
	s_set_vgpr_msb 0x55                     ;  msbs: dst=1 src0=1 src1=1 src2=1
	v_add3_u32 v20 /*v276*/, v20 /*v276*/, v71 /*v327*/, v72 /*v328*/
	s_set_vgpr_msb 0                        ;  msbs: dst=0 src0=0 src1=0 src2=0
	v_add3_u32 v231, v236, v111, v231
	s_set_vgpr_msb 4                        ;  msbs: dst=0 src0=0 src1=1 src2=0
	v_mul_i32_i24_e32 v111, v230, v22 /*v278*/
	s_set_vgpr_msb 0x45                     ;  msbs: dst=1 src0=1 src1=1 src2=0
	v_mul_i32_i24_e32 v22 /*v278*/, v7 /*v263*/, v15 /*v271*/
	v_mul_i32_i24_e32 v71 /*v327*/, v70 /*v326*/, v34 /*v290*/
	s_set_vgpr_msb 0x44                     ;  msbs: dst=1 src0=0 src1=1 src2=0
	v_mul_i32_i24_e32 v34 /*v290*/, v239, v23 /*v279*/
	v_mul_i32_i24_e32 v72 /*v328*/, v144, v38 /*v294*/
	s_set_vgpr_msb 0                        ;  msbs: dst=0 src0=0 src1=0 src2=0
	v_add3_u32 v232, v234, v111, v232
	v_and_b32_e32 v111, 0xf0f0f0f, v97
	v_and_b32_e32 v234, 0xffff, v96
	v_mul_i32_i24_e32 v144, v144, v222
	s_set_vgpr_msb 0x55                     ;  msbs: dst=1 src0=1 src1=1 src2=1
	v_add3_u32 v21 /*v277*/, v21 /*v277*/, v71 /*v327*/, v72 /*v328*/
	s_set_vgpr_msb 0                        ;  msbs: dst=0 src0=0 src1=0 src2=0
	v_lshrrev_b16 v111, 8, v111
	v_mul_i32_i24_e32 v236, v107, v234
	s_delay_alu instid0(VALU_DEP_2) | instskip(NEXT) | instid1(VALU_DEP_1)
	v_and_b32_e32 v111, 0xffff, v111
	v_mul_i32_i24_e32 v96, v121, v111
	s_delay_alu instid0(VALU_DEP_1) | instskip(SKIP_3) | instid1(VALU_DEP_2)
	v_add3_u32 v94, v94, v236, v96
	v_bfe_u32 v96, v101, 4, 4
	v_lshrrev_b32_e32 v236, 28, v101
	s_set_vgpr_msb 0x41                     ;  msbs: dst=1 src0=1 src1=0 src2=0
	v_mul_i32_i24_e32 v8 /*v264*/, v6 /*v262*/, v96
	s_delay_alu instid0(VALU_DEP_2)
	v_mul_i32_i24_e32 v9 /*v265*/, v7 /*v263*/, v236
	s_set_vgpr_msb 64                       ;  msbs: dst=1 src0=0 src1=0 src2=0
	v_mul_i32_i24_e32 v27 /*v283*/, v239, v236
	v_mul_i32_i24_e32 v35 /*v291*/, v246, v236
	s_set_vgpr_msb 0                        ;  msbs: dst=0 src0=0 src1=0 src2=0
	v_mul_i32_i24_e32 v108, v255, v96
	s_set_vgpr_msb 0x55                     ;  msbs: dst=1 src0=1 src1=1 src2=1
	v_add3_u32 v8 /*v264*/, v26 /*v282*/, v9 /*v265*/, v8 /*v264*/
	s_set_vgpr_msb 64                       ;  msbs: dst=1 src0=0 src1=0 src2=0
	v_bfe_u32 v9 /*v265*/, v105, 4, 4
	s_set_vgpr_msb 0x45                     ;  msbs: dst=1 src0=1 src1=1 src2=0
	v_mul_i32_i24_e32 v26 /*v282*/, v7 /*v263*/, v23 /*v279*/
	s_set_vgpr_msb 0x41                     ;  msbs: dst=1 src0=1 src1=0 src2=0
	v_mul_i32_i24_e32 v7 /*v263*/, v7 /*v263*/, v217
	s_set_vgpr_msb 0x55                     ;  msbs: dst=1 src0=1 src1=1 src2=1
	v_mul_i32_i24_e32 v16 /*v272*/, v6 /*v262*/, v9 /*v265*/
	s_delay_alu instid0(VALU_DEP_1)
	v_add3_u32 v16 /*v272*/, v29 /*v285*/, v22 /*v278*/, v16 /*v272*/
	s_set_vgpr_msb 0x44                     ;  msbs: dst=1 src0=0 src1=1 src2=0
	v_bfe_u32 v22 /*v278*/, v103, 4, 4
	v_mul_i32_i24_e32 v29 /*v285*/, v239, v15 /*v271*/
	s_set_vgpr_msb 0                        ;  msbs: dst=0 src0=0 src1=0 src2=0
	v_mul_i32_i24_e32 v239, v239, v217
	s_set_vgpr_msb 0x45                     ;  msbs: dst=1 src0=1 src1=1 src2=0
	v_mul_i32_i24_e32 v24 /*v280*/, v6 /*v262*/, v22 /*v278*/
	s_set_vgpr_msb 0x41                     ;  msbs: dst=1 src0=1 src1=0 src2=0
	v_mul_i32_i24_e32 v6 /*v262*/, v6 /*v262*/, v219
	s_set_vgpr_msb 0x55                     ;  msbs: dst=1 src0=1 src1=1 src2=1
	s_delay_alu instid0(VALU_DEP_2)
	v_add3_u32 v24 /*v280*/, v41 /*v297*/, v26 /*v282*/, v24 /*v280*/
	s_set_vgpr_msb 64                       ;  msbs: dst=1 src0=0 src1=0 src2=0
	v_mul_i32_i24_e32 v26 /*v282*/, v238, v96
	s_set_vgpr_msb 0x44                     ;  msbs: dst=1 src0=0 src1=1 src2=0
	v_mul_i32_i24_e32 v41 /*v297*/, v246, v23 /*v279*/
	s_set_vgpr_msb 0                        ;  msbs: dst=0 src0=0 src1=0 src2=0
	v_mul_i32_i24_e32 v246, v246, v217
	s_set_vgpr_msb 0x55                     ;  msbs: dst=1 src0=1 src1=1 src2=1
	v_add3_u32 v26 /*v282*/, v47 /*v303*/, v27 /*v283*/, v26 /*v282*/
	s_set_vgpr_msb 0x44                     ;  msbs: dst=1 src0=0 src1=1 src2=0
	v_mul_i32_i24_e32 v27 /*v283*/, v238, v9 /*v265*/
	s_set_vgpr_msb 0x55                     ;  msbs: dst=1 src0=1 src1=1 src2=1
	s_delay_alu instid0(VALU_DEP_1)
	v_add3_u32 v27 /*v283*/, v48 /*v304*/, v29 /*v285*/, v27 /*v283*/
	s_set_vgpr_msb 0x44                     ;  msbs: dst=1 src0=0 src1=1 src2=0
	v_mul_i32_i24_e32 v29 /*v285*/, v238, v22 /*v278*/
	s_set_vgpr_msb 0                        ;  msbs: dst=0 src0=0 src1=0 src2=0
	v_mul_i32_i24_e32 v238, v238, v219
	s_set_vgpr_msb 0x55                     ;  msbs: dst=1 src0=1 src1=1 src2=1
	s_delay_alu instid0(VALU_DEP_2) | instskip(SKIP_3) | instid1(VALU_DEP_1)
	v_add3_u32 v29 /*v285*/, v49 /*v305*/, v34 /*v290*/, v29 /*v285*/
	s_set_vgpr_msb 64                       ;  msbs: dst=1 src0=0 src1=0 src2=0
	v_mul_i32_i24_e32 v34 /*v290*/, v245, v96
	s_set_vgpr_msb 0x55                     ;  msbs: dst=1 src0=1 src1=1 src2=1
	v_add3_u32 v34 /*v290*/, v52 /*v308*/, v35 /*v291*/, v34 /*v290*/
	s_set_vgpr_msb 0x44                     ;  msbs: dst=1 src0=0 src1=1 src2=0
	v_mul_i32_i24_e32 v35 /*v291*/, v245, v9 /*v265*/
	s_set_vgpr_msb 0x55                     ;  msbs: dst=1 src0=1 src1=1 src2=1
	s_delay_alu instid0(VALU_DEP_1)
	v_add3_u32 v35 /*v291*/, v53 /*v309*/, v39 /*v295*/, v35 /*v291*/
	s_set_vgpr_msb 0x44                     ;  msbs: dst=1 src0=0 src1=1 src2=0
	v_mul_i32_i24_e32 v39 /*v295*/, v245, v22 /*v278*/
	s_set_vgpr_msb 0                        ;  msbs: dst=0 src0=0 src1=0 src2=0
	v_mul_i32_i24_e32 v245, v245, v219
	s_set_vgpr_msb 0x55                     ;  msbs: dst=1 src0=1 src1=1 src2=1
	s_delay_alu instid0(VALU_DEP_2) | instskip(SKIP_2) | instid1(VALU_DEP_1)
	v_add3_u32 v39 /*v295*/, v54 /*v310*/, v41 /*v297*/, v39 /*v295*/
	s_set_vgpr_msb 0x41                     ;  msbs: dst=1 src0=1 src1=0 src2=0
	v_ashrrev_i32_e32 v41 /*v297*/, 24, v126
	v_mul_i32_i24_e32 v42 /*v298*/, v41 /*v297*/, v236
	s_set_vgpr_msb 0x45                     ;  msbs: dst=1 src0=1 src1=1 src2=0
	v_mul_i32_i24_e32 v47 /*v303*/, v41 /*v297*/, v15 /*v271*/
	v_mul_i32_i24_e32 v48 /*v304*/, v41 /*v297*/, v23 /*v279*/
	s_delay_alu instid0(VALU_DEP_3) | instskip(SKIP_3) | instid1(VALU_DEP_1)
	v_add3_u32 v42 /*v298*/, v57 /*v313*/, v42 /*v298*/, v108
	s_set_vgpr_msb 4                        ;  msbs: dst=0 src0=0 src1=1 src2=0
	v_mul_i32_i24_e32 v108, v255, v9 /*v265*/
	s_set_vgpr_msb 0x45                     ;  msbs: dst=1 src0=1 src1=1 src2=0
	v_add3_u32 v47 /*v303*/, v58 /*v314*/, v47 /*v303*/, v108
	s_set_vgpr_msb 4                        ;  msbs: dst=0 src0=0 src1=1 src2=0
	v_mul_i32_i24_e32 v108, v255, v22 /*v278*/
	s_set_vgpr_msb 0                        ;  msbs: dst=0 src0=0 src1=0 src2=0
	v_mul_i32_i24_e32 v255, v255, v219
	s_set_vgpr_msb 0x45                     ;  msbs: dst=1 src0=1 src1=1 src2=0
	s_delay_alu instid0(VALU_DEP_2)
	v_add3_u32 v48 /*v304*/, v59 /*v315*/, v48 /*v304*/, v108
	s_set_vgpr_msb 4                        ;  msbs: dst=0 src0=0 src1=1 src2=0
	v_mul_i32_i24_e32 v108, v230, v4 /*v260*/
	s_set_vgpr_msb 0x44                     ;  msbs: dst=1 src0=0 src1=1 src2=0
	v_mul_i32_i24_e32 v4 /*v260*/, v227, v5 /*v261*/
	s_set_vgpr_msb 64                       ;  msbs: dst=1 src0=0 src1=0 src2=0
	v_ashrrev_i32_e32 v5 /*v261*/, 24, v132
	s_set_vgpr_msb 16                       ;  msbs: dst=0 src0=0 src1=0 src2=1
	s_delay_alu instid0(VALU_DEP_2)
	v_add3_u32 v250, v250, v108, v4 /*v260*/
	s_set_vgpr_msb 64                       ;  msbs: dst=1 src0=0 src1=0 src2=0
	v_bfe_i32 v4 /*v260*/, v132, 0, 8
	s_set_vgpr_msb 0x41                     ;  msbs: dst=1 src0=1 src1=0 src2=0
	v_mul_i32_i24_e32 v49 /*v305*/, v5 /*v261*/, v236
	s_set_vgpr_msb 1                        ;  msbs: dst=0 src0=1 src1=0 src2=0
	s_delay_alu instid0(VALU_DEP_2) | instskip(SKIP_1) | instid1(VALU_DEP_1)
	v_mul_i32_i24_e32 v108, v4 /*v260*/, v96
	s_set_vgpr_msb 0x45                     ;  msbs: dst=1 src0=1 src1=1 src2=0
	v_add3_u32 v12 /*v268*/, v12 /*v268*/, v49 /*v305*/, v108
	s_set_vgpr_msb 5                        ;  msbs: dst=0 src0=1 src1=1 src2=0
	v_mul_i32_i24_e32 v108, v4 /*v260*/, v9 /*v265*/
	s_set_vgpr_msb 0x45                     ;  msbs: dst=1 src0=1 src1=1 src2=0
	v_mul_i32_i24_e32 v49 /*v305*/, v5 /*v261*/, v15 /*v271*/
	s_delay_alu instid0(VALU_DEP_1)
	v_add3_u32 v13 /*v269*/, v13 /*v269*/, v49 /*v305*/, v108
	s_set_vgpr_msb 5                        ;  msbs: dst=0 src0=1 src1=1 src2=0
	v_mul_i32_i24_e32 v108, v4 /*v260*/, v22 /*v278*/
	s_set_vgpr_msb 0x45                     ;  msbs: dst=1 src0=1 src1=1 src2=0
	v_mul_i32_i24_e32 v49 /*v305*/, v5 /*v261*/, v23 /*v279*/
	s_set_vgpr_msb 0x41                     ;  msbs: dst=1 src0=1 src1=0 src2=0
	v_mul_i32_i24_e32 v4 /*v260*/, v4 /*v260*/, v219
	v_mul_i32_i24_e32 v5 /*v261*/, v5 /*v261*/, v217
	s_set_vgpr_msb 0x45                     ;  msbs: dst=1 src0=1 src1=1 src2=0
	v_add3_u32 v14 /*v270*/, v14 /*v270*/, v49 /*v305*/, v108
	s_set_vgpr_msb 4                        ;  msbs: dst=0 src0=0 src1=1 src2=0
	v_mul_i32_i24_e32 v108, v230, v10 /*v266*/
	s_set_vgpr_msb 0x44                     ;  msbs: dst=1 src0=0 src1=1 src2=0
	v_mul_i32_i24_e32 v10 /*v266*/, v227, v11 /*v267*/
	s_set_vgpr_msb 64                       ;  msbs: dst=1 src0=0 src1=0 src2=0
	v_ashrrev_i32_e32 v11 /*v267*/, 24, v130
	s_set_vgpr_msb 4                        ;  msbs: dst=0 src0=0 src1=1 src2=0
	v_mul_i32_i24_e32 v227, v227, v18 /*v274*/
	s_set_vgpr_msb 0x51                     ;  msbs: dst=1 src0=1 src1=0 src2=1
	v_add3_u32 v2 /*v258*/, v2 /*v258*/, v108, v10 /*v266*/
	s_set_vgpr_msb 64                       ;  msbs: dst=1 src0=0 src1=0 src2=0
	v_bfe_i32 v10 /*v266*/, v130, 0, 8
	s_set_vgpr_msb 0x41                     ;  msbs: dst=1 src0=1 src1=0 src2=0
	v_mul_i32_i24_e32 v49 /*v305*/, v11 /*v267*/, v236
	s_set_vgpr_msb 1                        ;  msbs: dst=0 src0=1 src1=0 src2=0
	s_delay_alu instid0(VALU_DEP_2) | instskip(SKIP_1) | instid1(VALU_DEP_1)
	v_mul_i32_i24_e32 v108, v10 /*v266*/, v96
	s_set_vgpr_msb 0x45                     ;  msbs: dst=1 src0=1 src1=1 src2=0
	v_add3_u32 v19 /*v275*/, v19 /*v275*/, v49 /*v305*/, v108
	s_set_vgpr_msb 5                        ;  msbs: dst=0 src0=1 src1=1 src2=0
	v_mul_i32_i24_e32 v108, v10 /*v266*/, v9 /*v265*/
	s_set_vgpr_msb 0x45                     ;  msbs: dst=1 src0=1 src1=1 src2=0
	v_mul_i32_i24_e32 v49 /*v305*/, v11 /*v267*/, v15 /*v271*/
	s_delay_alu instid0(VALU_DEP_1) | instskip(SKIP_4) | instid1(VALU_DEP_1)
	v_add3_u32 v20 /*v276*/, v20 /*v276*/, v49 /*v305*/, v108
	s_set_vgpr_msb 5                        ;  msbs: dst=0 src0=1 src1=1 src2=0
	v_mul_i32_i24_e32 v108, v10 /*v266*/, v22 /*v278*/
	s_set_vgpr_msb 0x45                     ;  msbs: dst=1 src0=1 src1=1 src2=0
	v_mul_i32_i24_e32 v49 /*v305*/, v11 /*v267*/, v23 /*v279*/
	v_add3_u32 v21 /*v277*/, v21 /*v277*/, v49 /*v305*/, v108
	s_set_vgpr_msb 4                        ;  msbs: dst=0 src0=0 src1=1 src2=0
	v_mul_i32_i24_e32 v108, v230, v17 /*v273*/
	s_wait_dscnt 0x2
	v_bfe_i32 v230, v134, 8, 8
	s_set_vgpr_msb 64                       ;  msbs: dst=1 src0=0 src1=0 src2=0
	v_bfe_u32 v17 /*v273*/, v101, 12, 4
	s_set_vgpr_msb 0                        ;  msbs: dst=0 src0=0 src1=0 src2=0
	v_bfe_u32 v101, v101, 20, 4
	v_add3_u32 v110, v110, v108, v227
	v_bfe_i32 v227, v134, 0, 8
	s_set_vgpr_msb 0x44                     ;  msbs: dst=1 src0=0 src1=1 src2=0
	v_mul_i32_i24_e32 v18 /*v274*/, v230, v17 /*v273*/
	s_set_vgpr_msb 0                        ;  msbs: dst=0 src0=0 src1=0 src2=0
	s_delay_alu instid0(VALU_DEP_2) | instskip(SKIP_2) | instid1(VALU_DEP_2)
	v_mul_i32_i24_e32 v108, v227, v96
	v_mul_i32_i24_e32 v96, v229, v96
	s_set_vgpr_msb 0x51                     ;  msbs: dst=1 src0=1 src1=0 src2=1
	v_add3_u32 v3 /*v259*/, v3 /*v259*/, v108, v18 /*v274*/
	s_set_vgpr_msb 4                        ;  msbs: dst=0 src0=0 src1=1 src2=0
	v_mul_i32_i24_e32 v108, v148, v28 /*v284*/
	s_set_vgpr_msb 0x44                     ;  msbs: dst=1 src0=0 src1=1 src2=0
	v_mul_i32_i24_e32 v18 /*v274*/, v233, v40 /*v296*/
	s_set_vgpr_msb 16                       ;  msbs: dst=0 src0=0 src1=0 src2=1
	s_delay_alu instid0(VALU_DEP_1)
	v_add3_u32 v242, v242, v108, v18 /*v274*/
	s_set_vgpr_msb 4                        ;  msbs: dst=0 src0=0 src1=1 src2=0
	v_mul_i32_i24_e32 v108, v148, v38 /*v294*/
	s_set_vgpr_msb 0x44                     ;  msbs: dst=1 src0=0 src1=1 src2=0
	v_mul_i32_i24_e32 v18 /*v274*/, v233, v43 /*v299*/
	s_set_vgpr_msb 16                       ;  msbs: dst=0 src0=0 src1=0 src2=1
	v_mul_i32_i24_e32 v148, v148, v222
	v_and_b32_e32 v222, 15, v86
	s_delay_alu instid0(VALU_DEP_3) | instskip(SKIP_2) | instid1(VALU_DEP_1)
	v_add3_u32 v102, v102, v108, v18 /*v274*/
	v_mul_i32_i24_e32 v108, v228, v236
	s_set_vgpr_msb 0                        ;  msbs: dst=0 src0=0 src1=0 src2=0
	v_add3_u32 v96, v243, v108, v96
	s_set_vgpr_msb 4                        ;  msbs: dst=0 src0=0 src1=1 src2=0
	v_mul_i32_i24_e32 v108, v229, v9 /*v265*/
	v_mul_i32_i24_e32 v243, v228, v15 /*v271*/
	;; [unrolled: 1-line block ×3, first 2 shown]
	s_set_vgpr_msb 0                        ;  msbs: dst=0 src0=0 src1=0 src2=0
	s_delay_alu instid0(VALU_DEP_2)
	v_add3_u32 v243, v244, v243, v108
	s_set_vgpr_msb 4                        ;  msbs: dst=0 src0=0 src1=1 src2=0
	v_mul_i32_i24_e32 v108, v229, v22 /*v278*/
	s_set_vgpr_msb 1                        ;  msbs: dst=0 src0=1 src1=0 src2=0
	v_mul_i32_i24_e32 v229, v66 /*v322*/, v235
	s_set_vgpr_msb 0                        ;  msbs: dst=0 src0=0 src1=0 src2=0
	s_delay_alu instid0(VALU_DEP_2) | instskip(SKIP_4) | instid1(VALU_DEP_2)
	v_add3_u32 v228, v231, v228, v108
	s_set_vgpr_msb 1                        ;  msbs: dst=0 src0=1 src1=0 src2=0
	v_mul_i32_i24_e32 v108, v64 /*v320*/, v223
	s_set_vgpr_msb 0                        ;  msbs: dst=0 src0=0 src1=0 src2=0
	v_bfe_i32 v231, v95, 8, 8
	v_add3_u32 v229, v232, v229, v108
	s_set_vgpr_msb 4                        ;  msbs: dst=0 src0=0 src1=1 src2=0
	v_and_b32_e32 v108, 0xf0f0f, v31 /*v287*/
	s_set_vgpr_msb 16                       ;  msbs: dst=0 src0=0 src1=0 src2=1
	s_delay_alu instid0(VALU_DEP_1) | instskip(NEXT) | instid1(VALU_DEP_1)
	v_lshrrev_b16 v108, 8, v108
	v_and_b32_e32 v108, 0xffff, v108
	s_delay_alu instid0(VALU_DEP_1) | instskip(NEXT) | instid1(VALU_DEP_1)
	v_mul_i32_i24_e32 v232, v231, v108
	v_add3_u32 v94, v94, v232, v30 /*v286*/
	v_bfe_i32 v232, v124, 8, 8
	v_bfe_i32 v124, v124, 16, 8
	s_set_vgpr_msb 5                        ;  msbs: dst=0 src0=1 src1=1 src2=0
	s_delay_alu instid0(VALU_DEP_3)
	v_add3_u32 v94, v33 /*v289*/, v32 /*v288*/, v94
	s_set_vgpr_msb 4                        ;  msbs: dst=0 src0=0 src1=1 src2=0
	v_mul_i32_i24_e32 v244, v232, v17 /*v273*/
	s_set_vgpr_msb 64                       ;  msbs: dst=1 src0=0 src1=0 src2=0
	v_mul_i32_i24_e32 v18 /*v274*/, v124, v101
	v_ashrrev_i32_e32 v32 /*v288*/, 24, v141
	s_set_vgpr_msb 17                       ;  msbs: dst=0 src0=1 src1=0 src2=1
	s_delay_alu instid0(VALU_DEP_2)
	v_add3_u32 v244, v8 /*v264*/, v244, v18 /*v274*/
	s_set_vgpr_msb 64                       ;  msbs: dst=1 src0=0 src1=0 src2=0
	v_bfe_u32 v8 /*v264*/, v105, 12, 4
	s_set_vgpr_msb 0                        ;  msbs: dst=0 src0=0 src1=0 src2=0
	v_bfe_u32 v105, v105, 20, 4
	s_set_vgpr_msb 0x44                     ;  msbs: dst=1 src0=0 src1=1 src2=0
	s_delay_alu instid0(VALU_DEP_2) | instskip(SKIP_1) | instid1(VALU_DEP_2)
	v_mul_i32_i24_e32 v18 /*v274*/, v232, v8 /*v264*/
	s_set_vgpr_msb 64                       ;  msbs: dst=1 src0=0 src1=0 src2=0
	v_mul_i32_i24_e32 v28 /*v284*/, v124, v105
	s_set_vgpr_msb 0x55                     ;  msbs: dst=1 src0=1 src1=1 src2=1
	s_delay_alu instid0(VALU_DEP_1)
	v_add3_u32 v16 /*v272*/, v16 /*v272*/, v18 /*v274*/, v28 /*v284*/
	s_set_vgpr_msb 64                       ;  msbs: dst=1 src0=0 src1=0 src2=0
	v_bfe_u32 v18 /*v274*/, v103, 12, 4
	s_set_vgpr_msb 0                        ;  msbs: dst=0 src0=0 src1=0 src2=0
	v_bfe_u32 v103, v103, 20, 4
	s_set_vgpr_msb 0x44                     ;  msbs: dst=1 src0=0 src1=1 src2=0
	s_delay_alu instid0(VALU_DEP_2) | instskip(SKIP_1) | instid1(VALU_DEP_2)
	v_mul_i32_i24_e32 v28 /*v284*/, v232, v18 /*v274*/
	s_set_vgpr_msb 64                       ;  msbs: dst=1 src0=0 src1=0 src2=0
	v_mul_i32_i24_e32 v30 /*v286*/, v124, v103
	s_set_vgpr_msb 0                        ;  msbs: dst=0 src0=0 src1=0 src2=0
	v_mul_i32_i24_e32 v124, v124, v214
	v_mul_i32_i24_e32 v232, v232, v237
	s_set_vgpr_msb 0x55                     ;  msbs: dst=1 src0=1 src1=1 src2=1
	v_add3_u32 v24 /*v280*/, v24 /*v280*/, v28 /*v284*/, v30 /*v286*/
	s_set_vgpr_msb 0x41                     ;  msbs: dst=1 src0=1 src1=0 src2=0
	v_mul_i32_i24_e32 v28 /*v284*/, v37 /*v293*/, v224
	v_mul_i32_i24_e32 v30 /*v286*/, v36 /*v292*/, v235
	;; [unrolled: 1-line block ×3, first 2 shown]
	s_set_vgpr_msb 20                       ;  msbs: dst=0 src0=0 src1=1 src2=1
	s_delay_alu instid0(VALU_DEP_2)
	v_add3_u32 v92, v92, v28 /*v284*/, v30 /*v286*/
	s_set_vgpr_msb 64                       ;  msbs: dst=1 src0=0 src1=0 src2=0
	v_bfe_i32 v28 /*v284*/, v122, 8, 8
	s_set_vgpr_msb 0                        ;  msbs: dst=0 src0=0 src1=0 src2=0
	v_bfe_i32 v122, v122, 16, 8
	s_set_vgpr_msb 0x45                     ;  msbs: dst=1 src0=1 src1=1 src2=0
	s_delay_alu instid0(VALU_DEP_2) | instskip(SKIP_1) | instid1(VALU_DEP_2)
	v_mul_i32_i24_e32 v30 /*v286*/, v28 /*v284*/, v17 /*v273*/
	s_set_vgpr_msb 64                       ;  msbs: dst=1 src0=0 src1=0 src2=0
	v_mul_i32_i24_e32 v31 /*v287*/, v122, v101
	s_set_vgpr_msb 0x55                     ;  msbs: dst=1 src0=1 src1=1 src2=1
	s_delay_alu instid0(VALU_DEP_1) | instskip(SKIP_4) | instid1(VALU_DEP_1)
	v_add3_u32 v26 /*v282*/, v26 /*v282*/, v30 /*v286*/, v31 /*v287*/
	v_mul_i32_i24_e32 v30 /*v286*/, v28 /*v284*/, v8 /*v264*/
	s_set_vgpr_msb 64                       ;  msbs: dst=1 src0=0 src1=0 src2=0
	v_mul_i32_i24_e32 v31 /*v287*/, v122, v105
	s_set_vgpr_msb 0x55                     ;  msbs: dst=1 src0=1 src1=1 src2=1
	v_add3_u32 v27 /*v283*/, v27 /*v283*/, v30 /*v286*/, v31 /*v287*/
	v_mul_i32_i24_e32 v30 /*v286*/, v28 /*v284*/, v18 /*v274*/
	s_set_vgpr_msb 64                       ;  msbs: dst=1 src0=0 src1=0 src2=0
	v_mul_i32_i24_e32 v31 /*v287*/, v122, v103
	s_set_vgpr_msb 0                        ;  msbs: dst=0 src0=0 src1=0 src2=0
	v_mul_i32_i24_e32 v122, v122, v214
	s_set_vgpr_msb 0x55                     ;  msbs: dst=1 src0=1 src1=1 src2=1
	s_delay_alu instid0(VALU_DEP_2) | instskip(SKIP_4) | instid1(VALU_DEP_1)
	v_add3_u32 v29 /*v285*/, v29 /*v285*/, v30 /*v286*/, v31 /*v287*/
	s_set_vgpr_msb 0x41                     ;  msbs: dst=1 src0=1 src1=0 src2=0
	v_mul_i32_i24_e32 v30 /*v286*/, v46 /*v302*/, v224
	v_mul_i32_i24_e32 v31 /*v287*/, v45 /*v301*/, v235
	s_set_vgpr_msb 20                       ;  msbs: dst=0 src0=0 src1=1 src2=1
	v_add3_u32 v240, v240, v30 /*v286*/, v31 /*v287*/
	s_set_vgpr_msb 64                       ;  msbs: dst=1 src0=0 src1=0 src2=0
	v_bfe_i32 v30 /*v286*/, v128, 8, 8
	s_set_vgpr_msb 0                        ;  msbs: dst=0 src0=0 src1=0 src2=0
	v_bfe_i32 v128, v128, 16, 8
	s_set_vgpr_msb 0x45                     ;  msbs: dst=1 src0=1 src1=1 src2=0
	s_delay_alu instid0(VALU_DEP_2) | instskip(SKIP_1) | instid1(VALU_DEP_2)
	v_mul_i32_i24_e32 v31 /*v287*/, v30 /*v286*/, v17 /*v273*/
	s_set_vgpr_msb 64                       ;  msbs: dst=1 src0=0 src1=0 src2=0
	v_mul_i32_i24_e32 v36 /*v292*/, v128, v101
	s_set_vgpr_msb 0x55                     ;  msbs: dst=1 src0=1 src1=1 src2=1
	s_delay_alu instid0(VALU_DEP_1) | instskip(SKIP_4) | instid1(VALU_DEP_1)
	v_add3_u32 v31 /*v287*/, v34 /*v290*/, v31 /*v287*/, v36 /*v292*/
	v_mul_i32_i24_e32 v34 /*v290*/, v30 /*v286*/, v8 /*v264*/
	s_set_vgpr_msb 64                       ;  msbs: dst=1 src0=0 src1=0 src2=0
	v_mul_i32_i24_e32 v36 /*v292*/, v128, v105
	s_set_vgpr_msb 0x55                     ;  msbs: dst=1 src0=1 src1=1 src2=1
	v_add3_u32 v34 /*v290*/, v35 /*v291*/, v34 /*v290*/, v36 /*v292*/
	v_mul_i32_i24_e32 v35 /*v291*/, v30 /*v286*/, v18 /*v274*/
	s_set_vgpr_msb 64                       ;  msbs: dst=1 src0=0 src1=0 src2=0
	v_mul_i32_i24_e32 v36 /*v292*/, v128, v103
	s_set_vgpr_msb 0                        ;  msbs: dst=0 src0=0 src1=0 src2=0
	v_mul_i32_i24_e32 v128, v128, v214
	s_set_vgpr_msb 0x55                     ;  msbs: dst=1 src0=1 src1=1 src2=1
	s_delay_alu instid0(VALU_DEP_2) | instskip(SKIP_3) | instid1(VALU_DEP_1)
	v_add3_u32 v35 /*v291*/, v39 /*v295*/, v35 /*v291*/, v36 /*v292*/
	s_set_vgpr_msb 0x41                     ;  msbs: dst=1 src0=1 src1=0 src2=0
	v_mul_i32_i24_e32 v36 /*v292*/, v51 /*v307*/, v224
	s_set_vgpr_msb 20                       ;  msbs: dst=0 src0=0 src1=1 src2=1
	v_add3_u32 v249, v249, v36 /*v292*/, v37 /*v293*/
	s_set_vgpr_msb 64                       ;  msbs: dst=1 src0=0 src1=0 src2=0
	v_bfe_i32 v36 /*v292*/, v126, 8, 8
	s_set_vgpr_msb 0                        ;  msbs: dst=0 src0=0 src1=0 src2=0
	v_bfe_i32 v126, v126, 16, 8
	s_set_vgpr_msb 0x45                     ;  msbs: dst=1 src0=1 src1=1 src2=0
	s_delay_alu instid0(VALU_DEP_2) | instskip(SKIP_1) | instid1(VALU_DEP_2)
	v_mul_i32_i24_e32 v37 /*v293*/, v36 /*v292*/, v17 /*v273*/
	s_set_vgpr_msb 64                       ;  msbs: dst=1 src0=0 src1=0 src2=0
	v_mul_i32_i24_e32 v38 /*v294*/, v126, v101
	v_mul_i32_i24_e32 v39 /*v295*/, v126, v105
	;; [unrolled: 1-line block ×3, first 2 shown]
	s_set_vgpr_msb 0                        ;  msbs: dst=0 src0=0 src1=0 src2=0
	v_mul_i32_i24_e32 v126, v126, v214
	s_set_vgpr_msb 0x55                     ;  msbs: dst=1 src0=1 src1=1 src2=1
	v_add3_u32 v37 /*v293*/, v42 /*v298*/, v37 /*v293*/, v38 /*v294*/
	v_mul_i32_i24_e32 v38 /*v294*/, v36 /*v292*/, v8 /*v264*/
	s_set_vgpr_msb 0x41                     ;  msbs: dst=1 src0=1 src1=0 src2=0
	v_mul_i32_i24_e32 v42 /*v298*/, v55 /*v311*/, v235
	s_set_vgpr_msb 0x55                     ;  msbs: dst=1 src0=1 src1=1 src2=1
	s_delay_alu instid0(VALU_DEP_2) | instskip(SKIP_1) | instid1(VALU_DEP_1)
	v_add3_u32 v38 /*v294*/, v47 /*v303*/, v38 /*v294*/, v39 /*v295*/
	v_mul_i32_i24_e32 v39 /*v295*/, v36 /*v292*/, v18 /*v274*/
	v_add3_u32 v39 /*v295*/, v48 /*v304*/, v39 /*v295*/, v40 /*v296*/
	s_set_vgpr_msb 0x41                     ;  msbs: dst=1 src0=1 src1=0 src2=0
	v_mul_i32_i24_e32 v40 /*v296*/, v56 /*v312*/, v224
	s_set_vgpr_msb 20                       ;  msbs: dst=0 src0=0 src1=1 src2=1
	s_delay_alu instid0(VALU_DEP_1)
	v_add3_u32 v250, v250, v40 /*v296*/, v42 /*v298*/
	s_set_vgpr_msb 64                       ;  msbs: dst=1 src0=0 src1=0 src2=0
	v_bfe_i32 v40 /*v296*/, v132, 8, 8
	s_set_vgpr_msb 0                        ;  msbs: dst=0 src0=0 src1=0 src2=0
	v_bfe_i32 v132, v132, 16, 8
	s_set_vgpr_msb 0x45                     ;  msbs: dst=1 src0=1 src1=1 src2=0
	s_delay_alu instid0(VALU_DEP_2) | instskip(SKIP_1) | instid1(VALU_DEP_2)
	v_mul_i32_i24_e32 v42 /*v298*/, v40 /*v296*/, v17 /*v273*/
	s_set_vgpr_msb 64                       ;  msbs: dst=1 src0=0 src1=0 src2=0
	v_mul_i32_i24_e32 v43 /*v299*/, v132, v101
	s_set_vgpr_msb 0x55                     ;  msbs: dst=1 src0=1 src1=1 src2=1
	s_delay_alu instid0(VALU_DEP_1) | instskip(SKIP_4) | instid1(VALU_DEP_1)
	v_add3_u32 v12 /*v268*/, v12 /*v268*/, v42 /*v298*/, v43 /*v299*/
	v_mul_i32_i24_e32 v42 /*v298*/, v40 /*v296*/, v8 /*v264*/
	s_set_vgpr_msb 64                       ;  msbs: dst=1 src0=0 src1=0 src2=0
	v_mul_i32_i24_e32 v43 /*v299*/, v132, v105
	s_set_vgpr_msb 0x55                     ;  msbs: dst=1 src0=1 src1=1 src2=1
	v_add3_u32 v13 /*v269*/, v13 /*v269*/, v42 /*v298*/, v43 /*v299*/
	v_mul_i32_i24_e32 v42 /*v298*/, v40 /*v296*/, v18 /*v274*/
	s_set_vgpr_msb 64                       ;  msbs: dst=1 src0=0 src1=0 src2=0
	v_mul_i32_i24_e32 v43 /*v299*/, v132, v103
	s_set_vgpr_msb 0                        ;  msbs: dst=0 src0=0 src1=0 src2=0
	v_mul_i32_i24_e32 v132, v132, v214
	s_set_vgpr_msb 0x55                     ;  msbs: dst=1 src0=1 src1=1 src2=1
	s_delay_alu instid0(VALU_DEP_2)
	v_add3_u32 v14 /*v270*/, v14 /*v270*/, v42 /*v298*/, v43 /*v299*/
	s_set_vgpr_msb 0x41                     ;  msbs: dst=1 src0=1 src1=0 src2=0
	v_mul_i32_i24_e32 v42 /*v298*/, v61 /*v317*/, v224
	v_mul_i32_i24_e32 v43 /*v299*/, v60 /*v316*/, v235
	s_set_vgpr_msb 1                        ;  msbs: dst=0 src0=1 src1=0 src2=0
	v_mul_i32_i24_e32 v235, v62 /*v318*/, v235
	s_set_vgpr_msb 0x55                     ;  msbs: dst=1 src0=1 src1=1 src2=1
	s_delay_alu instid0(VALU_DEP_2)
	v_add3_u32 v2 /*v258*/, v2 /*v258*/, v42 /*v298*/, v43 /*v299*/
	s_set_vgpr_msb 64                       ;  msbs: dst=1 src0=0 src1=0 src2=0
	v_bfe_i32 v42 /*v298*/, v130, 8, 8
	s_set_vgpr_msb 0                        ;  msbs: dst=0 src0=0 src1=0 src2=0
	v_bfe_i32 v130, v130, 16, 8
	s_set_vgpr_msb 0x45                     ;  msbs: dst=1 src0=1 src1=1 src2=0
	s_delay_alu instid0(VALU_DEP_2) | instskip(SKIP_1) | instid1(VALU_DEP_2)
	v_mul_i32_i24_e32 v43 /*v299*/, v42 /*v298*/, v17 /*v273*/
	s_set_vgpr_msb 64                       ;  msbs: dst=1 src0=0 src1=0 src2=0
	v_mul_i32_i24_e32 v45 /*v301*/, v130, v101
	s_set_vgpr_msb 0x55                     ;  msbs: dst=1 src0=1 src1=1 src2=1
	s_delay_alu instid0(VALU_DEP_1) | instskip(SKIP_4) | instid1(VALU_DEP_1)
	v_add3_u32 v19 /*v275*/, v19 /*v275*/, v43 /*v299*/, v45 /*v301*/
	v_mul_i32_i24_e32 v43 /*v299*/, v42 /*v298*/, v8 /*v264*/
	s_set_vgpr_msb 64                       ;  msbs: dst=1 src0=0 src1=0 src2=0
	v_mul_i32_i24_e32 v45 /*v301*/, v130, v105
	s_set_vgpr_msb 0x55                     ;  msbs: dst=1 src0=1 src1=1 src2=1
	v_add3_u32 v20 /*v276*/, v20 /*v276*/, v43 /*v299*/, v45 /*v301*/
	v_mul_i32_i24_e32 v43 /*v299*/, v42 /*v298*/, v18 /*v274*/
	s_set_vgpr_msb 64                       ;  msbs: dst=1 src0=0 src1=0 src2=0
	v_mul_i32_i24_e32 v45 /*v301*/, v130, v103
	s_set_vgpr_msb 0                        ;  msbs: dst=0 src0=0 src1=0 src2=0
	v_mul_i32_i24_e32 v130, v130, v214
	s_set_vgpr_msb 0x55                     ;  msbs: dst=1 src0=1 src1=1 src2=1
	s_delay_alu instid0(VALU_DEP_2)
	v_add3_u32 v21 /*v277*/, v21 /*v277*/, v43 /*v299*/, v45 /*v301*/
	s_set_vgpr_msb 0x41                     ;  msbs: dst=1 src0=1 src1=0 src2=0
	v_mul_i32_i24_e32 v43 /*v299*/, v63 /*v319*/, v224
	s_set_vgpr_msb 0                        ;  msbs: dst=0 src0=0 src1=0 src2=0
	v_mul_i32_i24_e32 v224, v233, v224
	s_set_vgpr_msb 4                        ;  msbs: dst=0 src0=0 src1=1 src2=0
	s_delay_alu instid0(VALU_DEP_2)
	v_add3_u32 v110, v110, v43 /*v299*/, v235
	s_set_vgpr_msb 0                        ;  msbs: dst=0 src0=0 src1=0 src2=0
	v_ashrrev_i32_e32 v235, 24, v134
	v_bfe_i32 v134, v134, 16, 8
	v_add3_u32 v148, v229, v148, v224
	v_ashrrev_i32_e32 v229, 24, v139
	v_bfe_u32 v224, v86, 8, 4
	v_mul_i32_i24_e32 v236, v235, v236
	s_set_vgpr_msb 64                       ;  msbs: dst=1 src0=0 src1=0 src2=0
	v_mul_i32_i24_e32 v43 /*v299*/, v134, v101
	s_set_vgpr_msb 0                        ;  msbs: dst=0 src0=0 src1=0 src2=0
	v_mul_i32_i24_e32 v101, v225, v101
	s_set_vgpr_msb 5                        ;  msbs: dst=0 src0=1 src1=1 src2=0
	s_delay_alu instid0(VALU_DEP_2) | instskip(SKIP_4) | instid1(VALU_DEP_1)
	v_add3_u32 v236, v3 /*v259*/, v43 /*v299*/, v236
	s_set_vgpr_msb 0x44                     ;  msbs: dst=1 src0=0 src1=1 src2=0
	v_mul_i32_i24_e32 v3 /*v259*/, v227, v9 /*v265*/
	v_mul_i32_i24_e32 v9 /*v265*/, v230, v8 /*v264*/
	s_set_vgpr_msb 20                       ;  msbs: dst=0 src0=0 src1=1 src2=1
	v_add3_u32 v242, v242, v3 /*v259*/, v9 /*v265*/
	s_set_vgpr_msb 0x44                     ;  msbs: dst=1 src0=0 src1=1 src2=0
	v_mul_i32_i24_e32 v3 /*v259*/, v227, v22 /*v278*/
	v_mul_i32_i24_e32 v9 /*v265*/, v230, v18 /*v274*/
	s_set_vgpr_msb 20                       ;  msbs: dst=0 src0=0 src1=1 src2=1
	s_delay_alu instid0(VALU_DEP_1) | instskip(SKIP_4) | instid1(VALU_DEP_2)
	v_add3_u32 v102, v102, v3 /*v259*/, v9 /*v265*/
	s_set_vgpr_msb 0x44                     ;  msbs: dst=1 src0=0 src1=1 src2=0
	v_mul_i32_i24_e32 v3 /*v259*/, v106, v17 /*v273*/
	v_bfe_u32 v9 /*v265*/, v88, 24, 4
	s_set_vgpr_msb 4                        ;  msbs: dst=0 src0=0 src1=1 src2=0
	v_add3_u32 v96, v96, v3 /*v259*/, v101
	v_mul_i32_i24_e32 v101, v106, v8 /*v264*/
	s_set_vgpr_msb 64                       ;  msbs: dst=1 src0=0 src1=0 src2=0
	v_mul_i32_i24_e32 v3 /*v259*/, v225, v105
	s_set_vgpr_msb 4                        ;  msbs: dst=0 src0=0 src1=1 src2=0
	v_mul_i32_i24_e32 v106, v106, v18 /*v274*/
	s_set_vgpr_msb 0                        ;  msbs: dst=0 src0=0 src1=0 src2=0
	v_mul_i32_i24_e32 v225, v225, v103
	s_set_vgpr_msb 0x44                     ;  msbs: dst=1 src0=0 src1=1 src2=0
	v_mul_i32_i24_e32 v17 /*v273*/, v229, v9 /*v265*/
	s_set_vgpr_msb 64                       ;  msbs: dst=1 src0=0 src1=0 src2=0
	v_ashrrev_i32_e32 v18 /*v274*/, 24, v137
	s_set_vgpr_msb 16                       ;  msbs: dst=0 src0=0 src1=0 src2=1
	v_add3_u32 v101, v243, v101, v3 /*v259*/
	s_set_vgpr_msb 0                        ;  msbs: dst=0 src0=0 src1=0 src2=0
	v_add3_u32 v106, v228, v106, v225
	v_bfe_u32 v225, v86, 24, 4
	v_bfe_i32 v228, v139, 8, 8
	s_delay_alu instid0(VALU_DEP_2) | instskip(NEXT) | instid1(VALU_DEP_2)
	v_mul_i32_i24_e32 v243, v229, v225
	v_mul_i32_i24_e32 v233, v228, v224
	s_set_vgpr_msb 0x41                     ;  msbs: dst=1 src0=1 src1=0 src2=0
	v_mul_i32_i24_e32 v22 /*v278*/, v18 /*v274*/, v225
	v_mul_i32_i24_e32 v33 /*v289*/, v32 /*v288*/, v225
	s_set_vgpr_msb 0                        ;  msbs: dst=0 src0=0 src1=0 src2=0
	v_add3_u32 v233, v244, v243, v233
	v_bfe_u32 v243, v90, 8, 4
	v_bfe_u32 v244, v90, 24, 4
	s_set_vgpr_msb 64                       ;  msbs: dst=1 src0=0 src1=0 src2=0
	s_delay_alu instid0(VALU_DEP_2) | instskip(NEXT) | instid1(VALU_DEP_2)
	v_mul_i32_i24_e32 v3 /*v259*/, v228, v243
	v_mul_i32_i24_e32 v8 /*v264*/, v229, v244
	s_set_vgpr_msb 0x55                     ;  msbs: dst=1 src0=1 src1=1 src2=1
	s_delay_alu instid0(VALU_DEP_1) | instskip(SKIP_2) | instid1(VALU_DEP_1)
	v_add3_u32 v3 /*v259*/, v16 /*v272*/, v8 /*v264*/, v3 /*v259*/
	s_set_vgpr_msb 0x44                     ;  msbs: dst=1 src0=0 src1=1 src2=0
	v_bfe_u32 v8 /*v264*/, v88, 8, 4
	v_mul_i32_i24_e32 v16 /*v272*/, v228, v8 /*v264*/
	s_set_vgpr_msb 0x55                     ;  msbs: dst=1 src0=1 src1=1 src2=1
	s_delay_alu instid0(VALU_DEP_1)
	v_add3_u32 v16 /*v272*/, v24 /*v280*/, v17 /*v273*/, v16 /*v272*/
	s_set_vgpr_msb 0x41                     ;  msbs: dst=1 src0=1 src1=0 src2=0
	v_mul_i32_i24_e32 v17 /*v273*/, v25 /*v281*/, v223
	v_mul_i32_i24_e32 v24 /*v280*/, v18 /*v274*/, v244
	s_set_vgpr_msb 0x45                     ;  msbs: dst=1 src0=1 src1=1 src2=0
	v_mul_i32_i24_e32 v25 /*v281*/, v18 /*v274*/, v9 /*v265*/
	s_set_vgpr_msb 4                        ;  msbs: dst=0 src0=0 src1=1 src2=0
	v_add3_u32 v138, v92, v17 /*v273*/, v138
	s_set_vgpr_msb 64                       ;  msbs: dst=1 src0=0 src1=0 src2=0
	v_bfe_i32 v17 /*v273*/, v137, 8, 8
	s_set_vgpr_msb 20                       ;  msbs: dst=0 src0=0 src1=1 src2=1
	s_delay_alu instid0(VALU_DEP_2) | instskip(SKIP_1) | instid1(VALU_DEP_2)
	v_add3_u32 v138, v138, v7 /*v263*/, v6 /*v262*/
	s_set_vgpr_msb 1                        ;  msbs: dst=0 src0=1 src1=0 src2=0
	v_mul_i32_i24_e32 v92, v17 /*v273*/, v224
	s_set_vgpr_msb 64                       ;  msbs: dst=1 src0=0 src1=0 src2=0
	v_bfe_i32 v6 /*v262*/, v137, 0, 8
	s_set_vgpr_msb 0                        ;  msbs: dst=0 src0=0 src1=0 src2=0
	v_bfe_i32 v137, v137, 16, 8
	v_add3_u32 v124, v138, v232, v124
	s_set_vgpr_msb 0x45                     ;  msbs: dst=1 src0=1 src1=1 src2=0
	v_add3_u32 v22 /*v278*/, v26 /*v282*/, v22 /*v278*/, v92
	s_set_vgpr_msb 1                        ;  msbs: dst=0 src0=1 src1=0 src2=0
	v_mul_i32_i24_e32 v92, v17 /*v273*/, v243
	s_set_vgpr_msb 64                       ;  msbs: dst=1 src0=0 src1=0 src2=0
	v_ashrrev_i32_e32 v26 /*v282*/, 24, v143
	s_set_vgpr_msb 0                        ;  msbs: dst=0 src0=0 src1=0 src2=0
	v_bfe_i32 v138, v123, 0, 8
	v_ashrrev_i32_e32 v232, 24, v123
	s_set_vgpr_msb 0x45                     ;  msbs: dst=1 src0=1 src1=1 src2=0
	v_add3_u32 v24 /*v280*/, v27 /*v283*/, v24 /*v280*/, v92
	s_set_vgpr_msb 5                        ;  msbs: dst=0 src0=1 src1=1 src2=0
	v_mul_i32_i24_e32 v92, v17 /*v273*/, v8 /*v264*/
	s_set_vgpr_msb 0x41                     ;  msbs: dst=1 src0=1 src1=0 src2=0
	v_mul_i32_i24_e32 v27 /*v283*/, v26 /*v282*/, v225
	s_set_vgpr_msb 0x45                     ;  msbs: dst=1 src0=1 src1=1 src2=0
	s_delay_alu instid0(VALU_DEP_2)
	v_add3_u32 v25 /*v281*/, v29 /*v285*/, v25 /*v281*/, v92
	s_set_vgpr_msb 1                        ;  msbs: dst=0 src0=1 src1=0 src2=0
	v_mul_i32_i24_e32 v92, v44 /*v300*/, v223
	s_set_vgpr_msb 0x41                     ;  msbs: dst=1 src0=1 src1=0 src2=0
	v_mul_i32_i24_e32 v29 /*v285*/, v26 /*v282*/, v244
	s_set_vgpr_msb 0                        ;  msbs: dst=0 src0=0 src1=0 src2=0
	s_delay_alu instid0(VALU_DEP_2) | instskip(SKIP_1) | instid1(VALU_DEP_2)
	v_add3_u32 v136, v240, v92, v136
	v_bfe_i32 v240, v143, 8, 8
	v_add3_u32 v136, v136, v239, v238
	s_delay_alu instid0(VALU_DEP_2) | instskip(SKIP_3) | instid1(VALU_DEP_3)
	v_mul_i32_i24_e32 v92, v240, v224
	v_bfe_i32 v238, v143, 0, 8
	v_bfe_i32 v143, v143, 16, 8
	s_set_vgpr_msb 0x45                     ;  msbs: dst=1 src0=1 src1=1 src2=0
	v_add3_u32 v27 /*v283*/, v31 /*v287*/, v27 /*v283*/, v92
	s_set_vgpr_msb 0                        ;  msbs: dst=0 src0=0 src1=0 src2=0
	v_mul_i32_i24_e32 v92, v240, v243
	s_set_vgpr_msb 0x45                     ;  msbs: dst=1 src0=1 src1=1 src2=0
	v_mul_i32_i24_e32 v31 /*v287*/, v26 /*v282*/, v9 /*v265*/
	s_delay_alu instid0(VALU_DEP_2)
	v_add3_u32 v29 /*v285*/, v34 /*v290*/, v29 /*v285*/, v92
	s_set_vgpr_msb 4                        ;  msbs: dst=0 src0=0 src1=1 src2=0
	v_mul_i32_i24_e32 v92, v240, v8 /*v264*/
	s_set_vgpr_msb 0x41                     ;  msbs: dst=1 src0=1 src1=0 src2=0
	v_mul_i32_i24_e32 v34 /*v290*/, v32 /*v288*/, v244
	s_set_vgpr_msb 0                        ;  msbs: dst=0 src0=0 src1=0 src2=0
	v_mul_i32_i24_e32 v240, v240, v112
	s_set_vgpr_msb 0x45                     ;  msbs: dst=1 src0=1 src1=1 src2=0
	v_add3_u32 v31 /*v287*/, v35 /*v291*/, v31 /*v287*/, v92
	s_set_vgpr_msb 1                        ;  msbs: dst=0 src0=1 src1=0 src2=0
	v_mul_i32_i24_e32 v92, v67 /*v323*/, v223
	s_set_vgpr_msb 0x45                     ;  msbs: dst=1 src0=1 src1=1 src2=0
	v_mul_i32_i24_e32 v35 /*v291*/, v32 /*v288*/, v9 /*v265*/
	s_set_vgpr_msb 0                        ;  msbs: dst=0 src0=0 src1=0 src2=0
	s_delay_alu instid0(VALU_DEP_2) | instskip(SKIP_1) | instid1(VALU_DEP_2)
	v_add3_u32 v142, v249, v92, v142
	v_bfe_i32 v249, v141, 8, 8
	v_add3_u32 v142, v142, v246, v245
	s_delay_alu instid0(VALU_DEP_2) | instskip(SKIP_3) | instid1(VALU_DEP_3)
	v_mul_i32_i24_e32 v92, v249, v224
	v_bfe_i32 v245, v141, 0, 8
	v_bfe_i32 v141, v141, 16, 8
	s_set_vgpr_msb 0x45                     ;  msbs: dst=1 src0=1 src1=1 src2=0
	v_add3_u32 v33 /*v289*/, v37 /*v293*/, v33 /*v289*/, v92
	s_set_vgpr_msb 0                        ;  msbs: dst=0 src0=0 src1=0 src2=0
	v_mul_i32_i24_e32 v92, v249, v243
	s_set_vgpr_msb 64                       ;  msbs: dst=1 src0=0 src1=0 src2=0
	v_ashrrev_i32_e32 v37 /*v293*/, 24, v147
	s_set_vgpr_msb 0x45                     ;  msbs: dst=1 src0=1 src1=1 src2=0
	s_delay_alu instid0(VALU_DEP_2)
	v_add3_u32 v34 /*v290*/, v38 /*v294*/, v34 /*v290*/, v92
	s_set_vgpr_msb 4                        ;  msbs: dst=0 src0=0 src1=1 src2=0
	v_mul_i32_i24_e32 v92, v249, v8 /*v264*/
	s_set_vgpr_msb 0x41                     ;  msbs: dst=1 src0=1 src1=0 src2=0
	v_mul_i32_i24_e32 v38 /*v294*/, v37 /*v293*/, v225
	s_set_vgpr_msb 0                        ;  msbs: dst=0 src0=0 src1=0 src2=0
	v_mul_i32_i24_e32 v249, v249, v112
	s_set_vgpr_msb 0x45                     ;  msbs: dst=1 src0=1 src1=1 src2=0
	v_add3_u32 v35 /*v291*/, v39 /*v295*/, v35 /*v291*/, v92
	s_set_vgpr_msb 1                        ;  msbs: dst=0 src0=1 src1=0 src2=0
	v_mul_i32_i24_e32 v92, v68 /*v324*/, v223
	s_set_vgpr_msb 0                        ;  msbs: dst=0 src0=0 src1=0 src2=0
	s_delay_alu instid0(VALU_DEP_1) | instskip(SKIP_1) | instid1(VALU_DEP_1)
	v_add3_u32 v140, v250, v92, v140
	v_bfe_i32 v250, v147, 8, 8
	v_mul_i32_i24_e32 v92, v250, v224
	s_set_vgpr_msb 0x45                     ;  msbs: dst=1 src0=1 src1=1 src2=0
	s_delay_alu instid0(VALU_DEP_1)
	v_add3_u32 v12 /*v268*/, v12 /*v268*/, v38 /*v294*/, v92
	s_set_vgpr_msb 0                        ;  msbs: dst=0 src0=0 src1=0 src2=0
	v_mul_i32_i24_e32 v92, v250, v243
	s_set_vgpr_msb 0x41                     ;  msbs: dst=1 src0=1 src1=0 src2=0
	v_mul_i32_i24_e32 v38 /*v294*/, v37 /*v293*/, v244
	s_set_vgpr_msb 0x45                     ;  msbs: dst=1 src0=1 src1=1 src2=0
	s_delay_alu instid0(VALU_DEP_1)
	v_add3_u32 v13 /*v269*/, v13 /*v269*/, v38 /*v294*/, v92
	s_set_vgpr_msb 4                        ;  msbs: dst=0 src0=0 src1=1 src2=0
	v_mul_i32_i24_e32 v92, v250, v8 /*v264*/
	s_set_vgpr_msb 0x45                     ;  msbs: dst=1 src0=1 src1=1 src2=0
	v_mul_i32_i24_e32 v38 /*v294*/, v37 /*v293*/, v9 /*v265*/
	s_set_vgpr_msb 0                        ;  msbs: dst=0 src0=0 src1=0 src2=0
	v_mul_i32_i24_e32 v250, v250, v112
	s_set_vgpr_msb 0x45                     ;  msbs: dst=1 src0=1 src1=1 src2=0
	s_delay_alu instid0(VALU_DEP_2)
	v_add3_u32 v14 /*v270*/, v14 /*v270*/, v38 /*v294*/, v92
	s_set_vgpr_msb 1                        ;  msbs: dst=0 src0=1 src1=0 src2=0
	v_mul_i32_i24_e32 v92, v69 /*v325*/, v223
	s_set_vgpr_msb 64                       ;  msbs: dst=1 src0=0 src1=0 src2=0
	v_ashrrev_i32_e32 v38 /*v294*/, 24, v145
	s_set_vgpr_msb 1                        ;  msbs: dst=0 src0=1 src1=0 src2=0
	s_delay_alu instid0(VALU_DEP_2)
	v_add3_u32 v146, v2 /*v258*/, v92, v146
	s_set_vgpr_msb 64                       ;  msbs: dst=1 src0=0 src1=0 src2=0
	v_bfe_i32 v2 /*v258*/, v145, 8, 8
	s_set_vgpr_msb 0x41                     ;  msbs: dst=1 src0=1 src1=0 src2=0
	v_mul_i32_i24_e32 v39 /*v295*/, v38 /*v294*/, v225
	s_set_vgpr_msb 20                       ;  msbs: dst=0 src0=0 src1=1 src2=1
	v_add3_u32 v146, v146, v5 /*v261*/, v4 /*v260*/
	s_set_vgpr_msb 1                        ;  msbs: dst=0 src0=1 src1=0 src2=0
	v_mul_i32_i24_e32 v92, v2 /*v258*/, v224
	s_set_vgpr_msb 64                       ;  msbs: dst=1 src0=0 src1=0 src2=0
	v_bfe_i32 v4 /*v260*/, v145, 0, 8
	s_set_vgpr_msb 0                        ;  msbs: dst=0 src0=0 src1=0 src2=0
	v_bfe_i32 v145, v145, 16, 8
	s_set_vgpr_msb 0x45                     ;  msbs: dst=1 src0=1 src1=1 src2=0
	v_add3_u32 v19 /*v275*/, v19 /*v275*/, v39 /*v295*/, v92
	s_set_vgpr_msb 1                        ;  msbs: dst=0 src0=1 src1=0 src2=0
	v_mul_i32_i24_e32 v92, v2 /*v258*/, v243
	s_set_vgpr_msb 0x41                     ;  msbs: dst=1 src0=1 src1=0 src2=0
	v_mul_i32_i24_e32 v39 /*v295*/, v38 /*v294*/, v244
	s_set_vgpr_msb 0x45                     ;  msbs: dst=1 src0=1 src1=1 src2=0
	s_delay_alu instid0(VALU_DEP_1) | instskip(SKIP_4) | instid1(VALU_DEP_1)
	v_add3_u32 v20 /*v276*/, v20 /*v276*/, v39 /*v295*/, v92
	s_set_vgpr_msb 5                        ;  msbs: dst=0 src0=1 src1=1 src2=0
	v_mul_i32_i24_e32 v92, v2 /*v258*/, v8 /*v264*/
	s_set_vgpr_msb 0x45                     ;  msbs: dst=1 src0=1 src1=1 src2=0
	v_mul_i32_i24_e32 v39 /*v295*/, v38 /*v294*/, v9 /*v265*/
	v_add3_u32 v21 /*v277*/, v21 /*v277*/, v39 /*v295*/, v92
	s_set_vgpr_msb 1                        ;  msbs: dst=0 src0=1 src1=0 src2=0
	v_mul_i32_i24_e32 v92, v70 /*v326*/, v223
	s_set_vgpr_msb 0                        ;  msbs: dst=0 src0=0 src1=0 src2=0
	v_bfe_i32 v223, v149, 8, 8
	s_delay_alu instid0(VALU_DEP_2) | instskip(SKIP_2) | instid1(VALU_DEP_3)
	v_add3_u32 v110, v110, v92, v144
	v_bfe_i32 v144, v149, 0, 8
	s_set_vgpr_msb 64                       ;  msbs: dst=1 src0=0 src1=0 src2=0
	v_mul_i32_i24_e32 v39 /*v295*/, v223, v224
	s_set_vgpr_msb 0                        ;  msbs: dst=0 src0=0 src1=0 src2=0
	s_delay_alu instid0(VALU_DEP_2) | instskip(SKIP_1) | instid1(VALU_DEP_1)
	v_mul_i32_i24_e32 v92, v144, v222
	s_set_vgpr_msb 4                        ;  msbs: dst=0 src0=0 src1=1 src2=0
	v_add3_u32 v236, v236, v39 /*v295*/, v92
	s_set_vgpr_msb 0                        ;  msbs: dst=0 src0=0 src1=0 src2=0
	v_mul_i32_i24_e32 v92, v134, v105
	s_set_vgpr_msb 4                        ;  msbs: dst=0 src0=0 src1=1 src2=0
	v_mul_i32_i24_e32 v105, v235, v15 /*v271*/
	s_set_vgpr_msb 0                        ;  msbs: dst=0 src0=0 src1=0 src2=0
	s_delay_alu instid0(VALU_DEP_1)
	v_add3_u32 v105, v242, v92, v105
	v_mul_i32_i24_e32 v92, v134, v103
	s_set_vgpr_msb 4                        ;  msbs: dst=0 src0=0 src1=1 src2=0
	v_mul_i32_i24_e32 v103, v235, v23 /*v279*/
	v_bfe_u32 v242, v88, 16, 4
	s_set_vgpr_msb 0                        ;  msbs: dst=0 src0=0 src1=0 src2=0
	s_delay_alu instid0(VALU_DEP_2) | instskip(SKIP_2) | instid1(VALU_DEP_1)
	v_add3_u32 v102, v102, v92, v103
	v_mul_i32_i24_e32 v92, v113, v224
	v_mul_i32_i24_e32 v103, v221, v225
	v_add3_u32 v96, v96, v103, v92
	v_mul_i32_i24_e32 v92, v113, v243
	v_mul_i32_i24_e32 v103, v221, v244
	s_delay_alu instid0(VALU_DEP_1)
	v_add3_u32 v101, v101, v103, v92
	s_set_vgpr_msb 4                        ;  msbs: dst=0 src0=0 src1=1 src2=0
	v_mul_i32_i24_e32 v92, v113, v8 /*v264*/
	v_mul_i32_i24_e32 v103, v221, v9 /*v265*/
	s_set_vgpr_msb 0                        ;  msbs: dst=0 src0=0 src1=0 src2=0
	v_ashrrev_i32_e32 v113, 24, v95
	s_set_vgpr_msb 0x41                     ;  msbs: dst=1 src0=1 src1=0 src2=0
	v_mul_i32_i24_e32 v7 /*v263*/, v6 /*v262*/, v222
	s_set_vgpr_msb 0                        ;  msbs: dst=0 src0=0 src1=0 src2=0
	v_mul_i32_i24_e32 v239, v238, v222
	v_mul_i32_i24_e32 v246, v245, v222
	v_add3_u32 v103, v106, v103, v92
	v_mul_i32_i24_e32 v92, v227, v219
	v_mul_i32_i24_e32 v106, v230, v237
	v_bfe_u32 v227, v90, 16, 4
	s_set_vgpr_msb 1                        ;  msbs: dst=0 src0=1 src1=0 src2=0
	v_mul_i32_i24_e32 v219, v10 /*v266*/, v219
	s_set_vgpr_msb 0x41                     ;  msbs: dst=1 src0=1 src1=0 src2=0
	v_mul_i32_i24_e32 v10 /*v266*/, v11 /*v267*/, v217
	v_mul_i32_i24_e32 v5 /*v261*/, v4 /*v260*/, v222
	s_set_vgpr_msb 0                        ;  msbs: dst=0 src0=0 src1=0 src2=0
	v_add3_u32 v106, v148, v92, v106
	v_lshrrev_b32_e32 v92, 28, v97
	v_bfe_i32 v148, v120, 8, 8
	s_set_vgpr_msb 64                       ;  msbs: dst=1 src0=0 src1=0 src2=0
	v_mul_i32_i24_e32 v23 /*v279*/, v143, v227
	s_set_vgpr_msb 4                        ;  msbs: dst=0 src0=0 src1=1 src2=0
	v_add3_u32 v219, v110, v10 /*v266*/, v219
	s_set_vgpr_msb 64                       ;  msbs: dst=1 src0=0 src1=0 src2=0
	v_ashrrev_i32_e32 v10 /*v266*/, 24, v149
	s_set_vgpr_msb 0                        ;  msbs: dst=0 src0=0 src1=0 src2=0
	v_mul_i32_i24_e32 v97, v113, v92
	v_mul_i32_i24_e32 v95, v148, v158
	v_bfe_i32 v149, v149, 16, 8
	s_set_vgpr_msb 1                        ;  msbs: dst=0 src0=1 src1=0 src2=0
	v_mul_i32_i24_e32 v110, v10 /*v266*/, v225
	s_set_vgpr_msb 0                        ;  msbs: dst=0 src0=0 src1=0 src2=0
	v_add3_u32 v94, v94, v97, v95
	v_bfe_i32 v97, v139, 0, 8
	v_bfe_i32 v139, v139, 16, 8
	v_bfe_u32 v95, v86, 16, 4
	s_delay_alu instid0(VALU_DEP_3) | instskip(SKIP_1) | instid1(VALU_DEP_3)
	v_mul_i32_i24_e32 v221, v97, v222
	s_set_vgpr_msb 64                       ;  msbs: dst=1 src0=0 src1=0 src2=0
	v_mul_i32_i24_e32 v15 /*v271*/, v139, v242
	s_set_vgpr_msb 0                        ;  msbs: dst=0 src0=0 src1=0 src2=0
	v_mul_i32_i24_e32 v224, v139, v95
	v_mul_i32_i24_e32 v225, v149, v95
	s_delay_alu instid0(VALU_DEP_2) | instskip(SKIP_2) | instid1(VALU_DEP_4)
	v_add3_u32 v221, v233, v221, v224
	v_and_b32_e32 v224, 15, v90
	v_mul_i32_i24_e32 v233, v139, v227
	v_add3_u32 v225, v236, v225, v110
	v_mul_i32_i24_e32 v110, v223, v243
	s_delay_alu instid0(VALU_DEP_4) | instskip(SKIP_2) | instid1(VALU_DEP_2)
	v_mul_i32_i24_e32 v230, v97, v224
	v_mul_i32_i24_e32 v236, v144, v224
	s_set_vgpr_msb 1                        ;  msbs: dst=0 src0=1 src1=0 src2=0
	v_add3_u32 v230, v3 /*v259*/, v230, v233
	v_and_b32_e32 v233, 15, v88
	s_set_vgpr_msb 0                        ;  msbs: dst=0 src0=0 src1=0 src2=0
	v_add3_u32 v105, v105, v110, v236
	s_set_vgpr_msb 4                        ;  msbs: dst=0 src0=0 src1=1 src2=0
	v_mul_i32_i24_e32 v110, v223, v8 /*v264*/
	s_set_vgpr_msb 64                       ;  msbs: dst=1 src0=0 src1=0 src2=0
	v_mul_i32_i24_e32 v3 /*v259*/, v97, v233
	s_set_vgpr_msb 0                        ;  msbs: dst=0 src0=0 src1=0 src2=0
	v_mul_i32_i24_e32 v236, v144, v233
	s_set_vgpr_msb 0x55                     ;  msbs: dst=1 src0=1 src1=1 src2=1
	s_delay_alu instid0(VALU_DEP_2)
	v_add3_u32 v3 /*v259*/, v16 /*v272*/, v3 /*v259*/, v15 /*v271*/
	s_set_vgpr_msb 64                       ;  msbs: dst=1 src0=0 src1=0 src2=0
	v_mul_i32_i24_e32 v15 /*v271*/, v137, v95
	v_mul_i32_i24_e32 v16 /*v272*/, v137, v227
	s_set_vgpr_msb 0                        ;  msbs: dst=0 src0=0 src1=0 src2=0
	v_add3_u32 v102, v102, v110, v236
	v_mul_i32_i24_e32 v110, v218, v222
	s_set_vgpr_msb 0x55                     ;  msbs: dst=1 src0=1 src1=1 src2=1
	v_add3_u32 v7 /*v263*/, v22 /*v278*/, v7 /*v263*/, v15 /*v271*/
	s_set_vgpr_msb 0x41                     ;  msbs: dst=1 src0=1 src1=0 src2=0
	v_mul_i32_i24_e32 v15 /*v271*/, v6 /*v262*/, v224
	s_set_vgpr_msb 64                       ;  msbs: dst=1 src0=0 src1=0 src2=0
	v_mul_i32_i24_e32 v22 /*v278*/, v137, v242
	s_set_vgpr_msb 0x55                     ;  msbs: dst=1 src0=1 src1=1 src2=1
	s_delay_alu instid0(VALU_DEP_2)
	v_add3_u32 v15 /*v271*/, v24 /*v280*/, v15 /*v271*/, v16 /*v272*/
	s_set_vgpr_msb 0x41                     ;  msbs: dst=1 src0=1 src1=0 src2=0
	v_mul_i32_i24_e32 v16 /*v272*/, v6 /*v262*/, v233
	s_set_vgpr_msb 64                       ;  msbs: dst=1 src0=0 src1=0 src2=0
	v_mul_i32_i24_e32 v24 /*v280*/, v143, v242
	s_set_vgpr_msb 0x55                     ;  msbs: dst=1 src0=1 src1=1 src2=1
	s_delay_alu instid0(VALU_DEP_2) | instskip(SKIP_4) | instid1(VALU_DEP_2)
	v_add3_u32 v16 /*v272*/, v25 /*v281*/, v16 /*v272*/, v22 /*v278*/
	s_set_vgpr_msb 64                       ;  msbs: dst=1 src0=0 src1=0 src2=0
	v_mul_i32_i24_e32 v22 /*v278*/, v143, v95
	v_mul_i32_i24_e32 v25 /*v281*/, v141, v227
	s_set_vgpr_msb 17                       ;  msbs: dst=0 src0=1 src1=0 src2=1
	v_add3_u32 v239, v27 /*v283*/, v239, v22 /*v278*/
	s_set_vgpr_msb 64                       ;  msbs: dst=1 src0=0 src1=0 src2=0
	v_mul_i32_i24_e32 v22 /*v278*/, v238, v224
	v_mul_i32_i24_e32 v27 /*v283*/, v141, v242
	s_set_vgpr_msb 0x55                     ;  msbs: dst=1 src0=1 src1=1 src2=1
	s_delay_alu instid0(VALU_DEP_2) | instskip(SKIP_3) | instid1(VALU_DEP_1)
	v_add3_u32 v22 /*v278*/, v29 /*v285*/, v22 /*v278*/, v23 /*v279*/
	s_set_vgpr_msb 64                       ;  msbs: dst=1 src0=0 src1=0 src2=0
	v_mul_i32_i24_e32 v23 /*v279*/, v238, v233
	s_set_vgpr_msb 0x55                     ;  msbs: dst=1 src0=1 src1=1 src2=1
	v_add3_u32 v23 /*v279*/, v31 /*v287*/, v23 /*v279*/, v24 /*v280*/
	s_set_vgpr_msb 64                       ;  msbs: dst=1 src0=0 src1=0 src2=0
	v_mul_i32_i24_e32 v24 /*v280*/, v141, v95
	s_set_vgpr_msb 17                       ;  msbs: dst=0 src0=1 src1=0 src2=1
	s_delay_alu instid0(VALU_DEP_1) | instskip(SKIP_3) | instid1(VALU_DEP_1)
	v_add3_u32 v246, v33 /*v289*/, v246, v24 /*v280*/
	s_set_vgpr_msb 64                       ;  msbs: dst=1 src0=0 src1=0 src2=0
	v_mul_i32_i24_e32 v24 /*v280*/, v245, v224
	s_set_vgpr_msb 0x55                     ;  msbs: dst=1 src0=1 src1=1 src2=1
	v_add3_u32 v24 /*v280*/, v34 /*v290*/, v24 /*v280*/, v25 /*v281*/
	s_set_vgpr_msb 64                       ;  msbs: dst=1 src0=0 src1=0 src2=0
	v_mul_i32_i24_e32 v25 /*v281*/, v245, v233
	s_set_vgpr_msb 0x55                     ;  msbs: dst=1 src0=1 src1=1 src2=1
	s_delay_alu instid0(VALU_DEP_1) | instskip(SKIP_3) | instid1(VALU_DEP_1)
	v_add3_u32 v25 /*v281*/, v35 /*v291*/, v25 /*v281*/, v27 /*v283*/
	s_set_vgpr_msb 0x41                     ;  msbs: dst=1 src0=1 src1=0 src2=0
	v_mul_i32_i24_e32 v27 /*v283*/, v41 /*v297*/, v217
	s_set_vgpr_msb 4                        ;  msbs: dst=0 src0=0 src1=1 src2=0
	v_add3_u32 v140, v140, v27 /*v283*/, v255
	v_bfe_i32 v255, v147, 0, 8
	v_bfe_i32 v147, v147, 16, 8
	s_set_vgpr_msb 64                       ;  msbs: dst=1 src0=0 src1=0 src2=0
	s_delay_alu instid0(VALU_DEP_2) | instskip(NEXT) | instid1(VALU_DEP_2)
	v_mul_i32_i24_e32 v27 /*v283*/, v255, v222
	v_mul_i32_i24_e32 v29 /*v285*/, v147, v95
	s_set_vgpr_msb 0x55                     ;  msbs: dst=1 src0=1 src1=1 src2=1
	s_delay_alu instid0(VALU_DEP_1) | instskip(SKIP_4) | instid1(VALU_DEP_1)
	v_add3_u32 v12 /*v268*/, v12 /*v268*/, v27 /*v283*/, v29 /*v285*/
	s_set_vgpr_msb 64                       ;  msbs: dst=1 src0=0 src1=0 src2=0
	v_mul_i32_i24_e32 v27 /*v283*/, v255, v224
	v_mul_i32_i24_e32 v29 /*v285*/, v147, v227
	s_set_vgpr_msb 0x55                     ;  msbs: dst=1 src0=1 src1=1 src2=1
	v_add3_u32 v13 /*v269*/, v13 /*v269*/, v27 /*v283*/, v29 /*v285*/
	s_set_vgpr_msb 64                       ;  msbs: dst=1 src0=0 src1=0 src2=0
	v_mul_i32_i24_e32 v27 /*v283*/, v255, v233
	v_mul_i32_i24_e32 v29 /*v285*/, v147, v242
	s_set_vgpr_msb 0x55                     ;  msbs: dst=1 src0=1 src1=1 src2=1
	s_delay_alu instid0(VALU_DEP_1)
	v_add3_u32 v14 /*v270*/, v14 /*v270*/, v27 /*v283*/, v29 /*v285*/
	s_set_vgpr_msb 64                       ;  msbs: dst=1 src0=0 src1=0 src2=0
	v_mul_i32_i24_e32 v27 /*v283*/, v145, v95
	s_set_vgpr_msb 0                        ;  msbs: dst=0 src0=0 src1=0 src2=0
	v_mul_i32_i24_e32 v95, v220, v95
	s_set_vgpr_msb 0x55                     ;  msbs: dst=1 src0=1 src1=1 src2=1
	s_delay_alu instid0(VALU_DEP_2) | instskip(SKIP_1) | instid1(VALU_DEP_2)
	v_add3_u32 v5 /*v261*/, v19 /*v275*/, v5 /*v261*/, v27 /*v283*/
	s_set_vgpr_msb 0                        ;  msbs: dst=0 src0=0 src1=0 src2=0
	v_add3_u32 v95, v96, v110, v95
	v_mul_i32_i24_e32 v96, v218, v224
	v_mul_i32_i24_e32 v110, v220, v227
	s_set_vgpr_msb 0x41                     ;  msbs: dst=1 src0=1 src1=0 src2=0
	v_mul_i32_i24_e32 v19 /*v275*/, v4 /*v260*/, v224
	s_set_vgpr_msb 64                       ;  msbs: dst=1 src0=0 src1=0 src2=0
	v_mul_i32_i24_e32 v27 /*v283*/, v145, v227
	s_set_vgpr_msb 0                        ;  msbs: dst=0 src0=0 src1=0 src2=0
	v_mul_i32_i24_e32 v227, v149, v227
	v_add3_u32 v96, v101, v96, v110
	v_mul_i32_i24_e32 v101, v218, v233
	v_mul_i32_i24_e32 v110, v220, v242
	v_ashrrev_i32_e32 v218, 24, v125
	s_set_vgpr_msb 0x55                     ;  msbs: dst=1 src0=1 src1=1 src2=1
	v_add3_u32 v19 /*v275*/, v20 /*v276*/, v19 /*v275*/, v27 /*v283*/
	s_set_vgpr_msb 64                       ;  msbs: dst=1 src0=0 src1=0 src2=0
	v_mul_i32_i24_e32 v27 /*v283*/, v145, v242
	s_set_vgpr_msb 0                        ;  msbs: dst=0 src0=0 src1=0 src2=0
	v_mul_i32_i24_e32 v242, v149, v242
	v_add3_u32 v101, v103, v101, v110
	v_mul_i32_i24_e32 v103, v235, v217
	v_mul_i32_i24_e32 v110, v134, v214
	v_bfe_i32 v134, v120, 16, 8
	v_ashrrev_i32_e32 v217, 24, v120
	v_bfe_i32 v120, v125, 0, 8
	s_set_vgpr_msb 1                        ;  msbs: dst=0 src0=1 src1=0 src2=0
	v_mul_i32_i24_e32 v214, v42 /*v298*/, v237
	s_set_vgpr_msb 0                        ;  msbs: dst=0 src0=0 src1=0 src2=0
	v_add3_u32 v103, v106, v110, v103
	v_mul_i32_i24_e32 v106, v134, v157
	v_mul_i32_i24_e32 v110, v217, v160
	;; [unrolled: 1-line block ×3, first 2 shown]
	v_add3_u32 v130, v219, v214, v130
	v_bfe_u32 v219, v86, 12, 4
	v_bfe_i32 v214, v135, 8, 8
	v_add3_u32 v110, v94, v106, v110
	v_bfe_u32 v94, v86, 4, 4
	v_lshrrev_b32_e32 v106, 28, v86
	s_set_vgpr_msb 0x41                     ;  msbs: dst=1 src0=1 src1=0 src2=0
	v_mul_i32_i24_e32 v20 /*v276*/, v4 /*v260*/, v233
	s_set_vgpr_msb 0                        ;  msbs: dst=0 src0=0 src1=0 src2=0
	v_bfe_u32 v86, v86, 20, 4
	v_mul_i32_i24_e32 v220, v120, v94
	v_mul_i32_i24_e32 v222, v218, v106
	;; [unrolled: 1-line block ×3, first 2 shown]
	s_set_vgpr_msb 0x55                     ;  msbs: dst=1 src0=1 src1=1 src2=1
	v_add3_u32 v20 /*v276*/, v21 /*v277*/, v20 /*v276*/, v27 /*v283*/
	s_set_vgpr_msb 0                        ;  msbs: dst=0 src0=0 src1=0 src2=0
	v_add3_u32 v220, v221, v222, v220
	v_bfe_u32 v221, v90, 4, 4
	v_lshrrev_b32_e32 v222, 28, v90
	s_delay_alu instid0(VALU_DEP_2) | instskip(NEXT) | instid1(VALU_DEP_2)
	v_mul_i32_i24_e32 v224, v120, v221
	v_mul_i32_i24_e32 v233, v218, v222
	s_delay_alu instid0(VALU_DEP_1) | instskip(SKIP_2) | instid1(VALU_DEP_2)
	v_add3_u32 v224, v230, v233, v224
	v_bfe_u32 v230, v88, 4, 4
	v_lshrrev_b32_e32 v233, 28, v88
	v_mul_i32_i24_e32 v235, v120, v230
	s_delay_alu instid0(VALU_DEP_2) | instskip(SKIP_3) | instid1(VALU_DEP_3)
	v_mul_i32_i24_e32 v236, v218, v233
	v_mul_i32_i24_e32 v120, v120, v209
	;; [unrolled: 1-line block ×3, first 2 shown]
	s_set_vgpr_msb 1                        ;  msbs: dst=0 src0=1 src1=0 src2=0
	v_add3_u32 v235, v3 /*v259*/, v236, v235
	s_set_vgpr_msb 0                        ;  msbs: dst=0 src0=0 src1=0 src2=0
	v_mul_i32_i24_e32 v236, v138, v94
	s_set_vgpr_msb 64                       ;  msbs: dst=1 src0=0 src1=0 src2=0
	v_mul_i32_i24_e32 v3 /*v259*/, v232, v222
	s_set_vgpr_msb 1                        ;  msbs: dst=0 src0=1 src1=0 src2=0
	s_delay_alu instid0(VALU_DEP_2)
	v_add3_u32 v236, v7 /*v263*/, v243, v236
	s_set_vgpr_msb 0                        ;  msbs: dst=0 src0=0 src1=0 src2=0
	v_mul_i32_i24_e32 v243, v138, v221
	s_set_vgpr_msb 64                       ;  msbs: dst=1 src0=0 src1=0 src2=0
	v_mul_i32_i24_e32 v7 /*v263*/, v232, v233
	s_set_vgpr_msb 5                        ;  msbs: dst=0 src0=1 src1=1 src2=0
	s_delay_alu instid0(VALU_DEP_2)
	v_add3_u32 v243, v15 /*v271*/, v3 /*v259*/, v243
	s_set_vgpr_msb 64                       ;  msbs: dst=1 src0=0 src1=0 src2=0
	v_mul_i32_i24_e32 v3 /*v259*/, v138, v230
	s_set_vgpr_msb 0                        ;  msbs: dst=0 src0=0 src1=0 src2=0
	v_mul_i32_i24_e32 v138, v138, v209
	s_set_vgpr_msb 0x55                     ;  msbs: dst=1 src0=1 src1=1 src2=1
	s_delay_alu instid0(VALU_DEP_2) | instskip(SKIP_3) | instid1(VALU_DEP_1)
	v_add3_u32 v3 /*v259*/, v16 /*v272*/, v7 /*v263*/, v3 /*v259*/
	s_set_vgpr_msb 0x41                     ;  msbs: dst=1 src0=1 src1=0 src2=0
	v_mul_i32_i24_e32 v7 /*v263*/, v28 /*v284*/, v237
	s_set_vgpr_msb 4                        ;  msbs: dst=0 src0=0 src1=1 src2=0
	v_add3_u32 v122, v136, v7 /*v263*/, v122
	v_bfe_i32 v136, v129, 0, 8
	s_set_vgpr_msb 64                       ;  msbs: dst=1 src0=0 src1=0 src2=0
	v_ashrrev_i32_e32 v7 /*v263*/, 24, v129
	s_delay_alu instid0(VALU_DEP_2) | instskip(SKIP_1) | instid1(VALU_DEP_2)
	v_mul_i32_i24_e32 v8 /*v264*/, v136, v94
	s_set_vgpr_msb 0x41                     ;  msbs: dst=1 src0=1 src1=0 src2=0
	v_mul_i32_i24_e32 v11 /*v267*/, v7 /*v263*/, v106
	v_mul_i32_i24_e32 v15 /*v271*/, v7 /*v263*/, v233
	s_set_vgpr_msb 20                       ;  msbs: dst=0 src0=0 src1=1 src2=1
	s_delay_alu instid0(VALU_DEP_2)
	v_add3_u32 v239, v239, v11 /*v267*/, v8 /*v264*/
	s_set_vgpr_msb 64                       ;  msbs: dst=1 src0=0 src1=0 src2=0
	v_mul_i32_i24_e32 v8 /*v264*/, v136, v221
	s_set_vgpr_msb 0x41                     ;  msbs: dst=1 src0=1 src1=0 src2=0
	v_mul_i32_i24_e32 v11 /*v267*/, v7 /*v263*/, v222
	s_set_vgpr_msb 0x55                     ;  msbs: dst=1 src0=1 src1=1 src2=1
	s_delay_alu instid0(VALU_DEP_1)
	v_add3_u32 v8 /*v264*/, v22 /*v278*/, v11 /*v267*/, v8 /*v264*/
	s_set_vgpr_msb 64                       ;  msbs: dst=1 src0=0 src1=0 src2=0
	v_mul_i32_i24_e32 v11 /*v267*/, v136, v230
	s_set_vgpr_msb 0                        ;  msbs: dst=0 src0=0 src1=0 src2=0
	v_mul_i32_i24_e32 v136, v136, v209
	s_set_vgpr_msb 0x55                     ;  msbs: dst=1 src0=1 src1=1 src2=1
	s_delay_alu instid0(VALU_DEP_2) | instskip(SKIP_3) | instid1(VALU_DEP_1)
	v_add3_u32 v11 /*v267*/, v23 /*v279*/, v15 /*v271*/, v11 /*v267*/
	s_set_vgpr_msb 0x41                     ;  msbs: dst=1 src0=1 src1=0 src2=0
	v_mul_i32_i24_e32 v15 /*v271*/, v30 /*v286*/, v237
	s_set_vgpr_msb 4                        ;  msbs: dst=0 src0=0 src1=1 src2=0
	v_add3_u32 v128, v142, v15 /*v271*/, v128
	v_bfe_i32 v142, v127, 0, 8
	s_set_vgpr_msb 64                       ;  msbs: dst=1 src0=0 src1=0 src2=0
	v_ashrrev_i32_e32 v15 /*v271*/, 24, v127
	s_set_vgpr_msb 1                        ;  msbs: dst=0 src0=1 src1=0 src2=0
	v_mul_i32_i24_e32 v244, v10 /*v266*/, v244
	s_set_vgpr_msb 64                       ;  msbs: dst=1 src0=0 src1=0 src2=0
	v_mul_i32_i24_e32 v16 /*v272*/, v142, v94
	s_set_vgpr_msb 0x41                     ;  msbs: dst=1 src0=1 src1=0 src2=0
	v_mul_i32_i24_e32 v21 /*v277*/, v15 /*v271*/, v106
	v_mul_i32_i24_e32 v22 /*v278*/, v15 /*v271*/, v233
	s_set_vgpr_msb 0                        ;  msbs: dst=0 src0=0 src1=0 src2=0
	v_add3_u32 v105, v105, v227, v244
	s_set_vgpr_msb 5                        ;  msbs: dst=0 src0=1 src1=1 src2=0
	v_mul_i32_i24_e32 v227, v10 /*v266*/, v9 /*v265*/
	s_set_vgpr_msb 20                       ;  msbs: dst=0 src0=0 src1=1 src2=1
	v_add3_u32 v246, v246, v21 /*v277*/, v16 /*v272*/
	s_set_vgpr_msb 64                       ;  msbs: dst=1 src0=0 src1=0 src2=0
	v_mul_i32_i24_e32 v16 /*v272*/, v142, v221
	s_set_vgpr_msb 0x41                     ;  msbs: dst=1 src0=1 src1=0 src2=0
	v_mul_i32_i24_e32 v21 /*v277*/, v15 /*v271*/, v222
	s_set_vgpr_msb 0                        ;  msbs: dst=0 src0=0 src1=0 src2=0
	v_add3_u32 v102, v102, v242, v227
	v_mul_i32_i24_e32 v227, v215, v106
	s_set_vgpr_msb 0x55                     ;  msbs: dst=1 src0=1 src1=1 src2=1
	v_add3_u32 v16 /*v272*/, v24 /*v280*/, v21 /*v277*/, v16 /*v272*/
	s_set_vgpr_msb 64                       ;  msbs: dst=1 src0=0 src1=0 src2=0
	v_mul_i32_i24_e32 v21 /*v277*/, v142, v230
	s_set_vgpr_msb 0                        ;  msbs: dst=0 src0=0 src1=0 src2=0
	v_mul_i32_i24_e32 v142, v142, v209
	s_set_vgpr_msb 0x55                     ;  msbs: dst=1 src0=1 src1=1 src2=1
	s_delay_alu instid0(VALU_DEP_2) | instskip(SKIP_3) | instid1(VALU_DEP_1)
	v_add3_u32 v21 /*v277*/, v25 /*v281*/, v22 /*v278*/, v21 /*v277*/
	s_set_vgpr_msb 0x41                     ;  msbs: dst=1 src0=1 src1=0 src2=0
	v_mul_i32_i24_e32 v22 /*v278*/, v36 /*v292*/, v237
	s_set_vgpr_msb 4                        ;  msbs: dst=0 src0=0 src1=1 src2=0
	v_add3_u32 v126, v140, v22 /*v278*/, v126
	v_bfe_i32 v140, v133, 0, 8
	s_set_vgpr_msb 64                       ;  msbs: dst=1 src0=0 src1=0 src2=0
	v_ashrrev_i32_e32 v22 /*v278*/, 24, v133
	s_delay_alu instid0(VALU_DEP_2) | instskip(SKIP_1) | instid1(VALU_DEP_2)
	v_mul_i32_i24_e32 v23 /*v279*/, v140, v94
	s_set_vgpr_msb 0x41                     ;  msbs: dst=1 src0=1 src1=0 src2=0
	v_mul_i32_i24_e32 v24 /*v280*/, v22 /*v278*/, v106
	s_set_vgpr_msb 0x55                     ;  msbs: dst=1 src0=1 src1=1 src2=1
	s_delay_alu instid0(VALU_DEP_1)
	v_add3_u32 v12 /*v268*/, v12 /*v268*/, v24 /*v280*/, v23 /*v279*/
	s_set_vgpr_msb 64                       ;  msbs: dst=1 src0=0 src1=0 src2=0
	v_mul_i32_i24_e32 v23 /*v279*/, v140, v221
	s_set_vgpr_msb 0x41                     ;  msbs: dst=1 src0=1 src1=0 src2=0
	v_mul_i32_i24_e32 v24 /*v280*/, v22 /*v278*/, v222
	s_set_vgpr_msb 0x55                     ;  msbs: dst=1 src0=1 src1=1 src2=1
	s_delay_alu instid0(VALU_DEP_1)
	v_add3_u32 v13 /*v269*/, v13 /*v269*/, v24 /*v280*/, v23 /*v279*/
	s_set_vgpr_msb 64                       ;  msbs: dst=1 src0=0 src1=0 src2=0
	v_mul_i32_i24_e32 v23 /*v279*/, v140, v230
	s_set_vgpr_msb 0x41                     ;  msbs: dst=1 src0=1 src1=0 src2=0
	v_mul_i32_i24_e32 v24 /*v280*/, v22 /*v278*/, v233
	s_set_vgpr_msb 0                        ;  msbs: dst=0 src0=0 src1=0 src2=0
	v_mul_i32_i24_e32 v140, v140, v209
	s_set_vgpr_msb 0x55                     ;  msbs: dst=1 src0=1 src1=1 src2=1
	s_delay_alu instid0(VALU_DEP_2) | instskip(SKIP_4) | instid1(VALU_DEP_2)
	v_add3_u32 v14 /*v270*/, v14 /*v270*/, v24 /*v280*/, v23 /*v279*/
	s_set_vgpr_msb 0x41                     ;  msbs: dst=1 src0=1 src1=0 src2=0
	v_mul_i32_i24_e32 v23 /*v279*/, v40 /*v296*/, v237
	s_set_vgpr_msb 4                        ;  msbs: dst=0 src0=0 src1=1 src2=0
	v_bfe_i32 v237, v135, 0, 8
	v_add3_u32 v132, v146, v23 /*v279*/, v132
	v_bfe_i32 v146, v131, 0, 8
	s_set_vgpr_msb 64                       ;  msbs: dst=1 src0=0 src1=0 src2=0
	v_ashrrev_i32_e32 v23 /*v279*/, 24, v131
	s_delay_alu instid0(VALU_DEP_2) | instskip(SKIP_1) | instid1(VALU_DEP_2)
	v_mul_i32_i24_e32 v24 /*v280*/, v146, v94
	s_set_vgpr_msb 0x41                     ;  msbs: dst=1 src0=1 src1=0 src2=0
	v_mul_i32_i24_e32 v25 /*v281*/, v23 /*v279*/, v106
	s_set_vgpr_msb 0x55                     ;  msbs: dst=1 src0=1 src1=1 src2=1
	s_delay_alu instid0(VALU_DEP_1)
	v_add3_u32 v5 /*v261*/, v5 /*v261*/, v25 /*v281*/, v24 /*v280*/
	s_set_vgpr_msb 64                       ;  msbs: dst=1 src0=0 src1=0 src2=0
	v_mul_i32_i24_e32 v24 /*v280*/, v146, v221
	s_set_vgpr_msb 0x41                     ;  msbs: dst=1 src0=1 src1=0 src2=0
	v_mul_i32_i24_e32 v25 /*v281*/, v23 /*v279*/, v222
	s_set_vgpr_msb 0x55                     ;  msbs: dst=1 src0=1 src1=1 src2=1
	s_delay_alu instid0(VALU_DEP_1)
	v_add3_u32 v19 /*v275*/, v19 /*v275*/, v25 /*v281*/, v24 /*v280*/
	s_set_vgpr_msb 64                       ;  msbs: dst=1 src0=0 src1=0 src2=0
	v_mul_i32_i24_e32 v24 /*v280*/, v146, v230
	s_set_vgpr_msb 0x41                     ;  msbs: dst=1 src0=1 src1=0 src2=0
	v_mul_i32_i24_e32 v25 /*v281*/, v23 /*v279*/, v233
	s_set_vgpr_msb 0                        ;  msbs: dst=0 src0=0 src1=0 src2=0
	v_mul_i32_i24_e32 v146, v146, v209
	s_set_vgpr_msb 0x55                     ;  msbs: dst=1 src0=1 src1=1 src2=1
	s_delay_alu instid0(VALU_DEP_2)
	v_add3_u32 v20 /*v276*/, v20 /*v276*/, v25 /*v281*/, v24 /*v280*/
	s_set_vgpr_msb 64                       ;  msbs: dst=1 src0=0 src1=0 src2=0
	v_mul_i32_i24_e32 v25 /*v281*/, v237, v94
	s_set_vgpr_msb 0                        ;  msbs: dst=0 src0=0 src1=0 src2=0
	v_mul_i32_i24_e32 v94, v216, v94
	s_set_vgpr_msb 64                       ;  msbs: dst=1 src0=0 src1=0 src2=0
	v_mul_i32_i24_e32 v24 /*v280*/, v214, v219
	s_set_vgpr_msb 0                        ;  msbs: dst=0 src0=0 src1=0 src2=0
	s_delay_alu instid0(VALU_DEP_2)
	v_add3_u32 v94, v95, v227, v94
	v_mul_i32_i24_e32 v95, v216, v221
	v_mul_i32_i24_e32 v227, v215, v222
	;; [unrolled: 1-line block ×3, first 2 shown]
	s_set_vgpr_msb 20                       ;  msbs: dst=0 src0=0 src1=1 src2=1
	v_add3_u32 v225, v225, v25 /*v281*/, v24 /*v280*/
	s_set_vgpr_msb 0                        ;  msbs: dst=0 src0=0 src1=0 src2=0
	v_add3_u32 v95, v96, v227, v95
	v_mul_i32_i24_e32 v96, v216, v230
	v_mul_i32_i24_e32 v227, v228, v112
	s_delay_alu instid0(VALU_DEP_2) | instskip(SKIP_2) | instid1(VALU_DEP_1)
	v_add3_u32 v96, v101, v215, v96
	v_mul_i32_i24_e32 v101, v144, v211
	v_mul_i32_i24_e32 v144, v223, v112
	v_add3_u32 v101, v103, v144, v101
	v_bfe_i32 v144, v125, 8, 8
	v_bfe_i32 v125, v125, 16, 8
	s_delay_alu instid0(VALU_DEP_2) | instskip(NEXT) | instid1(VALU_DEP_2)
	v_mul_i32_i24_e32 v103, v144, v219
	v_mul_i32_i24_e32 v215, v125, v86
	s_delay_alu instid0(VALU_DEP_1) | instskip(SKIP_2) | instid1(VALU_DEP_2)
	v_add3_u32 v103, v220, v103, v215
	v_bfe_u32 v215, v90, 12, 4
	v_bfe_u32 v90, v90, 20, 4
	v_mul_i32_i24_e32 v216, v144, v215
	s_delay_alu instid0(VALU_DEP_2) | instskip(NEXT) | instid1(VALU_DEP_1)
	v_mul_i32_i24_e32 v220, v125, v90
	v_add3_u32 v216, v224, v216, v220
	v_bfe_u32 v220, v88, 12, 4
	v_bfe_u32 v88, v88, 20, 4
	s_delay_alu instid0(VALU_DEP_2) | instskip(NEXT) | instid1(VALU_DEP_2)
	v_mul_i32_i24_e32 v223, v144, v220
	v_mul_i32_i24_e32 v224, v125, v88
	;; [unrolled: 1-line block ×4, first 2 shown]
	s_delay_alu instid0(VALU_DEP_3) | instskip(SKIP_1) | instid1(VALU_DEP_1)
	v_add3_u32 v223, v235, v223, v224
	v_mul_i32_i24_e32 v224, v229, v212
	v_add3_u32 v124, v124, v224, v227
	v_bfe_i32 v224, v123, 8, 8
	v_bfe_i32 v123, v123, 16, 8
	s_delay_alu instid0(VALU_DEP_2) | instskip(NEXT) | instid1(VALU_DEP_2)
	v_mul_i32_i24_e32 v227, v224, v219
	v_mul_i32_i24_e32 v228, v123, v86
	;; [unrolled: 1-line block ×5, first 2 shown]
	s_delay_alu instid0(VALU_DEP_4)
	v_add3_u32 v227, v236, v227, v228
	v_mul_i32_i24_e32 v228, v224, v215
	s_set_vgpr_msb 1                        ;  msbs: dst=0 src0=1 src1=0 src2=0
	v_mul_i32_i24_e32 v236, v17 /*v273*/, v112
	v_mul_i32_i24_e32 v112, v2 /*v258*/, v112
	s_set_vgpr_msb 0x41                     ;  msbs: dst=1 src0=1 src1=0 src2=0
	v_mul_i32_i24_e32 v2 /*v258*/, v38 /*v294*/, v212
	s_set_vgpr_msb 0                        ;  msbs: dst=0 src0=0 src1=0 src2=0
	v_add3_u32 v228, v243, v228, v229
	v_mul_i32_i24_e32 v229, v224, v220
	v_mul_i32_i24_e32 v224, v224, v234
	s_set_vgpr_msb 4                        ;  msbs: dst=0 src0=0 src1=1 src2=0
	v_add3_u32 v112, v130, v2 /*v258*/, v112
	s_set_vgpr_msb 0                        ;  msbs: dst=0 src0=0 src1=0 src2=0
	v_ashrrev_i32_e32 v130, 24, v135
	v_bfe_i32 v135, v135, 16, 8
	s_set_vgpr_msb 1                        ;  msbs: dst=0 src0=1 src1=0 src2=0
	v_add3_u32 v229, v3 /*v259*/, v229, v235
	v_mul_i32_i24_e32 v235, v18 /*v274*/, v212
	s_set_vgpr_msb 0                        ;  msbs: dst=0 src0=0 src1=0 src2=0
	v_mul_i32_i24_e32 v106, v130, v106
	s_set_vgpr_msb 64                       ;  msbs: dst=1 src0=0 src1=0 src2=0
	v_mul_i32_i24_e32 v2 /*v258*/, v135, v86
	s_set_vgpr_msb 0                        ;  msbs: dst=0 src0=0 src1=0 src2=0
	v_add3_u32 v122, v122, v235, v236
	v_bfe_i32 v235, v129, 8, 8
	v_bfe_i32 v129, v129, 16, 8
	s_set_vgpr_msb 4                        ;  msbs: dst=0 src0=0 src1=1 src2=0
	v_add3_u32 v225, v225, v2 /*v258*/, v106
	s_set_vgpr_msb 0                        ;  msbs: dst=0 src0=0 src1=0 src2=0
	v_mul_i32_i24_e32 v106, v237, v221
	v_mul_i32_i24_e32 v221, v214, v215
	;; [unrolled: 1-line block ×5, first 2 shown]
	s_delay_alu instid0(VALU_DEP_4) | instskip(SKIP_1) | instid1(VALU_DEP_4)
	v_add3_u32 v221, v105, v106, v221
	v_mul_i32_i24_e32 v105, v237, v230
	v_add3_u32 v236, v239, v236, v242
	v_mul_i32_i24_e32 v239, v235, v215
	v_mul_i32_i24_e32 v242, v129, v90
	;; [unrolled: 1-line block ×4, first 2 shown]
	s_set_vgpr_msb 1                        ;  msbs: dst=0 src0=1 src1=0 src2=0
	s_delay_alu instid0(VALU_DEP_3)
	v_add3_u32 v239, v8 /*v264*/, v239, v242
	s_set_vgpr_msb 0                        ;  msbs: dst=0 src0=0 src1=0 src2=0
	v_mul_i32_i24_e32 v242, v235, v220
	v_add3_u32 v230, v102, v105, v106
	v_mul_i32_i24_e32 v102, v107, v219
	ds_load_2addr_b32 v[104:105], v104 offset1:3
	s_set_vgpr_msb 1                        ;  msbs: dst=0 src0=1 src1=0 src2=0
	v_add3_u32 v242, v11 /*v267*/, v242, v243
	v_mul_i32_i24_e32 v243, v26 /*v282*/, v212
	s_set_vgpr_msb 0                        ;  msbs: dst=0 src0=0 src1=0 src2=0
	s_delay_alu instid0(VALU_DEP_1) | instskip(SKIP_2) | instid1(VALU_DEP_2)
	v_add3_u32 v128, v128, v243, v240
	v_bfe_i32 v240, v127, 8, 8
	v_bfe_i32 v127, v127, 16, 8
	v_mul_i32_i24_e32 v243, v240, v219
	s_delay_alu instid0(VALU_DEP_2) | instskip(SKIP_3) | instid1(VALU_DEP_2)
	v_mul_i32_i24_e32 v244, v127, v86
	s_set_vgpr_msb 64                       ;  msbs: dst=1 src0=0 src1=0 src2=0
	v_mul_i32_i24_e32 v3 /*v259*/, v127, v88
	s_set_vgpr_msb 0                        ;  msbs: dst=0 src0=0 src1=0 src2=0
	v_add3_u32 v243, v246, v243, v244
	v_mul_i32_i24_e32 v244, v240, v215
	v_mul_i32_i24_e32 v246, v127, v90
	s_set_vgpr_msb 1                        ;  msbs: dst=0 src0=1 src1=0 src2=0
	s_delay_alu instid0(VALU_DEP_1)
	v_add3_u32 v244, v16 /*v272*/, v244, v246
	s_set_vgpr_msb 0                        ;  msbs: dst=0 src0=0 src1=0 src2=0
	v_mul_i32_i24_e32 v246, v240, v220
	s_set_vgpr_msb 64                       ;  msbs: dst=1 src0=0 src1=0 src2=0
	v_bfe_u32 v16 /*v272*/, v89, 24, 4
	s_set_vgpr_msb 17                       ;  msbs: dst=0 src0=1 src1=0 src2=1
	s_delay_alu instid0(VALU_DEP_2) | instskip(SKIP_3) | instid1(VALU_DEP_1)
	v_add3_u32 v246, v21 /*v277*/, v246, v3 /*v259*/
	s_set_vgpr_msb 0x41                     ;  msbs: dst=1 src0=1 src1=0 src2=0
	v_mul_i32_i24_e32 v3 /*v259*/, v32 /*v288*/, v212
	s_set_vgpr_msb 4                        ;  msbs: dst=0 src0=0 src1=1 src2=0
	v_add3_u32 v126, v126, v3 /*v259*/, v249
	v_bfe_i32 v249, v133, 8, 8
	v_bfe_i32 v133, v133, 16, 8
	s_set_vgpr_msb 64                       ;  msbs: dst=1 src0=0 src1=0 src2=0
	s_delay_alu instid0(VALU_DEP_2) | instskip(NEXT) | instid1(VALU_DEP_2)
	v_mul_i32_i24_e32 v3 /*v259*/, v249, v219
	v_mul_i32_i24_e32 v8 /*v264*/, v133, v86
	;; [unrolled: 1-line block ×4, first 2 shown]
	s_set_vgpr_msb 0x55                     ;  msbs: dst=1 src0=1 src1=1 src2=1
	s_delay_alu instid0(VALU_DEP_3) | instskip(SKIP_3) | instid1(VALU_DEP_1)
	v_add3_u32 v3 /*v259*/, v12 /*v268*/, v3 /*v259*/, v8 /*v264*/
	s_set_vgpr_msb 64                       ;  msbs: dst=1 src0=0 src1=0 src2=0
	v_mul_i32_i24_e32 v8 /*v264*/, v249, v215
	s_set_vgpr_msb 0x55                     ;  msbs: dst=1 src0=1 src1=1 src2=1
	v_add3_u32 v8 /*v264*/, v13 /*v269*/, v8 /*v264*/, v9 /*v265*/
	s_set_vgpr_msb 64                       ;  msbs: dst=1 src0=0 src1=0 src2=0
	v_mul_i32_i24_e32 v9 /*v265*/, v249, v220
	s_set_vgpr_msb 0x55                     ;  msbs: dst=1 src0=1 src1=1 src2=1
	s_delay_alu instid0(VALU_DEP_1)
	v_add3_u32 v9 /*v265*/, v14 /*v270*/, v9 /*v265*/, v11 /*v267*/
	s_set_vgpr_msb 0x41                     ;  msbs: dst=1 src0=1 src1=0 src2=0
	v_mul_i32_i24_e32 v11 /*v267*/, v37 /*v293*/, v212
	s_set_vgpr_msb 64                       ;  msbs: dst=1 src0=0 src1=0 src2=0
	v_bfe_u32 v14 /*v270*/, v89, 8, 4
	s_set_vgpr_msb 4                        ;  msbs: dst=0 src0=0 src1=1 src2=0
	s_delay_alu instid0(VALU_DEP_2) | instskip(SKIP_3) | instid1(VALU_DEP_2)
	v_add3_u32 v132, v132, v11 /*v267*/, v250
	v_bfe_i32 v250, v131, 8, 8
	v_bfe_i32 v131, v131, 16, 8
	s_set_vgpr_msb 64                       ;  msbs: dst=1 src0=0 src1=0 src2=0
	v_mul_i32_i24_e32 v11 /*v267*/, v250, v219
	s_delay_alu instid0(VALU_DEP_2)
	v_mul_i32_i24_e32 v12 /*v268*/, v131, v86
	s_set_vgpr_msb 0                        ;  msbs: dst=0 src0=0 src1=0 src2=0
	v_mul_i32_i24_e32 v86, v213, v86
	v_bfe_u32 v219, v87, 24, 4
	s_set_vgpr_msb 64                       ;  msbs: dst=1 src0=0 src1=0 src2=0
	v_mul_i32_i24_e32 v13 /*v269*/, v131, v88
	s_set_vgpr_msb 0x55                     ;  msbs: dst=1 src0=1 src1=1 src2=1
	v_add3_u32 v5 /*v261*/, v5 /*v261*/, v11 /*v267*/, v12 /*v268*/
	s_set_vgpr_msb 0                        ;  msbs: dst=0 src0=0 src1=0 src2=0
	v_add3_u32 v86, v94, v102, v86
	v_mul_i32_i24_e32 v94, v107, v215
	v_mul_i32_i24_e32 v102, v213, v90
	s_set_vgpr_msb 64                       ;  msbs: dst=1 src0=0 src1=0 src2=0
	v_mul_i32_i24_e32 v11 /*v267*/, v250, v215
	v_mul_i32_i24_e32 v12 /*v268*/, v131, v90
	s_set_vgpr_msb 0                        ;  msbs: dst=0 src0=0 src1=0 src2=0
	v_mul_i32_i24_e32 v90, v135, v90
	v_add3_u32 v215, v95, v94, v102
	v_mul_i32_i24_e32 v94, v107, v220
	v_mul_i32_i24_e32 v95, v213, v88
	s_set_vgpr_msb 0x55                     ;  msbs: dst=1 src0=1 src1=1 src2=1
	v_add3_u32 v11 /*v267*/, v19 /*v275*/, v11 /*v267*/, v12 /*v268*/
	s_set_vgpr_msb 64                       ;  msbs: dst=1 src0=0 src1=0 src2=0
	v_mul_i32_i24_e32 v12 /*v268*/, v250, v220
	s_set_vgpr_msb 0                        ;  msbs: dst=0 src0=0 src1=0 src2=0
	v_mul_i32_i24_e32 v88, v135, v88
	v_mul_i32_i24_e32 v135, v135, v207
	v_add3_u32 v213, v96, v94, v95
	s_set_vgpr_msb 1                        ;  msbs: dst=0 src0=1 src1=0 src2=0
	v_mul_i32_i24_e32 v94, v10 /*v266*/, v212
	s_set_vgpr_msb 0                        ;  msbs: dst=0 src0=0 src1=0 src2=0
	v_mul_i32_i24_e32 v95, v149, v210
	v_bfe_u32 v212, v87, 8, 4
	s_set_vgpr_msb 0x55                     ;  msbs: dst=1 src0=1 src1=1 src2=1
	v_add3_u32 v12 /*v268*/, v20 /*v276*/, v12 /*v268*/, v13 /*v269*/
	s_set_vgpr_msb 64                       ;  msbs: dst=1 src0=0 src1=0 src2=0
	v_bfe_u32 v10 /*v266*/, v91, 8, 4
	v_bfe_u32 v13 /*v269*/, v91, 24, 4
	s_set_vgpr_msb 0                        ;  msbs: dst=0 src0=0 src1=0 src2=0
	v_add3_u32 v149, v101, v95, v94
	ds_load_2addr_b32 v[94:95], v226 offset1:3
	s_wait_dscnt 0x0
	v_bfe_i32 v220, v95, 8, 8
	v_ashrrev_i32_e32 v226, 24, v95
	s_delay_alu instid0(VALU_DEP_2) | instskip(NEXT) | instid1(VALU_DEP_2)
	v_mul_i32_i24_e32 v96, v220, v212
	v_mul_i32_i24_e32 v101, v226, v219
	s_set_vgpr_msb 64                       ;  msbs: dst=1 src0=0 src1=0 src2=0
	s_delay_alu instid0(VALU_DEP_1)
	v_add3_u32 v2 /*v258*/, v103, v101, v96
	s_set_vgpr_msb 4                        ;  msbs: dst=0 src0=0 src1=1 src2=0
	ds_load_2addr_b32 v[102:103], v100 offset1:3
	v_mul_i32_i24_e32 v96, v220, v10 /*v266*/
	v_mul_i32_i24_e32 v101, v226, v13 /*v269*/
	s_set_vgpr_msb 0                        ;  msbs: dst=0 src0=0 src1=0 src2=0
	s_delay_alu instid0(VALU_DEP_1) | instskip(SKIP_4) | instid1(VALU_DEP_1)
	v_add3_u32 v216, v216, v101, v96
	s_set_vgpr_msb 4                        ;  msbs: dst=0 src0=0 src1=1 src2=0
	v_mul_i32_i24_e32 v96, v220, v14 /*v270*/
	v_mul_i32_i24_e32 v101, v226, v16 /*v272*/
	s_set_vgpr_msb 0                        ;  msbs: dst=0 src0=0 src1=0 src2=0
	v_add3_u32 v223, v223, v101, v96
	v_mul_i32_i24_e32 v96, v97, v211
	v_mul_i32_i24_e32 v97, v139, v210
	s_wait_dscnt 0x0
	v_bfe_i32 v139, v103, 8, 8
	s_set_vgpr_msb 64                       ;  msbs: dst=1 src0=0 src1=0 src2=0
	v_ashrrev_i32_e32 v17 /*v273*/, 24, v103
	s_set_vgpr_msb 0                        ;  msbs: dst=0 src0=0 src1=0 src2=0
	v_add3_u32 v124, v124, v96, v97
	v_mul_i32_i24_e32 v96, v139, v212
	s_set_vgpr_msb 1                        ;  msbs: dst=0 src0=1 src1=0 src2=0
	v_mul_i32_i24_e32 v97, v17 /*v273*/, v219
	s_set_vgpr_msb 0                        ;  msbs: dst=0 src0=0 src1=0 src2=0
	v_add3_u32 v120, v124, v218, v120
	v_bfe_i32 v218, v103, 0, 8
	v_bfe_i32 v103, v103, 16, 8
	v_add3_u32 v227, v227, v97, v96
	s_set_vgpr_msb 4                        ;  msbs: dst=0 src0=0 src1=1 src2=0
	v_mul_i32_i24_e32 v96, v139, v10 /*v266*/
	s_set_vgpr_msb 5                        ;  msbs: dst=0 src0=1 src1=1 src2=0
	v_mul_i32_i24_e32 v97, v17 /*v273*/, v13 /*v269*/
	s_set_vgpr_msb 0                        ;  msbs: dst=0 src0=0 src1=0 src2=0
	v_add3_u32 v120, v120, v144, v125
	v_bfe_i32 v125, v99, 0, 8
	s_delay_alu instid0(VALU_DEP_3)
	v_add3_u32 v228, v228, v97, v96
	s_set_vgpr_msb 4                        ;  msbs: dst=0 src0=0 src1=1 src2=0
	v_mul_i32_i24_e32 v96, v139, v14 /*v270*/
	s_set_vgpr_msb 5                        ;  msbs: dst=0 src0=1 src1=1 src2=0
	v_mul_i32_i24_e32 v97, v17 /*v273*/, v16 /*v272*/
	s_set_vgpr_msb 0                        ;  msbs: dst=0 src0=0 src1=0 src2=0
	s_delay_alu instid0(VALU_DEP_1) | instskip(SKIP_4) | instid1(VALU_DEP_1)
	v_add3_u32 v229, v229, v97, v96
	s_set_vgpr_msb 1                        ;  msbs: dst=0 src0=1 src1=0 src2=0
	v_mul_i32_i24_e32 v96, v6 /*v262*/, v211
	s_set_vgpr_msb 0                        ;  msbs: dst=0 src0=0 src1=0 src2=0
	v_mul_i32_i24_e32 v97, v137, v210
	v_add3_u32 v122, v122, v96, v97
	ds_load_2addr_b32 v[96:97], v98 offset1:3
	s_wait_dscnt 0x0
	v_bfe_i32 v98, v97, 8, 8
	v_ashrrev_i32_e32 v137, 24, v97
	s_delay_alu instid0(VALU_DEP_2) | instskip(NEXT) | instid1(VALU_DEP_2)
	v_mul_i32_i24_e32 v100, v98, v212
	v_mul_i32_i24_e32 v101, v137, v219
	s_delay_alu instid0(VALU_DEP_1) | instskip(SKIP_4) | instid1(VALU_DEP_1)
	v_add3_u32 v236, v236, v101, v100
	s_set_vgpr_msb 4                        ;  msbs: dst=0 src0=0 src1=1 src2=0
	v_mul_i32_i24_e32 v100, v98, v10 /*v266*/
	v_mul_i32_i24_e32 v101, v137, v13 /*v269*/
	s_set_vgpr_msb 0                        ;  msbs: dst=0 src0=0 src1=0 src2=0
	v_add3_u32 v239, v239, v101, v100
	s_set_vgpr_msb 4                        ;  msbs: dst=0 src0=0 src1=1 src2=0
	v_mul_i32_i24_e32 v100, v98, v14 /*v270*/
	v_mul_i32_i24_e32 v101, v137, v16 /*v272*/
	s_set_vgpr_msb 0                        ;  msbs: dst=0 src0=0 src1=0 src2=0
	v_mul_i32_i24_e32 v98, v98, v111
	s_delay_alu instid0(VALU_DEP_2)
	v_add3_u32 v242, v242, v101, v100
	v_mul_i32_i24_e32 v100, v238, v211
	v_mul_i32_i24_e32 v101, v143, v210
	v_bfe_i32 v143, v105, 8, 8
	v_ashrrev_i32_e32 v238, 24, v105
	v_mul_i32_i24_e32 v222, v130, v222
	s_delay_alu instid0(VALU_DEP_4) | instskip(NEXT) | instid1(VALU_DEP_4)
	v_add3_u32 v128, v128, v100, v101
	v_mul_i32_i24_e32 v100, v143, v212
	s_delay_alu instid0(VALU_DEP_4) | instskip(NEXT) | instid1(VALU_DEP_4)
	v_mul_i32_i24_e32 v101, v238, v219
	v_add3_u32 v90, v221, v90, v222
	v_mul_i32_i24_e32 v221, v130, v233
	v_bfe_u32 v222, v91, 16, 4
	v_mul_i32_i24_e32 v130, v130, v208
	v_add3_u32 v243, v243, v101, v100
	s_set_vgpr_msb 4                        ;  msbs: dst=0 src0=0 src1=1 src2=0
	v_mul_i32_i24_e32 v100, v143, v10 /*v266*/
	v_mul_i32_i24_e32 v101, v238, v13 /*v269*/
	s_set_vgpr_msb 0                        ;  msbs: dst=0 src0=0 src1=0 src2=0
	v_add3_u32 v88, v230, v88, v221
	s_set_vgpr_msb 1                        ;  msbs: dst=0 src0=1 src1=0 src2=0
	v_mul_i32_i24_e32 v221, v1 /*v257*/, v219
	s_set_vgpr_msb 0                        ;  msbs: dst=0 src0=0 src1=0 src2=0
	v_add3_u32 v244, v244, v101, v100
	s_set_vgpr_msb 4                        ;  msbs: dst=0 src0=0 src1=1 src2=0
	v_mul_i32_i24_e32 v100, v143, v14 /*v270*/
	v_mul_i32_i24_e32 v101, v238, v16 /*v272*/
	s_set_vgpr_msb 0                        ;  msbs: dst=0 src0=0 src1=0 src2=0
	s_delay_alu instid0(VALU_DEP_1) | instskip(SKIP_2) | instid1(VALU_DEP_1)
	v_add3_u32 v246, v246, v101, v100
	v_mul_i32_i24_e32 v100, v245, v211
	v_mul_i32_i24_e32 v101, v141, v210
	v_add3_u32 v126, v126, v100, v101
	ds_load_2addr_b32 v[100:101], v251 offset1:3
	s_wait_dscnt 0x0
	v_bfe_i32 v141, v101, 8, 8
	v_ashrrev_i32_e32 v245, 24, v101
	s_delay_alu instid0(VALU_DEP_2) | instskip(NEXT) | instid1(VALU_DEP_2)
	v_mul_i32_i24_e32 v106, v141, v212
	v_mul_i32_i24_e32 v107, v245, v219
	s_set_vgpr_msb 1                        ;  msbs: dst=0 src0=1 src1=0 src2=0
	s_delay_alu instid0(VALU_DEP_1) | instskip(SKIP_4) | instid1(VALU_DEP_1)
	v_add3_u32 v251, v3 /*v259*/, v107, v106
	s_set_vgpr_msb 4                        ;  msbs: dst=0 src0=0 src1=1 src2=0
	v_mul_i32_i24_e32 v106, v141, v10 /*v266*/
	v_mul_i32_i24_e32 v107, v245, v13 /*v269*/
	s_set_vgpr_msb 0x41                     ;  msbs: dst=1 src0=1 src1=0 src2=0
	v_add3_u32 v3 /*v259*/, v8 /*v264*/, v107, v106
	s_set_vgpr_msb 4                        ;  msbs: dst=0 src0=0 src1=1 src2=0
	v_mul_i32_i24_e32 v106, v141, v14 /*v270*/
	v_mul_i32_i24_e32 v107, v245, v16 /*v272*/
	s_set_vgpr_msb 0x41                     ;  msbs: dst=1 src0=1 src1=0 src2=0
	s_delay_alu instid0(VALU_DEP_1)
	v_add3_u32 v6 /*v262*/, v9 /*v265*/, v107, v106
	s_set_vgpr_msb 0                        ;  msbs: dst=0 src0=0 src1=0 src2=0
	v_mul_i32_i24_e32 v106, v255, v211
	v_mul_i32_i24_e32 v107, v147, v210
	s_set_vgpr_msb 1                        ;  msbs: dst=0 src0=1 src1=0 src2=0
	v_mul_i32_i24_e32 v211, v4 /*v260*/, v211
	v_and_b32_e32 v210, 15, v87
	s_set_vgpr_msb 0                        ;  msbs: dst=0 src0=0 src1=0 src2=0
	v_add3_u32 v132, v132, v106, v107
	s_set_vgpr_msb 1                        ;  msbs: dst=0 src0=1 src1=0 src2=0
	ds_load_2addr_b32 v[106:107], v0 /*v256*/ offset1:3
	s_set_vgpr_msb 0                        ;  msbs: dst=0 src0=0 src1=0 src2=0
	v_add3_u32 v112, v112, v211, v145
	v_bfe_i32 v211, v85, 8, 8
	v_bfe_i32 v145, v85, 0, 8
	s_wait_dscnt 0x0
	v_bfe_i32 v147, v107, 8, 8
	v_ashrrev_i32_e32 v255, 24, v107
	s_set_vgpr_msb 64                       ;  msbs: dst=1 src0=0 src1=0 src2=0
	s_delay_alu instid0(VALU_DEP_2) | instskip(NEXT) | instid1(VALU_DEP_2)
	v_mul_i32_i24_e32 v0 /*v256*/, v147, v212
	v_mul_i32_i24_e32 v8 /*v264*/, v255, v219
	s_set_vgpr_msb 0x44                     ;  msbs: dst=1 src0=0 src1=1 src2=0
	v_mul_i32_i24_e32 v9 /*v265*/, v255, v16 /*v272*/
	s_set_vgpr_msb 0x55                     ;  msbs: dst=1 src0=1 src1=1 src2=1
	s_delay_alu instid0(VALU_DEP_2) | instskip(SKIP_4) | instid1(VALU_DEP_1)
	v_add3_u32 v0 /*v256*/, v5 /*v261*/, v8 /*v264*/, v0 /*v256*/
	s_set_vgpr_msb 0x44                     ;  msbs: dst=1 src0=0 src1=1 src2=0
	v_mul_i32_i24_e32 v5 /*v261*/, v147, v10 /*v266*/
	v_mul_i32_i24_e32 v8 /*v264*/, v255, v13 /*v269*/
	s_set_vgpr_msb 0x55                     ;  msbs: dst=1 src0=1 src1=1 src2=1
	v_add3_u32 v5 /*v261*/, v11 /*v267*/, v8 /*v264*/, v5 /*v261*/
	s_set_vgpr_msb 0x44                     ;  msbs: dst=1 src0=0 src1=1 src2=0
	v_mul_i32_i24_e32 v8 /*v264*/, v147, v14 /*v270*/
	s_set_vgpr_msb 0x55                     ;  msbs: dst=1 src0=1 src1=1 src2=1
	s_delay_alu instid0(VALU_DEP_1) | instskip(SKIP_4) | instid1(VALU_DEP_1)
	v_add3_u32 v8 /*v264*/, v12 /*v268*/, v9 /*v265*/, v8 /*v264*/
	s_set_vgpr_msb 64                       ;  msbs: dst=1 src0=0 src1=0 src2=0
	v_mul_i32_i24_e32 v9 /*v265*/, v211, v212
	s_set_vgpr_msb 0                        ;  msbs: dst=0 src0=0 src1=0 src2=0
	v_mul_i32_i24_e32 v212, v121, v212
	v_add3_u32 v86, v86, v221, v212
	s_set_vgpr_msb 4                        ;  msbs: dst=0 src0=0 src1=1 src2=0
	v_mul_i32_i24_e32 v212, v121, v10 /*v266*/
	s_set_vgpr_msb 5                        ;  msbs: dst=0 src0=1 src1=1 src2=0
	v_mul_i32_i24_e32 v221, v1 /*v257*/, v13 /*v269*/
	s_set_vgpr_msb 4                        ;  msbs: dst=0 src0=0 src1=1 src2=0
	v_mul_i32_i24_e32 v121, v121, v14 /*v270*/
	s_set_vgpr_msb 0                        ;  msbs: dst=0 src0=0 src1=0 src2=0
	s_delay_alu instid0(VALU_DEP_2) | instskip(SKIP_3) | instid1(VALU_DEP_1)
	v_add3_u32 v212, v215, v221, v212
	s_set_vgpr_msb 5                        ;  msbs: dst=0 src0=1 src1=1 src2=0
	v_mul_i32_i24_e32 v215, v1 /*v257*/, v16 /*v272*/
	s_set_vgpr_msb 0                        ;  msbs: dst=0 src0=0 src1=0 src2=0
	v_add3_u32 v121, v213, v215, v121
	v_mul_i32_i24_e32 v213, v237, v209
	s_set_vgpr_msb 1                        ;  msbs: dst=0 src0=1 src1=0 src2=0
	v_mul_i32_i24_e32 v209, v23 /*v279*/, v208
	s_set_vgpr_msb 0                        ;  msbs: dst=0 src0=0 src1=0 src2=0
	s_delay_alu instid0(VALU_DEP_2)
	v_add3_u32 v149, v149, v213, v214
	v_bfe_u32 v213, v87, 16, 4
	v_bfe_i32 v214, v95, 0, 8
	v_bfe_i32 v95, v95, 16, 8
	v_add3_u32 v112, v112, v209, v146
	v_ashrrev_i32_e32 v146, 24, v85
	v_mul_i32_i24_e32 v124, v218, v210
	v_mul_i32_i24_e32 v215, v214, v210
	;; [unrolled: 1-line block ×4, first 2 shown]
	v_bfe_i32 v85, v85, 16, 8
	s_set_vgpr_msb 64                       ;  msbs: dst=1 src0=0 src1=0 src2=0
	v_mul_i32_i24_e32 v4 /*v260*/, v145, v210
	s_set_vgpr_msb 0                        ;  msbs: dst=0 src0=0 src1=0 src2=0
	v_mul_i32_i24_e32 v209, v146, v219
	s_set_vgpr_msb 1                        ;  msbs: dst=0 src0=1 src1=0 src2=0
	v_add3_u32 v215, v2 /*v258*/, v215, v221
	v_and_b32_e32 v221, 15, v91
	s_set_vgpr_msb 0                        ;  msbs: dst=0 src0=0 src1=0 src2=0
	v_mul_i32_i24_e32 v219, v85, v213
	s_set_vgpr_msb 20                       ;  msbs: dst=0 src0=0 src1=1 src2=1
	v_add3_u32 v225, v225, v9 /*v265*/, v4 /*v260*/
	s_set_vgpr_msb 0                        ;  msbs: dst=0 src0=0 src1=0 src2=0
	v_add3_u32 v130, v149, v135, v130
	v_bfe_u32 v135, v87, 4, 4
	v_mul_i32_i24_e32 v230, v214, v221
	v_lshrrev_b32_e32 v149, 28, v87
	v_add3_u32 v209, v225, v219, v209
	s_set_vgpr_msb 4                        ;  msbs: dst=0 src0=0 src1=1 src2=0
	v_mul_i32_i24_e32 v219, v211, v10 /*v266*/
	s_set_vgpr_msb 0                        ;  msbs: dst=0 src0=0 src1=0 src2=0
	v_mul_i32_i24_e32 v144, v125, v135
	v_add3_u32 v216, v216, v230, v233
	v_and_b32_e32 v230, 15, v89
	v_bfe_u32 v233, v89, 16, 4
	s_delay_alu instid0(VALU_DEP_2) | instskip(SKIP_1) | instid1(VALU_DEP_2)
	v_mul_i32_i24_e32 v237, v214, v230
	s_set_vgpr_msb 64                       ;  msbs: dst=1 src0=0 src1=0 src2=0
	v_mul_i32_i24_e32 v1 /*v257*/, v95, v233
	s_set_vgpr_msb 16                       ;  msbs: dst=0 src0=0 src1=0 src2=1
	v_mul_i32_i24_e32 v95, v95, v116
	s_delay_alu instid0(VALU_DEP_2) | instskip(SKIP_2) | instid1(VALU_DEP_1)
	v_add3_u32 v223, v223, v237, v1 /*v257*/
	v_mul_i32_i24_e32 v237, v103, v213
	s_set_vgpr_msb 0                        ;  msbs: dst=0 src0=0 src1=0 src2=0
	v_add3_u32 v124, v227, v124, v237
	v_mul_i32_i24_e32 v227, v218, v221
	v_mul_i32_i24_e32 v237, v103, v222
	s_delay_alu instid0(VALU_DEP_1) | instskip(SKIP_2) | instid1(VALU_DEP_1)
	v_add3_u32 v227, v228, v227, v237
	v_mul_i32_i24_e32 v228, v218, v230
	v_mul_i32_i24_e32 v237, v103, v233
	v_add3_u32 v228, v229, v228, v237
	v_mul_i32_i24_e32 v229, v232, v208
	v_bfe_i32 v232, v97, 16, 8
	s_delay_alu instid0(VALU_DEP_2) | instskip(SKIP_1) | instid1(VALU_DEP_3)
	v_add3_u32 v122, v122, v229, v138
	v_bfe_i32 v229, v97, 0, 8
	v_mul_i32_i24_e32 v138, v232, v213
	v_mul_i32_i24_e32 v237, v232, v233
	s_delay_alu instid0(VALU_DEP_4) | instskip(NEXT) | instid1(VALU_DEP_4)
	v_add3_u32 v122, v122, v224, v123
	v_mul_i32_i24_e32 v97, v229, v210
	v_ashrrev_i32_e32 v224, 24, v109
	v_bfe_i32 v123, v109, 0, 8
	s_delay_alu instid0(VALU_DEP_3) | instskip(SKIP_2) | instid1(VALU_DEP_1)
	v_add3_u32 v97, v236, v97, v138
	v_mul_i32_i24_e32 v138, v229, v221
	v_mul_i32_i24_e32 v236, v232, v222
	v_add3_u32 v138, v239, v138, v236
	v_mul_i32_i24_e32 v236, v229, v230
	s_delay_alu instid0(VALU_DEP_1) | instskip(SKIP_3) | instid1(VALU_DEP_1)
	v_add3_u32 v236, v242, v236, v237
	s_set_vgpr_msb 1                        ;  msbs: dst=0 src0=1 src1=0 src2=0
	v_mul_i32_i24_e32 v237, v7 /*v263*/, v208
	s_set_vgpr_msb 0                        ;  msbs: dst=0 src0=0 src1=0 src2=0
	v_add3_u32 v128, v128, v237, v136
	v_bfe_i32 v237, v105, 0, 8
	v_bfe_i32 v105, v105, 16, 8
	s_delay_alu instid0(VALU_DEP_2) | instskip(NEXT) | instid1(VALU_DEP_2)
	v_mul_i32_i24_e32 v136, v237, v210
	v_mul_i32_i24_e32 v239, v105, v213
	;; [unrolled: 1-line block ×3, first 2 shown]
	s_delay_alu instid0(VALU_DEP_2) | instskip(SKIP_2) | instid1(VALU_DEP_2)
	v_add3_u32 v136, v243, v136, v239
	v_mul_i32_i24_e32 v239, v237, v221
	v_mul_i32_i24_e32 v243, v105, v233
	v_add3_u32 v239, v244, v239, v242
	v_mul_i32_i24_e32 v242, v237, v230
	s_delay_alu instid0(VALU_DEP_1) | instskip(SKIP_3) | instid1(VALU_DEP_1)
	v_add3_u32 v242, v246, v242, v243
	s_set_vgpr_msb 1                        ;  msbs: dst=0 src0=1 src1=0 src2=0
	v_mul_i32_i24_e32 v243, v15 /*v271*/, v208
	s_set_vgpr_msb 0                        ;  msbs: dst=0 src0=0 src1=0 src2=0
	v_add3_u32 v126, v126, v243, v142
	v_bfe_i32 v243, v101, 0, 8
	v_bfe_i32 v101, v101, 16, 8
	s_delay_alu instid0(VALU_DEP_2) | instskip(NEXT) | instid1(VALU_DEP_2)
	v_mul_i32_i24_e32 v142, v243, v210
	v_mul_i32_i24_e32 v244, v101, v213
	;; [unrolled: 1-line block ×3, first 2 shown]
	s_delay_alu instid0(VALU_DEP_2) | instskip(SKIP_3) | instid1(VALU_DEP_2)
	v_add3_u32 v142, v251, v142, v244
	v_mul_i32_i24_e32 v244, v243, v221
	v_mul_i32_i24_e32 v251, v101, v233
	s_set_vgpr_msb 1                        ;  msbs: dst=0 src0=1 src1=0 src2=0
	v_add3_u32 v244, v3 /*v259*/, v244, v246
	s_set_vgpr_msb 0                        ;  msbs: dst=0 src0=0 src1=0 src2=0
	v_mul_i32_i24_e32 v246, v243, v230
	s_set_vgpr_msb 1                        ;  msbs: dst=0 src0=1 src1=0 src2=0
	s_delay_alu instid0(VALU_DEP_1) | instskip(SKIP_2) | instid1(VALU_DEP_1)
	v_add3_u32 v246, v6 /*v262*/, v246, v251
	v_mul_i32_i24_e32 v251, v22 /*v278*/, v208
	s_set_vgpr_msb 0                        ;  msbs: dst=0 src0=0 src1=0 src2=0
	v_add3_u32 v132, v132, v251, v140
	v_bfe_i32 v251, v107, 0, 8
	v_bfe_i32 v107, v107, 16, 8
	s_delay_alu instid0(VALU_DEP_2) | instskip(SKIP_1) | instid1(VALU_DEP_2)
	v_mul_i32_i24_e32 v140, v251, v210
	s_set_vgpr_msb 64                       ;  msbs: dst=1 src0=0 src1=0 src2=0
	v_mul_i32_i24_e32 v1 /*v257*/, v107, v213
	s_set_vgpr_msb 0                        ;  msbs: dst=0 src0=0 src1=0 src2=0
	v_mul_i32_i24_e32 v210, v254, v210
	v_mul_i32_i24_e32 v213, v253, v213
	s_set_vgpr_msb 64                       ;  msbs: dst=1 src0=0 src1=0 src2=0
	v_mul_i32_i24_e32 v2 /*v258*/, v107, v233
	s_set_vgpr_msb 17                       ;  msbs: dst=0 src0=1 src1=0 src2=1
	v_add3_u32 v140, v0 /*v256*/, v140, v1 /*v257*/
	s_set_vgpr_msb 64                       ;  msbs: dst=1 src0=0 src1=0 src2=0
	v_mul_i32_i24_e32 v1 /*v257*/, v107, v222
	s_set_vgpr_msb 0                        ;  msbs: dst=0 src0=0 src1=0 src2=0
	v_add3_u32 v86, v86, v210, v213
	v_mul_i32_i24_e32 v210, v254, v221
	v_mul_i32_i24_e32 v213, v253, v222
	s_delay_alu instid0(VALU_DEP_1) | instskip(SKIP_2) | instid1(VALU_DEP_1)
	v_add3_u32 v210, v212, v210, v213
	v_mul_i32_i24_e32 v212, v254, v230
	v_mul_i32_i24_e32 v213, v253, v233
	v_add3_u32 v121, v121, v212, v213
	v_ashrrev_i32_e32 v213, 24, v93
	v_mul_i32_i24_e32 v225, v145, v221
	v_bfe_i32 v212, v93, 0, 8
	s_set_vgpr_msb 64                       ;  msbs: dst=1 src0=0 src1=0 src2=0
	v_mul_i32_i24_e32 v0 /*v256*/, v251, v221
	s_set_vgpr_msb 0                        ;  msbs: dst=0 src0=0 src1=0 src2=0
	v_add3_u32 v90, v90, v219, v225
	s_set_vgpr_msb 4                        ;  msbs: dst=0 src0=0 src1=1 src2=0
	v_mul_i32_i24_e32 v219, v211, v14 /*v270*/
	s_set_vgpr_msb 0                        ;  msbs: dst=0 src0=0 src1=0 src2=0
	v_mul_i32_i24_e32 v225, v145, v230
	v_mul_i32_i24_e32 v208, v212, v135
	s_set_vgpr_msb 0x55                     ;  msbs: dst=1 src0=1 src1=1 src2=1
	v_add3_u32 v0 /*v256*/, v5 /*v261*/, v0 /*v256*/, v1 /*v257*/
	s_set_vgpr_msb 64                       ;  msbs: dst=1 src0=0 src1=0 src2=0
	v_mul_i32_i24_e32 v1 /*v257*/, v251, v230
	s_set_vgpr_msb 0                        ;  msbs: dst=0 src0=0 src1=0 src2=0
	v_add3_u32 v88, v88, v219, v225
	v_mul_i32_i24_e32 v219, v213, v149
	s_set_vgpr_msb 0x55                     ;  msbs: dst=1 src0=1 src1=1 src2=1
	v_add3_u32 v1 /*v257*/, v8 /*v264*/, v1 /*v257*/, v2 /*v258*/
	s_set_vgpr_msb 64                       ;  msbs: dst=1 src0=0 src1=0 src2=0
	v_bfe_u32 v2 /*v258*/, v89, 20, 4
	s_set_vgpr_msb 0                        ;  msbs: dst=0 src0=0 src1=0 src2=0
	v_add3_u32 v208, v215, v219, v208
	v_bfe_u32 v215, v91, 4, 4
	v_lshrrev_b32_e32 v219, 28, v91
	s_delay_alu instid0(VALU_DEP_2) | instskip(NEXT) | instid1(VALU_DEP_2)
	v_mul_i32_i24_e32 v221, v212, v215
	v_mul_i32_i24_e32 v225, v213, v219
	s_delay_alu instid0(VALU_DEP_1) | instskip(SKIP_2) | instid1(VALU_DEP_2)
	v_add3_u32 v216, v216, v225, v221
	v_bfe_u32 v221, v89, 4, 4
	v_lshrrev_b32_e32 v225, 28, v89
	v_mul_i32_i24_e32 v230, v212, v221
	s_delay_alu instid0(VALU_DEP_2) | instskip(NEXT) | instid1(VALU_DEP_1)
	v_mul_i32_i24_e32 v253, v213, v225
	v_add3_u32 v223, v223, v253, v230
	v_ashrrev_i32_e32 v230, 24, v99
	s_delay_alu instid0(VALU_DEP_1) | instskip(NEXT) | instid1(VALU_DEP_1)
	v_mul_i32_i24_e32 v253, v230, v149
	v_add3_u32 v124, v124, v253, v144
	v_mul_i32_i24_e32 v144, v125, v215
	v_mul_i32_i24_e32 v253, v230, v219
	s_delay_alu instid0(VALU_DEP_1) | instskip(SKIP_2) | instid1(VALU_DEP_1)
	v_add3_u32 v144, v227, v253, v144
	v_mul_i32_i24_e32 v227, v125, v221
	v_mul_i32_i24_e32 v253, v230, v225
	v_add3_u32 v227, v228, v253, v227
	v_mul_i32_i24_e32 v228, v123, v135
	v_mul_i32_i24_e32 v253, v224, v149
	s_delay_alu instid0(VALU_DEP_1) | instskip(SKIP_2) | instid1(VALU_DEP_1)
	v_add3_u32 v228, v97, v253, v228
	v_mul_i32_i24_e32 v97, v123, v215
	v_mul_i32_i24_e32 v253, v224, v219
	v_add3_u32 v138, v138, v253, v97
	v_mul_i32_i24_e32 v97, v123, v221
	v_mul_i32_i24_e32 v253, v224, v225
	s_delay_alu instid0(VALU_DEP_1) | instskip(SKIP_3) | instid1(VALU_DEP_2)
	v_add3_u32 v236, v236, v253, v97
	v_mul_i32_i24_e32 v97, v129, v207
	v_mul_i32_i24_e32 v129, v235, v234
	v_ashrrev_i32_e32 v235, 24, v115
	v_add3_u32 v128, v128, v129, v97
	v_bfe_i32 v129, v115, 0, 8
	s_delay_alu instid0(VALU_DEP_3) | instskip(NEXT) | instid1(VALU_DEP_2)
	v_mul_i32_i24_e32 v253, v235, v149
	v_mul_i32_i24_e32 v97, v129, v135
	s_delay_alu instid0(VALU_DEP_1) | instskip(SKIP_2) | instid1(VALU_DEP_1)
	v_add3_u32 v136, v136, v253, v97
	v_mul_i32_i24_e32 v97, v129, v215
	v_mul_i32_i24_e32 v253, v235, v219
	v_add3_u32 v239, v239, v253, v97
	v_mul_i32_i24_e32 v97, v129, v221
	v_mul_i32_i24_e32 v253, v235, v225
	s_delay_alu instid0(VALU_DEP_1) | instskip(SKIP_3) | instid1(VALU_DEP_2)
	v_add3_u32 v242, v242, v253, v97
	v_mul_i32_i24_e32 v97, v127, v207
	v_mul_i32_i24_e32 v127, v240, v234
	v_ashrrev_i32_e32 v240, 24, v117
	v_add3_u32 v126, v126, v127, v97
	v_bfe_i32 v127, v117, 0, 8
	s_delay_alu instid0(VALU_DEP_3) | instskip(NEXT) | instid1(VALU_DEP_2)
	v_mul_i32_i24_e32 v253, v240, v149
	v_mul_i32_i24_e32 v97, v127, v135
	s_delay_alu instid0(VALU_DEP_1) | instskip(SKIP_2) | instid1(VALU_DEP_1)
	v_add3_u32 v142, v142, v253, v97
	v_mul_i32_i24_e32 v97, v127, v215
	v_mul_i32_i24_e32 v253, v240, v219
	v_add3_u32 v244, v244, v253, v97
	v_mul_i32_i24_e32 v97, v127, v221
	v_mul_i32_i24_e32 v253, v240, v225
	s_delay_alu instid0(VALU_DEP_1) | instskip(SKIP_3) | instid1(VALU_DEP_2)
	v_add3_u32 v246, v246, v253, v97
	v_mul_i32_i24_e32 v97, v133, v207
	v_mul_i32_i24_e32 v133, v249, v234
	v_ashrrev_i32_e32 v249, 24, v119
	v_add3_u32 v132, v132, v133, v97
	v_bfe_i32 v133, v119, 0, 8
	s_delay_alu instid0(VALU_DEP_3) | instskip(SKIP_1) | instid1(VALU_DEP_3)
	v_mul_i32_i24_e32 v253, v249, v149
	v_mul_i32_i24_e32 v254, v249, v225
	;; [unrolled: 1-line block ×3, first 2 shown]
	s_delay_alu instid0(VALU_DEP_1) | instskip(SKIP_3) | instid1(VALU_DEP_1)
	v_add3_u32 v140, v140, v253, v97
	v_mul_i32_i24_e32 v97, v133, v215
	v_mul_i32_i24_e32 v253, v249, v219
	s_set_vgpr_msb 1                        ;  msbs: dst=0 src0=1 src1=0 src2=0
	v_add3_u32 v253, v0 /*v256*/, v253, v97
	s_set_vgpr_msb 0                        ;  msbs: dst=0 src0=0 src1=0 src2=0
	v_mul_i32_i24_e32 v97, v133, v221
	s_set_vgpr_msb 64                       ;  msbs: dst=1 src0=0 src1=0 src2=0
	v_bfe_u32 v0 /*v256*/, v91, 20, 4
	s_set_vgpr_msb 1                        ;  msbs: dst=0 src0=1 src1=0 src2=0
	s_delay_alu instid0(VALU_DEP_2)
	v_add3_u32 v254, v1 /*v257*/, v254, v97
	s_set_vgpr_msb 0                        ;  msbs: dst=0 src0=0 src1=0 src2=0
	v_mul_i32_i24_e32 v97, v131, v207
	v_mul_i32_i24_e32 v131, v250, v234
	v_bfe_i32 v234, v83, 8, 8
	s_set_vgpr_msb 64                       ;  msbs: dst=1 src0=0 src1=0 src2=0
	v_bfe_u32 v1 /*v257*/, v89, 12, 4
	s_set_vgpr_msb 0                        ;  msbs: dst=0 src0=0 src1=0 src2=0
	v_bfe_i32 v207, v115, 8, 8
	v_add3_u32 v112, v112, v131, v97
	s_set_vgpr_msb 4                        ;  msbs: dst=0 src0=0 src1=1 src2=0
	v_mul_i32_i24_e32 v97, v146, v13 /*v269*/
	s_set_vgpr_msb 0                        ;  msbs: dst=0 src0=0 src1=0 src2=0
	v_mul_i32_i24_e32 v131, v85, v222
	s_delay_alu instid0(VALU_DEP_1)
	v_add3_u32 v131, v90, v131, v97
	s_set_vgpr_msb 4                        ;  msbs: dst=0 src0=0 src1=1 src2=0
	v_mul_i32_i24_e32 v90, v146, v16 /*v272*/
	s_set_vgpr_msb 0                        ;  msbs: dst=0 src0=0 src1=0 src2=0
	v_mul_i32_i24_e32 v97, v85, v233
	v_mul_i32_i24_e32 v85, v85, v116
	s_delay_alu instid0(VALU_DEP_2) | instskip(SKIP_3) | instid1(VALU_DEP_2)
	v_add3_u32 v222, v88, v97, v90
	v_mul_i32_i24_e32 v88, v252, v135
	v_mul_i32_i24_e32 v90, v113, v149
	v_bfe_i32 v97, v109, 16, 8
	v_add3_u32 v90, v86, v90, v88
	v_mul_i32_i24_e32 v86, v252, v215
	v_mul_i32_i24_e32 v88, v113, v219
	s_delay_alu instid0(VALU_DEP_1) | instskip(SKIP_4) | instid1(VALU_DEP_3)
	v_add3_u32 v233, v210, v88, v86
	v_mul_i32_i24_e32 v86, v252, v221
	v_mul_i32_i24_e32 v88, v113, v225
	v_bfe_u32 v252, v91, 12, 4
	v_bfe_i32 v210, v119, 16, 8
	v_add3_u32 v113, v121, v88, v86
	v_bfe_i32 v121, v83, 0, 8
	s_delay_alu instid0(VALU_DEP_1) | instskip(SKIP_1) | instid1(VALU_DEP_1)
	v_mul_i32_i24_e32 v86, v121, v135
	v_bfe_u32 v135, v87, 12, 4
	v_mul_i32_i24_e32 v88, v234, v135
	s_delay_alu instid0(VALU_DEP_1)
	v_add3_u32 v250, v209, v86, v88
	v_mul_i32_i24_e32 v86, v145, v118
	v_mul_i32_i24_e32 v88, v211, v111
	v_bfe_u32 v145, v87, 20, 4
	v_bfe_i32 v87, v93, 16, 8
	v_bfe_i32 v209, v117, 16, 8
	s_delay_alu instid0(VALU_DEP_4) | instskip(SKIP_1) | instid1(VALU_DEP_4)
	v_add3_u32 v130, v130, v88, v86
	v_bfe_i32 v86, v93, 8, 8
	v_mul_i32_i24_e32 v93, v87, v145
	s_set_vgpr_msb 4                        ;  msbs: dst=0 src0=0 src1=1 src2=0
	v_mul_i32_i24_e32 v91, v87, v0 /*v256*/
	v_mul_i32_i24_e32 v89, v87, v2 /*v258*/
	s_set_vgpr_msb 0                        ;  msbs: dst=0 src0=0 src1=0 src2=0
	v_mul_i32_i24_e32 v87, v87, v206
	v_mul_i32_i24_e32 v88, v86, v135
	s_delay_alu instid0(VALU_DEP_1) | instskip(SKIP_2) | instid1(VALU_DEP_2)
	v_add3_u32 v211, v208, v88, v93
	v_mul_i32_i24_e32 v88, v86, v252
	v_bfe_i32 v208, v115, 16, 8
	v_add3_u32 v216, v216, v88, v91
	s_set_vgpr_msb 4                        ;  msbs: dst=0 src0=0 src1=1 src2=0
	v_mul_i32_i24_e32 v88, v86, v1 /*v257*/
	s_set_vgpr_msb 0                        ;  msbs: dst=0 src0=0 src1=0 src2=0
	v_mul_i32_i24_e32 v115, v208, v145
	v_mul_i32_i24_e32 v86, v86, v108
	s_delay_alu instid0(VALU_DEP_3) | instskip(SKIP_2) | instid1(VALU_DEP_1)
	v_add3_u32 v223, v223, v88, v89
	v_mul_i32_i24_e32 v88, v226, v247
	v_mul_i32_i24_e32 v89, v220, v111
	v_add3_u32 v220, v120, v88, v89
	v_bfe_i32 v88, v99, 8, 8
	v_bfe_i32 v89, v99, 16, 8
	s_set_vgpr_msb 4                        ;  msbs: dst=0 src0=0 src1=1 src2=0
	v_mul_i32_i24_e32 v120, v97, v0 /*v256*/
	s_set_vgpr_msb 0                        ;  msbs: dst=0 src0=0 src1=0 src2=0
	v_mul_i32_i24_e32 v91, v88, v135
	v_mul_i32_i24_e32 v93, v89, v145
	s_delay_alu instid0(VALU_DEP_1)
	v_add3_u32 v99, v124, v91, v93
	v_mul_i32_i24_e32 v91, v88, v252
	s_set_vgpr_msb 4                        ;  msbs: dst=0 src0=0 src1=1 src2=0
	v_mul_i32_i24_e32 v93, v89, v0 /*v256*/
	v_mul_i32_i24_e32 v124, v209, v0 /*v256*/
	s_set_vgpr_msb 0                        ;  msbs: dst=0 src0=0 src1=0 src2=0
	s_delay_alu instid0(VALU_DEP_2) | instskip(SKIP_4) | instid1(VALU_DEP_1)
	v_add3_u32 v144, v144, v91, v93
	s_set_vgpr_msb 4                        ;  msbs: dst=0 src0=0 src1=1 src2=0
	v_mul_i32_i24_e32 v91, v88, v1 /*v257*/
	v_mul_i32_i24_e32 v93, v89, v2 /*v258*/
	s_set_vgpr_msb 0                        ;  msbs: dst=0 src0=0 src1=0 src2=0
	v_add3_u32 v226, v227, v91, v93
	s_set_vgpr_msb 1                        ;  msbs: dst=0 src0=1 src1=0 src2=0
	v_mul_i32_i24_e32 v91, v17 /*v273*/, v247
	s_set_vgpr_msb 0                        ;  msbs: dst=0 src0=0 src1=0 src2=0
	v_mul_i32_i24_e32 v93, v139, v111
	v_bfe_i32 v139, v104, 8, 8
	s_delay_alu instid0(VALU_DEP_2) | instskip(SKIP_2) | instid1(VALU_DEP_2)
	v_add3_u32 v122, v122, v91, v93
	v_bfe_i32 v93, v109, 8, 8
	v_mul_i32_i24_e32 v109, v97, v145
	v_mul_i32_i24_e32 v91, v93, v135
	s_delay_alu instid0(VALU_DEP_1) | instskip(SKIP_1) | instid1(VALU_DEP_1)
	v_add3_u32 v109, v228, v91, v109
	v_mul_i32_i24_e32 v91, v93, v252
	v_add3_u32 v227, v138, v91, v120
	s_set_vgpr_msb 4                        ;  msbs: dst=0 src0=0 src1=1 src2=0
	v_mul_i32_i24_e32 v91, v93, v1 /*v257*/
	v_mul_i32_i24_e32 v120, v97, v2 /*v258*/
	v_bfe_i32 v138, v94, 0, 8
	s_set_vgpr_msb 0                        ;  msbs: dst=0 src0=0 src1=0 src2=0
	s_delay_alu instid0(VALU_DEP_2)
	v_add3_u32 v228, v236, v91, v120
	v_mul_i32_i24_e32 v91, v137, v247
	s_set_vgpr_msb 4                        ;  msbs: dst=0 src0=0 src1=1 src2=0
	v_mul_i32_i24_e32 v120, v208, v0 /*v256*/
	v_bfe_i32 v137, v94, 8, 8
	s_set_vgpr_msb 0                        ;  msbs: dst=0 src0=0 src1=0 src2=0
	v_add3_u32 v98, v128, v91, v98
	v_mul_i32_i24_e32 v91, v207, v135
	s_delay_alu instid0(VALU_DEP_1) | instskip(SKIP_4) | instid1(VALU_DEP_2)
	v_add3_u32 v115, v136, v91, v115
	v_mul_i32_i24_e32 v91, v207, v252
	s_set_vgpr_msb 4                        ;  msbs: dst=0 src0=0 src1=1 src2=0
	v_mul_i32_i24_e32 v136, v210, v0 /*v256*/
	s_set_vgpr_msb 0                        ;  msbs: dst=0 src0=0 src1=0 src2=0
	v_add3_u32 v128, v239, v91, v120
	s_set_vgpr_msb 4                        ;  msbs: dst=0 src0=0 src1=1 src2=0
	v_mul_i32_i24_e32 v91, v207, v1 /*v257*/
	v_mul_i32_i24_e32 v120, v208, v2 /*v258*/
	s_set_vgpr_msb 0                        ;  msbs: dst=0 src0=0 src1=0 src2=0
	s_delay_alu instid0(VALU_DEP_1) | instskip(SKIP_3) | instid1(VALU_DEP_2)
	v_add3_u32 v236, v242, v91, v120
	v_mul_i32_i24_e32 v91, v238, v247
	v_mul_i32_i24_e32 v120, v143, v111
	v_bfe_i32 v143, v106, 8, 8
	v_add3_u32 v126, v126, v91, v120
	v_bfe_i32 v120, v117, 8, 8
	v_mul_i32_i24_e32 v117, v209, v145
	s_delay_alu instid0(VALU_DEP_2) | instskip(NEXT) | instid1(VALU_DEP_1)
	v_mul_i32_i24_e32 v91, v120, v135
	v_add3_u32 v117, v142, v91, v117
	v_mul_i32_i24_e32 v91, v120, v252
	v_bfe_i32 v142, v96, 0, 8
	s_delay_alu instid0(VALU_DEP_2)
	v_add3_u32 v238, v244, v91, v124
	s_set_vgpr_msb 4                        ;  msbs: dst=0 src0=0 src1=1 src2=0
	v_mul_i32_i24_e32 v91, v120, v1 /*v257*/
	v_mul_i32_i24_e32 v124, v209, v2 /*v258*/
	s_set_vgpr_msb 0                        ;  msbs: dst=0 src0=0 src1=0 src2=0
	v_mul_i32_i24_e32 v120, v120, v108
	s_delay_alu instid0(VALU_DEP_2) | instskip(SKIP_3) | instid1(VALU_DEP_2)
	v_add3_u32 v239, v246, v91, v124
	v_mul_i32_i24_e32 v91, v245, v247
	v_mul_i32_i24_e32 v124, v141, v111
	v_bfe_i32 v141, v96, 8, 8
	v_add3_u32 v132, v132, v91, v124
	v_bfe_i32 v124, v119, 8, 8
	v_mul_i32_i24_e32 v119, v210, v145
	s_delay_alu instid0(VALU_DEP_2) | instskip(NEXT) | instid1(VALU_DEP_1)
	v_mul_i32_i24_e32 v91, v124, v135
	v_add3_u32 v119, v140, v91, v119
	v_mul_i32_i24_e32 v91, v124, v252
	v_bfe_i32 v140, v104, 0, 8
	s_delay_alu instid0(VALU_DEP_2)
	v_add3_u32 v242, v253, v91, v136
	s_set_vgpr_msb 4                        ;  msbs: dst=0 src0=0 src1=1 src2=0
	v_mul_i32_i24_e32 v91, v124, v1 /*v257*/
	v_mul_i32_i24_e32 v136, v210, v2 /*v258*/
	s_set_vgpr_msb 0                        ;  msbs: dst=0 src0=0 src1=0 src2=0
	v_mul_i32_i24_e32 v124, v124, v108
	s_delay_alu instid0(VALU_DEP_2) | instskip(SKIP_4) | instid1(VALU_DEP_3)
	v_add3_u32 v244, v254, v91, v136
	v_mul_i32_i24_e32 v91, v147, v111
	v_mul_i32_i24_e32 v111, v255, v247
	;; [unrolled: 1-line block ×3, first 2 shown]
	v_bfe_i32 v147, v100, 0, 8
	v_add3_u32 v111, v112, v111, v91
	v_mul_i32_i24_e32 v91, v231, v135
	v_mul_i32_i24_e32 v112, v248, v145
	s_delay_alu instid0(VALU_DEP_1) | instskip(SKIP_4) | instid1(VALU_DEP_1)
	v_add3_u32 v112, v90, v91, v112
	v_mul_i32_i24_e32 v90, v231, v252
	s_set_vgpr_msb 4                        ;  msbs: dst=0 src0=0 src1=1 src2=0
	v_mul_i32_i24_e32 v91, v248, v0 /*v256*/
	s_set_vgpr_msb 0                        ;  msbs: dst=0 src0=0 src1=0 src2=0
	v_add3_u32 v233, v233, v90, v91
	s_set_vgpr_msb 4                        ;  msbs: dst=0 src0=0 src1=1 src2=0
	v_mul_i32_i24_e32 v90, v231, v1 /*v257*/
	v_mul_i32_i24_e32 v91, v248, v2 /*v258*/
	s_set_vgpr_msb 0                        ;  msbs: dst=0 src0=0 src1=0 src2=0
	s_delay_alu instid0(VALU_DEP_1) | instskip(SKIP_2) | instid1(VALU_DEP_2)
	v_add3_u32 v113, v113, v90, v91
	v_bfe_i32 v90, v83, 16, 8
	v_ashrrev_i32_e32 v91, 24, v83
	v_mul_i32_i24_e32 v83, v90, v145
	s_delay_alu instid0(VALU_DEP_2) | instskip(NEXT) | instid1(VALU_DEP_1)
	v_mul_i32_i24_e32 v135, v91, v149
	v_add3_u32 v83, v250, v83, v135
	v_mul_i32_i24_e32 v135, v121, v215
	s_delay_alu instid0(VALU_DEP_1) | instskip(SKIP_4) | instid1(VALU_DEP_1)
	v_add3_u32 v131, v131, v135, v136
	v_mul_i32_i24_e32 v135, v121, v221
	s_set_vgpr_msb 4                        ;  msbs: dst=0 src0=0 src1=1 src2=0
	v_mul_i32_i24_e32 v136, v234, v1 /*v257*/
	s_set_vgpr_msb 0                        ;  msbs: dst=0 src0=0 src1=0 src2=0
	v_add3_u32 v145, v222, v135, v136
	v_mul_i32_i24_e32 v135, v146, v247
	v_bfe_i32 v136, v102, 0, 8
	v_bfe_i32 v146, v100, 8, 8
	s_delay_alu instid0(VALU_DEP_3) | instskip(SKIP_2) | instid1(VALU_DEP_2)
	v_add3_u32 v130, v130, v85, v135
	v_mul_i32_i24_e32 v85, v214, v118
	v_bfe_i32 v135, v102, 8, 8
	v_add3_u32 v149, v220, v85, v95
	v_mul_i32_i24_e32 v85, v136, v200
	s_delay_alu instid0(VALU_DEP_3) | instskip(NEXT) | instid1(VALU_DEP_1)
	v_mul_i32_i24_e32 v95, v135, v201
	v_add3_u32 v214, v99, v85, v95
	v_mul_i32_i24_e32 v85, v138, v200
	v_mul_i32_i24_e32 v95, v137, v201
	;; [unrolled: 1-line block ×3, first 2 shown]
	s_delay_alu instid0(VALU_DEP_2) | instskip(SKIP_2) | instid1(VALU_DEP_1)
	v_add3_u32 v211, v211, v85, v95
	v_mul_i32_i24_e32 v85, v136, v204
	v_mul_i32_i24_e32 v95, v135, v205
	v_add3_u32 v215, v144, v85, v95
	v_mul_i32_i24_e32 v85, v138, v204
	v_mul_i32_i24_e32 v95, v137, v205
	v_bfe_i32 v144, v106, 0, 8
	s_delay_alu instid0(VALU_DEP_2) | instskip(SKIP_2) | instid1(VALU_DEP_1)
	v_add3_u32 v216, v216, v85, v95
	v_mul_i32_i24_e32 v85, v136, v202
	v_mul_i32_i24_e32 v95, v135, v203
	v_add3_u32 v220, v226, v85, v95
	v_mul_i32_i24_e32 v85, v138, v202
	v_mul_i32_i24_e32 v95, v137, v203
	s_delay_alu instid0(VALU_DEP_1) | instskip(SKIP_2) | instid1(VALU_DEP_1)
	v_add3_u32 v221, v223, v85, v95
	v_mul_i32_i24_e32 v85, v218, v118
	v_mul_i32_i24_e32 v95, v103, v116
	v_add3_u32 v103, v122, v85, v95
	v_mul_i32_i24_e32 v85, v229, v118
	v_mul_i32_i24_e32 v95, v232, v116
	s_delay_alu instid0(VALU_DEP_1) | instskip(SKIP_3) | instid1(VALU_DEP_2)
	v_add3_u32 v122, v98, v85, v95
	v_mul_i32_i24_e32 v85, v140, v200
	v_mul_i32_i24_e32 v95, v139, v201
	;; [unrolled: 1-line block ×3, first 2 shown]
	v_add3_u32 v115, v115, v85, v95
	v_mul_i32_i24_e32 v85, v142, v200
	v_mul_i32_i24_e32 v95, v141, v201
	s_delay_alu instid0(VALU_DEP_1) | instskip(SKIP_2) | instid1(VALU_DEP_1)
	v_add3_u32 v218, v109, v85, v95
	v_mul_i32_i24_e32 v85, v140, v204
	v_mul_i32_i24_e32 v95, v139, v205
	v_add3_u32 v128, v128, v85, v95
	v_mul_i32_i24_e32 v85, v142, v204
	v_mul_i32_i24_e32 v95, v141, v205
	s_delay_alu instid0(VALU_DEP_1) | instskip(SKIP_2) | instid1(VALU_DEP_1)
	v_add3_u32 v222, v227, v85, v95
	v_mul_i32_i24_e32 v85, v140, v202
	v_mul_i32_i24_e32 v95, v139, v203
	;; [unrolled: 7-line block ×3, first 2 shown]
	v_add3_u32 v126, v126, v85, v95
	v_mul_i32_i24_e32 v85, v243, v118
	v_mul_i32_i24_e32 v95, v101, v116
	;; [unrolled: 1-line block ×3, first 2 shown]
	s_delay_alu instid0(VALU_DEP_2) | instskip(SKIP_2) | instid1(VALU_DEP_1)
	v_add3_u32 v132, v132, v85, v95
	v_mul_i32_i24_e32 v85, v144, v200
	v_mul_i32_i24_e32 v95, v143, v201
	v_add3_u32 v227, v119, v85, v95
	v_mul_i32_i24_e32 v85, v147, v200
	v_mul_i32_i24_e32 v95, v146, v201
	s_delay_alu instid0(VALU_DEP_1) | instskip(SKIP_2) | instid1(VALU_DEP_1)
	v_add3_u32 v119, v117, v85, v95
	v_mul_i32_i24_e32 v85, v144, v204
	v_mul_i32_i24_e32 v95, v143, v205
	v_add3_u32 v228, v242, v85, v95
	v_mul_i32_i24_e32 v85, v147, v204
	v_mul_i32_i24_e32 v95, v146, v205
	s_delay_alu instid0(VALU_DEP_1) | instskip(SKIP_3) | instid1(VALU_DEP_2)
	v_add3_u32 v229, v238, v85, v95
	v_mul_i32_i24_e32 v85, v144, v202
	v_mul_i32_i24_e32 v95, v143, v203
	;; [unrolled: 1-line block ×3, first 2 shown]
	v_add3_u32 v231, v244, v85, v95
	v_mul_i32_i24_e32 v85, v147, v202
	v_mul_i32_i24_e32 v95, v146, v203
	v_bfe_i32 v202, v102, 16, 8
	s_delay_alu instid0(VALU_DEP_2) | instskip(SKIP_2) | instid1(VALU_DEP_1)
	v_add3_u32 v232, v239, v85, v95
	v_mul_i32_i24_e32 v85, v251, v118
	v_mul_i32_i24_e32 v95, v107, v116
	v_add3_u32 v236, v111, v85, v95
	v_mul_i32_i24_e32 v85, v148, v201
	v_mul_i32_i24_e32 v95, v114, v200
	v_bfe_i32 v200, v94, 16, 8
	v_ashrrev_i32_e32 v94, 24, v94
	v_ashrrev_i32_e32 v201, 24, v102
	s_delay_alu instid0(VALU_DEP_4)
	v_add3_u32 v237, v112, v95, v85
	v_mul_i32_i24_e32 v85, v148, v205
	v_mul_i32_i24_e32 v95, v114, v204
	;; [unrolled: 1-line block ×4, first 2 shown]
	v_bfe_i32 v204, v96, 16, 8
	v_ashrrev_i32_e32 v205, 24, v104
	v_add3_u32 v233, v233, v95, v85
	s_set_vgpr_msb 4                        ;  msbs: dst=0 src0=0 src1=1 src2=0
	v_mul_i32_i24_e32 v85, v90, v0 /*v256*/
	s_set_vgpr_msb 0                        ;  msbs: dst=0 src0=0 src1=0 src2=0
	v_mul_i32_i24_e32 v95, v91, v219
	s_delay_alu instid0(VALU_DEP_1) | instskip(SKIP_3) | instid1(VALU_DEP_3)
	v_add3_u32 v85, v131, v85, v95
	v_mul_i32_i24_e32 v95, v148, v203
	v_ashrrev_i32_e32 v203, 24, v96
	v_mul_i32_i24_e32 v96, v204, v161
	v_add3_u32 v131, v113, v98, v95
	s_set_vgpr_msb 4                        ;  msbs: dst=0 src0=0 src1=1 src2=0
	v_mul_i32_i24_e32 v95, v90, v2 /*v258*/
	s_set_vgpr_msb 0                        ;  msbs: dst=0 src0=0 src1=0 src2=0
	v_mul_i32_i24_e32 v98, v91, v225
	v_mul_i32_i24_e32 v91, v91, v92
	;; [unrolled: 1-line block ×3, first 2 shown]
	s_delay_alu instid0(VALU_DEP_3) | instskip(SKIP_1) | instid1(VALU_DEP_1)
	v_add3_u32 v95, v145, v95, v98
	v_mul_i32_i24_e32 v98, v121, v241
	v_add3_u32 v99, v130, v98, v99
	v_mul_i32_i24_e32 v98, v212, v241
	s_delay_alu instid0(VALU_DEP_1)
	v_add3_u32 v98, v149, v101, v98
	v_mul_i32_i24_e32 v101, v200, v161
	ds_load_2addr_b32 v[148:149], v151 offset1:32
	v_ashrrev_i32_e32 v213, 24, v100
	v_add3_u32 v105, v211, v101, v105
	v_mul_i32_i24_e32 v101, v202, v161
	v_bfe_i32 v211, v104, 16, 8
	s_delay_alu instid0(VALU_DEP_2) | instskip(SKIP_4) | instid1(VALU_DEP_3)
	v_add3_u32 v107, v214, v101, v102
	v_mul_i32_i24_e32 v101, v200, v163
	v_mul_i32_i24_e32 v102, v199, v94
	v_bfe_i32 v214, v100, 16, 8
	v_mul_i32_i24_e32 v100, v162, v213
	v_add3_u32 v109, v216, v101, v102
	v_mul_i32_i24_e32 v101, v202, v163
	v_mul_i32_i24_e32 v102, v199, v201
	v_bfe_i32 v216, v106, 16, 8
	s_delay_alu instid0(VALU_DEP_2) | instskip(SKIP_3) | instid1(VALU_DEP_2)
	v_add3_u32 v111, v215, v101, v102
	v_mul_i32_i24_e32 v101, v200, v197
	v_mul_i32_i24_e32 v102, v198, v94
	v_ashrrev_i32_e32 v215, 24, v106
	v_add3_u32 v112, v221, v101, v102
	v_mul_i32_i24_e32 v101, v202, v197
	v_mul_i32_i24_e32 v102, v198, v201
	s_delay_alu instid0(VALU_DEP_3) | instskip(NEXT) | instid1(VALU_DEP_2)
	v_cvt_f32_i32_e32 v112, v112
	v_add3_u32 v113, v220, v101, v102
	v_mul_i32_i24_e32 v101, v125, v241
	v_mul_i32_i24_e32 v102, v230, v92
	s_delay_alu instid0(VALU_DEP_3) | instskip(NEXT) | instid1(VALU_DEP_2)
	v_cvt_f32_i32_e32 v113, v113
	v_add3_u32 v102, v103, v102, v101
	v_mul_i32_i24_e32 v101, v123, v241
	v_mul_i32_i24_e32 v103, v224, v92
	s_delay_alu instid0(VALU_DEP_1) | instskip(SKIP_1) | instid1(VALU_DEP_1)
	v_add3_u32 v101, v122, v103, v101
	v_mul_i32_i24_e32 v103, v162, v203
	v_add3_u32 v114, v218, v96, v103
	v_mul_i32_i24_e32 v96, v211, v161
	v_mul_i32_i24_e32 v103, v162, v205
	s_delay_alu instid0(VALU_DEP_1) | instskip(SKIP_2) | instid1(VALU_DEP_1)
	v_add3_u32 v104, v115, v96, v103
	v_mul_i32_i24_e32 v96, v204, v163
	v_mul_i32_i24_e32 v103, v199, v203
	v_add3_u32 v115, v222, v96, v103
	v_mul_i32_i24_e32 v96, v211, v163
	v_mul_i32_i24_e32 v103, v199, v205
	s_delay_alu instid0(VALU_DEP_1) | instskip(SKIP_2) | instid1(VALU_DEP_1)
	v_add3_u32 v116, v128, v96, v103
	v_mul_i32_i24_e32 v96, v204, v197
	;; [unrolled: 7-line block ×3, first 2 shown]
	v_mul_i32_i24_e32 v103, v235, v92
	v_add3_u32 v212, v126, v103, v96
	v_mul_i32_i24_e32 v96, v127, v241
	v_mul_i32_i24_e32 v103, v240, v92
	s_delay_alu instid0(VALU_DEP_1) | instskip(SKIP_4) | instid1(VALU_DEP_4)
	v_add3_u32 v130, v132, v103, v96
	v_mul_i32_i24_e32 v96, v214, v161
	v_add3_u32 v132, v98, v86, v87
	v_mul_i32_i24_e32 v86, v89, v206
	v_mul_i32_i24_e32 v87, v88, v108
	v_add3_u32 v119, v119, v96, v100
	v_mul_i32_i24_e32 v96, v216, v161
	v_mul_i32_i24_e32 v100, v162, v215
	s_delay_alu instid0(VALU_DEP_1) | instskip(SKIP_2) | instid1(VALU_DEP_1)
	v_add3_u32 v106, v227, v96, v100
	v_mul_i32_i24_e32 v96, v214, v163
	v_mul_i32_i24_e32 v100, v199, v213
	v_add3_u32 v121, v229, v96, v100
	v_mul_i32_i24_e32 v96, v216, v163
	v_mul_i32_i24_e32 v100, v199, v215
	s_delay_alu instid0(VALU_DEP_1) | instskip(SKIP_2) | instid1(VALU_DEP_1)
	v_add3_u32 v122, v228, v96, v100
	v_mul_i32_i24_e32 v96, v214, v197
	v_mul_i32_i24_e32 v100, v198, v213
	v_add3_u32 v123, v232, v96, v100
	v_mul_i32_i24_e32 v96, v216, v197
	v_mul_i32_i24_e32 v100, v198, v215
	s_delay_alu instid0(VALU_DEP_1)
	v_add3_u32 v125, v231, v96, v100
	v_mul_i32_i24_e32 v96, v133, v241
	v_mul_i32_i24_e32 v100, v249, v92
	v_add3_u32 v133, v102, v87, v86
	v_mul_i32_i24_e32 v86, v97, v206
	v_mul_i32_i24_e32 v87, v93, v108
	s_delay_alu instid0(VALU_DEP_4) | instskip(SKIP_2) | instid1(VALU_DEP_1)
	v_add3_u32 v129, v236, v100, v96
	v_mul_i32_i24_e32 v96, v134, v161
	v_mul_i32_i24_e32 v100, v217, v162
	v_add3_u32 v126, v237, v96, v100
	v_mul_i32_i24_e32 v96, v134, v163
	v_mul_i32_i24_e32 v100, v217, v199
	ds_load_2addr_b32 v[162:163], v151 offset0:64 offset1:96
	s_wait_dscnt 0x1
	v_lshrrev_b32_e32 v102, 16, v148
	v_mul_i32_i24_e32 v199, v135, v158
	v_mul_i32_i24_e32 v135, v216, v157
	v_add3_u32 v127, v233, v96, v100
	v_mul_i32_i24_e32 v96, v134, v197
	v_mul_i32_i24_e32 v100, v217, v198
	v_add3_u32 v134, v101, v87, v86
	v_mul_i32_i24_e32 v198, v137, v158
	v_mul_i32_i24_e32 v197, v139, v158
	;; [unrolled: 1-line block ×3, first 2 shown]
	v_add3_u32 v128, v131, v96, v100
	v_add3_u32 v131, v99, v90, v91
	ds_load_2addr_b32 v[98:99], v151 offset0:128 offset1:160
	ds_load_2addr_b32 v[96:97], v151 offset0:192 offset1:224
	v_cvt_f32_f16_e64 v91, v149
	v_cvt_f32_f16_e64 v90, v148
	v_lshrrev_b32_e32 v100, 16, v149
	v_mul_i32_i24_e32 v137, v211, v157
	v_cvt_f32_i32_e32 v202, v131
	s_wait_dscnt 0x2
	v_dual_lshrrev_b32 v101, 16, v163 :: v_dual_lshrrev_b32 v103, 16, v162
	v_cvt_f32_f16_e64 v87, v163
	v_cvt_f32_f16_e64 v86, v162
	v_mul_i32_i24_e32 v163, v141, v158
	v_mul_i32_i24_e32 v162, v143, v158
	;; [unrolled: 1-line block ×5, first 2 shown]
	v_add_nc_u32_e32 v151, 4, v151
	s_wait_dscnt 0x1
	v_dual_lshrrev_b32 v145, 16, v99 :: v_dual_lshrrev_b32 v148, 16, v98
	s_wait_dscnt 0x0
	v_dual_lshrrev_b32 v149, 16, v97 :: v_dual_lshrrev_b32 v161, 16, v96
	v_cvt_f32_f16_e32 v89, v99
	v_cvt_f32_f16_e32 v88, v98
	;; [unrolled: 1-line block ×8, first 2 shown]
	v_cvt_f32_f16_e64 v101, v145
	v_cvt_f32_f16_e64 v100, v148
	;; [unrolled: 1-line block ×4, first 2 shown]
	v_mul_i32_i24_e32 v149, v138, v159
	v_mul_i32_i24_e32 v161, v136, v159
	;; [unrolled: 1-line block ×16, first 2 shown]
	v_pk_mul_f32 v[98:99], v[98:99], s[12:13] op_sel_hi:[1,0]
	v_pk_mul_f32 v[100:101], v[100:101], s[12:13] op_sel_hi:[1,0]
	;; [unrolled: 1-line block ×3, first 2 shown]
	v_add3_u32 v160, v212, v160, v94
	ds_load_b32 v94, v154
	v_add3_u32 v130, v130, v120, v201
	v_cvt_f32_i32_e32 v108, v83
	v_add3_u32 v83, v129, v124, v200
	v_cvt_f32_i32_e32 v201, v107
	v_cvt_f32_i32_e32 v200, v105
	;; [unrolled: 1-line block ×20, first 2 shown]
	v_pk_fma_f32 v[122:123], v[86:87], v[200:201], v[98:99] neg_lo:[0,0,1] neg_hi:[0,0,1]
	v_pk_fma_f32 v[124:125], v[86:87], v[204:205], v[98:99] neg_lo:[0,0,1] neg_hi:[0,0,1]
	;; [unrolled: 1-line block ×3, first 2 shown]
	v_add3_u32 v85, v133, v161, v199
	v_add3_u32 v95, v132, v149, v198
	v_pk_fma_f32 v[104:105], v[88:89], v[104:105], v[100:101] neg_lo:[0,0,1] neg_hi:[0,0,1]
	v_add3_u32 v128, v160, v148, v197
	v_add3_u32 v129, v134, v145, v163
	v_pk_fma_f32 v[106:107], v[92:93], v[106:107], v[102:103] neg_lo:[0,0,1] neg_hi:[0,0,1]
	v_add3_u32 v83, v83, v144, v162
	v_add3_u32 v130, v130, v140, v159
	v_pk_mul_f32 v[96:97], v[96:97], s[12:13] op_sel_hi:[1,0]
	v_cvt_f32_i32_e32 v109, v126
	v_cvt_f32_i32_e32 v111, v127
	v_pk_fma_f32 v[28:29], v[82:83], v[122:123], v[28:29] op_sel_hi:[0,1,1]
	v_pk_fma_f32 v[26:27], v[84:85], v[124:125], v[26:27] op_sel_hi:[0,1,1]
	s_wait_dscnt 0x0
	v_pk_fma_f32 v[24:25], v[94:95], v[112:113], v[24:25] op_sel_hi:[0,1,1]
	v_add3_u32 v95, v95, v143, v157
	v_add3_u32 v85, v85, v139, v158
	v_pk_fma_f32 v[14:15], v[82:83], v[104:105], v[14:15] op_sel_hi:[0,1,1]
	v_add3_u32 v104, v129, v138, v146
	v_add3_u32 v105, v128, v137, v147
	;; [unrolled: 3-line block ×3, first 2 shown]
	v_pk_fma_f32 v[126:127], v[88:89], v[206:207], v[100:101] neg_lo:[0,0,1] neg_hi:[0,0,1]
	v_pk_fma_f32 v[116:117], v[92:93], v[116:117], v[102:103] neg_lo:[0,0,1] neg_hi:[0,0,1]
	;; [unrolled: 1-line block ×6, first 2 shown]
	v_cvt_f32_i32_e32 v97, v85
	v_cvt_f32_i32_e32 v96, v95
	;; [unrolled: 1-line block ×6, first 2 shown]
	v_pk_fma_f32 v[114:115], v[88:89], v[114:115], v[100:101] neg_lo:[0,0,1] neg_hi:[0,0,1]
	v_pk_fma_f32 v[118:119], v[92:93], v[118:119], v[102:103] neg_lo:[0,0,1] neg_hi:[0,0,1]
	v_pk_fma_f32 v[12:13], v[84:85], v[126:127], v[12:13] op_sel_hi:[0,1,1]
	v_pk_fma_f32 v[4:5], v[84:85], v[116:117], v[4:5] op_sel_hi:[0,1,1]
	;; [unrolled: 1-line block ×4, first 2 shown]
	v_pk_fma_f32 v[82:83], v[86:87], v[96:97], v[98:99] neg_lo:[0,0,1] neg_hi:[0,0,1]
	v_pk_fma_f32 v[84:85], v[88:89], v[104:105], v[100:101] neg_lo:[0,0,1] neg_hi:[0,0,1]
	;; [unrolled: 1-line block ×3, first 2 shown]
	v_add_nc_u32_e32 v154, 4, v154
	v_pk_fma_f32 v[10:11], v[94:95], v[114:115], v[10:11] op_sel_hi:[0,1,1]
	v_pk_fma_f32 v[2:3], v[94:95], v[118:119], v[2:3] op_sel_hi:[0,1,1]
	;; [unrolled: 1-line block ×7, first 2 shown]
	s_cbranch_scc1 .LBB117_9
; %bb.10:                               ;   in Loop: Header=BB117_7 Depth=1
	s_and_b32 s14, s16, -4
	s_delay_alu instid0(SALU_CYCLE_1)
	s_cmp_eq_u32 s14, 4
	s_barrier_signal -1
	s_barrier_wait -1
	s_cbranch_scc1 .LBB117_6
; %bb.11:                               ;   in Loop: Header=BB117_7 Depth=1
	v_dual_add_nc_u32 v80, s10, v171 :: v_dual_add_nc_u32 v96, 4, v81
	v_dual_mov_b32 v197, v195 :: v_dual_mov_b32 v198, v188
	v_dual_mov_b32 v199, v192 :: v_dual_mov_b32 v200, v191
	s_delay_alu instid0(VALU_DEP_3) | instskip(SKIP_3) | instid1(VALU_DEP_4)
	v_dual_add_nc_u32 v86, v80, v165 :: v_dual_add_nc_u32 v81, v80, v170
	v_dual_add_nc_u32 v82, v80, v79 :: v_dual_add_nc_u32 v84, v80, v164
	;; [unrolled: 1-line block ×4, first 2 shown]
	v_mad_nc_i64_i32 v[80:81], v81, 36, v[54:55]
	s_delay_alu instid0(VALU_DEP_4)
	v_mad_nc_i64_i32 v[82:83], v82, 36, v[54:55]
	v_mad_nc_i64_i32 v[84:85], v84, 36, v[54:55]
	;; [unrolled: 1-line block ×7, first 2 shown]
	v_mad_nc_u64_u32 v[96:97], v96, 36, s[2:3]
	s_clause 0x8
	global_load_b32 v98, v[80:81], off offset:4
	global_load_b32 v99, v[82:83], off offset:4
	;; [unrolled: 1-line block ×8, first 2 shown]
	global_load_b32 v106, v[96:97], off
	v_dual_mov_b32 v201, v190 :: v_dual_mov_b32 v202, v189
	v_mov_b32_e32 v203, v196
	s_mov_b32 s14, 12
	s_wait_loadcnt 0x8
	ds_store_b32 v186, v98
	s_wait_loadcnt 0x7
	ds_store_b32 v187, v99
	;; [unrolled: 2-line block ×9, first 2 shown]
	s_wait_dscnt 0x0
	s_barrier_signal -1
	s_barrier_wait -1
.LBB117_12:                             ;   Parent Loop BB117_7 Depth=1
                                        ; =>  This Inner Loop Header: Depth=2
	ds_load_2addr_b32 v[84:85], v198 offset1:3
	ds_load_2addr_b32 v[82:83], v198 offset0:4 offset1:7
	ds_load_2addr_b32 v[80:81], v197 offset1:32
	ds_load_2addr_b32 v[88:89], v198 offset0:1 offset1:2
	ds_load_2addr_b32 v[86:87], v198 offset0:5 offset1:6
	ds_load_2addr_b32 v[90:91], v203 offset1:1
	ds_load_2addr_b32 v[92:93], v203 offset0:2 offset1:3
	v_add_nc_u32_e32 v96, 0x1080, v203
	v_add_nc_u32_e32 v97, 0x1088, v203
	;; [unrolled: 1-line block ×23, first 2 shown]
	ds_load_2addr_b32 v[94:95], v197 offset0:64 offset1:96
	ds_load_2addr_b32 v[150:151], v197 offset0:128 offset1:160
	v_add_nc_u32_e32 v204, 0x1814, v198
	ds_load_2addr_b32 v[224:225], v197 offset0:192 offset1:224
	v_add_nc_u32_e32 v205, 0x1c04, v198
	v_add_nc_u32_e32 v206, 0x1c14, v198
	;; [unrolled: 1-line block ×3, first 2 shown]
	ds_load_2addr_b32 v[162:163], v96 offset1:1
	ds_load_2addr_b32 v[148:149], v97 offset1:1
	;; [unrolled: 1-line block ×4, first 2 shown]
	ds_load_2addr_b32 v[152:153], v102 offset0:4 offset1:7
	ds_load_2addr_b32 v[242:243], v100 offset1:1
	ds_load_2addr_b32 v[144:145], v101 offset1:1
	;; [unrolled: 1-line block ×6, first 2 shown]
	ds_load_2addr_b32 v[136:137], v107 offset0:4 offset1:7
	ds_load_2addr_b32 v[142:143], v105 offset1:1
	ds_load_2addr_b32 v[140:141], v106 offset1:1
	;; [unrolled: 1-line block ×5, first 2 shown]
	ds_load_2addr_b32 v[132:133], v110 offset0:4 offset1:7
	ds_load_2addr_b32 v[108:109], v113 offset1:3
	ds_load_2addr_b32 v[120:121], v113 offset0:4 offset1:7
	ds_load_2addr_b32 v[128:129], v111 offset1:1
	ds_load_2addr_b32 v[124:125], v112 offset1:1
	;; [unrolled: 1-line block ×5, first 2 shown]
	ds_load_2addr_b32 v[112:113], v116 offset0:4 offset1:7
	ds_load_2addr_b32 v[96:97], v118 offset1:3
	ds_load_2addr_b32 v[104:105], v118 offset0:4 offset1:7
	ds_load_2addr_b32 v[118:119], v117 offset1:1
	ds_load_2addr_b32 v[106:107], v204 offset1:1
	;; [unrolled: 1-line block ×5, first 2 shown]
	ds_load_2addr_b32 v[100:101], v207 offset0:4 offset1:7
	s_wait_dscnt 0x2b
	v_bfe_i32 v245, v84, 0, 8
	s_wait_dscnt 0x26
	s_set_vgpr_msb 64                       ;  msbs: dst=1 src0=0 src1=0 src2=0
	v_dual_ashrrev_i32 v0 /*v256*/, 24, v88 :: v_dual_bitop2_b32 v36 /*v292*/, 15, v90 bitop3:0x40
	s_set_vgpr_msb 0                        ;  msbs: dst=0 src0=0 src1=0 src2=0
	v_bfe_i32 v246, v84, 8, 8
	v_bfe_i32 v247, v84, 16, 8
	v_dual_ashrrev_i32 v248, 24, v84 :: v_dual_ashrrev_i32 v252, 24, v82
	s_set_vgpr_msb 64                       ;  msbs: dst=1 src0=0 src1=0 src2=0
	v_bfe_u32 v40 /*v296*/, v90, 8, 4
	v_bfe_u32 v44 /*v300*/, v90, 24, 4
	;; [unrolled: 1-line block ×3, first 2 shown]
	s_set_vgpr_msb 0x41                     ;  msbs: dst=1 src0=1 src1=0 src2=0
	v_mul_i32_i24_e32 v16 /*v272*/, v36 /*v292*/, v245
	s_set_vgpr_msb 0                        ;  msbs: dst=0 src0=0 src1=0 src2=0
	v_bfe_i32 v249, v82, 0, 8
	v_bfe_i32 v250, v82, 8, 8
	v_dual_ashrrev_i32 v237, 24, v86 :: v_dual_ashrrev_i32 v221, 24, v89
	v_bfe_i32 v227, v89, 0, 8
	v_bfe_i32 v226, v89, 8, 8
	;; [unrolled: 1-line block ×3, first 2 shown]
	v_bfe_u32 v89, v90, 4, 4
	s_set_vgpr_msb 64                       ;  msbs: dst=1 src0=0 src1=0 src2=0
	v_bfe_u32 v3 /*v259*/, v90, 12, 4
	s_wait_dscnt 0x21
	v_dual_lshrrev_b32 v39 /*v295*/, 28, v162 :: v_dual_bitop2_b32 v50 /*v306*/, 15, v162 bitop3:0x40
	s_wait_dscnt 0x1f
	v_dual_lshrrev_b32 v58 /*v314*/, 28, v156 :: v_dual_bitop2_b32 v51 /*v307*/, 15, v156 bitop3:0x40
	s_wait_dscnt 0x1c
	v_bfe_u32 v65 /*v321*/, v243, 24, 4
	v_and_b32_e32 v66 /*v322*/, 0xf0f0f0f, v243
	v_dual_lshrrev_b32 v67 /*v323*/, 4, v243 :: v_dual_lshrrev_b32 v68 /*v324*/, 28, v243
	s_set_vgpr_msb 0x41                     ;  msbs: dst=1 src0=1 src1=0 src2=0
	v_mul_i32_i24_e32 v70 /*v326*/, v41 /*v297*/, v247
	v_mul_i32_i24_e32 v71 /*v327*/, v44 /*v300*/, v248
	s_set_vgpr_msb 64                       ;  msbs: dst=1 src0=0 src1=0 src2=0
	v_bfe_u32 v73 /*v329*/, v242, 4, 4
	v_dual_ashrrev_i32 v74 /*v330*/, 24, v152 :: v_dual_bitop2_b32 v81 /*v337*/, 15, v243 bitop3:0x40
	v_bfe_i32 v77 /*v333*/, v152, 0, 8
	v_bfe_u32 v80 /*v336*/, v243, 16, 4
	s_wait_dscnt 0x1a
	v_bfe_i32 v86 /*v342*/, v160, 0, 8
	s_set_vgpr_msb 0                        ;  msbs: dst=0 src0=0 src1=0 src2=0
	v_bfe_u32 v239, v243, 20, 4
	v_bfe_u32 v243, v243, 4, 4
	s_wait_dscnt 0x19
	s_set_vgpr_msb 64                       ;  msbs: dst=1 src0=0 src1=0 src2=0
	v_bfe_i32 v90 /*v346*/, v158, 0, 8
	s_set_vgpr_msb 0x51                     ;  msbs: dst=1 src0=1 src1=0 src2=1
	v_mad_i32_i24 v16 /*v272*/, v40 /*v296*/, v246, v16 /*v272*/
	s_set_vgpr_msb 64                       ;  msbs: dst=1 src0=0 src1=0 src2=0
	v_mul_i32_i24_e32 v17 /*v273*/, v89, v249
	s_set_vgpr_msb 0x41                     ;  msbs: dst=1 src0=1 src1=0 src2=0
	v_mul_i32_i24_e32 v18 /*v274*/, v3 /*v259*/, v250
	s_set_vgpr_msb 64                       ;  msbs: dst=1 src0=0 src1=0 src2=0
	v_bfe_u32 v57 /*v313*/, v156, 12, 4
	v_dual_lshrrev_b32 v64 /*v320*/, 28, v242 :: v_dual_bitop2_b32 v93 /*v349*/, 15, v242 bitop3:0x40
	s_set_vgpr_msb 0                        ;  msbs: dst=0 src0=0 src1=0 src2=0
	v_lshrrev_b32_e32 v235, 28, v144
	s_set_vgpr_msb 64                       ;  msbs: dst=1 src0=0 src1=0 src2=0
	v_lshrrev_b16 v69 /*v325*/, 8, v152
	v_bfe_u32 v56 /*v312*/, v162, 8, 4
	v_bfe_u32 v112 /*v368*/, v162, 24, 4
	;; [unrolled: 1-line block ×6, first 2 shown]
	v_bfe_i32 v79 /*v335*/, v152, 16, 8
	s_set_vgpr_msb 0                        ;  msbs: dst=0 src0=0 src1=0 src2=0
	v_and_b32_e32 v152, 15, v144
	s_set_vgpr_msb 64                       ;  msbs: dst=1 src0=0 src1=0 src2=0
	v_bfe_i32 v95 /*v351*/, v161, 0, 8
	s_set_vgpr_msb 0                        ;  msbs: dst=0 src0=0 src1=0 src2=0
	v_bfe_u32 v236, v144, 4, 4
	v_bfe_i32 v238, v159, 0, 8
	s_wait_dscnt 0x0
	s_set_vgpr_msb 64                       ;  msbs: dst=1 src0=0 src1=0 src2=0
	v_dual_ashrrev_i32 v120 /*v376*/, 24, v100 :: v_dual_bitop2_b32 v78 /*v334*/, 15, v145 bitop3:0x40
	v_bfe_i32 v96 /*v352*/, v136, 8, 8
	v_bfe_i32 v117 /*v373*/, v100, 0, 8
	;; [unrolled: 1-line block ×4, first 2 shown]
	s_set_vgpr_msb 1                        ;  msbs: dst=0 src0=1 src1=0 src2=0
	v_mul_i32_i24_e32 v100, v50 /*v306*/, v245
	s_set_vgpr_msb 0x41                     ;  msbs: dst=1 src0=1 src1=0 src2=0
	v_mul_i32_i24_e32 v121 /*v377*/, v51 /*v307*/, v245
	s_set_vgpr_msb 0x45                     ;  msbs: dst=1 src0=1 src1=1 src2=0
	v_mul_i32_i24_e32 v126 /*v382*/, v77 /*v333*/, v73 /*v329*/
	v_mul_i32_i24_e32 v127 /*v383*/, v86 /*v342*/, v81 /*v337*/
	s_set_vgpr_msb 0x41                     ;  msbs: dst=1 src0=1 src1=0 src2=0
	v_mul_i32_i24_e32 v130 /*v386*/, v90 /*v346*/, v243
	s_set_vgpr_msb 0x55                     ;  msbs: dst=1 src0=1 src1=1 src2=1
	v_add3_u32 v16 /*v272*/, v16 /*v272*/, v70 /*v326*/, v71 /*v327*/
	s_set_vgpr_msb 0                        ;  msbs: dst=0 src0=0 src1=0 src2=0
	v_bfe_i32 v253, v88, 0, 8
	v_bfe_i32 v254, v88, 8, 8
	;; [unrolled: 1-line block ×3, first 2 shown]
	v_bfe_u32 v88, v90, 20, 4
	s_set_vgpr_msb 64                       ;  msbs: dst=1 src0=0 src1=0 src2=0
	v_dual_lshrrev_b32 v4 /*v260*/, 28, v90 :: v_dual_bitop2_b32 v6 /*v262*/, 15, v91 bitop3:0x40
	v_bfe_u32 v38 /*v294*/, v162, 12, 4
	v_bfe_u32 v54 /*v310*/, v156, 20, 4
	;; [unrolled: 1-line block ×3, first 2 shown]
	v_dual_lshrrev_b32 v63 /*v319*/, 4, v242 :: v_dual_bitop2_b32 v59 /*v315*/, 15, v157 bitop3:0x40
	v_bfe_u32 v72 /*v328*/, v242, 20, 4
	v_dual_ashrrev_i32 v82 /*v338*/, 24, v160 :: v_dual_ashrrev_i32 v87 /*v343*/, 24, v158
	s_set_vgpr_msb 0                        ;  msbs: dst=0 src0=0 src1=0 src2=0
	v_ashrrev_i32_e32 v156, 24, v155
	s_set_vgpr_msb 64                       ;  msbs: dst=1 src0=0 src1=0 src2=0
	v_bfe_u32 v110 /*v366*/, v242, 8, 4
	v_bfe_u32 v133 /*v389*/, v242, 24, 4
	;; [unrolled: 1-line block ×3, first 2 shown]
	s_set_vgpr_msb 0                        ;  msbs: dst=0 src0=0 src1=0 src2=0
	v_bfe_i32 v242, v136, 0, 8
	s_set_vgpr_msb 64                       ;  msbs: dst=1 src0=0 src1=0 src2=0
	v_bfe_i32 v97 /*v353*/, v136, 16, 8
	s_set_vgpr_msb 0                        ;  msbs: dst=0 src0=0 src1=0 src2=0
	v_ashrrev_i32_e32 v136, 24, v136
	s_set_vgpr_msb 64                       ;  msbs: dst=1 src0=0 src1=0 src2=0
	v_bfe_i32 v101 /*v357*/, v132, 8, 8
	v_bfe_i32 v104 /*v360*/, v120, 8, 8
	s_set_vgpr_msb 1                        ;  msbs: dst=0 src0=1 src1=0 src2=0
	v_mul_i32_i24_e32 v245, v93 /*v349*/, v245
	s_set_vgpr_msb 0x41                     ;  msbs: dst=1 src0=1 src1=0 src2=0
	v_mul_i32_i24_e32 v122 /*v378*/, v83 /*v339*/, v247
	v_mul_i32_i24_e32 v123 /*v379*/, v112 /*v368*/, v248
	v_mul_i32_i24_e32 v124 /*v380*/, v94 /*v350*/, v247
	v_mul_i32_i24_e32 v125 /*v381*/, v114 /*v370*/, v248
	v_mul_i32_i24_e32 v134 /*v390*/, v95 /*v351*/, v152
	s_set_vgpr_msb 64                       ;  msbs: dst=1 src0=0 src1=0 src2=0
	v_mul_i32_i24_e32 v137 /*v393*/, v238, v236
	s_set_vgpr_msb 0x55                     ;  msbs: dst=1 src0=1 src1=1 src2=1
	v_mul_i32_i24_e32 v138 /*v394*/, v96 /*v352*/, v3 /*v259*/
	v_add3_u32 v126 /*v382*/, v126 /*v382*/, v127 /*v383*/, v130 /*v386*/
	v_add3_u32 v16 /*v272*/, v16 /*v272*/, v18 /*v274*/, v17 /*v273*/
	v_mul_i32_i24_e32 v18 /*v274*/, v96 /*v352*/, v57 /*v313*/
	s_set_vgpr_msb 1                        ;  msbs: dst=0 src0=1 src1=0 src2=0
	v_mad_i32_i24 v100, v56 /*v312*/, v246, v100
	s_set_vgpr_msb 0x51                     ;  msbs: dst=1 src0=1 src1=0 src2=1
	v_mad_i32_i24 v121 /*v377*/, v107 /*v363*/, v246, v121 /*v377*/
	s_set_vgpr_msb 64                       ;  msbs: dst=1 src0=0 src1=0 src2=0
	v_bfe_u32 v34 /*v290*/, v162, 20, 4
	v_bfe_u32 v37 /*v293*/, v162, 4, 4
	s_set_vgpr_msb 0                        ;  msbs: dst=0 src0=0 src1=0 src2=0
	v_bfe_u32 v228, v144, 24, 4
	s_set_vgpr_msb 64                       ;  msbs: dst=1 src0=0 src1=0 src2=0
	v_bfe_i32 v84 /*v340*/, v160, 16, 8
	v_dual_ashrrev_i32 v91 /*v347*/, 24, v161 :: v_dual_ashrrev_i32 v99 /*v355*/, 24, v142
	v_bfe_i32 v100 /*v356*/, v132, 0, 8
	v_bfe_i32 v102 /*v358*/, v132, 16, 8
	s_set_vgpr_msb 0                        ;  msbs: dst=0 src0=0 src1=0 src2=0
	v_ashrrev_i32_e32 v132, 24, v132
	s_set_vgpr_msb 64                       ;  msbs: dst=1 src0=0 src1=0 src2=0
	v_bfe_i32 v103 /*v359*/, v120, 0, 8
	v_bfe_i32 v105 /*v361*/, v120, 16, 8
	s_set_vgpr_msb 0                        ;  msbs: dst=0 src0=0 src1=0 src2=0
	v_ashrrev_i32_e32 v120, 24, v120
	s_set_vgpr_msb 0x45                     ;  msbs: dst=1 src0=1 src1=1 src2=0
	v_mul_i32_i24_e32 v129 /*v385*/, v82 /*v338*/, v65 /*v321*/
	s_set_vgpr_msb 1                        ;  msbs: dst=0 src0=1 src1=0 src2=0
	v_mul_i32_i24_e32 v247, v109 /*v365*/, v247
	v_mul_i32_i24_e32 v248, v133 /*v389*/, v248
	s_set_vgpr_msb 0x41                     ;  msbs: dst=1 src0=1 src1=0 src2=0
	v_mul_i32_i24_e32 v70 /*v326*/, v97 /*v353*/, v88
	s_set_vgpr_msb 0x44                     ;  msbs: dst=1 src0=0 src1=1 src2=0
	v_mul_i32_i24_e32 v71 /*v327*/, v136, v4 /*v260*/
	s_set_vgpr_msb 0x45                     ;  msbs: dst=1 src0=1 src1=1 src2=0
	v_mul_i32_i24_e32 v127 /*v383*/, v96 /*v352*/, v38 /*v294*/
	s_set_vgpr_msb 20                       ;  msbs: dst=0 src0=0 src1=1 src2=1
	v_add3_u32 v100, v100, v122 /*v378*/, v123 /*v379*/
	s_set_vgpr_msb 0x45                     ;  msbs: dst=1 src0=1 src1=1 src2=0
	v_mul_i32_i24_e32 v122 /*v378*/, v97 /*v353*/, v54 /*v310*/
	s_set_vgpr_msb 0x44                     ;  msbs: dst=1 src0=0 src1=1 src2=0
	v_mul_i32_i24_e32 v123 /*v379*/, v136, v58 /*v314*/
	s_set_vgpr_msb 0x55                     ;  msbs: dst=1 src0=1 src1=1 src2=1
	v_add3_u32 v121 /*v377*/, v121 /*v377*/, v124 /*v380*/, v125 /*v381*/
	v_mul_i32_i24_e32 v124 /*v380*/, v101 /*v357*/, v3 /*v259*/
	s_set_vgpr_msb 1                        ;  msbs: dst=0 src0=1 src1=0 src2=0
	v_mad_i32_i24 v245, v110 /*v366*/, v246, v245
	s_set_vgpr_msb 0x55                     ;  msbs: dst=1 src0=1 src1=1 src2=1
	v_add3_u32 v126 /*v382*/, v126 /*v382*/, v134 /*v390*/, v137 /*v393*/
	v_mul_i32_i24_e32 v134 /*v390*/, v104 /*v360*/, v3 /*v259*/
	s_set_vgpr_msb 0x50                     ;  msbs: dst=1 src0=0 src1=0 src2=1
	v_mad_i32_i24 v138 /*v394*/, v242, v89, v138 /*v394*/
	s_set_vgpr_msb 0x54                     ;  msbs: dst=1 src0=0 src1=1 src2=1
	v_mad_i32_i24 v18 /*v274*/, v242, v55 /*v311*/, v18 /*v274*/
	s_set_vgpr_msb 0                        ;  msbs: dst=0 src0=0 src1=0 src2=0
	v_bfe_i32 v251, v82, 16, 8
	v_cvt_f32_f16_e64 v82, v150
	s_set_vgpr_msb 64                       ;  msbs: dst=1 src0=0 src1=0 src2=0
	v_dual_lshrrev_b32 v15 /*v271*/, 16, v150 :: v_dual_bitop2_b32 v48 /*v304*/, 15, v163 bitop3:0x40
	v_bfe_i32 v88 /*v344*/, v158, 16, 8
	s_set_vgpr_msb 0                        ;  msbs: dst=0 src0=0 src1=0 src2=0
	v_bfe_u32 v150, v144, 16, 4
	s_set_vgpr_msb 64                       ;  msbs: dst=1 src0=0 src1=0 src2=0
	v_bfe_i32 v92 /*v348*/, v161, 16, 8
	v_bfe_i32 v108 /*v364*/, v112, 8, 8
	s_set_vgpr_msb 0x45                     ;  msbs: dst=1 src0=1 src1=1 src2=0
	v_mul_i32_i24_e32 v128 /*v384*/, v84 /*v340*/, v80 /*v336*/
	v_mul_i32_i24_e32 v132 /*v388*/, v87 /*v343*/, v68 /*v324*/
	s_set_vgpr_msb 0x41                     ;  msbs: dst=1 src0=1 src1=0 src2=0
	v_mul_i32_i24_e32 v136 /*v392*/, v91 /*v347*/, v228
	s_set_vgpr_msb 0x45                     ;  msbs: dst=1 src0=1 src1=1 src2=0
	v_mul_i32_i24_e32 v130 /*v386*/, v97 /*v353*/, v34 /*v290*/
	s_set_vgpr_msb 0x44                     ;  msbs: dst=1 src0=0 src1=1 src2=0
	v_mul_i32_i24_e32 v17 /*v273*/, v136, v39 /*v295*/
	s_set_vgpr_msb 0x41                     ;  msbs: dst=1 src0=1 src1=0 src2=0
	v_mul_i32_i24_e32 v125 /*v381*/, v102 /*v358*/, v88
	s_set_vgpr_msb 4                        ;  msbs: dst=0 src0=0 src1=1 src2=0
	v_mul_i32_i24_e32 v246, v132, v4 /*v260*/
	s_set_vgpr_msb 0                        ;  msbs: dst=0 src0=0 src1=0 src2=0
	v_add3_u32 v245, v245, v247, v248
	s_set_vgpr_msb 5                        ;  msbs: dst=0 src0=1 src1=1 src2=0
	v_mul_i32_i24_e32 v247, v101 /*v357*/, v38 /*v294*/
	s_set_vgpr_msb 0x55                     ;  msbs: dst=1 src0=1 src1=1 src2=1
	v_mad_i32_i24 v129 /*v385*/, v74 /*v330*/, v64 /*v320*/, v129 /*v385*/
	s_set_vgpr_msb 0x41                     ;  msbs: dst=1 src0=1 src1=0 src2=0
	v_mul_i32_i24_e32 v137 /*v393*/, v105 /*v361*/, v88
	s_set_vgpr_msb 0x55                     ;  msbs: dst=1 src0=1 src1=1 src2=1
	v_add3_u32 v70 /*v326*/, v138 /*v394*/, v70 /*v326*/, v71 /*v327*/
	s_set_vgpr_msb 0x44                     ;  msbs: dst=1 src0=0 src1=1 src2=0
	v_mul_i32_i24_e32 v71 /*v327*/, v120, v4 /*v260*/
	s_set_vgpr_msb 0x45                     ;  msbs: dst=1 src0=1 src1=1 src2=0
	v_mul_i32_i24_e32 v138 /*v394*/, v104 /*v360*/, v38 /*v294*/
	s_set_vgpr_msb 0x54                     ;  msbs: dst=1 src0=0 src1=1 src2=1
	v_mad_i32_i24 v127 /*v383*/, v242, v37 /*v293*/, v127 /*v383*/
	s_set_vgpr_msb 0x55                     ;  msbs: dst=1 src0=1 src1=1 src2=1
	v_add3_u32 v18 /*v274*/, v18 /*v274*/, v122 /*v378*/, v123 /*v379*/
	v_mul_i32_i24_e32 v122 /*v378*/, v104 /*v360*/, v57 /*v313*/
	s_set_vgpr_msb 0x51                     ;  msbs: dst=1 src0=1 src1=0 src2=1
	v_mad_i32_i24 v124 /*v380*/, v100 /*v356*/, v89, v124 /*v380*/
	v_mad_i32_i24 v134 /*v390*/, v103 /*v359*/, v89, v134 /*v390*/
	s_set_vgpr_msb 64                       ;  msbs: dst=1 src0=0 src1=0 src2=0
	v_bfe_i32 v106 /*v362*/, v112, 0, 8
	v_bfe_i32 v111 /*v367*/, v112, 16, 8
	s_set_vgpr_msb 0                        ;  msbs: dst=0 src0=0 src1=0 src2=0
	v_ashrrev_i32_e32 v112, 24, v112
	s_set_vgpr_msb 64                       ;  msbs: dst=1 src0=0 src1=0 src2=0
	v_bfe_i32 v115 /*v371*/, v104, 8, 8
	s_set_vgpr_msb 0x41                     ;  msbs: dst=1 src0=1 src1=0 src2=0
	v_mul_i32_i24_e32 v131 /*v387*/, v88 /*v344*/, v239
	v_mul_i32_i24_e32 v135 /*v391*/, v92 /*v348*/, v150
	s_set_vgpr_msb 5                        ;  msbs: dst=0 src0=1 src1=1 src2=0
	v_mul_i32_i24_e32 v248, v102 /*v358*/, v34 /*v290*/
	s_set_vgpr_msb 0x55                     ;  msbs: dst=1 src0=1 src1=1 src2=1
	v_add3_u32 v129 /*v385*/, v129 /*v385*/, v132 /*v388*/, v136 /*v392*/
	s_set_vgpr_msb 0x44                     ;  msbs: dst=1 src0=0 src1=1 src2=0
	v_mul_i32_i24_e32 v132 /*v388*/, v132, v39 /*v295*/
	s_set_vgpr_msb 0x55                     ;  msbs: dst=1 src0=1 src1=1 src2=1
	v_mul_i32_i24_e32 v136 /*v392*/, v101 /*v357*/, v57 /*v313*/
	v_mad_i32_i24 v128 /*v384*/, v79 /*v335*/, v72 /*v328*/, v128 /*v384*/
	v_add3_u32 v17 /*v273*/, v127 /*v383*/, v130 /*v386*/, v17 /*v273*/
	v_mul_i32_i24_e32 v127 /*v383*/, v105 /*v361*/, v34 /*v290*/
	s_set_vgpr_msb 0x44                     ;  msbs: dst=1 src0=0 src1=1 src2=0
	v_mul_i32_i24_e32 v130 /*v386*/, v120, v39 /*v295*/
	s_set_vgpr_msb 0x45                     ;  msbs: dst=1 src0=1 src1=1 src2=0
	v_mul_i32_i24_e32 v123 /*v379*/, v105 /*v361*/, v54 /*v310*/
	s_set_vgpr_msb 5                        ;  msbs: dst=0 src0=1 src1=1 src2=0
	v_add3_u32 v246, v124 /*v380*/, v125 /*v381*/, v246
	s_set_vgpr_msb 0x44                     ;  msbs: dst=1 src0=0 src1=1 src2=0
	v_mul_i32_i24_e32 v124 /*v380*/, v120, v58 /*v314*/
	s_set_vgpr_msb 0x45                     ;  msbs: dst=1 src0=1 src1=1 src2=0
	v_mul_i32_i24_e32 v125 /*v381*/, v108 /*v364*/, v3 /*v259*/
	s_set_vgpr_msb 5                        ;  msbs: dst=0 src0=1 src1=1 src2=0
	v_mad_i32_i24 v247, v100 /*v356*/, v37 /*v293*/, v247
	s_set_vgpr_msb 0x55                     ;  msbs: dst=1 src0=1 src1=1 src2=1
	v_add3_u32 v71 /*v327*/, v134 /*v390*/, v137 /*v393*/, v71 /*v327*/
	v_mul_i32_i24_e32 v137 /*v393*/, v108 /*v364*/, v57 /*v313*/
	v_mad_i32_i24 v138 /*v394*/, v103 /*v359*/, v37 /*v293*/, v138 /*v394*/
	v_mad_i32_i24 v122 /*v378*/, v103 /*v359*/, v55 /*v311*/, v122 /*v378*/
	s_set_vgpr_msb 64                       ;  msbs: dst=1 src0=0 src1=0 src2=0
	v_bfe_i32 v113 /*v369*/, v104, 0, 8
	v_bfe_i32 v116 /*v372*/, v104, 16, 8
	s_set_vgpr_msb 0                        ;  msbs: dst=0 src0=0 src1=0 src2=0
	v_ashrrev_i32_e32 v104, 24, v104
	s_set_vgpr_msb 0x55                     ;  msbs: dst=1 src0=1 src1=1 src2=1
	v_add3_u32 v128 /*v384*/, v128 /*v384*/, v131 /*v387*/, v135 /*v391*/
	v_mul_i32_i24_e32 v131 /*v387*/, v102 /*v358*/, v54 /*v310*/
	s_set_vgpr_msb 0x44                     ;  msbs: dst=1 src0=0 src1=1 src2=0
	v_mul_i32_i24_e32 v135 /*v391*/, v132, v58 /*v314*/
	s_set_vgpr_msb 16                       ;  msbs: dst=0 src0=0 src1=0 src2=1
	v_add3_u32 v247, v247, v248, v132 /*v388*/
	s_set_vgpr_msb 1                        ;  msbs: dst=0 src0=1 src1=0 src2=0
	v_mul_i32_i24_e32 v248, v111 /*v367*/, v88
	s_set_vgpr_msb 0x44                     ;  msbs: dst=1 src0=0 src1=1 src2=0
	v_mul_i32_i24_e32 v132 /*v388*/, v112, v4 /*v260*/
	s_set_vgpr_msb 0x55                     ;  msbs: dst=1 src0=1 src1=1 src2=1
	v_mad_i32_i24 v136 /*v392*/, v100 /*v356*/, v55 /*v311*/, v136 /*v392*/
	v_add3_u32 v127 /*v383*/, v138 /*v394*/, v127 /*v383*/, v130 /*v386*/
	v_mul_i32_i24_e32 v130 /*v386*/, v111 /*v367*/, v54 /*v310*/
	s_set_vgpr_msb 0x44                     ;  msbs: dst=1 src0=0 src1=1 src2=0
	v_mul_i32_i24_e32 v138 /*v394*/, v112, v58 /*v314*/
	s_set_vgpr_msb 0x55                     ;  msbs: dst=1 src0=1 src1=1 src2=1
	v_add3_u32 v122 /*v378*/, v122 /*v378*/, v123 /*v379*/, v124 /*v380*/
	v_mul_i32_i24_e32 v123 /*v379*/, v115 /*v371*/, v3 /*v259*/
	s_set_vgpr_msb 0x51                     ;  msbs: dst=1 src0=1 src1=0 src2=1
	v_mad_i32_i24 v125 /*v381*/, v106 /*v362*/, v89, v125 /*v381*/
	s_set_vgpr_msb 0x55                     ;  msbs: dst=1 src0=1 src1=1 src2=1
	v_mad_i32_i24 v137 /*v393*/, v106 /*v362*/, v55 /*v311*/, v137 /*v393*/
	v_add3_u32 v131 /*v387*/, v136 /*v392*/, v131 /*v387*/, v135 /*v391*/
	v_mul_i32_i24_e32 v135 /*v391*/, v108 /*v364*/, v38 /*v294*/
	s_set_vgpr_msb 0x41                     ;  msbs: dst=1 src0=1 src1=0 src2=0
	v_mul_i32_i24_e32 v124 /*v380*/, v116 /*v372*/, v88
	s_set_vgpr_msb 17                       ;  msbs: dst=0 src0=1 src1=0 src2=1
	v_add3_u32 v248, v125 /*v381*/, v248, v132 /*v388*/
	s_set_vgpr_msb 0x44                     ;  msbs: dst=1 src0=0 src1=1 src2=0
	v_mul_i32_i24_e32 v125 /*v381*/, v104, v4 /*v260*/
	s_set_vgpr_msb 0x55                     ;  msbs: dst=1 src0=1 src1=1 src2=1
	v_add3_u32 v130 /*v386*/, v137 /*v393*/, v130 /*v386*/, v138 /*v394*/
	v_mul_i32_i24_e32 v137 /*v393*/, v115 /*v371*/, v57 /*v313*/
	s_set_vgpr_msb 0x51                     ;  msbs: dst=1 src0=1 src1=0 src2=1
	v_mad_i32_i24 v123 /*v379*/, v113 /*v369*/, v89, v123 /*v379*/
	s_set_vgpr_msb 64                       ;  msbs: dst=1 src0=0 src1=0 src2=0
	v_mul_i32_i24_e32 v19 /*v275*/, v88, v251
	s_set_vgpr_msb 0x41                     ;  msbs: dst=1 src0=1 src1=0 src2=0
	v_mul_i32_i24_e32 v20 /*v276*/, v4 /*v260*/, v252
	s_set_vgpr_msb 0x45                     ;  msbs: dst=1 src0=1 src1=1 src2=0
	v_mul_i32_i24_e32 v136 /*v392*/, v111 /*v367*/, v34 /*v290*/
	s_set_vgpr_msb 0x44                     ;  msbs: dst=1 src0=0 src1=1 src2=0
	v_mul_i32_i24_e32 v134 /*v390*/, v112, v39 /*v295*/
	s_set_vgpr_msb 0x55                     ;  msbs: dst=1 src0=1 src1=1 src2=1
	v_mul_i32_i24_e32 v132 /*v388*/, v115 /*v371*/, v38 /*v294*/
	v_mad_i32_i24 v135 /*v391*/, v106 /*v362*/, v37 /*v293*/, v135 /*v391*/
	v_mul_i32_i24_e32 v138 /*v394*/, v116 /*v372*/, v54 /*v310*/
	v_add3_u32 v123 /*v379*/, v123 /*v379*/, v124 /*v380*/, v125 /*v381*/
	s_set_vgpr_msb 0x44                     ;  msbs: dst=1 src0=0 src1=1 src2=0
	v_mul_i32_i24_e32 v124 /*v380*/, v104, v58 /*v314*/
	s_set_vgpr_msb 0x55                     ;  msbs: dst=1 src0=1 src1=1 src2=1
	v_mad_i32_i24 v137 /*v393*/, v113 /*v369*/, v55 /*v311*/, v137 /*v393*/
	v_bfe_i32 v69 /*v325*/, v69 /*v325*/, 0, 8
	v_add3_u32 v134 /*v390*/, v135 /*v391*/, v136 /*v392*/, v134 /*v390*/
	v_mul_i32_i24_e32 v135 /*v391*/, v116 /*v372*/, v34 /*v290*/
	s_set_vgpr_msb 0x44                     ;  msbs: dst=1 src0=0 src1=1 src2=0
	v_mul_i32_i24_e32 v136 /*v392*/, v104, v39 /*v295*/
	s_set_vgpr_msb 0x55                     ;  msbs: dst=1 src0=1 src1=1 src2=1
	v_mul_i32_i24_e32 v125 /*v381*/, v118 /*v374*/, v3 /*v259*/
	v_mad_i32_i24 v132 /*v388*/, v113 /*v369*/, v37 /*v293*/, v132 /*v388*/
	v_add3_u32 v124 /*v380*/, v137 /*v393*/, v138 /*v394*/, v124 /*v380*/
	v_mul_i32_i24_e32 v137 /*v393*/, v118 /*v374*/, v38 /*v294*/
	v_add3_u32 v16 /*v272*/, v16 /*v272*/, v19 /*v275*/, v20 /*v276*/
	s_set_vgpr_msb 0x41                     ;  msbs: dst=1 src0=1 src1=0 src2=0
	v_mul_i32_i24_e32 v20 /*v276*/, v38 /*v294*/, v250
	s_set_vgpr_msb 0x55                     ;  msbs: dst=1 src0=1 src1=1 src2=1
	v_mul_i32_i24_e32 v3 /*v259*/, v69 /*v325*/, v3 /*v259*/
	v_mul_i32_i24_e32 v38 /*v294*/, v69 /*v325*/, v38 /*v294*/
	v_add3_u32 v132 /*v388*/, v132 /*v388*/, v135 /*v391*/, v136 /*v392*/
	s_set_vgpr_msb 0x41                     ;  msbs: dst=1 src0=1 src1=0 src2=0
	v_mul_i32_i24_e32 v135 /*v391*/, v119 /*v375*/, v88
	s_set_vgpr_msb 0x45                     ;  msbs: dst=1 src0=1 src1=1 src2=0
	v_mul_i32_i24_e32 v136 /*v392*/, v120 /*v376*/, v4 /*v260*/
	s_set_vgpr_msb 0x51                     ;  msbs: dst=1 src0=1 src1=0 src2=1
	v_mad_i32_i24 v125 /*v381*/, v117 /*v373*/, v89, v125 /*v381*/
	s_set_vgpr_msb 0x55                     ;  msbs: dst=1 src0=1 src1=1 src2=1
	v_mad_i32_i24 v137 /*v393*/, v117 /*v373*/, v37 /*v293*/, v137 /*v393*/
	s_set_vgpr_msb 0x41                     ;  msbs: dst=1 src0=1 src1=0 src2=0
	v_mul_i32_i24_e32 v19 /*v275*/, v37 /*v293*/, v249
	s_set_vgpr_msb 17                       ;  msbs: dst=0 src0=1 src1=0 src2=1
	v_mad_i32_i24 v89, v77 /*v333*/, v89, v3 /*v259*/
	s_set_vgpr_msb 0x55                     ;  msbs: dst=1 src0=1 src1=1 src2=1
	v_mad_i32_i24 v37 /*v293*/, v77 /*v333*/, v37 /*v293*/, v38 /*v294*/
	v_mul_i32_i24_e32 v38 /*v294*/, v69 /*v325*/, v57 /*v313*/
	s_set_vgpr_msb 1                        ;  msbs: dst=0 src0=1 src1=0 src2=0
	v_mul_i32_i24_e32 v88, v79 /*v335*/, v88
	s_set_vgpr_msb 0x45                     ;  msbs: dst=1 src0=1 src1=1 src2=0
	v_mul_i32_i24_e32 v4 /*v260*/, v74 /*v330*/, v4 /*v260*/
	s_set_vgpr_msb 64                       ;  msbs: dst=1 src0=0 src1=0 src2=0
	v_bfe_i32 v85 /*v341*/, v160, 8, 8
	v_bfe_i32 v89 /*v345*/, v158, 8, 8
	v_bfe_u32 v24 /*v280*/, v144, 20, 4
	s_set_vgpr_msb 0                        ;  msbs: dst=0 src0=0 src1=0 src2=0
	v_bfe_i32 v160, v159, 16, 8
	s_set_vgpr_msb 64                       ;  msbs: dst=1 src0=0 src1=0 src2=0
	v_bfe_u32 v76 /*v332*/, v145, 16, 4
	s_set_vgpr_msb 0                        ;  msbs: dst=0 src0=0 src1=0 src2=0
	v_bfe_i32 v158, v155, 16, 8
	s_set_vgpr_msb 0x55                     ;  msbs: dst=1 src0=1 src1=1 src2=1
	v_mad_i32_i24 v38 /*v294*/, v77 /*v333*/, v55 /*v311*/, v38 /*v294*/
	s_set_vgpr_msb 16                       ;  msbs: dst=0 src0=0 src1=0 src2=1
	v_add3_u32 v88, v89, v88, v4 /*v260*/
	s_set_vgpr_msb 5                        ;  msbs: dst=0 src0=1 src1=1 src2=0
	v_mul_i32_i24_e32 v89, v79 /*v335*/, v34 /*v290*/
	s_set_vgpr_msb 0x45                     ;  msbs: dst=1 src0=1 src1=1 src2=0
	v_mul_i32_i24_e32 v4 /*v260*/, v74 /*v330*/, v39 /*v295*/
	v_mul_i32_i24_e32 v79 /*v335*/, v79 /*v335*/, v54 /*v310*/
	v_mul_i32_i24_e32 v74 /*v330*/, v74 /*v330*/, v58 /*v314*/
	s_set_vgpr_msb 0                        ;  msbs: dst=0 src0=0 src1=0 src2=0
	v_dual_lshrrev_b32 v231, 16, v224 :: v_dual_ashrrev_i32 v162, 24, v159
	s_set_vgpr_msb 64                       ;  msbs: dst=1 src0=0 src1=0 src2=0
	v_bfe_u32 v75 /*v331*/, v145, 24, 4
	v_bfe_u32 v7 /*v263*/, v91, 8, 4
	s_set_vgpr_msb 0x55                     ;  msbs: dst=1 src0=1 src1=1 src2=1
	v_add3_u32 v38 /*v294*/, v38 /*v294*/, v79 /*v335*/, v74 /*v330*/
	s_set_vgpr_msb 0x44                     ;  msbs: dst=1 src0=0 src1=1 src2=0
	v_mul_i32_i24_e32 v74 /*v330*/, v160, v24 /*v280*/
	v_mul_i32_i24_e32 v79 /*v335*/, v158, v76 /*v332*/
	v_bfe_u32 v9 /*v265*/, v91, 24, 4
	v_bfe_i32 v98 /*v354*/, v142, 8, 8
	v_bfe_u32 v49 /*v305*/, v163, 8, 4
	v_bfe_u32 v53 /*v309*/, v163, 24, 4
	s_set_vgpr_msb 0x55                     ;  msbs: dst=1 src0=1 src1=1 src2=1
	v_add3_u32 v74 /*v330*/, v128 /*v384*/, v74 /*v330*/, v79 /*v335*/
	s_set_vgpr_msb 64                       ;  msbs: dst=1 src0=0 src1=0 src2=0
	v_mul_i32_i24_e32 v79 /*v335*/, v162, v235
	s_set_vgpr_msb 0x44                     ;  msbs: dst=1 src0=0 src1=1 src2=0
	v_mul_i32_i24_e32 v128 /*v384*/, v156, v75 /*v331*/
	s_set_vgpr_msb 0x55                     ;  msbs: dst=1 src0=1 src1=1 src2=1
	v_mul_i32_i24_e32 v138 /*v394*/, v119 /*v375*/, v34 /*v290*/
	v_add3_u32 v125 /*v381*/, v125 /*v381*/, v135 /*v391*/, v136 /*v392*/
	v_mul_i32_i24_e32 v135 /*v391*/, v120 /*v376*/, v39 /*v295*/
	v_mul_i32_i24_e32 v136 /*v392*/, v118 /*v374*/, v57 /*v313*/
	v_add3_u32 v79 /*v335*/, v129 /*v385*/, v79 /*v335*/, v128 /*v384*/
	v_mul_i32_i24_e32 v128 /*v384*/, v98 /*v354*/, v7 /*v263*/
	v_mul_i32_i24_e32 v129 /*v385*/, v99 /*v355*/, v9 /*v265*/
	s_set_vgpr_msb 64                       ;  msbs: dst=1 src0=0 src1=0 src2=0
	v_bfe_u32 v60 /*v316*/, v157, 8, 4
	v_bfe_u32 v62 /*v318*/, v157, 24, 4
	s_set_vgpr_msb 0x55                     ;  msbs: dst=1 src0=1 src1=1 src2=1
	v_add3_u32 v135 /*v391*/, v137 /*v393*/, v138 /*v394*/, v135 /*v391*/
	v_mul_i32_i24_e32 v137 /*v393*/, v119 /*v375*/, v54 /*v310*/
	v_mul_i32_i24_e32 v138 /*v394*/, v120 /*v376*/, v58 /*v314*/
	v_mad_i32_i24 v136 /*v392*/, v117 /*v373*/, v55 /*v311*/, v136 /*v392*/
	v_add3_u32 v70 /*v326*/, v70 /*v326*/, v129 /*v385*/, v128 /*v384*/
	v_mul_i32_i24_e32 v128 /*v384*/, v98 /*v354*/, v49 /*v305*/
	v_mul_i32_i24_e32 v129 /*v385*/, v99 /*v355*/, v53 /*v309*/
	s_set_vgpr_msb 64                       ;  msbs: dst=1 src0=0 src1=0 src2=0
	v_ashrrev_i32_e32 v139 /*v395*/, 24, v138
	s_set_vgpr_msb 0x55                     ;  msbs: dst=1 src0=1 src1=1 src2=1
	v_add3_u32 v136 /*v392*/, v136 /*v392*/, v137 /*v393*/, v138 /*v394*/
	s_set_vgpr_msb 64                       ;  msbs: dst=1 src0=0 src1=0 src2=0
	v_bfe_i32 v138 /*v394*/, v138, 8, 8
	s_set_vgpr_msb 20                       ;  msbs: dst=0 src0=0 src1=1 src2=1
	v_add3_u32 v100, v100, v20 /*v276*/, v19 /*v275*/
	s_set_vgpr_msb 0x55                     ;  msbs: dst=1 src0=1 src1=1 src2=1
	v_add3_u32 v17 /*v273*/, v17 /*v273*/, v129 /*v385*/, v128 /*v384*/
	v_mul_i32_i24_e32 v128 /*v384*/, v98 /*v354*/, v60 /*v316*/
	v_mul_i32_i24_e32 v129 /*v385*/, v99 /*v355*/, v62 /*v318*/
	s_set_vgpr_msb 64                       ;  msbs: dst=1 src0=0 src1=0 src2=0
	v_ashrrev_i32_e32 v20 /*v276*/, 24, v128
	v_bfe_i32 v19 /*v275*/, v128, 8, 8
	v_bfe_i32 v3 /*v259*/, v122, 8, 8
	v_ashrrev_i32_e32 v77 /*v333*/, 24, v122
	s_set_vgpr_msb 0x55                     ;  msbs: dst=1 src0=1 src1=1 src2=1
	v_add3_u32 v18 /*v274*/, v18 /*v274*/, v129 /*v385*/, v128 /*v384*/
	v_mul_i32_i24_e32 v128 /*v384*/, v138 /*v394*/, v7 /*v263*/
	v_mul_i32_i24_e32 v129 /*v385*/, v139 /*v395*/, v9 /*v265*/
	s_set_vgpr_msb 17                       ;  msbs: dst=0 src0=1 src1=0 src2=1
	v_add3_u32 v89, v37 /*v293*/, v89, v4 /*v260*/
	s_set_vgpr_msb 0x41                     ;  msbs: dst=1 src0=1 src1=0 src2=0
	v_ashrrev_i32_e32 v37 /*v293*/, 24, v116
	v_mul_i32_i24_e32 v55 /*v311*/, v55 /*v311*/, v249
	v_mul_i32_i24_e32 v57 /*v313*/, v57 /*v313*/, v250
	s_set_vgpr_msb 20                       ;  msbs: dst=0 src0=0 src1=1 src2=1
	v_add3_u32 v246, v246, v129 /*v385*/, v128 /*v384*/
	s_set_vgpr_msb 0x45                     ;  msbs: dst=1 src0=1 src1=1 src2=0
	v_mul_i32_i24_e32 v128 /*v384*/, v138 /*v394*/, v49 /*v305*/
	v_mul_i32_i24_e32 v129 /*v385*/, v139 /*v395*/, v53 /*v309*/
	s_set_vgpr_msb 0x44                     ;  msbs: dst=1 src0=0 src1=1 src2=0
	v_mul_i32_i24_e32 v21 /*v277*/, v253, v6 /*v262*/
	s_set_vgpr_msb 0x55                     ;  msbs: dst=1 src0=1 src1=1 src2=1
	v_add3_u32 v55 /*v311*/, v121 /*v377*/, v57 /*v313*/, v55 /*v311*/
	s_set_vgpr_msb 64                       ;  msbs: dst=1 src0=0 src1=0 src2=0
	v_bfe_i32 v57 /*v313*/, v118, 8, 8
	v_ashrrev_i32_e32 v121 /*v377*/, 24, v118
	s_set_vgpr_msb 20                       ;  msbs: dst=0 src0=0 src1=1 src2=1
	v_add3_u32 v247, v247, v129 /*v385*/, v128 /*v384*/
	s_set_vgpr_msb 0x45                     ;  msbs: dst=1 src0=1 src1=1 src2=0
	v_mul_i32_i24_e32 v128 /*v384*/, v138 /*v394*/, v60 /*v316*/
	v_mul_i32_i24_e32 v129 /*v385*/, v139 /*v395*/, v62 /*v318*/
	s_set_vgpr_msb 0x44                     ;  msbs: dst=1 src0=0 src1=1 src2=0
	v_mul_i32_i24_e32 v22 /*v278*/, v254, v7 /*v263*/
	v_bfe_i32 v4 /*v260*/, v116, 8, 8
	s_set_vgpr_msb 1                        ;  msbs: dst=0 src0=1 src1=0 src2=0
	v_mul_i32_i24_e32 v249, v73 /*v329*/, v249
	s_set_vgpr_msb 64                       ;  msbs: dst=1 src0=0 src1=0 src2=0
	v_bfe_u32 v8 /*v264*/, v91, 16, 4
	s_set_vgpr_msb 0x55                     ;  msbs: dst=1 src0=1 src1=1 src2=1
	v_add3_u32 v128 /*v384*/, v131 /*v387*/, v129 /*v385*/, v128 /*v384*/
	v_mul_i32_i24_e32 v129 /*v385*/, v19 /*v275*/, v7 /*v263*/
	v_mul_i32_i24_e32 v131 /*v387*/, v20 /*v276*/, v9 /*v265*/
	v_add3_u32 v16 /*v272*/, v16 /*v272*/, v22 /*v278*/, v21 /*v277*/
	s_set_vgpr_msb 0x41                     ;  msbs: dst=1 src0=1 src1=0 src2=0
	v_mul_i32_i24_e32 v22 /*v278*/, v34 /*v290*/, v251
	v_mul_i32_i24_e32 v34 /*v290*/, v39 /*v295*/, v252
	;; [unrolled: 1-line block ×3, first 2 shown]
	s_set_vgpr_msb 0x55                     ;  msbs: dst=1 src0=1 src1=1 src2=1
	v_add3_u32 v71 /*v327*/, v71 /*v327*/, v131 /*v387*/, v129 /*v385*/
	v_mul_i32_i24_e32 v129 /*v385*/, v19 /*v275*/, v49 /*v305*/
	v_mul_i32_i24_e32 v131 /*v387*/, v20 /*v276*/, v53 /*v309*/
	s_set_vgpr_msb 0x54                     ;  msbs: dst=1 src0=0 src1=1 src2=1
	v_add3_u32 v22 /*v278*/, v100, v22 /*v278*/, v34 /*v290*/
	s_set_vgpr_msb 1                        ;  msbs: dst=0 src0=1 src1=0 src2=0
	v_mul_i32_i24_e32 v100, v54 /*v310*/, v251
	s_set_vgpr_msb 64                       ;  msbs: dst=1 src0=0 src1=0 src2=0
	v_bfe_u32 v52 /*v308*/, v163, 16, 4
	v_bfe_u32 v61 /*v317*/, v157, 16, 4
	s_set_vgpr_msb 0x55                     ;  msbs: dst=1 src0=1 src1=1 src2=1
	v_add3_u32 v127 /*v383*/, v127 /*v383*/, v131 /*v387*/, v129 /*v385*/
	v_mul_i32_i24_e32 v129 /*v385*/, v19 /*v275*/, v60 /*v316*/
	v_mul_i32_i24_e32 v131 /*v387*/, v20 /*v276*/, v62 /*v318*/
	s_set_vgpr_msb 0x51                     ;  msbs: dst=1 src0=1 src1=0 src2=1
	v_add3_u32 v39 /*v295*/, v55 /*v311*/, v100, v39 /*v295*/
	s_set_vgpr_msb 5                        ;  msbs: dst=0 src0=1 src1=1 src2=0
	v_mul_i32_i24_e32 v100, v85 /*v341*/, v7 /*v263*/
	s_set_vgpr_msb 64                       ;  msbs: dst=1 src0=0 src1=0 src2=0
	v_bfe_i32 v21 /*v277*/, v138, 0, 8
	s_set_vgpr_msb 0                        ;  msbs: dst=0 src0=0 src1=0 src2=0
	v_bfe_i32 v138, v138, 16, 8
	s_set_vgpr_msb 0x55                     ;  msbs: dst=1 src0=1 src1=1 src2=1
	v_add3_u32 v122 /*v378*/, v122 /*v378*/, v131 /*v387*/, v129 /*v385*/
	v_mul_i32_i24_e32 v129 /*v385*/, v3 /*v259*/, v7 /*v263*/
	v_mul_i32_i24_e32 v131 /*v387*/, v77 /*v333*/, v9 /*v265*/
	s_set_vgpr_msb 64                       ;  msbs: dst=1 src0=0 src1=0 src2=0
	v_bfe_i32 v34 /*v290*/, v128, 0, 8
	s_set_vgpr_msb 0                        ;  msbs: dst=0 src0=0 src1=0 src2=0
	v_bfe_i32 v128, v128, 16, 8
	s_set_vgpr_msb 64                       ;  msbs: dst=1 src0=0 src1=0 src2=0
	v_bfe_i32 v54 /*v310*/, v122, 0, 8
	s_set_vgpr_msb 20                       ;  msbs: dst=0 src0=0 src1=1 src2=1
	v_bfe_i32 v122, v122, 16, 8
	v_add3_u32 v248, v248, v131 /*v387*/, v129 /*v385*/
	s_set_vgpr_msb 0x45                     ;  msbs: dst=1 src0=1 src1=1 src2=0
	v_mul_i32_i24_e32 v129 /*v385*/, v3 /*v259*/, v49 /*v305*/
	v_mul_i32_i24_e32 v131 /*v387*/, v77 /*v333*/, v53 /*v309*/
	;; [unrolled: 1-line block ×3, first 2 shown]
	s_set_vgpr_msb 0x44                     ;  msbs: dst=1 src0=0 src1=1 src2=0
	v_mul_i32_i24_e32 v23 /*v279*/, v255, v8 /*v264*/
	v_bfe_u32 v46 /*v302*/, v163, 20, 4
	s_set_vgpr_msb 0                        ;  msbs: dst=0 src0=0 src1=0 src2=0
	v_bfe_i32 v161, v161, 8, 8
	s_set_vgpr_msb 0x55                     ;  msbs: dst=1 src0=1 src1=1 src2=1
	v_add3_u32 v129 /*v385*/, v134 /*v390*/, v131 /*v387*/, v129 /*v385*/
	v_mul_i32_i24_e32 v131 /*v387*/, v3 /*v259*/, v60 /*v316*/
	v_mul_i32_i24_e32 v134 /*v390*/, v77 /*v333*/, v62 /*v318*/
	v_add3_u32 v16 /*v272*/, v16 /*v272*/, v23 /*v279*/, v25 /*v281*/
	s_set_vgpr_msb 0x44                     ;  msbs: dst=1 src0=0 src1=1 src2=0
	v_mul_i32_i24_e32 v25 /*v281*/, v254, v60 /*v316*/
	v_mul_i32_i24_e32 v23 /*v279*/, v254, v49 /*v305*/
	s_set_vgpr_msb 0                        ;  msbs: dst=0 src0=0 src1=0 src2=0
	v_bfe_i32 v159, v159, 8, 8
	s_set_vgpr_msb 0x55                     ;  msbs: dst=1 src0=1 src1=1 src2=1
	v_add3_u32 v130 /*v386*/, v130 /*v386*/, v134 /*v390*/, v131 /*v387*/
	v_mul_i32_i24_e32 v131 /*v387*/, v57 /*v313*/, v7 /*v263*/
	v_mul_i32_i24_e32 v134 /*v390*/, v121 /*v377*/, v9 /*v265*/
	s_set_vgpr_msb 1                        ;  msbs: dst=0 src0=1 src1=0 src2=0
	v_mul_i32_i24_e32 v251, v72 /*v328*/, v251
	v_mul_i32_i24_e32 v252, v64 /*v320*/, v252
	s_set_vgpr_msb 64                       ;  msbs: dst=1 src0=0 src1=0 src2=0
	v_bfe_u32 v5 /*v261*/, v91, 20, 4
	v_bfe_u32 v10 /*v266*/, v91, 4, 4
	s_set_vgpr_msb 0x55                     ;  msbs: dst=1 src0=1 src1=1 src2=1
	v_add3_u32 v123 /*v379*/, v123 /*v379*/, v134 /*v390*/, v131 /*v387*/
	v_mul_i32_i24_e32 v131 /*v387*/, v57 /*v313*/, v49 /*v305*/
	v_mul_i32_i24_e32 v134 /*v390*/, v121 /*v377*/, v53 /*v309*/
	s_set_vgpr_msb 64                       ;  msbs: dst=1 src0=0 src1=0 src2=0
	v_bfe_u32 v11 /*v267*/, v91, 12, 4
	s_set_vgpr_msb 1                        ;  msbs: dst=0 src0=1 src1=0 src2=0
	v_dual_lshrrev_b32 v91, 28, v91 :: v_dual_lshrrev_b32 v230, 28, v92
	v_mul_i32_i24_e32 v136, v64 /*v320*/, v136
	s_set_vgpr_msb 0x55                     ;  msbs: dst=1 src0=1 src1=1 src2=1
	v_add3_u32 v131 /*v387*/, v132 /*v388*/, v134 /*v390*/, v131 /*v387*/
	v_mul_i32_i24_e32 v132 /*v388*/, v57 /*v313*/, v60 /*v316*/
	v_mul_i32_i24_e32 v134 /*v390*/, v121 /*v377*/, v62 /*v318*/
	s_set_vgpr_msb 64                       ;  msbs: dst=1 src0=0 src1=0 src2=0
	v_bfe_i32 v1 /*v257*/, v86, 0, 8
	v_bfe_i32 v2 /*v258*/, v86, 8, 8
	s_set_vgpr_msb 0x45                     ;  msbs: dst=1 src0=1 src1=1 src2=0
	v_mul_i32_i24_e32 v116 /*v372*/, v72 /*v328*/, v116 /*v372*/
	s_set_vgpr_msb 1                        ;  msbs: dst=0 src0=1 src1=0 src2=0
	v_mul_i32_i24_e32 v104, v64 /*v320*/, v104
	s_set_vgpr_msb 0x55                     ;  msbs: dst=1 src0=1 src1=1 src2=1
	v_add3_u32 v124 /*v380*/, v124 /*v380*/, v134 /*v390*/, v132 /*v388*/
	v_mul_i32_i24_e32 v132 /*v388*/, v4 /*v260*/, v7 /*v263*/
	v_mul_i32_i24_e32 v7 /*v263*/, v82 /*v338*/, v9 /*v265*/
	;; [unrolled: 1-line block ×3, first 2 shown]
	s_set_vgpr_msb 64                       ;  msbs: dst=1 src0=0 src1=0 src2=0
	v_bfe_i32 v9 /*v265*/, v118, 0, 8
	s_set_vgpr_msb 0                        ;  msbs: dst=0 src0=0 src1=0 src2=0
	v_bfe_i32 v118, v118, 16, 8
	s_set_vgpr_msb 0x45                     ;  msbs: dst=1 src0=1 src1=1 src2=0
	v_mul_i32_i24_e32 v26 /*v282*/, v1 /*v257*/, v10 /*v266*/
	s_set_vgpr_msb 4                        ;  msbs: dst=0 src0=0 src1=1 src2=0
	v_add3_u32 v88, v88, v7 /*v263*/, v100
	s_set_vgpr_msb 5                        ;  msbs: dst=0 src0=1 src1=1 src2=0
	v_mul_i32_i24_e32 v100, v85 /*v341*/, v49 /*v305*/
	s_set_vgpr_msb 0x55                     ;  msbs: dst=1 src0=1 src1=1 src2=1
	v_mul_i32_i24_e32 v7 /*v263*/, v82 /*v338*/, v53 /*v309*/
	v_add3_u32 v125 /*v381*/, v125 /*v381*/, v134 /*v390*/, v132 /*v388*/
	v_mul_i32_i24_e32 v132 /*v388*/, v4 /*v260*/, v49 /*v305*/
	v_mul_i32_i24_e32 v134 /*v390*/, v37 /*v293*/, v53 /*v309*/
	s_set_vgpr_msb 64                       ;  msbs: dst=1 src0=0 src1=0 src2=0
	v_and_b32_e32 v49 /*v305*/, 15, v146
	s_set_vgpr_msb 4                        ;  msbs: dst=0 src0=0 src1=1 src2=0
	v_add3_u32 v89, v89, v7 /*v263*/, v100
	s_set_vgpr_msb 5                        ;  msbs: dst=0 src0=1 src1=1 src2=0
	v_mul_i32_i24_e32 v100, v85 /*v341*/, v60 /*v316*/
	s_set_vgpr_msb 0x55                     ;  msbs: dst=1 src0=1 src1=1 src2=1
	v_mul_i32_i24_e32 v7 /*v263*/, v82 /*v338*/, v62 /*v318*/
	v_add3_u32 v132 /*v388*/, v135 /*v391*/, v134 /*v390*/, v132 /*v388*/
	v_mul_i32_i24_e32 v134 /*v390*/, v4 /*v260*/, v60 /*v316*/
	v_mul_i32_i24_e32 v135 /*v391*/, v37 /*v293*/, v62 /*v318*/
	s_set_vgpr_msb 0x44                     ;  msbs: dst=1 src0=0 src1=1 src2=0
	v_mul_i32_i24_e32 v82 /*v338*/, v122, v61 /*v317*/
	s_set_vgpr_msb 0x45                     ;  msbs: dst=1 src0=1 src1=1 src2=0
	v_add3_u32 v7 /*v263*/, v38 /*v294*/, v7 /*v263*/, v100
	s_set_vgpr_msb 4                        ;  msbs: dst=0 src0=0 src1=1 src2=0
	v_lshrrev_b16 v100, 8, v63 /*v319*/
	s_set_vgpr_msb 0x55                     ;  msbs: dst=1 src0=1 src1=1 src2=1
	v_lshrrev_b16 v38 /*v294*/, 8, v66 /*v322*/
	v_add3_u32 v134 /*v390*/, v136 /*v392*/, v135 /*v391*/, v134 /*v390*/
	s_set_vgpr_msb 64                       ;  msbs: dst=1 src0=0 src1=0 src2=0
	v_bfe_i32 v136 /*v392*/, v142, 0, 8
	s_set_vgpr_msb 0                        ;  msbs: dst=0 src0=0 src1=0 src2=0
	v_bfe_i32 v142, v142, 16, 8
	v_and_b32_e32 v100, 15, v100
	s_set_vgpr_msb 0x44                     ;  msbs: dst=1 src0=0 src1=1 src2=0
	v_and_b32_e32 v38 /*v294*/, 0xffff, v38 /*v294*/
	v_bfe_i32 v135 /*v391*/, v155, 0, 8
	s_set_vgpr_msb 64                       ;  msbs: dst=1 src0=0 src1=0 src2=0
	v_and_b32_e32 v60 /*v316*/, 0xf0f0f0f, v144
	s_set_vgpr_msb 0x44                     ;  msbs: dst=1 src0=0 src1=1 src2=0
	v_mul_i32_i24_e32 v66 /*v322*/, v142, v8 /*v264*/
	s_set_vgpr_msb 0                        ;  msbs: dst=0 src0=0 src1=0 src2=0
	v_and_b32_e32 v100, 0xffff, v100
	s_set_vgpr_msb 0x45                     ;  msbs: dst=1 src0=1 src1=1 src2=0
	v_mul_i32_i24_e32 v55 /*v311*/, v85 /*v341*/, v38 /*v294*/
	s_set_vgpr_msb 0x44                     ;  msbs: dst=1 src0=0 src1=1 src2=0
	v_mul_i32_i24_e32 v85 /*v341*/, v118, v8 /*v264*/
	s_set_vgpr_msb 0                        ;  msbs: dst=0 src0=0 src1=0 src2=0
	v_lshrrev_b32_e32 v144, 4, v144
	s_set_vgpr_msb 0x44                     ;  msbs: dst=1 src0=0 src1=1 src2=0
	v_lshrrev_b16 v60 /*v316*/, 8, v60 /*v316*/
	s_set_vgpr_msb 0                        ;  msbs: dst=0 src0=0 src1=0 src2=0
	v_mul_i32_i24_e32 v250, v100, v250
	s_set_vgpr_msb 0x41                     ;  msbs: dst=1 src0=1 src1=0 src2=0
	v_mul_i32_i24_e32 v58 /*v314*/, v69 /*v325*/, v100
	s_set_vgpr_msb 0x44                     ;  msbs: dst=1 src0=0 src1=1 src2=0
	v_mul_i32_i24_e32 v69 /*v325*/, v128, v8 /*v264*/
	s_set_vgpr_msb 0                        ;  msbs: dst=0 src0=0 src1=0 src2=0
	v_lshrrev_b16 v144, 8, v144
	s_set_vgpr_msb 0x44                     ;  msbs: dst=1 src0=0 src1=1 src2=0
	v_and_b32_e32 v60 /*v316*/, 0xffff, v60 /*v316*/
	s_set_vgpr_msb 0                        ;  msbs: dst=0 src0=0 src1=0 src2=0
	v_add3_u32 v245, v245, v250, v249
	s_set_vgpr_msb 4                        ;  msbs: dst=0 src0=0 src1=1 src2=0
	v_lshrrev_b16 v250, 8, v67 /*v323*/
	s_set_vgpr_msb 0x44                     ;  msbs: dst=1 src0=0 src1=1 src2=0
	v_mul_i32_i24_e32 v67 /*v323*/, v142, v52 /*v308*/
	s_set_vgpr_msb 0                        ;  msbs: dst=0 src0=0 src1=0 src2=0
	v_bfe_i32 v249, v116, 0, 8
	v_bfe_i32 v116, v116, 16, 8
	v_and_b32_e32 v144, 15, v144
	v_and_b32_e32 v250, 15, v250
	s_set_vgpr_msb 1                        ;  msbs: dst=0 src0=1 src1=0 src2=0
	v_mul_i32_i24_e32 v132, v64 /*v320*/, v132
	s_set_vgpr_msb 0x45                     ;  msbs: dst=1 src0=1 src1=1 src2=0
	v_mul_i32_i24_e32 v27 /*v283*/, v2 /*v258*/, v11 /*v267*/
	s_set_vgpr_msb 64                       ;  msbs: dst=1 src0=0 src1=0 src2=0
	v_mul_i32_i24_e32 v29 /*v285*/, v237, v91
	v_and_b32_e32 v137 /*v393*/, 0xffff, v144
	s_set_vgpr_msb 0                        ;  msbs: dst=0 src0=0 src1=0 src2=0
	v_and_b32_e32 v250, 0xffff, v250
	v_add3_u32 v144, v245, v251, v252
	s_set_vgpr_msb 4                        ;  msbs: dst=0 src0=0 src1=1 src2=0
	v_mul_i32_i24_e32 v245, v161, v60 /*v316*/
	s_set_vgpr_msb 0x55                     ;  msbs: dst=1 src0=1 src1=1 src2=1
	v_add3_u32 v16 /*v272*/, v16 /*v272*/, v26 /*v282*/, v27 /*v283*/
	s_set_vgpr_msb 4                        ;  msbs: dst=0 src0=0 src1=1 src2=0
	v_mul_i32_i24_e32 v251, v159, v137 /*v393*/
	s_set_vgpr_msb 0x41                     ;  msbs: dst=1 src0=1 src1=0 src2=0
	v_mul_i32_i24_e32 v63 /*v319*/, v89 /*v345*/, v250
	v_and_b32_e32 v27 /*v283*/, 15, v147
	s_set_vgpr_msb 0                        ;  msbs: dst=0 src0=0 src1=0 src2=0
	v_dual_ashrrev_i32 v208, 24, v83 :: v_dual_bitop2_b32 v240, 15, v92 bitop3:0x40
	s_set_vgpr_msb 64                       ;  msbs: dst=1 src0=0 src1=0 src2=0
	v_bfe_u32 v12 /*v268*/, v92, 8, 4
	s_set_vgpr_msb 0x55                     ;  msbs: dst=1 src0=1 src1=1 src2=1
	v_add3_u32 v55 /*v311*/, v58 /*v314*/, v55 /*v311*/, v63 /*v319*/
	v_mul_i32_i24_e32 v63 /*v319*/, v136 /*v392*/, v6 /*v262*/
	v_mul_i32_i24_e32 v58 /*v314*/, v135 /*v391*/, v78 /*v334*/
	s_set_vgpr_msb 64                       ;  msbs: dst=1 src0=0 src1=0 src2=0
	v_bfe_u32 v13 /*v269*/, v92, 24, 4
	s_set_vgpr_msb 0                        ;  msbs: dst=0 src0=0 src1=0 src2=0
	v_bfe_u32 v241, v92, 16, 4
	s_set_vgpr_msb 1                        ;  msbs: dst=0 src0=1 src1=0 src2=0
	v_add3_u32 v245, v55 /*v311*/, v245, v251
	s_set_vgpr_msb 0x55                     ;  msbs: dst=1 src0=1 src1=1 src2=1
	v_add3_u32 v63 /*v319*/, v70 /*v326*/, v63 /*v319*/, v66 /*v322*/
	v_mul_i32_i24_e32 v66 /*v322*/, v136 /*v392*/, v48 /*v304*/
	s_set_vgpr_msb 0x44                     ;  msbs: dst=1 src0=0 src1=1 src2=0
	v_mul_i32_i24_e32 v70 /*v326*/, v128, v52 /*v308*/
	s_set_vgpr_msb 0x55                     ;  msbs: dst=1 src0=1 src1=1 src2=1
	v_add3_u32 v58 /*v314*/, v126 /*v382*/, v58 /*v314*/, v74 /*v330*/
	s_set_vgpr_msb 0x44                     ;  msbs: dst=1 src0=0 src1=1 src2=0
	v_mul_i32_i24_e32 v74 /*v330*/, v122, v8 /*v264*/
	v_mul_i32_i24_e32 v126 /*v382*/, v116, v61 /*v317*/
	s_set_vgpr_msb 0x55                     ;  msbs: dst=1 src0=1 src1=1 src2=1
	v_add3_u32 v17 /*v273*/, v17 /*v273*/, v66 /*v322*/, v67 /*v323*/
	v_mul_i32_i24_e32 v66 /*v322*/, v136 /*v392*/, v59 /*v315*/
	s_set_vgpr_msb 0x44                     ;  msbs: dst=1 src0=0 src1=1 src2=0
	v_mul_i32_i24_e32 v67 /*v323*/, v142, v61 /*v317*/
	s_set_vgpr_msb 0                        ;  msbs: dst=0 src0=0 src1=0 src2=0
	v_bfe_u32 v229, v92, 4, 4
	v_bfe_u32 v223, v92, 12, 4
	;; [unrolled: 1-line block ×3, first 2 shown]
	v_dual_lshrrev_b32 v92, 16, v80 :: v_dual_bitop2_b32 v204, 15, v93 bitop3:0x40
	s_set_vgpr_msb 0x55                     ;  msbs: dst=1 src0=1 src1=1 src2=1
	v_add3_u32 v18 /*v274*/, v18 /*v274*/, v66 /*v322*/, v67 /*v323*/
	v_mul_i32_i24_e32 v66 /*v322*/, v21 /*v277*/, v6 /*v262*/
	s_set_vgpr_msb 0x44                     ;  msbs: dst=1 src0=0 src1=1 src2=0
	v_mul_i32_i24_e32 v67 /*v323*/, v138, v8 /*v264*/
	s_set_vgpr_msb 0                        ;  msbs: dst=0 src0=0 src1=0 src2=0
	v_lshrrev_b32_e32 v90, 16, v81
	s_set_vgpr_msb 0x45                     ;  msbs: dst=1 src0=1 src1=1 src2=0
	v_mul_i32_i24_e32 v53 /*v309*/, v0 /*v256*/, v53 /*v309*/
	s_set_vgpr_msb 20                       ;  msbs: dst=0 src0=0 src1=1 src2=1
	v_bfe_u32 v206, v93, 8, 4
	v_bfe_u32 v213, v93, 16, 4
	v_add3_u32 v246, v246, v66 /*v322*/, v67 /*v323*/
	s_set_vgpr_msb 0x45                     ;  msbs: dst=1 src0=1 src1=1 src2=0
	v_mul_i32_i24_e32 v66 /*v322*/, v21 /*v277*/, v48 /*v304*/
	s_set_vgpr_msb 0x44                     ;  msbs: dst=1 src0=0 src1=1 src2=0
	v_mul_i32_i24_e32 v67 /*v323*/, v138, v52 /*v308*/
	s_set_vgpr_msb 0                        ;  msbs: dst=0 src0=0 src1=0 src2=0
	v_bfe_u32 v207, v93, 24, 4
	s_set_vgpr_msb 64                       ;  msbs: dst=1 src0=0 src1=0 src2=0
	v_bfe_u32 v42 /*v298*/, v93, 4, 4
	v_bfe_u32 v43 /*v299*/, v93, 12, 4
	v_dual_lshrrev_b32 v45 /*v301*/, 28, v93 :: v_dual_lshrrev_b32 v14 /*v270*/, 16, v151
	s_set_vgpr_msb 20                       ;  msbs: dst=0 src0=0 src1=1 src2=1
	v_add3_u32 v247, v247, v66 /*v322*/, v67 /*v323*/
	s_set_vgpr_msb 0x45                     ;  msbs: dst=1 src0=1 src1=1 src2=0
	v_mul_i32_i24_e32 v66 /*v322*/, v21 /*v277*/, v59 /*v315*/
	s_set_vgpr_msb 0x44                     ;  msbs: dst=1 src0=0 src1=1 src2=0
	v_mul_i32_i24_e32 v67 /*v323*/, v138, v61 /*v317*/
	v_bfe_u32 v47 /*v303*/, v93, 20, 4
	s_set_vgpr_msb 0                        ;  msbs: dst=0 src0=0 src1=0 src2=0
	v_lshrrev_b32_e32 v93, 16, v95
	v_bfe_i32 v155, v155, 8, 8
	s_set_vgpr_msb 0x55                     ;  msbs: dst=1 src0=1 src1=1 src2=1
	v_mul_i32_i24_e32 v20 /*v276*/, v20 /*v276*/, v65 /*v321*/
	v_add3_u32 v66 /*v322*/, v128 /*v384*/, v66 /*v322*/, v67 /*v323*/
	v_mul_i32_i24_e32 v67 /*v323*/, v34 /*v290*/, v6 /*v262*/
	s_set_vgpr_msb 64                       ;  msbs: dst=1 src0=0 src1=0 src2=0
	v_bfe_u32 v128 /*v384*/, v163, 12, 4
	s_set_vgpr_msb 0x55                     ;  msbs: dst=1 src0=1 src1=1 src2=1
	v_mul_i32_i24_e32 v19 /*v275*/, v19 /*v275*/, v38 /*v294*/
	v_mul_i32_i24_e32 v3 /*v259*/, v3 /*v259*/, v38 /*v294*/
	;; [unrolled: 1-line block ×3, first 2 shown]
	v_add3_u32 v67 /*v323*/, v71 /*v327*/, v67 /*v323*/, v69 /*v325*/
	v_mul_i32_i24_e32 v69 /*v325*/, v34 /*v290*/, v48 /*v304*/
	s_set_vgpr_msb 0x44                     ;  msbs: dst=1 src0=0 src1=1 src2=0
	v_mul_i32_i24_e32 v71 /*v327*/, v128, v61 /*v317*/
	s_set_vgpr_msb 0                        ;  msbs: dst=0 src0=0 src1=0 src2=0
	v_bfe_i32 v234, v86, 16, 8
	s_set_vgpr_msb 0x45                     ;  msbs: dst=1 src0=1 src1=1 src2=0
	v_mul_i32_i24_e32 v62 /*v318*/, v0 /*v256*/, v62 /*v318*/
	s_set_vgpr_msb 64                       ;  msbs: dst=1 src0=0 src1=0 src2=0
	v_bfe_u32 v148 /*v404*/, v145, 4, 4
	s_set_vgpr_msb 0x55                     ;  msbs: dst=1 src0=1 src1=1 src2=1
	v_add3_u32 v69 /*v325*/, v127 /*v383*/, v69 /*v325*/, v70 /*v326*/
	v_mul_i32_i24_e32 v70 /*v326*/, v34 /*v290*/, v59 /*v315*/
	s_set_vgpr_msb 64                       ;  msbs: dst=1 src0=0 src1=0 src2=0
	v_bfe_u32 v127 /*v383*/, v163, 4, 4
	v_bfe_u32 v149 /*v405*/, v145, 12, 4
	v_lshrrev_b32_e32 v150 /*v406*/, 28, v145
	v_bfe_u32 v151 /*v407*/, v145, 20, 4
	s_set_vgpr_msb 0x55                     ;  msbs: dst=1 src0=1 src1=1 src2=1
	v_add3_u32 v70 /*v326*/, v122 /*v378*/, v70 /*v326*/, v71 /*v327*/
	v_mul_i32_i24_e32 v71 /*v327*/, v54 /*v310*/, v6 /*v262*/
	s_set_vgpr_msb 0x44                     ;  msbs: dst=1 src0=0 src1=1 src2=0
	v_mul_i32_i24_e32 v122 /*v378*/, v118, v52 /*v308*/
	v_mul_i32_i24_e32 v28 /*v284*/, v234, v5 /*v261*/
	s_set_vgpr_msb 0x45                     ;  msbs: dst=1 src0=1 src1=1 src2=0
	v_mul_i32_i24_e32 v0 /*v256*/, v0 /*v256*/, v65 /*v321*/
	s_set_vgpr_msb 64                       ;  msbs: dst=1 src0=0 src1=0 src2=0
	v_bfe_u32 v26 /*v282*/, v147, 8, 4
	s_set_vgpr_msb 20                       ;  msbs: dst=0 src0=0 src1=1 src2=1
	v_add3_u32 v248, v248, v71 /*v327*/, v74 /*v330*/
	s_set_vgpr_msb 0x45                     ;  msbs: dst=1 src0=1 src1=1 src2=0
	v_mul_i32_i24_e32 v71 /*v327*/, v54 /*v310*/, v48 /*v304*/
	s_set_vgpr_msb 0x44                     ;  msbs: dst=1 src0=0 src1=1 src2=0
	v_mul_i32_i24_e32 v74 /*v330*/, v122, v52 /*v308*/
	s_set_vgpr_msb 4                        ;  msbs: dst=0 src0=0 src1=1 src2=0
	v_mul_i32_i24_e32 v142, v142, v80 /*v336*/
	v_mul_i32_i24_e32 v138, v138, v80 /*v336*/
	;; [unrolled: 1-line block ×4, first 2 shown]
	s_set_vgpr_msb 0x55                     ;  msbs: dst=1 src0=1 src1=1 src2=1
	v_add3_u32 v71 /*v327*/, v129 /*v385*/, v71 /*v327*/, v74 /*v330*/
	v_mul_i32_i24_e32 v74 /*v330*/, v54 /*v310*/, v59 /*v315*/
	s_set_vgpr_msb 64                       ;  msbs: dst=1 src0=0 src1=0 src2=0
	v_lshrrev_b32_e32 v129 /*v385*/, 28, v163
	s_set_vgpr_msb 4                        ;  msbs: dst=0 src0=0 src1=1 src2=0
	v_mul_i32_i24_e32 v163, v100, v96 /*v352*/
	s_set_vgpr_msb 0x44                     ;  msbs: dst=1 src0=0 src1=1 src2=0
	v_mul_i32_i24_e32 v96 /*v352*/, v100, v104 /*v360*/
	v_mul_i32_i24_e32 v104 /*v360*/, v100, v115 /*v371*/
	s_set_vgpr_msb 0x55                     ;  msbs: dst=1 src0=1 src1=1 src2=1
	v_add3_u32 v74 /*v330*/, v130 /*v386*/, v74 /*v330*/, v82 /*v338*/
	v_mul_i32_i24_e32 v82 /*v338*/, v9 /*v265*/, v6 /*v262*/
	s_set_vgpr_msb 1                        ;  msbs: dst=0 src0=1 src1=0 src2=0
	v_mad_i32_i24 v242, v73 /*v329*/, v242, v163
	s_set_vgpr_msb 4                        ;  msbs: dst=0 src0=0 src1=1 src2=0
	v_mul_i32_i24_e32 v163, v253, v48 /*v304*/
	s_set_vgpr_msb 0x55                     ;  msbs: dst=1 src0=1 src1=1 src2=1
	v_mad_i32_i24 v96 /*v352*/, v73 /*v329*/, v103 /*v359*/, v96 /*v352*/
	v_mad_i32_i24 v104 /*v360*/, v73 /*v329*/, v113 /*v369*/, v104 /*v360*/
	v_add3_u32 v82 /*v338*/, v123 /*v379*/, v82 /*v338*/, v85 /*v341*/
	v_mul_i32_i24_e32 v85 /*v341*/, v9 /*v265*/, v48 /*v304*/
	s_set_vgpr_msb 0x44                     ;  msbs: dst=1 src0=0 src1=1 src2=0
	v_mul_i32_i24_e32 v123 /*v379*/, v118, v61 /*v317*/
	s_set_vgpr_msb 0x45                     ;  msbs: dst=1 src0=1 src1=1 src2=0
	v_add3_u32 v22 /*v278*/, v22 /*v278*/, v23 /*v279*/, v163
	s_set_vgpr_msb 0x44                     ;  msbs: dst=1 src0=0 src1=1 src2=0
	v_mul_i32_i24_e32 v23 /*v279*/, v253, v59 /*v315*/
	s_set_vgpr_msb 5                        ;  msbs: dst=0 src0=1 src1=1 src2=0
	v_add3_u32 v104, v104 /*v360*/, v116 /*v372*/, v104
	s_set_vgpr_msb 0x55                     ;  msbs: dst=1 src0=1 src1=1 src2=1
	v_add3_u32 v122 /*v378*/, v131 /*v387*/, v85 /*v341*/, v122 /*v378*/
	v_mul_i32_i24_e32 v85 /*v341*/, v9 /*v265*/, v59 /*v315*/
	s_set_vgpr_msb 0                        ;  msbs: dst=0 src0=0 src1=0 src2=0
	v_bfe_u32 v163, v149, 16, 4
	s_set_vgpr_msb 0x55                     ;  msbs: dst=1 src0=1 src1=1 src2=1
	v_add3_u32 v23 /*v279*/, v39 /*v295*/, v25 /*v281*/, v23 /*v279*/
	v_mul_i32_i24_e32 v39 /*v295*/, v84 /*v340*/, v52 /*v308*/
	s_set_vgpr_msb 64                       ;  msbs: dst=1 src0=0 src1=0 src2=0
	v_bfe_u32 v25 /*v281*/, v149, 24, 4
	s_set_vgpr_msb 0x55                     ;  msbs: dst=1 src0=1 src1=1 src2=1
	v_add3_u32 v123 /*v379*/, v124 /*v380*/, v85 /*v341*/, v123 /*v379*/
	s_set_vgpr_msb 0x44                     ;  msbs: dst=1 src0=0 src1=1 src2=0
	v_mul_i32_i24_e32 v85 /*v341*/, v249, v6 /*v262*/
	v_mul_i32_i24_e32 v124 /*v380*/, v116, v8 /*v264*/
	s_set_vgpr_msb 0x45                     ;  msbs: dst=1 src0=1 src1=1 src2=0
	v_mul_i32_i24_e32 v8 /*v264*/, v84 /*v340*/, v8 /*v264*/
	v_mul_i32_i24_e32 v84 /*v340*/, v84 /*v340*/, v61 /*v317*/
	;; [unrolled: 1-line block ×3, first 2 shown]
	s_set_vgpr_msb 0x44                     ;  msbs: dst=1 src0=0 src1=1 src2=0
	v_mul_i32_i24_e32 v61 /*v317*/, v255, v61 /*v317*/
	s_set_vgpr_msb 0x55                     ;  msbs: dst=1 src0=1 src1=1 src2=1
	v_add3_u32 v124 /*v380*/, v125 /*v381*/, v85 /*v341*/, v124 /*v380*/
	s_set_vgpr_msb 0x44                     ;  msbs: dst=1 src0=0 src1=1 src2=0
	v_mul_i32_i24_e32 v85 /*v341*/, v249, v48 /*v304*/
	v_mul_i32_i24_e32 v125 /*v381*/, v116, v52 /*v308*/
	s_set_vgpr_msb 20                       ;  msbs: dst=0 src0=0 src1=1 src2=1
	v_add3_u32 v88, v88, v6 /*v262*/, v8 /*v264*/
	s_set_vgpr_msb 0x45                     ;  msbs: dst=1 src0=1 src1=1 src2=0
	v_mul_i32_i24_e32 v8 /*v264*/, v86 /*v342*/, v48 /*v304*/
	s_set_vgpr_msb 0x44                     ;  msbs: dst=1 src0=0 src1=1 src2=0
	v_bfe_u32 v6 /*v262*/, v157, 20, 4
	v_mul_i32_i24_e32 v52 /*v308*/, v255, v52 /*v308*/
	s_set_vgpr_msb 0x55                     ;  msbs: dst=1 src0=1 src1=1 src2=1
	v_add3_u32 v125 /*v381*/, v132 /*v388*/, v85 /*v341*/, v125 /*v381*/
	s_set_vgpr_msb 0x44                     ;  msbs: dst=1 src0=0 src1=1 src2=0
	v_mul_i32_i24_e32 v85 /*v341*/, v249, v59 /*v315*/
	s_set_vgpr_msb 0x45                     ;  msbs: dst=1 src0=1 src1=1 src2=0
	v_mul_i32_i24_e32 v59 /*v315*/, v86 /*v342*/, v59 /*v315*/
	s_set_vgpr_msb 20                       ;  msbs: dst=0 src0=0 src1=1 src2=1
	v_add3_u32 v89, v89, v8 /*v264*/, v39 /*v295*/
	s_set_vgpr_msb 64                       ;  msbs: dst=1 src0=0 src1=0 src2=0
	v_bfe_u32 v8 /*v264*/, v157, 4, 4
	v_bfe_u32 v39 /*v295*/, v157, 12, 4
	s_set_vgpr_msb 0                        ;  msbs: dst=0 src0=0 src1=0 src2=0
	v_lshrrev_b32_e32 v157, 28, v157
	s_set_vgpr_msb 0x55                     ;  msbs: dst=1 src0=1 src1=1 src2=1
	v_add3_u32 v7 /*v263*/, v7 /*v263*/, v59 /*v315*/, v84 /*v340*/
	s_set_vgpr_msb 64                       ;  msbs: dst=1 src0=0 src1=0 src2=0
	v_bfe_i32 v59 /*v315*/, v140, 0, 8
	v_ashrrev_i32_e32 v84 /*v340*/, 24, v140
	s_set_vgpr_msb 0x55                     ;  msbs: dst=1 src0=1 src1=1 src2=1
	v_add3_u32 v126 /*v382*/, v134 /*v390*/, v85 /*v341*/, v126 /*v382*/
	s_set_vgpr_msb 0x44                     ;  msbs: dst=1 src0=0 src1=1 src2=0
	v_mul_i32_i24_e32 v85 /*v341*/, v100, v101 /*v357*/
	s_set_vgpr_msb 0x45                     ;  msbs: dst=1 src0=1 src1=1 src2=0
	v_mul_i32_i24_e32 v86 /*v342*/, v72 /*v328*/, v102 /*v358*/
	s_set_vgpr_msb 5                        ;  msbs: dst=0 src0=1 src1=1 src2=0
	v_mul_i32_i24_e32 v251, v59 /*v315*/, v10 /*v266*/
	s_set_vgpr_msb 1                        ;  msbs: dst=0 src0=1 src1=0 src2=0
	v_mul_i32_i24_e32 v252, v84 /*v340*/, v91
	s_set_vgpr_msb 0x55                     ;  msbs: dst=1 src0=1 src1=1 src2=1
	v_mul_i32_i24_e32 v55 /*v311*/, v84 /*v340*/, v129 /*v385*/
	v_mad_i32_i24 v100 /*v356*/, v73 /*v329*/, v100 /*v356*/, v85 /*v341*/
	s_set_vgpr_msb 0x44                     ;  msbs: dst=1 src0=0 src1=1 src2=0
	v_mul_i32_i24_e32 v101 /*v357*/, v100, v108 /*v364*/
	s_set_vgpr_msb 4                        ;  msbs: dst=0 src0=0 src1=1 src2=0
	v_mul_i32_i24_e32 v100, v100, v118 /*v374*/
	s_set_vgpr_msb 1                        ;  msbs: dst=0 src0=1 src1=0 src2=0
	v_add3_u32 v251, v63 /*v319*/, v252, v251
	s_set_vgpr_msb 5                        ;  msbs: dst=0 src0=1 src1=1 src2=0
	v_mul_i32_i24_e32 v252, v59 /*v315*/, v127 /*v383*/
	s_set_vgpr_msb 0x45                     ;  msbs: dst=1 src0=1 src1=1 src2=0
	v_mul_i32_i24_e32 v63 /*v319*/, v72 /*v328*/, v97 /*v353*/
	s_set_vgpr_msb 5                        ;  msbs: dst=0 src0=1 src1=1 src2=0
	v_add3_u32 v132, v100 /*v356*/, v86 /*v342*/, v132
	s_set_vgpr_msb 0x55                     ;  msbs: dst=1 src0=1 src1=1 src2=1
	v_mad_i32_i24 v101 /*v357*/, v73 /*v329*/, v106 /*v362*/, v101 /*v357*/
	s_set_vgpr_msb 0x45                     ;  msbs: dst=1 src0=1 src1=1 src2=0
	v_mad_i32_i24 v73 /*v329*/, v73 /*v329*/, v117 /*v373*/, v100
	s_set_vgpr_msb 5                        ;  msbs: dst=0 src0=1 src1=1 src2=0
	v_add3_u32 v252, v17 /*v273*/, v55 /*v311*/, v252
	s_set_vgpr_msb 0x45                     ;  msbs: dst=1 src0=1 src1=1 src2=0
	v_mul_i32_i24_e32 v17 /*v273*/, v59 /*v315*/, v8 /*v264*/
	s_set_vgpr_msb 0x41                     ;  msbs: dst=1 src0=1 src1=0 src2=0
	v_mul_i32_i24_e32 v55 /*v311*/, v84 /*v340*/, v157
	s_set_vgpr_msb 4                        ;  msbs: dst=0 src0=0 src1=1 src2=0
	v_add3_u32 v136, v242, v63 /*v319*/, v136
	s_set_vgpr_msb 0                        ;  msbs: dst=0 src0=0 src1=0 src2=0
	v_and_b32_e32 v100, 15, v149
	s_set_vgpr_msb 0x45                     ;  msbs: dst=1 src0=1 src1=1 src2=0
	v_mul_i32_i24_e32 v100 /*v356*/, v72 /*v328*/, v105 /*v361*/
	s_set_vgpr_msb 1                        ;  msbs: dst=0 src0=1 src1=0 src2=0
	v_mul_i32_i24_e32 v120, v64 /*v320*/, v120
	s_set_vgpr_msb 0x55                     ;  msbs: dst=1 src0=1 src1=1 src2=1
	v_add3_u32 v17 /*v273*/, v18 /*v274*/, v55 /*v311*/, v17 /*v273*/
	s_set_vgpr_msb 64                       ;  msbs: dst=1 src0=0 src1=0 src2=0
	v_bfe_i32 v18 /*v274*/, v134, 0, 8
	v_ashrrev_i32_e32 v55 /*v311*/, 24, v134
	s_set_vgpr_msb 0x45                     ;  msbs: dst=1 src0=1 src1=1 src2=0
	v_mul_i32_i24_e32 v102 /*v358*/, v72 /*v328*/, v111 /*v367*/
	s_set_vgpr_msb 5                        ;  msbs: dst=0 src0=1 src1=1 src2=0
	v_add3_u32 v120, v96 /*v352*/, v100 /*v356*/, v120
	s_set_vgpr_msb 1                        ;  msbs: dst=0 src0=1 src1=0 src2=0
	v_mul_i32_i24_e32 v112, v64 /*v320*/, v112
	s_set_vgpr_msb 5                        ;  msbs: dst=0 src0=1 src1=1 src2=0
	v_mul_i32_i24_e32 v242, v18 /*v274*/, v10 /*v266*/
	s_set_vgpr_msb 0x41                     ;  msbs: dst=1 src0=1 src1=0 src2=0
	v_mul_i32_i24_e32 v63 /*v319*/, v55 /*v311*/, v91
	v_ashrrev_i32_e32 v111 /*v367*/, 24, v102
	s_set_vgpr_msb 0x55                     ;  msbs: dst=1 src0=1 src1=1 src2=1
	v_add3_u32 v22 /*v278*/, v22 /*v278*/, v52 /*v308*/, v53 /*v309*/
	s_set_vgpr_msb 5                        ;  msbs: dst=0 src0=1 src1=1 src2=0
	v_add3_u32 v112, v101 /*v357*/, v102 /*v358*/, v112
	s_set_vgpr_msb 64                       ;  msbs: dst=1 src0=0 src1=0 src2=0
	v_and_b32_e32 v53 /*v309*/, 0xf0f0f0f, v145
	s_set_vgpr_msb 4                        ;  msbs: dst=0 src0=0 src1=1 src2=0
	v_add3_u32 v242, v246, v63 /*v319*/, v242
	s_set_vgpr_msb 5                        ;  msbs: dst=0 src0=1 src1=1 src2=0
	v_mul_i32_i24_e32 v246, v18 /*v274*/, v127 /*v383*/
	s_set_vgpr_msb 0x45                     ;  msbs: dst=1 src0=1 src1=1 src2=0
	v_mul_i32_i24_e32 v63 /*v319*/, v55 /*v311*/, v129 /*v385*/
	s_set_vgpr_msb 0x41                     ;  msbs: dst=1 src0=1 src1=0 src2=0
	v_mul_i32_i24_e32 v116 /*v372*/, v111 /*v367*/, v91
	s_set_vgpr_msb 20                       ;  msbs: dst=0 src0=0 src1=1 src2=1
	v_add3_u32 v120, v120, v20 /*v276*/, v19 /*v275*/
	s_set_vgpr_msb 0x45                     ;  msbs: dst=1 src0=1 src1=1 src2=0
	v_mul_i32_i24_e32 v72 /*v328*/, v72 /*v328*/, v119 /*v375*/
	v_mul_i32_i24_e32 v64 /*v320*/, v64 /*v320*/, v120 /*v376*/
	s_set_vgpr_msb 4                        ;  msbs: dst=0 src0=0 src1=1 src2=0
	v_add3_u32 v246, v247, v63 /*v319*/, v246
	s_set_vgpr_msb 5                        ;  msbs: dst=0 src0=1 src1=1 src2=0
	v_mul_i32_i24_e32 v247, v18 /*v274*/, v8 /*v264*/
	s_set_vgpr_msb 0x41                     ;  msbs: dst=1 src0=1 src1=0 src2=0
	v_mul_i32_i24_e32 v63 /*v319*/, v55 /*v311*/, v157
	s_set_vgpr_msb 5                        ;  msbs: dst=0 src0=1 src1=1 src2=0
	v_mul_i32_i24_e32 v145, v2 /*v258*/, v128 /*v384*/
	s_set_vgpr_msb 0x55                     ;  msbs: dst=1 src0=1 src1=1 src2=1
	v_add3_u32 v64 /*v320*/, v73 /*v329*/, v72 /*v328*/, v64 /*v320*/
	s_set_vgpr_msb 64                       ;  msbs: dst=1 src0=0 src1=0 src2=0
	v_lshrrev_b32_e32 v72 /*v328*/, 28, v146
	s_set_vgpr_msb 0x55                     ;  msbs: dst=1 src0=1 src1=1 src2=1
	v_add3_u32 v23 /*v279*/, v23 /*v279*/, v61 /*v317*/, v62 /*v318*/
	s_set_vgpr_msb 5                        ;  msbs: dst=0 src0=1 src1=1 src2=0
	v_add3_u32 v247, v66 /*v322*/, v63 /*v319*/, v247
	s_set_vgpr_msb 64                       ;  msbs: dst=1 src0=0 src1=0 src2=0
	v_bfe_i32 v63 /*v319*/, v124, 0, 8
	v_ashrrev_i32_e32 v66 /*v322*/, 24, v124
	s_set_vgpr_msb 4                        ;  msbs: dst=0 src0=0 src1=1 src2=0
	v_mul_i32_i24_e32 v255, v255, v80 /*v336*/
	s_set_vgpr_msb 64                       ;  msbs: dst=1 src0=0 src1=0 src2=0
	v_bfe_u32 v117 /*v373*/, v149, 8, 4
	v_bfe_u32 v85 /*v341*/, v149, 4, 4
	s_set_vgpr_msb 0x45                     ;  msbs: dst=1 src0=1 src1=1 src2=0
	v_mul_i32_i24_e32 v86 /*v342*/, v63 /*v319*/, v10 /*v266*/
	s_set_vgpr_msb 0x41                     ;  msbs: dst=1 src0=1 src1=0 src2=0
	v_mul_i32_i24_e32 v97 /*v353*/, v66 /*v322*/, v91
	s_set_vgpr_msb 64                       ;  msbs: dst=1 src0=0 src1=0 src2=0
	v_bfe_u32 v52 /*v308*/, v147, 16, 4
	v_bfe_u32 v131 /*v387*/, v149, 20, 4
	v_bfe_u32 v132 /*v388*/, v147, 4, 4
	v_bfe_u32 v134 /*v390*/, v147, 12, 4
	s_set_vgpr_msb 0x55                     ;  msbs: dst=1 src0=1 src1=1 src2=1
	v_add3_u32 v67 /*v323*/, v67 /*v323*/, v97 /*v353*/, v86 /*v342*/
	v_mul_i32_i24_e32 v86 /*v342*/, v63 /*v319*/, v127 /*v383*/
	v_mul_i32_i24_e32 v97 /*v353*/, v66 /*v322*/, v129 /*v385*/
	s_set_vgpr_msb 64                       ;  msbs: dst=1 src0=0 src1=0 src2=0
	v_bfe_u32 v130 /*v386*/, v148, 8, 4
	v_bfe_u32 v115 /*v371*/, v148, 24, 4
	;; [unrolled: 1-line block ×3, first 2 shown]
	s_set_vgpr_msb 4                        ;  msbs: dst=0 src0=0 src1=1 src2=0
	v_mul_i32_i24_e32 v118, v118, v80 /*v336*/
	s_set_vgpr_msb 0x55                     ;  msbs: dst=1 src0=1 src1=1 src2=1
	v_add3_u32 v69 /*v325*/, v69 /*v325*/, v97 /*v353*/, v86 /*v342*/
	v_mul_i32_i24_e32 v86 /*v342*/, v63 /*v319*/, v8 /*v264*/
	s_set_vgpr_msb 0x41                     ;  msbs: dst=1 src0=1 src1=0 src2=0
	v_mul_i32_i24_e32 v97 /*v353*/, v66 /*v322*/, v157
	s_set_vgpr_msb 4                        ;  msbs: dst=0 src0=0 src1=1 src2=0
	v_mul_i32_i24_e32 v116, v116, v80 /*v336*/
	s_set_vgpr_msb 64                       ;  msbs: dst=1 src0=0 src1=0 src2=0
	v_mul_i32_i24_e32 v30 /*v286*/, v227, v240
	s_set_vgpr_msb 0x44                     ;  msbs: dst=1 src0=0 src1=1 src2=0
	v_mul_i32_i24_e32 v31 /*v287*/, v226, v12 /*v268*/
	v_bfe_i32 v80 /*v336*/, v135, 0, 8
	s_set_vgpr_msb 0x55                     ;  msbs: dst=1 src0=1 src1=1 src2=1
	v_add3_u32 v70 /*v326*/, v70 /*v326*/, v97 /*v353*/, v86 /*v342*/
	s_set_vgpr_msb 64                       ;  msbs: dst=1 src0=0 src1=0 src2=0
	v_bfe_i32 v86 /*v342*/, v114, 0, 8
	v_ashrrev_i32_e32 v97 /*v353*/, 24, v114
	v_bfe_i32 v152 /*v408*/, v127, 8, 8
	s_set_vgpr_msb 0                        ;  msbs: dst=0 src0=0 src1=0 src2=0
	v_bfe_i32 v215, v87, 0, 8
	v_bfe_i32 v205, v87, 8, 8
	s_set_vgpr_msb 0x45                     ;  msbs: dst=1 src0=1 src1=1 src2=0
	v_mul_i32_i24_e32 v96 /*v352*/, v86 /*v342*/, v10 /*v266*/
	s_set_vgpr_msb 0x41                     ;  msbs: dst=1 src0=1 src1=0 src2=0
	v_mul_i32_i24_e32 v100 /*v356*/, v97 /*v353*/, v91
	s_set_vgpr_msb 0                        ;  msbs: dst=0 src0=0 src1=0 src2=0
	v_bfe_i32 v216, v87, 16, 8
	v_dual_ashrrev_i32 v217, 24, v87 :: v_dual_ashrrev_i32 v220, 24, v85
	v_cvt_f32_f16_e32 v87, v81
	s_set_vgpr_msb 20                       ;  msbs: dst=0 src0=0 src1=1 src2=1
	v_add3_u32 v248, v248, v100 /*v356*/, v96 /*v352*/
	s_set_vgpr_msb 0x45                     ;  msbs: dst=1 src0=1 src1=1 src2=0
	v_mul_i32_i24_e32 v96 /*v352*/, v86 /*v342*/, v127 /*v383*/
	v_mul_i32_i24_e32 v100 /*v356*/, v97 /*v353*/, v129 /*v385*/
	s_set_vgpr_msb 0                        ;  msbs: dst=0 src0=0 src1=0 src2=0
	v_cvt_f32_f16_e32 v81, v95
	v_lshrrev_b32_e32 v95, 16, v94
	v_cvt_f32_f16_e32 v86, v80
	v_cvt_f32_f16_e32 v80, v94
	s_set_vgpr_msb 0x55                     ;  msbs: dst=1 src0=1 src1=1 src2=1
	v_add3_u32 v71 /*v327*/, v71 /*v327*/, v100 /*v356*/, v96 /*v352*/
	v_mul_i32_i24_e32 v96 /*v352*/, v86 /*v342*/, v8 /*v264*/
	s_set_vgpr_msb 0x41                     ;  msbs: dst=1 src0=1 src1=0 src2=0
	v_mul_i32_i24_e32 v100 /*v356*/, v97 /*v353*/, v157
	s_set_vgpr_msb 0                        ;  msbs: dst=0 src0=0 src1=0 src2=0
	v_lshrrev_b32_e32 v94, 16, v225
	s_set_vgpr_msb 64                       ;  msbs: dst=1 src0=0 src1=0 src2=0
	v_bfe_i32 v140 /*v396*/, v125, 16, 8
	v_dual_lshrrev_b32 v113 /*v369*/, 28, v148 :: v_dual_bitop2_b32 v108 /*v364*/, 15, v148 bitop3:0x40
	s_set_vgpr_msb 0x55                     ;  msbs: dst=1 src0=1 src1=1 src2=1
	v_add3_u32 v74 /*v330*/, v74 /*v330*/, v100 /*v356*/, v96 /*v352*/
	s_set_vgpr_msb 64                       ;  msbs: dst=1 src0=0 src1=0 src2=0
	v_bfe_i32 v96 /*v352*/, v106, 0, 8
	v_ashrrev_i32_e32 v100 /*v356*/, 24, v106
	v_bfe_u32 v118 /*v374*/, v148, 16, 4
	s_set_vgpr_msb 0x44                     ;  msbs: dst=1 src0=0 src1=1 src2=0
	v_mul_i32_i24_e32 v32 /*v288*/, v221, v13 /*v269*/
	v_bfe_i32 v153 /*v409*/, v109, 8, 8
	s_set_vgpr_msb 0x45                     ;  msbs: dst=1 src0=1 src1=1 src2=0
	v_mul_i32_i24_e32 v101 /*v357*/, v96 /*v352*/, v10 /*v266*/
	s_set_vgpr_msb 0x41                     ;  msbs: dst=1 src0=1 src1=0 src2=0
	v_mul_i32_i24_e32 v102 /*v358*/, v100 /*v356*/, v91
	v_mul_i32_i24_e32 v105 /*v361*/, v100 /*v356*/, v157
	s_set_vgpr_msb 1                        ;  msbs: dst=0 src0=1 src1=0 src2=0
	v_mul_i32_i24_e32 v91, v87 /*v343*/, v91
	s_set_vgpr_msb 64                       ;  msbs: dst=1 src0=0 src1=0 src2=0
	v_mul_i32_i24_e32 v33 /*v289*/, v214, v241
	v_bfe_i32 v143 /*v399*/, v108, 0, 8
	s_set_vgpr_msb 0x55                     ;  msbs: dst=1 src0=1 src1=1 src2=1
	v_add3_u32 v82 /*v338*/, v82 /*v338*/, v102 /*v358*/, v101 /*v357*/
	v_mul_i32_i24_e32 v101 /*v357*/, v96 /*v352*/, v127 /*v383*/
	v_mul_i32_i24_e32 v102 /*v358*/, v100 /*v356*/, v129 /*v385*/
	s_set_vgpr_msb 64                       ;  msbs: dst=1 src0=0 src1=0 src2=0
	v_bfe_i32 v145 /*v401*/, v110, 8, 8
	v_bfe_i32 v146 /*v402*/, v110, 16, 8
	v_dual_ashrrev_i32 v155 /*v411*/, 24, v110 :: v_dual_ashrrev_i32 v156 /*v412*/, 24, v108
	s_set_vgpr_msb 0x55                     ;  msbs: dst=1 src0=1 src1=1 src2=1
	v_add3_u32 v101 /*v357*/, v122 /*v378*/, v102 /*v358*/, v101 /*v357*/
	v_mul_i32_i24_e32 v102 /*v358*/, v96 /*v352*/, v8 /*v264*/
	v_mul_i32_i24_e32 v122 /*v378*/, v111 /*v367*/, v129 /*v385*/
	s_set_vgpr_msb 64                       ;  msbs: dst=1 src0=0 src1=0 src2=0
	v_bfe_i32 v147 /*v403*/, v108, 16, 8
	v_bfe_i32 v154 /*v410*/, v111, 8, 8
	;; [unrolled: 1-line block ×3, first 2 shown]
	s_set_vgpr_msb 0x55                     ;  msbs: dst=1 src0=1 src1=1 src2=1
	v_add3_u32 v102 /*v358*/, v123 /*v379*/, v105 /*v361*/, v102 /*v358*/
	s_set_vgpr_msb 64                       ;  msbs: dst=1 src0=0 src1=0 src2=0
	v_bfe_i32 v105 /*v361*/, v102, 0, 8
	s_set_vgpr_msb 0x41                     ;  msbs: dst=1 src0=1 src1=0 src2=0
	v_mul_i32_i24_e32 v123 /*v379*/, v111 /*v367*/, v157
	s_set_vgpr_msb 64                       ;  msbs: dst=1 src0=0 src1=0 src2=0
	v_bfe_i32 v159 /*v415*/, v107, 16, 8
	v_bfe_i32 v61 /*v317*/, v154, 0, 8
	;; [unrolled: 1-line block ×3, first 2 shown]
	s_set_vgpr_msb 0x45                     ;  msbs: dst=1 src0=1 src1=1 src2=0
	v_mul_i32_i24_e32 v104 /*v360*/, v105 /*v361*/, v10 /*v266*/
	v_mul_i32_i24_e32 v10 /*v266*/, v90 /*v346*/, v10 /*v266*/
	s_set_vgpr_msb 64                       ;  msbs: dst=1 src0=0 src1=0 src2=0
	v_bfe_i32 v160 /*v416*/, v97, 0, 8
	v_bfe_i32 v161 /*v417*/, v97, 8, 8
	;; [unrolled: 1-line block ×3, first 2 shown]
	s_set_vgpr_msb 0x55                     ;  msbs: dst=1 src0=1 src1=1 src2=1
	v_add3_u32 v104 /*v360*/, v124 /*v380*/, v116 /*v372*/, v104 /*v360*/
	s_set_vgpr_msb 16                       ;  msbs: dst=0 src0=0 src1=0 src2=1
	v_add3_u32 v91, v88, v91, v10 /*v266*/
	s_set_vgpr_msb 5                        ;  msbs: dst=0 src0=1 src1=1 src2=0
	v_mul_i32_i24_e32 v88, v90 /*v346*/, v127 /*v383*/
	s_set_vgpr_msb 0x45                     ;  msbs: dst=1 src0=1 src1=1 src2=0
	v_mul_i32_i24_e32 v10 /*v266*/, v87 /*v343*/, v129 /*v385*/
	v_mul_i32_i24_e32 v116 /*v372*/, v105 /*v361*/, v127 /*v383*/
	s_set_vgpr_msb 64                       ;  msbs: dst=1 src0=0 src1=0 src2=0
	v_bfe_u32 v124 /*v380*/, v146, 16, 4
	v_dual_ashrrev_i32 v165 /*v421*/, 24, v97 :: v_dual_ashrrev_i32 v171 /*v427*/, 24, v99
	s_set_vgpr_msb 0x44                     ;  msbs: dst=1 src0=0 src1=1 src2=0
	v_add3_u32 v10 /*v266*/, v89, v10 /*v266*/, v88
	s_set_vgpr_msb 5                        ;  msbs: dst=0 src0=1 src1=1 src2=0
	v_mul_i32_i24_e32 v88, v90 /*v346*/, v8 /*v264*/
	s_set_vgpr_msb 1                        ;  msbs: dst=0 src0=1 src1=0 src2=0
	v_mul_i32_i24_e32 v89, v87 /*v343*/, v157
	s_set_vgpr_msb 0x55                     ;  msbs: dst=1 src0=1 src1=1 src2=1
	v_add3_u32 v116 /*v372*/, v125 /*v381*/, v122 /*v378*/, v116 /*v372*/
	v_mul_i32_i24_e32 v122 /*v378*/, v105 /*v361*/, v8 /*v264*/
	s_set_vgpr_msb 64                       ;  msbs: dst=1 src0=0 src1=0 src2=0
	v_bfe_i32 v125 /*v381*/, v153, 0, 8
	v_bfe_i32 v87 /*v343*/, v153, 8, 8
	s_set_vgpr_msb 0x41                     ;  msbs: dst=1 src0=1 src1=0 src2=0
	v_add3_u32 v7 /*v263*/, v7 /*v263*/, v89, v88
	s_set_vgpr_msb 4                        ;  msbs: dst=0 src0=0 src1=1 src2=0
	v_cvt_f32_f16_e32 v89, v90
	v_cvt_f32_f16_e32 v88, v92
	v_mul_i32_i24_e32 v90, v253, v81 /*v337*/
	v_mul_i32_i24_e32 v92, v254, v38 /*v294*/
	s_set_vgpr_msb 0x55                     ;  msbs: dst=1 src0=1 src1=1 src2=1
	v_add3_u32 v122 /*v378*/, v126 /*v382*/, v123 /*v379*/, v122 /*v378*/
	s_set_vgpr_msb 64                       ;  msbs: dst=1 src0=0 src1=0 src2=0
	v_bfe_i32 v126 /*v382*/, v140, 8, 8
	s_set_vgpr_msb 0                        ;  msbs: dst=0 src0=0 src1=0 src2=0
	v_bfe_i32 v140, v140, 16, 8
	s_set_vgpr_msb 5                        ;  msbs: dst=0 src0=1 src1=1 src2=0
	v_mul_i32_i24_e32 v253, v99 /*v355*/, v65 /*v321*/
	s_set_vgpr_msb 0                        ;  msbs: dst=0 src0=0 src1=0 src2=0
	v_add3_u32 v90, v144, v92, v90
	s_set_vgpr_msb 5                        ;  msbs: dst=0 src0=1 src1=1 src2=0
	v_lshrrev_b16 v92, 8, v53 /*v309*/
	v_mul_i32_i24_e32 v144, v126 /*v382*/, v11 /*v267*/
	v_mul_i32_i24_e32 v254, v98 /*v354*/, v38 /*v294*/
	s_set_vgpr_msb 64                       ;  msbs: dst=1 src0=0 src1=0 src2=0
	v_bfe_i32 v90 /*v346*/, v153, 16, 8
	s_set_vgpr_msb 0                        ;  msbs: dst=0 src0=0 src1=0 src2=0
	v_ashrrev_i32_e32 v153, 24, v153
	s_set_vgpr_msb 64                       ;  msbs: dst=1 src0=0 src1=0 src2=0
	v_and_b32_e32 v141 /*v397*/, 0xffff, v92
	s_set_vgpr_msb 16                       ;  msbs: dst=0 src0=0 src1=0 src2=1
	v_add3_u32 v255, v90, v255, v0 /*v256*/
	s_set_vgpr_msb 0                        ;  msbs: dst=0 src0=0 src1=0 src2=0
	v_add3_u32 v136, v136, v253, v254
	s_set_vgpr_msb 64                       ;  msbs: dst=1 src0=0 src1=0 src2=0
	v_bfe_u32 v123 /*v379*/, v146, 24, 4
	s_set_vgpr_msb 4                        ;  msbs: dst=0 src0=0 src1=1 src2=0
	v_mul_i32_i24_e32 v90, v153, v150 /*v406*/
	v_mul_i32_i24_e32 v92, v155, v141 /*v397*/
	s_set_vgpr_msb 64                       ;  msbs: dst=1 src0=0 src1=0 src2=0
	v_ashrrev_i32_e32 v99 /*v355*/, 24, v127
	v_bfe_i32 v0 /*v256*/, v137, 0, 8
	v_bfe_i32 v98 /*v354*/, v139, 16, 8
	s_set_vgpr_msb 16                       ;  msbs: dst=0 src0=0 src1=0 src2=1
	v_mul_i32_i24_e32 v97, v234, v239
	v_add3_u32 v92, v245, v92, v79 /*v335*/
	s_set_vgpr_msb 4                        ;  msbs: dst=0 src0=0 src1=1 src2=0
	v_mul_i32_i24_e32 v245, v140, v5 /*v261*/
	s_set_vgpr_msb 64                       ;  msbs: dst=1 src0=0 src1=0 src2=0
	v_bfe_i32 v162 /*v418*/, v105, 16, 8
	v_ashrrev_i32_e32 v163 /*v419*/, 24, v105
	v_bfe_u32 v103 /*v359*/, v148, 4, 4
	s_set_vgpr_msb 1                        ;  msbs: dst=0 src0=1 src1=0 src2=0
	v_add3_u32 v92, v58 /*v314*/, v92, v90
	s_set_vgpr_msb 0                        ;  msbs: dst=0 src0=0 src1=0 src2=0
	v_add3_u32 v144, v251, v144, v245
	s_set_vgpr_msb 5                        ;  msbs: dst=0 src0=1 src1=1 src2=0
	v_mul_i32_i24_e32 v245, v126 /*v382*/, v128 /*v384*/
	s_set_vgpr_msb 4                        ;  msbs: dst=0 src0=0 src1=1 src2=0
	v_mul_i32_i24_e32 v251, v140, v46 /*v302*/
	s_set_vgpr_msb 64                       ;  msbs: dst=1 src0=0 src1=0 src2=0
	v_bfe_u32 v119 /*v375*/, v146, 4, 4
	v_bfe_i32 v157 /*v413*/, v96, 0, 8
	v_bfe_i32 v177 /*v433*/, v96, 8, 8
	;; [unrolled: 1-line block ×3, first 2 shown]
	s_set_vgpr_msb 0                        ;  msbs: dst=0 src0=0 src1=0 src2=0
	v_add3_u32 v245, v252, v245, v251
	s_set_vgpr_msb 5                        ;  msbs: dst=0 src0=1 src1=1 src2=0
	v_mul_i32_i24_e32 v251, v126 /*v382*/, v39 /*v295*/
	s_set_vgpr_msb 4                        ;  msbs: dst=0 src0=0 src1=1 src2=0
	v_mul_i32_i24_e32 v252, v140, v6 /*v262*/
	s_set_vgpr_msb 64                       ;  msbs: dst=1 src0=0 src1=0 src2=0
	v_bfe_i32 v166 /*v422*/, v98, 0, 8
	v_bfe_i32 v172 /*v428*/, v101, 0, 8
	v_bfe_i32 v173 /*v429*/, v101, 8, 8
	v_bfe_i32 v174 /*v430*/, v101, 16, 8
	s_set_vgpr_msb 1                        ;  msbs: dst=0 src0=1 src1=0 src2=0
	v_add3_u32 v251, v17 /*v273*/, v251, v252
	s_set_vgpr_msb 0                        ;  msbs: dst=0 src0=0 src1=0 src2=0
	v_bfe_i32 v252, v134, 8, 8
	v_bfe_i32 v134, v134, 16, 8
	s_set_vgpr_msb 0x45                     ;  msbs: dst=1 src0=1 src1=1 src2=0
	v_mul_i32_i24_e32 v17 /*v273*/, v138 /*v394*/, v38 /*v294*/
	s_set_vgpr_msb 64                       ;  msbs: dst=1 src0=0 src1=0 src2=0
	v_dual_lshrrev_b32 v138 /*v394*/, 28, v147 :: v_dual_ashrrev_i32 v175 /*v431*/, 24, v101
	v_ashrrev_i32_e32 v179 /*v435*/, 24, v98
	s_set_vgpr_msb 4                        ;  msbs: dst=0 src0=0 src1=1 src2=0
	v_mul_i32_i24_e32 v253, v252, v11 /*v267*/
	v_mul_i32_i24_e32 v254, v134, v5 /*v261*/
	s_set_vgpr_msb 64                       ;  msbs: dst=1 src0=0 src1=0 src2=0
	v_bfe_i32 v176 /*v432*/, v98, 8, 8
	v_bfe_i32 v178 /*v434*/, v98, 16, 8
	s_set_vgpr_msb 0                        ;  msbs: dst=0 src0=0 src1=0 src2=0
	v_cvt_f32_f16_e64 v84, v224
	v_mul_i32_i24_e32 v232, v205, v223
	v_add3_u32 v242, v242, v253, v254
	s_set_vgpr_msb 4                        ;  msbs: dst=0 src0=0 src1=1 src2=0
	v_mul_i32_i24_e32 v253, v252, v128 /*v384*/
	v_mul_i32_i24_e32 v254, v134, v46 /*v302*/
	s_set_vgpr_msb 0                        ;  msbs: dst=0 src0=0 src1=0 src2=0
	v_mul_i32_i24_e32 v233, v215, v229
	v_mul_i32_i24_e32 v224, v217, v230
	s_set_vgpr_msb 64                       ;  msbs: dst=1 src0=0 src1=0 src2=0
	v_bfe_i32 v73 /*v329*/, v154, 16, 8
	s_set_vgpr_msb 0                        ;  msbs: dst=0 src0=0 src1=0 src2=0
	v_ashrrev_i32_e32 v154, 24, v154
	v_add3_u32 v246, v246, v253, v254
	s_set_vgpr_msb 4                        ;  msbs: dst=0 src0=0 src1=1 src2=0
	v_mul_i32_i24_e32 v253, v252, v39 /*v295*/
	v_mul_i32_i24_e32 v254, v134, v6 /*v262*/
	s_set_vgpr_msb 64                       ;  msbs: dst=1 src0=0 src1=0 src2=0
	v_bfe_u32 v106 /*v362*/, v148, 12, 4
	s_set_vgpr_msb 0                        ;  msbs: dst=0 src0=0 src1=0 src2=0
	v_bfe_u32 v148, v148, 20, 4
	s_set_vgpr_msb 64                       ;  msbs: dst=1 src0=0 src1=0 src2=0
	v_bfe_u32 v120 /*v376*/, v146, 12, 4
	s_set_vgpr_msb 0                        ;  msbs: dst=0 src0=0 src1=0 src2=0
	v_bfe_u32 v146, v146, 20, 4
	v_add3_u32 v247, v247, v253, v254
	v_bfe_i32 v253, v124, 8, 8
	v_bfe_i32 v124, v124, 16, 8
	s_set_vgpr_msb 5                        ;  msbs: dst=0 src0=1 src1=1 src2=0
	v_mul_i32_i24_e32 v254, v139 /*v395*/, v65 /*v321*/
	s_set_vgpr_msb 64                       ;  msbs: dst=1 src0=0 src1=0 src2=0
	v_bfe_u32 v139 /*v395*/, v147, 20, 4
	v_bfe_i32 v167 /*v423*/, v103, 8, 8
	s_set_vgpr_msb 0                        ;  msbs: dst=0 src0=0 src1=0 src2=0
	v_bfe_i32 v218, v85, 0, 8
	s_set_vgpr_msb 0x44                     ;  msbs: dst=1 src0=0 src1=1 src2=0
	v_mul_i32_i24_e32 v53 /*v309*/, v124, v46 /*v302*/
	s_set_vgpr_msb 16                       ;  msbs: dst=0 src0=0 src1=0 src2=1
	v_add3_u32 v132, v132, v254, v17 /*v273*/
	s_set_vgpr_msb 4                        ;  msbs: dst=0 src0=0 src1=1 src2=0
	v_mul_i32_i24_e32 v254, v253, v11 /*v267*/
	s_set_vgpr_msb 0x44                     ;  msbs: dst=1 src0=0 src1=1 src2=0
	v_mul_i32_i24_e32 v17 /*v273*/, v124, v5 /*v261*/
	v_bfe_i32 v35 /*v291*/, v85, 8, 8
	s_set_vgpr_msb 0                        ;  msbs: dst=0 src0=0 src1=0 src2=0
	v_bfe_i32 v219, v85, 16, 8
	v_cvt_f32_f16_e64 v85, v225
	v_mul_i32_i24_e32 v225, v216, v222
	s_set_vgpr_msb 17                       ;  msbs: dst=0 src0=1 src1=0 src2=1
	v_add3_u32 v254, v67 /*v323*/, v254, v17 /*v273*/
	s_set_vgpr_msb 0x44                     ;  msbs: dst=1 src0=0 src1=1 src2=0
	v_mul_i32_i24_e32 v17 /*v273*/, v253, v128 /*v384*/
	v_mul_i32_i24_e32 v67 /*v323*/, v124, v6 /*v262*/
	s_set_vgpr_msb 0                        ;  msbs: dst=0 src0=0 src1=0 src2=0
	v_mul_i32_i24_e32 v244, v219, v213
	v_bfe_i32 v212, v83, 0, 8
	s_set_vgpr_msb 64                       ;  msbs: dst=1 src0=0 src1=0 src2=0
	v_bfe_i32 v169 /*v425*/, v99, 8, 8
	s_set_vgpr_msb 0x55                     ;  msbs: dst=1 src0=1 src1=1 src2=1
	v_add3_u32 v17 /*v273*/, v69 /*v325*/, v17 /*v273*/, v53 /*v309*/
	s_set_vgpr_msb 0x44                     ;  msbs: dst=1 src0=0 src1=1 src2=0
	v_mul_i32_i24_e32 v53 /*v309*/, v253, v39 /*v295*/
	s_set_vgpr_msb 1                        ;  msbs: dst=0 src0=1 src1=0 src2=0
	v_mul_i32_i24_e32 v209, v35 /*v291*/, v206
	s_set_vgpr_msb 64                       ;  msbs: dst=1 src0=0 src1=0 src2=0
	v_bfe_i32 v168 /*v424*/, v99, 0, 8
	v_bfe_i32 v170 /*v426*/, v99, 16, 8
	s_set_vgpr_msb 0                        ;  msbs: dst=0 src0=0 src1=0 src2=0
	v_bfe_i32 v211, v83, 8, 8
	s_set_vgpr_msb 0x55                     ;  msbs: dst=1 src0=1 src1=1 src2=1
	v_add3_u32 v53 /*v309*/, v70 /*v326*/, v53 /*v309*/, v67 /*v323*/
	s_set_vgpr_msb 64                       ;  msbs: dst=1 src0=0 src1=0 src2=0
	v_bfe_i32 v67 /*v323*/, v114, 8, 8
	s_set_vgpr_msb 0                        ;  msbs: dst=0 src0=0 src1=0 src2=0
	v_bfe_i32 v114, v114, 16, 8
	s_set_vgpr_msb 0x45                     ;  msbs: dst=1 src0=1 src1=1 src2=0
	v_mul_i32_i24_e32 v70 /*v326*/, v77 /*v333*/, v65 /*v321*/
	s_set_vgpr_msb 64                       ;  msbs: dst=1 src0=0 src1=0 src2=0
	v_bfe_i32 v77 /*v333*/, v102, 16, 8
	s_set_vgpr_msb 0                        ;  msbs: dst=0 src0=0 src1=0 src2=0
	v_bfe_i32 v210, v83, 16, 8
	s_set_vgpr_msb 0x45                     ;  msbs: dst=1 src0=1 src1=1 src2=0
	v_mul_i32_i24_e32 v19 /*v275*/, v67 /*v323*/, v11 /*v267*/
	s_set_vgpr_msb 0x44                     ;  msbs: dst=1 src0=0 src1=1 src2=0
	v_mul_i32_i24_e32 v20 /*v276*/, v114, v5 /*v261*/
	v_mul_i32_i24_e32 v69 /*v325*/, v114, v6 /*v262*/
	s_set_vgpr_msb 20                       ;  msbs: dst=0 src0=0 src1=1 src2=1
	v_add3_u32 v112, v112, v70 /*v326*/, v3 /*v259*/
	s_set_vgpr_msb 0x45                     ;  msbs: dst=1 src0=1 src1=1 src2=0
	v_mul_i32_i24_e32 v79 /*v335*/, v77 /*v333*/, v46 /*v302*/
	s_set_vgpr_msb 1                        ;  msbs: dst=0 src0=1 src1=0 src2=0
	v_mul_i32_i24_e32 v98, v77 /*v333*/, v239
	s_set_vgpr_msb 20                       ;  msbs: dst=0 src0=0 src1=1 src2=1
	v_add3_u32 v248, v248, v19 /*v275*/, v20 /*v276*/
	s_set_vgpr_msb 0x45                     ;  msbs: dst=1 src0=1 src1=1 src2=0
	v_mul_i32_i24_e32 v19 /*v275*/, v67 /*v323*/, v128 /*v384*/
	s_set_vgpr_msb 0x44                     ;  msbs: dst=1 src0=0 src1=1 src2=0
	v_mul_i32_i24_e32 v20 /*v276*/, v114, v46 /*v302*/
	s_set_vgpr_msb 0                        ;  msbs: dst=0 src0=0 src1=0 src2=0
	v_cvt_f32_f16_e64 v83, v151
	v_mul_i32_i24_e32 v151, v218, v204
	s_set_vgpr_msb 4                        ;  msbs: dst=0 src0=0 src1=1 src2=0
	v_mul_i32_i24_e32 v99, v208, v45 /*v301*/
	v_pk_mul_f32 v[88:89], v[88:89], s[12:13] op_sel_hi:[1,0]
	s_set_vgpr_msb 0x55                     ;  msbs: dst=1 src0=1 src1=1 src2=1
	v_add3_u32 v19 /*v275*/, v71 /*v327*/, v19 /*v275*/, v20 /*v276*/
	v_mul_i32_i24_e32 v20 /*v276*/, v67 /*v323*/, v39 /*v295*/
	s_set_vgpr_msb 0                        ;  msbs: dst=0 src0=0 src1=0 src2=0
	v_add_nc_u32_e32 v197, 4, v197
	s_set_vgpr_msb 64                       ;  msbs: dst=1 src0=0 src1=0 src2=0
	v_ashrrev_i32_e32 v144 /*v400*/, 24, v111
	s_add_co_i32 s14, s14, 4
	s_set_vgpr_msb 0                        ;  msbs: dst=0 src0=0 src1=0 src2=0
	v_ashrrev_i32_e32 v96, 24, v96
	s_set_vgpr_msb 0x55                     ;  msbs: dst=1 src0=1 src1=1 src2=1
	v_add3_u32 v20 /*v276*/, v74 /*v330*/, v20 /*v276*/, v69 /*v325*/
	s_set_vgpr_msb 64                       ;  msbs: dst=1 src0=0 src1=0 src2=0
	v_bfe_i32 v69 /*v325*/, v106, 8, 8
	s_set_vgpr_msb 0                        ;  msbs: dst=0 src0=0 src1=0 src2=0
	v_bfe_i32 v106, v106, 16, 8
	s_cmp_lt_u32 s14, 28
	v_add_nc_u32_e32 v198, 32, v198
	s_set_vgpr_msb 0x45                     ;  msbs: dst=1 src0=1 src1=1 src2=0
	v_mul_i32_i24_e32 v3 /*v259*/, v69 /*v325*/, v11 /*v267*/
	s_set_vgpr_msb 0x44                     ;  msbs: dst=1 src0=0 src1=1 src2=0
	v_mul_i32_i24_e32 v70 /*v326*/, v106, v5 /*v261*/
	v_mul_i32_i24_e32 v71 /*v327*/, v106, v46 /*v302*/
	;; [unrolled: 1-line block ×3, first 2 shown]
	s_set_vgpr_msb 0x55                     ;  msbs: dst=1 src0=1 src1=1 src2=1
	s_delay_alu instid0(VALU_DEP_3) | instskip(SKIP_2) | instid1(VALU_DEP_2)
	v_add3_u32 v3 /*v259*/, v82 /*v338*/, v3 /*v259*/, v70 /*v326*/
	v_mul_i32_i24_e32 v70 /*v326*/, v69 /*v325*/, v128 /*v384*/
	v_mul_i32_i24_e32 v82 /*v338*/, v77 /*v333*/, v6 /*v262*/
	v_add3_u32 v70 /*v326*/, v101 /*v357*/, v70 /*v326*/, v71 /*v327*/
	v_mul_i32_i24_e32 v71 /*v327*/, v69 /*v325*/, v39 /*v295*/
	s_set_vgpr_msb 64                       ;  msbs: dst=1 src0=0 src1=0 src2=0
	v_ashrrev_i32_e32 v101 /*v357*/, 24, v135
	s_set_vgpr_msb 0x55                     ;  msbs: dst=1 src0=1 src1=1 src2=1
	s_delay_alu instid0(VALU_DEP_2)
	v_add3_u32 v71 /*v327*/, v102 /*v358*/, v71 /*v327*/, v74 /*v330*/
	s_set_vgpr_msb 64                       ;  msbs: dst=1 src0=0 src1=0 src2=0
	v_bfe_i32 v74 /*v330*/, v102, 8, 8
	s_set_vgpr_msb 5                        ;  msbs: dst=0 src0=1 src1=1 src2=0
	v_mul_i32_i24_e32 v102, v121 /*v377*/, v65 /*v321*/
	s_set_vgpr_msb 64                       ;  msbs: dst=1 src0=0 src1=0 src2=0
	v_bfe_u32 v121 /*v377*/, v149, 12, 4
	v_bfe_i32 v102 /*v358*/, v131, 0, 8
	s_set_vgpr_msb 1                        ;  msbs: dst=0 src0=1 src1=0 src2=0
	v_mul_i32_i24_e32 v101, v74 /*v330*/, v250
	s_set_vgpr_msb 16                       ;  msbs: dst=0 src0=0 src1=0 src2=1
	v_add3_u32 v104, v104, v102, v57 /*v313*/
	s_set_vgpr_msb 5                        ;  msbs: dst=0 src0=1 src1=1 src2=0
	v_mul_i32_i24_e32 v102, v74 /*v330*/, v11 /*v267*/
	s_set_vgpr_msb 0x45                     ;  msbs: dst=1 src0=1 src1=1 src2=0
	v_mul_i32_i24_e32 v57 /*v313*/, v77 /*v333*/, v5 /*v261*/
	v_mul_i32_i24_e32 v5 /*v261*/, v88 /*v344*/, v5 /*v261*/
	s_set_vgpr_msb 0x51                     ;  msbs: dst=1 src0=1 src1=0 src2=1
	s_delay_alu instid0(VALU_DEP_2) | instskip(SKIP_4) | instid1(VALU_DEP_2)
	v_add3_u32 v57 /*v313*/, v104 /*v360*/, v102, v57 /*v313*/
	s_set_vgpr_msb 5                        ;  msbs: dst=0 src0=1 src1=1 src2=0
	v_mul_i32_i24_e32 v102, v74 /*v330*/, v128 /*v384*/
	s_set_vgpr_msb 0x51                     ;  msbs: dst=1 src0=1 src1=0 src2=1
	v_ashrrev_i32_e32 v104 /*v360*/, 24, v133
	v_add3_u32 v79 /*v335*/, v116 /*v372*/, v102, v79 /*v335*/
	s_set_vgpr_msb 5                        ;  msbs: dst=0 src0=1 src1=1 src2=0
	v_mul_i32_i24_e32 v102, v74 /*v330*/, v39 /*v295*/
	s_set_vgpr_msb 64                       ;  msbs: dst=1 src0=0 src1=0 src2=0
	v_bfe_i32 v116 /*v372*/, v130, 8, 8
	s_set_vgpr_msb 0x51                     ;  msbs: dst=1 src0=1 src1=0 src2=1
	s_delay_alu instid0(VALU_DEP_2)
	v_add3_u32 v82 /*v338*/, v122 /*v378*/, v102, v82 /*v338*/
	s_set_vgpr_msb 5                        ;  msbs: dst=0 src0=1 src1=1 src2=0
	v_mul_i32_i24_e32 v102, v4 /*v260*/, v38 /*v294*/
	s_set_vgpr_msb 0x45                     ;  msbs: dst=1 src0=1 src1=1 src2=0
	v_mul_i32_i24_e32 v4 /*v260*/, v37 /*v293*/, v65 /*v321*/
	s_set_vgpr_msb 64                       ;  msbs: dst=1 src0=0 src1=0 src2=0
	v_lshrrev_b32_e32 v122 /*v378*/, 28, v149
	s_set_vgpr_msb 0                        ;  msbs: dst=0 src0=0 src1=0 src2=0
	v_bfe_u32 v149, v147, 24, 4
	s_set_vgpr_msb 21                       ;  msbs: dst=0 src0=1 src1=1 src2=1
	v_add3_u32 v147, v16 /*v272*/, v28 /*v284*/, v29 /*v285*/
	s_set_vgpr_msb 64                       ;  msbs: dst=1 src0=0 src1=0 src2=0
	v_bfe_i32 v16 /*v272*/, v143, 0, 8
	s_set_vgpr_msb 0x45                     ;  msbs: dst=1 src0=1 src1=1 src2=0
	v_add3_u32 v4 /*v260*/, v64 /*v320*/, v4 /*v260*/, v102
	s_set_vgpr_msb 5                        ;  msbs: dst=0 src0=1 src1=1 src2=0
	v_mul_i32_i24_e32 v102, v1 /*v257*/, v127 /*v383*/
	s_set_vgpr_msb 64                       ;  msbs: dst=1 src0=0 src1=0 src2=0
	v_dual_ashrrev_i32 v37 /*v293*/, 24, v141 :: v_dual_ashrrev_i32 v64 /*v320*/, 24, v139
	v_ashrrev_i32_e32 v65 /*v321*/, 24, v129
	v_bfe_i32 v29 /*v285*/, v141, 8, 8
	s_set_vgpr_msb 1                        ;  msbs: dst=0 src0=1 src1=0 src2=0
	v_add3_u32 v145, v22 /*v278*/, v102, v145
	s_set_vgpr_msb 5                        ;  msbs: dst=0 src0=1 src1=1 src2=0
	v_mul_i32_i24_e32 v102, v1 /*v257*/, v8 /*v264*/
	s_set_vgpr_msb 0x45                     ;  msbs: dst=1 src0=1 src1=1 src2=0
	v_mul_i32_i24_e32 v8 /*v264*/, v2 /*v258*/, v39 /*v295*/
	s_set_vgpr_msb 64                       ;  msbs: dst=1 src0=0 src1=0 src2=0
	v_bfe_i32 v22 /*v278*/, v143, 8, 8
	v_bfe_i32 v38 /*v294*/, v126, 0, 8
	;; [unrolled: 1-line block ×3, first 2 shown]
	v_mul_i32_i24_e32 v28 /*v284*/, v220, v207
	s_set_vgpr_msb 0x51                     ;  msbs: dst=1 src0=1 src1=0 src2=1
	v_add3_u32 v8 /*v264*/, v23 /*v279*/, v102, v8 /*v264*/
	s_set_vgpr_msb 64                       ;  msbs: dst=1 src0=0 src1=0 src2=0
	v_bfe_i32 v23 /*v279*/, v143, 16, 8
	s_set_vgpr_msb 0                        ;  msbs: dst=0 src0=0 src1=0 src2=0
	v_ashrrev_i32_e32 v143, 24, v143
	s_set_vgpr_msb 5                        ;  msbs: dst=0 src0=1 src1=1 src2=0
	v_mul_i32_i24_e32 v90, v22 /*v278*/, v12 /*v268*/
	v_mul_i32_i24_e32 v102, v89 /*v345*/, v11 /*v267*/
	s_set_vgpr_msb 0x45                     ;  msbs: dst=1 src0=1 src1=1 src2=0
	v_mul_i32_i24_e32 v11 /*v267*/, v88 /*v344*/, v46 /*v302*/
	s_set_vgpr_msb 0x44                     ;  msbs: dst=1 src0=0 src1=1 src2=0
	v_mul_i32_i24_e32 v58 /*v314*/, v143, v13 /*v269*/
	s_set_vgpr_msb 16                       ;  msbs: dst=0 src0=0 src1=0 src2=1
	v_add3_u32 v91, v91, v102, v5 /*v261*/
	s_set_vgpr_msb 5                        ;  msbs: dst=0 src0=1 src1=1 src2=0
	v_mul_i32_i24_e32 v102, v89 /*v345*/, v128 /*v384*/
	s_set_vgpr_msb 64                       ;  msbs: dst=1 src0=0 src1=0 src2=0
	v_bfe_i32 v5 /*v261*/, v141, 0, 8
	s_set_vgpr_msb 4                        ;  msbs: dst=0 src0=0 src1=1 src2=0
	v_add3_u32 v144, v144, v58 /*v314*/, v90
	s_set_vgpr_msb 5                        ;  msbs: dst=0 src0=1 src1=1 src2=0
	v_mul_i32_i24_e32 v90, v22 /*v278*/, v130 /*v386*/
	s_set_vgpr_msb 0x44                     ;  msbs: dst=1 src0=0 src1=1 src2=0
	v_mul_i32_i24_e32 v58 /*v314*/, v143, v115 /*v371*/
	s_set_vgpr_msb 0x51                     ;  msbs: dst=1 src0=1 src1=0 src2=1
	v_add3_u32 v10 /*v266*/, v10 /*v266*/, v102, v11 /*v267*/
	s_set_vgpr_msb 64                       ;  msbs: dst=1 src0=0 src1=0 src2=0
	v_bfe_i32 v11 /*v267*/, v141, 16, 8
	s_set_vgpr_msb 5                        ;  msbs: dst=0 src0=1 src1=1 src2=0
	v_mul_i32_i24_e32 v141, v89 /*v345*/, v39 /*v295*/
	s_set_vgpr_msb 0x45                     ;  msbs: dst=1 src0=1 src1=1 src2=0
	v_mul_i32_i24_e32 v39 /*v295*/, v88 /*v344*/, v6 /*v262*/
	s_set_vgpr_msb 4                        ;  msbs: dst=0 src0=0 src1=1 src2=0
	v_add3_u32 v245, v245, v58 /*v314*/, v90
	s_set_vgpr_msb 5                        ;  msbs: dst=0 src0=1 src1=1 src2=0
	v_mul_i32_i24_e32 v90, v22 /*v278*/, v48 /*v304*/
	s_set_vgpr_msb 0x44                     ;  msbs: dst=1 src0=0 src1=1 src2=0
	v_mul_i32_i24_e32 v58 /*v314*/, v143, v123 /*v379*/
	s_set_vgpr_msb 64                       ;  msbs: dst=1 src0=0 src1=0 src2=0
	v_ashrrev_i32_e32 v88 /*v344*/, 24, v137
	s_set_vgpr_msb 17                       ;  msbs: dst=0 src0=1 src1=0 src2=1
	v_add3_u32 v141, v7 /*v263*/, v141, v39 /*v295*/
	s_set_vgpr_msb 64                       ;  msbs: dst=1 src0=0 src1=0 src2=0
	v_bfe_i32 v7 /*v263*/, v127, 0, 8
	v_bfe_i32 v39 /*v295*/, v127, 16, 8
	s_set_vgpr_msb 4                        ;  msbs: dst=0 src0=0 src1=1 src2=0
	v_add3_u32 v251, v251, v58 /*v314*/, v90
	s_set_vgpr_msb 64                       ;  msbs: dst=1 src0=0 src1=0 src2=0
	v_bfe_i32 v58 /*v314*/, v139, 8, 8
	s_set_vgpr_msb 5                        ;  msbs: dst=0 src0=1 src1=1 src2=0
	v_mul_i32_i24_e32 v90, v136 /*v392*/, v81 /*v337*/
	s_set_vgpr_msb 20                       ;  msbs: dst=0 src0=0 src1=1 src2=1
	v_add3_u32 v127, v147, v31 /*v287*/, v30 /*v286*/
	s_set_vgpr_msb 64                       ;  msbs: dst=1 src0=0 src1=0 src2=0
	v_bfe_i32 v136 /*v392*/, v131, 8, 8
	v_bfe_i32 v30 /*v286*/, v131, 16, 8
	v_ashrrev_i32_e32 v31 /*v287*/, 24, v131
	s_set_vgpr_msb 0                        ;  msbs: dst=0 src0=0 src1=0 src2=0
	v_add3_u32 v136, v136, v90, v142
	s_set_vgpr_msb 5                        ;  msbs: dst=0 src0=1 src1=1 src2=0
	v_mul_i32_i24_e32 v90, v58 /*v314*/, v12 /*v268*/
	v_mul_i32_i24_e32 v142, v64 /*v320*/, v13 /*v269*/
	s_set_vgpr_msb 0                        ;  msbs: dst=0 src0=0 src1=0 src2=0
	v_mul_i32_i24_e32 v131, v237, v157
	s_set_vgpr_msb 64                       ;  msbs: dst=1 src0=0 src1=0 src2=0
	v_ashrrev_i32_e32 v128 /*v384*/, 24, v126
	s_set_vgpr_msb 0                        ;  msbs: dst=0 src0=0 src1=0 src2=0
	v_bfe_i32 v147, v129, 0, 8
	v_bfe_i32 v157, v129, 16, 8
	v_add3_u32 v142, v242, v142, v90
	s_set_vgpr_msb 5                        ;  msbs: dst=0 src0=1 src1=1 src2=0
	v_mul_i32_i24_e32 v90, v58 /*v314*/, v130 /*v386*/
	v_mul_i32_i24_e32 v242, v64 /*v320*/, v115 /*v371*/
	s_set_vgpr_msb 64                       ;  msbs: dst=1 src0=0 src1=0 src2=0
	v_bfe_i32 v89 /*v345*/, v139, 0, 8
	s_set_vgpr_msb 4                        ;  msbs: dst=0 src0=0 src1=1 src2=0
	v_mul_i32_i24_e32 v102, v212, v42 /*v298*/
	s_set_vgpr_msb 0                        ;  msbs: dst=0 src0=0 src1=0 src2=0
	v_add3_u32 v242, v246, v242, v90
	s_set_vgpr_msb 5                        ;  msbs: dst=0 src0=1 src1=1 src2=0
	v_mul_i32_i24_e32 v90, v58 /*v314*/, v48 /*v304*/
	v_mul_i32_i24_e32 v246, v64 /*v320*/, v123 /*v379*/
	s_set_vgpr_msb 0                        ;  msbs: dst=0 src0=0 src1=0 src2=0
	s_delay_alu instid0(VALU_DEP_1)
	v_add3_u32 v246, v247, v246, v90
	v_bfe_i32 v247, v129, 8, 8
	s_set_vgpr_msb 5                        ;  msbs: dst=0 src0=1 src1=1 src2=0
	v_mul_i32_i24_e32 v90, v21 /*v277*/, v81 /*v337*/
	s_set_vgpr_msb 64                       ;  msbs: dst=1 src0=0 src1=0 src2=0
	v_bfe_i32 v21 /*v277*/, v123, 8, 8
	s_set_vgpr_msb 0                        ;  msbs: dst=0 src0=0 src1=0 src2=0
	s_delay_alu instid0(VALU_DEP_2)
	v_add3_u32 v132, v132, v90, v138
	s_set_vgpr_msb 4                        ;  msbs: dst=0 src0=0 src1=1 src2=0
	v_mul_i32_i24_e32 v90, v247, v12 /*v268*/
	s_set_vgpr_msb 5                        ;  msbs: dst=0 src0=1 src1=1 src2=0
	v_mul_i32_i24_e32 v138, v65 /*v321*/, v13 /*v269*/
	s_set_vgpr_msb 0                        ;  msbs: dst=0 src0=0 src1=0 src2=0
	s_delay_alu instid0(VALU_DEP_1)
	v_add3_u32 v138, v254, v138, v90
	s_set_vgpr_msb 4                        ;  msbs: dst=0 src0=0 src1=1 src2=0
	v_mul_i32_i24_e32 v90, v247, v130 /*v386*/
	s_set_vgpr_msb 5                        ;  msbs: dst=0 src0=1 src1=1 src2=0
	v_mul_i32_i24_e32 v254, v65 /*v321*/, v115 /*v371*/
	s_set_vgpr_msb 1                        ;  msbs: dst=0 src0=1 src1=0 src2=0
	s_delay_alu instid0(VALU_DEP_1) | instskip(SKIP_4) | instid1(VALU_DEP_1)
	v_add3_u32 v254, v17 /*v273*/, v254, v90
	s_set_vgpr_msb 4                        ;  msbs: dst=0 src0=0 src1=1 src2=0
	v_mul_i32_i24_e32 v90, v247, v48 /*v304*/
	s_set_vgpr_msb 0x45                     ;  msbs: dst=1 src0=1 src1=1 src2=0
	v_mul_i32_i24_e32 v17 /*v273*/, v65 /*v321*/, v123 /*v379*/
	v_add3_u32 v17 /*v273*/, v53 /*v309*/, v17 /*v273*/, v90
	s_set_vgpr_msb 64                       ;  msbs: dst=1 src0=0 src1=0 src2=0
	v_ashrrev_i32_e32 v53 /*v309*/, 24, v123
	s_set_vgpr_msb 5                        ;  msbs: dst=0 src0=1 src1=1 src2=0
	v_mul_i32_i24_e32 v90, v34 /*v290*/, v81 /*v337*/
	s_set_vgpr_msb 64                       ;  msbs: dst=1 src0=0 src1=0 src2=0
	v_ashrrev_i32_e32 v34 /*v290*/, 24, v119
	s_set_vgpr_msb 0                        ;  msbs: dst=0 src0=0 src1=0 src2=0
	s_delay_alu instid0(VALU_DEP_2) | instskip(SKIP_4) | instid1(VALU_DEP_1)
	v_add3_u32 v120, v120, v90, v128
	s_set_vgpr_msb 5                        ;  msbs: dst=0 src0=1 src1=1 src2=0
	v_mul_i32_i24_e32 v90, v21 /*v277*/, v12 /*v268*/
	v_mul_i32_i24_e32 v128, v53 /*v309*/, v13 /*v269*/
	s_set_vgpr_msb 0                        ;  msbs: dst=0 src0=0 src1=0 src2=0
	v_add3_u32 v128, v248, v128, v90
	s_set_vgpr_msb 5                        ;  msbs: dst=0 src0=1 src1=1 src2=0
	v_mul_i32_i24_e32 v90, v21 /*v277*/, v130 /*v386*/
	v_mul_i32_i24_e32 v248, v53 /*v309*/, v115 /*v371*/
	s_set_vgpr_msb 1                        ;  msbs: dst=0 src0=1 src1=0 src2=0
	s_delay_alu instid0(VALU_DEP_1) | instskip(SKIP_4) | instid1(VALU_DEP_1)
	v_add3_u32 v248, v19 /*v275*/, v248, v90
	s_set_vgpr_msb 5                        ;  msbs: dst=0 src0=1 src1=1 src2=0
	v_mul_i32_i24_e32 v90, v21 /*v277*/, v48 /*v304*/
	s_set_vgpr_msb 0x45                     ;  msbs: dst=1 src0=1 src1=1 src2=0
	v_mul_i32_i24_e32 v19 /*v275*/, v53 /*v309*/, v123 /*v379*/
	v_add3_u32 v19 /*v275*/, v20 /*v276*/, v19 /*v275*/, v90
	s_set_vgpr_msb 64                       ;  msbs: dst=1 src0=0 src1=0 src2=0
	v_bfe_i32 v20 /*v276*/, v119, 8, 8
	s_set_vgpr_msb 5                        ;  msbs: dst=0 src0=1 src1=1 src2=0
	v_mul_i32_i24_e32 v90, v54 /*v310*/, v81 /*v337*/
	s_set_vgpr_msb 0x45                     ;  msbs: dst=1 src0=1 src1=1 src2=0
	v_mul_i32_i24_e32 v54 /*v310*/, v34 /*v290*/, v123 /*v379*/
	s_set_vgpr_msb 0                        ;  msbs: dst=0 src0=0 src1=0 src2=0
	s_delay_alu instid0(VALU_DEP_2) | instskip(SKIP_4) | instid1(VALU_DEP_1)
	v_add3_u32 v112, v112, v90, v122
	s_set_vgpr_msb 5                        ;  msbs: dst=0 src0=1 src1=1 src2=0
	v_mul_i32_i24_e32 v90, v20 /*v276*/, v12 /*v268*/
	v_mul_i32_i24_e32 v122, v34 /*v290*/, v13 /*v269*/
	s_set_vgpr_msb 1                        ;  msbs: dst=0 src0=1 src1=0 src2=0
	v_add3_u32 v122, v3 /*v259*/, v122, v90
	s_set_vgpr_msb 5                        ;  msbs: dst=0 src0=1 src1=1 src2=0
	v_mul_i32_i24_e32 v90, v20 /*v276*/, v130 /*v386*/
	s_set_vgpr_msb 0x45                     ;  msbs: dst=1 src0=1 src1=1 src2=0
	v_mul_i32_i24_e32 v3 /*v259*/, v34 /*v290*/, v115 /*v371*/
	s_delay_alu instid0(VALU_DEP_1)
	v_add3_u32 v3 /*v259*/, v70 /*v326*/, v3 /*v259*/, v90
	s_set_vgpr_msb 5                        ;  msbs: dst=0 src0=1 src1=1 src2=0
	v_mul_i32_i24_e32 v90, v20 /*v276*/, v48 /*v304*/
	s_set_vgpr_msb 64                       ;  msbs: dst=1 src0=0 src1=0 src2=0
	v_bfe_i32 v70 /*v326*/, v117, 8, 8
	s_set_vgpr_msb 0x45                     ;  msbs: dst=1 src0=1 src1=1 src2=0
	s_delay_alu instid0(VALU_DEP_2)
	v_add3_u32 v54 /*v310*/, v71 /*v327*/, v54 /*v310*/, v90
	s_set_vgpr_msb 64                       ;  msbs: dst=1 src0=0 src1=0 src2=0
	v_ashrrev_i32_e32 v71 /*v327*/, 24, v117
	s_set_vgpr_msb 5                        ;  msbs: dst=0 src0=1 src1=1 src2=0
	v_mul_i32_i24_e32 v90, v9 /*v265*/, v81 /*v337*/
	s_set_vgpr_msb 0x45                     ;  msbs: dst=1 src0=1 src1=1 src2=0
	s_delay_alu instid0(VALU_DEP_2) | instskip(SKIP_1) | instid1(VALU_DEP_2)
	v_mul_i32_i24_e32 v9 /*v265*/, v71 /*v327*/, v115 /*v371*/
	s_set_vgpr_msb 0                        ;  msbs: dst=0 src0=0 src1=0 src2=0
	v_add3_u32 v104, v104, v90, v118
	s_set_vgpr_msb 5                        ;  msbs: dst=0 src0=1 src1=1 src2=0
	v_mul_i32_i24_e32 v90, v70 /*v326*/, v12 /*v268*/
	v_mul_i32_i24_e32 v118, v71 /*v327*/, v13 /*v269*/
	s_set_vgpr_msb 1                        ;  msbs: dst=0 src0=1 src1=0 src2=0
	s_delay_alu instid0(VALU_DEP_1) | instskip(SKIP_4) | instid1(VALU_DEP_2)
	v_add3_u32 v118, v57 /*v313*/, v118, v90
	s_set_vgpr_msb 5                        ;  msbs: dst=0 src0=1 src1=1 src2=0
	v_mul_i32_i24_e32 v90, v70 /*v326*/, v130 /*v386*/
	s_set_vgpr_msb 0x45                     ;  msbs: dst=1 src0=1 src1=1 src2=0
	v_mul_i32_i24_e32 v57 /*v313*/, v71 /*v327*/, v123 /*v379*/
	v_add3_u32 v9 /*v265*/, v79 /*v335*/, v9 /*v265*/, v90
	s_set_vgpr_msb 5                        ;  msbs: dst=0 src0=1 src1=1 src2=0
	v_mul_i32_i24_e32 v90, v70 /*v326*/, v48 /*v304*/
	s_set_vgpr_msb 64                       ;  msbs: dst=1 src0=0 src1=0 src2=0
	v_bfe_i32 v79 /*v335*/, v137, 8, 8
	s_set_vgpr_msb 0x45                     ;  msbs: dst=1 src0=1 src1=1 src2=0
	s_delay_alu instid0(VALU_DEP_2)
	v_add3_u32 v57 /*v313*/, v82 /*v338*/, v57 /*v313*/, v90
	s_set_vgpr_msb 4                        ;  msbs: dst=0 src0=0 src1=1 src2=0
	v_mul_i32_i24_e32 v90, v249, v81 /*v337*/
	s_set_vgpr_msb 64                       ;  msbs: dst=1 src0=0 src1=0 src2=0
	v_bfe_i32 v81 /*v337*/, v135, 16, 8
	v_bfe_i32 v82 /*v338*/, v137, 16, 8
	s_set_vgpr_msb 0                        ;  msbs: dst=0 src0=0 src1=0 src2=0
	v_bfe_i32 v249, v130, 0, 8
	s_set_vgpr_msb 1                        ;  msbs: dst=0 src0=1 src1=0 src2=0
	v_add3_u32 v116, v4 /*v260*/, v90, v116
	s_set_vgpr_msb 64                       ;  msbs: dst=1 src0=0 src1=0 src2=0
	v_bfe_i32 v4 /*v260*/, v135, 8, 8
	s_set_vgpr_msb 4                        ;  msbs: dst=0 src0=0 src1=1 src2=0
	v_mul_i32_i24_e32 v90, v234, v46 /*v302*/
	v_mul_i32_i24_e32 v135, v237, v129 /*v385*/
	s_set_vgpr_msb 64                       ;  msbs: dst=1 src0=0 src1=0 src2=0
	v_bfe_i32 v46 /*v302*/, v133, 0, 8
	v_bfe_i32 v129 /*v385*/, v125, 0, 8
	s_set_vgpr_msb 0                        ;  msbs: dst=0 src0=0 src1=0 src2=0
	v_add3_u32 v135, v145, v90, v135
	s_set_vgpr_msb 4                        ;  msbs: dst=0 src0=0 src1=1 src2=0
	v_mul_i32_i24_e32 v90, v234, v6 /*v262*/
	s_set_vgpr_msb 64                       ;  msbs: dst=1 src0=0 src1=0 src2=0
	v_bfe_i32 v6 /*v262*/, v133, 8, 8
	s_set_vgpr_msb 4                        ;  msbs: dst=0 src0=0 src1=1 src2=0
	v_mul_i32_i24_e32 v234, v215, v119 /*v375*/
	s_set_vgpr_msb 1                        ;  msbs: dst=0 src0=1 src1=0 src2=0
	v_add3_u32 v131, v8 /*v264*/, v90, v131
	s_set_vgpr_msb 64                       ;  msbs: dst=1 src0=0 src1=0 src2=0
	v_bfe_i32 v8 /*v264*/, v133, 16, 8
	s_set_vgpr_msb 4                        ;  msbs: dst=0 src0=0 src1=1 src2=0
	v_mul_i32_i24_e32 v90, v161, v12 /*v268*/
	s_set_vgpr_msb 5                        ;  msbs: dst=0 src0=1 src1=1 src2=0
	v_mul_i32_i24_e32 v133, v91 /*v347*/, v13 /*v269*/
	s_set_vgpr_msb 64                       ;  msbs: dst=1 src0=0 src1=0 src2=0
	v_bfe_i32 v12 /*v268*/, v130, 16, 8
	v_ashrrev_i32_e32 v13 /*v269*/, 24, v130
	s_set_vgpr_msb 0                        ;  msbs: dst=0 src0=0 src1=0 src2=0
	v_add3_u32 v133, v91, v133, v90
	s_set_vgpr_msb 4                        ;  msbs: dst=0 src0=0 src1=1 src2=0
	v_mul_i32_i24_e32 v90, v161, v130 /*v386*/
	s_set_vgpr_msb 5                        ;  msbs: dst=0 src0=1 src1=1 src2=0
	v_mul_i32_i24_e32 v91, v91 /*v347*/, v115 /*v371*/
	s_set_vgpr_msb 1                        ;  msbs: dst=0 src0=1 src1=0 src2=0
	s_delay_alu instid0(VALU_DEP_1)
	v_add3_u32 v137, v10 /*v266*/, v91, v90
	s_set_vgpr_msb 4                        ;  msbs: dst=0 src0=0 src1=1 src2=0
	v_cvt_f32_f16_e32 v91, v93
	v_cvt_f32_f16_e32 v90, v95
	v_mul_i32_i24_e32 v93, v161, v48 /*v304*/
	s_set_vgpr_msb 5                        ;  msbs: dst=0 src0=1 src1=1 src2=0
	v_mul_i32_i24_e32 v95, v91 /*v347*/, v123 /*v379*/
	s_set_vgpr_msb 64                       ;  msbs: dst=1 src0=0 src1=0 src2=0
	v_bfe_i32 v91 /*v347*/, v125, 8, 8
	s_set_vgpr_msb 1                        ;  msbs: dst=0 src0=1 src1=0 src2=0
	v_ashrrev_i32_e32 v161, 24, v125
	v_mul_i32_i24_e32 v125, v2 /*v258*/, v250
	s_set_vgpr_msb 64                       ;  msbs: dst=1 src0=0 src1=0 src2=0
	v_bfe_i32 v10 /*v266*/, v126, 8, 8
	s_set_vgpr_msb 0                        ;  msbs: dst=0 src0=0 src1=0 src2=0
	v_add3_u32 v95, v141, v95, v93
	s_set_vgpr_msb 1                        ;  msbs: dst=0 src0=1 src1=0 src2=0
	v_mul_i32_i24_e32 v93, v1 /*v257*/, v243
	s_set_vgpr_msb 5                        ;  msbs: dst=0 src0=1 src1=1 src2=0
	v_mul_i32_i24_e32 v126, v90 /*v346*/, v151 /*v407*/
	s_set_vgpr_msb 64                       ;  msbs: dst=1 src0=0 src1=0 src2=0
	v_bfe_i32 v2 /*v258*/, v123, 16, 8
	v_bfe_i32 v1 /*v257*/, v121, 16, 8
	s_set_vgpr_msb 0                        ;  msbs: dst=0 src0=0 src1=0 src2=0
	v_pk_mul_f32 v[90:91], v[90:91], s[12:13] op_sel_hi:[1,0]
	v_add3_u32 v125, v255, v93, v125
	s_set_vgpr_msb 5                        ;  msbs: dst=0 src0=1 src1=1 src2=0
	v_mul_i32_i24_e32 v93, v87 /*v343*/, v149 /*v405*/
	s_set_vgpr_msb 0                        ;  msbs: dst=0 src0=0 src1=0 src2=0
	v_bfe_i32 v255, v121, 0, 8
	s_set_vgpr_msb 5                        ;  msbs: dst=0 src0=1 src1=1 src2=0
	s_delay_alu instid0(VALU_DEP_2) | instskip(SKIP_1) | instid1(VALU_DEP_1)
	v_mad_i32_i24 v93, v125 /*v381*/, v148 /*v404*/, v93
	s_set_vgpr_msb 0                        ;  msbs: dst=0 src0=0 src1=0 src2=0
	v_add3_u32 v126, v92, v93, v126
	s_set_vgpr_msb 1                        ;  msbs: dst=0 src0=1 src1=0 src2=0
	v_mul_i32_i24_e32 v92, v16 /*v272*/, v240
	v_mul_i32_i24_e32 v93, v23 /*v279*/, v241
	s_set_vgpr_msb 0                        ;  msbs: dst=0 src0=0 src1=0 src2=0
	s_delay_alu instid0(VALU_DEP_1) | instskip(SKIP_4) | instid1(VALU_DEP_1)
	v_add3_u32 v129, v144, v92, v93
	s_set_vgpr_msb 5                        ;  msbs: dst=0 src0=1 src1=1 src2=0
	v_mul_i32_i24_e32 v92, v16 /*v272*/, v108 /*v364*/
	v_mul_i32_i24_e32 v93, v23 /*v279*/, v118 /*v374*/
	s_set_vgpr_msb 0                        ;  msbs: dst=0 src0=0 src1=0 src2=0
	v_add3_u32 v130, v245, v92, v93
	s_set_vgpr_msb 5                        ;  msbs: dst=0 src0=1 src1=1 src2=0
	v_mul_i32_i24_e32 v92, v16 /*v272*/, v49 /*v305*/
	v_mul_i32_i24_e32 v93, v23 /*v279*/, v124 /*v380*/
	s_set_vgpr_msb 0                        ;  msbs: dst=0 src0=0 src1=0 src2=0
	v_bfe_i32 v245, v109, 0, 8
	s_delay_alu instid0(VALU_DEP_2)
	v_add3_u32 v139, v251, v92, v93
	s_set_vgpr_msb 1                        ;  msbs: dst=0 src0=1 src1=0 src2=0
	v_mul_i32_i24_e32 v92, v59 /*v315*/, v243
	s_set_vgpr_msb 5                        ;  msbs: dst=0 src0=1 src1=1 src2=0
	v_mul_i32_i24_e32 v93, v84 /*v340*/, v68 /*v324*/
	s_set_vgpr_msb 0                        ;  msbs: dst=0 src0=0 src1=0 src2=0
	v_bfe_i32 v251, v109, 16, 8
	s_set_vgpr_msb 64                       ;  msbs: dst=1 src0=0 src1=0 src2=0
	v_bfe_i32 v59 /*v315*/, v117, 16, 8
	v_bfe_i32 v84 /*v340*/, v115, 8, 8
	s_set_vgpr_msb 0                        ;  msbs: dst=0 src0=0 src1=0 src2=0
	v_add3_u32 v136, v136, v93, v92
	s_set_vgpr_msb 1                        ;  msbs: dst=0 src0=1 src1=0 src2=0
	v_mul_i32_i24_e32 v92, v89 /*v345*/, v240
	v_mul_i32_i24_e32 v93, v98 /*v354*/, v241
	s_set_vgpr_msb 0                        ;  msbs: dst=0 src0=0 src1=0 src2=0
	s_delay_alu instid0(VALU_DEP_1) | instskip(SKIP_4) | instid1(VALU_DEP_1)
	v_add3_u32 v141, v142, v92, v93
	s_set_vgpr_msb 5                        ;  msbs: dst=0 src0=1 src1=1 src2=0
	v_mul_i32_i24_e32 v92, v89 /*v345*/, v108 /*v364*/
	v_mul_i32_i24_e32 v93, v98 /*v354*/, v118 /*v374*/
	s_set_vgpr_msb 0                        ;  msbs: dst=0 src0=0 src1=0 src2=0
	v_add3_u32 v142, v242, v92, v93
	s_set_vgpr_msb 5                        ;  msbs: dst=0 src0=1 src1=1 src2=0
	v_mul_i32_i24_e32 v92, v89 /*v345*/, v49 /*v305*/
	v_mul_i32_i24_e32 v93, v98 /*v354*/, v124 /*v380*/
	s_set_vgpr_msb 0                        ;  msbs: dst=0 src0=0 src1=0 src2=0
	s_delay_alu instid0(VALU_DEP_1)
	v_add3_u32 v144, v246, v92, v93
	s_set_vgpr_msb 1                        ;  msbs: dst=0 src0=1 src1=0 src2=0
	v_mul_i32_i24_e32 v92, v18 /*v274*/, v243
	s_set_vgpr_msb 5                        ;  msbs: dst=0 src0=1 src1=1 src2=0
	v_mul_i32_i24_e32 v93, v55 /*v311*/, v68 /*v324*/
	s_set_vgpr_msb 0                        ;  msbs: dst=0 src0=0 src1=0 src2=0
	v_bfe_i32 v246, v123, 0, 8
	s_set_vgpr_msb 64                       ;  msbs: dst=1 src0=0 src1=0 src2=0
	v_ashrrev_i32_e32 v55 /*v311*/, 24, v109
	v_bfe_i32 v18 /*v274*/, v119, 16, 8
	s_set_vgpr_msb 0                        ;  msbs: dst=0 src0=0 src1=0 src2=0
	v_add3_u32 v132, v132, v93, v92
	v_mul_i32_i24_e32 v92, v147, v240
	v_mul_i32_i24_e32 v93, v157, v241
	s_delay_alu instid0(VALU_DEP_1) | instskip(SKIP_4) | instid1(VALU_DEP_1)
	v_add3_u32 v138, v138, v92, v93
	s_set_vgpr_msb 4                        ;  msbs: dst=0 src0=0 src1=1 src2=0
	v_mul_i32_i24_e32 v92, v147, v108 /*v364*/
	v_mul_i32_i24_e32 v93, v157, v118 /*v374*/
	s_set_vgpr_msb 0                        ;  msbs: dst=0 src0=0 src1=0 src2=0
	v_add3_u32 v145, v254, v92, v93
	s_set_vgpr_msb 4                        ;  msbs: dst=0 src0=0 src1=1 src2=0
	v_mul_i32_i24_e32 v92, v147, v49 /*v305*/
	v_mul_i32_i24_e32 v93, v157, v124 /*v380*/
	v_bfe_i32 v254, v121, 8, 8
	s_set_vgpr_msb 0                        ;  msbs: dst=0 src0=0 src1=0 src2=0
	v_mul_i32_i24_e32 v147, v147, v152
	s_set_vgpr_msb 1                        ;  msbs: dst=0 src0=1 src1=0 src2=0
	v_add3_u32 v242, v17 /*v273*/, v92, v93
	v_mul_i32_i24_e32 v92, v63 /*v319*/, v243
	s_set_vgpr_msb 5                        ;  msbs: dst=0 src0=1 src1=1 src2=0
	v_mul_i32_i24_e32 v93, v66 /*v322*/, v68 /*v324*/
	s_set_vgpr_msb 64                       ;  msbs: dst=1 src0=0 src1=0 src2=0
	v_ashrrev_i32_e32 v17 /*v273*/, 24, v121
	v_bfe_i32 v63 /*v319*/, v115, 16, 8
	v_bfe_i32 v66 /*v322*/, v110, 0, 8
	s_set_vgpr_msb 4                        ;  msbs: dst=0 src0=0 src1=1 src2=0
	v_mul_i32_i24_e32 v110, v226, v48 /*v304*/
	s_set_vgpr_msb 0                        ;  msbs: dst=0 src0=0 src1=0 src2=0
	v_add3_u32 v109, v120, v93, v92
	v_mul_i32_i24_e32 v92, v246, v240
	s_set_vgpr_msb 1                        ;  msbs: dst=0 src0=1 src1=0 src2=0
	v_mul_i32_i24_e32 v93, v2 /*v258*/, v241
	s_set_vgpr_msb 0                        ;  msbs: dst=0 src0=0 src1=0 src2=0
	s_delay_alu instid0(VALU_DEP_1)
	v_add3_u32 v120, v128, v92, v93
	s_set_vgpr_msb 4                        ;  msbs: dst=0 src0=0 src1=1 src2=0
	v_mul_i32_i24_e32 v92, v246, v108 /*v364*/
	s_set_vgpr_msb 5                        ;  msbs: dst=0 src0=1 src1=1 src2=0
	v_mul_i32_i24_e32 v93, v2 /*v258*/, v118 /*v374*/
	s_set_vgpr_msb 0                        ;  msbs: dst=0 src0=0 src1=0 src2=0
	s_delay_alu instid0(VALU_DEP_1)
	v_add3_u32 v121, v248, v92, v93
	s_set_vgpr_msb 4                        ;  msbs: dst=0 src0=0 src1=1 src2=0
	v_mul_i32_i24_e32 v92, v246, v49 /*v305*/
	s_set_vgpr_msb 5                        ;  msbs: dst=0 src0=1 src1=1 src2=0
	v_mul_i32_i24_e32 v93, v2 /*v258*/, v124 /*v380*/
	s_set_vgpr_msb 0                        ;  msbs: dst=0 src0=0 src1=0 src2=0
	v_bfe_i32 v248, v119, 0, 8
	s_set_vgpr_msb 1                        ;  msbs: dst=0 src0=1 src1=0 src2=0
	s_delay_alu instid0(VALU_DEP_2)
	v_add3_u32 v123, v19 /*v275*/, v92, v93
	v_mul_i32_i24_e32 v92, v86 /*v342*/, v243
	s_set_vgpr_msb 5                        ;  msbs: dst=0 src0=1 src1=1 src2=0
	v_mul_i32_i24_e32 v93, v97 /*v353*/, v68 /*v324*/
	s_set_vgpr_msb 64                       ;  msbs: dst=1 src0=0 src1=0 src2=0
	v_bfe_i32 v19 /*v275*/, v115, 0, 8
	v_bfe_i32 v86 /*v342*/, v111, 0, 8
	;; [unrolled: 1-line block ×3, first 2 shown]
	s_set_vgpr_msb 0                        ;  msbs: dst=0 src0=0 src1=0 src2=0
	v_add3_u32 v112, v112, v93, v92
	v_mul_i32_i24_e32 v92, v248, v240
	s_set_vgpr_msb 1                        ;  msbs: dst=0 src0=1 src1=0 src2=0
	v_mul_i32_i24_e32 v93, v18 /*v274*/, v241
	s_set_vgpr_msb 0                        ;  msbs: dst=0 src0=0 src1=0 src2=0
	s_delay_alu instid0(VALU_DEP_1)
	v_add3_u32 v119, v122, v92, v93
	s_set_vgpr_msb 4                        ;  msbs: dst=0 src0=0 src1=1 src2=0
	v_mul_i32_i24_e32 v92, v248, v108 /*v364*/
	s_set_vgpr_msb 5                        ;  msbs: dst=0 src0=1 src1=1 src2=0
	v_mul_i32_i24_e32 v93, v18 /*v274*/, v118 /*v374*/
	s_set_vgpr_msb 1                        ;  msbs: dst=0 src0=1 src1=0 src2=0
	s_delay_alu instid0(VALU_DEP_1)
	v_add3_u32 v122, v3 /*v259*/, v92, v93
	s_set_vgpr_msb 4                        ;  msbs: dst=0 src0=0 src1=1 src2=0
	v_mul_i32_i24_e32 v92, v248, v49 /*v305*/
	s_set_vgpr_msb 5                        ;  msbs: dst=0 src0=1 src1=1 src2=0
	v_mul_i32_i24_e32 v93, v18 /*v274*/, v124 /*v380*/
	s_set_vgpr_msb 64                       ;  msbs: dst=1 src0=0 src1=0 src2=0
	v_ashrrev_i32_e32 v3 /*v259*/, 24, v115
	s_set_vgpr_msb 1                        ;  msbs: dst=0 src0=1 src1=0 src2=0
	s_delay_alu instid0(VALU_DEP_2)
	v_add3_u32 v128, v54 /*v310*/, v92, v93
	s_set_vgpr_msb 64                       ;  msbs: dst=1 src0=0 src1=0 src2=0
	v_bfe_i32 v54 /*v310*/, v117, 0, 8
	s_set_vgpr_msb 1                        ;  msbs: dst=0 src0=1 src1=0 src2=0
	v_mul_i32_i24_e32 v92, v96 /*v352*/, v243
	s_set_vgpr_msb 5                        ;  msbs: dst=0 src0=1 src1=1 src2=0
	v_mul_i32_i24_e32 v93, v100 /*v356*/, v68 /*v324*/
	s_set_vgpr_msb 64                       ;  msbs: dst=1 src0=0 src1=0 src2=0
	v_bfe_i32 v96 /*v352*/, v111, 16, 8
	s_set_vgpr_msb 20                       ;  msbs: dst=0 src0=0 src1=1 src2=1
	v_add3_u32 v111, v127, v33 /*v289*/, v32 /*v288*/
	s_set_vgpr_msb 1                        ;  msbs: dst=0 src0=1 src1=0 src2=0
	v_mul_i32_i24_e32 v127, v92 /*v348*/, v241
	s_set_vgpr_msb 64                       ;  msbs: dst=1 src0=0 src1=0 src2=0
	v_bfe_i32 v100 /*v356*/, v113, 8, 8
	s_set_vgpr_msb 0                        ;  msbs: dst=0 src0=0 src1=0 src2=0
	v_add3_u32 v104, v104, v93, v92
	s_set_vgpr_msb 1                        ;  msbs: dst=0 src0=1 src1=0 src2=0
	v_mul_i32_i24_e32 v92, v54 /*v310*/, v240
	v_mul_i32_i24_e32 v93, v59 /*v315*/, v241
	s_set_vgpr_msb 0                        ;  msbs: dst=0 src0=0 src1=0 src2=0
	s_delay_alu instid0(VALU_DEP_1) | instskip(SKIP_4) | instid1(VALU_DEP_1)
	v_add3_u32 v115, v118, v92, v93
	s_set_vgpr_msb 5                        ;  msbs: dst=0 src0=1 src1=1 src2=0
	v_mul_i32_i24_e32 v92, v54 /*v310*/, v108 /*v364*/
	v_mul_i32_i24_e32 v93, v59 /*v315*/, v118 /*v374*/
	s_set_vgpr_msb 1                        ;  msbs: dst=0 src0=1 src1=0 src2=0
	v_add3_u32 v117, v9 /*v265*/, v92, v93
	s_set_vgpr_msb 5                        ;  msbs: dst=0 src0=1 src1=1 src2=0
	v_mul_i32_i24_e32 v92, v54 /*v310*/, v49 /*v305*/
	v_mul_i32_i24_e32 v93, v59 /*v315*/, v124 /*v380*/
	s_set_vgpr_msb 64                       ;  msbs: dst=1 src0=0 src1=0 src2=0
	v_bfe_i32 v9 /*v265*/, v103, 0, 8
	s_set_vgpr_msb 1                        ;  msbs: dst=0 src0=1 src1=0 src2=0
	s_delay_alu instid0(VALU_DEP_2)
	v_add3_u32 v118, v57 /*v313*/, v92, v93
	v_mul_i32_i24_e32 v92, v105 /*v361*/, v243
	s_set_vgpr_msb 5                        ;  msbs: dst=0 src0=1 src1=1 src2=0
	v_mul_i32_i24_e32 v93, v111 /*v367*/, v68 /*v324*/
	s_set_vgpr_msb 64                       ;  msbs: dst=1 src0=0 src1=0 src2=0
	v_ashrrev_i32_e32 v111 /*v367*/, 24, v113
	s_set_vgpr_msb 0                        ;  msbs: dst=0 src0=0 src1=0 src2=0
	v_bfe_i32 v243, v107, 0, 8
	s_set_vgpr_msb 64                       ;  msbs: dst=1 src0=0 src1=0 src2=0
	v_bfe_i32 v105 /*v361*/, v113, 16, 8
	s_set_vgpr_msb 0                        ;  msbs: dst=0 src0=0 src1=0 src2=0
	v_add3_u32 v116, v116, v93, v92
	s_set_vgpr_msb 4                        ;  msbs: dst=0 src0=0 src1=1 src2=0
	v_mul_i32_i24_e32 v93, v226, v130 /*v386*/
	s_set_vgpr_msb 64                       ;  msbs: dst=1 src0=0 src1=0 src2=0
	v_bfe_i32 v130 /*v386*/, v108, 8, 8
	s_set_vgpr_msb 4                        ;  msbs: dst=0 src0=0 src1=1 src2=0
	v_mul_i32_i24_e32 v108, v227, v49 /*v305*/
	v_mul_i32_i24_e32 v92, v227, v108 /*v364*/
	s_set_vgpr_msb 0                        ;  msbs: dst=0 src0=0 src1=0 src2=0
	v_add3_u32 v98, v116, v101, v98
	s_set_vgpr_msb 4                        ;  msbs: dst=0 src0=0 src1=1 src2=0
	v_mul_i32_i24_e32 v101, v221, v123 /*v379*/
	s_set_vgpr_msb 1                        ;  msbs: dst=0 src0=1 src1=0 src2=0
	v_mul_i32_i24_e32 v116, v140 /*v396*/, v146
	s_set_vgpr_msb 0                        ;  msbs: dst=0 src0=0 src1=0 src2=0
	v_add3_u32 v108, v131, v110, v108
	s_set_vgpr_msb 1                        ;  msbs: dst=0 src0=1 src1=0 src2=0
	v_mul_i32_i24_e32 v110, v95 /*v351*/, v240
	v_ashrrev_i32_e32 v240, 24, v107
	s_set_vgpr_msb 5                        ;  msbs: dst=0 src0=1 src1=1 src2=0
	v_mul_i32_i24_e32 v107, v95 /*v351*/, v108 /*v364*/
	v_mul_i32_i24_e32 v131, v92 /*v348*/, v124 /*v380*/
	s_set_vgpr_msb 0                        ;  msbs: dst=0 src0=0 src1=0 src2=0
	v_add3_u32 v113, v135, v93, v92
	v_add3_u32 v110, v133, v110, v127
	s_set_vgpr_msb 5                        ;  msbs: dst=0 src0=1 src1=1 src2=0
	v_mul_i32_i24_e32 v127, v92 /*v348*/, v118 /*v374*/
	s_set_vgpr_msb 64                       ;  msbs: dst=1 src0=0 src1=0 src2=0
	v_bfe_i32 v92 /*v348*/, v105, 8, 8
	s_set_vgpr_msb 1                        ;  msbs: dst=0 src0=1 src1=0 src2=0
	v_cvt_f32_f16_e64 v93, v14 /*v270*/
	s_set_vgpr_msb 64                       ;  msbs: dst=1 src0=0 src1=0 src2=0
	v_ashrrev_i32_e32 v14 /*v270*/, 24, v103
	s_set_vgpr_msb 1                        ;  msbs: dst=0 src0=1 src1=0 src2=0
	v_cvt_f32_f16_e64 v92, v15 /*v271*/
	s_set_vgpr_msb 0                        ;  msbs: dst=0 src0=0 src1=0 src2=0
	v_add3_u32 v127, v137, v107, v127
	s_set_vgpr_msb 5                        ;  msbs: dst=0 src0=1 src1=1 src2=0
	v_mul_i32_i24_e32 v107, v95 /*v351*/, v49 /*v305*/
	s_set_vgpr_msb 64                       ;  msbs: dst=1 src0=0 src1=0 src2=0
	v_bfe_i32 v95 /*v351*/, v105, 0, 8
	s_set_vgpr_msb 0x45                     ;  msbs: dst=1 src0=1 src1=1 src2=0
	v_mul_i32_i24_e32 v15 /*v271*/, v35 /*v291*/, v26 /*v282*/
	s_set_vgpr_msb 0                        ;  msbs: dst=0 src0=0 src1=0 src2=0
	v_pk_mul_f32 v[92:93], v[92:93], s[12:13] op_sel_hi:[1,0]
	v_add3_u32 v131, v95, v107, v131
	s_set_vgpr_msb 4                        ;  msbs: dst=0 src0=0 src1=1 src2=0
	v_mul_i32_i24_e32 v95, v237, v68 /*v324*/
	v_mul_i32_i24_e32 v107, v214, v124 /*v380*/
	;; [unrolled: 1-line block ×3, first 2 shown]
	s_set_vgpr_msb 0                        ;  msbs: dst=0 src0=0 src1=0 src2=0
	s_delay_alu instid0(VALU_DEP_3) | instskip(SKIP_4) | instid1(VALU_DEP_1)
	v_add3_u32 v105, v125, v97, v95
	s_set_vgpr_msb 5                        ;  msbs: dst=0 src0=1 src1=1 src2=0
	v_mul_i32_i24_e32 v95, v61 /*v317*/, v93 /*v349*/
	v_mul_i32_i24_e32 v97, v62 /*v318*/, v110 /*v366*/
	s_set_vgpr_msb 0                        ;  msbs: dst=0 src0=0 src1=0 src2=0
	v_add3_u32 v125, v126, v95, v97
	s_set_vgpr_msb 1                        ;  msbs: dst=0 src0=1 src1=0 src2=0
	v_mul_i32_i24_e32 v95, v5 /*v261*/, v229
	v_mul_i32_i24_e32 v97, v37 /*v293*/, v230
	s_set_vgpr_msb 0                        ;  msbs: dst=0 src0=0 src1=0 src2=0
	s_delay_alu instid0(VALU_DEP_1) | instskip(SKIP_4) | instid1(VALU_DEP_1)
	v_add3_u32 v126, v129, v97, v95
	s_set_vgpr_msb 5                        ;  msbs: dst=0 src0=1 src1=1 src2=0
	v_mul_i32_i24_e32 v95, v5 /*v261*/, v103 /*v359*/
	v_mul_i32_i24_e32 v97, v37 /*v293*/, v113 /*v369*/
	s_set_vgpr_msb 0                        ;  msbs: dst=0 src0=0 src1=0 src2=0
	v_add3_u32 v129, v130, v97, v95
	s_set_vgpr_msb 5                        ;  msbs: dst=0 src0=1 src1=1 src2=0
	v_mul_i32_i24_e32 v95, v5 /*v261*/, v119 /*v375*/
	v_mul_i32_i24_e32 v97, v37 /*v293*/, v72 /*v328*/
	s_set_vgpr_msb 0x41                     ;  msbs: dst=1 src0=1 src1=0 src2=0
	v_mul_i32_i24_e32 v5 /*v261*/, v5 /*v261*/, v236
	s_set_vgpr_msb 0                        ;  msbs: dst=0 src0=0 src1=0 src2=0
	s_delay_alu instid0(VALU_DEP_2)
	v_add3_u32 v130, v139, v97, v95
	v_mul_i32_i24_e32 v95, v140, v239
	s_set_vgpr_msb 1                        ;  msbs: dst=0 src0=1 src1=0 src2=0
	v_mul_i32_i24_e32 v97, v126 /*v382*/, v250
	s_set_vgpr_msb 64                       ;  msbs: dst=1 src0=0 src1=0 src2=0
	v_bfe_i32 v126 /*v382*/, v103, 16, 8
	s_set_vgpr_msb 4                        ;  msbs: dst=0 src0=0 src1=1 src2=0
	v_mul_i32_i24_e32 v103, v211, v43 /*v299*/
	s_set_vgpr_msb 0                        ;  msbs: dst=0 src0=0 src1=0 src2=0
	v_add3_u32 v133, v136, v97, v95
	s_set_vgpr_msb 1                        ;  msbs: dst=0 src0=1 src1=0 src2=0
	v_mul_i32_i24_e32 v95, v80 /*v336*/, v229
	v_mul_i32_i24_e32 v97, v101 /*v357*/, v230
	s_set_vgpr_msb 0                        ;  msbs: dst=0 src0=0 src1=0 src2=0
	s_delay_alu instid0(VALU_DEP_1)
	v_add3_u32 v135, v141, v97, v95
	s_set_vgpr_msb 5                        ;  msbs: dst=0 src0=1 src1=1 src2=0
	v_mul_i32_i24_e32 v95, v80 /*v336*/, v103 /*v359*/
	v_mul_i32_i24_e32 v97, v101 /*v357*/, v113 /*v369*/
	s_set_vgpr_msb 4                        ;  msbs: dst=0 src0=0 src1=1 src2=0
	v_mul_i32_i24_e32 v141, v205, v106 /*v362*/
	s_set_vgpr_msb 0                        ;  msbs: dst=0 src0=0 src1=0 src2=0
	s_delay_alu instid0(VALU_DEP_2)
	v_add3_u32 v136, v142, v97, v95
	s_set_vgpr_msb 5                        ;  msbs: dst=0 src0=1 src1=1 src2=0
	v_mul_i32_i24_e32 v95, v80 /*v336*/, v119 /*v375*/
	v_mul_i32_i24_e32 v97, v101 /*v357*/, v72 /*v328*/
	s_set_vgpr_msb 4                        ;  msbs: dst=0 src0=0 src1=1 src2=0
	v_mul_i32_i24_e32 v142, v215, v103 /*v359*/
	s_set_vgpr_msb 0                        ;  msbs: dst=0 src0=0 src1=0 src2=0
	s_delay_alu instid0(VALU_DEP_2)
	v_add3_u32 v137, v144, v97, v95
	v_mul_i32_i24_e32 v95, v134, v239
	v_mul_i32_i24_e32 v97, v252, v250
	v_add3_u32 v144, v111, v233, v232
	s_set_vgpr_msb 4                        ;  msbs: dst=0 src0=0 src1=1 src2=0
	v_mul_i32_i24_e32 v111, v226, v60 /*v316*/
	s_set_vgpr_msb 0                        ;  msbs: dst=0 src0=0 src1=0 src2=0
	v_mul_i32_i24_e32 v232, v216, v148
	s_set_vgpr_msb 4                        ;  msbs: dst=0 src0=0 src1=1 src2=0
	v_mul_i32_i24_e32 v233, v205, v120 /*v376*/
	s_set_vgpr_msb 0                        ;  msbs: dst=0 src0=0 src1=0 src2=0
	v_add3_u32 v132, v132, v97, v95
	s_set_vgpr_msb 1                        ;  msbs: dst=0 src0=1 src1=0 src2=0
	v_mul_i32_i24_e32 v95, v129 /*v385*/, v229
	s_set_vgpr_msb 0                        ;  msbs: dst=0 src0=0 src1=0 src2=0
	v_mul_i32_i24_e32 v97, v161, v230
	v_add3_u32 v224, v144, v225, v224
	s_set_vgpr_msb 4                        ;  msbs: dst=0 src0=0 src1=1 src2=0
	v_mul_i32_i24_e32 v144, v153, v122 /*v378*/
	s_set_vgpr_msb 5                        ;  msbs: dst=0 src0=1 src1=1 src2=0
	v_mul_i32_i24_e32 v252, v35 /*v291*/, v117 /*v373*/
	s_set_vgpr_msb 0                        ;  msbs: dst=0 src0=0 src1=0 src2=0
	v_add3_u32 v134, v138, v97, v95
	s_set_vgpr_msb 5                        ;  msbs: dst=0 src0=1 src1=1 src2=0
	v_mul_i32_i24_e32 v95, v129 /*v385*/, v103 /*v359*/
	s_set_vgpr_msb 4                        ;  msbs: dst=0 src0=0 src1=1 src2=0
	v_mul_i32_i24_e32 v97, v161, v113 /*v369*/
	s_set_vgpr_msb 0                        ;  msbs: dst=0 src0=0 src1=0 src2=0
	s_delay_alu instid0(VALU_DEP_1)
	v_add3_u32 v138, v145, v97, v95
	s_set_vgpr_msb 5                        ;  msbs: dst=0 src0=1 src1=1 src2=0
	v_mul_i32_i24_e32 v95, v129 /*v385*/, v119 /*v375*/
	s_set_vgpr_msb 4                        ;  msbs: dst=0 src0=0 src1=1 src2=0
	v_mul_i32_i24_e32 v97, v161, v72 /*v328*/
	s_set_vgpr_msb 0                        ;  msbs: dst=0 src0=0 src1=0 src2=0
	v_mul_i32_i24_e32 v161, v161, v235
	s_delay_alu instid0(VALU_DEP_2)
	v_add3_u32 v139, v242, v97, v95
	v_mul_i32_i24_e32 v95, v124, v239
	v_mul_i32_i24_e32 v97, v253, v250
	s_set_vgpr_msb 4                        ;  msbs: dst=0 src0=0 src1=1 src2=0
	v_mul_i32_i24_e32 v253, v218, v27 /*v283*/
	s_set_vgpr_msb 0                        ;  msbs: dst=0 src0=0 src1=0 src2=0
	s_delay_alu instid0(VALU_DEP_2) | instskip(SKIP_4) | instid1(VALU_DEP_1)
	v_add3_u32 v109, v109, v97, v95
	s_set_vgpr_msb 1                        ;  msbs: dst=0 src0=1 src1=0 src2=0
	v_mul_i32_i24_e32 v95, v19 /*v275*/, v229
	v_mul_i32_i24_e32 v97, v3 /*v259*/, v230
	s_set_vgpr_msb 0                        ;  msbs: dst=0 src0=0 src1=0 src2=0
	v_add3_u32 v120, v120, v97, v95
	s_set_vgpr_msb 5                        ;  msbs: dst=0 src0=1 src1=1 src2=0
	v_mul_i32_i24_e32 v95, v19 /*v275*/, v103 /*v359*/
	v_mul_i32_i24_e32 v97, v3 /*v259*/, v113 /*v369*/
	s_set_vgpr_msb 0                        ;  msbs: dst=0 src0=0 src1=0 src2=0
	s_delay_alu instid0(VALU_DEP_1) | instskip(SKIP_4) | instid1(VALU_DEP_1)
	v_add3_u32 v121, v121, v97, v95
	s_set_vgpr_msb 5                        ;  msbs: dst=0 src0=1 src1=1 src2=0
	v_mul_i32_i24_e32 v95, v19 /*v275*/, v119 /*v375*/
	v_mul_i32_i24_e32 v97, v3 /*v259*/, v72 /*v328*/
	s_set_vgpr_msb 0                        ;  msbs: dst=0 src0=0 src1=0 src2=0
	v_add3_u32 v123, v123, v97, v95
	v_mul_i32_i24_e32 v95, v114, v239
	s_set_vgpr_msb 1                        ;  msbs: dst=0 src0=1 src1=0 src2=0
	v_mul_i32_i24_e32 v97, v67 /*v323*/, v250
	s_set_vgpr_msb 0                        ;  msbs: dst=0 src0=0 src1=0 src2=0
	s_delay_alu instid0(VALU_DEP_1) | instskip(SKIP_2) | instid1(VALU_DEP_1)
	v_add3_u32 v112, v112, v97, v95
	v_mul_i32_i24_e32 v95, v243, v229
	v_mul_i32_i24_e32 v97, v240, v230
	v_add3_u32 v114, v119, v97, v95
	s_set_vgpr_msb 4                        ;  msbs: dst=0 src0=0 src1=1 src2=0
	v_mul_i32_i24_e32 v95, v243, v103 /*v359*/
	v_mul_i32_i24_e32 v97, v240, v113 /*v369*/
	s_set_vgpr_msb 0                        ;  msbs: dst=0 src0=0 src1=0 src2=0
	s_delay_alu instid0(VALU_DEP_1)
	v_add3_u32 v119, v122, v97, v95
	s_set_vgpr_msb 4                        ;  msbs: dst=0 src0=0 src1=1 src2=0
	v_mul_i32_i24_e32 v95, v243, v119 /*v375*/
	v_mul_i32_i24_e32 v97, v240, v72 /*v328*/
	s_set_vgpr_msb 5                        ;  msbs: dst=0 src0=1 src1=1 src2=0
	v_mul_i32_i24_e32 v122, v84 /*v340*/, v106 /*v362*/
	s_set_vgpr_msb 0                        ;  msbs: dst=0 src0=0 src1=0 src2=0
	s_delay_alu instid0(VALU_DEP_2)
	v_add3_u32 v124, v128, v97, v95
	v_mul_i32_i24_e32 v95, v106, v239
	s_set_vgpr_msb 1                        ;  msbs: dst=0 src0=1 src1=0 src2=0
	v_mul_i32_i24_e32 v97, v69 /*v325*/, v250
	s_set_vgpr_msb 4                        ;  msbs: dst=0 src0=0 src1=1 src2=0
	v_mul_i32_i24_e32 v106, v214, v118 /*v374*/
	s_set_vgpr_msb 0                        ;  msbs: dst=0 src0=0 src1=0 src2=0
	v_mul_i32_i24_e32 v250, v218, v100
	v_add3_u32 v128, v104, v97, v95
	s_set_vgpr_msb 4                        ;  msbs: dst=0 src0=0 src1=1 src2=0
	v_mul_i32_i24_e32 v104, v221, v115 /*v371*/
	s_set_vgpr_msb 1                        ;  msbs: dst=0 src0=1 src1=0 src2=0
	v_mul_i32_i24_e32 v95, v9 /*v265*/, v229
	v_mul_i32_i24_e32 v97, v14 /*v270*/, v230
	s_set_vgpr_msb 0                        ;  msbs: dst=0 src0=0 src1=0 src2=0
	v_add3_u32 v145, v113, v106, v104
	v_mul_i32_i24_e32 v104, v238, v229
	v_mul_i32_i24_e32 v106, v162, v230
	v_add3_u32 v229, v108, v107, v101
	s_set_vgpr_msb 4                        ;  msbs: dst=0 src0=0 src1=1 src2=0
	v_mul_i32_i24_e32 v101, v238, v103 /*v359*/
	s_set_vgpr_msb 0                        ;  msbs: dst=0 src0=0 src1=0 src2=0
	v_add3_u32 v115, v115, v97, v95
	s_set_vgpr_msb 5                        ;  msbs: dst=0 src0=1 src1=1 src2=0
	v_mul_i32_i24_e32 v95, v9 /*v265*/, v103 /*v359*/
	s_set_vgpr_msb 0                        ;  msbs: dst=0 src0=0 src1=0 src2=0
	v_add3_u32 v230, v110, v106, v104
	s_set_vgpr_msb 4                        ;  msbs: dst=0 src0=0 src1=1 src2=0
	v_mul_i32_i24_e32 v104, v162, v113 /*v369*/
	v_mul_i32_i24_e32 v106, v238, v119 /*v375*/
	;; [unrolled: 1-line block ×3, first 2 shown]
	s_set_vgpr_msb 5                        ;  msbs: dst=0 src0=1 src1=1 src2=0
	v_mul_i32_i24_e32 v97, v14 /*v270*/, v113 /*v369*/
	s_set_vgpr_msb 0                        ;  msbs: dst=0 src0=0 src1=0 src2=0
	v_add3_u32 v225, v145, v142, v141
	v_add3_u32 v238, v127, v104, v101
	v_mul_i32_i24_e32 v101, v227, v152
	s_set_vgpr_msb 5                        ;  msbs: dst=0 src0=1 src1=1 src2=0
	v_mul_i32_i24_e32 v104, v73 /*v329*/, v109 /*v365*/
	s_set_vgpr_msb 0                        ;  msbs: dst=0 src0=0 src1=0 src2=0
	v_add3_u32 v227, v131, v110, v106
	s_set_vgpr_msb 4                        ;  msbs: dst=0 src0=0 src1=1 src2=0
	v_mul_i32_i24_e32 v106, v154, v133 /*v389*/
	s_set_vgpr_msb 1                        ;  msbs: dst=0 src0=1 src1=0 src2=0
	v_mul_i32_i24_e32 v110, v29 /*v285*/, v223
	s_set_vgpr_msb 0                        ;  msbs: dst=0 src0=0 src1=0 src2=0
	v_add3_u32 v226, v105, v111, v101
	s_set_vgpr_msb 1                        ;  msbs: dst=0 src0=1 src1=0 src2=0
	v_mul_i32_i24_e32 v101, v11 /*v267*/, v222
	s_set_vgpr_msb 5                        ;  msbs: dst=0 src0=1 src1=1 src2=0
	v_mul_i32_i24_e32 v105, v29 /*v285*/, v106 /*v362*/
	s_set_vgpr_msb 0                        ;  msbs: dst=0 src0=0 src1=0 src2=0
	v_add3_u32 v131, v125, v104, v106
	s_set_vgpr_msb 1                        ;  msbs: dst=0 src0=1 src1=0 src2=0
	v_mul_i32_i24_e32 v104, v11 /*v267*/, v148
	v_mul_i32_i24_e32 v106, v11 /*v267*/, v146
	s_set_vgpr_msb 0                        ;  msbs: dst=0 src0=0 src1=0 src2=0
	v_add3_u32 v239, v126, v110, v101
	s_set_vgpr_msb 5                        ;  msbs: dst=0 src0=1 src1=1 src2=0
	v_mul_i32_i24_e32 v101, v29 /*v285*/, v120 /*v376*/
	v_mul_i32_i24_e32 v110, v22 /*v278*/, v60 /*v316*/
	s_set_vgpr_msb 0                        ;  msbs: dst=0 src0=0 src1=0 src2=0
	v_add3_u32 v241, v129, v105, v104
	v_mul_i32_i24_e32 v104, v143, v228
	s_set_vgpr_msb 1                        ;  msbs: dst=0 src0=1 src1=0 src2=0
	v_mul_i32_i24_e32 v105, v4 /*v260*/, v223
	s_set_vgpr_msb 0                        ;  msbs: dst=0 src0=0 src1=0 src2=0
	v_add3_u32 v242, v130, v101, v106
	s_set_vgpr_msb 1                        ;  msbs: dst=0 src0=1 src1=0 src2=0
	v_mul_i32_i24_e32 v101, v81 /*v337*/, v222
	s_set_vgpr_msb 5                        ;  msbs: dst=0 src0=1 src1=1 src2=0
	v_mul_i32_i24_e32 v106, v4 /*v260*/, v106 /*v362*/
	s_set_vgpr_msb 64                       ;  msbs: dst=1 src0=0 src1=0 src2=0
	v_add3_u32 v22 /*v278*/, v133, v104, v110
	s_set_vgpr_msb 1                        ;  msbs: dst=0 src0=1 src1=0 src2=0
	v_mul_i32_i24_e32 v104, v81 /*v337*/, v148
	s_set_vgpr_msb 5                        ;  msbs: dst=0 src0=1 src1=1 src2=0
	v_mul_i32_i24_e32 v110, v91 /*v347*/, v106 /*v362*/
	s_set_vgpr_msb 64                       ;  msbs: dst=1 src0=0 src1=0 src2=0
	v_add3_u32 v32 /*v288*/, v135, v105, v101
	s_set_vgpr_msb 5                        ;  msbs: dst=0 src0=1 src1=1 src2=0
	v_mul_i32_i24_e32 v101, v4 /*v260*/, v120 /*v376*/
	s_set_vgpr_msb 1                        ;  msbs: dst=0 src0=1 src1=0 src2=0
	v_mul_i32_i24_e32 v105, v81 /*v337*/, v146
	s_set_vgpr_msb 64                       ;  msbs: dst=1 src0=0 src1=0 src2=0
	v_add3_u32 v33 /*v289*/, v136, v106, v104
	s_set_vgpr_msb 1                        ;  msbs: dst=0 src0=1 src1=0 src2=0
	v_mul_i32_i24_e32 v104, v64 /*v320*/, v228
	v_mul_i32_i24_e32 v106, v91 /*v347*/, v223
	s_set_vgpr_msb 0                        ;  msbs: dst=0 src0=0 src1=0 src2=0
	v_add3_u32 v140, v117, v97, v95
	s_set_vgpr_msb 64                       ;  msbs: dst=1 src0=0 src1=0 src2=0
	v_add3_u32 v48 /*v304*/, v137, v101, v105
	s_set_vgpr_msb 1                        ;  msbs: dst=0 src0=1 src1=0 src2=0
	v_mul_i32_i24_e32 v101, v140 /*v396*/, v222
	s_set_vgpr_msb 5                        ;  msbs: dst=0 src0=1 src1=1 src2=0
	v_mul_i32_i24_e32 v105, v58 /*v314*/, v60 /*v316*/
	v_mul_i32_i24_e32 v95, v9 /*v265*/, v119 /*v375*/
	;; [unrolled: 1-line block ×3, first 2 shown]
	s_set_vgpr_msb 4                        ;  msbs: dst=0 src0=0 src1=1 src2=0
	v_mul_i32_i24_e32 v141, v159, v106 /*v362*/
	s_set_vgpr_msb 64                       ;  msbs: dst=1 src0=0 src1=0 src2=0
	v_add3_u32 v57 /*v313*/, v134, v106, v101
	v_add3_u32 v49 /*v305*/, v132, v104, v105
	s_set_vgpr_msb 1                        ;  msbs: dst=0 src0=1 src1=0 src2=0
	v_mul_i32_i24_e32 v104, v140 /*v396*/, v148
	s_set_vgpr_msb 5                        ;  msbs: dst=0 src0=1 src1=1 src2=0
	v_mul_i32_i24_e32 v101, v91 /*v347*/, v120 /*v376*/
	s_set_vgpr_msb 0                        ;  msbs: dst=0 src0=0 src1=0 src2=0
	v_add3_u32 v118, v118, v97, v95
	v_mul_i32_i24_e32 v134, v159, v223
	s_set_vgpr_msb 4                        ;  msbs: dst=0 src0=0 src1=1 src2=0
	v_mul_i32_i24_e32 v142, v159, v120 /*v376*/
	s_set_vgpr_msb 64                       ;  msbs: dst=1 src0=0 src1=0 src2=0
	v_add3_u32 v58 /*v314*/, v138, v110, v104
	s_set_vgpr_msb 1                        ;  msbs: dst=0 src0=1 src1=0 src2=0
	v_mul_i32_i24_e32 v104, v65 /*v321*/, v228
	v_mul_i32_i24_e32 v110, v84 /*v340*/, v223
	s_set_vgpr_msb 64                       ;  msbs: dst=1 src0=0 src1=0 src2=0
	v_add3_u32 v64 /*v320*/, v139, v101, v116
	s_set_vgpr_msb 1                        ;  msbs: dst=0 src0=1 src1=0 src2=0
	v_mul_i32_i24_e32 v116, v63 /*v319*/, v222
	s_set_vgpr_msb 4                        ;  msbs: dst=0 src0=0 src1=1 src2=0
	v_mul_i32_i24_e32 v101, v247, v60 /*v316*/
	s_set_vgpr_msb 0                        ;  msbs: dst=0 src0=0 src1=0 src2=0
	v_mul_i32_i24_e32 v159, v160, v222
	v_mul_i32_i24_e32 v162, v216, v146
	s_set_vgpr_msb 4                        ;  msbs: dst=0 src0=0 src1=1 src2=0
	v_mul_i32_i24_e32 v135, v153, v45 /*v301*/
	s_set_vgpr_msb 64                       ;  msbs: dst=1 src0=0 src1=0 src2=0
	v_add3_u32 v65 /*v321*/, v120, v110, v116
	s_set_vgpr_msb 0                        ;  msbs: dst=0 src0=0 src1=0 src2=0
	v_add3_u32 v247, v109, v104, v101
	s_set_vgpr_msb 1                        ;  msbs: dst=0 src0=1 src1=0 src2=0
	v_mul_i32_i24_e32 v104, v63 /*v319*/, v148
	s_set_vgpr_msb 5                        ;  msbs: dst=0 src0=1 src1=1 src2=0
	v_mul_i32_i24_e32 v109, v84 /*v340*/, v120 /*v376*/
	s_set_vgpr_msb 1                        ;  msbs: dst=0 src0=1 src1=0 src2=0
	v_mul_i32_i24_e32 v110, v63 /*v319*/, v146
	v_mul_i32_i24_e32 v116, v53 /*v309*/, v228
	s_set_vgpr_msb 5                        ;  msbs: dst=0 src0=1 src1=1 src2=0
	v_mul_i32_i24_e32 v120, v21 /*v277*/, v60 /*v316*/
	s_set_vgpr_msb 64                       ;  msbs: dst=1 src0=0 src1=0 src2=0
	v_add3_u32 v67 /*v323*/, v121, v122, v104
	s_set_vgpr_msb 1                        ;  msbs: dst=0 src0=1 src1=0 src2=0
	v_mul_i32_i24_e32 v121, v158 /*v414*/, v223
	s_set_vgpr_msb 64                       ;  msbs: dst=1 src0=0 src1=0 src2=0
	v_add3_u32 v53 /*v309*/, v123, v109, v110
	s_set_vgpr_msb 1                        ;  msbs: dst=0 src0=1 src1=0 src2=0
	v_mul_i32_i24_e32 v109, v159 /*v415*/, v222
	s_set_vgpr_msb 5                        ;  msbs: dst=0 src0=1 src1=1 src2=0
	v_mul_i32_i24_e32 v110, v158 /*v414*/, v106 /*v362*/
	s_set_vgpr_msb 64                       ;  msbs: dst=1 src0=0 src1=0 src2=0
	v_add3_u32 v21 /*v277*/, v112, v116, v120
	s_set_vgpr_msb 1                        ;  msbs: dst=0 src0=1 src1=0 src2=0
	v_mul_i32_i24_e32 v112, v159 /*v415*/, v148
	s_set_vgpr_msb 5                        ;  msbs: dst=0 src0=1 src1=1 src2=0
	v_mul_i32_i24_e32 v116, v20 /*v276*/, v60 /*v316*/
	s_set_vgpr_msb 64                       ;  msbs: dst=1 src0=0 src1=0 src2=0
	v_add3_u32 v68 /*v324*/, v114, v121, v109
	s_set_vgpr_msb 5                        ;  msbs: dst=0 src0=1 src1=1 src2=0
	v_mul_i32_i24_e32 v109, v158 /*v414*/, v120 /*v376*/
	s_set_vgpr_msb 1                        ;  msbs: dst=0 src0=1 src1=0 src2=0
	v_mul_i32_i24_e32 v114, v159 /*v415*/, v146
	s_set_vgpr_msb 64                       ;  msbs: dst=1 src0=0 src1=0 src2=0
	v_add3_u32 v69 /*v325*/, v119, v110, v112
	s_set_vgpr_msb 1                        ;  msbs: dst=0 src0=1 src1=0 src2=0
	v_mul_i32_i24_e32 v110, v34 /*v290*/, v228
	v_mul_i32_i24_e32 v112, v167 /*v423*/, v223
	s_set_vgpr_msb 4                        ;  msbs: dst=0 src0=0 src1=1 src2=0
	v_mul_i32_i24_e32 v104, v154, v44 /*v300*/
	s_set_vgpr_msb 64                       ;  msbs: dst=1 src0=0 src1=0 src2=0
	v_add3_u32 v34 /*v290*/, v124, v109, v114
	s_set_vgpr_msb 1                        ;  msbs: dst=0 src0=1 src1=0 src2=0
	v_mul_i32_i24_e32 v109, v126 /*v382*/, v222
	s_set_vgpr_msb 5                        ;  msbs: dst=0 src0=1 src1=1 src2=0
	v_mul_i32_i24_e32 v114, v167 /*v423*/, v106 /*v362*/
	s_set_vgpr_msb 64                       ;  msbs: dst=1 src0=0 src1=0 src2=0
	v_add3_u32 v20 /*v276*/, v128, v110, v116
	s_set_vgpr_msb 1                        ;  msbs: dst=0 src0=1 src1=0 src2=0
	v_mul_i32_i24_e32 v110, v126 /*v382*/, v148
	s_set_vgpr_msb 5                        ;  msbs: dst=0 src0=1 src1=1 src2=0
	v_mul_i32_i24_e32 v116, v167 /*v423*/, v120 /*v376*/
	s_set_vgpr_msb 64                       ;  msbs: dst=1 src0=0 src1=0 src2=0
	v_add3_u32 v72 /*v328*/, v115, v112, v109
	s_set_vgpr_msb 1                        ;  msbs: dst=0 src0=1 src1=0 src2=0
	v_mul_i32_i24_e32 v109, v126 /*v382*/, v146
	s_set_vgpr_msb 0                        ;  msbs: dst=0 src0=0 src1=0 src2=0
	v_mul_i32_i24_e32 v148, v160, v148
	s_set_vgpr_msb 64                       ;  msbs: dst=1 src0=0 src1=0 src2=0
	v_add3_u32 v74 /*v330*/, v140, v114, v110
	s_set_vgpr_msb 5                        ;  msbs: dst=0 src0=1 src1=1 src2=0
	v_mul_i32_i24_e32 v110, v70 /*v326*/, v60 /*v316*/
	s_set_vgpr_msb 0                        ;  msbs: dst=0 src0=0 src1=0 src2=0
	v_mul_i32_i24_e32 v132, v221, v228
	s_set_vgpr_msb 64                       ;  msbs: dst=1 src0=0 src1=0 src2=0
	v_add3_u32 v77 /*v333*/, v118, v116, v109
	s_set_vgpr_msb 1                        ;  msbs: dst=0 src0=1 src1=0 src2=0
	v_mul_i32_i24_e32 v109, v71 /*v327*/, v228
	s_set_vgpr_msb 0                        ;  msbs: dst=0 src0=0 src1=0 src2=0
	v_mul_i32_i24_e32 v160, v160, v146
	s_set_vgpr_msb 4                        ;  msbs: dst=0 src0=0 src1=1 src2=0
	v_mul_i32_i24_e32 v115, v154, v114 /*v370*/
	v_mul_i32_i24_e32 v145, v153, v138 /*v394*/
	s_set_vgpr_msb 0                        ;  msbs: dst=0 src0=0 src1=0 src2=0
	v_mul_i32_i24_e32 v153, v214, v150
	v_add3_u32 v98, v98, v109, v110
	s_set_vgpr_msb 4                        ;  msbs: dst=0 src0=0 src1=1 src2=0
	v_mul_i32_i24_e32 v110, v154, v112 /*v368*/
	s_set_vgpr_msb 0x44                     ;  msbs: dst=1 src0=0 src1=1 src2=0
	v_mul_i32_i24_e32 v60 /*v316*/, v216, v24 /*v280*/
	s_set_vgpr_msb 0                        ;  msbs: dst=0 src0=0 src1=0 src2=0
	v_add3_u32 v154, v230, v134, v159
	v_add3_u32 v216, v238, v141, v148
	s_set_vgpr_msb 1                        ;  msbs: dst=0 src0=1 src1=0 src2=0
	v_mul_i32_i24_e32 v134, v152 /*v408*/, v206
	v_mul_i32_i24_e32 v141, v99 /*v355*/, v207
	s_set_vgpr_msb 4                        ;  msbs: dst=0 src0=0 src1=1 src2=0
	v_cvt_f32_f16_e32 v95, v94
	v_cvt_f32_f16_e64 v94, v231
	v_mul_i32_i24_e32 v231, v217, v113 /*v369*/
	s_set_vgpr_msb 0                        ;  msbs: dst=0 src0=0 src1=0 src2=0
	v_mul_i32_i24_e32 v107, v219, v163
	s_set_vgpr_msb 4                        ;  msbs: dst=0 src0=0 src1=1 src2=0
	v_mul_i32_i24_e32 v111, v219, v52 /*v308*/
	s_set_vgpr_msb 5                        ;  msbs: dst=0 src0=1 src1=1 src2=0
	v_mul_i32_i24_e32 v105, v61 /*v317*/, v36 /*v292*/
	v_mul_i32_i24_e32 v114, v61 /*v317*/, v50 /*v306*/
	;; [unrolled: 1-line block ×3, first 2 shown]
	s_set_vgpr_msb 64                       ;  msbs: dst=1 src0=0 src1=0 src2=0
	v_mul_i32_i24_e32 v61 /*v317*/, v217, v235
	s_set_vgpr_msb 4                        ;  msbs: dst=0 src0=0 src1=1 src2=0
	v_mul_i32_i24_e32 v139, v219, v76 /*v332*/
	s_set_vgpr_msb 0                        ;  msbs: dst=0 src0=0 src1=0 src2=0
	v_add3_u32 v217, v227, v142, v160
	s_set_vgpr_msb 5                        ;  msbs: dst=0 src0=1 src1=1 src2=0
	v_mul_i32_i24_e32 v142, v152 /*v408*/, v117 /*v373*/
	s_set_vgpr_msb 0                        ;  msbs: dst=0 src0=0 src1=0 src2=0
	v_add3_u32 v219, v226, v153, v132
	s_set_vgpr_msb 5                        ;  msbs: dst=0 src0=1 src1=1 src2=0
	v_mul_i32_i24_e32 v132, v99 /*v355*/, v25 /*v281*/
	;; [unrolled: 4-line block ×3, first 2 shown]
	s_set_vgpr_msb 1                        ;  msbs: dst=0 src0=1 src1=0 src2=0
	v_mul_i32_i24_e32 v141, v99 /*v355*/, v149
	s_set_vgpr_msb 4                        ;  msbs: dst=0 src0=0 src1=1 src2=0
	v_mul_i32_i24_e32 v126, v212, v85 /*v341*/
	s_set_vgpr_msb 0                        ;  msbs: dst=0 src0=0 src1=0 src2=0
	v_add3_u32 v222, v241, v132, v142
	s_set_vgpr_msb 1                        ;  msbs: dst=0 src0=1 src1=0 src2=0
	v_mul_i32_i24_e32 v132, v16 /*v272*/, v152
	v_mul_i32_i24_e32 v142, v23 /*v279*/, v150
	s_set_vgpr_msb 0                        ;  msbs: dst=0 src0=0 src1=0 src2=0
	v_add3_u32 v226, v242, v141, v134
	s_set_vgpr_msb 1                        ;  msbs: dst=0 src0=1 src1=0 src2=0
	v_mul_i32_i24_e32 v134, v136 /*v392*/, v206
	v_mul_i32_i24_e32 v141, v31 /*v287*/, v207
	s_set_vgpr_msb 4                        ;  msbs: dst=0 src0=0 src1=1 src2=0
	v_mul_i32_i24_e32 v130, v212, v132 /*v388*/
	s_set_vgpr_msb 1                        ;  msbs: dst=0 src0=1 src1=0 src2=0
	v_add3_u32 v227, v22 /*v278*/, v132, v142
	s_set_vgpr_msb 5                        ;  msbs: dst=0 src0=1 src1=1 src2=0
	v_mul_i32_i24_e32 v132, v136 /*v392*/, v117 /*v373*/
	s_set_vgpr_msb 1                        ;  msbs: dst=0 src0=1 src1=0 src2=0
	v_mul_i32_i24_e32 v148, v31 /*v287*/, v149
	v_add3_u32 v230, v32 /*v288*/, v141, v134
	s_set_vgpr_msb 5                        ;  msbs: dst=0 src0=1 src1=1 src2=0
	v_mul_i32_i24_e32 v134, v31 /*v287*/, v25 /*v281*/
	s_set_vgpr_msb 4                        ;  msbs: dst=0 src0=0 src1=1 src2=0
	v_mul_i32_i24_e32 v141, v212, v148 /*v404*/
	v_mul_i32_i24_e32 v108, v220, v25 /*v281*/
	s_set_vgpr_msb 0                        ;  msbs: dst=0 src0=0 src1=0 src2=0
	v_mul_i32_i24_e32 v113, v220, v149
	s_set_vgpr_msb 5                        ;  msbs: dst=0 src0=1 src1=1 src2=0
	v_mul_i32_i24_e32 v101, v73 /*v329*/, v41 /*v297*/
	s_set_vgpr_msb 1                        ;  msbs: dst=0 src0=1 src1=0 src2=0
	v_add3_u32 v212, v33 /*v289*/, v134, v132
	s_set_vgpr_msb 5                        ;  msbs: dst=0 src0=1 src1=1 src2=0
	v_mul_i32_i24_e32 v134, v136 /*v392*/, v26 /*v282*/
	v_mul_i32_i24_e32 v109, v73 /*v329*/, v83 /*v339*/
	s_set_vgpr_msb 0                        ;  msbs: dst=0 src0=0 src1=0 src2=0
	v_add3_u32 v229, v229, v234, v233
	s_set_vgpr_msb 5                        ;  msbs: dst=0 src0=1 src1=1 src2=0
	v_mul_i32_i24_e32 v112, v73 /*v329*/, v94 /*v350*/
	s_set_vgpr_msb 4                        ;  msbs: dst=0 src0=0 src1=1 src2=0
	v_mul_i32_i24_e32 v140, v220, v75 /*v331*/
	s_set_vgpr_msb 64                       ;  msbs: dst=1 src0=0 src1=0 src2=0
	v_mul_i32_i24_e32 v70 /*v326*/, v158, v213
	s_set_vgpr_msb 0                        ;  msbs: dst=0 src0=0 src1=0 src2=0
	v_mul_i32_i24_e32 v220, v156, v207
	s_set_vgpr_msb 64                       ;  msbs: dst=1 src0=0 src1=0 src2=0
	v_mul_i32_i24_e32 v22 /*v278*/, v158, v163
	s_set_vgpr_msb 4                        ;  msbs: dst=0 src0=0 src1=1 src2=0
	v_mul_i32_i24_e32 v228, v156, v25 /*v281*/
	s_set_vgpr_msb 0x44                     ;  msbs: dst=1 src0=0 src1=1 src2=0
	v_mul_i32_i24_e32 v73 /*v329*/, v158, v52 /*v308*/
	s_set_vgpr_msb 0                        ;  msbs: dst=0 src0=0 src1=0 src2=0
	v_mul_i32_i24_e32 v233, v156, v149
	s_set_vgpr_msb 1                        ;  msbs: dst=0 src0=1 src1=0 src2=0
	v_mul_i32_i24_e32 v153, v89 /*v345*/, v152
	v_mul_i32_i24_e32 v156, v98 /*v354*/, v150
	v_add3_u32 v234, v48 /*v304*/, v148, v134
	v_mul_i32_i24_e32 v148, v153 /*v409*/, v206
	v_mul_i32_i24_e32 v158, v55 /*v311*/, v207
	s_set_vgpr_msb 0                        ;  msbs: dst=0 src0=0 src1=0 src2=0
	v_mul_i32_i24_e32 v214, v215, v236
	s_set_vgpr_msb 1                        ;  msbs: dst=0 src0=1 src1=0 src2=0
	v_add3_u32 v238, v49 /*v305*/, v153, v156
	s_set_vgpr_msb 5                        ;  msbs: dst=0 src0=1 src1=1 src2=0
	v_mul_i32_i24_e32 v153, v153 /*v409*/, v117 /*v373*/
	v_mul_i32_i24_e32 v156, v55 /*v311*/, v25 /*v281*/
	s_set_vgpr_msb 1                        ;  msbs: dst=0 src0=1 src1=0 src2=0
	v_add3_u32 v239, v57 /*v313*/, v158, v148
	s_set_vgpr_msb 5                        ;  msbs: dst=0 src0=1 src1=1 src2=0
	v_mul_i32_i24_e32 v148, v153 /*v409*/, v26 /*v282*/
	s_set_vgpr_msb 1                        ;  msbs: dst=0 src0=1 src1=0 src2=0
	v_mul_i32_i24_e32 v158, v55 /*v311*/, v149
	s_set_vgpr_msb 0                        ;  msbs: dst=0 src0=0 src1=0 src2=0
	v_mul_i32_i24_e32 v215, v155, v206
	s_set_vgpr_msb 1                        ;  msbs: dst=0 src0=1 src1=0 src2=0
	v_add3_u32 v241, v58 /*v314*/, v156, v153
	s_set_vgpr_msb 0                        ;  msbs: dst=0 src0=0 src1=0 src2=0
	v_mul_i32_i24_e32 v153, v157, v150
	s_set_vgpr_msb 1                        ;  msbs: dst=0 src0=1 src1=0 src2=0
	v_mul_i32_i24_e32 v156, v154 /*v410*/, v206
	s_set_vgpr_msb 0x41                     ;  msbs: dst=1 src0=1 src1=0 src2=0
	v_add3_u32 v16 /*v272*/, v64 /*v320*/, v158, v148
	s_set_vgpr_msb 1                        ;  msbs: dst=0 src0=1 src1=0 src2=0
	v_mul_i32_i24_e32 v148, v144 /*v400*/, v207
	s_set_vgpr_msb 5                        ;  msbs: dst=0 src0=1 src1=1 src2=0
	v_mul_i32_i24_e32 v157, v154 /*v410*/, v117 /*v373*/
	s_set_vgpr_msb 0                        ;  msbs: dst=0 src0=0 src1=0 src2=0
	v_add3_u32 v247, v247, v147, v153
	s_set_vgpr_msb 5                        ;  msbs: dst=0 src0=1 src1=1 src2=0
	v_mul_i32_i24_e32 v147, v144 /*v400*/, v25 /*v281*/
	s_set_vgpr_msb 1                        ;  msbs: dst=0 src0=1 src1=0 src2=0
	v_mul_i32_i24_e32 v153, v144 /*v400*/, v149
	s_set_vgpr_msb 0x41                     ;  msbs: dst=1 src0=1 src1=0 src2=0
	v_add3_u32 v33 /*v289*/, v65 /*v321*/, v148, v156
	s_set_vgpr_msb 5                        ;  msbs: dst=0 src0=1 src1=1 src2=0
	v_mul_i32_i24_e32 v148, v154 /*v410*/, v26 /*v282*/
	s_set_vgpr_msb 1                        ;  msbs: dst=0 src0=1 src1=0 src2=0
	v_mul_i32_i24_e32 v156, v2 /*v258*/, v150
	s_set_vgpr_msb 0x41                     ;  msbs: dst=1 src0=1 src1=0 src2=0
	v_add3_u32 v48 /*v304*/, v67 /*v323*/, v147, v157
	s_set_vgpr_msb 0                        ;  msbs: dst=0 src0=0 src1=0 src2=0
	v_mul_i32_i24_e32 v147, v246, v152
	s_set_vgpr_msb 1                        ;  msbs: dst=0 src0=1 src1=0 src2=0
	v_mul_i32_i24_e32 v157, v161 /*v417*/, v206
	v_add3_u32 v246, v53 /*v309*/, v153, v148
	v_mul_i32_i24_e32 v148, v165 /*v421*/, v207
	s_set_vgpr_msb 5                        ;  msbs: dst=0 src0=1 src1=1 src2=0
	v_mul_i32_i24_e32 v158, v161 /*v417*/, v117 /*v373*/
	s_set_vgpr_msb 0x41                     ;  msbs: dst=1 src0=1 src1=0 src2=0
	v_add3_u32 v2 /*v258*/, v21 /*v277*/, v147, v156
	s_set_vgpr_msb 5                        ;  msbs: dst=0 src0=1 src1=1 src2=0
	v_mul_i32_i24_e32 v147, v165 /*v421*/, v25 /*v281*/
	s_set_vgpr_msb 1                        ;  msbs: dst=0 src0=1 src1=0 src2=0
	v_mul_i32_i24_e32 v242, v7 /*v263*/, v204
	s_set_vgpr_msb 0x41                     ;  msbs: dst=1 src0=1 src1=0 src2=0
	v_add3_u32 v21 /*v277*/, v68 /*v324*/, v148, v157
	s_set_vgpr_msb 5                        ;  msbs: dst=0 src0=1 src1=1 src2=0
	v_mul_i32_i24_e32 v148, v161 /*v417*/, v26 /*v282*/
	s_set_vgpr_msb 1                        ;  msbs: dst=0 src0=1 src1=0 src2=0
	v_mul_i32_i24_e32 v157, v165 /*v421*/, v149
	s_set_vgpr_msb 0x41                     ;  msbs: dst=1 src0=1 src1=0 src2=0
	v_add3_u32 v53 /*v309*/, v69 /*v325*/, v147, v158
	s_set_vgpr_msb 0                        ;  msbs: dst=0 src0=0 src1=0 src2=0
	v_mul_i32_i24_e32 v147, v248, v152
	s_set_vgpr_msb 1                        ;  msbs: dst=0 src0=1 src1=0 src2=0
	v_mul_i32_i24_e32 v158, v18 /*v274*/, v150
	v_mul_i32_i24_e32 v149, v171 /*v427*/, v149
	s_set_vgpr_msb 0x41                     ;  msbs: dst=1 src0=1 src1=0 src2=0
	v_add3_u32 v18 /*v274*/, v34 /*v290*/, v157, v148
	s_set_vgpr_msb 1                        ;  msbs: dst=0 src0=1 src1=0 src2=0
	v_mul_i32_i24_e32 v148, v169 /*v425*/, v206
	v_mul_i32_i24_e32 v157, v171 /*v427*/, v207
	s_set_vgpr_msb 0x41                     ;  msbs: dst=1 src0=1 src1=0 src2=0
	v_add3_u32 v20 /*v276*/, v20 /*v276*/, v147, v158
	s_set_vgpr_msb 5                        ;  msbs: dst=0 src0=1 src1=1 src2=0
	v_mul_i32_i24_e32 v158, v171 /*v427*/, v25 /*v281*/
	s_set_vgpr_msb 1                        ;  msbs: dst=0 src0=1 src1=0 src2=0
	v_mul_i32_i24_e32 v152, v54 /*v310*/, v152
	v_mul_i32_i24_e32 v206, v59 /*v315*/, v150
	s_set_vgpr_msb 0x41                     ;  msbs: dst=1 src0=1 src1=0 src2=0
	v_add3_u32 v25 /*v281*/, v72 /*v328*/, v157, v148
	s_set_vgpr_msb 5                        ;  msbs: dst=0 src0=1 src1=1 src2=0
	v_mul_i32_i24_e32 v148, v169 /*v425*/, v26 /*v282*/
	s_set_vgpr_msb 0x45                     ;  msbs: dst=1 src0=1 src1=1 src2=0
	v_mul_i32_i24_e32 v49 /*v305*/, v0 /*v256*/, v42 /*v298*/
	s_set_vgpr_msb 1                        ;  msbs: dst=0 src0=1 src1=0 src2=0
	v_mul_i32_i24_e32 v248, v7 /*v263*/, v100
	s_set_vgpr_msb 0x45                     ;  msbs: dst=1 src0=1 src1=1 src2=0
	v_mul_i32_i24_e32 v65 /*v321*/, v0 /*v256*/, v85 /*v341*/
	v_mul_i32_i24_e32 v58 /*v314*/, v7 /*v263*/, v27 /*v283*/
	s_set_vgpr_msb 0x41                     ;  msbs: dst=1 src0=1 src1=0 src2=0
	v_add3_u32 v68 /*v324*/, v77 /*v333*/, v149, v148
	s_set_vgpr_msb 0x45                     ;  msbs: dst=1 src0=1 src1=1 src2=0
	v_mul_i32_i24_e32 v69 /*v325*/, v0 /*v256*/, v132 /*v388*/
	s_set_vgpr_msb 5                        ;  msbs: dst=0 src0=1 src1=1 src2=0
	v_mul_i32_i24_e32 v157, v7 /*v263*/, v78 /*v334*/
	v_mul_i32_i24_e32 v149, v0 /*v256*/, v148 /*v404*/
	s_set_vgpr_msb 64                       ;  msbs: dst=1 src0=0 src1=0 src2=0
	v_add3_u32 v0 /*v256*/, v98, v152, v206
	s_set_vgpr_msb 1                        ;  msbs: dst=0 src0=1 src1=0 src2=0
	v_mul_i32_i24_e32 v98, v102 /*v358*/, v204
	s_set_vgpr_msb 0x41                     ;  msbs: dst=1 src0=1 src1=0 src2=0
	v_mul_i32_i24_e32 v7 /*v263*/, v30 /*v286*/, v213
	s_set_vgpr_msb 64                       ;  msbs: dst=1 src0=0 src1=0 src2=0
	v_add3_u32 v54 /*v310*/, v229, v162, v237
	s_set_vgpr_msb 4                        ;  msbs: dst=0 src0=0 src1=1 src2=0
	v_mul_i32_i24_e32 v162, v205, v137 /*v393*/
	v_mul_i32_i24_e32 v223, v155, v117 /*v373*/
	;; [unrolled: 1-line block ×3, first 2 shown]
	s_set_vgpr_msb 0x45                     ;  msbs: dst=1 src0=1 src1=1 src2=0
	v_mul_i32_i24_e32 v64 /*v320*/, v88 /*v344*/, v45 /*v301*/
	v_mul_i32_i24_e32 v26 /*v282*/, v88 /*v344*/, v122 /*v378*/
	;; [unrolled: 1-line block ×3, first 2 shown]
	s_set_vgpr_msb 5                        ;  msbs: dst=0 src0=1 src1=1 src2=0
	v_mul_i32_i24_e32 v150, v88 /*v344*/, v150 /*v406*/
	s_set_vgpr_msb 64                       ;  msbs: dst=1 src0=0 src1=0 src2=0
	v_add3_u32 v88 /*v344*/, v219, v214, v162
	s_set_vgpr_msb 1                        ;  msbs: dst=0 src0=1 src1=0 src2=0
	v_mul_i32_i24_e32 v162, v102 /*v358*/, v100
	v_mul_i32_i24_e32 v205, v30 /*v286*/, v163
	s_set_vgpr_msb 0x50                     ;  msbs: dst=1 src0=0 src1=0 src2=1
	v_add3_u32 v7 /*v263*/, v230, v98, v7 /*v263*/
	s_set_vgpr_msb 5                        ;  msbs: dst=0 src0=1 src1=1 src2=0
	v_mul_i32_i24_e32 v98, v102 /*v358*/, v27 /*v283*/
	v_mul_i32_i24_e32 v214, v30 /*v286*/, v52 /*v308*/
	s_set_vgpr_msb 64                       ;  msbs: dst=1 src0=0 src1=0 src2=0
	v_add3_u32 v59 /*v315*/, v154, v220, v215
	v_add3_u32 v103 /*v359*/, v212, v162, v205
	s_set_vgpr_msb 1                        ;  msbs: dst=0 src0=1 src1=0 src2=0
	v_mul_i32_i24_e32 v162, v80 /*v336*/, v236
	v_mul_i32_i24_e32 v212, v101 /*v357*/, v235
	s_set_vgpr_msb 0                        ;  msbs: dst=0 src0=0 src1=0 src2=0
	v_mul_i32_i24_e32 v215, v245, v204
	s_set_vgpr_msb 64                       ;  msbs: dst=1 src0=0 src1=0 src2=0
	v_add3_u32 v80 /*v336*/, v234, v98, v214
	s_set_vgpr_msb 0                        ;  msbs: dst=0 src0=0 src1=0 src2=0
	v_mul_i32_i24_e32 v98, v251, v213
	v_mul_i32_i24_e32 v214, v245, v100
	s_set_vgpr_msb 64                       ;  msbs: dst=1 src0=0 src1=0 src2=0
	v_add3_u32 v101 /*v357*/, v238, v212, v162
	s_set_vgpr_msb 0                        ;  msbs: dst=0 src0=0 src1=0 src2=0
	v_mul_i32_i24_e32 v162, v251, v163
	s_set_vgpr_msb 5                        ;  msbs: dst=0 src0=1 src1=1 src2=0
	v_mul_i32_i24_e32 v147, v169 /*v425*/, v117 /*v373*/
	s_set_vgpr_msb 64                       ;  msbs: dst=1 src0=0 src1=0 src2=0
	v_add3_u32 v106 /*v362*/, v239, v215, v98
	s_set_vgpr_msb 4                        ;  msbs: dst=0 src0=0 src1=1 src2=0
	v_mul_i32_i24_e32 v98, v245, v27 /*v283*/
	v_mul_i32_i24_e32 v215, v251, v52 /*v308*/
	s_set_vgpr_msb 64                       ;  msbs: dst=1 src0=0 src1=0 src2=0
	v_add3_u32 v108 /*v364*/, v241, v214, v162
	s_set_vgpr_msb 1                        ;  msbs: dst=0 src0=1 src1=0 src2=0
	v_mul_i32_i24_e32 v162, v129 /*v385*/, v236
	v_mul_i32_i24_e32 v214, v86 /*v342*/, v204
	s_set_vgpr_msb 5                        ;  msbs: dst=0 src0=1 src1=1 src2=0
	v_mul_i32_i24_e32 v117, v125 /*v381*/, v42 /*v298*/
	s_set_vgpr_msb 0x41                     ;  msbs: dst=1 src0=1 src1=0 src2=0
	v_add3_u32 v113 /*v369*/, v16 /*v272*/, v98, v215
	s_set_vgpr_msb 1                        ;  msbs: dst=0 src0=1 src1=0 src2=0
	v_mul_i32_i24_e32 v98, v96 /*v352*/, v213
	v_mul_i32_i24_e32 v215, v86 /*v342*/, v100
	s_set_vgpr_msb 64                       ;  msbs: dst=1 src0=0 src1=0 src2=0
	v_add3_u32 v115 /*v371*/, v247, v161, v162
	s_set_vgpr_msb 1                        ;  msbs: dst=0 src0=1 src1=0 src2=0
	v_mul_i32_i24_e32 v161, v96 /*v352*/, v163
	s_set_vgpr_msb 5                        ;  msbs: dst=0 src0=1 src1=1 src2=0
	v_mul_i32_i24_e32 v162, v96 /*v352*/, v52 /*v308*/
	s_set_vgpr_msb 0x41                     ;  msbs: dst=1 src0=1 src1=0 src2=0
	v_add3_u32 v117 /*v373*/, v33 /*v289*/, v214, v98
	s_set_vgpr_msb 5                        ;  msbs: dst=0 src0=1 src1=1 src2=0
	v_mul_i32_i24_e32 v98, v86 /*v342*/, v27 /*v283*/
	s_set_vgpr_msb 1                        ;  msbs: dst=0 src0=1 src1=0 src2=0
	v_mul_i32_i24_e32 v214, v3 /*v259*/, v235
	s_set_vgpr_msb 0x41                     ;  msbs: dst=1 src0=1 src1=0 src2=0
	v_add3_u32 v118 /*v374*/, v48 /*v304*/, v215, v161
	s_set_vgpr_msb 1                        ;  msbs: dst=0 src0=1 src1=0 src2=0
	v_mul_i32_i24_e32 v161, v19 /*v275*/, v236
	v_mul_i32_i24_e32 v215, v160 /*v416*/, v204
	s_set_vgpr_msb 64                       ;  msbs: dst=1 src0=0 src1=0 src2=0
	v_add3_u32 v119 /*v375*/, v246, v98, v162
	s_set_vgpr_msb 1                        ;  msbs: dst=0 src0=1 src1=0 src2=0
	v_mul_i32_i24_e32 v98, v164 /*v420*/, v213
	v_mul_i32_i24_e32 v162, v160 /*v416*/, v100
	s_set_vgpr_msb 0x41                     ;  msbs: dst=1 src0=1 src1=0 src2=0
	v_add3_u32 v120 /*v376*/, v2 /*v258*/, v214, v161
	s_set_vgpr_msb 1                        ;  msbs: dst=0 src0=1 src1=0 src2=0
	v_mul_i32_i24_e32 v161, v164 /*v420*/, v163
	s_set_vgpr_msb 5                        ;  msbs: dst=0 src0=1 src1=1 src2=0
	v_mul_i32_i24_e32 v214, v164 /*v420*/, v52 /*v308*/
	s_set_vgpr_msb 0x41                     ;  msbs: dst=1 src0=1 src1=0 src2=0
	v_add3_u32 v123 /*v379*/, v21 /*v277*/, v215, v98
	s_set_vgpr_msb 5                        ;  msbs: dst=0 src0=1 src1=1 src2=0
	v_mul_i32_i24_e32 v98, v160 /*v416*/, v27 /*v283*/
	v_mul_i32_i24_e32 v106, v62 /*v318*/, v40 /*v296*/
	;; [unrolled: 1-line block ×6, first 2 shown]
	s_set_vgpr_msb 0x41                     ;  msbs: dst=1 src0=1 src1=0 src2=0
	v_mul_i32_i24_e32 v62 /*v318*/, v135 /*v391*/, v204
	v_mul_i32_i24_e32 v32 /*v288*/, v39 /*v295*/, v213
	;; [unrolled: 1-line block ×3, first 2 shown]
	s_set_vgpr_msb 0x45                     ;  msbs: dst=1 src0=1 src1=1 src2=0
	v_mul_i32_i24_e32 v67 /*v323*/, v39 /*v295*/, v52 /*v308*/
	s_set_vgpr_msb 0x41                     ;  msbs: dst=1 src0=1 src1=0 src2=0
	v_add3_u32 v124 /*v380*/, v53 /*v309*/, v162, v161
	s_set_vgpr_msb 0                        ;  msbs: dst=0 src0=0 src1=0 src2=0
	v_mul_i32_i24_e32 v161, v243, v236
	v_mul_i32_i24_e32 v162, v240, v235
	s_set_vgpr_msb 0x41                     ;  msbs: dst=1 src0=1 src1=0 src2=0
	v_add3_u32 v125 /*v381*/, v18 /*v274*/, v98, v214
	s_set_vgpr_msb 1                        ;  msbs: dst=0 src0=1 src1=0 src2=0
	v_mul_i32_i24_e32 v98, v168 /*v424*/, v204
	v_mul_i32_i24_e32 v204, v170 /*v426*/, v213
	s_set_vgpr_msb 5                        ;  msbs: dst=0 src0=1 src1=1 src2=0
	v_mul_i32_i24_e32 v120, v87 /*v343*/, v43 /*v299*/
	v_mul_i32_i24_e32 v128, v87 /*v343*/, v121 /*v377*/
	;; [unrolled: 1-line block ×3, first 2 shown]
	s_set_vgpr_msb 0x41                     ;  msbs: dst=1 src0=1 src1=0 src2=0
	v_mul_i32_i24_e32 v71 /*v327*/, v135 /*v391*/, v100
	s_set_vgpr_msb 0x45                     ;  msbs: dst=1 src0=1 src1=1 src2=0
	v_mul_i32_i24_e32 v23 /*v279*/, v135 /*v391*/, v27 /*v283*/
	s_set_vgpr_msb 0x41                     ;  msbs: dst=1 src0=1 src1=0 src2=0
	v_add3_u32 v57 /*v313*/, v74 /*v330*/, v158, v147
	s_set_vgpr_msb 0x45                     ;  msbs: dst=1 src0=1 src1=1 src2=0
	v_mul_i32_i24_e32 v74 /*v330*/, v11 /*v267*/, v24 /*v280*/
	s_set_vgpr_msb 0x41                     ;  msbs: dst=1 src0=1 src1=0 src2=0
	v_mul_i32_i24_e32 v11 /*v267*/, v37 /*v293*/, v235
	s_set_vgpr_msb 5                        ;  msbs: dst=0 src0=1 src1=1 src2=0
	v_mul_i32_i24_e32 v158, v39 /*v295*/, v76 /*v332*/
	s_set_vgpr_msb 64                       ;  msbs: dst=1 src0=0 src1=0 src2=0
	v_add3_u32 v39 /*v295*/, v225, v232, v231
	v_add3_u32 v87 /*v343*/, v217, v233, v155
	s_set_vgpr_msb 0x50                     ;  msbs: dst=1 src0=0 src1=0 src2=1
	v_add3_u32 v89 /*v345*/, v221, v242, v32 /*v288*/
	v_add3_u32 v34 /*v290*/, v222, v248, v34 /*v290*/
	s_set_vgpr_msb 0x54                     ;  msbs: dst=1 src0=0 src1=1 src2=1
	v_add3_u32 v67 /*v323*/, v226, v58 /*v314*/, v67 /*v323*/
	s_set_vgpr_msb 0x41                     ;  msbs: dst=1 src0=1 src1=0 src2=0
	v_add3_u32 v181 /*v437*/, v20 /*v276*/, v162, v161
	s_set_vgpr_msb 1                        ;  msbs: dst=0 src0=1 src1=0 src2=0
	v_mul_i32_i24_e32 v161, v168 /*v424*/, v100
	v_mul_i32_i24_e32 v162, v170 /*v426*/, v163
	v_add3_u32 v100, v25 /*v281*/, v98, v204
	s_set_vgpr_msb 0x45                     ;  msbs: dst=1 src0=1 src1=1 src2=0
	v_mul_i32_i24_e32 v25 /*v281*/, v81 /*v337*/, v24 /*v280*/
	v_mul_i32_i24_e32 v4 /*v260*/, v4 /*v260*/, v137 /*v393*/
	s_set_vgpr_msb 4                        ;  msbs: dst=0 src0=0 src1=1 src2=0
	v_mul_i32_i24_e32 v97, v210, v47 /*v303*/
	s_set_vgpr_msb 5                        ;  msbs: dst=0 src0=1 src1=1 src2=0
	v_mul_i32_i24_e32 v122, v90 /*v346*/, v47 /*v303*/
	s_set_vgpr_msb 4                        ;  msbs: dst=0 src0=0 src1=1 src2=0
	v_mul_i32_i24_e32 v118, v210, v131 /*v387*/
	v_mul_i32_i24_e32 v119, v208, v122 /*v378*/
	s_set_vgpr_msb 5                        ;  msbs: dst=0 src0=1 src1=1 src2=0
	v_mul_i32_i24_e32 v129, v90 /*v346*/, v131 /*v387*/
	s_set_vgpr_msb 4                        ;  msbs: dst=0 src0=0 src1=1 src2=0
	v_mul_i32_i24_e32 v124, v210, v139 /*v395*/
	;; [unrolled: 5-line block ×3, first 2 shown]
	v_mul_i32_i24_e32 v132, v210, v151 /*v407*/
	v_mul_i32_i24_e32 v134, v208, v150 /*v406*/
	s_set_vgpr_msb 5                        ;  msbs: dst=0 src0=1 src1=1 src2=0
	v_mul_i32_i24_e32 v153, v79 /*v335*/, v43 /*v299*/
	v_mul_i32_i24_e32 v156, v82 /*v338*/, v47 /*v303*/
	;; [unrolled: 1-line block ×9, first 2 shown]
	s_set_vgpr_msb 64                       ;  msbs: dst=1 src0=0 src1=0 src2=0
	v_add3_u32 v37 /*v293*/, v224, v209, v151
	s_set_vgpr_msb 0x45                     ;  msbs: dst=1 src0=1 src1=1 src2=0
	v_mul_i32_i24_e32 v77 /*v333*/, v46 /*v302*/, v42 /*v298*/
	v_mul_i32_i24_e32 v79 /*v335*/, v104 /*v360*/, v45 /*v301*/
	s_set_vgpr_msb 4                        ;  msbs: dst=0 src0=0 src1=1 src2=0
	v_mul_i32_i24_e32 v207, v249, v36 /*v292*/
	s_set_vgpr_msb 64                       ;  msbs: dst=1 src0=0 src1=0 src2=0
	v_add3_u32 v82 /*v338*/, v216, v228, v223
	s_set_vgpr_msb 0x45                     ;  msbs: dst=1 src0=1 src1=1 src2=0
	v_mul_i32_i24_e32 v90 /*v346*/, v46 /*v302*/, v85 /*v341*/
	v_mul_i32_i24_e32 v98 /*v354*/, v104 /*v360*/, v122 /*v378*/
	s_set_vgpr_msb 4                        ;  msbs: dst=0 src0=0 src1=1 src2=0
	v_mul_i32_i24_e32 v221, v249, v50 /*v306*/
	s_set_vgpr_msb 0x54                     ;  msbs: dst=1 src0=0 src1=1 src2=1
	v_add3_u32 v99 /*v355*/, v227, v11 /*v267*/, v5 /*v261*/
	s_set_vgpr_msb 0x45                     ;  msbs: dst=1 src0=1 src1=1 src2=0
	v_mul_i32_i24_e32 v48 /*v304*/, v46 /*v302*/, v132 /*v388*/
	v_mul_i32_i24_e32 v21 /*v277*/, v104 /*v360*/, v138 /*v394*/
	s_set_vgpr_msb 4                        ;  msbs: dst=0 src0=0 src1=1 src2=0
	v_mul_i32_i24_e32 v239, v249, v51 /*v307*/
	s_set_vgpr_msb 1                        ;  msbs: dst=0 src0=1 src1=0 src2=0
	v_add3_u32 v98, v57 /*v313*/, v161, v162
	s_set_vgpr_msb 5                        ;  msbs: dst=0 src0=1 src1=1 src2=0
	v_mul_i32_i24_e32 v243, v30 /*v286*/, v76 /*v332*/
	s_set_vgpr_msb 0x45                     ;  msbs: dst=1 src0=1 src1=1 src2=0
	v_mul_i32_i24_e32 v2 /*v258*/, v31 /*v287*/, v75 /*v331*/
	s_set_vgpr_msb 4                        ;  msbs: dst=0 src0=0 src1=1 src2=0
	v_mul_i32_i24_e32 v214, v249, v93 /*v349*/
	s_set_vgpr_msb 5                        ;  msbs: dst=0 src0=1 src1=1 src2=0
	v_mul_i32_i24_e32 v247, v168 /*v424*/, v27 /*v283*/
	v_mul_i32_i24_e32 v249, v170 /*v426*/, v52 /*v308*/
	s_set_vgpr_msb 0x44                     ;  msbs: dst=1 src0=0 src1=1 src2=0
	v_mul_i32_i24_e32 v30 /*v286*/, v255, v85 /*v341*/
	s_set_vgpr_msb 0x41                     ;  msbs: dst=1 src0=1 src1=0 src2=0
	v_add3_u32 v31 /*v287*/, v39 /*v295*/, v252, v250
	s_set_vgpr_msb 5                        ;  msbs: dst=0 src0=1 src1=1 src2=0
	v_mul_i32_i24_e32 v250, v17 /*v273*/, v122 /*v378*/
	s_set_vgpr_msb 0x55                     ;  msbs: dst=1 src0=1 src1=1 src2=1
	v_add3_u32 v39 /*v295*/, v59 /*v315*/, v62 /*v318*/, v70 /*v326*/
	s_set_vgpr_msb 0x44                     ;  msbs: dst=1 src0=0 src1=1 src2=0
	v_mul_i32_i24_e32 v5 /*v261*/, v251, v76 /*v332*/
	s_set_vgpr_msb 0x55                     ;  msbs: dst=1 src0=1 src1=1 src2=1
	v_add3_u32 v57 /*v313*/, v87 /*v343*/, v23 /*v279*/, v73 /*v329*/
	v_add3_u32 v58 /*v314*/, v88 /*v344*/, v60 /*v316*/, v61 /*v317*/
	v_add3_u32 v59 /*v315*/, v89 /*v345*/, v64 /*v320*/, v49 /*v305*/
	v_add3_u32 v62 /*v318*/, v34 /*v290*/, v26 /*v282*/, v65 /*v321*/
	v_add3_u32 v64 /*v320*/, v67 /*v323*/, v72 /*v328*/, v69 /*v325*/
	s_set_vgpr_msb 5                        ;  msbs: dst=0 src0=1 src1=1 src2=0
	v_mul_i32_i24_e32 v251, v97 /*v353*/, v85 /*v341*/
	s_set_vgpr_msb 0x55                     ;  msbs: dst=1 src0=1 src1=1 src2=1
	v_mul_i32_i24_e32 v23 /*v279*/, v111 /*v367*/, v122 /*v378*/
	v_add3_u32 v72 /*v328*/, v101 /*v357*/, v4 /*v260*/, v25 /*v281*/
	v_mul_i32_i24_e32 v25 /*v281*/, v97 /*v353*/, v132 /*v388*/
	v_mul_i32_i24_e32 v65 /*v321*/, v111 /*v367*/, v138 /*v394*/
	;; [unrolled: 1-line block ×4, first 2 shown]
	s_set_vgpr_msb 5                        ;  msbs: dst=0 src0=1 src1=1 src2=0
	v_mul_i32_i24_e32 v224, v6 /*v262*/, v43 /*v299*/
	v_mul_i32_i24_e32 v225, v8 /*v264*/, v47 /*v303*/
	;; [unrolled: 1-line block ×12, first 2 shown]
	s_set_vgpr_msb 1                        ;  msbs: dst=0 src0=1 src1=0 src2=0
	v_mul_i32_i24_e32 v236, v9 /*v265*/, v236
	s_set_vgpr_msb 0x44                     ;  msbs: dst=1 src0=0 src1=1 src2=0
	v_mul_i32_i24_e32 v6 /*v262*/, v255, v42 /*v298*/
	s_set_vgpr_msb 1                        ;  msbs: dst=0 src0=1 src1=0 src2=0
	v_mul_i32_i24_e32 v235, v14 /*v270*/, v235
	s_set_vgpr_msb 0x41                     ;  msbs: dst=1 src0=1 src1=0 src2=0
	v_add3_u32 v142 /*v398*/, v68 /*v324*/, v247, v249
	s_set_vgpr_msb 0x45                     ;  msbs: dst=1 src0=1 src1=1 src2=0
	v_mul_i32_i24_e32 v27 /*v283*/, v17 /*v273*/, v45 /*v301*/
	v_add3_u32 v33 /*v289*/, v54 /*v310*/, v15 /*v271*/, v253
	s_set_vgpr_msb 4                        ;  msbs: dst=0 src0=0 src1=1 src2=0
	v_mul_i32_i24_e32 v252, v255, v132 /*v388*/
	s_set_vgpr_msb 5                        ;  msbs: dst=0 src0=1 src1=1 src2=0
	v_mul_i32_i24_e32 v253, v17 /*v273*/, v138 /*v394*/
	s_set_vgpr_msb 0x45                     ;  msbs: dst=1 src0=1 src1=1 src2=0
	v_mul_i32_i24_e32 v53 /*v309*/, v140 /*v396*/, v24 /*v280*/
	s_set_vgpr_msb 0x44                     ;  msbs: dst=1 src0=0 src1=1 src2=0
	v_mul_i32_i24_e32 v3 /*v259*/, v245, v78 /*v334*/
	s_set_vgpr_msb 0x51                     ;  msbs: dst=1 src0=1 src1=0 src2=1
	v_add3_u32 v52 /*v308*/, v37 /*v293*/, v244, v28 /*v284*/
	s_set_vgpr_msb 5                        ;  msbs: dst=0 src0=1 src1=1 src2=0
	v_mul_i32_i24_e32 v244, v97 /*v353*/, v42 /*v298*/
	s_set_vgpr_msb 0x55                     ;  msbs: dst=1 src0=1 src1=1 src2=1
	v_add3_u32 v54 /*v310*/, v82 /*v338*/, v71 /*v327*/, v22 /*v278*/
	s_set_vgpr_msb 5                        ;  msbs: dst=0 src0=1 src1=1 src2=0
	v_mul_i32_i24_e32 v245, v111 /*v367*/, v45 /*v301*/
	s_set_vgpr_msb 0x55                     ;  msbs: dst=1 src0=1 src1=1 src2=1
	v_mul_i32_i24_e32 v13 /*v269*/, v66 /*v322*/, v36 /*v292*/
	v_mul_i32_i24_e32 v8 /*v264*/, v29 /*v285*/, v137 /*v393*/
	v_add3_u32 v68 /*v324*/, v7 /*v263*/, v79 /*v335*/, v77 /*v333*/
	v_mul_i32_i24_e32 v28 /*v284*/, v66 /*v322*/, v50 /*v306*/
	v_add3_u32 v69 /*v325*/, v103 /*v359*/, v98 /*v354*/, v90 /*v346*/
	v_add3_u32 v70 /*v326*/, v80 /*v336*/, v21 /*v277*/, v48 /*v304*/
	s_set_vgpr_msb 0x51                     ;  msbs: dst=1 src0=1 src1=0 src2=1
	v_add3_u32 v77 /*v333*/, v108 /*v364*/, v250, v30 /*v286*/
	s_set_vgpr_msb 0x45                     ;  msbs: dst=1 src0=1 src1=1 src2=0
	v_mul_i32_i24_e32 v48 /*v304*/, v66 /*v322*/, v51 /*v307*/
	s_set_vgpr_msb 5                        ;  msbs: dst=0 src0=1 src1=1 src2=0
	v_mul_i32_i24_e32 v250, v91 /*v347*/, v137 /*v393*/
	s_set_vgpr_msb 0x45                     ;  msbs: dst=1 src0=1 src1=1 src2=0
	v_add3_u32 v82 /*v338*/, v118 /*v374*/, v23 /*v279*/, v251
	v_mul_i32_i24_e32 v63 /*v319*/, v96 /*v352*/, v76 /*v332*/
	s_set_vgpr_msb 5                        ;  msbs: dst=0 src0=1 src1=1 src2=0
	v_mul_i32_i24_e32 v251, v66 /*v322*/, v93 /*v349*/
	s_set_vgpr_msb 0x55                     ;  msbs: dst=1 src0=1 src1=1 src2=1
	v_mul_i32_i24_e32 v66 /*v322*/, v95 /*v351*/, v42 /*v298*/
	v_add3_u32 v96 /*v352*/, v119 /*v375*/, v65 /*v321*/, v25 /*v281*/
	v_mul_i32_i24_e32 v25 /*v281*/, v163 /*v419*/, v45 /*v301*/
	v_mul_i32_i24_e32 v65 /*v321*/, v95 /*v351*/, v85 /*v341*/
	v_add3_u32 v98 /*v354*/, v120 /*v376*/, v84 /*v340*/, v88 /*v344*/
	v_mul_i32_i24_e32 v84 /*v340*/, v163 /*v419*/, v122 /*v378*/
	s_set_vgpr_msb 4                        ;  msbs: dst=0 src0=0 src1=1 src2=0
	v_mul_i32_i24_e32 v127, v211, v121 /*v377*/
	v_mul_i32_i24_e32 v133, v211, v134 /*v390*/
	v_mul_i32_i24_e32 v142, v211, v149 /*v405*/
	s_set_vgpr_msb 5                        ;  msbs: dst=0 src0=1 src1=1 src2=0
	v_mul_i32_i24_e32 v206, v38 /*v294*/, v36 /*v292*/
	v_mul_i32_i24_e32 v209, v40 /*v296*/, v10 /*v266*/
	;; [unrolled: 1-line block ×25, first 2 shown]
	s_set_vgpr_msb 0x44                     ;  msbs: dst=1 src0=0 src1=1 src2=0
	v_mul_i32_i24_e32 v12 /*v268*/, v254, v43 /*v299*/
	s_set_vgpr_msb 0x45                     ;  msbs: dst=1 src0=1 src1=1 src2=0
	v_mul_i32_i24_e32 v14 /*v270*/, v1 /*v257*/, v47 /*v303*/
	s_set_vgpr_msb 0x41                     ;  msbs: dst=1 src0=1 src1=0 src2=0
	v_add3_u32 v127 /*v383*/, v0 /*v256*/, v235, v236
	s_set_vgpr_msb 0x44                     ;  msbs: dst=1 src0=0 src1=1 src2=0
	v_mul_i32_i24_e32 v16 /*v272*/, v254, v121 /*v377*/
	s_set_vgpr_msb 0x45                     ;  msbs: dst=1 src0=1 src1=1 src2=0
	v_mul_i32_i24_e32 v18 /*v274*/, v1 /*v257*/, v131 /*v387*/
	s_set_vgpr_msb 0x44                     ;  msbs: dst=1 src0=0 src1=1 src2=0
	v_mul_i32_i24_e32 v19 /*v275*/, v254, v134 /*v390*/
	s_set_vgpr_msb 0x45                     ;  msbs: dst=1 src0=1 src1=1 src2=0
	v_mul_i32_i24_e32 v20 /*v276*/, v1 /*v257*/, v139 /*v395*/
	v_mul_i32_i24_e32 v32 /*v288*/, v55 /*v311*/, v75 /*v331*/
	s_set_vgpr_msb 4                        ;  msbs: dst=0 src0=0 src1=1 src2=0
	v_mul_i32_i24_e32 v247, v255, v148 /*v404*/
	v_mul_i32_i24_e32 v235, v254, v149 /*v405*/
	s_set_vgpr_msb 5                        ;  msbs: dst=0 src0=1 src1=1 src2=0
	v_mul_i32_i24_e32 v236, v1 /*v257*/, v151 /*v407*/
	v_mul_i32_i24_e32 v249, v17 /*v273*/, v150 /*v406*/
	s_set_vgpr_msb 0x45                     ;  msbs: dst=1 src0=1 src1=1 src2=0
	v_mul_i32_i24_e32 v37 /*v293*/, v100 /*v356*/, v43 /*v299*/
	v_mul_i32_i24_e32 v38 /*v294*/, v105 /*v361*/, v47 /*v303*/
	;; [unrolled: 1-line block ×5, first 2 shown]
	s_set_vgpr_msb 5                        ;  msbs: dst=0 src0=1 src1=1 src2=0
	v_mul_i32_i24_e32 v254, v41 /*v297*/, v147 /*v403*/
	v_mul_i32_i24_e32 v255, v41 /*v297*/, v146 /*v402*/
	s_set_vgpr_msb 0x55                     ;  msbs: dst=1 src0=1 src1=1 src2=1
	v_mul_i32_i24_e32 v0 /*v256*/, v44 /*v300*/, v156 /*v412*/
	v_mul_i32_i24_e32 v1 /*v257*/, v44 /*v300*/, v155 /*v411*/
	;; [unrolled: 1-line block ×3, first 2 shown]
	v_add3_u32 v67 /*v323*/, v99 /*v355*/, v8 /*v264*/, v74 /*v330*/
	v_mul_i32_i24_e32 v60 /*v316*/, v105 /*v361*/, v131 /*v387*/
	v_mul_i32_i24_e32 v26 /*v282*/, v143 /*v399*/, v50 /*v306*/
	;; [unrolled: 1-line block ×6, first 2 shown]
	v_add3_u32 v74 /*v330*/, v106 /*v362*/, v27 /*v283*/, v6 /*v262*/
	v_mul_i32_i24_e32 v71 /*v327*/, v100 /*v356*/, v134 /*v390*/
	v_mul_i32_i24_e32 v73 /*v329*/, v105 /*v361*/, v139 /*v395*/
	s_set_vgpr_msb 0x41                     ;  msbs: dst=1 src0=1 src1=0 src2=0
	v_add3_u32 v79 /*v335*/, v113 /*v369*/, v253, v252
	s_set_vgpr_msb 0x45                     ;  msbs: dst=1 src0=1 src1=1 src2=0
	v_mul_i32_i24_e32 v46 /*v302*/, v143 /*v399*/, v51 /*v307*/
	s_set_vgpr_msb 0x51                     ;  msbs: dst=1 src0=1 src1=0 src2=1
	v_add3_u32 v80 /*v336*/, v115 /*v371*/, v250, v53 /*v309*/
	s_set_vgpr_msb 0x45                     ;  msbs: dst=1 src0=1 src1=1 src2=0
	v_mul_i32_i24_e32 v49 /*v305*/, v107 /*v363*/, v130 /*v386*/
	v_mul_i32_i24_e32 v53 /*v309*/, v107 /*v363*/, v145 /*v401*/
	s_set_vgpr_msb 0x41                     ;  msbs: dst=1 src0=1 src1=0 src2=0
	v_add3_u32 v81 /*v337*/, v117 /*v373*/, v245, v244
	s_set_vgpr_msb 0x45                     ;  msbs: dst=1 src0=1 src1=1 src2=0
	v_mul_i32_i24_e32 v21 /*v277*/, v94 /*v350*/, v147 /*v403*/
	v_mul_i32_i24_e32 v22 /*v278*/, v94 /*v350*/, v146 /*v402*/
	;; [unrolled: 1-line block ×8, first 2 shown]
	s_set_vgpr_msb 5                        ;  msbs: dst=0 src0=1 src1=1 src2=0
	v_mul_i32_i24_e32 v250, v143 /*v399*/, v93 /*v349*/
	v_mul_i32_i24_e32 v252, v110 /*v366*/, v130 /*v386*/
	;; [unrolled: 1-line block ×5, first 2 shown]
	s_set_vgpr_msb 0x55                     ;  msbs: dst=1 src0=1 src1=1 src2=1
	v_mul_i32_i24_e32 v86 /*v342*/, v95 /*v351*/, v132 /*v388*/
	v_add3_u32 v99 /*v355*/, v123 /*v379*/, v25 /*v281*/, v66 /*v322*/
	v_mul_i32_i24_e32 v25 /*v281*/, v163 /*v419*/, v138 /*v394*/
	v_mul_i32_i24_e32 v101 /*v357*/, v92 /*v348*/, v43 /*v299*/
	v_add3_u32 v100 /*v356*/, v124 /*v380*/, v84 /*v340*/, v65 /*v321*/
	v_mul_i32_i24_e32 v104 /*v360*/, v162 /*v418*/, v47 /*v303*/
	v_mul_i32_i24_e32 v103 /*v359*/, v92 /*v348*/, v121 /*v377*/
	;; [unrolled: 1-line block ×43, first 2 shown]
	s_set_vgpr_msb 0x41                     ;  msbs: dst=1 src0=1 src1=0 src2=0
	v_mul_i32_i24_e32 v109 /*v365*/, v44 /*v300*/, v96
	s_set_vgpr_msb 0x45                     ;  msbs: dst=1 src0=1 src1=1 src2=0
	v_mul_i32_i24_e32 v110 /*v366*/, v44 /*v300*/, v179 /*v435*/
	s_set_vgpr_msb 0x41                     ;  msbs: dst=1 src0=1 src1=0 src2=0
	v_mul_i32_i24_e32 v111 /*v367*/, v112 /*v368*/, v96
	v_mul_i32_i24_e32 v113 /*v369*/, v114 /*v370*/, v96
	v_mul_i32_i24_e32 v44 /*v300*/, v133 /*v389*/, v96
	s_set_vgpr_msb 0x45                     ;  msbs: dst=1 src0=1 src1=1 src2=0
	v_mul_i32_i24_e32 v45 /*v301*/, v133 /*v389*/, v179 /*v435*/
	v_mul_i32_i24_e32 v138 /*v394*/, v136 /*v392*/, v141 /*v397*/
	v_mul_i32_i24_e32 v139 /*v395*/, v153 /*v409*/, v141 /*v397*/
	v_mul_i32_i24_e32 v135 /*v391*/, v154 /*v410*/, v141 /*v397*/
	v_mul_i32_i24_e32 v136 /*v392*/, v161 /*v417*/, v141 /*v397*/
	s_set_vgpr_msb 5                        ;  msbs: dst=0 src0=1 src1=1 src2=0
	v_mul_i32_i24_e32 v96, v158 /*v414*/, v137 /*v393*/
	s_set_vgpr_msb 0x45                     ;  msbs: dst=1 src0=1 src1=1 src2=0
	v_mul_i32_i24_e32 v133 /*v389*/, v169 /*v425*/, v141 /*v397*/
	v_mul_i32_i24_e32 v141 /*v397*/, v167 /*v423*/, v137 /*v393*/
	s_set_vgpr_msb 0x54                     ;  msbs: dst=1 src0=0 src1=1 src2=1
	v_add3_u32 v143 /*v399*/, v100, v144 /*v400*/, v143 /*v399*/
	v_add3_u32 v144 /*v400*/, v98, v147 /*v403*/, v146 /*v402*/
	s_set_vgpr_msb 0x51                     ;  msbs: dst=1 src0=1 src1=0 src2=1
	v_add3_u32 v137 /*v393*/, v181 /*v437*/, v96, v159 /*v415*/
	s_set_vgpr_msb 5                        ;  msbs: dst=0 src0=1 src1=1 src2=0
	v_mul_i32_i24_e32 v222, v56 /*v312*/, v10 /*v266*/
	s_set_vgpr_msb 0x55                     ;  msbs: dst=1 src0=1 src1=1 src2=1
	v_add3_u32 v127 /*v383*/, v127 /*v383*/, v141 /*v397*/, v140 /*v396*/
	s_set_vgpr_msb 5                        ;  msbs: dst=0 src0=1 src1=1 src2=0
	v_mul_i32_i24_e32 v240, v107 /*v363*/, v10 /*v266*/
	s_set_vgpr_msb 0x45                     ;  msbs: dst=1 src0=1 src1=1 src2=0
	v_mul_i32_i24_e32 v123 /*v379*/, v173 /*v429*/, v43 /*v299*/
	v_mul_i32_i24_e32 v106 /*v362*/, v157 /*v413*/, v50 /*v306*/
	;; [unrolled: 1-line block ×5, first 2 shown]
	s_set_vgpr_msb 1                        ;  msbs: dst=0 src0=1 src1=0 src2=0
	v_add3_u32 v117, v39 /*v295*/, v135, v117
	v_add3_u32 v102, v52 /*v308*/, v102, v103
	v_add3_u32 v103, v54 /*v310*/, v144, v136
	v_add3_u32 v107, v31 /*v287*/, v107, v108
	v_add3_u32 v108, v57 /*v313*/, v145, v143
	v_add3_u32 v111, v33 /*v289*/, v111, v113
	s_set_vgpr_msb 5                        ;  msbs: dst=0 src0=1 src1=1 src2=0
	v_add3_u32 v113, v58 /*v314*/, v134 /*v390*/, v146
	s_set_vgpr_msb 17                       ;  msbs: dst=0 src0=1 src1=0 src2=1
	v_add3_u32 v135, v67 /*v323*/, v218, v132 /*v388*/
	s_set_vgpr_msb 1                        ;  msbs: dst=0 src0=1 src1=0 src2=0
	v_add3_u32 v136, v59 /*v315*/, v153, v156
	v_add3_u32 v143, v68 /*v324*/, v224, v225
	;; [unrolled: 1-line block ×6, first 2 shown]
	s_set_vgpr_msb 21                       ;  msbs: dst=0 src0=1 src1=1 src2=1
	v_add3_u32 v156, v72 /*v328*/, v2 /*v258*/, v138 /*v394*/
	v_add3_u32 v159, v80 /*v336*/, v32 /*v288*/, v139 /*v395*/
	;; [unrolled: 1-line block ×10, first 2 shown]
	s_set_vgpr_msb 0x55                     ;  msbs: dst=1 src0=1 src1=1 src2=1
	v_add3_u32 v2 /*v258*/, v100 /*v356*/, v103 /*v359*/, v108 /*v364*/
	v_add3_u32 v12 /*v268*/, v144 /*v400*/, v128 /*v384*/, v129 /*v385*/
	;; [unrolled: 1-line block ×3, first 2 shown]
	v_mul_i32_i24_e32 v9 /*v265*/, v112 /*v368*/, v156 /*v412*/
	v_mul_i32_i24_e32 v10 /*v266*/, v112 /*v368*/, v155 /*v411*/
	v_add3_u32 v102 /*v358*/, v125 /*v381*/, v25 /*v281*/, v86 /*v342*/
	v_mul_i32_i24_e32 v66 /*v322*/, v163 /*v419*/, v150 /*v406*/
	v_mul_i32_i24_e32 v85 /*v341*/, v83 /*v339*/, v180 /*v436*/
	;; [unrolled: 1-line block ×8, first 2 shown]
	s_set_vgpr_msb 0                        ;  msbs: dst=0 src0=0 src1=0 src2=0
	ds_load_b32 v96, v199
	ds_load_b32 v100, v200
	;; [unrolled: 1-line block ×3, first 2 shown]
	s_set_vgpr_msb 64                       ;  msbs: dst=1 src0=0 src1=0 src2=0
	ds_load_b32 v146 /*v402*/, v201
	s_set_vgpr_msb 21                       ;  msbs: dst=0 src0=1 src1=1 src2=1
	v_add3_u32 v248, v143 /*v399*/, v123 /*v379*/, v124 /*v380*/
	s_set_vgpr_msb 0                        ;  msbs: dst=0 src0=0 src1=0 src2=0
	v_add3_u32 v117, v117, v120, v122
	v_add3_u32 v97, v102, v97, v99
	;; [unrolled: 1-line block ×15, first 2 shown]
	s_set_vgpr_msb 20                       ;  msbs: dst=0 src0=0 src1=1 src2=1
	v_add3_u32 v133, v159, v3 /*v259*/, v5 /*v261*/
	v_add3_u32 v135, v208, v13 /*v269*/, v17 /*v273*/
	;; [unrolled: 1-line block ×9, first 2 shown]
	s_set_vgpr_msb 21                       ;  msbs: dst=0 src0=1 src1=1 src2=1
	v_add3_u32 v153, v12 /*v268*/, v115 /*v371*/, v118 /*v374*/
	v_add3_u32 v156, v2 /*v258*/, v106 /*v362*/, v117 /*v373*/
	;; [unrolled: 1-line block ×3, first 2 shown]
	s_set_vgpr_msb 0x55                     ;  msbs: dst=1 src0=1 src1=1 src2=1
	v_mul_i32_i24_e32 v25 /*v281*/, v162 /*v418*/, v151 /*v407*/
	v_mul_i32_i24_e32 v50 /*v306*/, v173 /*v429*/, v149 /*v405*/
	;; [unrolled: 1-line block ×3, first 2 shown]
	v_add3_u32 v142 /*v398*/, v142 /*v398*/, v148 /*v404*/, v145 /*v401*/
	s_set_vgpr_msb 20                       ;  msbs: dst=0 src0=0 src1=1 src2=1
	v_add3_u32 v145, v248, v92 /*v348*/, v97 /*v353*/
	s_set_vgpr_msb 0                        ;  msbs: dst=0 src0=0 src1=0 src2=0
	v_add3_u32 v105, v117, v105, v106
	v_cvt_f32_i32_e32 v102, v97
	v_add3_u32 v97, v99, v114, v116
	v_add3_u32 v99, v103, v118, v119
	;; [unrolled: 1-line block ×14, first 2 shown]
	s_set_vgpr_msb 16                       ;  msbs: dst=0 src0=0 src1=0 src2=1
	v_add3_u32 v121, v136, v254, v0 /*v256*/
	v_add3_u32 v122, v135, v255, v1 /*v257*/
	s_set_vgpr_msb 20                       ;  msbs: dst=0 src0=0 src1=1 src2=1
	v_add3_u32 v123, v138, v7 /*v263*/, v9 /*v265*/
	v_add3_u32 v124, v137, v8 /*v264*/, v10 /*v266*/
	;; [unrolled: 1-line block ×9, first 2 shown]
	s_set_vgpr_msb 0x45                     ;  msbs: dst=1 src0=1 src1=1 src2=0
	v_mul_i32_i24_e32 v42 /*v298*/, v157 /*v413*/, v93 /*v349*/
	v_mul_i32_i24_e32 v43 /*v299*/, v166 /*v422*/, v93 /*v349*/
	s_set_vgpr_msb 0                        ;  msbs: dst=0 src0=0 src1=0 src2=0
	v_pk_mul_f32 v[94:95], v[94:95], s[12:13] op_sel_hi:[1,0]
	s_set_vgpr_msb 21                       ;  msbs: dst=0 src0=1 src1=1 src2=1
	v_add3_u32 v224, v79 /*v335*/, v19 /*v275*/, v20 /*v276*/
	s_set_vgpr_msb 0x55                     ;  msbs: dst=1 src0=1 src1=1 src2=1
	v_add3_u32 v14 /*v270*/, v102 /*v358*/, v105 /*v361*/, v116 /*v372*/
	v_add3_u32 v16 /*v272*/, v142 /*v398*/, v130 /*v386*/, v131 /*v387*/
	s_set_vgpr_msb 20                       ;  msbs: dst=0 src0=0 src1=1 src2=1
	v_add3_u32 v130, v145, v76 /*v332*/, v110 /*v366*/
	s_set_vgpr_msb 0                        ;  msbs: dst=0 src0=0 src1=0 src2=0
	v_add3_u32 v101, v105, v101, v104
	v_add3_u32 v97, v97, v109, v110
	v_cvt_f32_i32_e32 v104, v99
	v_add3_u32 v99, v103, v112, v115
	v_add3_u32 v132, v107, v132, v134
	v_cvt_f32_i32_e32 v109, v111
	v_cvt_f32_i32_e32 v108, v108
	;; [unrolled: 1-line block ×5, first 2 shown]
	v_add3_u32 v134, v114, v147, v148
	v_add3_u32 v139, v119, v226, v227
	v_cvt_f32_i32_e32 v115, v122
	v_cvt_f32_i32_e32 v114, v121
	;; [unrolled: 1-line block ×5, first 2 shown]
	v_add3_u32 v126, v120, v235, v236
	s_set_vgpr_msb 20                       ;  msbs: dst=0 src0=0 src1=1 src2=1
	v_add3_u32 v127, v127, v4 /*v260*/, v6 /*v262*/
	v_cvt_f32_i32_e32 v120, v129
	v_cvt_f32_i32_e32 v123, v135
	;; [unrolled: 1-line block ×3, first 2 shown]
	v_add3_u32 v128, v128, v24 /*v280*/, v25 /*v281*/
	v_add3_u32 v129, v138, v50 /*v306*/, v56 /*v312*/
	s_set_vgpr_msb 0x45                     ;  msbs: dst=1 src0=1 src1=1 src2=0
	v_mul_i32_i24_e32 v23 /*v279*/, v114 /*v370*/, v156 /*v412*/
	v_mul_i32_i24_e32 v93 /*v349*/, v94 /*v350*/, v180 /*v436*/
	;; [unrolled: 1-line block ×4, first 2 shown]
	s_set_vgpr_msb 20                       ;  msbs: dst=0 src0=0 src1=1 src2=1
	v_cvt_f32_i32_e32 v131, v131
	v_add3_u32 v140, v224, v46 /*v302*/, v49 /*v305*/
	s_set_vgpr_msb 21                       ;  msbs: dst=0 src0=1 src1=1 src2=1
	v_add3_u32 v157, v16 /*v272*/, v121 /*v377*/, v125 /*v381*/
	v_add3_u32 v158, v14 /*v270*/, v119 /*v375*/, v122 /*v378*/
	s_set_vgpr_msb 0                        ;  msbs: dst=0 src0=0 src1=0 src2=0
	v_cvt_f32_i32_e32 v106, v106
	v_cvt_f32_i32_e32 v121, v130
	;; [unrolled: 1-line block ×6, first 2 shown]
	v_pk_fma_f32 v[108:109], v[80:81], v[108:109], v[90:91] neg_lo:[0,0,1] neg_hi:[0,0,1]
	v_pk_fma_f32 v[110:111], v[80:81], v[110:111], v[90:91] neg_lo:[0,0,1] neg_hi:[0,0,1]
	v_add3_u32 v97, v139, v214, v217
	v_add3_u32 v99, v134, v213, v215
	v_pk_fma_f32 v[114:115], v[82:83], v[114:115], v[92:93] neg_lo:[0,0,1] neg_hi:[0,0,1]
	v_pk_fma_f32 v[116:117], v[82:83], v[116:117], v[92:93] neg_lo:[0,0,1] neg_hi:[0,0,1]
	v_add3_u32 v101, v127, v251, v253
	v_add3_u32 v126, v126, v250, v252
	v_pk_fma_f32 v[122:123], v[84:85], v[122:123], v[94:95] neg_lo:[0,0,1] neg_hi:[0,0,1]
	s_set_vgpr_msb 20                       ;  msbs: dst=0 src0=0 src1=1 src2=1
	v_add3_u32 v127, v129, v43 /*v299*/, v51 /*v307*/
	v_add3_u32 v128, v128, v42 /*v298*/, v47 /*v303*/
	;; [unrolled: 1-line block ×5, first 2 shown]
	s_set_vgpr_msb 0                        ;  msbs: dst=0 src0=0 src1=0 src2=0
	v_pk_fma_f32 v[102:103], v[86:87], v[102:103], v[88:89] neg_lo:[0,0,1] neg_hi:[0,0,1]
	v_pk_fma_f32 v[104:105], v[86:87], v[104:105], v[88:89] neg_lo:[0,0,1] neg_hi:[0,0,1]
	;; [unrolled: 1-line block ×4, first 2 shown]
	s_wait_dscnt 0x3
	v_pk_fma_f32 v[28:29], v[96:97], v[108:109], v[28:29] op_sel_hi:[0,1,1]
	s_wait_dscnt 0x2
	v_pk_fma_f32 v[26:27], v[100:101], v[110:111], v[26:27] op_sel_hi:[0,1,1]
	v_add3_u32 v88, v99, v161, v163
	v_add3_u32 v89, v97, v162, v204
	v_pk_fma_f32 v[14:15], v[96:97], v[114:115], v[14:15] op_sel_hi:[0,1,1]
	v_pk_fma_f32 v[12:13], v[100:101], v[116:117], v[12:13] op_sel_hi:[0,1,1]
	s_set_vgpr_msb 16                       ;  msbs: dst=0 src0=0 src1=0 src2=1
	v_add3_u32 v97, v126, v244, v40 /*v296*/
	v_add3_u32 v99, v101, v245, v41 /*v297*/
	s_set_vgpr_msb 0                        ;  msbs: dst=0 src0=0 src1=0 src2=0
	v_pk_fma_f32 v[4:5], v[100:101], v[122:123], v[4:5] op_sel_hi:[0,1,1]
	s_set_vgpr_msb 20                       ;  msbs: dst=0 src0=0 src1=1 src2=1
	v_add3_u32 v101, v128, v35 /*v291*/, v44 /*v300*/
	v_add3_u32 v110, v127, v36 /*v292*/, v45 /*v301*/
	v_cvt_f32_i32_e32 v113, v118
	v_cvt_f32_i32_e32 v118, v125
	;; [unrolled: 1-line block ×10, first 2 shown]
	s_set_vgpr_msb 0                        ;  msbs: dst=0 src0=0 src1=0 src2=0
	v_pk_fma_f32 v[112:113], v[80:81], v[112:113], v[90:91] neg_lo:[0,0,1] neg_hi:[0,0,1]
	v_pk_fma_f32 v[118:119], v[82:83], v[118:119], v[92:93] neg_lo:[0,0,1] neg_hi:[0,0,1]
	;; [unrolled: 1-line block ×7, first 2 shown]
	v_dual_add_nc_u32 v203, 16, v203 :: v_dual_add_nc_u32 v202, 4, v202
	v_dual_add_nc_u32 v201, 4, v201 :: v_dual_add_nc_u32 v200, 4, v200
	v_add_nc_u32_e32 v199, 4, v199
	s_wait_dscnt 0x0
	s_set_vgpr_msb 1                        ;  msbs: dst=0 src0=1 src1=0 src2=0
	v_pk_fma_f32 v[24:25], v[146:147] /*v[402:403]*/, v[112:113], v[24:25] op_sel_hi:[0,1,1]
	v_pk_fma_f32 v[10:11], v[146:147] /*v[402:403]*/, v[118:119], v[10:11] op_sel_hi:[0,1,1]
	s_set_vgpr_msb 0                        ;  msbs: dst=0 src0=0 src1=0 src2=0
	v_pk_fma_f32 v[6:7], v[96:97], v[120:121], v[6:7] op_sel_hi:[0,1,1]
	s_set_vgpr_msb 1                        ;  msbs: dst=0 src0=1 src1=0 src2=0
	v_pk_fma_f32 v[2:3], v[146:147] /*v[402:403]*/, v[124:125], v[2:3] op_sel_hi:[0,1,1]
	s_set_vgpr_msb 0                        ;  msbs: dst=0 src0=0 src1=0 src2=0
	v_pk_fma_f32 v[36:37], v[96:97], v[102:103], v[36:37] op_sel_hi:[0,1,1]
	v_pk_fma_f32 v[34:35], v[100:101], v[104:105], v[34:35] op_sel_hi:[0,1,1]
	s_set_vgpr_msb 1                        ;  msbs: dst=0 src0=1 src1=0 src2=0
	v_pk_fma_f32 v[32:33], v[146:147] /*v[402:403]*/, v[106:107], v[32:33] op_sel_hi:[0,1,1]
	s_set_vgpr_msb 0                        ;  msbs: dst=0 src0=0 src1=0 src2=0
	v_pk_fma_f32 v[30:31], v[98:99], v[86:87], v[30:31] op_sel_hi:[0,1,1]
	v_pk_fma_f32 v[22:23], v[98:99], v[80:81], v[22:23] op_sel_hi:[0,1,1]
	;; [unrolled: 1-line block ×4, first 2 shown]
	s_cbranch_scc1 .LBB117_12
; %bb.13:                               ;   in Loop: Header=BB117_7 Depth=1
	s_barrier_signal -1
	s_barrier_wait -1
	s_branch .LBB117_6
.LBB117_14:
	v_dual_mov_b32 v16, v17 :: v_dual_mov_b32 v18, v21
	s_mov_b32 s0, exec_lo
	v_cmpx_gt_u32_e64 s4, v39
	s_cbranch_execz .LBB117_3
.LBB117_15:
	v_mul_lo_u32 v21, v39, s6
	v_add_nc_u32_e32 v17, s13, v18
	s_delay_alu instid0(VALU_DEP_1)
	v_cmp_gt_u32_e32 vcc_lo, s6, v17
	s_and_saveexec_b32 s0, vcc_lo
	s_cbranch_execz .LBB117_17
; %bb.16:
	s_delay_alu instid0(VALU_DEP_3)
	v_add_nc_u32_e32 v18, v17, v21
	s_wait_kmcnt 0x0
	global_store_b32 v18, v36, s[8:9] scale_offset
.LBB117_17:
	s_wait_xcnt 0x0
	s_or_b32 exec_lo, exec_lo, s0
	v_add_nc_u32_e32 v18, 32, v17
	s_delay_alu instid0(VALU_DEP_1)
	v_cmp_gt_u32_e64 s0, s6, v18
	s_and_saveexec_b32 s1, s0
	s_cbranch_execz .LBB117_19
; %bb.18:
	v_add_nc_u32_e32 v19, v18, v21
	s_wait_kmcnt 0x0
	global_store_b32 v19, v34, s[8:9] scale_offset
.LBB117_19:
	s_wait_xcnt 0x0
	s_or_b32 exec_lo, exec_lo, s1
	v_add_nc_u32_e32 v19, 64, v17
	s_delay_alu instid0(VALU_DEP_1)
	v_cmp_gt_u32_e64 s1, s6, v19
	s_and_saveexec_b32 s2, s1
	s_cbranch_execz .LBB117_21
; %bb.20:
	v_add_nc_u32_e32 v20, v19, v21
	s_wait_kmcnt 0x0
	global_store_b32 v20, v32, s[8:9] scale_offset
.LBB117_21:
	;; [unrolled: 12-line block ×3, first 2 shown]
	s_wait_xcnt 0x0
	s_or_b32 exec_lo, exec_lo, s3
	v_add3_u32 v21, v16, s7, 8
	s_delay_alu instid0(VALU_DEP_1)
	v_cmp_gt_u32_e64 s3, s4, v21
	s_and_b32 exec_lo, exec_lo, s3
	s_cbranch_execz .LBB117_3
; %bb.24:
	v_mul_lo_u32 v21, v21, s6
	s_and_saveexec_b32 s3, vcc_lo
	s_cbranch_execnz .LBB117_64
; %bb.25:
	s_or_b32 exec_lo, exec_lo, s3
	s_and_saveexec_b32 s3, s0
	s_cbranch_execnz .LBB117_65
.LBB117_26:
	s_or_b32 exec_lo, exec_lo, s3
	s_and_saveexec_b32 s3, s1
	s_cbranch_execnz .LBB117_66
.LBB117_27:
	s_or_b32 exec_lo, exec_lo, s3
	s_and_saveexec_b32 s3, s2
	s_cbranch_execz .LBB117_29
.LBB117_28:
	v_add_nc_u32_e32 v21, v21, v20
	s_wait_kmcnt 0x0
	global_store_b32 v21, v31, s[8:9] scale_offset
.LBB117_29:
	s_wait_xcnt 0x0
	s_or_b32 exec_lo, exec_lo, s3
	v_add3_u32 v21, v16, s7, 16
	s_delay_alu instid0(VALU_DEP_1)
	v_cmp_gt_u32_e64 s3, s4, v21
	s_and_b32 exec_lo, exec_lo, s3
	s_cbranch_execz .LBB117_3
; %bb.30:
	v_mul_lo_u32 v21, v21, s6
	s_and_saveexec_b32 s3, vcc_lo
	s_cbranch_execnz .LBB117_67
; %bb.31:
	s_or_b32 exec_lo, exec_lo, s3
	s_and_saveexec_b32 s3, s0
	s_cbranch_execnz .LBB117_68
.LBB117_32:
	s_or_b32 exec_lo, exec_lo, s3
	s_and_saveexec_b32 s3, s1
	s_cbranch_execnz .LBB117_69
.LBB117_33:
	s_or_b32 exec_lo, exec_lo, s3
	s_and_saveexec_b32 s3, s2
	s_cbranch_execz .LBB117_35
.LBB117_34:
	v_add_nc_u32_e32 v21, v21, v20
	s_wait_kmcnt 0x0
	global_store_b32 v21, v22, s[8:9] scale_offset
.LBB117_35:
	s_wait_xcnt 0x0
	s_or_b32 exec_lo, exec_lo, s3
	v_add3_u32 v21, v16, s7, 24
	s_delay_alu instid0(VALU_DEP_1)
	v_cmp_gt_u32_e64 s3, s4, v21
	s_and_b32 exec_lo, exec_lo, s3
	s_cbranch_execz .LBB117_3
; %bb.36:
	v_mul_lo_u32 v21, v21, s6
	s_and_saveexec_b32 s3, vcc_lo
	s_cbranch_execnz .LBB117_70
; %bb.37:
	s_or_b32 exec_lo, exec_lo, s3
	s_and_saveexec_b32 s3, s0
	s_cbranch_execnz .LBB117_71
.LBB117_38:
	s_or_b32 exec_lo, exec_lo, s3
	s_and_saveexec_b32 s3, s1
	s_cbranch_execnz .LBB117_72
.LBB117_39:
	s_or_b32 exec_lo, exec_lo, s3
	s_and_saveexec_b32 s3, s2
	s_cbranch_execz .LBB117_41
.LBB117_40:
	v_add_nc_u32_e32 v21, v21, v20
	s_wait_kmcnt 0x0
	global_store_b32 v21, v23, s[8:9] scale_offset
.LBB117_41:
	s_wait_xcnt 0x0
	s_or_b32 exec_lo, exec_lo, s3
	v_add3_u32 v21, v16, s7, 32
	s_delay_alu instid0(VALU_DEP_1)
	v_cmp_gt_u32_e64 s3, s4, v21
	s_and_b32 exec_lo, exec_lo, s3
	s_cbranch_execz .LBB117_3
; %bb.42:
	v_mul_lo_u32 v21, v21, s6
	s_and_saveexec_b32 s3, vcc_lo
	s_cbranch_execnz .LBB117_73
; %bb.43:
	s_or_b32 exec_lo, exec_lo, s3
	s_and_saveexec_b32 s3, s0
	s_cbranch_execnz .LBB117_74
.LBB117_44:
	s_or_b32 exec_lo, exec_lo, s3
	s_and_saveexec_b32 s3, s1
	s_cbranch_execnz .LBB117_75
.LBB117_45:
	s_or_b32 exec_lo, exec_lo, s3
	s_and_saveexec_b32 s3, s2
	s_cbranch_execz .LBB117_47
.LBB117_46:
	v_add_nc_u32_e32 v10, v21, v20
	s_wait_kmcnt 0x0
	global_store_b32 v10, v8, s[8:9] scale_offset
.LBB117_47:
	s_wait_xcnt 0x0
	s_or_b32 exec_lo, exec_lo, s3
	v_add3_u32 v8, v16, s7, 40
	s_delay_alu instid0(VALU_DEP_1)
	v_cmp_gt_u32_e64 s3, s4, v8
	s_and_b32 exec_lo, exec_lo, s3
	s_cbranch_execz .LBB117_3
; %bb.48:
	v_mul_lo_u32 v8, v8, s6
	s_and_saveexec_b32 s3, vcc_lo
	s_cbranch_execnz .LBB117_76
; %bb.49:
	s_or_b32 exec_lo, exec_lo, s3
	s_and_saveexec_b32 s3, s0
	s_cbranch_execnz .LBB117_77
.LBB117_50:
	s_or_b32 exec_lo, exec_lo, s3
	s_and_saveexec_b32 s3, s1
	s_cbranch_execnz .LBB117_78
.LBB117_51:
	s_or_b32 exec_lo, exec_lo, s3
	s_and_saveexec_b32 s3, s2
	s_cbranch_execz .LBB117_53
.LBB117_52:
	v_add_nc_u32_e32 v8, v8, v20
	s_wait_kmcnt 0x0
	global_store_b32 v8, v9, s[8:9] scale_offset
.LBB117_53:
	s_wait_xcnt 0x0
	s_or_b32 exec_lo, exec_lo, s3
	v_add3_u32 v8, v16, s7, 48
	s_delay_alu instid0(VALU_DEP_1)
	v_cmp_gt_u32_e64 s3, s4, v8
	s_and_b32 exec_lo, exec_lo, s3
	s_cbranch_execz .LBB117_3
; %bb.54:
	v_mul_lo_u32 v8, v8, s6
	s_and_saveexec_b32 s3, vcc_lo
	s_cbranch_execnz .LBB117_79
; %bb.55:
	s_or_b32 exec_lo, exec_lo, s3
	s_and_saveexec_b32 s3, s0
	s_cbranch_execnz .LBB117_80
.LBB117_56:
	s_or_b32 exec_lo, exec_lo, s3
	s_and_saveexec_b32 s3, s1
	s_cbranch_execnz .LBB117_81
.LBB117_57:
	s_or_b32 exec_lo, exec_lo, s3
	s_and_saveexec_b32 s3, s2
	s_cbranch_execz .LBB117_59
.LBB117_58:
	v_add_nc_u32_e32 v2, v8, v20
	s_wait_kmcnt 0x0
	global_store_b32 v2, v0, s[8:9] scale_offset
.LBB117_59:
	s_wait_xcnt 0x0
	s_or_b32 exec_lo, exec_lo, s3
	v_add3_u32 v0, v16, s7, 56
	s_delay_alu instid0(VALU_DEP_1)
	v_cmp_gt_u32_e64 s3, s4, v0
	s_and_b32 exec_lo, exec_lo, s3
	s_cbranch_execz .LBB117_3
; %bb.60:
	v_mul_lo_u32 v0, v0, s6
	s_and_saveexec_b32 s3, vcc_lo
	s_cbranch_execnz .LBB117_82
; %bb.61:
	s_or_b32 exec_lo, exec_lo, s3
	s_and_saveexec_b32 s3, s0
	s_cbranch_execnz .LBB117_83
.LBB117_62:
	s_or_b32 exec_lo, exec_lo, s3
	s_and_saveexec_b32 s0, s1
	s_cbranch_execnz .LBB117_84
.LBB117_63:
	s_or_b32 exec_lo, exec_lo, s0
	s_delay_alu instid0(SALU_CYCLE_1)
	s_and_b32 exec_lo, exec_lo, s2
	s_cbranch_execz .LBB117_3
	s_branch .LBB117_85
.LBB117_64:
	s_delay_alu instid0(VALU_DEP_1)
	v_add_nc_u32_e32 v30, v21, v17
	s_wait_kmcnt 0x0
	global_store_b32 v30, v37, s[8:9] scale_offset
	s_wait_xcnt 0x0
	s_or_b32 exec_lo, exec_lo, s3
	s_and_saveexec_b32 s3, s0
	s_cbranch_execz .LBB117_26
.LBB117_65:
	s_delay_alu instid0(VALU_DEP_1)
	v_add_nc_u32_e32 v30, v21, v18
	s_wait_kmcnt 0x0
	global_store_b32 v30, v35, s[8:9] scale_offset
	s_wait_xcnt 0x0
	s_or_b32 exec_lo, exec_lo, s3
	s_and_saveexec_b32 s3, s1
	s_cbranch_execz .LBB117_27
.LBB117_66:
	s_delay_alu instid0(VALU_DEP_1)
	v_add_nc_u32_e32 v30, v21, v19
	s_wait_kmcnt 0x0
	global_store_b32 v30, v33, s[8:9] scale_offset
	s_wait_xcnt 0x0
	s_or_b32 exec_lo, exec_lo, s3
	s_and_saveexec_b32 s3, s2
	s_cbranch_execnz .LBB117_28
	s_branch .LBB117_29
.LBB117_67:
	s_delay_alu instid0(VALU_DEP_1)
	v_add_nc_u32_e32 v30, v21, v17
	s_wait_kmcnt 0x0
	global_store_b32 v30, v28, s[8:9] scale_offset
	s_wait_xcnt 0x0
	s_or_b32 exec_lo, exec_lo, s3
	s_and_saveexec_b32 s3, s0
	s_cbranch_execz .LBB117_32
.LBB117_68:
	s_delay_alu instid0(VALU_DEP_1)
	v_add_nc_u32_e32 v28, v21, v18
	s_wait_kmcnt 0x0
	global_store_b32 v28, v26, s[8:9] scale_offset
	s_wait_xcnt 0x0
	s_or_b32 exec_lo, exec_lo, s3
	s_and_saveexec_b32 s3, s1
	s_cbranch_execz .LBB117_33
.LBB117_69:
	s_delay_alu instid0(VALU_DEP_1)
	v_add_nc_u32_e32 v26, v21, v19
	s_wait_kmcnt 0x0
	global_store_b32 v26, v24, s[8:9] scale_offset
	s_wait_xcnt 0x0
	s_or_b32 exec_lo, exec_lo, s3
	s_and_saveexec_b32 s3, s2
	s_cbranch_execnz .LBB117_34
	s_branch .LBB117_35
.LBB117_70:
	s_delay_alu instid0(VALU_DEP_1)
	v_add_nc_u32_e32 v22, v21, v17
	s_wait_kmcnt 0x0
	global_store_b32 v22, v29, s[8:9] scale_offset
	s_wait_xcnt 0x0
	s_or_b32 exec_lo, exec_lo, s3
	s_and_saveexec_b32 s3, s0
	s_cbranch_execz .LBB117_38
.LBB117_71:
	s_delay_alu instid0(VALU_DEP_1)
	v_add_nc_u32_e32 v22, v21, v18
	s_wait_kmcnt 0x0
	global_store_b32 v22, v27, s[8:9] scale_offset
	s_wait_xcnt 0x0
	s_or_b32 exec_lo, exec_lo, s3
	s_and_saveexec_b32 s3, s1
	s_cbranch_execz .LBB117_39
.LBB117_72:
	s_delay_alu instid0(VALU_DEP_1)
	v_add_nc_u32_e32 v22, v21, v19
	s_wait_kmcnt 0x0
	global_store_b32 v22, v25, s[8:9] scale_offset
	s_wait_xcnt 0x0
	s_or_b32 exec_lo, exec_lo, s3
	s_and_saveexec_b32 s3, s2
	s_cbranch_execnz .LBB117_40
	s_branch .LBB117_41
.LBB117_73:
	s_delay_alu instid0(VALU_DEP_1)
	v_add_nc_u32_e32 v22, v21, v17
	s_wait_kmcnt 0x0
	global_store_b32 v22, v14, s[8:9] scale_offset
	s_wait_xcnt 0x0
	s_or_b32 exec_lo, exec_lo, s3
	s_and_saveexec_b32 s3, s0
	s_cbranch_execz .LBB117_44
.LBB117_74:
	s_delay_alu instid0(VALU_DEP_1)
	v_add_nc_u32_e32 v14, v21, v18
	s_wait_kmcnt 0x0
	global_store_b32 v14, v12, s[8:9] scale_offset
	s_wait_xcnt 0x0
	s_or_b32 exec_lo, exec_lo, s3
	s_and_saveexec_b32 s3, s1
	s_cbranch_execz .LBB117_45
.LBB117_75:
	s_delay_alu instid0(VALU_DEP_1)
	v_add_nc_u32_e32 v12, v21, v19
	s_wait_kmcnt 0x0
	global_store_b32 v12, v10, s[8:9] scale_offset
	s_wait_xcnt 0x0
	s_or_b32 exec_lo, exec_lo, s3
	s_and_saveexec_b32 s3, s2
	s_cbranch_execnz .LBB117_46
	s_branch .LBB117_47
.LBB117_76:
	s_delay_alu instid0(VALU_DEP_1)
	v_add_nc_u32_e32 v10, v8, v17
	s_wait_kmcnt 0x0
	global_store_b32 v10, v15, s[8:9] scale_offset
	s_wait_xcnt 0x0
	s_or_b32 exec_lo, exec_lo, s3
	s_and_saveexec_b32 s3, s0
	s_cbranch_execz .LBB117_50
.LBB117_77:
	s_delay_alu instid0(VALU_DEP_1)
	v_add_nc_u32_e32 v10, v8, v18
	s_wait_kmcnt 0x0
	global_store_b32 v10, v13, s[8:9] scale_offset
	s_wait_xcnt 0x0
	s_or_b32 exec_lo, exec_lo, s3
	s_and_saveexec_b32 s3, s1
	s_cbranch_execz .LBB117_51
.LBB117_78:
	s_delay_alu instid0(VALU_DEP_1)
	v_add_nc_u32_e32 v10, v8, v19
	s_wait_kmcnt 0x0
	global_store_b32 v10, v11, s[8:9] scale_offset
	s_wait_xcnt 0x0
	s_or_b32 exec_lo, exec_lo, s3
	s_and_saveexec_b32 s3, s2
	s_cbranch_execnz .LBB117_52
	s_branch .LBB117_53
.LBB117_79:
	s_delay_alu instid0(VALU_DEP_1)
	v_add_nc_u32_e32 v9, v8, v17
	s_wait_kmcnt 0x0
	global_store_b32 v9, v6, s[8:9] scale_offset
	s_wait_xcnt 0x0
	s_or_b32 exec_lo, exec_lo, s3
	s_and_saveexec_b32 s3, s0
	s_cbranch_execz .LBB117_56
.LBB117_80:
	s_delay_alu instid0(VALU_DEP_1)
	v_add_nc_u32_e32 v6, v8, v18
	s_wait_kmcnt 0x0
	global_store_b32 v6, v4, s[8:9] scale_offset
	s_wait_xcnt 0x0
	s_or_b32 exec_lo, exec_lo, s3
	s_and_saveexec_b32 s3, s1
	s_cbranch_execz .LBB117_57
.LBB117_81:
	s_delay_alu instid0(VALU_DEP_1)
	v_add_nc_u32_e32 v4, v8, v19
	s_wait_kmcnt 0x0
	global_store_b32 v4, v2, s[8:9] scale_offset
	s_wait_xcnt 0x0
	s_or_b32 exec_lo, exec_lo, s3
	s_and_saveexec_b32 s3, s2
	s_cbranch_execnz .LBB117_58
	s_branch .LBB117_59
.LBB117_82:
	s_delay_alu instid0(VALU_DEP_1)
	v_add_nc_u32_e32 v2, v0, v17
	s_wait_kmcnt 0x0
	global_store_b32 v2, v7, s[8:9] scale_offset
	s_wait_xcnt 0x0
	s_or_b32 exec_lo, exec_lo, s3
	s_and_saveexec_b32 s3, s0
	s_cbranch_execz .LBB117_62
.LBB117_83:
	s_delay_alu instid0(VALU_DEP_1)
	v_add_nc_u32_e32 v2, v0, v18
	s_wait_kmcnt 0x0
	global_store_b32 v2, v5, s[8:9] scale_offset
	s_wait_xcnt 0x0
	s_or_b32 exec_lo, exec_lo, s3
	s_and_saveexec_b32 s0, s1
	s_cbranch_execz .LBB117_63
.LBB117_84:
	s_delay_alu instid0(VALU_DEP_1) | instskip(SKIP_4) | instid1(SALU_CYCLE_1)
	v_add_nc_u32_e32 v2, v0, v19
	s_wait_kmcnt 0x0
	global_store_b32 v2, v3, s[8:9] scale_offset
	s_wait_xcnt 0x0
	s_or_b32 exec_lo, exec_lo, s0
	s_and_b32 exec_lo, exec_lo, s2
	s_cbranch_execz .LBB117_3
.LBB117_85:
	v_add_nc_u32_e32 v0, v0, v20
	s_wait_kmcnt 0x0
	global_store_b32 v0, v1, s[8:9] scale_offset
	s_sendmsg sendmsg(MSG_DEALLOC_VGPRS)
	s_endpgm
	.section	.rodata,"a",@progbits
	.p2align	6, 0x0
	.amdhsa_kernel _ZL12mul_mat_q4_0IfLb0EEvPKvS1_PT_iiiii
		.amdhsa_group_segment_fixed_size 30336
		.amdhsa_private_segment_fixed_size 0
		.amdhsa_kernarg_size 44
		.amdhsa_user_sgpr_count 2
		.amdhsa_user_sgpr_dispatch_ptr 0
		.amdhsa_user_sgpr_queue_ptr 0
		.amdhsa_user_sgpr_kernarg_segment_ptr 1
		.amdhsa_user_sgpr_dispatch_id 0
		.amdhsa_user_sgpr_kernarg_preload_length 0
		.amdhsa_user_sgpr_kernarg_preload_offset 0
		.amdhsa_user_sgpr_private_segment_size 0
		.amdhsa_wavefront_size32 1
		.amdhsa_uses_dynamic_stack 0
		.amdhsa_enable_private_segment 0
		.amdhsa_system_sgpr_workgroup_id_x 1
		.amdhsa_system_sgpr_workgroup_id_y 1
		.amdhsa_system_sgpr_workgroup_id_z 0
		.amdhsa_system_sgpr_workgroup_info 0
		.amdhsa_system_vgpr_workitem_id 1
		.amdhsa_next_free_vgpr 438
		.amdhsa_next_free_sgpr 18
		.amdhsa_named_barrier_count 0
		.amdhsa_reserve_vcc 1
		.amdhsa_float_round_mode_32 0
		.amdhsa_float_round_mode_16_64 0
		.amdhsa_float_denorm_mode_32 3
		.amdhsa_float_denorm_mode_16_64 3
		.amdhsa_fp16_overflow 0
		.amdhsa_memory_ordered 1
		.amdhsa_forward_progress 1
		.amdhsa_inst_pref_size 255
		.amdhsa_round_robin_scheduling 0
		.amdhsa_exception_fp_ieee_invalid_op 0
		.amdhsa_exception_fp_denorm_src 0
		.amdhsa_exception_fp_ieee_div_zero 0
		.amdhsa_exception_fp_ieee_overflow 0
		.amdhsa_exception_fp_ieee_underflow 0
		.amdhsa_exception_fp_ieee_inexact 0
		.amdhsa_exception_int_div_zero 0
	.end_amdhsa_kernel
	.section	.text._ZL12mul_mat_q4_0IfLb0EEvPKvS1_PT_iiiii,"axG",@progbits,_ZL12mul_mat_q4_0IfLb0EEvPKvS1_PT_iiiii,comdat
.Lfunc_end117:
	.size	_ZL12mul_mat_q4_0IfLb0EEvPKvS1_PT_iiiii, .Lfunc_end117-_ZL12mul_mat_q4_0IfLb0EEvPKvS1_PT_iiiii
                                        ; -- End function
	.set _ZL12mul_mat_q4_0IfLb0EEvPKvS1_PT_iiiii.num_vgpr, 438
	.set _ZL12mul_mat_q4_0IfLb0EEvPKvS1_PT_iiiii.num_agpr, 0
	.set _ZL12mul_mat_q4_0IfLb0EEvPKvS1_PT_iiiii.numbered_sgpr, 18
	.set _ZL12mul_mat_q4_0IfLb0EEvPKvS1_PT_iiiii.num_named_barrier, 0
	.set _ZL12mul_mat_q4_0IfLb0EEvPKvS1_PT_iiiii.private_seg_size, 0
	.set _ZL12mul_mat_q4_0IfLb0EEvPKvS1_PT_iiiii.uses_vcc, 1
	.set _ZL12mul_mat_q4_0IfLb0EEvPKvS1_PT_iiiii.uses_flat_scratch, 0
	.set _ZL12mul_mat_q4_0IfLb0EEvPKvS1_PT_iiiii.has_dyn_sized_stack, 0
	.set _ZL12mul_mat_q4_0IfLb0EEvPKvS1_PT_iiiii.has_recursion, 0
	.set _ZL12mul_mat_q4_0IfLb0EEvPKvS1_PT_iiiii.has_indirect_call, 0
	.section	.AMDGPU.csdata,"",@progbits
; Kernel info:
; codeLenInByte = 38676
; TotalNumSgprs: 20
; NumVgprs: 438
; ScratchSize: 0
; MemoryBound: 0
; FloatMode: 240
; IeeeMode: 1
; LDSByteSize: 30336 bytes/workgroup (compile time only)
; SGPRBlocks: 0
; VGPRBlocks: 27
; NumSGPRsForWavesPerEU: 20
; NumVGPRsForWavesPerEU: 438
; NamedBarCnt: 0
; Occupancy: 2
; WaveLimiterHint : 0
; COMPUTE_PGM_RSRC2:SCRATCH_EN: 0
; COMPUTE_PGM_RSRC2:USER_SGPR: 2
; COMPUTE_PGM_RSRC2:TRAP_HANDLER: 0
; COMPUTE_PGM_RSRC2:TGID_X_EN: 1
; COMPUTE_PGM_RSRC2:TGID_Y_EN: 1
; COMPUTE_PGM_RSRC2:TGID_Z_EN: 0
; COMPUTE_PGM_RSRC2:TIDIG_COMP_CNT: 1
	.section	.text._ZL12mul_mat_q4_0IfLb1EEvPKvS1_PT_iiiii,"axG",@progbits,_ZL12mul_mat_q4_0IfLb1EEvPKvS1_PT_iiiii,comdat
	.globl	_ZL12mul_mat_q4_0IfLb1EEvPKvS1_PT_iiiii ; -- Begin function _ZL12mul_mat_q4_0IfLb1EEvPKvS1_PT_iiiii
	.p2align	8
	.type	_ZL12mul_mat_q4_0IfLb1EEvPKvS1_PT_iiiii,@function
_ZL12mul_mat_q4_0IfLb1EEvPKvS1_PT_iiiii: ; @_ZL12mul_mat_q4_0IfLb1EEvPKvS1_PT_iiiii
; %bb.0:
	s_clause 0x1
	s_load_b128 s[4:7], s[0:1], 0x18
	s_load_b32 s11, s[0:1], 0x28
	s_bfe_u32 s2, ttmp6, 0x4000c
	s_bfe_u32 s8, ttmp6, 0x40010
	s_add_co_i32 s2, s2, 1
	s_and_b32 s3, ttmp6, 15
	s_mul_i32 s2, ttmp9, s2
	s_add_co_i32 s8, s8, 1
	s_add_co_i32 s3, s3, s2
	s_mul_i32 s2, ttmp7, s8
	s_bfe_u32 s8, ttmp6, 0x40004
	s_getreg_b32 s9, hwreg(HW_REG_IB_STS2, 6, 4)
	s_add_co_i32 s8, s8, s2
	s_cmp_eq_u32 s9, 0
	v_bfe_u32 v9, v0, 10, 10
	s_cselect_b32 s8, ttmp7, s8
	v_and_b32_e32 v29, 0x3ff, v0
	s_cselect_b32 s2, ttmp9, s3
	s_lshl_b32 s14, s8, 6
	s_mov_b32 s3, 0
	s_wait_kmcnt 0x0
	s_cmp_gt_i32 s4, 31
	s_cbranch_scc1 .LBB118_4
; %bb.1:
	v_bfe_u32 v8, v0, 10, 10
	v_and_b32_e32 v10, 0x3ff, v0
	s_delay_alu instid0(VALU_DEP_2)
	v_add_nc_u32_e32 v41, s14, v8
	s_load_b64 s[8:9], s[0:1], 0x10
	s_and_not1_b32 vcc_lo, exec_lo, s3
	s_lshl_b32 s15, s2, 7
	s_cbranch_vccz .LBB118_5
; %bb.2:
	v_mov_b64_e32 v[0:1], 0
	v_mov_b64_e32 v[12:13], 0
	;; [unrolled: 1-line block ×16, first 2 shown]
	s_wait_xcnt 0x0
	s_mov_b32 s0, exec_lo
	v_cmpx_gt_u32_e64 s6, v41
	s_cbranch_execnz .LBB118_15
.LBB118_3:
	s_sendmsg sendmsg(MSG_DEALLOC_VGPRS)
	s_endpgm
.LBB118_4:
                                        ; implicit-def: $vgpr8
                                        ; implicit-def: $vgpr10
                                        ; implicit-def: $vgpr41
	s_load_b64 s[8:9], s[0:1], 0x10
	s_lshl_b32 s15, s2, 7
.LBB118_5:
	s_delay_alu instid0(SALU_CYCLE_1) | instskip(SKIP_2) | instid1(SALU_CYCLE_1)
	s_not_b32 s13, s15
	v_bfe_u32 v43, v0, 3, 7
	s_add_co_i32 s5, s5, s13
	v_dual_add_nc_u32 v24, 8, v9 :: v_dual_min_i32 v25, s5, v9
	s_ashr_i32 s10, s4, 31
	s_delay_alu instid0(VALU_DEP_2) | instskip(NEXT) | instid1(VALU_DEP_2)
	v_lshl_add_u32 v30, v9, 2, v43
	v_dual_add_nc_u32 v27, 16, v9 :: v_dual_min_i32 v26, s5, v24
	v_add_nc_u32_e32 v41, s14, v9
	s_ashr_i32 s12, s7, 31
	s_lshr_b32 s10, s10, 27
	s_delay_alu instid0(VALU_DEP_2) | instskip(NEXT) | instid1(VALU_DEP_2)
	v_dual_add_nc_u32 v32, 24, v9 :: v_dual_min_i32 v31, s5, v27
	v_dual_add_nc_u32 v6, 8, v41 :: v_dual_min_i32 v33, s5, v30
	v_dual_add_nc_u32 v12, 16, v41 :: v_dual_add_nc_u32 v14, 24, v41
	v_dual_add_nc_u32 v16, 32, v41 :: v_dual_add_nc_u32 v18, 40, v41
	;; [unrolled: 1-line block ×3, first 2 shown]
	v_min_i32_e32 v35, s5, v32
	s_lshr_b32 s12, s12, 27
	s_add_co_i32 s4, s4, s10
	v_cvt_f64_u32_e32 v[4:5], v41
	s_ashr_i32 s16, s4, 5
	s_add_co_i32 s4, s7, s12
	s_add_co_i32 s7, s6, -1
	v_cvt_f64_u32_e32 v[6:7], v6
	v_cvt_f64_i32_e32 v[2:3], s7
	v_cvt_f64_u32_e32 v[12:13], v12
	v_cvt_f64_u32_e32 v[14:15], v14
	;; [unrolled: 1-line block ×6, first 2 shown]
	v_dual_mov_b32 v11, 0 :: v_dual_lshlrev_b32 v1, 2, v29
	v_dual_add_nc_u32 v34, 32, v9 :: v_dual_add_nc_u32 v37, 40, v9
	v_ashrrev_i32_e32 v28, 31, v33
	v_add_min_i32_e64 v74, v30, 32, s5
	v_add_min_i32_e64 v76, v30, 64, s5
	s_delay_alu instid0(VALU_DEP_4) | instskip(NEXT) | instid1(VALU_DEP_4)
	v_min_i32_e32 v36, s5, v34
	v_dual_lshrrev_b32 v28, 30, v28 :: v_dual_bitop2_b32 v10, 12, v1 bitop3:0x40
	v_add_nc_u32_e32 v38, 48, v9
	v_add_min_i32_e64 v30, 0x60, v30, s5
	v_dual_add_nc_u32 v40, 56, v9 :: v_dual_ashrrev_i32 v46, 31, v76
	s_delay_alu instid0(VALU_DEP_3) | instskip(NEXT) | instid1(VALU_DEP_3)
	v_dual_add_nc_u32 v39, v33, v28 :: v_dual_min_i32 v52, s5, v38
	v_ashrrev_i32_e32 v48, 31, v30
	v_bfe_u32 v8, v0, 2, 8
	v_dual_ashrrev_i32 v42, 31, v74 :: v_dual_min_i32 v50, s5, v37
	v_and_b32_e32 v28, 7, v0
	s_ashr_i32 s4, s4, 5
	s_delay_alu instid0(VALU_DEP_3)
	v_lshl_add_u32 v54, v9, 3, v8
	s_wait_xcnt 0x0
	s_load_b128 s[0:3], s[0:1], 0x0
	v_lshrrev_b32_e32 v42, 30, v42
	v_min_num_f64_e32 v[4:5], v[4:5], v[2:3]
	v_min_num_f64_e32 v[6:7], v[6:7], v[2:3]
	;; [unrolled: 1-line block ×8, first 2 shown]
	v_and_b32_e32 v23, 63, v54
	v_and_b32_e32 v54, 3, v0
	v_dual_lshrrev_b32 v48, 30, v48 :: v_dual_add_nc_u32 v22, v74, v42
	v_dual_lshlrev_b32 v44, 2, v28 :: v_dual_bitop2_b32 v39, -4, v39 bitop3:0x40
	s_delay_alu instid0(VALU_DEP_3)
	v_lshlrev_b32_e32 v56, 2, v54
	v_lshrrev_b32_e32 v46, 30, v46
	v_add_min_i32_e64 v62, 0x58, v9, s5
	v_add_min_i32_e64 v64, 0x60, v9, s5
	v_add3_u32 v39, v39, v44, 0x6200
	v_add_min_i32_e64 v66, 0x68, v9, s5
	v_dual_add_nc_u32 v42, v76, v46 :: v_dual_add_nc_u32 v46, v30, v48
	v_or_b32_e32 v48, s14, v23
	v_add_min_i32_e64 v68, 0x70, v9, s5
	v_add_min_i32_e64 v70, 0x78, v9, s5
	v_mad_u32 v45, 0x84, v25, v1
	v_and_b32_e32 v46, -4, v46
	v_min_i32_e32 v48, s7, v48
	v_and_b32_e32 v42, -4, v42
	v_and_b32_e32 v22, -4, v22
	v_mad_u32 v47, 0x84, v26, v1
	v_mad_u32 v49, 0x84, v31, v1
	;; [unrolled: 1-line block ×3, first 2 shown]
	v_min_i32_e32 v54, s5, v40
	v_cvt_i32_f64_e32 v4, v[4:5]
	v_lshlrev_b32_e32 v5, 5, v33
	v_cvt_i32_f64_e32 v6, v[6:7]
	v_cvt_i32_f64_e32 v7, v[12:13]
	;; [unrolled: 1-line block ×5, first 2 shown]
	v_add_nc_u32_e32 v18, 32, v29
	v_cvt_i32_f64_e32 v2, v[2:3]
	v_add_nc_u32_e32 v17, 64, v29
	v_cvt_i32_f64_e32 v15, v[20:21]
	v_add_nc_u32_e32 v16, 0x60, v29
	v_lshlrev_b32_e32 v3, 5, v29
	v_and_b32_e32 v19, 0x1fc, v18
	v_and_b32_e32 v17, 0x1fc, v17
	;; [unrolled: 1-line block ×4, first 2 shown]
	v_add3_u32 v22, v22, v44, 0x6200
	v_add3_u32 v42, v42, v44, 0x6200
	;; [unrolled: 1-line block ×3, first 2 shown]
	s_delay_alu instid0(VALU_DEP_4) | instskip(SKIP_3) | instid1(VALU_DEP_4)
	v_dual_lshlrev_b32 v21, 5, v74 :: v_dual_add_nc_u32 v16, v3, v16
	v_dual_add_nc_u32 v17, v3, v17 :: v_dual_add_nc_u32 v19, v3, v19
	v_add_nc_u32_e32 v3, v3, v20
	v_dual_lshlrev_b32 v20, 5, v76 :: v_dual_add_nc_u32 v61, v39, v5
	v_dual_lshlrev_b32 v5, 5, v30 :: v_dual_add_nc_u32 v63, v22, v21
	v_and_b32_e32 v22, 31, v0
	v_add_min_i32_e64 v21, v9, 64, s5
	s_delay_alu instid0(VALU_DEP_3)
	v_dual_add_nc_u32 v65, v42, v20 :: v_dual_add_nc_u32 v67, v44, v5
	v_add_min_i32_e64 v20, 0x48, v9, s5
	v_add_min_i32_e64 v5, 0x50, v9, s5
	v_mad_u32 v51, 0x84, v35, v1
	v_mad_u32 v53, 0x84, v36, v1
	;; [unrolled: 1-line block ×13, first 2 shown]
	v_dual_mov_b32 v1, v11 :: v_dual_bitop2_b32 v0, 28, v1 bitop3:0x40
	v_lshl_or_b32 v23, v23, 4, v56
	v_lshl_or_b32 v22, v22, 2, 0x4200
	v_mul_lo_u32 v168, s4, v4
	v_mul_lo_u32 v169, s4, v6
	v_lshlrev_b32_e32 v4, 7, v24
	v_mul_lo_u32 v170, s4, v7
	v_dual_lshlrev_b32 v6, 7, v27 :: v_dual_lshlrev_b32 v7, 7, v32
	v_mul_lo_u32 v171, s4, v12
	v_mul_lo_u32 v172, s4, v13
	v_dual_lshlrev_b32 v12, 7, v34 :: v_dual_lshlrev_b32 v13, 7, v37
	v_mul_lo_u32 v173, s4, v14
	v_lshlrev_b32_e32 v14, 7, v38
	v_mul_lo_u32 v175, s4, v2
	v_lshlrev_b32_e32 v2, 7, v40
	s_wait_kmcnt 0x0
	v_add_nc_u64_e32 v[38:39], s[2:3], v[0:1]
	v_dual_lshlrev_b32 v0, 7, v9 :: v_dual_add_nc_u32 v180, v22, v12
	v_mul_lo_u32 v174, s4, v15
	v_mul_lo_u32 v40, v25, s16
	v_mul_lo_u32 v42, v26, s16
	v_mul_lo_u32 v44, v31, s16
	v_mul_lo_u32 v46, v35, s16
	v_mul_lo_u32 v48, v36, s16
	v_mul_lo_u32 v50, v50, s16
	v_mul_lo_u32 v52, v52, s16
	v_mul_lo_u32 v54, v54, s16
	v_mul_lo_u32 v56, v21, s16
	v_mul_lo_u32 v58, v20, s16
	v_mul_lo_u32 v60, v5, s16
	v_mul_lo_u32 v62, v62, s16
	v_mul_lo_u32 v64, v64, s16
	v_mul_lo_u32 v66, v66, s16
	v_mul_lo_u32 v68, v68, s16
	v_mul_lo_u32 v70, v70, s16
	v_mul_lo_u32 v72, v33, s16
	v_mul_lo_u32 v74, v74, s16
	v_mul_lo_u32 v76, v76, s16
	v_mul_lo_u32 v78, v30, s16
	s_mul_i32 s12, s16, s15
	v_add_nc_u32_e32 v167, 0x7280, v23
	v_dual_lshrrev_b32 v176, 3, v18 :: v_dual_add_nc_u32 v177, v22, v4
	v_dual_add_nc_u32 v178, v22, v6 :: v_dual_add_nc_u32 v179, v22, v7
	v_dual_add_nc_u32 v181, v22, v13 :: v_dual_add_nc_u32 v182, v22, v14
	v_dual_add_nc_u32 v183, v22, v2 :: v_dual_add_nc_u32 v184, v22, v0
	v_add_nc_u32_e32 v185, 0x4200, v0
	v_add_nc_u32_e32 v186, 0x6e00, v16
	;; [unrolled: 1-line block ×9, first 2 shown]
	v_mov_b64_e32 v[36:37], 0
	v_mov_b64_e32 v[26:27], 0
	;; [unrolled: 1-line block ×16, first 2 shown]
	s_ashr_i32 s13, s12, 31
	v_mul_u32_u24_e32 v194, 0x84, v29
	v_lshl_add_u32 v195, v9, 4, 0x7280
	v_mad_u32_u24 v196, 0x84, v29, 64
	s_mul_u64 s[12:13], s[12:13], 18
	s_mov_b32 s5, 0
	s_add_nc_u64 s[0:1], s[0:1], s[12:13]
	s_add_co_i32 s7, s16, 3
	s_mov_b32 s10, 0x41000000
	s_mov_b32 s4, s5
	s_branch .LBB118_7
.LBB118_6:                              ;   in Loop: Header=BB118_7 Depth=1
	s_add_co_i32 s4, s4, 8
	s_add_co_i32 s7, s7, -8
	s_cmp_ge_i32 s4, s16
	s_cbranch_scc1 .LBB118_14
.LBB118_7:                              ; =>This Loop Header: Depth=1
                                        ;     Child Loop BB118_9 Depth 2
                                        ;     Child Loop BB118_12 Depth 2
	s_mul_u64 s[12:13], s[4:5], 18
	s_cmp_gt_u32 s7, 3
	s_add_nc_u64 s[12:13], s[0:1], s[12:13]
	s_delay_alu instid0(SALU_CYCLE_1) | instskip(NEXT) | instid1(VALU_DEP_1)
	v_mad_nc_u64_u32 v[80:81], v8, 18, s[12:13]
	v_mad_nc_i64_i32 v[82:83], v40, 18, v[80:81]
	s_delay_alu instid0(VALU_DEP_1)
	v_add_nc_u64_e32 v[82:83], v[82:83], v[10:11]
	global_load_b32 v82, v[82:83], off offset:2
	s_wait_loadcnt 0x0
	ds_store_b32 v45, v82
	s_wait_xcnt 0x0
	v_mad_nc_i64_i32 v[82:83], v42, 18, v[80:81]
	s_delay_alu instid0(VALU_DEP_1)
	v_add_nc_u64_e32 v[82:83], v[82:83], v[10:11]
	global_load_b32 v82, v[82:83], off offset:2
	s_wait_loadcnt 0x0
	ds_store_b32 v47, v82
	s_wait_xcnt 0x0
	;; [unrolled: 7-line block ×14, first 2 shown]
	v_mad_nc_i64_i32 v[82:83], v68, 18, v[80:81]
	v_mad_nc_i64_i32 v[80:81], v70, 18, v[80:81]
	s_delay_alu instid0(VALU_DEP_2) | instskip(NEXT) | instid1(VALU_DEP_2)
	v_add_nc_u64_e32 v[82:83], v[82:83], v[10:11]
	v_add_nc_u64_e32 v[80:81], v[80:81], v[10:11]
	s_clause 0x1
	global_load_b32 v82, v[82:83], off offset:2
	global_load_b32 v80, v[80:81], off offset:2
	s_wait_loadcnt 0x1
	ds_store_b32 v165, v82
	s_wait_loadcnt 0x0
	ds_store_b32 v166, v80
	s_wait_xcnt 0x0
	v_mad_nc_u64_u32 v[80:81], v28, 18, s[12:13]
	s_delay_alu instid0(VALU_DEP_1)
	v_mad_nc_i64_i32 v[82:83], v72, 18, v[80:81]
	global_load_u16 v82, v[82:83], off
	s_wait_loadcnt 0x0
	s_wait_xcnt 0x0
	v_cvt_f32_f16_e32 v82, v82
	ds_store_b32 v61, v82
	v_mad_nc_i64_i32 v[82:83], v74, 18, v[80:81]
	global_load_u16 v82, v[82:83], off
	s_wait_loadcnt 0x0
	s_wait_xcnt 0x0
	v_cvt_f32_f16_e32 v82, v82
	ds_store_b32 v63, v82
	v_mad_nc_i64_i32 v[82:83], v76, 18, v[80:81]
	v_mad_nc_i64_i32 v[80:81], v78, 18, v[80:81]
	s_clause 0x1
	global_load_u16 v82, v[82:83], off
	global_load_u16 v80, v[80:81], off
	s_wait_loadcnt 0x1
	s_wait_xcnt 0x1
	v_cvt_f32_f16_e32 v82, v82
	s_wait_loadcnt 0x0
	s_wait_xcnt 0x0
	v_cvt_f32_f16_e32 v80, v80
	ds_store_b32 v65, v82
	ds_store_b32 v67, v80
	s_cbranch_scc0 .LBB118_6
; %bb.8:                                ;   in Loop: Header=BB118_7 Depth=1
	v_dual_add_nc_u32 v81, s4, v57 :: v_dual_add_nc_u32 v80, s4, v43
	v_dual_mov_b32 v152, v192 :: v_dual_mov_b32 v154, v188
	s_mov_b32 s12, -4
	s_delay_alu instid0(VALU_DEP_2) | instskip(SKIP_2) | instid1(VALU_DEP_3)
	v_dual_mov_b32 v150, v185 :: v_dual_add_nc_u32 v82, v80, v168
	v_dual_mov_b32 v151, v195 :: v_dual_mov_b32 v153, v190
	v_dual_mov_b32 v155, v186 :: v_dual_mov_b32 v156, v194
	v_mad_nc_i64_i32 v[82:83], v82, 36, v[38:39]
	global_load_b32 v82, v[82:83], off offset:4
	s_wait_loadcnt 0x0
	ds_store_b32 v184, v82
	v_add_nc_u32_e32 v82, v80, v169
	s_delay_alu instid0(VALU_DEP_1) | instskip(SKIP_4) | instid1(VALU_DEP_1)
	v_mad_nc_i64_i32 v[82:83], v82, 36, v[38:39]
	global_load_b32 v82, v[82:83], off offset:4
	s_wait_loadcnt 0x0
	ds_store_b32 v177, v82
	v_add_nc_u32_e32 v82, v80, v170
	v_mad_nc_i64_i32 v[82:83], v82, 36, v[38:39]
	global_load_b32 v82, v[82:83], off offset:4
	s_wait_loadcnt 0x0
	ds_store_b32 v178, v82
	v_add_nc_u32_e32 v82, v80, v171
	s_delay_alu instid0(VALU_DEP_1) | instskip(SKIP_4) | instid1(VALU_DEP_1)
	v_mad_nc_i64_i32 v[82:83], v82, 36, v[38:39]
	global_load_b32 v82, v[82:83], off offset:4
	s_wait_loadcnt 0x0
	ds_store_b32 v179, v82
	v_add_nc_u32_e32 v82, v80, v172
	v_mad_nc_i64_i32 v[82:83], v82, 36, v[38:39]
	global_load_b32 v82, v[82:83], off offset:4
	s_wait_loadcnt 0x0
	ds_store_b32 v180, v82
	v_add_nc_u32_e32 v82, v80, v173
	s_delay_alu instid0(VALU_DEP_1) | instskip(SKIP_4) | instid1(VALU_DEP_1)
	v_mad_nc_i64_i32 v[82:83], v82, 36, v[38:39]
	global_load_b32 v82, v[82:83], off offset:4
	s_wait_loadcnt 0x0
	ds_store_b32 v181, v82
	v_dual_add_nc_u32 v82, v80, v174 :: v_dual_add_nc_u32 v80, v80, v175
	v_mad_nc_i64_i32 v[82:83], v82, 36, v[38:39]
	global_load_b32 v82, v[82:83], off offset:4
	s_wait_loadcnt 0x0
	ds_store_b32 v182, v82
	v_mad_nc_i64_i32 v[82:83], v80, 36, v[38:39]
	global_load_b32 v80, v[82:83], off offset:4
	s_wait_xcnt 0x0
	v_mad_nc_u64_u32 v[82:83], v81, 36, s[2:3]
	s_wait_loadcnt 0x0
	ds_store_b32 v183, v80
	global_load_b32 v80, v[82:83], off
	s_wait_loadcnt 0x0
	ds_store_b32 v167, v80
	s_wait_dscnt 0x0
	s_barrier_signal -1
	s_barrier_wait -1
.LBB118_9:                              ;   Parent Loop BB118_7 Depth=1
                                        ; =>  This Inner Loop Header: Depth=2
	v_add_nc_u32_e32 v88, 0x1080, v156
	ds_load_2addr_b32 v[84:85], v150 offset1:3
	ds_load_2addr_b32 v[82:83], v150 offset0:4 offset1:7
	v_add_nc_u32_e32 v89, 0x1088, v156
	v_add_nc_u32_e32 v92, 0x2100, v156
	ds_load_2addr_b32 v[100:101], v156 offset1:1
	ds_load_2addr_b32 v[86:87], v156 offset0:2 offset1:3
	ds_load_b32 v80, v155
	v_add_nc_u32_e32 v93, 0x2108, v156
	v_add_nc_u32_e32 v96, 0x3180, v156
	;; [unrolled: 1-line block ×6, first 2 shown]
	ds_load_2addr_b32 v[104:105], v88 offset1:1
	ds_load_2addr_b32 v[90:91], v89 offset1:1
	;; [unrolled: 1-line block ×4, first 2 shown]
	ds_load_2addr_b32 v[94:95], v120 offset0:4 offset1:7
	ds_load_2addr_b32 v[110:111], v96 offset1:1
	ds_load_2addr_b32 v[96:97], v97 offset1:1
	;; [unrolled: 1-line block ×4, first 2 shown]
	v_add_nc_u32_e32 v226, 0x800, v150
	v_add_nc_u32_e32 v251, 0x1800, v150
	s_set_vgpr_msb 64                       ;  msbs: dst=1 src0=0 src1=0 src2=0
	v_add_nc_u32_e32 v0 /*v256*/, 0x1c00, v150
	s_set_vgpr_msb 0                        ;  msbs: dst=0 src0=0 src1=0 src2=0
	v_add_nc_u32_e32 v156, 16, v156
	s_add_co_i32 s12, s12, 4
	v_add_nc_u32_e32 v155, 4, v155
	s_cmp_lt_u32 s12, 12
	s_wait_dscnt 0xd
	v_bfe_i32 v92, v84, 0, 8
	v_bfe_i32 v93, v84, 8, 8
	s_wait_dscnt 0xb
	v_and_b32_e32 v200, 15, v100
	v_bfe_i32 v98, v84, 16, 8
	s_wait_dscnt 0x6
	v_dual_ashrrev_i32 v99, 24, v84 :: v_dual_bitop2_b32 v202, 15, v102 bitop3:0x40
	v_bfe_u32 v201, v100, 8, 4
	v_bfe_u32 v161, v100, 16, 4
	;; [unrolled: 1-line block ×3, first 2 shown]
	s_wait_dscnt 0x3
	v_dual_lshrrev_b32 v217, 28, v111 :: v_dual_bitop2_b32 v204, 15, v104 bitop3:0x40
	v_lshrrev_b32_e32 v227, 28, v110
	v_mul_i32_i24_e32 v108, v200, v92
	v_bfe_u32 v224, v111, 24, 4
	v_dual_ashrrev_i32 v122, 24, v94 :: v_dual_bitop2_b32 v223, 15, v111 bitop3:0x40
	s_wait_dscnt 0x0
	v_dual_ashrrev_i32 v236, 24, v112 :: v_dual_ashrrev_i32 v228, 24, v106
	v_mul_i32_i24_e32 v109, v161, v98
	v_mul_i32_i24_e32 v116, v162, v99
	v_bfe_u32 v230, v110, 20, 4
	v_bfe_i32 v123, v94, 16, 8
	v_bfe_u32 v222, v111, 16, 4
	v_bfe_i32 v231, v112, 16, 8
	;; [unrolled: 2-line block ×3, first 2 shown]
	v_mad_i32_i24 v108, v201, v93, v108
	v_mul_i32_i24_e32 v117, v122, v227
	v_mul_i32_i24_e32 v118, v236, v224
	v_mul_i32_i24_e32 v119, v228, v217
	v_bfe_u32 v233, v110, 4, 4
	v_bfe_i32 v124, v94, 0, 8
	v_bfe_i32 v232, v112, 0, 8
	v_bfe_u32 v219, v111, 4, 4
	v_bfe_i32 v229, v106, 0, 8
	v_add3_u32 v108, v108, v109, v116
	v_mul_i32_i24_e32 v109, v123, v230
	v_mul_i32_i24_e32 v116, v231, v222
	v_add3_u32 v117, v117, v118, v119
	v_mul_i32_i24_e32 v118, v225, v214
	v_bfe_i32 v235, v82, 0, 8
	v_bfe_i32 v234, v82, 8, 8
	v_bfe_u32 v84, v100, 4, 4
	v_bfe_u32 v121, v100, 12, 4
	v_mul_i32_i24_e32 v119, v124, v233
	v_add3_u32 v109, v109, v116, v118
	v_mul_i32_i24_e32 v116, v232, v223
	v_mul_i32_i24_e32 v118, v229, v219
	v_mul_i32_i24_e32 v114, v84, v235
	v_mul_i32_i24_e32 v115, v121, v234
	v_bfe_u32 v205, v104, 8, 4
	v_bfe_u32 v163, v104, 16, 4
	v_dual_lshrrev_b32 v208, 28, v96 :: v_dual_bitop2_b32 v159, 15, v110 bitop3:0x40
	v_bfe_u32 v199, v104, 24, 4
	v_add3_u32 v116, v119, v116, v118
	v_mul_i32_i24_e32 v118, v204, v92
	v_bfe_u32 v203, v102, 8, 4
	v_bfe_u32 v197, v102, 16, 4
	;; [unrolled: 1-line block ×4, first 2 shown]
	v_mul_i32_i24_e32 v119, v163, v98
	v_add3_u32 v129, v108, v115, v114
	v_mul_i32_i24_e32 v108, v202, v92
	v_mul_i32_i24_e32 v114, v199, v99
	v_mad_i32_i24 v115, v205, v93, v118
	v_bfe_u32 v160, v110, 24, 4
	v_mul_i32_i24_e32 v92, v159, v92
	v_bfe_u32 v212, v96, 24, 4
	v_dual_ashrrev_i32 v221, 24, v113 :: v_dual_bitop2_b32 v211, 15, v96 bitop3:0x40
	v_add3_u32 v130, v115, v119, v114
	v_mul_i32_i24_e32 v114, v197, v98
	v_mad_i32_i24 v108, v203, v93, v108
	v_dual_ashrrev_i32 v215, 24, v107 :: v_dual_lshrrev_b32 v137, 28, v100
	v_mad_i32_i24 v92, v158, v93, v92
	v_mul_i32_i24_e32 v93, v157, v98
	v_mul_i32_i24_e32 v98, v160, v99
	v_bfe_i32 v218, v113, 0, 8
	v_bfe_u32 v209, v96, 4, 4
	v_bfe_i32 v216, v107, 0, 8
	v_bfe_u32 v210, v96, 16, 4
	v_add3_u32 v237, v92, v93, v98
	v_mul_i32_i24_e32 v92, v221, v212
	v_mul_i32_i24_e32 v93, v215, v208
	v_bfe_i32 v220, v113, 16, 8
	v_bfe_u32 v207, v96, 20, 4
	v_bfe_i32 v213, v107, 16, 8
	v_bfe_u32 v198, v102, 24, 4
	v_add3_u32 v126, v117, v92, v93
	v_mul_i32_i24_e32 v92, v218, v211
	v_mul_i32_i24_e32 v93, v216, v209
	v_bfe_u32 v136, v100, 20, 4
	v_mul_i32_i24_e32 v115, v198, v99
	v_bfe_u32 v139, v104, 12, 4
	v_bfe_u32 v141, v102, 12, 4
	v_add3_u32 v125, v116, v92, v93
	v_mul_i32_i24_e32 v92, v220, v210
	v_mul_i32_i24_e32 v93, v213, v207
	v_bfe_u32 v142, v102, 4, 4
	v_bfe_u32 v244, v102, 20, 4
	v_lshrrev_b32_e32 v102, 28, v102
	v_bfe_u32 v138, v104, 4, 4
	v_add3_u32 v127, v109, v92, v93
	ds_load_2addr_b32 v[92:93], v226 offset0:4 offset1:7
	v_bfe_u32 v242, v104, 20, 4
	v_lshrrev_b32_e32 v243, 28, v104
	v_add3_u32 v128, v108, v114, v115
	s_set_vgpr_msb 64                       ;  msbs: dst=1 src0=0 src1=0 src2=0
	v_bfe_i32 v22 /*v278*/, v82, 16, 8
	v_dual_ashrrev_i32 v23 /*v279*/, 24, v82 :: v_dual_lshrrev_b32 v31 /*v287*/, 4, v97
	s_set_vgpr_msb 4                        ;  msbs: dst=0 src0=0 src1=1 src2=0
	v_bfe_u32 v247, v97, 24, 4
	v_bfe_i32 v248, v95, 16, 8
	v_mul_i32_i24_e32 v82, v136, v22 /*v278*/
	v_bfe_i32 v252, v95, 0, 8
	s_set_vgpr_msb 1                        ;  msbs: dst=0 src0=1 src1=0 src2=0
	v_bfe_u32 v206, v31 /*v287*/, 16, 4
	s_set_vgpr_msb 0                        ;  msbs: dst=0 src0=0 src1=0 src2=0
	v_bfe_u32 v241, v97, 4, 4
	s_set_vgpr_msb 64                       ;  msbs: dst=1 src0=0 src1=0 src2=0
	v_bfe_u32 v34 /*v290*/, v101, 8, 4
	v_bfe_u32 v35 /*v291*/, v101, 24, 4
	;; [unrolled: 1-line block ×6, first 2 shown]
	s_set_vgpr_msb 0                        ;  msbs: dst=0 src0=0 src1=0 src2=0
	v_lshrrev_b32_e32 v110, 4, v110
	s_wait_dscnt 0x0
	v_bfe_i32 v240, v92, 8, 8
	v_bfe_i32 v239, v92, 0, 8
	;; [unrolled: 1-line block ×3, first 2 shown]
	v_ashrrev_i32_e32 v92, 24, v92
	v_lshrrev_b16 v110, 8, v110
	v_mul_i32_i24_e32 v98, v240, v121
	v_bfe_i32 v112, v112, 8, 8
	v_mul_i32_i24_e32 v99, v238, v136
	v_mul_i32_i24_e32 v100, v92, v137
	v_bfe_i32 v113, v113, 8, 8
	v_mad_i32_i24 v98, v239, v84, v98
	v_bfe_i32 v106, v106, 8, 8
	v_bfe_i32 v107, v107, 8, 8
	s_delay_alu instid0(VALU_DEP_3) | instskip(SKIP_3) | instid1(VALU_DEP_3)
	v_add3_u32 v131, v98, v99, v100
	v_mul_i32_i24_e32 v98, v240, v139
	v_mul_i32_i24_e32 v99, v238, v242
	;; [unrolled: 1-line block ×3, first 2 shown]
	v_mad_i32_i24 v98, v239, v138, v98
	s_delay_alu instid0(VALU_DEP_1)
	v_add3_u32 v132, v98, v99, v100
	v_mul_i32_i24_e32 v98, v240, v141
	v_mul_i32_i24_e32 v99, v238, v244
	v_mul_i32_i24_e32 v100, v92, v102
	v_mul_i32_i24_e32 v238, v230, v238
	v_mul_i32_i24_e32 v92, v227, v92
	v_mad_i32_i24 v98, v239, v142, v98
	s_delay_alu instid0(VALU_DEP_1)
	v_add3_u32 v133, v98, v99, v100
	v_add_nc_u32_e32 v100, 0xc00, v150
	ds_load_2addr_b32 v[98:99], v100 offset0:4 offset1:7
	s_wait_dscnt 0x0
	v_bfe_i32 v250, v98, 8, 8
	v_bfe_i32 v249, v98, 0, 8
	;; [unrolled: 1-line block ×3, first 2 shown]
	v_ashrrev_i32_e32 v246, 24, v98
	s_delay_alu instid0(VALU_DEP_4) | instskip(NEXT) | instid1(VALU_DEP_3)
	v_mul_i32_i24_e32 v104, v250, v121
	v_mul_i32_i24_e32 v98, v245, v136
	s_delay_alu instid0(VALU_DEP_3) | instskip(NEXT) | instid1(VALU_DEP_3)
	v_mul_i32_i24_e32 v108, v246, v137
	v_mad_i32_i24 v104, v249, v84, v104
	s_delay_alu instid0(VALU_DEP_1) | instskip(SKIP_3) | instid1(VALU_DEP_3)
	v_add3_u32 v134, v104, v98, v108
	v_mul_i32_i24_e32 v98, v250, v139
	v_mul_i32_i24_e32 v104, v245, v242
	;; [unrolled: 1-line block ×3, first 2 shown]
	v_mad_i32_i24 v98, v249, v138, v98
	s_delay_alu instid0(VALU_DEP_1)
	v_add3_u32 v135, v98, v104, v108
	v_mul_i32_i24_e32 v98, v250, v141
	v_mul_i32_i24_e32 v104, v245, v244
	;; [unrolled: 1-line block ×5, first 2 shown]
	v_mad_i32_i24 v98, v249, v142, v98
	s_delay_alu instid0(VALU_DEP_1)
	v_add3_u32 v140, v98, v104, v108
	v_add_nc_u32_e32 v98, 0x1000, v150
	ds_load_2addr_b32 v[108:109], v98 offset0:4 offset1:7
	s_wait_dscnt 0x0
	s_set_vgpr_msb 64                       ;  msbs: dst=1 src0=0 src1=0 src2=0
	v_bfe_i32 v3 /*v259*/, v108, 8, 8
	v_bfe_i32 v2 /*v258*/, v108, 0, 8
	s_set_vgpr_msb 0                        ;  msbs: dst=0 src0=0 src1=0 src2=0
	v_bfe_i32 v255, v108, 16, 8
	v_ashrrev_i32_e32 v108, 24, v108
	s_set_vgpr_msb 1                        ;  msbs: dst=0 src0=1 src1=0 src2=0
	v_mul_i32_i24_e32 v104, v3 /*v259*/, v121
	s_set_vgpr_msb 0                        ;  msbs: dst=0 src0=0 src1=0 src2=0
	v_mul_i32_i24_e32 v114, v255, v136
	v_mul_i32_i24_e32 v115, v108, v137
	s_set_vgpr_msb 1                        ;  msbs: dst=0 src0=1 src1=0 src2=0
	v_mad_i32_i24 v104, v2 /*v258*/, v84, v104
	s_set_vgpr_msb 0                        ;  msbs: dst=0 src0=0 src1=0 src2=0
	s_delay_alu instid0(VALU_DEP_1)
	v_add3_u32 v144, v104, v114, v115
	s_set_vgpr_msb 1                        ;  msbs: dst=0 src0=1 src1=0 src2=0
	v_mul_i32_i24_e32 v104, v3 /*v259*/, v139
	s_set_vgpr_msb 0                        ;  msbs: dst=0 src0=0 src1=0 src2=0
	v_mul_i32_i24_e32 v114, v255, v242
	v_mul_i32_i24_e32 v115, v108, v243
	s_set_vgpr_msb 1                        ;  msbs: dst=0 src0=1 src1=0 src2=0
	v_mad_i32_i24 v104, v2 /*v258*/, v138, v104
	s_set_vgpr_msb 0                        ;  msbs: dst=0 src0=0 src1=0 src2=0
	s_delay_alu instid0(VALU_DEP_1)
	v_add3_u32 v145, v104, v114, v115
	s_set_vgpr_msb 1                        ;  msbs: dst=0 src0=1 src1=0 src2=0
	v_mul_i32_i24_e32 v104, v3 /*v259*/, v141
	s_set_vgpr_msb 0                        ;  msbs: dst=0 src0=0 src1=0 src2=0
	v_mul_i32_i24_e32 v114, v255, v244
	v_mul_i32_i24_e32 v115, v108, v102
	;; [unrolled: 1-line block ×3, first 2 shown]
	s_set_vgpr_msb 1                        ;  msbs: dst=0 src0=1 src1=0 src2=0
	v_mad_i32_i24 v104, v2 /*v258*/, v142, v104
	s_set_vgpr_msb 0                        ;  msbs: dst=0 src0=0 src1=0 src2=0
	s_delay_alu instid0(VALU_DEP_1)
	v_add3_u32 v146, v104, v114, v115
	v_add_nc_u32_e32 v104, 0x1400, v150
	ds_load_2addr_b32 v[114:115], v104 offset0:4 offset1:7
	s_wait_dscnt 0x0
	s_set_vgpr_msb 64                       ;  msbs: dst=1 src0=0 src1=0 src2=0
	v_bfe_i32 v7 /*v263*/, v114, 8, 8
	v_bfe_i32 v6 /*v262*/, v114, 0, 8
	;; [unrolled: 1-line block ×3, first 2 shown]
	v_ashrrev_i32_e32 v5 /*v261*/, 24, v114
	s_set_vgpr_msb 1                        ;  msbs: dst=0 src0=1 src1=0 src2=0
	v_mul_i32_i24_e32 v116, v7 /*v263*/, v121
	s_delay_alu instid0(VALU_DEP_3) | instskip(NEXT) | instid1(VALU_DEP_3)
	v_mul_i32_i24_e32 v114, v4 /*v260*/, v136
	v_mul_i32_i24_e32 v117, v5 /*v261*/, v137
	s_delay_alu instid0(VALU_DEP_3) | instskip(SKIP_1) | instid1(VALU_DEP_1)
	v_mad_i32_i24 v116, v6 /*v262*/, v84, v116
	s_set_vgpr_msb 0                        ;  msbs: dst=0 src0=0 src1=0 src2=0
	v_add3_u32 v147, v116, v114, v117
	s_set_vgpr_msb 1                        ;  msbs: dst=0 src0=1 src1=0 src2=0
	v_mul_i32_i24_e32 v114, v7 /*v263*/, v139
	v_mul_i32_i24_e32 v116, v4 /*v260*/, v242
	;; [unrolled: 1-line block ×3, first 2 shown]
	s_delay_alu instid0(VALU_DEP_3) | instskip(SKIP_1) | instid1(VALU_DEP_1)
	v_mad_i32_i24 v114, v6 /*v262*/, v138, v114
	s_set_vgpr_msb 0                        ;  msbs: dst=0 src0=0 src1=0 src2=0
	v_add3_u32 v148, v114, v116, v117
	s_set_vgpr_msb 1                        ;  msbs: dst=0 src0=1 src1=0 src2=0
	v_mul_i32_i24_e32 v114, v7 /*v263*/, v141
	v_mul_i32_i24_e32 v116, v4 /*v260*/, v244
	;; [unrolled: 1-line block ×3, first 2 shown]
	s_delay_alu instid0(VALU_DEP_3) | instskip(SKIP_1) | instid1(VALU_DEP_1)
	v_mad_i32_i24 v114, v6 /*v262*/, v142, v114
	s_set_vgpr_msb 0                        ;  msbs: dst=0 src0=0 src1=0 src2=0
	v_add3_u32 v149, v114, v116, v117
	ds_load_2addr_b32 v[116:117], v251 offset0:4 offset1:7
	s_wait_dscnt 0x0
	s_set_vgpr_msb 64                       ;  msbs: dst=1 src0=0 src1=0 src2=0
	v_bfe_i32 v8 /*v264*/, v116, 8, 8
	v_bfe_i32 v9 /*v265*/, v116, 0, 8
	v_bfe_i32 v10 /*v266*/, v116, 16, 8
	v_ashrrev_i32_e32 v11 /*v267*/, 24, v116
	s_set_vgpr_msb 1                        ;  msbs: dst=0 src0=1 src1=0 src2=0
	v_mul_i32_i24_e32 v114, v8 /*v264*/, v121
	s_delay_alu instid0(VALU_DEP_3) | instskip(NEXT) | instid1(VALU_DEP_3)
	v_mul_i32_i24_e32 v116, v10 /*v266*/, v136
	v_mul_i32_i24_e32 v118, v11 /*v267*/, v137
	s_delay_alu instid0(VALU_DEP_3) | instskip(SKIP_1) | instid1(VALU_DEP_1)
	v_mad_i32_i24 v114, v9 /*v265*/, v84, v114
	s_set_vgpr_msb 64                       ;  msbs: dst=1 src0=0 src1=0 src2=0
	v_add3_u32 v12 /*v268*/, v114, v116, v118
	s_set_vgpr_msb 1                        ;  msbs: dst=0 src0=1 src1=0 src2=0
	v_mul_i32_i24_e32 v114, v8 /*v264*/, v139
	v_mul_i32_i24_e32 v116, v10 /*v266*/, v242
	;; [unrolled: 1-line block ×3, first 2 shown]
	s_delay_alu instid0(VALU_DEP_3) | instskip(SKIP_1) | instid1(VALU_DEP_1)
	v_mad_i32_i24 v114, v9 /*v265*/, v138, v114
	s_set_vgpr_msb 64                       ;  msbs: dst=1 src0=0 src1=0 src2=0
	v_add3_u32 v13 /*v269*/, v114, v116, v118
	s_set_vgpr_msb 1                        ;  msbs: dst=0 src0=1 src1=0 src2=0
	v_mul_i32_i24_e32 v114, v8 /*v264*/, v141
	v_mul_i32_i24_e32 v116, v10 /*v266*/, v244
	;; [unrolled: 1-line block ×3, first 2 shown]
	s_delay_alu instid0(VALU_DEP_3) | instskip(SKIP_1) | instid1(VALU_DEP_1)
	v_mad_i32_i24 v114, v9 /*v265*/, v142, v114
	s_set_vgpr_msb 64                       ;  msbs: dst=1 src0=0 src1=0 src2=0
	v_add3_u32 v14 /*v270*/, v114, v116, v118
	s_set_vgpr_msb 1                        ;  msbs: dst=0 src0=1 src1=0 src2=0
	ds_load_2addr_b32 v[118:119], v0 /*v256*/ offset0:4 offset1:7
	s_wait_dscnt 0x0
	s_set_vgpr_msb 64                       ;  msbs: dst=1 src0=0 src1=0 src2=0
	v_bfe_i32 v15 /*v271*/, v118, 8, 8
	v_bfe_i32 v16 /*v272*/, v118, 0, 8
	;; [unrolled: 1-line block ×3, first 2 shown]
	v_ashrrev_i32_e32 v18 /*v274*/, 24, v118
	s_set_vgpr_msb 1                        ;  msbs: dst=0 src0=1 src1=0 src2=0
	v_mul_i32_i24_e32 v114, v15 /*v271*/, v121
	s_delay_alu instid0(VALU_DEP_3) | instskip(NEXT) | instid1(VALU_DEP_3)
	v_mul_i32_i24_e32 v116, v17 /*v273*/, v136
	v_mul_i32_i24_e32 v118, v18 /*v274*/, v137
	s_delay_alu instid0(VALU_DEP_3) | instskip(SKIP_1) | instid1(VALU_DEP_1)
	v_mad_i32_i24 v114, v16 /*v272*/, v84, v114
	s_set_vgpr_msb 64                       ;  msbs: dst=1 src0=0 src1=0 src2=0
	v_add3_u32 v19 /*v275*/, v114, v116, v118
	s_set_vgpr_msb 1                        ;  msbs: dst=0 src0=1 src1=0 src2=0
	v_mul_i32_i24_e32 v114, v15 /*v271*/, v139
	v_mul_i32_i24_e32 v116, v17 /*v273*/, v242
	;; [unrolled: 1-line block ×3, first 2 shown]
	s_delay_alu instid0(VALU_DEP_3) | instskip(SKIP_1) | instid1(VALU_DEP_1)
	v_mad_i32_i24 v114, v16 /*v272*/, v138, v114
	s_set_vgpr_msb 64                       ;  msbs: dst=1 src0=0 src1=0 src2=0
	v_add3_u32 v20 /*v276*/, v114, v116, v118
	s_set_vgpr_msb 1                        ;  msbs: dst=0 src0=1 src1=0 src2=0
	v_mul_i32_i24_e32 v114, v15 /*v271*/, v141
	v_mul_i32_i24_e32 v116, v17 /*v273*/, v244
	;; [unrolled: 1-line block ×3, first 2 shown]
	s_delay_alu instid0(VALU_DEP_3) | instskip(SKIP_1) | instid1(VALU_DEP_1)
	v_mad_i32_i24 v114, v16 /*v272*/, v142, v114
	s_set_vgpr_msb 64                       ;  msbs: dst=1 src0=0 src1=0 src2=0
	v_add3_u32 v21 /*v277*/, v114, v116, v118
	s_set_vgpr_msb 4                        ;  msbs: dst=0 src0=0 src1=1 src2=0
	v_mul_i32_i24_e32 v114, v137, v23 /*v279*/
	s_set_vgpr_msb 0                        ;  msbs: dst=0 src0=0 src1=0 src2=0
	v_mul_i32_i24_e32 v116, v142, v235
	v_mul_i32_i24_e32 v118, v141, v234
	s_set_vgpr_msb 64                       ;  msbs: dst=1 src0=0 src1=0 src2=0
	v_add3_u32 v24 /*v280*/, v129, v82, v114
	s_set_vgpr_msb 0                        ;  msbs: dst=0 src0=0 src1=0 src2=0
	v_mul_i32_i24_e32 v82, v138, v235
	v_mul_i32_i24_e32 v114, v139, v234
	s_set_vgpr_msb 64                       ;  msbs: dst=1 src0=0 src1=0 src2=0
	v_add3_u32 v26 /*v282*/, v128, v118, v116
	s_set_vgpr_msb 0                        ;  msbs: dst=0 src0=0 src1=0 src2=0
	v_mul_i32_i24_e32 v116, v123, v136
	v_mul_i32_i24_e32 v118, v122, v137
	;; [unrolled: 1-line block ×3, first 2 shown]
	s_set_vgpr_msb 64                       ;  msbs: dst=1 src0=0 src1=0 src2=0
	v_add3_u32 v25 /*v281*/, v130, v114, v82
	s_set_vgpr_msb 0                        ;  msbs: dst=0 src0=0 src1=0 src2=0
	v_lshrrev_b16 v82, 8, v94
	v_add_nc_u32_e32 v130, 0x1c04, v150
	s_delay_alu instid0(VALU_DEP_2) | instskip(NEXT) | instid1(VALU_DEP_1)
	v_bfe_i32 v94, v82, 0, 8
	v_mul_i32_i24_e32 v82, v94, v121
	ds_load_2addr_b32 v[120:121], v120 offset1:3
	v_mul_i32_i24_e32 v114, v94, v141
	v_mad_i32_i24 v82, v124, v84, v82
	v_mul_i32_i24_e32 v84, v94, v139
	s_delay_alu instid0(VALU_DEP_3) | instskip(SKIP_1) | instid1(VALU_DEP_3)
	v_mad_i32_i24 v114, v124, v142, v114
	s_set_vgpr_msb 64                       ;  msbs: dst=1 src0=0 src1=0 src2=0
	v_add3_u32 v27 /*v283*/, v82, v116, v118
	s_set_vgpr_msb 0                        ;  msbs: dst=0 src0=0 src1=0 src2=0
	v_mad_i32_i24 v84, v124, v138, v84
	v_mul_i32_i24_e32 v82, v123, v242
	v_mul_i32_i24_e32 v116, v122, v243
	v_and_b32_e32 v118, 15, v97
	s_set_vgpr_msb 4                        ;  msbs: dst=0 src0=0 src1=1 src2=0
	v_mul_i32_i24_e32 v242, v242, v22 /*v278*/
	v_mul_i32_i24_e32 v243, v243, v23 /*v279*/
	s_set_vgpr_msb 0                        ;  msbs: dst=0 src0=0 src1=0 src2=0
	v_mul_i32_i24_e32 v108, v227, v108
	s_set_vgpr_msb 64                       ;  msbs: dst=1 src0=0 src1=0 src2=0
	v_add3_u32 v28 /*v284*/, v84, v82, v116
	s_set_vgpr_msb 0                        ;  msbs: dst=0 src0=0 src1=0 src2=0
	v_mul_i32_i24_e32 v82, v123, v244
	v_mul_i32_i24_e32 v84, v122, v102
	s_wait_dscnt 0x0
	s_set_vgpr_msb 64                       ;  msbs: dst=1 src0=0 src1=0 src2=0
	v_ashrrev_i32_e32 v1 /*v257*/, 24, v121
	s_set_vgpr_msb 0                        ;  msbs: dst=0 src0=0 src1=0 src2=0
	v_bfe_u32 v116, v97, 16, 4
	v_bfe_i32 v253, v121, 16, 8
	v_bfe_i32 v254, v121, 0, 8
	s_set_vgpr_msb 64                       ;  msbs: dst=1 src0=0 src1=0 src2=0
	v_add3_u32 v29 /*v285*/, v114, v82, v84
	s_set_vgpr_msb 0                        ;  msbs: dst=0 src0=0 src1=0 src2=0
	v_bfe_i32 v114, v120, 0, 8
	s_set_vgpr_msb 1                        ;  msbs: dst=0 src0=1 src1=0 src2=0
	v_mul_i32_i24_e32 v82, v1 /*v257*/, v247
	v_add_nc_u32_e32 v122, 0xc04, v150
	v_add_nc_u32_e32 v123, 0xc14, v150
	v_add3_u32 v242, v25 /*v281*/, v242, v243
	s_set_vgpr_msb 0                        ;  msbs: dst=0 src0=0 src1=0 src2=0
	v_mul_i32_i24_e32 v84, v159, v114
	s_set_vgpr_msb 4                        ;  msbs: dst=0 src0=0 src1=1 src2=0
	v_mul_i32_i24_e32 v243, v244, v22 /*v278*/
	v_mul_i32_i24_e32 v102, v102, v23 /*v279*/
	;; [unrolled: 1-line block ×3, first 2 shown]
	s_set_vgpr_msb 0x44                     ;  msbs: dst=1 src0=0 src1=1 src2=0
	v_mul_i32_i24_e32 v25 /*v281*/, v236, v40 /*v296*/
	s_set_vgpr_msb 64                       ;  msbs: dst=1 src0=0 src1=0 src2=0
	v_add3_u32 v30 /*v286*/, v126, v82, v84
	s_set_vgpr_msb 0                        ;  msbs: dst=0 src0=0 src1=0 src2=0
	v_mul_i32_i24_e32 v82, v253, v116
	v_mul_i32_i24_e32 v84, v248, v206
	v_add_nc_u32_e32 v126, 0x1404, v150
	s_set_vgpr_msb 1                        ;  msbs: dst=0 src0=1 src1=0 src2=0
	v_add3_u32 v102, v26 /*v282*/, v243, v102
	s_set_vgpr_msb 4                        ;  msbs: dst=0 src0=0 src1=1 src2=0
	v_mul_i32_i24_e32 v243, v112, v34 /*v290*/
	v_mul_i32_i24_e32 v236, v236, v43 /*v299*/
	s_set_vgpr_msb 64                       ;  msbs: dst=1 src0=0 src1=0 src2=0
	v_add3_u32 v32 /*v288*/, v127, v82, v84
	s_set_vgpr_msb 0                        ;  msbs: dst=0 src0=0 src1=0 src2=0
	v_mul_i32_i24_e32 v82, v254, v118
	v_mul_i32_i24_e32 v84, v252, v241
	v_add_nc_u32_e32 v127, 0x1414, v150
	s_set_vgpr_msb 1                        ;  msbs: dst=0 src0=1 src1=0 src2=0
	v_add3_u32 v243, v27 /*v283*/, v244, v243
	s_set_vgpr_msb 4                        ;  msbs: dst=0 src0=0 src1=1 src2=0
	v_mul_i32_i24_e32 v244, v112, v39 /*v295*/
	v_bfe_i32 v121, v121, 8, 8
	s_set_vgpr_msb 64                       ;  msbs: dst=1 src0=0 src1=0 src2=0
	v_add3_u32 v33 /*v289*/, v125, v82, v84
	s_set_vgpr_msb 0                        ;  msbs: dst=0 src0=0 src1=0 src2=0
	v_add_nc_u32_e32 v82, 0x804, v150
	v_add_nc_u32_e32 v84, 0x814, v150
	ds_load_2addr_b32 v[138:139], v82 offset1:1
	ds_load_2addr_b32 v[124:125], v84 offset1:1
	;; [unrolled: 1-line block ×4, first 2 shown]
	s_set_vgpr_msb 5                        ;  msbs: dst=0 src0=1 src1=1 src2=0
	v_add3_u32 v244, v28 /*v284*/, v25 /*v281*/, v244
	s_set_vgpr_msb 0x44                     ;  msbs: dst=1 src0=0 src1=1 src2=0
	v_mul_i32_i24_e32 v25 /*v281*/, v112, v42 /*v298*/
	s_set_vgpr_msb 64                       ;  msbs: dst=1 src0=0 src1=0 src2=0
	v_and_b32_e32 v65 /*v321*/, 15, v101
	v_bfe_u32 v28 /*v284*/, v105, 16, 4
	s_set_vgpr_msb 17                       ;  msbs: dst=0 src0=1 src1=0 src2=1
	v_add3_u32 v236, v29 /*v285*/, v236, v25 /*v281*/
	s_wait_dscnt 0x3
	s_set_vgpr_msb 64                       ;  msbs: dst=1 src0=0 src1=0 src2=0
	v_bfe_i32 v36 /*v292*/, v138, 8, 8
	s_wait_dscnt 0x1
	v_dual_ashrrev_i32 v37 /*v293*/, 24, v138 :: v_dual_ashrrev_i32 v46 /*v302*/, 24, v136
	v_bfe_i32 v45 /*v301*/, v136, 8, 8
	s_set_vgpr_msb 5                        ;  msbs: dst=0 src0=1 src1=1 src2=0
	v_mul_i32_i24_e32 v82, v36 /*v292*/, v34 /*v290*/
	s_delay_alu instid0(VALU_DEP_3) | instskip(SKIP_1) | instid1(VALU_DEP_1)
	v_mul_i32_i24_e32 v84, v37 /*v293*/, v35 /*v291*/
	s_set_vgpr_msb 64                       ;  msbs: dst=1 src0=0 src1=0 src2=0
	v_add3_u32 v38 /*v294*/, v131, v84, v82
	s_set_vgpr_msb 5                        ;  msbs: dst=0 src0=1 src1=1 src2=0
	v_mul_i32_i24_e32 v82, v36 /*v292*/, v39 /*v295*/
	v_mul_i32_i24_e32 v84, v37 /*v293*/, v40 /*v296*/
	s_set_vgpr_msb 0                        ;  msbs: dst=0 src0=0 src1=0 src2=0
	v_add_nc_u32_e32 v131, 0x1c14, v150
	s_set_vgpr_msb 64                       ;  msbs: dst=1 src0=0 src1=0 src2=0
	s_delay_alu instid0(VALU_DEP_2) | instskip(SKIP_4) | instid1(VALU_DEP_1)
	v_add3_u32 v41 /*v297*/, v132, v84, v82
	s_set_vgpr_msb 5                        ;  msbs: dst=0 src0=1 src1=1 src2=0
	v_mul_i32_i24_e32 v82, v36 /*v292*/, v42 /*v298*/
	v_mul_i32_i24_e32 v84, v37 /*v293*/, v43 /*v299*/
	s_set_vgpr_msb 64                       ;  msbs: dst=1 src0=0 src1=0 src2=0
	v_add3_u32 v44 /*v300*/, v133, v84, v82
	s_set_vgpr_msb 5                        ;  msbs: dst=0 src0=1 src1=1 src2=0
	v_mul_i32_i24_e32 v82, v45 /*v301*/, v34 /*v290*/
	v_mul_i32_i24_e32 v84, v46 /*v302*/, v35 /*v291*/
	s_set_vgpr_msb 64                       ;  msbs: dst=1 src0=0 src1=0 src2=0
	s_delay_alu instid0(VALU_DEP_1) | instskip(SKIP_4) | instid1(VALU_DEP_1)
	v_add3_u32 v47 /*v303*/, v134, v84, v82
	s_set_vgpr_msb 5                        ;  msbs: dst=0 src0=1 src1=1 src2=0
	v_mul_i32_i24_e32 v82, v45 /*v301*/, v39 /*v295*/
	v_mul_i32_i24_e32 v84, v46 /*v302*/, v40 /*v296*/
	s_set_vgpr_msb 64                       ;  msbs: dst=1 src0=0 src1=0 src2=0
	v_add3_u32 v48 /*v304*/, v135, v84, v82
	s_set_vgpr_msb 5                        ;  msbs: dst=0 src0=1 src1=1 src2=0
	v_mul_i32_i24_e32 v82, v45 /*v301*/, v42 /*v298*/
	v_mul_i32_i24_e32 v84, v46 /*v302*/, v43 /*v299*/
	s_set_vgpr_msb 64                       ;  msbs: dst=1 src0=0 src1=0 src2=0
	s_delay_alu instid0(VALU_DEP_1)
	v_add3_u32 v49 /*v305*/, v140, v84, v82
	s_set_vgpr_msb 0                        ;  msbs: dst=0 src0=0 src1=0 src2=0
	v_add_nc_u32_e32 v82, 0x1004, v150
	v_add_nc_u32_e32 v84, 0x1014, v150
	ds_load_2addr_b32 v[142:143], v82 offset1:1
	ds_load_2addr_b32 v[128:129], v84 offset1:1
	;; [unrolled: 1-line block ×4, first 2 shown]
	s_wait_dscnt 0x3
	s_set_vgpr_msb 64                       ;  msbs: dst=1 src0=0 src1=0 src2=0
	v_bfe_i32 v50 /*v306*/, v142, 8, 8
	s_wait_dscnt 0x1
	v_dual_ashrrev_i32 v51 /*v307*/, 24, v142 :: v_dual_ashrrev_i32 v56 /*v312*/, 24, v140
	v_bfe_i32 v55 /*v311*/, v140, 8, 8
	s_set_vgpr_msb 5                        ;  msbs: dst=0 src0=1 src1=1 src2=0
	v_mul_i32_i24_e32 v82, v50 /*v306*/, v34 /*v290*/
	s_delay_alu instid0(VALU_DEP_3) | instskip(SKIP_1) | instid1(VALU_DEP_1)
	v_mul_i32_i24_e32 v84, v51 /*v307*/, v35 /*v291*/
	s_set_vgpr_msb 64                       ;  msbs: dst=1 src0=0 src1=0 src2=0
	v_add3_u32 v52 /*v308*/, v144, v84, v82
	s_set_vgpr_msb 5                        ;  msbs: dst=0 src0=1 src1=1 src2=0
	v_mul_i32_i24_e32 v82, v50 /*v306*/, v39 /*v295*/
	v_mul_i32_i24_e32 v84, v51 /*v307*/, v40 /*v296*/
	s_set_vgpr_msb 64                       ;  msbs: dst=1 src0=0 src1=0 src2=0
	s_delay_alu instid0(VALU_DEP_1) | instskip(SKIP_4) | instid1(VALU_DEP_1)
	v_add3_u32 v53 /*v309*/, v145, v84, v82
	s_set_vgpr_msb 5                        ;  msbs: dst=0 src0=1 src1=1 src2=0
	v_mul_i32_i24_e32 v82, v50 /*v306*/, v42 /*v298*/
	v_mul_i32_i24_e32 v84, v51 /*v307*/, v43 /*v299*/
	s_set_vgpr_msb 64                       ;  msbs: dst=1 src0=0 src1=0 src2=0
	v_add3_u32 v54 /*v310*/, v146, v84, v82
	s_set_vgpr_msb 5                        ;  msbs: dst=0 src0=1 src1=1 src2=0
	v_mul_i32_i24_e32 v82, v55 /*v311*/, v34 /*v290*/
	v_mul_i32_i24_e32 v84, v56 /*v312*/, v35 /*v291*/
	s_set_vgpr_msb 64                       ;  msbs: dst=1 src0=0 src1=0 src2=0
	s_delay_alu instid0(VALU_DEP_1) | instskip(SKIP_4) | instid1(VALU_DEP_1)
	v_add3_u32 v57 /*v313*/, v147, v84, v82
	s_set_vgpr_msb 5                        ;  msbs: dst=0 src0=1 src1=1 src2=0
	v_mul_i32_i24_e32 v82, v55 /*v311*/, v39 /*v295*/
	v_mul_i32_i24_e32 v84, v56 /*v312*/, v40 /*v296*/
	s_set_vgpr_msb 64                       ;  msbs: dst=1 src0=0 src1=0 src2=0
	v_add3_u32 v58 /*v314*/, v148, v84, v82
	s_set_vgpr_msb 5                        ;  msbs: dst=0 src0=1 src1=1 src2=0
	v_mul_i32_i24_e32 v82, v55 /*v311*/, v42 /*v298*/
	v_mul_i32_i24_e32 v84, v56 /*v312*/, v43 /*v299*/
	s_set_vgpr_msb 64                       ;  msbs: dst=1 src0=0 src1=0 src2=0
	s_delay_alu instid0(VALU_DEP_1)
	v_add3_u32 v59 /*v315*/, v149, v84, v82
	s_set_vgpr_msb 0                        ;  msbs: dst=0 src0=0 src1=0 src2=0
	v_add_nc_u32_e32 v82, 0x1804, v150
	v_add_nc_u32_e32 v84, 0x1814, v150
	ds_load_2addr_b32 v[146:147], v82 offset1:1
	ds_load_2addr_b32 v[132:133], v84 offset1:1
	;; [unrolled: 1-line block ×4, first 2 shown]
	s_wait_dscnt 0x3
	s_set_vgpr_msb 64                       ;  msbs: dst=1 src0=0 src1=0 src2=0
	v_bfe_i32 v60 /*v316*/, v146, 8, 8
	s_wait_dscnt 0x1
	v_dual_ashrrev_i32 v61 /*v317*/, 24, v146 :: v_dual_ashrrev_i32 v63 /*v319*/, 24, v144
	v_bfe_i32 v62 /*v318*/, v144, 8, 8
	s_set_vgpr_msb 5                        ;  msbs: dst=0 src0=1 src1=1 src2=0
	v_mul_i32_i24_e32 v82, v60 /*v316*/, v34 /*v290*/
	s_delay_alu instid0(VALU_DEP_3) | instskip(SKIP_1) | instid1(VALU_DEP_1)
	v_mul_i32_i24_e32 v84, v61 /*v317*/, v35 /*v291*/
	s_set_vgpr_msb 0x41                     ;  msbs: dst=1 src0=1 src1=0 src2=0
	v_add3_u32 v12 /*v268*/, v12 /*v268*/, v84, v82
	s_set_vgpr_msb 5                        ;  msbs: dst=0 src0=1 src1=1 src2=0
	v_mul_i32_i24_e32 v82, v60 /*v316*/, v39 /*v295*/
	v_mul_i32_i24_e32 v84, v61 /*v317*/, v40 /*v296*/
	s_set_vgpr_msb 0x41                     ;  msbs: dst=1 src0=1 src1=0 src2=0
	s_delay_alu instid0(VALU_DEP_1) | instskip(SKIP_4) | instid1(VALU_DEP_1)
	v_add3_u32 v13 /*v269*/, v13 /*v269*/, v84, v82
	s_set_vgpr_msb 5                        ;  msbs: dst=0 src0=1 src1=1 src2=0
	v_mul_i32_i24_e32 v82, v60 /*v316*/, v42 /*v298*/
	v_mul_i32_i24_e32 v84, v61 /*v317*/, v43 /*v299*/
	s_set_vgpr_msb 0x41                     ;  msbs: dst=1 src0=1 src1=0 src2=0
	v_add3_u32 v14 /*v270*/, v14 /*v270*/, v84, v82
	s_set_vgpr_msb 5                        ;  msbs: dst=0 src0=1 src1=1 src2=0
	v_mul_i32_i24_e32 v82, v62 /*v318*/, v34 /*v290*/
	v_mul_i32_i24_e32 v84, v63 /*v319*/, v35 /*v291*/
	s_set_vgpr_msb 0x41                     ;  msbs: dst=1 src0=1 src1=0 src2=0
	s_delay_alu instid0(VALU_DEP_1) | instskip(SKIP_4) | instid1(VALU_DEP_1)
	v_add3_u32 v19 /*v275*/, v19 /*v275*/, v84, v82
	s_set_vgpr_msb 5                        ;  msbs: dst=0 src0=1 src1=1 src2=0
	v_mul_i32_i24_e32 v82, v62 /*v318*/, v39 /*v295*/
	v_mul_i32_i24_e32 v84, v63 /*v319*/, v40 /*v296*/
	s_set_vgpr_msb 0x41                     ;  msbs: dst=1 src0=1 src1=0 src2=0
	v_add3_u32 v20 /*v276*/, v20 /*v276*/, v84, v82
	s_set_vgpr_msb 5                        ;  msbs: dst=0 src0=1 src1=1 src2=0
	v_mul_i32_i24_e32 v82, v62 /*v318*/, v42 /*v298*/
	v_mul_i32_i24_e32 v84, v63 /*v319*/, v43 /*v299*/
	s_set_vgpr_msb 0x41                     ;  msbs: dst=1 src0=1 src1=0 src2=0
	s_delay_alu instid0(VALU_DEP_1)
	v_add3_u32 v21 /*v277*/, v21 /*v277*/, v84, v82
	s_set_vgpr_msb 0                        ;  msbs: dst=0 src0=0 src1=0 src2=0
	ds_load_2addr_b32 v[148:149], v150 offset0:1 offset1:2
	ds_load_2addr_b32 v[134:135], v150 offset0:5 offset1:6
	ds_load_b32 v82, v152
	ds_load_b32 v84, v153
	v_dual_add_nc_u32 v153, 4, v153 :: v_dual_bitop2_b32 v110, 15, v110 bitop3:0x40
	v_dual_add_nc_u32 v152, 4, v152 :: v_dual_add_nc_u32 v150, 32, v150
	s_delay_alu instid0(VALU_DEP_2) | instskip(NEXT) | instid1(VALU_DEP_1)
	v_and_b32_e32 v110, 0xffff, v110
	v_mul_i32_i24_e32 v234, v110, v234
	v_mul_i32_i24_e32 v240, v110, v240
	;; [unrolled: 1-line block ×3, first 2 shown]
	s_set_vgpr_msb 0x44                     ;  msbs: dst=1 src0=0 src1=1 src2=0
	v_mul_i32_i24_e32 v3 /*v259*/, v110, v3 /*v259*/
	v_mul_i32_i24_e32 v7 /*v263*/, v110, v7 /*v263*/
	s_set_vgpr_msb 0                        ;  msbs: dst=0 src0=0 src1=0 src2=0
	v_add3_u32 v234, v237, v234, v235
	v_and_b32_e32 v235, 0xf0f0f0f, v111
	v_lshrrev_b32_e32 v111, 4, v111
	s_wait_dscnt 0x3
	s_set_vgpr_msb 0x44                     ;  msbs: dst=1 src0=0 src1=1 src2=0
	v_bfe_i32 v64 /*v320*/, v148, 0, 8
	v_bfe_i32 v66 /*v322*/, v148, 8, 8
	v_mul_i32_i24_e32 v8 /*v264*/, v110, v8 /*v264*/
	s_set_vgpr_msb 0                        ;  msbs: dst=0 src0=0 src1=0 src2=0
	v_lshrrev_b16 v235, 8, v235
	v_lshrrev_b16 v111, 8, v111
	s_set_vgpr_msb 0x45                     ;  msbs: dst=1 src0=1 src1=1 src2=0
	v_mul_i32_i24_e32 v67 /*v323*/, v64 /*v320*/, v65 /*v321*/
	v_mul_i32_i24_e32 v68 /*v324*/, v66 /*v322*/, v34 /*v290*/
	s_set_vgpr_msb 0                        ;  msbs: dst=0 src0=0 src1=0 src2=0
	v_mad_i32_i24 v239, v233, v239, v240
	v_and_b32_e32 v235, 0xffff, v235
	v_and_b32_e32 v111, 15, v111
	v_mad_i32_i24 v240, v233, v249, v250
	s_set_vgpr_msb 20                       ;  msbs: dst=0 src0=0 src1=1 src2=1
	v_mad_i32_i24 v249, v233, v2 /*v258*/, v3 /*v259*/
	v_mad_i32_i24 v250, v233, v6 /*v262*/, v7 /*v263*/
	s_set_vgpr_msb 0                        ;  msbs: dst=0 src0=0 src1=0 src2=0
	v_mul_i32_i24_e32 v112, v112, v235
	s_set_vgpr_msb 0x54                     ;  msbs: dst=1 src0=0 src1=1 src2=1
	v_mad_i32_i24 v2 /*v258*/, v233, v9 /*v265*/, v8 /*v264*/
	s_set_vgpr_msb 0x55                     ;  msbs: dst=1 src0=1 src1=1 src2=1
	v_add3_u32 v24 /*v280*/, v24 /*v280*/, v68 /*v324*/, v67 /*v323*/
	s_set_vgpr_msb 0                        ;  msbs: dst=0 src0=0 src1=0 src2=0
	v_add3_u32 v92, v239, v238, v92
	v_bfe_i32 v238, v122, 0, 8
	v_mad_i32_i24 v94, v94, v110, v112
	v_and_b32_e32 v112, 0xf0f0f0f, v96
	v_lshrrev_b32_e32 v96, 4, v96
	v_and_b32_e32 v237, 0xffff, v111
	s_set_vgpr_msb 4                        ;  msbs: dst=0 src0=0 src1=1 src2=0
	v_mul_i32_i24_e32 v110, v110, v15 /*v271*/
	s_set_vgpr_msb 64                       ;  msbs: dst=1 src0=0 src1=0 src2=0
	v_lshrrev_b32_e32 v15 /*v271*/, 28, v105
	s_set_vgpr_msb 0                        ;  msbs: dst=0 src0=0 src1=0 src2=0
	v_lshrrev_b16 v112, 8, v112
	v_lshrrev_b16 v96, 8, v96
	s_set_vgpr_msb 64                       ;  msbs: dst=1 src0=0 src1=0 src2=0
	v_mul_i32_i24_e32 v25 /*v281*/, v106, v237
	s_set_vgpr_msb 4                        ;  msbs: dst=0 src0=0 src1=1 src2=0
	v_mad_i32_i24 v110, v233, v16 /*v272*/, v110
	s_set_vgpr_msb 0                        ;  msbs: dst=0 src0=0 src1=0 src2=0
	v_ashrrev_i32_e32 v233, 24, v148
	v_and_b32_e32 v112, 0xffff, v112
	v_bfe_i32 v148, v148, 16, 8
	v_dual_ashrrev_i32 v239, 24, v122 :: v_dual_bitop2_b32 v96, 15, v96 bitop3:0x40
	s_set_vgpr_msb 0x44                     ;  msbs: dst=1 src0=0 src1=1 src2=0
	v_mul_i32_i24_e32 v3 /*v259*/, v233, v35 /*v291*/
	s_set_vgpr_msb 0                        ;  msbs: dst=0 src0=0 src1=0 src2=0
	v_mul_i32_i24_e32 v111, v113, v112
	v_add3_u32 v240, v240, v245, v246
	v_ashrrev_i32_e32 v246, 24, v128
	v_bfe_i32 v245, v128, 0, 8
	v_add3_u32 v249, v249, v255, v108
	s_set_vgpr_msb 4                        ;  msbs: dst=0 src0=0 src1=1 src2=0
	v_add3_u32 v94, v94, v25 /*v281*/, v111
	v_bfe_u32 v111, v101, 16, 4
	s_set_vgpr_msb 64                       ;  msbs: dst=1 src0=0 src1=0 src2=0
	v_bfe_i32 v25 /*v281*/, v138, 0, 8
	s_set_vgpr_msb 0                        ;  msbs: dst=0 src0=0 src1=0 src2=0
	v_bfe_i32 v138, v138, 16, 8
	v_bfe_i32 v255, v126, 0, 8
	s_set_vgpr_msb 64                       ;  msbs: dst=1 src0=0 src1=0 src2=0
	v_mul_i32_i24_e32 v6 /*v262*/, v148, v111
	s_set_vgpr_msb 0x45                     ;  msbs: dst=1 src0=1 src1=1 src2=0
	v_mul_i32_i24_e32 v26 /*v282*/, v25 /*v281*/, v65 /*v321*/
	s_set_vgpr_msb 64                       ;  msbs: dst=1 src0=0 src1=0 src2=0
	v_mul_i32_i24_e32 v27 /*v283*/, v138, v111
	s_set_vgpr_msb 0x44                     ;  msbs: dst=1 src0=0 src1=1 src2=0
	v_mul_i32_i24_e32 v34 /*v290*/, v138, v28 /*v284*/
	s_set_vgpr_msb 0x55                     ;  msbs: dst=1 src0=1 src1=1 src2=1
	v_add3_u32 v3 /*v259*/, v24 /*v280*/, v6 /*v262*/, v3 /*v259*/
	v_mul_i32_i24_e32 v6 /*v262*/, v66 /*v322*/, v39 /*v295*/
	v_add3_u32 v26 /*v282*/, v38 /*v294*/, v26 /*v282*/, v27 /*v283*/
	s_set_vgpr_msb 64                       ;  msbs: dst=1 src0=0 src1=0 src2=0
	v_and_b32_e32 v27 /*v283*/, 15, v105
	v_bfe_u32 v38 /*v294*/, v103, 16, 4
	s_set_vgpr_msb 0x44                     ;  msbs: dst=1 src0=0 src1=1 src2=0
	v_mul_i32_i24_e32 v39 /*v295*/, v246, v15 /*v271*/
	s_set_vgpr_msb 0x45                     ;  msbs: dst=1 src0=1 src1=1 src2=0
	v_mul_i32_i24_e32 v29 /*v285*/, v25 /*v281*/, v27 /*v283*/
	s_set_vgpr_msb 0x44                     ;  msbs: dst=1 src0=0 src1=1 src2=0
	v_mul_i32_i24_e32 v67 /*v323*/, v138, v38 /*v294*/
	s_set_vgpr_msb 0x45                     ;  msbs: dst=1 src0=1 src1=1 src2=0
	v_mul_i32_i24_e32 v7 /*v263*/, v64 /*v320*/, v27 /*v283*/
	s_set_vgpr_msb 0                        ;  msbs: dst=0 src0=0 src1=0 src2=0
	v_mul_i32_i24_e32 v138, v138, v222
	s_set_vgpr_msb 0x55                     ;  msbs: dst=1 src0=1 src1=1 src2=1
	v_add3_u32 v29 /*v285*/, v41 /*v297*/, v29 /*v285*/, v34 /*v290*/
	s_set_vgpr_msb 64                       ;  msbs: dst=1 src0=0 src1=0 src2=0
	v_and_b32_e32 v34 /*v290*/, 15, v103
	s_set_vgpr_msb 20                       ;  msbs: dst=0 src0=0 src1=1 src2=1
	v_add3_u32 v242, v242, v6 /*v262*/, v7 /*v263*/
	s_set_vgpr_msb 0x55                     ;  msbs: dst=1 src0=1 src1=1 src2=1
	v_mul_i32_i24_e32 v6 /*v262*/, v66 /*v322*/, v42 /*v298*/
	v_mul_i32_i24_e32 v41 /*v297*/, v25 /*v281*/, v34 /*v290*/
	;; [unrolled: 1-line block ×3, first 2 shown]
	s_delay_alu instid0(VALU_DEP_2)
	v_add3_u32 v41 /*v297*/, v44 /*v300*/, v41 /*v297*/, v67 /*v323*/
	s_set_vgpr_msb 64                       ;  msbs: dst=1 src0=0 src1=0 src2=0
	v_bfe_i32 v44 /*v300*/, v136, 0, 8
	s_set_vgpr_msb 20                       ;  msbs: dst=0 src0=0 src1=1 src2=1
	v_bfe_i32 v136, v136, 16, 8
	v_add3_u32 v102, v102, v6 /*v262*/, v7 /*v263*/
	s_set_vgpr_msb 64                       ;  msbs: dst=1 src0=0 src1=0 src2=0
	v_ashrrev_i32_e32 v7 /*v263*/, 24, v124
	s_set_vgpr_msb 0x44                     ;  msbs: dst=1 src0=0 src1=1 src2=0
	v_mul_i32_i24_e32 v6 /*v262*/, v232, v65 /*v321*/
	s_set_vgpr_msb 0x45                     ;  msbs: dst=1 src0=1 src1=1 src2=0
	v_mul_i32_i24_e32 v67 /*v323*/, v44 /*v300*/, v65 /*v321*/
	s_set_vgpr_msb 64                       ;  msbs: dst=1 src0=0 src1=0 src2=0
	v_mul_i32_i24_e32 v68 /*v324*/, v136, v111
	s_set_vgpr_msb 0x55                     ;  msbs: dst=1 src0=1 src1=1 src2=1
	s_delay_alu instid0(VALU_DEP_1) | instskip(SKIP_4) | instid1(VALU_DEP_1)
	v_add3_u32 v47 /*v303*/, v47 /*v303*/, v67 /*v323*/, v68 /*v324*/
	v_mul_i32_i24_e32 v67 /*v323*/, v44 /*v300*/, v27 /*v283*/
	s_set_vgpr_msb 0x44                     ;  msbs: dst=1 src0=0 src1=1 src2=0
	v_mul_i32_i24_e32 v68 /*v324*/, v136, v28 /*v284*/
	s_set_vgpr_msb 0x55                     ;  msbs: dst=1 src0=1 src1=1 src2=1
	v_add3_u32 v48 /*v304*/, v48 /*v304*/, v67 /*v323*/, v68 /*v324*/
	v_mul_i32_i24_e32 v67 /*v323*/, v44 /*v300*/, v34 /*v290*/
	s_set_vgpr_msb 0x44                     ;  msbs: dst=1 src0=0 src1=1 src2=0
	v_mul_i32_i24_e32 v68 /*v324*/, v136, v38 /*v294*/
	s_set_vgpr_msb 0                        ;  msbs: dst=0 src0=0 src1=0 src2=0
	v_mul_i32_i24_e32 v136, v136, v222
	s_set_vgpr_msb 0x55                     ;  msbs: dst=1 src0=1 src1=1 src2=1
	s_delay_alu instid0(VALU_DEP_2)
	v_add3_u32 v49 /*v305*/, v49 /*v305*/, v67 /*v323*/, v68 /*v324*/
	s_set_vgpr_msb 64                       ;  msbs: dst=1 src0=0 src1=0 src2=0
	v_bfe_i32 v67 /*v323*/, v142, 0, 8
	s_set_vgpr_msb 0                        ;  msbs: dst=0 src0=0 src1=0 src2=0
	v_bfe_i32 v142, v142, 16, 8
	s_set_vgpr_msb 0x45                     ;  msbs: dst=1 src0=1 src1=1 src2=0
	s_delay_alu instid0(VALU_DEP_2) | instskip(SKIP_1) | instid1(VALU_DEP_2)
	v_mul_i32_i24_e32 v68 /*v324*/, v67 /*v323*/, v65 /*v321*/
	s_set_vgpr_msb 64                       ;  msbs: dst=1 src0=0 src1=0 src2=0
	v_mul_i32_i24_e32 v69 /*v325*/, v142, v111
	s_set_vgpr_msb 0x55                     ;  msbs: dst=1 src0=1 src1=1 src2=1
	s_delay_alu instid0(VALU_DEP_1) | instskip(SKIP_4) | instid1(VALU_DEP_1)
	v_add3_u32 v52 /*v308*/, v52 /*v308*/, v68 /*v324*/, v69 /*v325*/
	v_mul_i32_i24_e32 v68 /*v324*/, v67 /*v323*/, v27 /*v283*/
	s_set_vgpr_msb 0x44                     ;  msbs: dst=1 src0=0 src1=1 src2=0
	v_mul_i32_i24_e32 v69 /*v325*/, v142, v28 /*v284*/
	s_set_vgpr_msb 0x55                     ;  msbs: dst=1 src0=1 src1=1 src2=1
	v_add3_u32 v53 /*v309*/, v53 /*v309*/, v68 /*v324*/, v69 /*v325*/
	v_mul_i32_i24_e32 v68 /*v324*/, v67 /*v323*/, v34 /*v290*/
	s_set_vgpr_msb 0x44                     ;  msbs: dst=1 src0=0 src1=1 src2=0
	v_mul_i32_i24_e32 v69 /*v325*/, v142, v38 /*v294*/
	s_set_vgpr_msb 0                        ;  msbs: dst=0 src0=0 src1=0 src2=0
	v_mul_i32_i24_e32 v142, v142, v222
	s_set_vgpr_msb 0x55                     ;  msbs: dst=1 src0=1 src1=1 src2=1
	s_delay_alu instid0(VALU_DEP_2)
	v_add3_u32 v54 /*v310*/, v54 /*v310*/, v68 /*v324*/, v69 /*v325*/
	s_set_vgpr_msb 64                       ;  msbs: dst=1 src0=0 src1=0 src2=0
	v_bfe_i32 v68 /*v324*/, v140, 0, 8
	s_set_vgpr_msb 0                        ;  msbs: dst=0 src0=0 src1=0 src2=0
	v_bfe_i32 v140, v140, 16, 8
	s_set_vgpr_msb 0x45                     ;  msbs: dst=1 src0=1 src1=1 src2=0
	s_delay_alu instid0(VALU_DEP_2) | instskip(SKIP_1) | instid1(VALU_DEP_2)
	;; [unrolled: 25-line block ×4, first 2 shown]
	v_mul_i32_i24_e32 v71 /*v327*/, v70 /*v326*/, v65 /*v321*/
	s_set_vgpr_msb 64                       ;  msbs: dst=1 src0=0 src1=0 src2=0
	v_mul_i32_i24_e32 v72 /*v328*/, v144, v111
	s_set_vgpr_msb 0                        ;  msbs: dst=0 src0=0 src1=0 src2=0
	v_mul_i32_i24_e32 v111, v231, v111
	s_set_vgpr_msb 0x55                     ;  msbs: dst=1 src0=1 src1=1 src2=1
	s_delay_alu instid0(VALU_DEP_2) | instskip(SKIP_1) | instid1(VALU_DEP_2)
	v_add3_u32 v19 /*v275*/, v19 /*v275*/, v71 /*v327*/, v72 /*v328*/
	s_set_vgpr_msb 4                        ;  msbs: dst=0 src0=0 src1=1 src2=0
	v_add3_u32 v243, v243, v6 /*v262*/, v111
	v_mul_i32_i24_e32 v111, v232, v27 /*v283*/
	s_set_vgpr_msb 0x44                     ;  msbs: dst=1 src0=0 src1=1 src2=0
	v_mul_i32_i24_e32 v6 /*v262*/, v231, v28 /*v284*/
	s_set_vgpr_msb 4                        ;  msbs: dst=0 src0=0 src1=1 src2=0
	v_mul_i32_i24_e32 v231, v231, v38 /*v294*/
	s_set_vgpr_msb 0x45                     ;  msbs: dst=1 src0=1 src1=1 src2=0
	v_mul_i32_i24_e32 v71 /*v327*/, v70 /*v326*/, v27 /*v283*/
	s_set_vgpr_msb 0x44                     ;  msbs: dst=1 src0=0 src1=1 src2=0
	v_mul_i32_i24_e32 v72 /*v328*/, v144, v28 /*v284*/
	s_set_vgpr_msb 16                       ;  msbs: dst=0 src0=0 src1=0 src2=1
	v_add3_u32 v244, v244, v111, v6 /*v262*/
	s_set_vgpr_msb 4                        ;  msbs: dst=0 src0=0 src1=1 src2=0
	v_mul_i32_i24_e32 v111, v232, v34 /*v290*/
	v_mul_i32_i24_e32 v232, v227, v23 /*v279*/
	s_set_vgpr_msb 64                       ;  msbs: dst=1 src0=0 src1=0 src2=0
	v_bfe_i32 v6 /*v262*/, v124, 0, 8
	v_lshrrev_b32_e32 v23 /*v279*/, 28, v103
	s_set_vgpr_msb 0x55                     ;  msbs: dst=1 src0=1 src1=1 src2=1
	v_add3_u32 v20 /*v276*/, v20 /*v276*/, v71 /*v327*/, v72 /*v328*/
	s_set_vgpr_msb 0                        ;  msbs: dst=0 src0=0 src1=0 src2=0
	v_add3_u32 v231, v236, v111, v231
	s_set_vgpr_msb 4                        ;  msbs: dst=0 src0=0 src1=1 src2=0
	v_mul_i32_i24_e32 v111, v230, v22 /*v278*/
	s_set_vgpr_msb 0x45                     ;  msbs: dst=1 src0=1 src1=1 src2=0
	v_mul_i32_i24_e32 v22 /*v278*/, v7 /*v263*/, v15 /*v271*/
	v_mul_i32_i24_e32 v71 /*v327*/, v70 /*v326*/, v34 /*v290*/
	s_set_vgpr_msb 0x44                     ;  msbs: dst=1 src0=0 src1=1 src2=0
	v_mul_i32_i24_e32 v34 /*v290*/, v239, v23 /*v279*/
	v_mul_i32_i24_e32 v72 /*v328*/, v144, v38 /*v294*/
	s_set_vgpr_msb 0                        ;  msbs: dst=0 src0=0 src1=0 src2=0
	v_add3_u32 v232, v234, v111, v232
	v_and_b32_e32 v111, 0xf0f0f0f, v97
	v_and_b32_e32 v234, 0xffff, v96
	v_mul_i32_i24_e32 v144, v144, v222
	s_set_vgpr_msb 0x55                     ;  msbs: dst=1 src0=1 src1=1 src2=1
	v_add3_u32 v21 /*v277*/, v21 /*v277*/, v71 /*v327*/, v72 /*v328*/
	s_set_vgpr_msb 0                        ;  msbs: dst=0 src0=0 src1=0 src2=0
	v_lshrrev_b16 v111, 8, v111
	v_mul_i32_i24_e32 v236, v107, v234
	s_delay_alu instid0(VALU_DEP_2) | instskip(NEXT) | instid1(VALU_DEP_1)
	v_and_b32_e32 v111, 0xffff, v111
	v_mul_i32_i24_e32 v96, v121, v111
	s_delay_alu instid0(VALU_DEP_1) | instskip(SKIP_3) | instid1(VALU_DEP_2)
	v_add3_u32 v94, v94, v236, v96
	v_bfe_u32 v96, v101, 4, 4
	v_lshrrev_b32_e32 v236, 28, v101
	s_set_vgpr_msb 0x41                     ;  msbs: dst=1 src0=1 src1=0 src2=0
	v_mul_i32_i24_e32 v8 /*v264*/, v6 /*v262*/, v96
	s_delay_alu instid0(VALU_DEP_2)
	v_mul_i32_i24_e32 v9 /*v265*/, v7 /*v263*/, v236
	s_set_vgpr_msb 64                       ;  msbs: dst=1 src0=0 src1=0 src2=0
	v_mul_i32_i24_e32 v27 /*v283*/, v239, v236
	v_mul_i32_i24_e32 v35 /*v291*/, v246, v236
	s_set_vgpr_msb 0                        ;  msbs: dst=0 src0=0 src1=0 src2=0
	v_mul_i32_i24_e32 v108, v255, v96
	s_set_vgpr_msb 0x55                     ;  msbs: dst=1 src0=1 src1=1 src2=1
	v_add3_u32 v8 /*v264*/, v26 /*v282*/, v9 /*v265*/, v8 /*v264*/
	s_set_vgpr_msb 64                       ;  msbs: dst=1 src0=0 src1=0 src2=0
	v_bfe_u32 v9 /*v265*/, v105, 4, 4
	s_set_vgpr_msb 0x45                     ;  msbs: dst=1 src0=1 src1=1 src2=0
	v_mul_i32_i24_e32 v26 /*v282*/, v7 /*v263*/, v23 /*v279*/
	s_set_vgpr_msb 0x41                     ;  msbs: dst=1 src0=1 src1=0 src2=0
	v_mul_i32_i24_e32 v7 /*v263*/, v7 /*v263*/, v217
	s_set_vgpr_msb 0x55                     ;  msbs: dst=1 src0=1 src1=1 src2=1
	v_mul_i32_i24_e32 v16 /*v272*/, v6 /*v262*/, v9 /*v265*/
	s_delay_alu instid0(VALU_DEP_1)
	v_add3_u32 v16 /*v272*/, v29 /*v285*/, v22 /*v278*/, v16 /*v272*/
	s_set_vgpr_msb 0x44                     ;  msbs: dst=1 src0=0 src1=1 src2=0
	v_bfe_u32 v22 /*v278*/, v103, 4, 4
	v_mul_i32_i24_e32 v29 /*v285*/, v239, v15 /*v271*/
	s_set_vgpr_msb 0                        ;  msbs: dst=0 src0=0 src1=0 src2=0
	v_mul_i32_i24_e32 v239, v239, v217
	s_set_vgpr_msb 0x45                     ;  msbs: dst=1 src0=1 src1=1 src2=0
	v_mul_i32_i24_e32 v24 /*v280*/, v6 /*v262*/, v22 /*v278*/
	s_set_vgpr_msb 0x41                     ;  msbs: dst=1 src0=1 src1=0 src2=0
	v_mul_i32_i24_e32 v6 /*v262*/, v6 /*v262*/, v219
	s_set_vgpr_msb 0x55                     ;  msbs: dst=1 src0=1 src1=1 src2=1
	s_delay_alu instid0(VALU_DEP_2)
	v_add3_u32 v24 /*v280*/, v41 /*v297*/, v26 /*v282*/, v24 /*v280*/
	s_set_vgpr_msb 64                       ;  msbs: dst=1 src0=0 src1=0 src2=0
	v_mul_i32_i24_e32 v26 /*v282*/, v238, v96
	s_set_vgpr_msb 0x44                     ;  msbs: dst=1 src0=0 src1=1 src2=0
	v_mul_i32_i24_e32 v41 /*v297*/, v246, v23 /*v279*/
	s_set_vgpr_msb 0                        ;  msbs: dst=0 src0=0 src1=0 src2=0
	v_mul_i32_i24_e32 v246, v246, v217
	s_set_vgpr_msb 0x55                     ;  msbs: dst=1 src0=1 src1=1 src2=1
	v_add3_u32 v26 /*v282*/, v47 /*v303*/, v27 /*v283*/, v26 /*v282*/
	s_set_vgpr_msb 0x44                     ;  msbs: dst=1 src0=0 src1=1 src2=0
	v_mul_i32_i24_e32 v27 /*v283*/, v238, v9 /*v265*/
	s_set_vgpr_msb 0x55                     ;  msbs: dst=1 src0=1 src1=1 src2=1
	s_delay_alu instid0(VALU_DEP_1)
	v_add3_u32 v27 /*v283*/, v48 /*v304*/, v29 /*v285*/, v27 /*v283*/
	s_set_vgpr_msb 0x44                     ;  msbs: dst=1 src0=0 src1=1 src2=0
	v_mul_i32_i24_e32 v29 /*v285*/, v238, v22 /*v278*/
	s_set_vgpr_msb 0                        ;  msbs: dst=0 src0=0 src1=0 src2=0
	v_mul_i32_i24_e32 v238, v238, v219
	s_set_vgpr_msb 0x55                     ;  msbs: dst=1 src0=1 src1=1 src2=1
	s_delay_alu instid0(VALU_DEP_2) | instskip(SKIP_3) | instid1(VALU_DEP_1)
	v_add3_u32 v29 /*v285*/, v49 /*v305*/, v34 /*v290*/, v29 /*v285*/
	s_set_vgpr_msb 64                       ;  msbs: dst=1 src0=0 src1=0 src2=0
	v_mul_i32_i24_e32 v34 /*v290*/, v245, v96
	s_set_vgpr_msb 0x55                     ;  msbs: dst=1 src0=1 src1=1 src2=1
	v_add3_u32 v34 /*v290*/, v52 /*v308*/, v35 /*v291*/, v34 /*v290*/
	s_set_vgpr_msb 0x44                     ;  msbs: dst=1 src0=0 src1=1 src2=0
	v_mul_i32_i24_e32 v35 /*v291*/, v245, v9 /*v265*/
	s_set_vgpr_msb 0x55                     ;  msbs: dst=1 src0=1 src1=1 src2=1
	s_delay_alu instid0(VALU_DEP_1)
	v_add3_u32 v35 /*v291*/, v53 /*v309*/, v39 /*v295*/, v35 /*v291*/
	s_set_vgpr_msb 0x44                     ;  msbs: dst=1 src0=0 src1=1 src2=0
	v_mul_i32_i24_e32 v39 /*v295*/, v245, v22 /*v278*/
	s_set_vgpr_msb 0                        ;  msbs: dst=0 src0=0 src1=0 src2=0
	v_mul_i32_i24_e32 v245, v245, v219
	s_set_vgpr_msb 0x55                     ;  msbs: dst=1 src0=1 src1=1 src2=1
	s_delay_alu instid0(VALU_DEP_2) | instskip(SKIP_2) | instid1(VALU_DEP_1)
	v_add3_u32 v39 /*v295*/, v54 /*v310*/, v41 /*v297*/, v39 /*v295*/
	s_set_vgpr_msb 0x41                     ;  msbs: dst=1 src0=1 src1=0 src2=0
	v_ashrrev_i32_e32 v41 /*v297*/, 24, v126
	v_mul_i32_i24_e32 v42 /*v298*/, v41 /*v297*/, v236
	s_set_vgpr_msb 0x45                     ;  msbs: dst=1 src0=1 src1=1 src2=0
	v_mul_i32_i24_e32 v47 /*v303*/, v41 /*v297*/, v15 /*v271*/
	v_mul_i32_i24_e32 v48 /*v304*/, v41 /*v297*/, v23 /*v279*/
	s_delay_alu instid0(VALU_DEP_3) | instskip(SKIP_3) | instid1(VALU_DEP_1)
	v_add3_u32 v42 /*v298*/, v57 /*v313*/, v42 /*v298*/, v108
	s_set_vgpr_msb 4                        ;  msbs: dst=0 src0=0 src1=1 src2=0
	v_mul_i32_i24_e32 v108, v255, v9 /*v265*/
	s_set_vgpr_msb 0x45                     ;  msbs: dst=1 src0=1 src1=1 src2=0
	v_add3_u32 v47 /*v303*/, v58 /*v314*/, v47 /*v303*/, v108
	s_set_vgpr_msb 4                        ;  msbs: dst=0 src0=0 src1=1 src2=0
	v_mul_i32_i24_e32 v108, v255, v22 /*v278*/
	s_set_vgpr_msb 0                        ;  msbs: dst=0 src0=0 src1=0 src2=0
	v_mul_i32_i24_e32 v255, v255, v219
	s_set_vgpr_msb 0x45                     ;  msbs: dst=1 src0=1 src1=1 src2=0
	s_delay_alu instid0(VALU_DEP_2)
	v_add3_u32 v48 /*v304*/, v59 /*v315*/, v48 /*v304*/, v108
	s_set_vgpr_msb 4                        ;  msbs: dst=0 src0=0 src1=1 src2=0
	v_mul_i32_i24_e32 v108, v230, v4 /*v260*/
	s_set_vgpr_msb 0x44                     ;  msbs: dst=1 src0=0 src1=1 src2=0
	v_mul_i32_i24_e32 v4 /*v260*/, v227, v5 /*v261*/
	s_set_vgpr_msb 64                       ;  msbs: dst=1 src0=0 src1=0 src2=0
	v_ashrrev_i32_e32 v5 /*v261*/, 24, v132
	s_set_vgpr_msb 16                       ;  msbs: dst=0 src0=0 src1=0 src2=1
	s_delay_alu instid0(VALU_DEP_2)
	v_add3_u32 v250, v250, v108, v4 /*v260*/
	s_set_vgpr_msb 64                       ;  msbs: dst=1 src0=0 src1=0 src2=0
	v_bfe_i32 v4 /*v260*/, v132, 0, 8
	s_set_vgpr_msb 0x41                     ;  msbs: dst=1 src0=1 src1=0 src2=0
	v_mul_i32_i24_e32 v49 /*v305*/, v5 /*v261*/, v236
	s_set_vgpr_msb 1                        ;  msbs: dst=0 src0=1 src1=0 src2=0
	s_delay_alu instid0(VALU_DEP_2) | instskip(SKIP_1) | instid1(VALU_DEP_1)
	v_mul_i32_i24_e32 v108, v4 /*v260*/, v96
	s_set_vgpr_msb 0x45                     ;  msbs: dst=1 src0=1 src1=1 src2=0
	v_add3_u32 v12 /*v268*/, v12 /*v268*/, v49 /*v305*/, v108
	s_set_vgpr_msb 5                        ;  msbs: dst=0 src0=1 src1=1 src2=0
	v_mul_i32_i24_e32 v108, v4 /*v260*/, v9 /*v265*/
	s_set_vgpr_msb 0x45                     ;  msbs: dst=1 src0=1 src1=1 src2=0
	v_mul_i32_i24_e32 v49 /*v305*/, v5 /*v261*/, v15 /*v271*/
	s_delay_alu instid0(VALU_DEP_1)
	v_add3_u32 v13 /*v269*/, v13 /*v269*/, v49 /*v305*/, v108
	s_set_vgpr_msb 5                        ;  msbs: dst=0 src0=1 src1=1 src2=0
	v_mul_i32_i24_e32 v108, v4 /*v260*/, v22 /*v278*/
	s_set_vgpr_msb 0x45                     ;  msbs: dst=1 src0=1 src1=1 src2=0
	v_mul_i32_i24_e32 v49 /*v305*/, v5 /*v261*/, v23 /*v279*/
	s_set_vgpr_msb 0x41                     ;  msbs: dst=1 src0=1 src1=0 src2=0
	v_mul_i32_i24_e32 v4 /*v260*/, v4 /*v260*/, v219
	v_mul_i32_i24_e32 v5 /*v261*/, v5 /*v261*/, v217
	s_set_vgpr_msb 0x45                     ;  msbs: dst=1 src0=1 src1=1 src2=0
	v_add3_u32 v14 /*v270*/, v14 /*v270*/, v49 /*v305*/, v108
	s_set_vgpr_msb 4                        ;  msbs: dst=0 src0=0 src1=1 src2=0
	v_mul_i32_i24_e32 v108, v230, v10 /*v266*/
	s_set_vgpr_msb 0x44                     ;  msbs: dst=1 src0=0 src1=1 src2=0
	v_mul_i32_i24_e32 v10 /*v266*/, v227, v11 /*v267*/
	s_set_vgpr_msb 64                       ;  msbs: dst=1 src0=0 src1=0 src2=0
	v_ashrrev_i32_e32 v11 /*v267*/, 24, v130
	s_set_vgpr_msb 4                        ;  msbs: dst=0 src0=0 src1=1 src2=0
	v_mul_i32_i24_e32 v227, v227, v18 /*v274*/
	s_set_vgpr_msb 0x51                     ;  msbs: dst=1 src0=1 src1=0 src2=1
	v_add3_u32 v2 /*v258*/, v2 /*v258*/, v108, v10 /*v266*/
	s_set_vgpr_msb 64                       ;  msbs: dst=1 src0=0 src1=0 src2=0
	v_bfe_i32 v10 /*v266*/, v130, 0, 8
	s_set_vgpr_msb 0x41                     ;  msbs: dst=1 src0=1 src1=0 src2=0
	v_mul_i32_i24_e32 v49 /*v305*/, v11 /*v267*/, v236
	s_set_vgpr_msb 1                        ;  msbs: dst=0 src0=1 src1=0 src2=0
	s_delay_alu instid0(VALU_DEP_2) | instskip(SKIP_1) | instid1(VALU_DEP_1)
	v_mul_i32_i24_e32 v108, v10 /*v266*/, v96
	s_set_vgpr_msb 0x45                     ;  msbs: dst=1 src0=1 src1=1 src2=0
	v_add3_u32 v19 /*v275*/, v19 /*v275*/, v49 /*v305*/, v108
	s_set_vgpr_msb 5                        ;  msbs: dst=0 src0=1 src1=1 src2=0
	v_mul_i32_i24_e32 v108, v10 /*v266*/, v9 /*v265*/
	s_set_vgpr_msb 0x45                     ;  msbs: dst=1 src0=1 src1=1 src2=0
	v_mul_i32_i24_e32 v49 /*v305*/, v11 /*v267*/, v15 /*v271*/
	s_delay_alu instid0(VALU_DEP_1) | instskip(SKIP_4) | instid1(VALU_DEP_1)
	v_add3_u32 v20 /*v276*/, v20 /*v276*/, v49 /*v305*/, v108
	s_set_vgpr_msb 5                        ;  msbs: dst=0 src0=1 src1=1 src2=0
	v_mul_i32_i24_e32 v108, v10 /*v266*/, v22 /*v278*/
	s_set_vgpr_msb 0x45                     ;  msbs: dst=1 src0=1 src1=1 src2=0
	v_mul_i32_i24_e32 v49 /*v305*/, v11 /*v267*/, v23 /*v279*/
	v_add3_u32 v21 /*v277*/, v21 /*v277*/, v49 /*v305*/, v108
	s_set_vgpr_msb 4                        ;  msbs: dst=0 src0=0 src1=1 src2=0
	v_mul_i32_i24_e32 v108, v230, v17 /*v273*/
	s_wait_dscnt 0x2
	v_bfe_i32 v230, v134, 8, 8
	s_set_vgpr_msb 64                       ;  msbs: dst=1 src0=0 src1=0 src2=0
	v_bfe_u32 v17 /*v273*/, v101, 12, 4
	s_set_vgpr_msb 0                        ;  msbs: dst=0 src0=0 src1=0 src2=0
	v_bfe_u32 v101, v101, 20, 4
	v_add3_u32 v110, v110, v108, v227
	v_bfe_i32 v227, v134, 0, 8
	s_set_vgpr_msb 0x44                     ;  msbs: dst=1 src0=0 src1=1 src2=0
	v_mul_i32_i24_e32 v18 /*v274*/, v230, v17 /*v273*/
	s_set_vgpr_msb 0                        ;  msbs: dst=0 src0=0 src1=0 src2=0
	s_delay_alu instid0(VALU_DEP_2) | instskip(SKIP_2) | instid1(VALU_DEP_2)
	v_mul_i32_i24_e32 v108, v227, v96
	v_mul_i32_i24_e32 v96, v229, v96
	s_set_vgpr_msb 0x51                     ;  msbs: dst=1 src0=1 src1=0 src2=1
	v_add3_u32 v3 /*v259*/, v3 /*v259*/, v108, v18 /*v274*/
	s_set_vgpr_msb 4                        ;  msbs: dst=0 src0=0 src1=1 src2=0
	v_mul_i32_i24_e32 v108, v148, v28 /*v284*/
	s_set_vgpr_msb 0x44                     ;  msbs: dst=1 src0=0 src1=1 src2=0
	v_mul_i32_i24_e32 v18 /*v274*/, v233, v40 /*v296*/
	s_set_vgpr_msb 16                       ;  msbs: dst=0 src0=0 src1=0 src2=1
	s_delay_alu instid0(VALU_DEP_1)
	v_add3_u32 v242, v242, v108, v18 /*v274*/
	s_set_vgpr_msb 4                        ;  msbs: dst=0 src0=0 src1=1 src2=0
	v_mul_i32_i24_e32 v108, v148, v38 /*v294*/
	s_set_vgpr_msb 0x44                     ;  msbs: dst=1 src0=0 src1=1 src2=0
	v_mul_i32_i24_e32 v18 /*v274*/, v233, v43 /*v299*/
	s_set_vgpr_msb 16                       ;  msbs: dst=0 src0=0 src1=0 src2=1
	v_mul_i32_i24_e32 v148, v148, v222
	v_and_b32_e32 v222, 15, v86
	s_delay_alu instid0(VALU_DEP_3) | instskip(SKIP_2) | instid1(VALU_DEP_1)
	v_add3_u32 v102, v102, v108, v18 /*v274*/
	v_mul_i32_i24_e32 v108, v228, v236
	s_set_vgpr_msb 0                        ;  msbs: dst=0 src0=0 src1=0 src2=0
	v_add3_u32 v96, v243, v108, v96
	s_set_vgpr_msb 4                        ;  msbs: dst=0 src0=0 src1=1 src2=0
	v_mul_i32_i24_e32 v108, v229, v9 /*v265*/
	v_mul_i32_i24_e32 v243, v228, v15 /*v271*/
	;; [unrolled: 1-line block ×3, first 2 shown]
	s_set_vgpr_msb 0                        ;  msbs: dst=0 src0=0 src1=0 src2=0
	s_delay_alu instid0(VALU_DEP_2)
	v_add3_u32 v243, v244, v243, v108
	s_set_vgpr_msb 4                        ;  msbs: dst=0 src0=0 src1=1 src2=0
	v_mul_i32_i24_e32 v108, v229, v22 /*v278*/
	s_set_vgpr_msb 1                        ;  msbs: dst=0 src0=1 src1=0 src2=0
	v_mul_i32_i24_e32 v229, v66 /*v322*/, v235
	s_set_vgpr_msb 0                        ;  msbs: dst=0 src0=0 src1=0 src2=0
	s_delay_alu instid0(VALU_DEP_2) | instskip(SKIP_4) | instid1(VALU_DEP_2)
	v_add3_u32 v228, v231, v228, v108
	s_set_vgpr_msb 1                        ;  msbs: dst=0 src0=1 src1=0 src2=0
	v_mul_i32_i24_e32 v108, v64 /*v320*/, v223
	s_set_vgpr_msb 0                        ;  msbs: dst=0 src0=0 src1=0 src2=0
	v_bfe_i32 v231, v95, 8, 8
	v_add3_u32 v229, v232, v229, v108
	s_set_vgpr_msb 4                        ;  msbs: dst=0 src0=0 src1=1 src2=0
	v_and_b32_e32 v108, 0xf0f0f, v31 /*v287*/
	s_set_vgpr_msb 16                       ;  msbs: dst=0 src0=0 src1=0 src2=1
	s_delay_alu instid0(VALU_DEP_1) | instskip(NEXT) | instid1(VALU_DEP_1)
	v_lshrrev_b16 v108, 8, v108
	v_and_b32_e32 v108, 0xffff, v108
	s_delay_alu instid0(VALU_DEP_1) | instskip(NEXT) | instid1(VALU_DEP_1)
	v_mul_i32_i24_e32 v232, v231, v108
	v_add3_u32 v94, v94, v232, v30 /*v286*/
	v_bfe_i32 v232, v124, 8, 8
	v_bfe_i32 v124, v124, 16, 8
	s_set_vgpr_msb 5                        ;  msbs: dst=0 src0=1 src1=1 src2=0
	s_delay_alu instid0(VALU_DEP_3)
	v_add3_u32 v94, v33 /*v289*/, v32 /*v288*/, v94
	s_set_vgpr_msb 4                        ;  msbs: dst=0 src0=0 src1=1 src2=0
	v_mul_i32_i24_e32 v244, v232, v17 /*v273*/
	s_set_vgpr_msb 64                       ;  msbs: dst=1 src0=0 src1=0 src2=0
	v_mul_i32_i24_e32 v18 /*v274*/, v124, v101
	v_ashrrev_i32_e32 v32 /*v288*/, 24, v141
	s_set_vgpr_msb 17                       ;  msbs: dst=0 src0=1 src1=0 src2=1
	s_delay_alu instid0(VALU_DEP_2)
	v_add3_u32 v244, v8 /*v264*/, v244, v18 /*v274*/
	s_set_vgpr_msb 64                       ;  msbs: dst=1 src0=0 src1=0 src2=0
	v_bfe_u32 v8 /*v264*/, v105, 12, 4
	s_set_vgpr_msb 0                        ;  msbs: dst=0 src0=0 src1=0 src2=0
	v_bfe_u32 v105, v105, 20, 4
	s_set_vgpr_msb 0x44                     ;  msbs: dst=1 src0=0 src1=1 src2=0
	s_delay_alu instid0(VALU_DEP_2) | instskip(SKIP_1) | instid1(VALU_DEP_2)
	v_mul_i32_i24_e32 v18 /*v274*/, v232, v8 /*v264*/
	s_set_vgpr_msb 64                       ;  msbs: dst=1 src0=0 src1=0 src2=0
	v_mul_i32_i24_e32 v28 /*v284*/, v124, v105
	s_set_vgpr_msb 0x55                     ;  msbs: dst=1 src0=1 src1=1 src2=1
	s_delay_alu instid0(VALU_DEP_1)
	v_add3_u32 v16 /*v272*/, v16 /*v272*/, v18 /*v274*/, v28 /*v284*/
	s_set_vgpr_msb 64                       ;  msbs: dst=1 src0=0 src1=0 src2=0
	v_bfe_u32 v18 /*v274*/, v103, 12, 4
	s_set_vgpr_msb 0                        ;  msbs: dst=0 src0=0 src1=0 src2=0
	v_bfe_u32 v103, v103, 20, 4
	s_set_vgpr_msb 0x44                     ;  msbs: dst=1 src0=0 src1=1 src2=0
	s_delay_alu instid0(VALU_DEP_2) | instskip(SKIP_1) | instid1(VALU_DEP_2)
	v_mul_i32_i24_e32 v28 /*v284*/, v232, v18 /*v274*/
	s_set_vgpr_msb 64                       ;  msbs: dst=1 src0=0 src1=0 src2=0
	v_mul_i32_i24_e32 v30 /*v286*/, v124, v103
	s_set_vgpr_msb 0                        ;  msbs: dst=0 src0=0 src1=0 src2=0
	v_mul_i32_i24_e32 v124, v124, v214
	v_mul_i32_i24_e32 v232, v232, v237
	s_set_vgpr_msb 0x55                     ;  msbs: dst=1 src0=1 src1=1 src2=1
	v_add3_u32 v24 /*v280*/, v24 /*v280*/, v28 /*v284*/, v30 /*v286*/
	s_set_vgpr_msb 0x41                     ;  msbs: dst=1 src0=1 src1=0 src2=0
	v_mul_i32_i24_e32 v28 /*v284*/, v37 /*v293*/, v224
	v_mul_i32_i24_e32 v30 /*v286*/, v36 /*v292*/, v235
	;; [unrolled: 1-line block ×3, first 2 shown]
	s_set_vgpr_msb 20                       ;  msbs: dst=0 src0=0 src1=1 src2=1
	s_delay_alu instid0(VALU_DEP_2)
	v_add3_u32 v92, v92, v28 /*v284*/, v30 /*v286*/
	s_set_vgpr_msb 64                       ;  msbs: dst=1 src0=0 src1=0 src2=0
	v_bfe_i32 v28 /*v284*/, v122, 8, 8
	s_set_vgpr_msb 0                        ;  msbs: dst=0 src0=0 src1=0 src2=0
	v_bfe_i32 v122, v122, 16, 8
	s_set_vgpr_msb 0x45                     ;  msbs: dst=1 src0=1 src1=1 src2=0
	s_delay_alu instid0(VALU_DEP_2) | instskip(SKIP_1) | instid1(VALU_DEP_2)
	v_mul_i32_i24_e32 v30 /*v286*/, v28 /*v284*/, v17 /*v273*/
	s_set_vgpr_msb 64                       ;  msbs: dst=1 src0=0 src1=0 src2=0
	v_mul_i32_i24_e32 v31 /*v287*/, v122, v101
	s_set_vgpr_msb 0x55                     ;  msbs: dst=1 src0=1 src1=1 src2=1
	s_delay_alu instid0(VALU_DEP_1) | instskip(SKIP_4) | instid1(VALU_DEP_1)
	v_add3_u32 v26 /*v282*/, v26 /*v282*/, v30 /*v286*/, v31 /*v287*/
	v_mul_i32_i24_e32 v30 /*v286*/, v28 /*v284*/, v8 /*v264*/
	s_set_vgpr_msb 64                       ;  msbs: dst=1 src0=0 src1=0 src2=0
	v_mul_i32_i24_e32 v31 /*v287*/, v122, v105
	s_set_vgpr_msb 0x55                     ;  msbs: dst=1 src0=1 src1=1 src2=1
	v_add3_u32 v27 /*v283*/, v27 /*v283*/, v30 /*v286*/, v31 /*v287*/
	v_mul_i32_i24_e32 v30 /*v286*/, v28 /*v284*/, v18 /*v274*/
	s_set_vgpr_msb 64                       ;  msbs: dst=1 src0=0 src1=0 src2=0
	v_mul_i32_i24_e32 v31 /*v287*/, v122, v103
	s_set_vgpr_msb 0                        ;  msbs: dst=0 src0=0 src1=0 src2=0
	v_mul_i32_i24_e32 v122, v122, v214
	s_set_vgpr_msb 0x55                     ;  msbs: dst=1 src0=1 src1=1 src2=1
	s_delay_alu instid0(VALU_DEP_2) | instskip(SKIP_4) | instid1(VALU_DEP_1)
	v_add3_u32 v29 /*v285*/, v29 /*v285*/, v30 /*v286*/, v31 /*v287*/
	s_set_vgpr_msb 0x41                     ;  msbs: dst=1 src0=1 src1=0 src2=0
	v_mul_i32_i24_e32 v30 /*v286*/, v46 /*v302*/, v224
	v_mul_i32_i24_e32 v31 /*v287*/, v45 /*v301*/, v235
	s_set_vgpr_msb 20                       ;  msbs: dst=0 src0=0 src1=1 src2=1
	v_add3_u32 v240, v240, v30 /*v286*/, v31 /*v287*/
	s_set_vgpr_msb 64                       ;  msbs: dst=1 src0=0 src1=0 src2=0
	v_bfe_i32 v30 /*v286*/, v128, 8, 8
	s_set_vgpr_msb 0                        ;  msbs: dst=0 src0=0 src1=0 src2=0
	v_bfe_i32 v128, v128, 16, 8
	s_set_vgpr_msb 0x45                     ;  msbs: dst=1 src0=1 src1=1 src2=0
	s_delay_alu instid0(VALU_DEP_2) | instskip(SKIP_1) | instid1(VALU_DEP_2)
	v_mul_i32_i24_e32 v31 /*v287*/, v30 /*v286*/, v17 /*v273*/
	s_set_vgpr_msb 64                       ;  msbs: dst=1 src0=0 src1=0 src2=0
	v_mul_i32_i24_e32 v36 /*v292*/, v128, v101
	s_set_vgpr_msb 0x55                     ;  msbs: dst=1 src0=1 src1=1 src2=1
	s_delay_alu instid0(VALU_DEP_1) | instskip(SKIP_4) | instid1(VALU_DEP_1)
	v_add3_u32 v31 /*v287*/, v34 /*v290*/, v31 /*v287*/, v36 /*v292*/
	v_mul_i32_i24_e32 v34 /*v290*/, v30 /*v286*/, v8 /*v264*/
	s_set_vgpr_msb 64                       ;  msbs: dst=1 src0=0 src1=0 src2=0
	v_mul_i32_i24_e32 v36 /*v292*/, v128, v105
	s_set_vgpr_msb 0x55                     ;  msbs: dst=1 src0=1 src1=1 src2=1
	v_add3_u32 v34 /*v290*/, v35 /*v291*/, v34 /*v290*/, v36 /*v292*/
	v_mul_i32_i24_e32 v35 /*v291*/, v30 /*v286*/, v18 /*v274*/
	s_set_vgpr_msb 64                       ;  msbs: dst=1 src0=0 src1=0 src2=0
	v_mul_i32_i24_e32 v36 /*v292*/, v128, v103
	s_set_vgpr_msb 0                        ;  msbs: dst=0 src0=0 src1=0 src2=0
	v_mul_i32_i24_e32 v128, v128, v214
	s_set_vgpr_msb 0x55                     ;  msbs: dst=1 src0=1 src1=1 src2=1
	s_delay_alu instid0(VALU_DEP_2) | instskip(SKIP_3) | instid1(VALU_DEP_1)
	v_add3_u32 v35 /*v291*/, v39 /*v295*/, v35 /*v291*/, v36 /*v292*/
	s_set_vgpr_msb 0x41                     ;  msbs: dst=1 src0=1 src1=0 src2=0
	v_mul_i32_i24_e32 v36 /*v292*/, v51 /*v307*/, v224
	s_set_vgpr_msb 20                       ;  msbs: dst=0 src0=0 src1=1 src2=1
	v_add3_u32 v249, v249, v36 /*v292*/, v37 /*v293*/
	s_set_vgpr_msb 64                       ;  msbs: dst=1 src0=0 src1=0 src2=0
	v_bfe_i32 v36 /*v292*/, v126, 8, 8
	s_set_vgpr_msb 0                        ;  msbs: dst=0 src0=0 src1=0 src2=0
	v_bfe_i32 v126, v126, 16, 8
	s_set_vgpr_msb 0x45                     ;  msbs: dst=1 src0=1 src1=1 src2=0
	s_delay_alu instid0(VALU_DEP_2) | instskip(SKIP_1) | instid1(VALU_DEP_2)
	v_mul_i32_i24_e32 v37 /*v293*/, v36 /*v292*/, v17 /*v273*/
	s_set_vgpr_msb 64                       ;  msbs: dst=1 src0=0 src1=0 src2=0
	v_mul_i32_i24_e32 v38 /*v294*/, v126, v101
	v_mul_i32_i24_e32 v39 /*v295*/, v126, v105
	;; [unrolled: 1-line block ×3, first 2 shown]
	s_set_vgpr_msb 0                        ;  msbs: dst=0 src0=0 src1=0 src2=0
	v_mul_i32_i24_e32 v126, v126, v214
	s_set_vgpr_msb 0x55                     ;  msbs: dst=1 src0=1 src1=1 src2=1
	v_add3_u32 v37 /*v293*/, v42 /*v298*/, v37 /*v293*/, v38 /*v294*/
	v_mul_i32_i24_e32 v38 /*v294*/, v36 /*v292*/, v8 /*v264*/
	s_set_vgpr_msb 0x41                     ;  msbs: dst=1 src0=1 src1=0 src2=0
	v_mul_i32_i24_e32 v42 /*v298*/, v55 /*v311*/, v235
	s_set_vgpr_msb 0x55                     ;  msbs: dst=1 src0=1 src1=1 src2=1
	s_delay_alu instid0(VALU_DEP_2) | instskip(SKIP_1) | instid1(VALU_DEP_1)
	v_add3_u32 v38 /*v294*/, v47 /*v303*/, v38 /*v294*/, v39 /*v295*/
	v_mul_i32_i24_e32 v39 /*v295*/, v36 /*v292*/, v18 /*v274*/
	v_add3_u32 v39 /*v295*/, v48 /*v304*/, v39 /*v295*/, v40 /*v296*/
	s_set_vgpr_msb 0x41                     ;  msbs: dst=1 src0=1 src1=0 src2=0
	v_mul_i32_i24_e32 v40 /*v296*/, v56 /*v312*/, v224
	s_set_vgpr_msb 20                       ;  msbs: dst=0 src0=0 src1=1 src2=1
	s_delay_alu instid0(VALU_DEP_1)
	v_add3_u32 v250, v250, v40 /*v296*/, v42 /*v298*/
	s_set_vgpr_msb 64                       ;  msbs: dst=1 src0=0 src1=0 src2=0
	v_bfe_i32 v40 /*v296*/, v132, 8, 8
	s_set_vgpr_msb 0                        ;  msbs: dst=0 src0=0 src1=0 src2=0
	v_bfe_i32 v132, v132, 16, 8
	s_set_vgpr_msb 0x45                     ;  msbs: dst=1 src0=1 src1=1 src2=0
	s_delay_alu instid0(VALU_DEP_2) | instskip(SKIP_1) | instid1(VALU_DEP_2)
	v_mul_i32_i24_e32 v42 /*v298*/, v40 /*v296*/, v17 /*v273*/
	s_set_vgpr_msb 64                       ;  msbs: dst=1 src0=0 src1=0 src2=0
	v_mul_i32_i24_e32 v43 /*v299*/, v132, v101
	s_set_vgpr_msb 0x55                     ;  msbs: dst=1 src0=1 src1=1 src2=1
	s_delay_alu instid0(VALU_DEP_1) | instskip(SKIP_4) | instid1(VALU_DEP_1)
	v_add3_u32 v12 /*v268*/, v12 /*v268*/, v42 /*v298*/, v43 /*v299*/
	v_mul_i32_i24_e32 v42 /*v298*/, v40 /*v296*/, v8 /*v264*/
	s_set_vgpr_msb 64                       ;  msbs: dst=1 src0=0 src1=0 src2=0
	v_mul_i32_i24_e32 v43 /*v299*/, v132, v105
	s_set_vgpr_msb 0x55                     ;  msbs: dst=1 src0=1 src1=1 src2=1
	v_add3_u32 v13 /*v269*/, v13 /*v269*/, v42 /*v298*/, v43 /*v299*/
	v_mul_i32_i24_e32 v42 /*v298*/, v40 /*v296*/, v18 /*v274*/
	s_set_vgpr_msb 64                       ;  msbs: dst=1 src0=0 src1=0 src2=0
	v_mul_i32_i24_e32 v43 /*v299*/, v132, v103
	s_set_vgpr_msb 0                        ;  msbs: dst=0 src0=0 src1=0 src2=0
	v_mul_i32_i24_e32 v132, v132, v214
	s_set_vgpr_msb 0x55                     ;  msbs: dst=1 src0=1 src1=1 src2=1
	s_delay_alu instid0(VALU_DEP_2)
	v_add3_u32 v14 /*v270*/, v14 /*v270*/, v42 /*v298*/, v43 /*v299*/
	s_set_vgpr_msb 0x41                     ;  msbs: dst=1 src0=1 src1=0 src2=0
	v_mul_i32_i24_e32 v42 /*v298*/, v61 /*v317*/, v224
	v_mul_i32_i24_e32 v43 /*v299*/, v60 /*v316*/, v235
	s_set_vgpr_msb 1                        ;  msbs: dst=0 src0=1 src1=0 src2=0
	v_mul_i32_i24_e32 v235, v62 /*v318*/, v235
	s_set_vgpr_msb 0x55                     ;  msbs: dst=1 src0=1 src1=1 src2=1
	s_delay_alu instid0(VALU_DEP_2)
	v_add3_u32 v2 /*v258*/, v2 /*v258*/, v42 /*v298*/, v43 /*v299*/
	s_set_vgpr_msb 64                       ;  msbs: dst=1 src0=0 src1=0 src2=0
	v_bfe_i32 v42 /*v298*/, v130, 8, 8
	s_set_vgpr_msb 0                        ;  msbs: dst=0 src0=0 src1=0 src2=0
	v_bfe_i32 v130, v130, 16, 8
	s_set_vgpr_msb 0x45                     ;  msbs: dst=1 src0=1 src1=1 src2=0
	s_delay_alu instid0(VALU_DEP_2) | instskip(SKIP_1) | instid1(VALU_DEP_2)
	v_mul_i32_i24_e32 v43 /*v299*/, v42 /*v298*/, v17 /*v273*/
	s_set_vgpr_msb 64                       ;  msbs: dst=1 src0=0 src1=0 src2=0
	v_mul_i32_i24_e32 v45 /*v301*/, v130, v101
	s_set_vgpr_msb 0x55                     ;  msbs: dst=1 src0=1 src1=1 src2=1
	s_delay_alu instid0(VALU_DEP_1) | instskip(SKIP_4) | instid1(VALU_DEP_1)
	v_add3_u32 v19 /*v275*/, v19 /*v275*/, v43 /*v299*/, v45 /*v301*/
	v_mul_i32_i24_e32 v43 /*v299*/, v42 /*v298*/, v8 /*v264*/
	s_set_vgpr_msb 64                       ;  msbs: dst=1 src0=0 src1=0 src2=0
	v_mul_i32_i24_e32 v45 /*v301*/, v130, v105
	s_set_vgpr_msb 0x55                     ;  msbs: dst=1 src0=1 src1=1 src2=1
	v_add3_u32 v20 /*v276*/, v20 /*v276*/, v43 /*v299*/, v45 /*v301*/
	v_mul_i32_i24_e32 v43 /*v299*/, v42 /*v298*/, v18 /*v274*/
	s_set_vgpr_msb 64                       ;  msbs: dst=1 src0=0 src1=0 src2=0
	v_mul_i32_i24_e32 v45 /*v301*/, v130, v103
	s_set_vgpr_msb 0                        ;  msbs: dst=0 src0=0 src1=0 src2=0
	v_mul_i32_i24_e32 v130, v130, v214
	s_set_vgpr_msb 0x55                     ;  msbs: dst=1 src0=1 src1=1 src2=1
	s_delay_alu instid0(VALU_DEP_2)
	v_add3_u32 v21 /*v277*/, v21 /*v277*/, v43 /*v299*/, v45 /*v301*/
	s_set_vgpr_msb 0x41                     ;  msbs: dst=1 src0=1 src1=0 src2=0
	v_mul_i32_i24_e32 v43 /*v299*/, v63 /*v319*/, v224
	s_set_vgpr_msb 0                        ;  msbs: dst=0 src0=0 src1=0 src2=0
	v_mul_i32_i24_e32 v224, v233, v224
	s_set_vgpr_msb 4                        ;  msbs: dst=0 src0=0 src1=1 src2=0
	s_delay_alu instid0(VALU_DEP_2)
	v_add3_u32 v110, v110, v43 /*v299*/, v235
	s_set_vgpr_msb 0                        ;  msbs: dst=0 src0=0 src1=0 src2=0
	v_ashrrev_i32_e32 v235, 24, v134
	v_bfe_i32 v134, v134, 16, 8
	v_add3_u32 v148, v229, v148, v224
	v_ashrrev_i32_e32 v229, 24, v139
	v_bfe_u32 v224, v86, 8, 4
	v_mul_i32_i24_e32 v236, v235, v236
	s_set_vgpr_msb 64                       ;  msbs: dst=1 src0=0 src1=0 src2=0
	v_mul_i32_i24_e32 v43 /*v299*/, v134, v101
	s_set_vgpr_msb 0                        ;  msbs: dst=0 src0=0 src1=0 src2=0
	v_mul_i32_i24_e32 v101, v225, v101
	s_set_vgpr_msb 5                        ;  msbs: dst=0 src0=1 src1=1 src2=0
	s_delay_alu instid0(VALU_DEP_2) | instskip(SKIP_4) | instid1(VALU_DEP_1)
	v_add3_u32 v236, v3 /*v259*/, v43 /*v299*/, v236
	s_set_vgpr_msb 0x44                     ;  msbs: dst=1 src0=0 src1=1 src2=0
	v_mul_i32_i24_e32 v3 /*v259*/, v227, v9 /*v265*/
	v_mul_i32_i24_e32 v9 /*v265*/, v230, v8 /*v264*/
	s_set_vgpr_msb 20                       ;  msbs: dst=0 src0=0 src1=1 src2=1
	v_add3_u32 v242, v242, v3 /*v259*/, v9 /*v265*/
	s_set_vgpr_msb 0x44                     ;  msbs: dst=1 src0=0 src1=1 src2=0
	v_mul_i32_i24_e32 v3 /*v259*/, v227, v22 /*v278*/
	v_mul_i32_i24_e32 v9 /*v265*/, v230, v18 /*v274*/
	s_set_vgpr_msb 20                       ;  msbs: dst=0 src0=0 src1=1 src2=1
	s_delay_alu instid0(VALU_DEP_1) | instskip(SKIP_4) | instid1(VALU_DEP_2)
	v_add3_u32 v102, v102, v3 /*v259*/, v9 /*v265*/
	s_set_vgpr_msb 0x44                     ;  msbs: dst=1 src0=0 src1=1 src2=0
	v_mul_i32_i24_e32 v3 /*v259*/, v106, v17 /*v273*/
	v_bfe_u32 v9 /*v265*/, v88, 24, 4
	s_set_vgpr_msb 4                        ;  msbs: dst=0 src0=0 src1=1 src2=0
	v_add3_u32 v96, v96, v3 /*v259*/, v101
	v_mul_i32_i24_e32 v101, v106, v8 /*v264*/
	s_set_vgpr_msb 64                       ;  msbs: dst=1 src0=0 src1=0 src2=0
	v_mul_i32_i24_e32 v3 /*v259*/, v225, v105
	s_set_vgpr_msb 4                        ;  msbs: dst=0 src0=0 src1=1 src2=0
	v_mul_i32_i24_e32 v106, v106, v18 /*v274*/
	s_set_vgpr_msb 0                        ;  msbs: dst=0 src0=0 src1=0 src2=0
	v_mul_i32_i24_e32 v225, v225, v103
	s_set_vgpr_msb 0x44                     ;  msbs: dst=1 src0=0 src1=1 src2=0
	v_mul_i32_i24_e32 v17 /*v273*/, v229, v9 /*v265*/
	s_set_vgpr_msb 64                       ;  msbs: dst=1 src0=0 src1=0 src2=0
	v_ashrrev_i32_e32 v18 /*v274*/, 24, v137
	s_set_vgpr_msb 16                       ;  msbs: dst=0 src0=0 src1=0 src2=1
	v_add3_u32 v101, v243, v101, v3 /*v259*/
	s_set_vgpr_msb 0                        ;  msbs: dst=0 src0=0 src1=0 src2=0
	v_add3_u32 v106, v228, v106, v225
	v_bfe_u32 v225, v86, 24, 4
	v_bfe_i32 v228, v139, 8, 8
	s_delay_alu instid0(VALU_DEP_2) | instskip(NEXT) | instid1(VALU_DEP_2)
	v_mul_i32_i24_e32 v243, v229, v225
	v_mul_i32_i24_e32 v233, v228, v224
	s_set_vgpr_msb 0x41                     ;  msbs: dst=1 src0=1 src1=0 src2=0
	v_mul_i32_i24_e32 v22 /*v278*/, v18 /*v274*/, v225
	v_mul_i32_i24_e32 v33 /*v289*/, v32 /*v288*/, v225
	s_set_vgpr_msb 0                        ;  msbs: dst=0 src0=0 src1=0 src2=0
	v_add3_u32 v233, v244, v243, v233
	v_bfe_u32 v243, v90, 8, 4
	v_bfe_u32 v244, v90, 24, 4
	s_set_vgpr_msb 64                       ;  msbs: dst=1 src0=0 src1=0 src2=0
	s_delay_alu instid0(VALU_DEP_2) | instskip(NEXT) | instid1(VALU_DEP_2)
	v_mul_i32_i24_e32 v3 /*v259*/, v228, v243
	v_mul_i32_i24_e32 v8 /*v264*/, v229, v244
	s_set_vgpr_msb 0x55                     ;  msbs: dst=1 src0=1 src1=1 src2=1
	s_delay_alu instid0(VALU_DEP_1) | instskip(SKIP_2) | instid1(VALU_DEP_1)
	v_add3_u32 v3 /*v259*/, v16 /*v272*/, v8 /*v264*/, v3 /*v259*/
	s_set_vgpr_msb 0x44                     ;  msbs: dst=1 src0=0 src1=1 src2=0
	v_bfe_u32 v8 /*v264*/, v88, 8, 4
	v_mul_i32_i24_e32 v16 /*v272*/, v228, v8 /*v264*/
	s_set_vgpr_msb 0x55                     ;  msbs: dst=1 src0=1 src1=1 src2=1
	s_delay_alu instid0(VALU_DEP_1)
	v_add3_u32 v16 /*v272*/, v24 /*v280*/, v17 /*v273*/, v16 /*v272*/
	s_set_vgpr_msb 0x41                     ;  msbs: dst=1 src0=1 src1=0 src2=0
	v_mul_i32_i24_e32 v17 /*v273*/, v25 /*v281*/, v223
	v_mul_i32_i24_e32 v24 /*v280*/, v18 /*v274*/, v244
	s_set_vgpr_msb 0x45                     ;  msbs: dst=1 src0=1 src1=1 src2=0
	v_mul_i32_i24_e32 v25 /*v281*/, v18 /*v274*/, v9 /*v265*/
	s_set_vgpr_msb 4                        ;  msbs: dst=0 src0=0 src1=1 src2=0
	v_add3_u32 v138, v92, v17 /*v273*/, v138
	s_set_vgpr_msb 64                       ;  msbs: dst=1 src0=0 src1=0 src2=0
	v_bfe_i32 v17 /*v273*/, v137, 8, 8
	s_set_vgpr_msb 20                       ;  msbs: dst=0 src0=0 src1=1 src2=1
	s_delay_alu instid0(VALU_DEP_2) | instskip(SKIP_1) | instid1(VALU_DEP_2)
	v_add3_u32 v138, v138, v7 /*v263*/, v6 /*v262*/
	s_set_vgpr_msb 1                        ;  msbs: dst=0 src0=1 src1=0 src2=0
	v_mul_i32_i24_e32 v92, v17 /*v273*/, v224
	s_set_vgpr_msb 64                       ;  msbs: dst=1 src0=0 src1=0 src2=0
	v_bfe_i32 v6 /*v262*/, v137, 0, 8
	s_set_vgpr_msb 0                        ;  msbs: dst=0 src0=0 src1=0 src2=0
	v_bfe_i32 v137, v137, 16, 8
	v_add3_u32 v124, v138, v232, v124
	s_set_vgpr_msb 0x45                     ;  msbs: dst=1 src0=1 src1=1 src2=0
	v_add3_u32 v22 /*v278*/, v26 /*v282*/, v22 /*v278*/, v92
	s_set_vgpr_msb 1                        ;  msbs: dst=0 src0=1 src1=0 src2=0
	v_mul_i32_i24_e32 v92, v17 /*v273*/, v243
	s_set_vgpr_msb 64                       ;  msbs: dst=1 src0=0 src1=0 src2=0
	v_ashrrev_i32_e32 v26 /*v282*/, 24, v143
	s_set_vgpr_msb 0                        ;  msbs: dst=0 src0=0 src1=0 src2=0
	v_bfe_i32 v138, v123, 0, 8
	v_ashrrev_i32_e32 v232, 24, v123
	s_set_vgpr_msb 0x45                     ;  msbs: dst=1 src0=1 src1=1 src2=0
	v_add3_u32 v24 /*v280*/, v27 /*v283*/, v24 /*v280*/, v92
	s_set_vgpr_msb 5                        ;  msbs: dst=0 src0=1 src1=1 src2=0
	v_mul_i32_i24_e32 v92, v17 /*v273*/, v8 /*v264*/
	s_set_vgpr_msb 0x41                     ;  msbs: dst=1 src0=1 src1=0 src2=0
	v_mul_i32_i24_e32 v27 /*v283*/, v26 /*v282*/, v225
	s_set_vgpr_msb 0x45                     ;  msbs: dst=1 src0=1 src1=1 src2=0
	s_delay_alu instid0(VALU_DEP_2)
	v_add3_u32 v25 /*v281*/, v29 /*v285*/, v25 /*v281*/, v92
	s_set_vgpr_msb 1                        ;  msbs: dst=0 src0=1 src1=0 src2=0
	v_mul_i32_i24_e32 v92, v44 /*v300*/, v223
	s_set_vgpr_msb 0x41                     ;  msbs: dst=1 src0=1 src1=0 src2=0
	v_mul_i32_i24_e32 v29 /*v285*/, v26 /*v282*/, v244
	s_set_vgpr_msb 0                        ;  msbs: dst=0 src0=0 src1=0 src2=0
	s_delay_alu instid0(VALU_DEP_2) | instskip(SKIP_1) | instid1(VALU_DEP_2)
	v_add3_u32 v136, v240, v92, v136
	v_bfe_i32 v240, v143, 8, 8
	v_add3_u32 v136, v136, v239, v238
	s_delay_alu instid0(VALU_DEP_2) | instskip(SKIP_3) | instid1(VALU_DEP_3)
	v_mul_i32_i24_e32 v92, v240, v224
	v_bfe_i32 v238, v143, 0, 8
	v_bfe_i32 v143, v143, 16, 8
	s_set_vgpr_msb 0x45                     ;  msbs: dst=1 src0=1 src1=1 src2=0
	v_add3_u32 v27 /*v283*/, v31 /*v287*/, v27 /*v283*/, v92
	s_set_vgpr_msb 0                        ;  msbs: dst=0 src0=0 src1=0 src2=0
	v_mul_i32_i24_e32 v92, v240, v243
	s_set_vgpr_msb 0x45                     ;  msbs: dst=1 src0=1 src1=1 src2=0
	v_mul_i32_i24_e32 v31 /*v287*/, v26 /*v282*/, v9 /*v265*/
	s_delay_alu instid0(VALU_DEP_2)
	v_add3_u32 v29 /*v285*/, v34 /*v290*/, v29 /*v285*/, v92
	s_set_vgpr_msb 4                        ;  msbs: dst=0 src0=0 src1=1 src2=0
	v_mul_i32_i24_e32 v92, v240, v8 /*v264*/
	s_set_vgpr_msb 0x41                     ;  msbs: dst=1 src0=1 src1=0 src2=0
	v_mul_i32_i24_e32 v34 /*v290*/, v32 /*v288*/, v244
	s_set_vgpr_msb 0                        ;  msbs: dst=0 src0=0 src1=0 src2=0
	v_mul_i32_i24_e32 v240, v240, v112
	s_set_vgpr_msb 0x45                     ;  msbs: dst=1 src0=1 src1=1 src2=0
	v_add3_u32 v31 /*v287*/, v35 /*v291*/, v31 /*v287*/, v92
	s_set_vgpr_msb 1                        ;  msbs: dst=0 src0=1 src1=0 src2=0
	v_mul_i32_i24_e32 v92, v67 /*v323*/, v223
	s_set_vgpr_msb 0x45                     ;  msbs: dst=1 src0=1 src1=1 src2=0
	v_mul_i32_i24_e32 v35 /*v291*/, v32 /*v288*/, v9 /*v265*/
	s_set_vgpr_msb 0                        ;  msbs: dst=0 src0=0 src1=0 src2=0
	s_delay_alu instid0(VALU_DEP_2) | instskip(SKIP_1) | instid1(VALU_DEP_2)
	v_add3_u32 v142, v249, v92, v142
	v_bfe_i32 v249, v141, 8, 8
	v_add3_u32 v142, v142, v246, v245
	s_delay_alu instid0(VALU_DEP_2) | instskip(SKIP_3) | instid1(VALU_DEP_3)
	v_mul_i32_i24_e32 v92, v249, v224
	v_bfe_i32 v245, v141, 0, 8
	v_bfe_i32 v141, v141, 16, 8
	s_set_vgpr_msb 0x45                     ;  msbs: dst=1 src0=1 src1=1 src2=0
	v_add3_u32 v33 /*v289*/, v37 /*v293*/, v33 /*v289*/, v92
	s_set_vgpr_msb 0                        ;  msbs: dst=0 src0=0 src1=0 src2=0
	v_mul_i32_i24_e32 v92, v249, v243
	s_set_vgpr_msb 64                       ;  msbs: dst=1 src0=0 src1=0 src2=0
	v_ashrrev_i32_e32 v37 /*v293*/, 24, v147
	s_set_vgpr_msb 0x45                     ;  msbs: dst=1 src0=1 src1=1 src2=0
	s_delay_alu instid0(VALU_DEP_2)
	v_add3_u32 v34 /*v290*/, v38 /*v294*/, v34 /*v290*/, v92
	s_set_vgpr_msb 4                        ;  msbs: dst=0 src0=0 src1=1 src2=0
	v_mul_i32_i24_e32 v92, v249, v8 /*v264*/
	s_set_vgpr_msb 0x41                     ;  msbs: dst=1 src0=1 src1=0 src2=0
	v_mul_i32_i24_e32 v38 /*v294*/, v37 /*v293*/, v225
	s_set_vgpr_msb 0                        ;  msbs: dst=0 src0=0 src1=0 src2=0
	v_mul_i32_i24_e32 v249, v249, v112
	s_set_vgpr_msb 0x45                     ;  msbs: dst=1 src0=1 src1=1 src2=0
	v_add3_u32 v35 /*v291*/, v39 /*v295*/, v35 /*v291*/, v92
	s_set_vgpr_msb 1                        ;  msbs: dst=0 src0=1 src1=0 src2=0
	v_mul_i32_i24_e32 v92, v68 /*v324*/, v223
	s_set_vgpr_msb 0                        ;  msbs: dst=0 src0=0 src1=0 src2=0
	s_delay_alu instid0(VALU_DEP_1) | instskip(SKIP_1) | instid1(VALU_DEP_1)
	v_add3_u32 v140, v250, v92, v140
	v_bfe_i32 v250, v147, 8, 8
	v_mul_i32_i24_e32 v92, v250, v224
	s_set_vgpr_msb 0x45                     ;  msbs: dst=1 src0=1 src1=1 src2=0
	s_delay_alu instid0(VALU_DEP_1)
	v_add3_u32 v12 /*v268*/, v12 /*v268*/, v38 /*v294*/, v92
	s_set_vgpr_msb 0                        ;  msbs: dst=0 src0=0 src1=0 src2=0
	v_mul_i32_i24_e32 v92, v250, v243
	s_set_vgpr_msb 0x41                     ;  msbs: dst=1 src0=1 src1=0 src2=0
	v_mul_i32_i24_e32 v38 /*v294*/, v37 /*v293*/, v244
	s_set_vgpr_msb 0x45                     ;  msbs: dst=1 src0=1 src1=1 src2=0
	s_delay_alu instid0(VALU_DEP_1)
	v_add3_u32 v13 /*v269*/, v13 /*v269*/, v38 /*v294*/, v92
	s_set_vgpr_msb 4                        ;  msbs: dst=0 src0=0 src1=1 src2=0
	v_mul_i32_i24_e32 v92, v250, v8 /*v264*/
	s_set_vgpr_msb 0x45                     ;  msbs: dst=1 src0=1 src1=1 src2=0
	v_mul_i32_i24_e32 v38 /*v294*/, v37 /*v293*/, v9 /*v265*/
	s_set_vgpr_msb 0                        ;  msbs: dst=0 src0=0 src1=0 src2=0
	v_mul_i32_i24_e32 v250, v250, v112
	s_set_vgpr_msb 0x45                     ;  msbs: dst=1 src0=1 src1=1 src2=0
	s_delay_alu instid0(VALU_DEP_2)
	v_add3_u32 v14 /*v270*/, v14 /*v270*/, v38 /*v294*/, v92
	s_set_vgpr_msb 1                        ;  msbs: dst=0 src0=1 src1=0 src2=0
	v_mul_i32_i24_e32 v92, v69 /*v325*/, v223
	s_set_vgpr_msb 64                       ;  msbs: dst=1 src0=0 src1=0 src2=0
	v_ashrrev_i32_e32 v38 /*v294*/, 24, v145
	s_set_vgpr_msb 1                        ;  msbs: dst=0 src0=1 src1=0 src2=0
	s_delay_alu instid0(VALU_DEP_2)
	v_add3_u32 v146, v2 /*v258*/, v92, v146
	s_set_vgpr_msb 64                       ;  msbs: dst=1 src0=0 src1=0 src2=0
	v_bfe_i32 v2 /*v258*/, v145, 8, 8
	s_set_vgpr_msb 0x41                     ;  msbs: dst=1 src0=1 src1=0 src2=0
	v_mul_i32_i24_e32 v39 /*v295*/, v38 /*v294*/, v225
	s_set_vgpr_msb 20                       ;  msbs: dst=0 src0=0 src1=1 src2=1
	v_add3_u32 v146, v146, v5 /*v261*/, v4 /*v260*/
	s_set_vgpr_msb 1                        ;  msbs: dst=0 src0=1 src1=0 src2=0
	v_mul_i32_i24_e32 v92, v2 /*v258*/, v224
	s_set_vgpr_msb 64                       ;  msbs: dst=1 src0=0 src1=0 src2=0
	v_bfe_i32 v4 /*v260*/, v145, 0, 8
	s_set_vgpr_msb 0                        ;  msbs: dst=0 src0=0 src1=0 src2=0
	v_bfe_i32 v145, v145, 16, 8
	s_set_vgpr_msb 0x45                     ;  msbs: dst=1 src0=1 src1=1 src2=0
	v_add3_u32 v19 /*v275*/, v19 /*v275*/, v39 /*v295*/, v92
	s_set_vgpr_msb 1                        ;  msbs: dst=0 src0=1 src1=0 src2=0
	v_mul_i32_i24_e32 v92, v2 /*v258*/, v243
	s_set_vgpr_msb 0x41                     ;  msbs: dst=1 src0=1 src1=0 src2=0
	v_mul_i32_i24_e32 v39 /*v295*/, v38 /*v294*/, v244
	s_set_vgpr_msb 0x45                     ;  msbs: dst=1 src0=1 src1=1 src2=0
	s_delay_alu instid0(VALU_DEP_1) | instskip(SKIP_4) | instid1(VALU_DEP_1)
	v_add3_u32 v20 /*v276*/, v20 /*v276*/, v39 /*v295*/, v92
	s_set_vgpr_msb 5                        ;  msbs: dst=0 src0=1 src1=1 src2=0
	v_mul_i32_i24_e32 v92, v2 /*v258*/, v8 /*v264*/
	s_set_vgpr_msb 0x45                     ;  msbs: dst=1 src0=1 src1=1 src2=0
	v_mul_i32_i24_e32 v39 /*v295*/, v38 /*v294*/, v9 /*v265*/
	v_add3_u32 v21 /*v277*/, v21 /*v277*/, v39 /*v295*/, v92
	s_set_vgpr_msb 1                        ;  msbs: dst=0 src0=1 src1=0 src2=0
	v_mul_i32_i24_e32 v92, v70 /*v326*/, v223
	s_set_vgpr_msb 0                        ;  msbs: dst=0 src0=0 src1=0 src2=0
	v_bfe_i32 v223, v149, 8, 8
	s_delay_alu instid0(VALU_DEP_2) | instskip(SKIP_2) | instid1(VALU_DEP_3)
	v_add3_u32 v110, v110, v92, v144
	v_bfe_i32 v144, v149, 0, 8
	s_set_vgpr_msb 64                       ;  msbs: dst=1 src0=0 src1=0 src2=0
	v_mul_i32_i24_e32 v39 /*v295*/, v223, v224
	s_set_vgpr_msb 0                        ;  msbs: dst=0 src0=0 src1=0 src2=0
	s_delay_alu instid0(VALU_DEP_2) | instskip(SKIP_1) | instid1(VALU_DEP_1)
	v_mul_i32_i24_e32 v92, v144, v222
	s_set_vgpr_msb 4                        ;  msbs: dst=0 src0=0 src1=1 src2=0
	v_add3_u32 v236, v236, v39 /*v295*/, v92
	s_set_vgpr_msb 0                        ;  msbs: dst=0 src0=0 src1=0 src2=0
	v_mul_i32_i24_e32 v92, v134, v105
	s_set_vgpr_msb 4                        ;  msbs: dst=0 src0=0 src1=1 src2=0
	v_mul_i32_i24_e32 v105, v235, v15 /*v271*/
	s_set_vgpr_msb 0                        ;  msbs: dst=0 src0=0 src1=0 src2=0
	s_delay_alu instid0(VALU_DEP_1)
	v_add3_u32 v105, v242, v92, v105
	v_mul_i32_i24_e32 v92, v134, v103
	s_set_vgpr_msb 4                        ;  msbs: dst=0 src0=0 src1=1 src2=0
	v_mul_i32_i24_e32 v103, v235, v23 /*v279*/
	v_bfe_u32 v242, v88, 16, 4
	s_set_vgpr_msb 0                        ;  msbs: dst=0 src0=0 src1=0 src2=0
	s_delay_alu instid0(VALU_DEP_2) | instskip(SKIP_2) | instid1(VALU_DEP_1)
	v_add3_u32 v102, v102, v92, v103
	v_mul_i32_i24_e32 v92, v113, v224
	v_mul_i32_i24_e32 v103, v221, v225
	v_add3_u32 v96, v96, v103, v92
	v_mul_i32_i24_e32 v92, v113, v243
	v_mul_i32_i24_e32 v103, v221, v244
	s_delay_alu instid0(VALU_DEP_1)
	v_add3_u32 v101, v101, v103, v92
	s_set_vgpr_msb 4                        ;  msbs: dst=0 src0=0 src1=1 src2=0
	v_mul_i32_i24_e32 v92, v113, v8 /*v264*/
	v_mul_i32_i24_e32 v103, v221, v9 /*v265*/
	s_set_vgpr_msb 0                        ;  msbs: dst=0 src0=0 src1=0 src2=0
	v_ashrrev_i32_e32 v113, 24, v95
	s_set_vgpr_msb 0x41                     ;  msbs: dst=1 src0=1 src1=0 src2=0
	v_mul_i32_i24_e32 v7 /*v263*/, v6 /*v262*/, v222
	s_set_vgpr_msb 0                        ;  msbs: dst=0 src0=0 src1=0 src2=0
	v_mul_i32_i24_e32 v239, v238, v222
	v_mul_i32_i24_e32 v246, v245, v222
	v_add3_u32 v103, v106, v103, v92
	v_mul_i32_i24_e32 v92, v227, v219
	v_mul_i32_i24_e32 v106, v230, v237
	v_bfe_u32 v227, v90, 16, 4
	s_set_vgpr_msb 1                        ;  msbs: dst=0 src0=1 src1=0 src2=0
	v_mul_i32_i24_e32 v219, v10 /*v266*/, v219
	s_set_vgpr_msb 0x41                     ;  msbs: dst=1 src0=1 src1=0 src2=0
	v_mul_i32_i24_e32 v10 /*v266*/, v11 /*v267*/, v217
	v_mul_i32_i24_e32 v5 /*v261*/, v4 /*v260*/, v222
	s_set_vgpr_msb 0                        ;  msbs: dst=0 src0=0 src1=0 src2=0
	v_add3_u32 v106, v148, v92, v106
	v_lshrrev_b32_e32 v92, 28, v97
	v_bfe_i32 v148, v120, 8, 8
	s_set_vgpr_msb 64                       ;  msbs: dst=1 src0=0 src1=0 src2=0
	v_mul_i32_i24_e32 v23 /*v279*/, v143, v227
	s_set_vgpr_msb 4                        ;  msbs: dst=0 src0=0 src1=1 src2=0
	v_add3_u32 v219, v110, v10 /*v266*/, v219
	s_set_vgpr_msb 64                       ;  msbs: dst=1 src0=0 src1=0 src2=0
	v_ashrrev_i32_e32 v10 /*v266*/, 24, v149
	s_set_vgpr_msb 0                        ;  msbs: dst=0 src0=0 src1=0 src2=0
	v_mul_i32_i24_e32 v97, v113, v92
	v_mul_i32_i24_e32 v95, v148, v158
	v_bfe_i32 v149, v149, 16, 8
	s_set_vgpr_msb 1                        ;  msbs: dst=0 src0=1 src1=0 src2=0
	v_mul_i32_i24_e32 v110, v10 /*v266*/, v225
	s_set_vgpr_msb 0                        ;  msbs: dst=0 src0=0 src1=0 src2=0
	v_add3_u32 v94, v94, v97, v95
	v_bfe_i32 v97, v139, 0, 8
	v_bfe_i32 v139, v139, 16, 8
	v_bfe_u32 v95, v86, 16, 4
	s_delay_alu instid0(VALU_DEP_3) | instskip(SKIP_1) | instid1(VALU_DEP_3)
	v_mul_i32_i24_e32 v221, v97, v222
	s_set_vgpr_msb 64                       ;  msbs: dst=1 src0=0 src1=0 src2=0
	v_mul_i32_i24_e32 v15 /*v271*/, v139, v242
	s_set_vgpr_msb 0                        ;  msbs: dst=0 src0=0 src1=0 src2=0
	v_mul_i32_i24_e32 v224, v139, v95
	v_mul_i32_i24_e32 v225, v149, v95
	s_delay_alu instid0(VALU_DEP_2) | instskip(SKIP_2) | instid1(VALU_DEP_4)
	v_add3_u32 v221, v233, v221, v224
	v_and_b32_e32 v224, 15, v90
	v_mul_i32_i24_e32 v233, v139, v227
	v_add3_u32 v225, v236, v225, v110
	v_mul_i32_i24_e32 v110, v223, v243
	s_delay_alu instid0(VALU_DEP_4) | instskip(SKIP_2) | instid1(VALU_DEP_2)
	v_mul_i32_i24_e32 v230, v97, v224
	v_mul_i32_i24_e32 v236, v144, v224
	s_set_vgpr_msb 1                        ;  msbs: dst=0 src0=1 src1=0 src2=0
	v_add3_u32 v230, v3 /*v259*/, v230, v233
	v_and_b32_e32 v233, 15, v88
	s_set_vgpr_msb 0                        ;  msbs: dst=0 src0=0 src1=0 src2=0
	v_add3_u32 v105, v105, v110, v236
	s_set_vgpr_msb 4                        ;  msbs: dst=0 src0=0 src1=1 src2=0
	v_mul_i32_i24_e32 v110, v223, v8 /*v264*/
	s_set_vgpr_msb 64                       ;  msbs: dst=1 src0=0 src1=0 src2=0
	v_mul_i32_i24_e32 v3 /*v259*/, v97, v233
	s_set_vgpr_msb 0                        ;  msbs: dst=0 src0=0 src1=0 src2=0
	v_mul_i32_i24_e32 v236, v144, v233
	s_set_vgpr_msb 0x55                     ;  msbs: dst=1 src0=1 src1=1 src2=1
	s_delay_alu instid0(VALU_DEP_2)
	v_add3_u32 v3 /*v259*/, v16 /*v272*/, v3 /*v259*/, v15 /*v271*/
	s_set_vgpr_msb 64                       ;  msbs: dst=1 src0=0 src1=0 src2=0
	v_mul_i32_i24_e32 v15 /*v271*/, v137, v95
	v_mul_i32_i24_e32 v16 /*v272*/, v137, v227
	s_set_vgpr_msb 0                        ;  msbs: dst=0 src0=0 src1=0 src2=0
	v_add3_u32 v102, v102, v110, v236
	v_mul_i32_i24_e32 v110, v218, v222
	s_set_vgpr_msb 0x55                     ;  msbs: dst=1 src0=1 src1=1 src2=1
	v_add3_u32 v7 /*v263*/, v22 /*v278*/, v7 /*v263*/, v15 /*v271*/
	s_set_vgpr_msb 0x41                     ;  msbs: dst=1 src0=1 src1=0 src2=0
	v_mul_i32_i24_e32 v15 /*v271*/, v6 /*v262*/, v224
	s_set_vgpr_msb 64                       ;  msbs: dst=1 src0=0 src1=0 src2=0
	v_mul_i32_i24_e32 v22 /*v278*/, v137, v242
	s_set_vgpr_msb 0x55                     ;  msbs: dst=1 src0=1 src1=1 src2=1
	s_delay_alu instid0(VALU_DEP_2)
	v_add3_u32 v15 /*v271*/, v24 /*v280*/, v15 /*v271*/, v16 /*v272*/
	s_set_vgpr_msb 0x41                     ;  msbs: dst=1 src0=1 src1=0 src2=0
	v_mul_i32_i24_e32 v16 /*v272*/, v6 /*v262*/, v233
	s_set_vgpr_msb 64                       ;  msbs: dst=1 src0=0 src1=0 src2=0
	v_mul_i32_i24_e32 v24 /*v280*/, v143, v242
	s_set_vgpr_msb 0x55                     ;  msbs: dst=1 src0=1 src1=1 src2=1
	s_delay_alu instid0(VALU_DEP_2) | instskip(SKIP_4) | instid1(VALU_DEP_2)
	v_add3_u32 v16 /*v272*/, v25 /*v281*/, v16 /*v272*/, v22 /*v278*/
	s_set_vgpr_msb 64                       ;  msbs: dst=1 src0=0 src1=0 src2=0
	v_mul_i32_i24_e32 v22 /*v278*/, v143, v95
	v_mul_i32_i24_e32 v25 /*v281*/, v141, v227
	s_set_vgpr_msb 17                       ;  msbs: dst=0 src0=1 src1=0 src2=1
	v_add3_u32 v239, v27 /*v283*/, v239, v22 /*v278*/
	s_set_vgpr_msb 64                       ;  msbs: dst=1 src0=0 src1=0 src2=0
	v_mul_i32_i24_e32 v22 /*v278*/, v238, v224
	v_mul_i32_i24_e32 v27 /*v283*/, v141, v242
	s_set_vgpr_msb 0x55                     ;  msbs: dst=1 src0=1 src1=1 src2=1
	s_delay_alu instid0(VALU_DEP_2) | instskip(SKIP_3) | instid1(VALU_DEP_1)
	v_add3_u32 v22 /*v278*/, v29 /*v285*/, v22 /*v278*/, v23 /*v279*/
	s_set_vgpr_msb 64                       ;  msbs: dst=1 src0=0 src1=0 src2=0
	v_mul_i32_i24_e32 v23 /*v279*/, v238, v233
	s_set_vgpr_msb 0x55                     ;  msbs: dst=1 src0=1 src1=1 src2=1
	v_add3_u32 v23 /*v279*/, v31 /*v287*/, v23 /*v279*/, v24 /*v280*/
	s_set_vgpr_msb 64                       ;  msbs: dst=1 src0=0 src1=0 src2=0
	v_mul_i32_i24_e32 v24 /*v280*/, v141, v95
	s_set_vgpr_msb 17                       ;  msbs: dst=0 src0=1 src1=0 src2=1
	s_delay_alu instid0(VALU_DEP_1) | instskip(SKIP_3) | instid1(VALU_DEP_1)
	v_add3_u32 v246, v33 /*v289*/, v246, v24 /*v280*/
	s_set_vgpr_msb 64                       ;  msbs: dst=1 src0=0 src1=0 src2=0
	v_mul_i32_i24_e32 v24 /*v280*/, v245, v224
	s_set_vgpr_msb 0x55                     ;  msbs: dst=1 src0=1 src1=1 src2=1
	v_add3_u32 v24 /*v280*/, v34 /*v290*/, v24 /*v280*/, v25 /*v281*/
	s_set_vgpr_msb 64                       ;  msbs: dst=1 src0=0 src1=0 src2=0
	v_mul_i32_i24_e32 v25 /*v281*/, v245, v233
	s_set_vgpr_msb 0x55                     ;  msbs: dst=1 src0=1 src1=1 src2=1
	s_delay_alu instid0(VALU_DEP_1) | instskip(SKIP_3) | instid1(VALU_DEP_1)
	v_add3_u32 v25 /*v281*/, v35 /*v291*/, v25 /*v281*/, v27 /*v283*/
	s_set_vgpr_msb 0x41                     ;  msbs: dst=1 src0=1 src1=0 src2=0
	v_mul_i32_i24_e32 v27 /*v283*/, v41 /*v297*/, v217
	s_set_vgpr_msb 4                        ;  msbs: dst=0 src0=0 src1=1 src2=0
	v_add3_u32 v140, v140, v27 /*v283*/, v255
	v_bfe_i32 v255, v147, 0, 8
	v_bfe_i32 v147, v147, 16, 8
	s_set_vgpr_msb 64                       ;  msbs: dst=1 src0=0 src1=0 src2=0
	s_delay_alu instid0(VALU_DEP_2) | instskip(NEXT) | instid1(VALU_DEP_2)
	v_mul_i32_i24_e32 v27 /*v283*/, v255, v222
	v_mul_i32_i24_e32 v29 /*v285*/, v147, v95
	s_set_vgpr_msb 0x55                     ;  msbs: dst=1 src0=1 src1=1 src2=1
	s_delay_alu instid0(VALU_DEP_1) | instskip(SKIP_4) | instid1(VALU_DEP_1)
	v_add3_u32 v12 /*v268*/, v12 /*v268*/, v27 /*v283*/, v29 /*v285*/
	s_set_vgpr_msb 64                       ;  msbs: dst=1 src0=0 src1=0 src2=0
	v_mul_i32_i24_e32 v27 /*v283*/, v255, v224
	v_mul_i32_i24_e32 v29 /*v285*/, v147, v227
	s_set_vgpr_msb 0x55                     ;  msbs: dst=1 src0=1 src1=1 src2=1
	v_add3_u32 v13 /*v269*/, v13 /*v269*/, v27 /*v283*/, v29 /*v285*/
	s_set_vgpr_msb 64                       ;  msbs: dst=1 src0=0 src1=0 src2=0
	v_mul_i32_i24_e32 v27 /*v283*/, v255, v233
	v_mul_i32_i24_e32 v29 /*v285*/, v147, v242
	s_set_vgpr_msb 0x55                     ;  msbs: dst=1 src0=1 src1=1 src2=1
	s_delay_alu instid0(VALU_DEP_1)
	v_add3_u32 v14 /*v270*/, v14 /*v270*/, v27 /*v283*/, v29 /*v285*/
	s_set_vgpr_msb 64                       ;  msbs: dst=1 src0=0 src1=0 src2=0
	v_mul_i32_i24_e32 v27 /*v283*/, v145, v95
	s_set_vgpr_msb 0                        ;  msbs: dst=0 src0=0 src1=0 src2=0
	v_mul_i32_i24_e32 v95, v220, v95
	s_set_vgpr_msb 0x55                     ;  msbs: dst=1 src0=1 src1=1 src2=1
	s_delay_alu instid0(VALU_DEP_2) | instskip(SKIP_1) | instid1(VALU_DEP_2)
	v_add3_u32 v5 /*v261*/, v19 /*v275*/, v5 /*v261*/, v27 /*v283*/
	s_set_vgpr_msb 0                        ;  msbs: dst=0 src0=0 src1=0 src2=0
	v_add3_u32 v95, v96, v110, v95
	v_mul_i32_i24_e32 v96, v218, v224
	v_mul_i32_i24_e32 v110, v220, v227
	s_set_vgpr_msb 0x41                     ;  msbs: dst=1 src0=1 src1=0 src2=0
	v_mul_i32_i24_e32 v19 /*v275*/, v4 /*v260*/, v224
	s_set_vgpr_msb 64                       ;  msbs: dst=1 src0=0 src1=0 src2=0
	v_mul_i32_i24_e32 v27 /*v283*/, v145, v227
	s_set_vgpr_msb 0                        ;  msbs: dst=0 src0=0 src1=0 src2=0
	v_mul_i32_i24_e32 v227, v149, v227
	v_add3_u32 v96, v101, v96, v110
	v_mul_i32_i24_e32 v101, v218, v233
	v_mul_i32_i24_e32 v110, v220, v242
	v_ashrrev_i32_e32 v218, 24, v125
	s_set_vgpr_msb 0x55                     ;  msbs: dst=1 src0=1 src1=1 src2=1
	v_add3_u32 v19 /*v275*/, v20 /*v276*/, v19 /*v275*/, v27 /*v283*/
	s_set_vgpr_msb 64                       ;  msbs: dst=1 src0=0 src1=0 src2=0
	v_mul_i32_i24_e32 v27 /*v283*/, v145, v242
	s_set_vgpr_msb 0                        ;  msbs: dst=0 src0=0 src1=0 src2=0
	v_mul_i32_i24_e32 v242, v149, v242
	v_add3_u32 v101, v103, v101, v110
	v_mul_i32_i24_e32 v103, v235, v217
	v_mul_i32_i24_e32 v110, v134, v214
	v_bfe_i32 v134, v120, 16, 8
	v_ashrrev_i32_e32 v217, 24, v120
	v_bfe_i32 v120, v125, 0, 8
	s_set_vgpr_msb 1                        ;  msbs: dst=0 src0=1 src1=0 src2=0
	v_mul_i32_i24_e32 v214, v42 /*v298*/, v237
	s_set_vgpr_msb 0                        ;  msbs: dst=0 src0=0 src1=0 src2=0
	v_add3_u32 v103, v106, v110, v103
	v_mul_i32_i24_e32 v106, v134, v157
	v_mul_i32_i24_e32 v110, v217, v160
	v_mul_i32_i24_e32 v145, v145, v210
	v_add3_u32 v130, v219, v214, v130
	v_bfe_u32 v219, v86, 12, 4
	v_bfe_i32 v214, v135, 8, 8
	v_add3_u32 v110, v94, v106, v110
	v_bfe_u32 v94, v86, 4, 4
	v_lshrrev_b32_e32 v106, 28, v86
	s_set_vgpr_msb 0x41                     ;  msbs: dst=1 src0=1 src1=0 src2=0
	v_mul_i32_i24_e32 v20 /*v276*/, v4 /*v260*/, v233
	s_set_vgpr_msb 0                        ;  msbs: dst=0 src0=0 src1=0 src2=0
	v_bfe_u32 v86, v86, 20, 4
	v_mul_i32_i24_e32 v220, v120, v94
	v_mul_i32_i24_e32 v222, v218, v106
	v_mul_i32_i24_e32 v243, v232, v106
	s_set_vgpr_msb 0x55                     ;  msbs: dst=1 src0=1 src1=1 src2=1
	v_add3_u32 v20 /*v276*/, v21 /*v277*/, v20 /*v276*/, v27 /*v283*/
	s_set_vgpr_msb 0                        ;  msbs: dst=0 src0=0 src1=0 src2=0
	v_add3_u32 v220, v221, v222, v220
	v_bfe_u32 v221, v90, 4, 4
	v_lshrrev_b32_e32 v222, 28, v90
	s_delay_alu instid0(VALU_DEP_2) | instskip(NEXT) | instid1(VALU_DEP_2)
	v_mul_i32_i24_e32 v224, v120, v221
	v_mul_i32_i24_e32 v233, v218, v222
	s_delay_alu instid0(VALU_DEP_1) | instskip(SKIP_2) | instid1(VALU_DEP_2)
	v_add3_u32 v224, v230, v233, v224
	v_bfe_u32 v230, v88, 4, 4
	v_lshrrev_b32_e32 v233, 28, v88
	v_mul_i32_i24_e32 v235, v120, v230
	s_delay_alu instid0(VALU_DEP_2) | instskip(SKIP_3) | instid1(VALU_DEP_3)
	v_mul_i32_i24_e32 v236, v218, v233
	v_mul_i32_i24_e32 v120, v120, v209
	;; [unrolled: 1-line block ×3, first 2 shown]
	s_set_vgpr_msb 1                        ;  msbs: dst=0 src0=1 src1=0 src2=0
	v_add3_u32 v235, v3 /*v259*/, v236, v235
	s_set_vgpr_msb 0                        ;  msbs: dst=0 src0=0 src1=0 src2=0
	v_mul_i32_i24_e32 v236, v138, v94
	s_set_vgpr_msb 64                       ;  msbs: dst=1 src0=0 src1=0 src2=0
	v_mul_i32_i24_e32 v3 /*v259*/, v232, v222
	s_set_vgpr_msb 1                        ;  msbs: dst=0 src0=1 src1=0 src2=0
	s_delay_alu instid0(VALU_DEP_2)
	v_add3_u32 v236, v7 /*v263*/, v243, v236
	s_set_vgpr_msb 0                        ;  msbs: dst=0 src0=0 src1=0 src2=0
	v_mul_i32_i24_e32 v243, v138, v221
	s_set_vgpr_msb 64                       ;  msbs: dst=1 src0=0 src1=0 src2=0
	v_mul_i32_i24_e32 v7 /*v263*/, v232, v233
	s_set_vgpr_msb 5                        ;  msbs: dst=0 src0=1 src1=1 src2=0
	s_delay_alu instid0(VALU_DEP_2)
	v_add3_u32 v243, v15 /*v271*/, v3 /*v259*/, v243
	s_set_vgpr_msb 64                       ;  msbs: dst=1 src0=0 src1=0 src2=0
	v_mul_i32_i24_e32 v3 /*v259*/, v138, v230
	s_set_vgpr_msb 0                        ;  msbs: dst=0 src0=0 src1=0 src2=0
	v_mul_i32_i24_e32 v138, v138, v209
	s_set_vgpr_msb 0x55                     ;  msbs: dst=1 src0=1 src1=1 src2=1
	s_delay_alu instid0(VALU_DEP_2) | instskip(SKIP_3) | instid1(VALU_DEP_1)
	v_add3_u32 v3 /*v259*/, v16 /*v272*/, v7 /*v263*/, v3 /*v259*/
	s_set_vgpr_msb 0x41                     ;  msbs: dst=1 src0=1 src1=0 src2=0
	v_mul_i32_i24_e32 v7 /*v263*/, v28 /*v284*/, v237
	s_set_vgpr_msb 4                        ;  msbs: dst=0 src0=0 src1=1 src2=0
	v_add3_u32 v122, v136, v7 /*v263*/, v122
	v_bfe_i32 v136, v129, 0, 8
	s_set_vgpr_msb 64                       ;  msbs: dst=1 src0=0 src1=0 src2=0
	v_ashrrev_i32_e32 v7 /*v263*/, 24, v129
	s_delay_alu instid0(VALU_DEP_2) | instskip(SKIP_1) | instid1(VALU_DEP_2)
	v_mul_i32_i24_e32 v8 /*v264*/, v136, v94
	s_set_vgpr_msb 0x41                     ;  msbs: dst=1 src0=1 src1=0 src2=0
	v_mul_i32_i24_e32 v11 /*v267*/, v7 /*v263*/, v106
	v_mul_i32_i24_e32 v15 /*v271*/, v7 /*v263*/, v233
	s_set_vgpr_msb 20                       ;  msbs: dst=0 src0=0 src1=1 src2=1
	s_delay_alu instid0(VALU_DEP_2)
	v_add3_u32 v239, v239, v11 /*v267*/, v8 /*v264*/
	s_set_vgpr_msb 64                       ;  msbs: dst=1 src0=0 src1=0 src2=0
	v_mul_i32_i24_e32 v8 /*v264*/, v136, v221
	s_set_vgpr_msb 0x41                     ;  msbs: dst=1 src0=1 src1=0 src2=0
	v_mul_i32_i24_e32 v11 /*v267*/, v7 /*v263*/, v222
	s_set_vgpr_msb 0x55                     ;  msbs: dst=1 src0=1 src1=1 src2=1
	s_delay_alu instid0(VALU_DEP_1)
	v_add3_u32 v8 /*v264*/, v22 /*v278*/, v11 /*v267*/, v8 /*v264*/
	s_set_vgpr_msb 64                       ;  msbs: dst=1 src0=0 src1=0 src2=0
	v_mul_i32_i24_e32 v11 /*v267*/, v136, v230
	s_set_vgpr_msb 0                        ;  msbs: dst=0 src0=0 src1=0 src2=0
	v_mul_i32_i24_e32 v136, v136, v209
	s_set_vgpr_msb 0x55                     ;  msbs: dst=1 src0=1 src1=1 src2=1
	s_delay_alu instid0(VALU_DEP_2) | instskip(SKIP_3) | instid1(VALU_DEP_1)
	v_add3_u32 v11 /*v267*/, v23 /*v279*/, v15 /*v271*/, v11 /*v267*/
	s_set_vgpr_msb 0x41                     ;  msbs: dst=1 src0=1 src1=0 src2=0
	v_mul_i32_i24_e32 v15 /*v271*/, v30 /*v286*/, v237
	s_set_vgpr_msb 4                        ;  msbs: dst=0 src0=0 src1=1 src2=0
	v_add3_u32 v128, v142, v15 /*v271*/, v128
	v_bfe_i32 v142, v127, 0, 8
	s_set_vgpr_msb 64                       ;  msbs: dst=1 src0=0 src1=0 src2=0
	v_ashrrev_i32_e32 v15 /*v271*/, 24, v127
	s_set_vgpr_msb 1                        ;  msbs: dst=0 src0=1 src1=0 src2=0
	v_mul_i32_i24_e32 v244, v10 /*v266*/, v244
	s_set_vgpr_msb 64                       ;  msbs: dst=1 src0=0 src1=0 src2=0
	v_mul_i32_i24_e32 v16 /*v272*/, v142, v94
	s_set_vgpr_msb 0x41                     ;  msbs: dst=1 src0=1 src1=0 src2=0
	v_mul_i32_i24_e32 v21 /*v277*/, v15 /*v271*/, v106
	v_mul_i32_i24_e32 v22 /*v278*/, v15 /*v271*/, v233
	s_set_vgpr_msb 0                        ;  msbs: dst=0 src0=0 src1=0 src2=0
	v_add3_u32 v105, v105, v227, v244
	s_set_vgpr_msb 5                        ;  msbs: dst=0 src0=1 src1=1 src2=0
	v_mul_i32_i24_e32 v227, v10 /*v266*/, v9 /*v265*/
	s_set_vgpr_msb 20                       ;  msbs: dst=0 src0=0 src1=1 src2=1
	v_add3_u32 v246, v246, v21 /*v277*/, v16 /*v272*/
	s_set_vgpr_msb 64                       ;  msbs: dst=1 src0=0 src1=0 src2=0
	v_mul_i32_i24_e32 v16 /*v272*/, v142, v221
	s_set_vgpr_msb 0x41                     ;  msbs: dst=1 src0=1 src1=0 src2=0
	v_mul_i32_i24_e32 v21 /*v277*/, v15 /*v271*/, v222
	s_set_vgpr_msb 0                        ;  msbs: dst=0 src0=0 src1=0 src2=0
	v_add3_u32 v102, v102, v242, v227
	v_mul_i32_i24_e32 v227, v215, v106
	s_set_vgpr_msb 0x55                     ;  msbs: dst=1 src0=1 src1=1 src2=1
	v_add3_u32 v16 /*v272*/, v24 /*v280*/, v21 /*v277*/, v16 /*v272*/
	s_set_vgpr_msb 64                       ;  msbs: dst=1 src0=0 src1=0 src2=0
	v_mul_i32_i24_e32 v21 /*v277*/, v142, v230
	s_set_vgpr_msb 0                        ;  msbs: dst=0 src0=0 src1=0 src2=0
	v_mul_i32_i24_e32 v142, v142, v209
	s_set_vgpr_msb 0x55                     ;  msbs: dst=1 src0=1 src1=1 src2=1
	s_delay_alu instid0(VALU_DEP_2) | instskip(SKIP_3) | instid1(VALU_DEP_1)
	v_add3_u32 v21 /*v277*/, v25 /*v281*/, v22 /*v278*/, v21 /*v277*/
	s_set_vgpr_msb 0x41                     ;  msbs: dst=1 src0=1 src1=0 src2=0
	v_mul_i32_i24_e32 v22 /*v278*/, v36 /*v292*/, v237
	s_set_vgpr_msb 4                        ;  msbs: dst=0 src0=0 src1=1 src2=0
	v_add3_u32 v126, v140, v22 /*v278*/, v126
	v_bfe_i32 v140, v133, 0, 8
	s_set_vgpr_msb 64                       ;  msbs: dst=1 src0=0 src1=0 src2=0
	v_ashrrev_i32_e32 v22 /*v278*/, 24, v133
	s_delay_alu instid0(VALU_DEP_2) | instskip(SKIP_1) | instid1(VALU_DEP_2)
	v_mul_i32_i24_e32 v23 /*v279*/, v140, v94
	s_set_vgpr_msb 0x41                     ;  msbs: dst=1 src0=1 src1=0 src2=0
	v_mul_i32_i24_e32 v24 /*v280*/, v22 /*v278*/, v106
	s_set_vgpr_msb 0x55                     ;  msbs: dst=1 src0=1 src1=1 src2=1
	s_delay_alu instid0(VALU_DEP_1)
	v_add3_u32 v12 /*v268*/, v12 /*v268*/, v24 /*v280*/, v23 /*v279*/
	s_set_vgpr_msb 64                       ;  msbs: dst=1 src0=0 src1=0 src2=0
	v_mul_i32_i24_e32 v23 /*v279*/, v140, v221
	s_set_vgpr_msb 0x41                     ;  msbs: dst=1 src0=1 src1=0 src2=0
	v_mul_i32_i24_e32 v24 /*v280*/, v22 /*v278*/, v222
	s_set_vgpr_msb 0x55                     ;  msbs: dst=1 src0=1 src1=1 src2=1
	s_delay_alu instid0(VALU_DEP_1)
	v_add3_u32 v13 /*v269*/, v13 /*v269*/, v24 /*v280*/, v23 /*v279*/
	s_set_vgpr_msb 64                       ;  msbs: dst=1 src0=0 src1=0 src2=0
	v_mul_i32_i24_e32 v23 /*v279*/, v140, v230
	s_set_vgpr_msb 0x41                     ;  msbs: dst=1 src0=1 src1=0 src2=0
	v_mul_i32_i24_e32 v24 /*v280*/, v22 /*v278*/, v233
	s_set_vgpr_msb 0                        ;  msbs: dst=0 src0=0 src1=0 src2=0
	v_mul_i32_i24_e32 v140, v140, v209
	s_set_vgpr_msb 0x55                     ;  msbs: dst=1 src0=1 src1=1 src2=1
	s_delay_alu instid0(VALU_DEP_2) | instskip(SKIP_4) | instid1(VALU_DEP_2)
	v_add3_u32 v14 /*v270*/, v14 /*v270*/, v24 /*v280*/, v23 /*v279*/
	s_set_vgpr_msb 0x41                     ;  msbs: dst=1 src0=1 src1=0 src2=0
	v_mul_i32_i24_e32 v23 /*v279*/, v40 /*v296*/, v237
	s_set_vgpr_msb 4                        ;  msbs: dst=0 src0=0 src1=1 src2=0
	v_bfe_i32 v237, v135, 0, 8
	v_add3_u32 v132, v146, v23 /*v279*/, v132
	v_bfe_i32 v146, v131, 0, 8
	s_set_vgpr_msb 64                       ;  msbs: dst=1 src0=0 src1=0 src2=0
	v_ashrrev_i32_e32 v23 /*v279*/, 24, v131
	s_delay_alu instid0(VALU_DEP_2) | instskip(SKIP_1) | instid1(VALU_DEP_2)
	v_mul_i32_i24_e32 v24 /*v280*/, v146, v94
	s_set_vgpr_msb 0x41                     ;  msbs: dst=1 src0=1 src1=0 src2=0
	v_mul_i32_i24_e32 v25 /*v281*/, v23 /*v279*/, v106
	s_set_vgpr_msb 0x55                     ;  msbs: dst=1 src0=1 src1=1 src2=1
	s_delay_alu instid0(VALU_DEP_1)
	v_add3_u32 v5 /*v261*/, v5 /*v261*/, v25 /*v281*/, v24 /*v280*/
	s_set_vgpr_msb 64                       ;  msbs: dst=1 src0=0 src1=0 src2=0
	v_mul_i32_i24_e32 v24 /*v280*/, v146, v221
	s_set_vgpr_msb 0x41                     ;  msbs: dst=1 src0=1 src1=0 src2=0
	v_mul_i32_i24_e32 v25 /*v281*/, v23 /*v279*/, v222
	s_set_vgpr_msb 0x55                     ;  msbs: dst=1 src0=1 src1=1 src2=1
	s_delay_alu instid0(VALU_DEP_1)
	v_add3_u32 v19 /*v275*/, v19 /*v275*/, v25 /*v281*/, v24 /*v280*/
	s_set_vgpr_msb 64                       ;  msbs: dst=1 src0=0 src1=0 src2=0
	v_mul_i32_i24_e32 v24 /*v280*/, v146, v230
	s_set_vgpr_msb 0x41                     ;  msbs: dst=1 src0=1 src1=0 src2=0
	v_mul_i32_i24_e32 v25 /*v281*/, v23 /*v279*/, v233
	s_set_vgpr_msb 0                        ;  msbs: dst=0 src0=0 src1=0 src2=0
	v_mul_i32_i24_e32 v146, v146, v209
	s_set_vgpr_msb 0x55                     ;  msbs: dst=1 src0=1 src1=1 src2=1
	s_delay_alu instid0(VALU_DEP_2)
	v_add3_u32 v20 /*v276*/, v20 /*v276*/, v25 /*v281*/, v24 /*v280*/
	s_set_vgpr_msb 64                       ;  msbs: dst=1 src0=0 src1=0 src2=0
	v_mul_i32_i24_e32 v25 /*v281*/, v237, v94
	s_set_vgpr_msb 0                        ;  msbs: dst=0 src0=0 src1=0 src2=0
	v_mul_i32_i24_e32 v94, v216, v94
	s_set_vgpr_msb 64                       ;  msbs: dst=1 src0=0 src1=0 src2=0
	v_mul_i32_i24_e32 v24 /*v280*/, v214, v219
	s_set_vgpr_msb 0                        ;  msbs: dst=0 src0=0 src1=0 src2=0
	s_delay_alu instid0(VALU_DEP_2)
	v_add3_u32 v94, v95, v227, v94
	v_mul_i32_i24_e32 v95, v216, v221
	v_mul_i32_i24_e32 v227, v215, v222
	;; [unrolled: 1-line block ×3, first 2 shown]
	s_set_vgpr_msb 20                       ;  msbs: dst=0 src0=0 src1=1 src2=1
	v_add3_u32 v225, v225, v25 /*v281*/, v24 /*v280*/
	s_set_vgpr_msb 0                        ;  msbs: dst=0 src0=0 src1=0 src2=0
	v_add3_u32 v95, v96, v227, v95
	v_mul_i32_i24_e32 v96, v216, v230
	v_mul_i32_i24_e32 v227, v228, v112
	s_delay_alu instid0(VALU_DEP_2) | instskip(SKIP_2) | instid1(VALU_DEP_1)
	v_add3_u32 v96, v101, v215, v96
	v_mul_i32_i24_e32 v101, v144, v211
	v_mul_i32_i24_e32 v144, v223, v112
	v_add3_u32 v101, v103, v144, v101
	v_bfe_i32 v144, v125, 8, 8
	v_bfe_i32 v125, v125, 16, 8
	s_delay_alu instid0(VALU_DEP_2) | instskip(NEXT) | instid1(VALU_DEP_2)
	v_mul_i32_i24_e32 v103, v144, v219
	v_mul_i32_i24_e32 v215, v125, v86
	s_delay_alu instid0(VALU_DEP_1) | instskip(SKIP_2) | instid1(VALU_DEP_2)
	v_add3_u32 v103, v220, v103, v215
	v_bfe_u32 v215, v90, 12, 4
	v_bfe_u32 v90, v90, 20, 4
	v_mul_i32_i24_e32 v216, v144, v215
	s_delay_alu instid0(VALU_DEP_2) | instskip(NEXT) | instid1(VALU_DEP_1)
	v_mul_i32_i24_e32 v220, v125, v90
	v_add3_u32 v216, v224, v216, v220
	v_bfe_u32 v220, v88, 12, 4
	v_bfe_u32 v88, v88, 20, 4
	s_delay_alu instid0(VALU_DEP_2) | instskip(NEXT) | instid1(VALU_DEP_2)
	v_mul_i32_i24_e32 v223, v144, v220
	v_mul_i32_i24_e32 v224, v125, v88
	;; [unrolled: 1-line block ×4, first 2 shown]
	s_delay_alu instid0(VALU_DEP_3) | instskip(SKIP_1) | instid1(VALU_DEP_1)
	v_add3_u32 v223, v235, v223, v224
	v_mul_i32_i24_e32 v224, v229, v212
	v_add3_u32 v124, v124, v224, v227
	v_bfe_i32 v224, v123, 8, 8
	v_bfe_i32 v123, v123, 16, 8
	s_delay_alu instid0(VALU_DEP_2) | instskip(NEXT) | instid1(VALU_DEP_2)
	v_mul_i32_i24_e32 v227, v224, v219
	v_mul_i32_i24_e32 v228, v123, v86
	;; [unrolled: 1-line block ×5, first 2 shown]
	s_delay_alu instid0(VALU_DEP_4)
	v_add3_u32 v227, v236, v227, v228
	v_mul_i32_i24_e32 v228, v224, v215
	s_set_vgpr_msb 1                        ;  msbs: dst=0 src0=1 src1=0 src2=0
	v_mul_i32_i24_e32 v236, v17 /*v273*/, v112
	v_mul_i32_i24_e32 v112, v2 /*v258*/, v112
	s_set_vgpr_msb 0x41                     ;  msbs: dst=1 src0=1 src1=0 src2=0
	v_mul_i32_i24_e32 v2 /*v258*/, v38 /*v294*/, v212
	s_set_vgpr_msb 0                        ;  msbs: dst=0 src0=0 src1=0 src2=0
	v_add3_u32 v228, v243, v228, v229
	v_mul_i32_i24_e32 v229, v224, v220
	v_mul_i32_i24_e32 v224, v224, v234
	s_set_vgpr_msb 4                        ;  msbs: dst=0 src0=0 src1=1 src2=0
	v_add3_u32 v112, v130, v2 /*v258*/, v112
	s_set_vgpr_msb 0                        ;  msbs: dst=0 src0=0 src1=0 src2=0
	v_ashrrev_i32_e32 v130, 24, v135
	v_bfe_i32 v135, v135, 16, 8
	s_set_vgpr_msb 1                        ;  msbs: dst=0 src0=1 src1=0 src2=0
	v_add3_u32 v229, v3 /*v259*/, v229, v235
	v_mul_i32_i24_e32 v235, v18 /*v274*/, v212
	s_set_vgpr_msb 0                        ;  msbs: dst=0 src0=0 src1=0 src2=0
	v_mul_i32_i24_e32 v106, v130, v106
	s_set_vgpr_msb 64                       ;  msbs: dst=1 src0=0 src1=0 src2=0
	v_mul_i32_i24_e32 v2 /*v258*/, v135, v86
	s_set_vgpr_msb 0                        ;  msbs: dst=0 src0=0 src1=0 src2=0
	v_add3_u32 v122, v122, v235, v236
	v_bfe_i32 v235, v129, 8, 8
	v_bfe_i32 v129, v129, 16, 8
	s_set_vgpr_msb 4                        ;  msbs: dst=0 src0=0 src1=1 src2=0
	v_add3_u32 v225, v225, v2 /*v258*/, v106
	s_set_vgpr_msb 0                        ;  msbs: dst=0 src0=0 src1=0 src2=0
	v_mul_i32_i24_e32 v106, v237, v221
	v_mul_i32_i24_e32 v221, v214, v215
	;; [unrolled: 1-line block ×5, first 2 shown]
	s_delay_alu instid0(VALU_DEP_4) | instskip(SKIP_1) | instid1(VALU_DEP_4)
	v_add3_u32 v221, v105, v106, v221
	v_mul_i32_i24_e32 v105, v237, v230
	v_add3_u32 v236, v239, v236, v242
	v_mul_i32_i24_e32 v239, v235, v215
	v_mul_i32_i24_e32 v242, v129, v90
	v_mul_i32_i24_e32 v106, v214, v220
	v_mul_i32_i24_e32 v214, v214, v234
	s_set_vgpr_msb 1                        ;  msbs: dst=0 src0=1 src1=0 src2=0
	s_delay_alu instid0(VALU_DEP_3)
	v_add3_u32 v239, v8 /*v264*/, v239, v242
	s_set_vgpr_msb 0                        ;  msbs: dst=0 src0=0 src1=0 src2=0
	v_mul_i32_i24_e32 v242, v235, v220
	v_add3_u32 v230, v102, v105, v106
	v_mul_i32_i24_e32 v102, v107, v219
	ds_load_2addr_b32 v[104:105], v104 offset1:3
	s_set_vgpr_msb 1                        ;  msbs: dst=0 src0=1 src1=0 src2=0
	v_add3_u32 v242, v11 /*v267*/, v242, v243
	v_mul_i32_i24_e32 v243, v26 /*v282*/, v212
	s_set_vgpr_msb 0                        ;  msbs: dst=0 src0=0 src1=0 src2=0
	s_delay_alu instid0(VALU_DEP_1) | instskip(SKIP_2) | instid1(VALU_DEP_2)
	v_add3_u32 v128, v128, v243, v240
	v_bfe_i32 v240, v127, 8, 8
	v_bfe_i32 v127, v127, 16, 8
	v_mul_i32_i24_e32 v243, v240, v219
	s_delay_alu instid0(VALU_DEP_2) | instskip(SKIP_3) | instid1(VALU_DEP_2)
	v_mul_i32_i24_e32 v244, v127, v86
	s_set_vgpr_msb 64                       ;  msbs: dst=1 src0=0 src1=0 src2=0
	v_mul_i32_i24_e32 v3 /*v259*/, v127, v88
	s_set_vgpr_msb 0                        ;  msbs: dst=0 src0=0 src1=0 src2=0
	v_add3_u32 v243, v246, v243, v244
	v_mul_i32_i24_e32 v244, v240, v215
	v_mul_i32_i24_e32 v246, v127, v90
	s_set_vgpr_msb 1                        ;  msbs: dst=0 src0=1 src1=0 src2=0
	s_delay_alu instid0(VALU_DEP_1)
	v_add3_u32 v244, v16 /*v272*/, v244, v246
	s_set_vgpr_msb 0                        ;  msbs: dst=0 src0=0 src1=0 src2=0
	v_mul_i32_i24_e32 v246, v240, v220
	s_set_vgpr_msb 64                       ;  msbs: dst=1 src0=0 src1=0 src2=0
	v_bfe_u32 v16 /*v272*/, v89, 24, 4
	s_set_vgpr_msb 17                       ;  msbs: dst=0 src0=1 src1=0 src2=1
	s_delay_alu instid0(VALU_DEP_2) | instskip(SKIP_3) | instid1(VALU_DEP_1)
	v_add3_u32 v246, v21 /*v277*/, v246, v3 /*v259*/
	s_set_vgpr_msb 0x41                     ;  msbs: dst=1 src0=1 src1=0 src2=0
	v_mul_i32_i24_e32 v3 /*v259*/, v32 /*v288*/, v212
	s_set_vgpr_msb 4                        ;  msbs: dst=0 src0=0 src1=1 src2=0
	v_add3_u32 v126, v126, v3 /*v259*/, v249
	v_bfe_i32 v249, v133, 8, 8
	v_bfe_i32 v133, v133, 16, 8
	s_set_vgpr_msb 64                       ;  msbs: dst=1 src0=0 src1=0 src2=0
	s_delay_alu instid0(VALU_DEP_2) | instskip(NEXT) | instid1(VALU_DEP_2)
	v_mul_i32_i24_e32 v3 /*v259*/, v249, v219
	v_mul_i32_i24_e32 v8 /*v264*/, v133, v86
	;; [unrolled: 1-line block ×4, first 2 shown]
	s_set_vgpr_msb 0x55                     ;  msbs: dst=1 src0=1 src1=1 src2=1
	s_delay_alu instid0(VALU_DEP_3) | instskip(SKIP_3) | instid1(VALU_DEP_1)
	v_add3_u32 v3 /*v259*/, v12 /*v268*/, v3 /*v259*/, v8 /*v264*/
	s_set_vgpr_msb 64                       ;  msbs: dst=1 src0=0 src1=0 src2=0
	v_mul_i32_i24_e32 v8 /*v264*/, v249, v215
	s_set_vgpr_msb 0x55                     ;  msbs: dst=1 src0=1 src1=1 src2=1
	v_add3_u32 v8 /*v264*/, v13 /*v269*/, v8 /*v264*/, v9 /*v265*/
	s_set_vgpr_msb 64                       ;  msbs: dst=1 src0=0 src1=0 src2=0
	v_mul_i32_i24_e32 v9 /*v265*/, v249, v220
	s_set_vgpr_msb 0x55                     ;  msbs: dst=1 src0=1 src1=1 src2=1
	s_delay_alu instid0(VALU_DEP_1)
	v_add3_u32 v9 /*v265*/, v14 /*v270*/, v9 /*v265*/, v11 /*v267*/
	s_set_vgpr_msb 0x41                     ;  msbs: dst=1 src0=1 src1=0 src2=0
	v_mul_i32_i24_e32 v11 /*v267*/, v37 /*v293*/, v212
	s_set_vgpr_msb 64                       ;  msbs: dst=1 src0=0 src1=0 src2=0
	v_bfe_u32 v14 /*v270*/, v89, 8, 4
	s_set_vgpr_msb 4                        ;  msbs: dst=0 src0=0 src1=1 src2=0
	s_delay_alu instid0(VALU_DEP_2) | instskip(SKIP_3) | instid1(VALU_DEP_2)
	v_add3_u32 v132, v132, v11 /*v267*/, v250
	v_bfe_i32 v250, v131, 8, 8
	v_bfe_i32 v131, v131, 16, 8
	s_set_vgpr_msb 64                       ;  msbs: dst=1 src0=0 src1=0 src2=0
	v_mul_i32_i24_e32 v11 /*v267*/, v250, v219
	s_delay_alu instid0(VALU_DEP_2)
	v_mul_i32_i24_e32 v12 /*v268*/, v131, v86
	s_set_vgpr_msb 0                        ;  msbs: dst=0 src0=0 src1=0 src2=0
	v_mul_i32_i24_e32 v86, v213, v86
	v_bfe_u32 v219, v87, 24, 4
	s_set_vgpr_msb 64                       ;  msbs: dst=1 src0=0 src1=0 src2=0
	v_mul_i32_i24_e32 v13 /*v269*/, v131, v88
	s_set_vgpr_msb 0x55                     ;  msbs: dst=1 src0=1 src1=1 src2=1
	v_add3_u32 v5 /*v261*/, v5 /*v261*/, v11 /*v267*/, v12 /*v268*/
	s_set_vgpr_msb 0                        ;  msbs: dst=0 src0=0 src1=0 src2=0
	v_add3_u32 v86, v94, v102, v86
	v_mul_i32_i24_e32 v94, v107, v215
	v_mul_i32_i24_e32 v102, v213, v90
	s_set_vgpr_msb 64                       ;  msbs: dst=1 src0=0 src1=0 src2=0
	v_mul_i32_i24_e32 v11 /*v267*/, v250, v215
	v_mul_i32_i24_e32 v12 /*v268*/, v131, v90
	s_set_vgpr_msb 0                        ;  msbs: dst=0 src0=0 src1=0 src2=0
	v_mul_i32_i24_e32 v90, v135, v90
	v_add3_u32 v215, v95, v94, v102
	v_mul_i32_i24_e32 v94, v107, v220
	v_mul_i32_i24_e32 v95, v213, v88
	s_set_vgpr_msb 0x55                     ;  msbs: dst=1 src0=1 src1=1 src2=1
	v_add3_u32 v11 /*v267*/, v19 /*v275*/, v11 /*v267*/, v12 /*v268*/
	s_set_vgpr_msb 64                       ;  msbs: dst=1 src0=0 src1=0 src2=0
	v_mul_i32_i24_e32 v12 /*v268*/, v250, v220
	s_set_vgpr_msb 0                        ;  msbs: dst=0 src0=0 src1=0 src2=0
	v_mul_i32_i24_e32 v88, v135, v88
	v_mul_i32_i24_e32 v135, v135, v207
	v_add3_u32 v213, v96, v94, v95
	s_set_vgpr_msb 1                        ;  msbs: dst=0 src0=1 src1=0 src2=0
	v_mul_i32_i24_e32 v94, v10 /*v266*/, v212
	s_set_vgpr_msb 0                        ;  msbs: dst=0 src0=0 src1=0 src2=0
	v_mul_i32_i24_e32 v95, v149, v210
	v_bfe_u32 v212, v87, 8, 4
	s_set_vgpr_msb 0x55                     ;  msbs: dst=1 src0=1 src1=1 src2=1
	v_add3_u32 v12 /*v268*/, v20 /*v276*/, v12 /*v268*/, v13 /*v269*/
	s_set_vgpr_msb 64                       ;  msbs: dst=1 src0=0 src1=0 src2=0
	v_bfe_u32 v10 /*v266*/, v91, 8, 4
	v_bfe_u32 v13 /*v269*/, v91, 24, 4
	s_set_vgpr_msb 0                        ;  msbs: dst=0 src0=0 src1=0 src2=0
	v_add3_u32 v149, v101, v95, v94
	ds_load_2addr_b32 v[94:95], v226 offset1:3
	s_wait_dscnt 0x0
	v_bfe_i32 v220, v95, 8, 8
	v_ashrrev_i32_e32 v226, 24, v95
	s_delay_alu instid0(VALU_DEP_2) | instskip(NEXT) | instid1(VALU_DEP_2)
	v_mul_i32_i24_e32 v96, v220, v212
	v_mul_i32_i24_e32 v101, v226, v219
	s_set_vgpr_msb 64                       ;  msbs: dst=1 src0=0 src1=0 src2=0
	s_delay_alu instid0(VALU_DEP_1)
	v_add3_u32 v2 /*v258*/, v103, v101, v96
	s_set_vgpr_msb 4                        ;  msbs: dst=0 src0=0 src1=1 src2=0
	ds_load_2addr_b32 v[102:103], v100 offset1:3
	v_mul_i32_i24_e32 v96, v220, v10 /*v266*/
	v_mul_i32_i24_e32 v101, v226, v13 /*v269*/
	s_set_vgpr_msb 0                        ;  msbs: dst=0 src0=0 src1=0 src2=0
	s_delay_alu instid0(VALU_DEP_1) | instskip(SKIP_4) | instid1(VALU_DEP_1)
	v_add3_u32 v216, v216, v101, v96
	s_set_vgpr_msb 4                        ;  msbs: dst=0 src0=0 src1=1 src2=0
	v_mul_i32_i24_e32 v96, v220, v14 /*v270*/
	v_mul_i32_i24_e32 v101, v226, v16 /*v272*/
	s_set_vgpr_msb 0                        ;  msbs: dst=0 src0=0 src1=0 src2=0
	v_add3_u32 v223, v223, v101, v96
	v_mul_i32_i24_e32 v96, v97, v211
	v_mul_i32_i24_e32 v97, v139, v210
	s_wait_dscnt 0x0
	v_bfe_i32 v139, v103, 8, 8
	s_set_vgpr_msb 64                       ;  msbs: dst=1 src0=0 src1=0 src2=0
	v_ashrrev_i32_e32 v17 /*v273*/, 24, v103
	s_set_vgpr_msb 0                        ;  msbs: dst=0 src0=0 src1=0 src2=0
	v_add3_u32 v124, v124, v96, v97
	v_mul_i32_i24_e32 v96, v139, v212
	s_set_vgpr_msb 1                        ;  msbs: dst=0 src0=1 src1=0 src2=0
	v_mul_i32_i24_e32 v97, v17 /*v273*/, v219
	s_set_vgpr_msb 0                        ;  msbs: dst=0 src0=0 src1=0 src2=0
	v_add3_u32 v120, v124, v218, v120
	v_bfe_i32 v218, v103, 0, 8
	v_bfe_i32 v103, v103, 16, 8
	v_add3_u32 v227, v227, v97, v96
	s_set_vgpr_msb 4                        ;  msbs: dst=0 src0=0 src1=1 src2=0
	v_mul_i32_i24_e32 v96, v139, v10 /*v266*/
	s_set_vgpr_msb 5                        ;  msbs: dst=0 src0=1 src1=1 src2=0
	v_mul_i32_i24_e32 v97, v17 /*v273*/, v13 /*v269*/
	s_set_vgpr_msb 0                        ;  msbs: dst=0 src0=0 src1=0 src2=0
	v_add3_u32 v120, v120, v144, v125
	v_bfe_i32 v125, v99, 0, 8
	s_delay_alu instid0(VALU_DEP_3)
	v_add3_u32 v228, v228, v97, v96
	s_set_vgpr_msb 4                        ;  msbs: dst=0 src0=0 src1=1 src2=0
	v_mul_i32_i24_e32 v96, v139, v14 /*v270*/
	s_set_vgpr_msb 5                        ;  msbs: dst=0 src0=1 src1=1 src2=0
	v_mul_i32_i24_e32 v97, v17 /*v273*/, v16 /*v272*/
	s_set_vgpr_msb 0                        ;  msbs: dst=0 src0=0 src1=0 src2=0
	s_delay_alu instid0(VALU_DEP_1) | instskip(SKIP_4) | instid1(VALU_DEP_1)
	v_add3_u32 v229, v229, v97, v96
	s_set_vgpr_msb 1                        ;  msbs: dst=0 src0=1 src1=0 src2=0
	v_mul_i32_i24_e32 v96, v6 /*v262*/, v211
	s_set_vgpr_msb 0                        ;  msbs: dst=0 src0=0 src1=0 src2=0
	v_mul_i32_i24_e32 v97, v137, v210
	v_add3_u32 v122, v122, v96, v97
	ds_load_2addr_b32 v[96:97], v98 offset1:3
	s_wait_dscnt 0x0
	v_bfe_i32 v98, v97, 8, 8
	v_ashrrev_i32_e32 v137, 24, v97
	s_delay_alu instid0(VALU_DEP_2) | instskip(NEXT) | instid1(VALU_DEP_2)
	v_mul_i32_i24_e32 v100, v98, v212
	v_mul_i32_i24_e32 v101, v137, v219
	s_delay_alu instid0(VALU_DEP_1) | instskip(SKIP_4) | instid1(VALU_DEP_1)
	v_add3_u32 v236, v236, v101, v100
	s_set_vgpr_msb 4                        ;  msbs: dst=0 src0=0 src1=1 src2=0
	v_mul_i32_i24_e32 v100, v98, v10 /*v266*/
	v_mul_i32_i24_e32 v101, v137, v13 /*v269*/
	s_set_vgpr_msb 0                        ;  msbs: dst=0 src0=0 src1=0 src2=0
	v_add3_u32 v239, v239, v101, v100
	s_set_vgpr_msb 4                        ;  msbs: dst=0 src0=0 src1=1 src2=0
	v_mul_i32_i24_e32 v100, v98, v14 /*v270*/
	v_mul_i32_i24_e32 v101, v137, v16 /*v272*/
	s_set_vgpr_msb 0                        ;  msbs: dst=0 src0=0 src1=0 src2=0
	v_mul_i32_i24_e32 v98, v98, v111
	s_delay_alu instid0(VALU_DEP_2)
	v_add3_u32 v242, v242, v101, v100
	v_mul_i32_i24_e32 v100, v238, v211
	v_mul_i32_i24_e32 v101, v143, v210
	v_bfe_i32 v143, v105, 8, 8
	v_ashrrev_i32_e32 v238, 24, v105
	v_mul_i32_i24_e32 v222, v130, v222
	s_delay_alu instid0(VALU_DEP_4) | instskip(NEXT) | instid1(VALU_DEP_4)
	v_add3_u32 v128, v128, v100, v101
	v_mul_i32_i24_e32 v100, v143, v212
	s_delay_alu instid0(VALU_DEP_4) | instskip(NEXT) | instid1(VALU_DEP_4)
	v_mul_i32_i24_e32 v101, v238, v219
	v_add3_u32 v90, v221, v90, v222
	v_mul_i32_i24_e32 v221, v130, v233
	v_bfe_u32 v222, v91, 16, 4
	v_mul_i32_i24_e32 v130, v130, v208
	v_add3_u32 v243, v243, v101, v100
	s_set_vgpr_msb 4                        ;  msbs: dst=0 src0=0 src1=1 src2=0
	v_mul_i32_i24_e32 v100, v143, v10 /*v266*/
	v_mul_i32_i24_e32 v101, v238, v13 /*v269*/
	s_set_vgpr_msb 0                        ;  msbs: dst=0 src0=0 src1=0 src2=0
	v_add3_u32 v88, v230, v88, v221
	s_set_vgpr_msb 1                        ;  msbs: dst=0 src0=1 src1=0 src2=0
	v_mul_i32_i24_e32 v221, v1 /*v257*/, v219
	s_set_vgpr_msb 0                        ;  msbs: dst=0 src0=0 src1=0 src2=0
	v_add3_u32 v244, v244, v101, v100
	s_set_vgpr_msb 4                        ;  msbs: dst=0 src0=0 src1=1 src2=0
	v_mul_i32_i24_e32 v100, v143, v14 /*v270*/
	v_mul_i32_i24_e32 v101, v238, v16 /*v272*/
	s_set_vgpr_msb 0                        ;  msbs: dst=0 src0=0 src1=0 src2=0
	s_delay_alu instid0(VALU_DEP_1) | instskip(SKIP_2) | instid1(VALU_DEP_1)
	v_add3_u32 v246, v246, v101, v100
	v_mul_i32_i24_e32 v100, v245, v211
	v_mul_i32_i24_e32 v101, v141, v210
	v_add3_u32 v126, v126, v100, v101
	ds_load_2addr_b32 v[100:101], v251 offset1:3
	s_wait_dscnt 0x0
	v_bfe_i32 v141, v101, 8, 8
	v_ashrrev_i32_e32 v245, 24, v101
	s_delay_alu instid0(VALU_DEP_2) | instskip(NEXT) | instid1(VALU_DEP_2)
	v_mul_i32_i24_e32 v106, v141, v212
	v_mul_i32_i24_e32 v107, v245, v219
	s_set_vgpr_msb 1                        ;  msbs: dst=0 src0=1 src1=0 src2=0
	s_delay_alu instid0(VALU_DEP_1) | instskip(SKIP_4) | instid1(VALU_DEP_1)
	v_add3_u32 v251, v3 /*v259*/, v107, v106
	s_set_vgpr_msb 4                        ;  msbs: dst=0 src0=0 src1=1 src2=0
	v_mul_i32_i24_e32 v106, v141, v10 /*v266*/
	v_mul_i32_i24_e32 v107, v245, v13 /*v269*/
	s_set_vgpr_msb 0x41                     ;  msbs: dst=1 src0=1 src1=0 src2=0
	v_add3_u32 v3 /*v259*/, v8 /*v264*/, v107, v106
	s_set_vgpr_msb 4                        ;  msbs: dst=0 src0=0 src1=1 src2=0
	v_mul_i32_i24_e32 v106, v141, v14 /*v270*/
	v_mul_i32_i24_e32 v107, v245, v16 /*v272*/
	s_set_vgpr_msb 0x41                     ;  msbs: dst=1 src0=1 src1=0 src2=0
	s_delay_alu instid0(VALU_DEP_1)
	v_add3_u32 v6 /*v262*/, v9 /*v265*/, v107, v106
	s_set_vgpr_msb 0                        ;  msbs: dst=0 src0=0 src1=0 src2=0
	v_mul_i32_i24_e32 v106, v255, v211
	v_mul_i32_i24_e32 v107, v147, v210
	s_set_vgpr_msb 1                        ;  msbs: dst=0 src0=1 src1=0 src2=0
	v_mul_i32_i24_e32 v211, v4 /*v260*/, v211
	v_and_b32_e32 v210, 15, v87
	s_set_vgpr_msb 0                        ;  msbs: dst=0 src0=0 src1=0 src2=0
	v_add3_u32 v132, v132, v106, v107
	s_set_vgpr_msb 1                        ;  msbs: dst=0 src0=1 src1=0 src2=0
	ds_load_2addr_b32 v[106:107], v0 /*v256*/ offset1:3
	s_set_vgpr_msb 0                        ;  msbs: dst=0 src0=0 src1=0 src2=0
	v_add3_u32 v112, v112, v211, v145
	v_bfe_i32 v211, v85, 8, 8
	v_bfe_i32 v145, v85, 0, 8
	s_wait_dscnt 0x0
	v_bfe_i32 v147, v107, 8, 8
	v_ashrrev_i32_e32 v255, 24, v107
	s_set_vgpr_msb 64                       ;  msbs: dst=1 src0=0 src1=0 src2=0
	s_delay_alu instid0(VALU_DEP_2) | instskip(NEXT) | instid1(VALU_DEP_2)
	v_mul_i32_i24_e32 v0 /*v256*/, v147, v212
	v_mul_i32_i24_e32 v8 /*v264*/, v255, v219
	s_set_vgpr_msb 0x44                     ;  msbs: dst=1 src0=0 src1=1 src2=0
	v_mul_i32_i24_e32 v9 /*v265*/, v255, v16 /*v272*/
	s_set_vgpr_msb 0x55                     ;  msbs: dst=1 src0=1 src1=1 src2=1
	s_delay_alu instid0(VALU_DEP_2) | instskip(SKIP_4) | instid1(VALU_DEP_1)
	v_add3_u32 v0 /*v256*/, v5 /*v261*/, v8 /*v264*/, v0 /*v256*/
	s_set_vgpr_msb 0x44                     ;  msbs: dst=1 src0=0 src1=1 src2=0
	v_mul_i32_i24_e32 v5 /*v261*/, v147, v10 /*v266*/
	v_mul_i32_i24_e32 v8 /*v264*/, v255, v13 /*v269*/
	s_set_vgpr_msb 0x55                     ;  msbs: dst=1 src0=1 src1=1 src2=1
	v_add3_u32 v5 /*v261*/, v11 /*v267*/, v8 /*v264*/, v5 /*v261*/
	s_set_vgpr_msb 0x44                     ;  msbs: dst=1 src0=0 src1=1 src2=0
	v_mul_i32_i24_e32 v8 /*v264*/, v147, v14 /*v270*/
	s_set_vgpr_msb 0x55                     ;  msbs: dst=1 src0=1 src1=1 src2=1
	s_delay_alu instid0(VALU_DEP_1) | instskip(SKIP_4) | instid1(VALU_DEP_1)
	v_add3_u32 v8 /*v264*/, v12 /*v268*/, v9 /*v265*/, v8 /*v264*/
	s_set_vgpr_msb 64                       ;  msbs: dst=1 src0=0 src1=0 src2=0
	v_mul_i32_i24_e32 v9 /*v265*/, v211, v212
	s_set_vgpr_msb 0                        ;  msbs: dst=0 src0=0 src1=0 src2=0
	v_mul_i32_i24_e32 v212, v121, v212
	v_add3_u32 v86, v86, v221, v212
	s_set_vgpr_msb 4                        ;  msbs: dst=0 src0=0 src1=1 src2=0
	v_mul_i32_i24_e32 v212, v121, v10 /*v266*/
	s_set_vgpr_msb 5                        ;  msbs: dst=0 src0=1 src1=1 src2=0
	v_mul_i32_i24_e32 v221, v1 /*v257*/, v13 /*v269*/
	s_set_vgpr_msb 4                        ;  msbs: dst=0 src0=0 src1=1 src2=0
	v_mul_i32_i24_e32 v121, v121, v14 /*v270*/
	s_set_vgpr_msb 0                        ;  msbs: dst=0 src0=0 src1=0 src2=0
	s_delay_alu instid0(VALU_DEP_2) | instskip(SKIP_3) | instid1(VALU_DEP_1)
	v_add3_u32 v212, v215, v221, v212
	s_set_vgpr_msb 5                        ;  msbs: dst=0 src0=1 src1=1 src2=0
	v_mul_i32_i24_e32 v215, v1 /*v257*/, v16 /*v272*/
	s_set_vgpr_msb 0                        ;  msbs: dst=0 src0=0 src1=0 src2=0
	v_add3_u32 v121, v213, v215, v121
	v_mul_i32_i24_e32 v213, v237, v209
	s_set_vgpr_msb 1                        ;  msbs: dst=0 src0=1 src1=0 src2=0
	v_mul_i32_i24_e32 v209, v23 /*v279*/, v208
	s_set_vgpr_msb 0                        ;  msbs: dst=0 src0=0 src1=0 src2=0
	s_delay_alu instid0(VALU_DEP_2)
	v_add3_u32 v149, v149, v213, v214
	v_bfe_u32 v213, v87, 16, 4
	v_bfe_i32 v214, v95, 0, 8
	v_bfe_i32 v95, v95, 16, 8
	v_add3_u32 v112, v112, v209, v146
	v_ashrrev_i32_e32 v146, 24, v85
	v_mul_i32_i24_e32 v124, v218, v210
	v_mul_i32_i24_e32 v215, v214, v210
	;; [unrolled: 1-line block ×4, first 2 shown]
	v_bfe_i32 v85, v85, 16, 8
	s_set_vgpr_msb 64                       ;  msbs: dst=1 src0=0 src1=0 src2=0
	v_mul_i32_i24_e32 v4 /*v260*/, v145, v210
	s_set_vgpr_msb 0                        ;  msbs: dst=0 src0=0 src1=0 src2=0
	v_mul_i32_i24_e32 v209, v146, v219
	s_set_vgpr_msb 1                        ;  msbs: dst=0 src0=1 src1=0 src2=0
	v_add3_u32 v215, v2 /*v258*/, v215, v221
	v_and_b32_e32 v221, 15, v91
	s_set_vgpr_msb 0                        ;  msbs: dst=0 src0=0 src1=0 src2=0
	v_mul_i32_i24_e32 v219, v85, v213
	s_set_vgpr_msb 20                       ;  msbs: dst=0 src0=0 src1=1 src2=1
	v_add3_u32 v225, v225, v9 /*v265*/, v4 /*v260*/
	s_set_vgpr_msb 0                        ;  msbs: dst=0 src0=0 src1=0 src2=0
	v_add3_u32 v130, v149, v135, v130
	v_bfe_u32 v135, v87, 4, 4
	v_mul_i32_i24_e32 v230, v214, v221
	v_lshrrev_b32_e32 v149, 28, v87
	v_add3_u32 v209, v225, v219, v209
	s_set_vgpr_msb 4                        ;  msbs: dst=0 src0=0 src1=1 src2=0
	v_mul_i32_i24_e32 v219, v211, v10 /*v266*/
	s_set_vgpr_msb 0                        ;  msbs: dst=0 src0=0 src1=0 src2=0
	v_mul_i32_i24_e32 v144, v125, v135
	v_add3_u32 v216, v216, v230, v233
	v_and_b32_e32 v230, 15, v89
	v_bfe_u32 v233, v89, 16, 4
	s_delay_alu instid0(VALU_DEP_2) | instskip(SKIP_1) | instid1(VALU_DEP_2)
	v_mul_i32_i24_e32 v237, v214, v230
	s_set_vgpr_msb 64                       ;  msbs: dst=1 src0=0 src1=0 src2=0
	v_mul_i32_i24_e32 v1 /*v257*/, v95, v233
	s_set_vgpr_msb 16                       ;  msbs: dst=0 src0=0 src1=0 src2=1
	v_mul_i32_i24_e32 v95, v95, v116
	s_delay_alu instid0(VALU_DEP_2) | instskip(SKIP_2) | instid1(VALU_DEP_1)
	v_add3_u32 v223, v223, v237, v1 /*v257*/
	v_mul_i32_i24_e32 v237, v103, v213
	s_set_vgpr_msb 0                        ;  msbs: dst=0 src0=0 src1=0 src2=0
	v_add3_u32 v124, v227, v124, v237
	v_mul_i32_i24_e32 v227, v218, v221
	v_mul_i32_i24_e32 v237, v103, v222
	s_delay_alu instid0(VALU_DEP_1) | instskip(SKIP_2) | instid1(VALU_DEP_1)
	v_add3_u32 v227, v228, v227, v237
	v_mul_i32_i24_e32 v228, v218, v230
	v_mul_i32_i24_e32 v237, v103, v233
	v_add3_u32 v228, v229, v228, v237
	v_mul_i32_i24_e32 v229, v232, v208
	v_bfe_i32 v232, v97, 16, 8
	s_delay_alu instid0(VALU_DEP_2) | instskip(SKIP_1) | instid1(VALU_DEP_3)
	v_add3_u32 v122, v122, v229, v138
	v_bfe_i32 v229, v97, 0, 8
	v_mul_i32_i24_e32 v138, v232, v213
	v_mul_i32_i24_e32 v237, v232, v233
	s_delay_alu instid0(VALU_DEP_4) | instskip(NEXT) | instid1(VALU_DEP_4)
	v_add3_u32 v122, v122, v224, v123
	v_mul_i32_i24_e32 v97, v229, v210
	v_ashrrev_i32_e32 v224, 24, v109
	v_bfe_i32 v123, v109, 0, 8
	s_delay_alu instid0(VALU_DEP_3) | instskip(SKIP_2) | instid1(VALU_DEP_1)
	v_add3_u32 v97, v236, v97, v138
	v_mul_i32_i24_e32 v138, v229, v221
	v_mul_i32_i24_e32 v236, v232, v222
	v_add3_u32 v138, v239, v138, v236
	v_mul_i32_i24_e32 v236, v229, v230
	s_delay_alu instid0(VALU_DEP_1) | instskip(SKIP_3) | instid1(VALU_DEP_1)
	v_add3_u32 v236, v242, v236, v237
	s_set_vgpr_msb 1                        ;  msbs: dst=0 src0=1 src1=0 src2=0
	v_mul_i32_i24_e32 v237, v7 /*v263*/, v208
	s_set_vgpr_msb 0                        ;  msbs: dst=0 src0=0 src1=0 src2=0
	v_add3_u32 v128, v128, v237, v136
	v_bfe_i32 v237, v105, 0, 8
	v_bfe_i32 v105, v105, 16, 8
	s_delay_alu instid0(VALU_DEP_2) | instskip(NEXT) | instid1(VALU_DEP_2)
	v_mul_i32_i24_e32 v136, v237, v210
	v_mul_i32_i24_e32 v239, v105, v213
	;; [unrolled: 1-line block ×3, first 2 shown]
	s_delay_alu instid0(VALU_DEP_2) | instskip(SKIP_2) | instid1(VALU_DEP_2)
	v_add3_u32 v136, v243, v136, v239
	v_mul_i32_i24_e32 v239, v237, v221
	v_mul_i32_i24_e32 v243, v105, v233
	v_add3_u32 v239, v244, v239, v242
	v_mul_i32_i24_e32 v242, v237, v230
	s_delay_alu instid0(VALU_DEP_1) | instskip(SKIP_3) | instid1(VALU_DEP_1)
	v_add3_u32 v242, v246, v242, v243
	s_set_vgpr_msb 1                        ;  msbs: dst=0 src0=1 src1=0 src2=0
	v_mul_i32_i24_e32 v243, v15 /*v271*/, v208
	s_set_vgpr_msb 0                        ;  msbs: dst=0 src0=0 src1=0 src2=0
	v_add3_u32 v126, v126, v243, v142
	v_bfe_i32 v243, v101, 0, 8
	v_bfe_i32 v101, v101, 16, 8
	s_delay_alu instid0(VALU_DEP_2) | instskip(NEXT) | instid1(VALU_DEP_2)
	v_mul_i32_i24_e32 v142, v243, v210
	v_mul_i32_i24_e32 v244, v101, v213
	;; [unrolled: 1-line block ×3, first 2 shown]
	s_delay_alu instid0(VALU_DEP_2) | instskip(SKIP_3) | instid1(VALU_DEP_2)
	v_add3_u32 v142, v251, v142, v244
	v_mul_i32_i24_e32 v244, v243, v221
	v_mul_i32_i24_e32 v251, v101, v233
	s_set_vgpr_msb 1                        ;  msbs: dst=0 src0=1 src1=0 src2=0
	v_add3_u32 v244, v3 /*v259*/, v244, v246
	s_set_vgpr_msb 0                        ;  msbs: dst=0 src0=0 src1=0 src2=0
	v_mul_i32_i24_e32 v246, v243, v230
	s_set_vgpr_msb 1                        ;  msbs: dst=0 src0=1 src1=0 src2=0
	s_delay_alu instid0(VALU_DEP_1) | instskip(SKIP_2) | instid1(VALU_DEP_1)
	v_add3_u32 v246, v6 /*v262*/, v246, v251
	v_mul_i32_i24_e32 v251, v22 /*v278*/, v208
	s_set_vgpr_msb 0                        ;  msbs: dst=0 src0=0 src1=0 src2=0
	v_add3_u32 v132, v132, v251, v140
	v_bfe_i32 v251, v107, 0, 8
	v_bfe_i32 v107, v107, 16, 8
	s_delay_alu instid0(VALU_DEP_2) | instskip(SKIP_1) | instid1(VALU_DEP_2)
	v_mul_i32_i24_e32 v140, v251, v210
	s_set_vgpr_msb 64                       ;  msbs: dst=1 src0=0 src1=0 src2=0
	v_mul_i32_i24_e32 v1 /*v257*/, v107, v213
	s_set_vgpr_msb 0                        ;  msbs: dst=0 src0=0 src1=0 src2=0
	v_mul_i32_i24_e32 v210, v254, v210
	v_mul_i32_i24_e32 v213, v253, v213
	s_set_vgpr_msb 64                       ;  msbs: dst=1 src0=0 src1=0 src2=0
	v_mul_i32_i24_e32 v2 /*v258*/, v107, v233
	s_set_vgpr_msb 17                       ;  msbs: dst=0 src0=1 src1=0 src2=1
	v_add3_u32 v140, v0 /*v256*/, v140, v1 /*v257*/
	s_set_vgpr_msb 64                       ;  msbs: dst=1 src0=0 src1=0 src2=0
	v_mul_i32_i24_e32 v1 /*v257*/, v107, v222
	s_set_vgpr_msb 0                        ;  msbs: dst=0 src0=0 src1=0 src2=0
	v_add3_u32 v86, v86, v210, v213
	v_mul_i32_i24_e32 v210, v254, v221
	v_mul_i32_i24_e32 v213, v253, v222
	s_delay_alu instid0(VALU_DEP_1) | instskip(SKIP_2) | instid1(VALU_DEP_1)
	v_add3_u32 v210, v212, v210, v213
	v_mul_i32_i24_e32 v212, v254, v230
	v_mul_i32_i24_e32 v213, v253, v233
	v_add3_u32 v121, v121, v212, v213
	v_ashrrev_i32_e32 v213, 24, v93
	v_mul_i32_i24_e32 v225, v145, v221
	v_bfe_i32 v212, v93, 0, 8
	s_set_vgpr_msb 64                       ;  msbs: dst=1 src0=0 src1=0 src2=0
	v_mul_i32_i24_e32 v0 /*v256*/, v251, v221
	s_set_vgpr_msb 0                        ;  msbs: dst=0 src0=0 src1=0 src2=0
	v_add3_u32 v90, v90, v219, v225
	s_set_vgpr_msb 4                        ;  msbs: dst=0 src0=0 src1=1 src2=0
	v_mul_i32_i24_e32 v219, v211, v14 /*v270*/
	s_set_vgpr_msb 0                        ;  msbs: dst=0 src0=0 src1=0 src2=0
	v_mul_i32_i24_e32 v225, v145, v230
	v_mul_i32_i24_e32 v208, v212, v135
	s_set_vgpr_msb 0x55                     ;  msbs: dst=1 src0=1 src1=1 src2=1
	v_add3_u32 v0 /*v256*/, v5 /*v261*/, v0 /*v256*/, v1 /*v257*/
	s_set_vgpr_msb 64                       ;  msbs: dst=1 src0=0 src1=0 src2=0
	v_mul_i32_i24_e32 v1 /*v257*/, v251, v230
	s_set_vgpr_msb 0                        ;  msbs: dst=0 src0=0 src1=0 src2=0
	v_add3_u32 v88, v88, v219, v225
	v_mul_i32_i24_e32 v219, v213, v149
	s_set_vgpr_msb 0x55                     ;  msbs: dst=1 src0=1 src1=1 src2=1
	v_add3_u32 v1 /*v257*/, v8 /*v264*/, v1 /*v257*/, v2 /*v258*/
	s_set_vgpr_msb 64                       ;  msbs: dst=1 src0=0 src1=0 src2=0
	v_bfe_u32 v2 /*v258*/, v89, 20, 4
	s_set_vgpr_msb 0                        ;  msbs: dst=0 src0=0 src1=0 src2=0
	v_add3_u32 v208, v215, v219, v208
	v_bfe_u32 v215, v91, 4, 4
	v_lshrrev_b32_e32 v219, 28, v91
	s_delay_alu instid0(VALU_DEP_2) | instskip(NEXT) | instid1(VALU_DEP_2)
	v_mul_i32_i24_e32 v221, v212, v215
	v_mul_i32_i24_e32 v225, v213, v219
	s_delay_alu instid0(VALU_DEP_1) | instskip(SKIP_2) | instid1(VALU_DEP_2)
	v_add3_u32 v216, v216, v225, v221
	v_bfe_u32 v221, v89, 4, 4
	v_lshrrev_b32_e32 v225, 28, v89
	v_mul_i32_i24_e32 v230, v212, v221
	s_delay_alu instid0(VALU_DEP_2) | instskip(NEXT) | instid1(VALU_DEP_1)
	v_mul_i32_i24_e32 v253, v213, v225
	v_add3_u32 v223, v223, v253, v230
	v_ashrrev_i32_e32 v230, 24, v99
	s_delay_alu instid0(VALU_DEP_1) | instskip(NEXT) | instid1(VALU_DEP_1)
	v_mul_i32_i24_e32 v253, v230, v149
	v_add3_u32 v124, v124, v253, v144
	v_mul_i32_i24_e32 v144, v125, v215
	v_mul_i32_i24_e32 v253, v230, v219
	s_delay_alu instid0(VALU_DEP_1) | instskip(SKIP_2) | instid1(VALU_DEP_1)
	v_add3_u32 v144, v227, v253, v144
	v_mul_i32_i24_e32 v227, v125, v221
	v_mul_i32_i24_e32 v253, v230, v225
	v_add3_u32 v227, v228, v253, v227
	v_mul_i32_i24_e32 v228, v123, v135
	v_mul_i32_i24_e32 v253, v224, v149
	s_delay_alu instid0(VALU_DEP_1) | instskip(SKIP_2) | instid1(VALU_DEP_1)
	v_add3_u32 v228, v97, v253, v228
	v_mul_i32_i24_e32 v97, v123, v215
	v_mul_i32_i24_e32 v253, v224, v219
	v_add3_u32 v138, v138, v253, v97
	v_mul_i32_i24_e32 v97, v123, v221
	v_mul_i32_i24_e32 v253, v224, v225
	s_delay_alu instid0(VALU_DEP_1) | instskip(SKIP_3) | instid1(VALU_DEP_2)
	v_add3_u32 v236, v236, v253, v97
	v_mul_i32_i24_e32 v97, v129, v207
	v_mul_i32_i24_e32 v129, v235, v234
	v_ashrrev_i32_e32 v235, 24, v115
	v_add3_u32 v128, v128, v129, v97
	v_bfe_i32 v129, v115, 0, 8
	s_delay_alu instid0(VALU_DEP_3) | instskip(NEXT) | instid1(VALU_DEP_2)
	v_mul_i32_i24_e32 v253, v235, v149
	v_mul_i32_i24_e32 v97, v129, v135
	s_delay_alu instid0(VALU_DEP_1) | instskip(SKIP_2) | instid1(VALU_DEP_1)
	v_add3_u32 v136, v136, v253, v97
	v_mul_i32_i24_e32 v97, v129, v215
	v_mul_i32_i24_e32 v253, v235, v219
	v_add3_u32 v239, v239, v253, v97
	v_mul_i32_i24_e32 v97, v129, v221
	v_mul_i32_i24_e32 v253, v235, v225
	s_delay_alu instid0(VALU_DEP_1) | instskip(SKIP_3) | instid1(VALU_DEP_2)
	v_add3_u32 v242, v242, v253, v97
	v_mul_i32_i24_e32 v97, v127, v207
	v_mul_i32_i24_e32 v127, v240, v234
	v_ashrrev_i32_e32 v240, 24, v117
	v_add3_u32 v126, v126, v127, v97
	v_bfe_i32 v127, v117, 0, 8
	s_delay_alu instid0(VALU_DEP_3) | instskip(NEXT) | instid1(VALU_DEP_2)
	v_mul_i32_i24_e32 v253, v240, v149
	v_mul_i32_i24_e32 v97, v127, v135
	s_delay_alu instid0(VALU_DEP_1) | instskip(SKIP_2) | instid1(VALU_DEP_1)
	v_add3_u32 v142, v142, v253, v97
	v_mul_i32_i24_e32 v97, v127, v215
	v_mul_i32_i24_e32 v253, v240, v219
	v_add3_u32 v244, v244, v253, v97
	v_mul_i32_i24_e32 v97, v127, v221
	v_mul_i32_i24_e32 v253, v240, v225
	s_delay_alu instid0(VALU_DEP_1) | instskip(SKIP_3) | instid1(VALU_DEP_2)
	v_add3_u32 v246, v246, v253, v97
	v_mul_i32_i24_e32 v97, v133, v207
	v_mul_i32_i24_e32 v133, v249, v234
	v_ashrrev_i32_e32 v249, 24, v119
	v_add3_u32 v132, v132, v133, v97
	v_bfe_i32 v133, v119, 0, 8
	s_delay_alu instid0(VALU_DEP_3) | instskip(SKIP_1) | instid1(VALU_DEP_3)
	v_mul_i32_i24_e32 v253, v249, v149
	v_mul_i32_i24_e32 v254, v249, v225
	v_mul_i32_i24_e32 v97, v133, v135
	s_delay_alu instid0(VALU_DEP_1) | instskip(SKIP_3) | instid1(VALU_DEP_1)
	v_add3_u32 v140, v140, v253, v97
	v_mul_i32_i24_e32 v97, v133, v215
	v_mul_i32_i24_e32 v253, v249, v219
	s_set_vgpr_msb 1                        ;  msbs: dst=0 src0=1 src1=0 src2=0
	v_add3_u32 v253, v0 /*v256*/, v253, v97
	s_set_vgpr_msb 0                        ;  msbs: dst=0 src0=0 src1=0 src2=0
	v_mul_i32_i24_e32 v97, v133, v221
	s_set_vgpr_msb 64                       ;  msbs: dst=1 src0=0 src1=0 src2=0
	v_bfe_u32 v0 /*v256*/, v91, 20, 4
	s_set_vgpr_msb 1                        ;  msbs: dst=0 src0=1 src1=0 src2=0
	s_delay_alu instid0(VALU_DEP_2)
	v_add3_u32 v254, v1 /*v257*/, v254, v97
	s_set_vgpr_msb 0                        ;  msbs: dst=0 src0=0 src1=0 src2=0
	v_mul_i32_i24_e32 v97, v131, v207
	v_mul_i32_i24_e32 v131, v250, v234
	v_bfe_i32 v234, v83, 8, 8
	s_set_vgpr_msb 64                       ;  msbs: dst=1 src0=0 src1=0 src2=0
	v_bfe_u32 v1 /*v257*/, v89, 12, 4
	s_set_vgpr_msb 0                        ;  msbs: dst=0 src0=0 src1=0 src2=0
	v_bfe_i32 v207, v115, 8, 8
	v_add3_u32 v112, v112, v131, v97
	s_set_vgpr_msb 4                        ;  msbs: dst=0 src0=0 src1=1 src2=0
	v_mul_i32_i24_e32 v97, v146, v13 /*v269*/
	s_set_vgpr_msb 0                        ;  msbs: dst=0 src0=0 src1=0 src2=0
	v_mul_i32_i24_e32 v131, v85, v222
	s_delay_alu instid0(VALU_DEP_1)
	v_add3_u32 v131, v90, v131, v97
	s_set_vgpr_msb 4                        ;  msbs: dst=0 src0=0 src1=1 src2=0
	v_mul_i32_i24_e32 v90, v146, v16 /*v272*/
	s_set_vgpr_msb 0                        ;  msbs: dst=0 src0=0 src1=0 src2=0
	v_mul_i32_i24_e32 v97, v85, v233
	v_mul_i32_i24_e32 v85, v85, v116
	s_delay_alu instid0(VALU_DEP_2) | instskip(SKIP_3) | instid1(VALU_DEP_2)
	v_add3_u32 v222, v88, v97, v90
	v_mul_i32_i24_e32 v88, v252, v135
	v_mul_i32_i24_e32 v90, v113, v149
	v_bfe_i32 v97, v109, 16, 8
	v_add3_u32 v90, v86, v90, v88
	v_mul_i32_i24_e32 v86, v252, v215
	v_mul_i32_i24_e32 v88, v113, v219
	s_delay_alu instid0(VALU_DEP_1) | instskip(SKIP_4) | instid1(VALU_DEP_3)
	v_add3_u32 v233, v210, v88, v86
	v_mul_i32_i24_e32 v86, v252, v221
	v_mul_i32_i24_e32 v88, v113, v225
	v_bfe_u32 v252, v91, 12, 4
	v_bfe_i32 v210, v119, 16, 8
	v_add3_u32 v113, v121, v88, v86
	v_bfe_i32 v121, v83, 0, 8
	s_delay_alu instid0(VALU_DEP_1) | instskip(SKIP_1) | instid1(VALU_DEP_1)
	v_mul_i32_i24_e32 v86, v121, v135
	v_bfe_u32 v135, v87, 12, 4
	v_mul_i32_i24_e32 v88, v234, v135
	s_delay_alu instid0(VALU_DEP_1)
	v_add3_u32 v250, v209, v86, v88
	v_mul_i32_i24_e32 v86, v145, v118
	v_mul_i32_i24_e32 v88, v211, v111
	v_bfe_u32 v145, v87, 20, 4
	v_bfe_i32 v87, v93, 16, 8
	v_bfe_i32 v209, v117, 16, 8
	s_delay_alu instid0(VALU_DEP_4) | instskip(SKIP_1) | instid1(VALU_DEP_4)
	v_add3_u32 v130, v130, v88, v86
	v_bfe_i32 v86, v93, 8, 8
	v_mul_i32_i24_e32 v93, v87, v145
	s_set_vgpr_msb 4                        ;  msbs: dst=0 src0=0 src1=1 src2=0
	v_mul_i32_i24_e32 v91, v87, v0 /*v256*/
	v_mul_i32_i24_e32 v89, v87, v2 /*v258*/
	s_set_vgpr_msb 0                        ;  msbs: dst=0 src0=0 src1=0 src2=0
	v_mul_i32_i24_e32 v87, v87, v206
	v_mul_i32_i24_e32 v88, v86, v135
	s_delay_alu instid0(VALU_DEP_1) | instskip(SKIP_2) | instid1(VALU_DEP_2)
	v_add3_u32 v211, v208, v88, v93
	v_mul_i32_i24_e32 v88, v86, v252
	v_bfe_i32 v208, v115, 16, 8
	v_add3_u32 v216, v216, v88, v91
	s_set_vgpr_msb 4                        ;  msbs: dst=0 src0=0 src1=1 src2=0
	v_mul_i32_i24_e32 v88, v86, v1 /*v257*/
	s_set_vgpr_msb 0                        ;  msbs: dst=0 src0=0 src1=0 src2=0
	v_mul_i32_i24_e32 v115, v208, v145
	v_mul_i32_i24_e32 v86, v86, v108
	s_delay_alu instid0(VALU_DEP_3) | instskip(SKIP_2) | instid1(VALU_DEP_1)
	v_add3_u32 v223, v223, v88, v89
	v_mul_i32_i24_e32 v88, v226, v247
	v_mul_i32_i24_e32 v89, v220, v111
	v_add3_u32 v220, v120, v88, v89
	v_bfe_i32 v88, v99, 8, 8
	v_bfe_i32 v89, v99, 16, 8
	s_set_vgpr_msb 4                        ;  msbs: dst=0 src0=0 src1=1 src2=0
	v_mul_i32_i24_e32 v120, v97, v0 /*v256*/
	s_set_vgpr_msb 0                        ;  msbs: dst=0 src0=0 src1=0 src2=0
	v_mul_i32_i24_e32 v91, v88, v135
	v_mul_i32_i24_e32 v93, v89, v145
	s_delay_alu instid0(VALU_DEP_1)
	v_add3_u32 v99, v124, v91, v93
	v_mul_i32_i24_e32 v91, v88, v252
	s_set_vgpr_msb 4                        ;  msbs: dst=0 src0=0 src1=1 src2=0
	v_mul_i32_i24_e32 v93, v89, v0 /*v256*/
	v_mul_i32_i24_e32 v124, v209, v0 /*v256*/
	s_set_vgpr_msb 0                        ;  msbs: dst=0 src0=0 src1=0 src2=0
	s_delay_alu instid0(VALU_DEP_2) | instskip(SKIP_4) | instid1(VALU_DEP_1)
	v_add3_u32 v144, v144, v91, v93
	s_set_vgpr_msb 4                        ;  msbs: dst=0 src0=0 src1=1 src2=0
	v_mul_i32_i24_e32 v91, v88, v1 /*v257*/
	v_mul_i32_i24_e32 v93, v89, v2 /*v258*/
	s_set_vgpr_msb 0                        ;  msbs: dst=0 src0=0 src1=0 src2=0
	v_add3_u32 v226, v227, v91, v93
	s_set_vgpr_msb 1                        ;  msbs: dst=0 src0=1 src1=0 src2=0
	v_mul_i32_i24_e32 v91, v17 /*v273*/, v247
	s_set_vgpr_msb 0                        ;  msbs: dst=0 src0=0 src1=0 src2=0
	v_mul_i32_i24_e32 v93, v139, v111
	v_bfe_i32 v139, v104, 8, 8
	s_delay_alu instid0(VALU_DEP_2) | instskip(SKIP_2) | instid1(VALU_DEP_2)
	v_add3_u32 v122, v122, v91, v93
	v_bfe_i32 v93, v109, 8, 8
	v_mul_i32_i24_e32 v109, v97, v145
	v_mul_i32_i24_e32 v91, v93, v135
	s_delay_alu instid0(VALU_DEP_1) | instskip(SKIP_1) | instid1(VALU_DEP_1)
	v_add3_u32 v109, v228, v91, v109
	v_mul_i32_i24_e32 v91, v93, v252
	v_add3_u32 v227, v138, v91, v120
	s_set_vgpr_msb 4                        ;  msbs: dst=0 src0=0 src1=1 src2=0
	v_mul_i32_i24_e32 v91, v93, v1 /*v257*/
	v_mul_i32_i24_e32 v120, v97, v2 /*v258*/
	v_bfe_i32 v138, v94, 0, 8
	s_set_vgpr_msb 0                        ;  msbs: dst=0 src0=0 src1=0 src2=0
	s_delay_alu instid0(VALU_DEP_2)
	v_add3_u32 v228, v236, v91, v120
	v_mul_i32_i24_e32 v91, v137, v247
	s_set_vgpr_msb 4                        ;  msbs: dst=0 src0=0 src1=1 src2=0
	v_mul_i32_i24_e32 v120, v208, v0 /*v256*/
	v_bfe_i32 v137, v94, 8, 8
	s_set_vgpr_msb 0                        ;  msbs: dst=0 src0=0 src1=0 src2=0
	v_add3_u32 v98, v128, v91, v98
	v_mul_i32_i24_e32 v91, v207, v135
	s_delay_alu instid0(VALU_DEP_1) | instskip(SKIP_4) | instid1(VALU_DEP_2)
	v_add3_u32 v115, v136, v91, v115
	v_mul_i32_i24_e32 v91, v207, v252
	s_set_vgpr_msb 4                        ;  msbs: dst=0 src0=0 src1=1 src2=0
	v_mul_i32_i24_e32 v136, v210, v0 /*v256*/
	s_set_vgpr_msb 0                        ;  msbs: dst=0 src0=0 src1=0 src2=0
	v_add3_u32 v128, v239, v91, v120
	s_set_vgpr_msb 4                        ;  msbs: dst=0 src0=0 src1=1 src2=0
	v_mul_i32_i24_e32 v91, v207, v1 /*v257*/
	v_mul_i32_i24_e32 v120, v208, v2 /*v258*/
	s_set_vgpr_msb 0                        ;  msbs: dst=0 src0=0 src1=0 src2=0
	s_delay_alu instid0(VALU_DEP_1) | instskip(SKIP_3) | instid1(VALU_DEP_2)
	v_add3_u32 v236, v242, v91, v120
	v_mul_i32_i24_e32 v91, v238, v247
	v_mul_i32_i24_e32 v120, v143, v111
	v_bfe_i32 v143, v106, 8, 8
	v_add3_u32 v126, v126, v91, v120
	v_bfe_i32 v120, v117, 8, 8
	v_mul_i32_i24_e32 v117, v209, v145
	s_delay_alu instid0(VALU_DEP_2) | instskip(NEXT) | instid1(VALU_DEP_1)
	v_mul_i32_i24_e32 v91, v120, v135
	v_add3_u32 v117, v142, v91, v117
	v_mul_i32_i24_e32 v91, v120, v252
	v_bfe_i32 v142, v96, 0, 8
	s_delay_alu instid0(VALU_DEP_2)
	v_add3_u32 v238, v244, v91, v124
	s_set_vgpr_msb 4                        ;  msbs: dst=0 src0=0 src1=1 src2=0
	v_mul_i32_i24_e32 v91, v120, v1 /*v257*/
	v_mul_i32_i24_e32 v124, v209, v2 /*v258*/
	s_set_vgpr_msb 0                        ;  msbs: dst=0 src0=0 src1=0 src2=0
	v_mul_i32_i24_e32 v120, v120, v108
	s_delay_alu instid0(VALU_DEP_2) | instskip(SKIP_3) | instid1(VALU_DEP_2)
	v_add3_u32 v239, v246, v91, v124
	v_mul_i32_i24_e32 v91, v245, v247
	v_mul_i32_i24_e32 v124, v141, v111
	v_bfe_i32 v141, v96, 8, 8
	v_add3_u32 v132, v132, v91, v124
	v_bfe_i32 v124, v119, 8, 8
	v_mul_i32_i24_e32 v119, v210, v145
	s_delay_alu instid0(VALU_DEP_2) | instskip(NEXT) | instid1(VALU_DEP_1)
	v_mul_i32_i24_e32 v91, v124, v135
	v_add3_u32 v119, v140, v91, v119
	v_mul_i32_i24_e32 v91, v124, v252
	v_bfe_i32 v140, v104, 0, 8
	s_delay_alu instid0(VALU_DEP_2)
	v_add3_u32 v242, v253, v91, v136
	s_set_vgpr_msb 4                        ;  msbs: dst=0 src0=0 src1=1 src2=0
	v_mul_i32_i24_e32 v91, v124, v1 /*v257*/
	v_mul_i32_i24_e32 v136, v210, v2 /*v258*/
	s_set_vgpr_msb 0                        ;  msbs: dst=0 src0=0 src1=0 src2=0
	v_mul_i32_i24_e32 v124, v124, v108
	s_delay_alu instid0(VALU_DEP_2) | instskip(SKIP_4) | instid1(VALU_DEP_3)
	v_add3_u32 v244, v254, v91, v136
	v_mul_i32_i24_e32 v91, v147, v111
	v_mul_i32_i24_e32 v111, v255, v247
	;; [unrolled: 1-line block ×3, first 2 shown]
	v_bfe_i32 v147, v100, 0, 8
	v_add3_u32 v111, v112, v111, v91
	v_mul_i32_i24_e32 v91, v231, v135
	v_mul_i32_i24_e32 v112, v248, v145
	s_delay_alu instid0(VALU_DEP_1) | instskip(SKIP_4) | instid1(VALU_DEP_1)
	v_add3_u32 v112, v90, v91, v112
	v_mul_i32_i24_e32 v90, v231, v252
	s_set_vgpr_msb 4                        ;  msbs: dst=0 src0=0 src1=1 src2=0
	v_mul_i32_i24_e32 v91, v248, v0 /*v256*/
	s_set_vgpr_msb 0                        ;  msbs: dst=0 src0=0 src1=0 src2=0
	v_add3_u32 v233, v233, v90, v91
	s_set_vgpr_msb 4                        ;  msbs: dst=0 src0=0 src1=1 src2=0
	v_mul_i32_i24_e32 v90, v231, v1 /*v257*/
	v_mul_i32_i24_e32 v91, v248, v2 /*v258*/
	s_set_vgpr_msb 0                        ;  msbs: dst=0 src0=0 src1=0 src2=0
	s_delay_alu instid0(VALU_DEP_1) | instskip(SKIP_2) | instid1(VALU_DEP_2)
	v_add3_u32 v113, v113, v90, v91
	v_bfe_i32 v90, v83, 16, 8
	v_ashrrev_i32_e32 v91, 24, v83
	v_mul_i32_i24_e32 v83, v90, v145
	s_delay_alu instid0(VALU_DEP_2) | instskip(NEXT) | instid1(VALU_DEP_1)
	v_mul_i32_i24_e32 v135, v91, v149
	v_add3_u32 v83, v250, v83, v135
	v_mul_i32_i24_e32 v135, v121, v215
	s_delay_alu instid0(VALU_DEP_1) | instskip(SKIP_4) | instid1(VALU_DEP_1)
	v_add3_u32 v131, v131, v135, v136
	v_mul_i32_i24_e32 v135, v121, v221
	s_set_vgpr_msb 4                        ;  msbs: dst=0 src0=0 src1=1 src2=0
	v_mul_i32_i24_e32 v136, v234, v1 /*v257*/
	s_set_vgpr_msb 0                        ;  msbs: dst=0 src0=0 src1=0 src2=0
	v_add3_u32 v145, v222, v135, v136
	v_mul_i32_i24_e32 v135, v146, v247
	v_bfe_i32 v136, v102, 0, 8
	v_bfe_i32 v146, v100, 8, 8
	s_delay_alu instid0(VALU_DEP_3) | instskip(SKIP_2) | instid1(VALU_DEP_2)
	v_add3_u32 v130, v130, v85, v135
	v_mul_i32_i24_e32 v85, v214, v118
	v_bfe_i32 v135, v102, 8, 8
	v_add3_u32 v149, v220, v85, v95
	v_mul_i32_i24_e32 v85, v136, v200
	s_delay_alu instid0(VALU_DEP_3) | instskip(NEXT) | instid1(VALU_DEP_1)
	v_mul_i32_i24_e32 v95, v135, v201
	v_add3_u32 v214, v99, v85, v95
	v_mul_i32_i24_e32 v85, v138, v200
	v_mul_i32_i24_e32 v95, v137, v201
	;; [unrolled: 1-line block ×3, first 2 shown]
	s_delay_alu instid0(VALU_DEP_2) | instskip(SKIP_2) | instid1(VALU_DEP_1)
	v_add3_u32 v211, v211, v85, v95
	v_mul_i32_i24_e32 v85, v136, v204
	v_mul_i32_i24_e32 v95, v135, v205
	v_add3_u32 v215, v144, v85, v95
	v_mul_i32_i24_e32 v85, v138, v204
	v_mul_i32_i24_e32 v95, v137, v205
	v_bfe_i32 v144, v106, 0, 8
	s_delay_alu instid0(VALU_DEP_2) | instskip(SKIP_2) | instid1(VALU_DEP_1)
	v_add3_u32 v216, v216, v85, v95
	v_mul_i32_i24_e32 v85, v136, v202
	v_mul_i32_i24_e32 v95, v135, v203
	v_add3_u32 v220, v226, v85, v95
	v_mul_i32_i24_e32 v85, v138, v202
	v_mul_i32_i24_e32 v95, v137, v203
	s_delay_alu instid0(VALU_DEP_1) | instskip(SKIP_2) | instid1(VALU_DEP_1)
	v_add3_u32 v221, v223, v85, v95
	v_mul_i32_i24_e32 v85, v218, v118
	v_mul_i32_i24_e32 v95, v103, v116
	v_add3_u32 v103, v122, v85, v95
	v_mul_i32_i24_e32 v85, v229, v118
	v_mul_i32_i24_e32 v95, v232, v116
	s_delay_alu instid0(VALU_DEP_1) | instskip(SKIP_3) | instid1(VALU_DEP_2)
	v_add3_u32 v122, v98, v85, v95
	v_mul_i32_i24_e32 v85, v140, v200
	v_mul_i32_i24_e32 v95, v139, v201
	v_mul_i32_i24_e32 v98, v114, v202
	v_add3_u32 v115, v115, v85, v95
	v_mul_i32_i24_e32 v85, v142, v200
	v_mul_i32_i24_e32 v95, v141, v201
	s_delay_alu instid0(VALU_DEP_1) | instskip(SKIP_2) | instid1(VALU_DEP_1)
	v_add3_u32 v218, v109, v85, v95
	v_mul_i32_i24_e32 v85, v140, v204
	v_mul_i32_i24_e32 v95, v139, v205
	v_add3_u32 v128, v128, v85, v95
	v_mul_i32_i24_e32 v85, v142, v204
	v_mul_i32_i24_e32 v95, v141, v205
	s_delay_alu instid0(VALU_DEP_1) | instskip(SKIP_2) | instid1(VALU_DEP_1)
	v_add3_u32 v222, v227, v85, v95
	v_mul_i32_i24_e32 v85, v140, v202
	v_mul_i32_i24_e32 v95, v139, v203
	;; [unrolled: 7-line block ×3, first 2 shown]
	v_add3_u32 v126, v126, v85, v95
	v_mul_i32_i24_e32 v85, v243, v118
	v_mul_i32_i24_e32 v95, v101, v116
	;; [unrolled: 1-line block ×3, first 2 shown]
	s_delay_alu instid0(VALU_DEP_2) | instskip(SKIP_2) | instid1(VALU_DEP_1)
	v_add3_u32 v132, v132, v85, v95
	v_mul_i32_i24_e32 v85, v144, v200
	v_mul_i32_i24_e32 v95, v143, v201
	v_add3_u32 v227, v119, v85, v95
	v_mul_i32_i24_e32 v85, v147, v200
	v_mul_i32_i24_e32 v95, v146, v201
	s_delay_alu instid0(VALU_DEP_1) | instskip(SKIP_2) | instid1(VALU_DEP_1)
	v_add3_u32 v119, v117, v85, v95
	v_mul_i32_i24_e32 v85, v144, v204
	v_mul_i32_i24_e32 v95, v143, v205
	v_add3_u32 v228, v242, v85, v95
	v_mul_i32_i24_e32 v85, v147, v204
	v_mul_i32_i24_e32 v95, v146, v205
	s_delay_alu instid0(VALU_DEP_1) | instskip(SKIP_3) | instid1(VALU_DEP_2)
	v_add3_u32 v229, v238, v85, v95
	v_mul_i32_i24_e32 v85, v144, v202
	v_mul_i32_i24_e32 v95, v143, v203
	;; [unrolled: 1-line block ×3, first 2 shown]
	v_add3_u32 v231, v244, v85, v95
	v_mul_i32_i24_e32 v85, v147, v202
	v_mul_i32_i24_e32 v95, v146, v203
	v_bfe_i32 v202, v102, 16, 8
	s_delay_alu instid0(VALU_DEP_2) | instskip(SKIP_2) | instid1(VALU_DEP_1)
	v_add3_u32 v232, v239, v85, v95
	v_mul_i32_i24_e32 v85, v251, v118
	v_mul_i32_i24_e32 v95, v107, v116
	v_add3_u32 v236, v111, v85, v95
	v_mul_i32_i24_e32 v85, v148, v201
	v_mul_i32_i24_e32 v95, v114, v200
	v_bfe_i32 v200, v94, 16, 8
	v_ashrrev_i32_e32 v94, 24, v94
	v_ashrrev_i32_e32 v201, 24, v102
	s_delay_alu instid0(VALU_DEP_4)
	v_add3_u32 v237, v112, v95, v85
	v_mul_i32_i24_e32 v85, v148, v205
	v_mul_i32_i24_e32 v95, v114, v204
	;; [unrolled: 1-line block ×4, first 2 shown]
	v_bfe_i32 v204, v96, 16, 8
	v_ashrrev_i32_e32 v205, 24, v104
	v_add3_u32 v233, v233, v95, v85
	s_set_vgpr_msb 4                        ;  msbs: dst=0 src0=0 src1=1 src2=0
	v_mul_i32_i24_e32 v85, v90, v0 /*v256*/
	s_set_vgpr_msb 0                        ;  msbs: dst=0 src0=0 src1=0 src2=0
	v_mul_i32_i24_e32 v95, v91, v219
	s_delay_alu instid0(VALU_DEP_1) | instskip(SKIP_3) | instid1(VALU_DEP_3)
	v_add3_u32 v85, v131, v85, v95
	v_mul_i32_i24_e32 v95, v148, v203
	v_ashrrev_i32_e32 v203, 24, v96
	v_mul_i32_i24_e32 v96, v204, v161
	v_add3_u32 v131, v113, v98, v95
	s_set_vgpr_msb 4                        ;  msbs: dst=0 src0=0 src1=1 src2=0
	v_mul_i32_i24_e32 v95, v90, v2 /*v258*/
	s_set_vgpr_msb 0                        ;  msbs: dst=0 src0=0 src1=0 src2=0
	v_mul_i32_i24_e32 v98, v91, v225
	v_mul_i32_i24_e32 v91, v91, v92
	;; [unrolled: 1-line block ×3, first 2 shown]
	s_delay_alu instid0(VALU_DEP_3) | instskip(SKIP_1) | instid1(VALU_DEP_1)
	v_add3_u32 v95, v145, v95, v98
	v_mul_i32_i24_e32 v98, v121, v241
	v_add3_u32 v99, v130, v98, v99
	v_mul_i32_i24_e32 v98, v212, v241
	s_delay_alu instid0(VALU_DEP_1)
	v_add3_u32 v98, v149, v101, v98
	v_mul_i32_i24_e32 v101, v200, v161
	ds_load_2addr_b32 v[148:149], v151 offset1:32
	v_ashrrev_i32_e32 v213, 24, v100
	v_add3_u32 v105, v211, v101, v105
	v_mul_i32_i24_e32 v101, v202, v161
	v_bfe_i32 v211, v104, 16, 8
	s_delay_alu instid0(VALU_DEP_2) | instskip(SKIP_4) | instid1(VALU_DEP_3)
	v_add3_u32 v107, v214, v101, v102
	v_mul_i32_i24_e32 v101, v200, v163
	v_mul_i32_i24_e32 v102, v199, v94
	v_bfe_i32 v214, v100, 16, 8
	v_mul_i32_i24_e32 v100, v162, v213
	v_add3_u32 v109, v216, v101, v102
	v_mul_i32_i24_e32 v101, v202, v163
	v_mul_i32_i24_e32 v102, v199, v201
	v_bfe_i32 v216, v106, 16, 8
	s_delay_alu instid0(VALU_DEP_2) | instskip(SKIP_3) | instid1(VALU_DEP_2)
	v_add3_u32 v111, v215, v101, v102
	v_mul_i32_i24_e32 v101, v200, v197
	v_mul_i32_i24_e32 v102, v198, v94
	v_ashrrev_i32_e32 v215, 24, v106
	v_add3_u32 v112, v221, v101, v102
	v_mul_i32_i24_e32 v101, v202, v197
	v_mul_i32_i24_e32 v102, v198, v201
	s_delay_alu instid0(VALU_DEP_3) | instskip(NEXT) | instid1(VALU_DEP_2)
	v_cvt_f32_i32_e32 v112, v112
	v_add3_u32 v113, v220, v101, v102
	v_mul_i32_i24_e32 v101, v125, v241
	v_mul_i32_i24_e32 v102, v230, v92
	s_delay_alu instid0(VALU_DEP_3) | instskip(NEXT) | instid1(VALU_DEP_2)
	v_cvt_f32_i32_e32 v113, v113
	v_add3_u32 v102, v103, v102, v101
	v_mul_i32_i24_e32 v101, v123, v241
	v_mul_i32_i24_e32 v103, v224, v92
	s_delay_alu instid0(VALU_DEP_1) | instskip(SKIP_1) | instid1(VALU_DEP_1)
	v_add3_u32 v101, v122, v103, v101
	v_mul_i32_i24_e32 v103, v162, v203
	v_add3_u32 v114, v218, v96, v103
	v_mul_i32_i24_e32 v96, v211, v161
	v_mul_i32_i24_e32 v103, v162, v205
	s_delay_alu instid0(VALU_DEP_1) | instskip(SKIP_2) | instid1(VALU_DEP_1)
	v_add3_u32 v104, v115, v96, v103
	v_mul_i32_i24_e32 v96, v204, v163
	v_mul_i32_i24_e32 v103, v199, v203
	v_add3_u32 v115, v222, v96, v103
	v_mul_i32_i24_e32 v96, v211, v163
	v_mul_i32_i24_e32 v103, v199, v205
	s_delay_alu instid0(VALU_DEP_1) | instskip(SKIP_2) | instid1(VALU_DEP_1)
	v_add3_u32 v116, v128, v96, v103
	v_mul_i32_i24_e32 v96, v204, v197
	;; [unrolled: 7-line block ×3, first 2 shown]
	v_mul_i32_i24_e32 v103, v235, v92
	v_add3_u32 v212, v126, v103, v96
	v_mul_i32_i24_e32 v96, v127, v241
	v_mul_i32_i24_e32 v103, v240, v92
	s_delay_alu instid0(VALU_DEP_1) | instskip(SKIP_4) | instid1(VALU_DEP_4)
	v_add3_u32 v130, v132, v103, v96
	v_mul_i32_i24_e32 v96, v214, v161
	v_add3_u32 v132, v98, v86, v87
	v_mul_i32_i24_e32 v86, v89, v206
	v_mul_i32_i24_e32 v87, v88, v108
	v_add3_u32 v119, v119, v96, v100
	v_mul_i32_i24_e32 v96, v216, v161
	v_mul_i32_i24_e32 v100, v162, v215
	s_delay_alu instid0(VALU_DEP_1) | instskip(SKIP_2) | instid1(VALU_DEP_1)
	v_add3_u32 v106, v227, v96, v100
	v_mul_i32_i24_e32 v96, v214, v163
	v_mul_i32_i24_e32 v100, v199, v213
	v_add3_u32 v121, v229, v96, v100
	v_mul_i32_i24_e32 v96, v216, v163
	v_mul_i32_i24_e32 v100, v199, v215
	s_delay_alu instid0(VALU_DEP_1) | instskip(SKIP_2) | instid1(VALU_DEP_1)
	v_add3_u32 v122, v228, v96, v100
	v_mul_i32_i24_e32 v96, v214, v197
	v_mul_i32_i24_e32 v100, v198, v213
	v_add3_u32 v123, v232, v96, v100
	v_mul_i32_i24_e32 v96, v216, v197
	v_mul_i32_i24_e32 v100, v198, v215
	s_delay_alu instid0(VALU_DEP_1)
	v_add3_u32 v125, v231, v96, v100
	v_mul_i32_i24_e32 v96, v133, v241
	v_mul_i32_i24_e32 v100, v249, v92
	v_add3_u32 v133, v102, v87, v86
	v_mul_i32_i24_e32 v86, v97, v206
	v_mul_i32_i24_e32 v87, v93, v108
	s_delay_alu instid0(VALU_DEP_4) | instskip(SKIP_2) | instid1(VALU_DEP_1)
	v_add3_u32 v129, v236, v100, v96
	v_mul_i32_i24_e32 v96, v134, v161
	v_mul_i32_i24_e32 v100, v217, v162
	v_add3_u32 v126, v237, v96, v100
	v_mul_i32_i24_e32 v96, v134, v163
	v_mul_i32_i24_e32 v100, v217, v199
	ds_load_2addr_b32 v[162:163], v151 offset0:64 offset1:96
	s_wait_dscnt 0x1
	v_lshrrev_b32_e32 v102, 16, v148
	v_mul_i32_i24_e32 v199, v135, v158
	v_mul_i32_i24_e32 v135, v216, v157
	v_add3_u32 v127, v233, v96, v100
	v_mul_i32_i24_e32 v96, v134, v197
	v_mul_i32_i24_e32 v100, v217, v198
	v_add3_u32 v134, v101, v87, v86
	v_mul_i32_i24_e32 v198, v137, v158
	v_mul_i32_i24_e32 v197, v139, v158
	;; [unrolled: 1-line block ×3, first 2 shown]
	v_add3_u32 v128, v131, v96, v100
	v_add3_u32 v131, v99, v90, v91
	ds_load_2addr_b32 v[98:99], v151 offset0:128 offset1:160
	ds_load_2addr_b32 v[96:97], v151 offset0:192 offset1:224
	v_cvt_f32_f16_e64 v91, v149
	v_cvt_f32_f16_e64 v90, v148
	v_lshrrev_b32_e32 v100, 16, v149
	v_mul_i32_i24_e32 v137, v211, v157
	v_cvt_f32_i32_e32 v202, v131
	s_wait_dscnt 0x2
	v_dual_lshrrev_b32 v101, 16, v163 :: v_dual_lshrrev_b32 v103, 16, v162
	v_cvt_f32_f16_e64 v87, v163
	v_cvt_f32_f16_e64 v86, v162
	v_mul_i32_i24_e32 v163, v141, v158
	v_mul_i32_i24_e32 v162, v143, v158
	;; [unrolled: 1-line block ×5, first 2 shown]
	v_add_nc_u32_e32 v151, 4, v151
	s_wait_dscnt 0x1
	v_dual_lshrrev_b32 v145, 16, v99 :: v_dual_lshrrev_b32 v148, 16, v98
	s_wait_dscnt 0x0
	v_dual_lshrrev_b32 v149, 16, v97 :: v_dual_lshrrev_b32 v161, 16, v96
	v_cvt_f32_f16_e32 v89, v99
	v_cvt_f32_f16_e32 v88, v98
	;; [unrolled: 1-line block ×8, first 2 shown]
	v_cvt_f32_f16_e64 v101, v145
	v_cvt_f32_f16_e64 v100, v148
	;; [unrolled: 1-line block ×4, first 2 shown]
	v_mul_i32_i24_e32 v149, v138, v159
	v_mul_i32_i24_e32 v161, v136, v159
	;; [unrolled: 1-line block ×16, first 2 shown]
	v_pk_mul_f32 v[98:99], v[98:99], s[10:11] op_sel_hi:[1,0]
	v_pk_mul_f32 v[100:101], v[100:101], s[10:11] op_sel_hi:[1,0]
	;; [unrolled: 1-line block ×3, first 2 shown]
	v_add3_u32 v160, v212, v160, v94
	ds_load_b32 v94, v154
	v_add3_u32 v130, v130, v120, v201
	v_cvt_f32_i32_e32 v108, v83
	v_add3_u32 v83, v129, v124, v200
	v_cvt_f32_i32_e32 v201, v107
	v_cvt_f32_i32_e32 v200, v105
	v_cvt_f32_i32_e32 v205, v111
	v_cvt_f32_i32_e32 v204, v109
	v_cvt_f32_i32_e32 v105, v104
	v_cvt_f32_i32_e32 v104, v114
	v_cvt_f32_i32_e32 v107, v106
	v_cvt_f32_i32_e32 v106, v119
	v_cvt_f32_i32_e32 v203, v110
	v_cvt_f32_i32_e32 v110, v85
	v_cvt_f32_i32_e32 v120, v95
	v_cvt_f32_i32_e32 v207, v116
	v_cvt_f32_i32_e32 v206, v115
	v_cvt_f32_i32_e32 v115, v118
	v_cvt_f32_i32_e32 v114, v117
	v_cvt_f32_i32_e32 v117, v122
	v_cvt_f32_i32_e32 v116, v121
	v_cvt_f32_i32_e32 v119, v125
	v_cvt_f32_i32_e32 v118, v123
	v_cvt_f32_i32_e32 v121, v128
	v_pk_fma_f32 v[122:123], v[86:87], v[200:201], v[98:99] neg_lo:[0,0,1] neg_hi:[0,0,1]
	v_pk_fma_f32 v[124:125], v[86:87], v[204:205], v[98:99] neg_lo:[0,0,1] neg_hi:[0,0,1]
	;; [unrolled: 1-line block ×3, first 2 shown]
	v_add3_u32 v85, v133, v161, v199
	v_add3_u32 v95, v132, v149, v198
	v_pk_fma_f32 v[104:105], v[88:89], v[104:105], v[100:101] neg_lo:[0,0,1] neg_hi:[0,0,1]
	v_add3_u32 v128, v160, v148, v197
	v_add3_u32 v129, v134, v145, v163
	v_pk_fma_f32 v[106:107], v[92:93], v[106:107], v[102:103] neg_lo:[0,0,1] neg_hi:[0,0,1]
	v_add3_u32 v83, v83, v144, v162
	v_add3_u32 v130, v130, v140, v159
	v_pk_mul_f32 v[96:97], v[96:97], s[10:11] op_sel_hi:[1,0]
	v_cvt_f32_i32_e32 v109, v126
	v_cvt_f32_i32_e32 v111, v127
	v_pk_fma_f32 v[26:27], v[82:83], v[122:123], v[26:27] op_sel_hi:[0,1,1]
	v_pk_fma_f32 v[24:25], v[84:85], v[124:125], v[24:25] op_sel_hi:[0,1,1]
	s_wait_dscnt 0x0
	v_pk_fma_f32 v[22:23], v[94:95], v[112:113], v[22:23] op_sel_hi:[0,1,1]
	v_add3_u32 v95, v95, v143, v157
	v_add3_u32 v85, v85, v139, v158
	v_pk_fma_f32 v[18:19], v[82:83], v[104:105], v[18:19] op_sel_hi:[0,1,1]
	v_add3_u32 v104, v129, v138, v146
	v_add3_u32 v105, v128, v137, v147
	;; [unrolled: 3-line block ×3, first 2 shown]
	v_pk_fma_f32 v[126:127], v[88:89], v[206:207], v[100:101] neg_lo:[0,0,1] neg_hi:[0,0,1]
	v_pk_fma_f32 v[116:117], v[92:93], v[116:117], v[102:103] neg_lo:[0,0,1] neg_hi:[0,0,1]
	;; [unrolled: 1-line block ×6, first 2 shown]
	v_cvt_f32_i32_e32 v97, v85
	v_cvt_f32_i32_e32 v96, v95
	;; [unrolled: 1-line block ×6, first 2 shown]
	v_pk_fma_f32 v[114:115], v[88:89], v[114:115], v[100:101] neg_lo:[0,0,1] neg_hi:[0,0,1]
	v_pk_fma_f32 v[118:119], v[92:93], v[118:119], v[102:103] neg_lo:[0,0,1] neg_hi:[0,0,1]
	v_pk_fma_f32 v[16:17], v[84:85], v[126:127], v[16:17] op_sel_hi:[0,1,1]
	v_pk_fma_f32 v[4:5], v[84:85], v[116:117], v[4:5] op_sel_hi:[0,1,1]
	;; [unrolled: 1-line block ×4, first 2 shown]
	v_pk_fma_f32 v[82:83], v[86:87], v[96:97], v[98:99] neg_lo:[0,0,1] neg_hi:[0,0,1]
	v_pk_fma_f32 v[84:85], v[88:89], v[104:105], v[100:101] neg_lo:[0,0,1] neg_hi:[0,0,1]
	;; [unrolled: 1-line block ×3, first 2 shown]
	v_add_nc_u32_e32 v154, 4, v154
	v_pk_fma_f32 v[14:15], v[94:95], v[114:115], v[14:15] op_sel_hi:[0,1,1]
	v_pk_fma_f32 v[2:3], v[94:95], v[118:119], v[2:3] op_sel_hi:[0,1,1]
	;; [unrolled: 1-line block ×7, first 2 shown]
	s_cbranch_scc1 .LBB118_9
; %bb.10:                               ;   in Loop: Header=BB118_7 Depth=1
	s_and_b32 s12, s7, -4
	s_delay_alu instid0(SALU_CYCLE_1)
	s_cmp_eq_u32 s12, 4
	s_barrier_signal -1
	s_barrier_wait -1
	s_cbranch_scc1 .LBB118_6
; %bb.11:                               ;   in Loop: Header=BB118_7 Depth=1
	v_dual_add_nc_u32 v80, s4, v176 :: v_dual_add_nc_u32 v96, 4, v81
	v_dual_mov_b32 v197, v195 :: v_dual_mov_b32 v198, v185
	v_dual_mov_b32 v199, v193 :: v_dual_mov_b32 v200, v191
	s_delay_alu instid0(VALU_DEP_3) | instskip(SKIP_3) | instid1(VALU_DEP_4)
	v_dual_add_nc_u32 v86, v80, v170 :: v_dual_add_nc_u32 v81, v80, v175
	v_dual_add_nc_u32 v82, v80, v168 :: v_dual_add_nc_u32 v84, v80, v169
	;; [unrolled: 1-line block ×4, first 2 shown]
	v_mad_nc_i64_i32 v[80:81], v81, 36, v[38:39]
	s_delay_alu instid0(VALU_DEP_4)
	v_mad_nc_i64_i32 v[82:83], v82, 36, v[38:39]
	v_mad_nc_i64_i32 v[84:85], v84, 36, v[38:39]
	v_mad_nc_i64_i32 v[86:87], v86, 36, v[38:39]
	v_mad_nc_i64_i32 v[88:89], v88, 36, v[38:39]
	v_mad_nc_i64_i32 v[90:91], v90, 36, v[38:39]
	v_mad_nc_i64_i32 v[92:93], v92, 36, v[38:39]
	v_mad_nc_i64_i32 v[94:95], v94, 36, v[38:39]
	v_mad_nc_u64_u32 v[96:97], v96, 36, s[2:3]
	s_clause 0x8
	global_load_b32 v98, v[80:81], off offset:4
	global_load_b32 v99, v[82:83], off offset:4
	global_load_b32 v100, v[84:85], off offset:4
	global_load_b32 v101, v[86:87], off offset:4
	global_load_b32 v102, v[88:89], off offset:4
	global_load_b32 v103, v[90:91], off offset:4
	global_load_b32 v104, v[92:93], off offset:4
	global_load_b32 v105, v[94:95], off offset:4
	global_load_b32 v106, v[96:97], off
	v_dual_mov_b32 v201, v189 :: v_dual_mov_b32 v202, v187
	v_mov_b32_e32 v203, v196
	s_mov_b32 s12, 12
	s_wait_loadcnt 0x8
	ds_store_b32 v183, v98
	s_wait_loadcnt 0x7
	ds_store_b32 v184, v99
	;; [unrolled: 2-line block ×9, first 2 shown]
	s_wait_dscnt 0x0
	s_barrier_signal -1
	s_barrier_wait -1
.LBB118_12:                             ;   Parent Loop BB118_7 Depth=1
                                        ; =>  This Inner Loop Header: Depth=2
	ds_load_2addr_b32 v[84:85], v198 offset1:3
	ds_load_2addr_b32 v[82:83], v198 offset0:4 offset1:7
	ds_load_2addr_b32 v[80:81], v197 offset1:32
	ds_load_2addr_b32 v[88:89], v198 offset0:1 offset1:2
	ds_load_2addr_b32 v[86:87], v198 offset0:5 offset1:6
	ds_load_2addr_b32 v[90:91], v203 offset1:1
	ds_load_2addr_b32 v[92:93], v203 offset0:2 offset1:3
	v_add_nc_u32_e32 v96, 0x1080, v203
	v_add_nc_u32_e32 v97, 0x1088, v203
	v_add_nc_u32_e32 v98, 0x2100, v203
	v_add_nc_u32_e32 v99, 0x2108, v203
	v_add_nc_u32_e32 v100, 0x3180, v203
	v_add_nc_u32_e32 v101, 0x3188, v203
	v_add_nc_u32_e32 v102, 0x400, v198
	v_add_nc_u32_e32 v103, 0x404, v198
	v_add_nc_u32_e32 v104, 0x414, v198
	v_add_nc_u32_e32 v105, 0x804, v198
	v_add_nc_u32_e32 v106, 0x814, v198
	v_add_nc_u32_e32 v107, 0x800, v198
	v_add_nc_u32_e32 v108, 0xc04, v198
	v_add_nc_u32_e32 v109, 0xc14, v198
	v_add_nc_u32_e32 v110, 0xc00, v198
	v_add_nc_u32_e32 v111, 0x1004, v198
	v_add_nc_u32_e32 v112, 0x1014, v198
	v_add_nc_u32_e32 v113, 0x1000, v198
	v_add_nc_u32_e32 v114, 0x1404, v198
	v_add_nc_u32_e32 v115, 0x1414, v198
	v_add_nc_u32_e32 v116, 0x1400, v198
	v_add_nc_u32_e32 v117, 0x1804, v198
	v_add_nc_u32_e32 v118, 0x1800, v198
	ds_load_2addr_b32 v[94:95], v197 offset0:64 offset1:96
	ds_load_2addr_b32 v[150:151], v197 offset0:128 offset1:160
	v_add_nc_u32_e32 v204, 0x1814, v198
	ds_load_2addr_b32 v[224:225], v197 offset0:192 offset1:224
	v_add_nc_u32_e32 v205, 0x1c04, v198
	v_add_nc_u32_e32 v206, 0x1c14, v198
	;; [unrolled: 1-line block ×3, first 2 shown]
	ds_load_2addr_b32 v[162:163], v96 offset1:1
	ds_load_2addr_b32 v[148:149], v97 offset1:1
	;; [unrolled: 1-line block ×4, first 2 shown]
	ds_load_2addr_b32 v[152:153], v102 offset0:4 offset1:7
	ds_load_2addr_b32 v[242:243], v100 offset1:1
	ds_load_2addr_b32 v[144:145], v101 offset1:1
	;; [unrolled: 1-line block ×6, first 2 shown]
	ds_load_2addr_b32 v[136:137], v107 offset0:4 offset1:7
	ds_load_2addr_b32 v[142:143], v105 offset1:1
	ds_load_2addr_b32 v[140:141], v106 offset1:1
	;; [unrolled: 1-line block ×5, first 2 shown]
	ds_load_2addr_b32 v[132:133], v110 offset0:4 offset1:7
	ds_load_2addr_b32 v[108:109], v113 offset1:3
	ds_load_2addr_b32 v[120:121], v113 offset0:4 offset1:7
	ds_load_2addr_b32 v[128:129], v111 offset1:1
	ds_load_2addr_b32 v[124:125], v112 offset1:1
	;; [unrolled: 1-line block ×5, first 2 shown]
	ds_load_2addr_b32 v[112:113], v116 offset0:4 offset1:7
	ds_load_2addr_b32 v[96:97], v118 offset1:3
	ds_load_2addr_b32 v[104:105], v118 offset0:4 offset1:7
	ds_load_2addr_b32 v[118:119], v117 offset1:1
	ds_load_2addr_b32 v[106:107], v204 offset1:1
	;; [unrolled: 1-line block ×5, first 2 shown]
	ds_load_2addr_b32 v[100:101], v207 offset0:4 offset1:7
	s_wait_dscnt 0x2b
	v_bfe_i32 v245, v84, 0, 8
	s_wait_dscnt 0x26
	s_set_vgpr_msb 64                       ;  msbs: dst=1 src0=0 src1=0 src2=0
	v_dual_ashrrev_i32 v0 /*v256*/, 24, v88 :: v_dual_bitop2_b32 v36 /*v292*/, 15, v90 bitop3:0x40
	s_set_vgpr_msb 0                        ;  msbs: dst=0 src0=0 src1=0 src2=0
	v_bfe_i32 v246, v84, 8, 8
	v_bfe_i32 v247, v84, 16, 8
	v_dual_ashrrev_i32 v248, 24, v84 :: v_dual_ashrrev_i32 v252, 24, v82
	s_set_vgpr_msb 64                       ;  msbs: dst=1 src0=0 src1=0 src2=0
	v_bfe_u32 v40 /*v296*/, v90, 8, 4
	v_bfe_u32 v44 /*v300*/, v90, 24, 4
	;; [unrolled: 1-line block ×3, first 2 shown]
	s_set_vgpr_msb 0x41                     ;  msbs: dst=1 src0=1 src1=0 src2=0
	v_mul_i32_i24_e32 v16 /*v272*/, v36 /*v292*/, v245
	s_set_vgpr_msb 0                        ;  msbs: dst=0 src0=0 src1=0 src2=0
	v_bfe_i32 v249, v82, 0, 8
	v_bfe_i32 v250, v82, 8, 8
	v_dual_ashrrev_i32 v237, 24, v86 :: v_dual_ashrrev_i32 v221, 24, v89
	v_bfe_i32 v227, v89, 0, 8
	v_bfe_i32 v226, v89, 8, 8
	;; [unrolled: 1-line block ×3, first 2 shown]
	v_bfe_u32 v89, v90, 4, 4
	s_set_vgpr_msb 64                       ;  msbs: dst=1 src0=0 src1=0 src2=0
	v_bfe_u32 v3 /*v259*/, v90, 12, 4
	s_wait_dscnt 0x21
	v_dual_lshrrev_b32 v39 /*v295*/, 28, v162 :: v_dual_bitop2_b32 v50 /*v306*/, 15, v162 bitop3:0x40
	s_wait_dscnt 0x1f
	v_dual_lshrrev_b32 v58 /*v314*/, 28, v156 :: v_dual_bitop2_b32 v51 /*v307*/, 15, v156 bitop3:0x40
	s_wait_dscnt 0x1c
	v_bfe_u32 v65 /*v321*/, v243, 24, 4
	v_and_b32_e32 v66 /*v322*/, 0xf0f0f0f, v243
	v_dual_lshrrev_b32 v67 /*v323*/, 4, v243 :: v_dual_lshrrev_b32 v68 /*v324*/, 28, v243
	s_set_vgpr_msb 0x41                     ;  msbs: dst=1 src0=1 src1=0 src2=0
	v_mul_i32_i24_e32 v70 /*v326*/, v41 /*v297*/, v247
	v_mul_i32_i24_e32 v71 /*v327*/, v44 /*v300*/, v248
	s_set_vgpr_msb 64                       ;  msbs: dst=1 src0=0 src1=0 src2=0
	v_bfe_u32 v73 /*v329*/, v242, 4, 4
	v_dual_ashrrev_i32 v74 /*v330*/, 24, v152 :: v_dual_bitop2_b32 v81 /*v337*/, 15, v243 bitop3:0x40
	v_bfe_i32 v77 /*v333*/, v152, 0, 8
	v_bfe_u32 v80 /*v336*/, v243, 16, 4
	s_wait_dscnt 0x1a
	v_bfe_i32 v86 /*v342*/, v160, 0, 8
	s_set_vgpr_msb 0                        ;  msbs: dst=0 src0=0 src1=0 src2=0
	v_bfe_u32 v239, v243, 20, 4
	v_bfe_u32 v243, v243, 4, 4
	s_wait_dscnt 0x19
	s_set_vgpr_msb 64                       ;  msbs: dst=1 src0=0 src1=0 src2=0
	v_bfe_i32 v90 /*v346*/, v158, 0, 8
	s_set_vgpr_msb 0x51                     ;  msbs: dst=1 src0=1 src1=0 src2=1
	v_mad_i32_i24 v16 /*v272*/, v40 /*v296*/, v246, v16 /*v272*/
	s_set_vgpr_msb 64                       ;  msbs: dst=1 src0=0 src1=0 src2=0
	v_mul_i32_i24_e32 v17 /*v273*/, v89, v249
	s_set_vgpr_msb 0x41                     ;  msbs: dst=1 src0=1 src1=0 src2=0
	v_mul_i32_i24_e32 v18 /*v274*/, v3 /*v259*/, v250
	s_set_vgpr_msb 64                       ;  msbs: dst=1 src0=0 src1=0 src2=0
	v_bfe_u32 v57 /*v313*/, v156, 12, 4
	v_dual_lshrrev_b32 v64 /*v320*/, 28, v242 :: v_dual_bitop2_b32 v93 /*v349*/, 15, v242 bitop3:0x40
	s_set_vgpr_msb 0                        ;  msbs: dst=0 src0=0 src1=0 src2=0
	v_lshrrev_b32_e32 v235, 28, v144
	s_set_vgpr_msb 64                       ;  msbs: dst=1 src0=0 src1=0 src2=0
	v_lshrrev_b16 v69 /*v325*/, 8, v152
	v_bfe_u32 v56 /*v312*/, v162, 8, 4
	v_bfe_u32 v112 /*v368*/, v162, 24, 4
	;; [unrolled: 1-line block ×6, first 2 shown]
	v_bfe_i32 v79 /*v335*/, v152, 16, 8
	s_set_vgpr_msb 0                        ;  msbs: dst=0 src0=0 src1=0 src2=0
	v_and_b32_e32 v152, 15, v144
	s_set_vgpr_msb 64                       ;  msbs: dst=1 src0=0 src1=0 src2=0
	v_bfe_i32 v95 /*v351*/, v161, 0, 8
	s_set_vgpr_msb 0                        ;  msbs: dst=0 src0=0 src1=0 src2=0
	v_bfe_u32 v236, v144, 4, 4
	v_bfe_i32 v238, v159, 0, 8
	s_wait_dscnt 0x0
	s_set_vgpr_msb 64                       ;  msbs: dst=1 src0=0 src1=0 src2=0
	v_dual_ashrrev_i32 v120 /*v376*/, 24, v100 :: v_dual_bitop2_b32 v78 /*v334*/, 15, v145 bitop3:0x40
	v_bfe_i32 v96 /*v352*/, v136, 8, 8
	v_bfe_i32 v117 /*v373*/, v100, 0, 8
	;; [unrolled: 1-line block ×4, first 2 shown]
	s_set_vgpr_msb 1                        ;  msbs: dst=0 src0=1 src1=0 src2=0
	v_mul_i32_i24_e32 v100, v50 /*v306*/, v245
	s_set_vgpr_msb 0x41                     ;  msbs: dst=1 src0=1 src1=0 src2=0
	v_mul_i32_i24_e32 v121 /*v377*/, v51 /*v307*/, v245
	s_set_vgpr_msb 0x45                     ;  msbs: dst=1 src0=1 src1=1 src2=0
	v_mul_i32_i24_e32 v126 /*v382*/, v77 /*v333*/, v73 /*v329*/
	v_mul_i32_i24_e32 v127 /*v383*/, v86 /*v342*/, v81 /*v337*/
	s_set_vgpr_msb 0x41                     ;  msbs: dst=1 src0=1 src1=0 src2=0
	v_mul_i32_i24_e32 v130 /*v386*/, v90 /*v346*/, v243
	s_set_vgpr_msb 0x55                     ;  msbs: dst=1 src0=1 src1=1 src2=1
	v_add3_u32 v16 /*v272*/, v16 /*v272*/, v70 /*v326*/, v71 /*v327*/
	s_set_vgpr_msb 0                        ;  msbs: dst=0 src0=0 src1=0 src2=0
	v_bfe_i32 v253, v88, 0, 8
	v_bfe_i32 v254, v88, 8, 8
	;; [unrolled: 1-line block ×3, first 2 shown]
	v_bfe_u32 v88, v90, 20, 4
	s_set_vgpr_msb 64                       ;  msbs: dst=1 src0=0 src1=0 src2=0
	v_dual_lshrrev_b32 v4 /*v260*/, 28, v90 :: v_dual_bitop2_b32 v6 /*v262*/, 15, v91 bitop3:0x40
	v_bfe_u32 v38 /*v294*/, v162, 12, 4
	v_bfe_u32 v54 /*v310*/, v156, 20, 4
	;; [unrolled: 1-line block ×3, first 2 shown]
	v_dual_lshrrev_b32 v63 /*v319*/, 4, v242 :: v_dual_bitop2_b32 v59 /*v315*/, 15, v157 bitop3:0x40
	v_bfe_u32 v72 /*v328*/, v242, 20, 4
	v_dual_ashrrev_i32 v82 /*v338*/, 24, v160 :: v_dual_ashrrev_i32 v87 /*v343*/, 24, v158
	s_set_vgpr_msb 0                        ;  msbs: dst=0 src0=0 src1=0 src2=0
	v_ashrrev_i32_e32 v156, 24, v155
	s_set_vgpr_msb 64                       ;  msbs: dst=1 src0=0 src1=0 src2=0
	v_bfe_u32 v110 /*v366*/, v242, 8, 4
	v_bfe_u32 v133 /*v389*/, v242, 24, 4
	;; [unrolled: 1-line block ×3, first 2 shown]
	s_set_vgpr_msb 0                        ;  msbs: dst=0 src0=0 src1=0 src2=0
	v_bfe_i32 v242, v136, 0, 8
	s_set_vgpr_msb 64                       ;  msbs: dst=1 src0=0 src1=0 src2=0
	v_bfe_i32 v97 /*v353*/, v136, 16, 8
	s_set_vgpr_msb 0                        ;  msbs: dst=0 src0=0 src1=0 src2=0
	v_ashrrev_i32_e32 v136, 24, v136
	s_set_vgpr_msb 64                       ;  msbs: dst=1 src0=0 src1=0 src2=0
	v_bfe_i32 v101 /*v357*/, v132, 8, 8
	v_bfe_i32 v104 /*v360*/, v120, 8, 8
	s_set_vgpr_msb 1                        ;  msbs: dst=0 src0=1 src1=0 src2=0
	v_mul_i32_i24_e32 v245, v93 /*v349*/, v245
	s_set_vgpr_msb 0x41                     ;  msbs: dst=1 src0=1 src1=0 src2=0
	v_mul_i32_i24_e32 v122 /*v378*/, v83 /*v339*/, v247
	v_mul_i32_i24_e32 v123 /*v379*/, v112 /*v368*/, v248
	;; [unrolled: 1-line block ×5, first 2 shown]
	s_set_vgpr_msb 64                       ;  msbs: dst=1 src0=0 src1=0 src2=0
	v_mul_i32_i24_e32 v137 /*v393*/, v238, v236
	s_set_vgpr_msb 0x55                     ;  msbs: dst=1 src0=1 src1=1 src2=1
	v_mul_i32_i24_e32 v138 /*v394*/, v96 /*v352*/, v3 /*v259*/
	v_add3_u32 v126 /*v382*/, v126 /*v382*/, v127 /*v383*/, v130 /*v386*/
	v_add3_u32 v16 /*v272*/, v16 /*v272*/, v18 /*v274*/, v17 /*v273*/
	v_mul_i32_i24_e32 v18 /*v274*/, v96 /*v352*/, v57 /*v313*/
	s_set_vgpr_msb 1                        ;  msbs: dst=0 src0=1 src1=0 src2=0
	v_mad_i32_i24 v100, v56 /*v312*/, v246, v100
	s_set_vgpr_msb 0x51                     ;  msbs: dst=1 src0=1 src1=0 src2=1
	v_mad_i32_i24 v121 /*v377*/, v107 /*v363*/, v246, v121 /*v377*/
	s_set_vgpr_msb 64                       ;  msbs: dst=1 src0=0 src1=0 src2=0
	v_bfe_u32 v34 /*v290*/, v162, 20, 4
	v_bfe_u32 v37 /*v293*/, v162, 4, 4
	s_set_vgpr_msb 0                        ;  msbs: dst=0 src0=0 src1=0 src2=0
	v_bfe_u32 v228, v144, 24, 4
	s_set_vgpr_msb 64                       ;  msbs: dst=1 src0=0 src1=0 src2=0
	v_bfe_i32 v84 /*v340*/, v160, 16, 8
	v_dual_ashrrev_i32 v91 /*v347*/, 24, v161 :: v_dual_ashrrev_i32 v99 /*v355*/, 24, v142
	v_bfe_i32 v100 /*v356*/, v132, 0, 8
	v_bfe_i32 v102 /*v358*/, v132, 16, 8
	s_set_vgpr_msb 0                        ;  msbs: dst=0 src0=0 src1=0 src2=0
	v_ashrrev_i32_e32 v132, 24, v132
	s_set_vgpr_msb 64                       ;  msbs: dst=1 src0=0 src1=0 src2=0
	v_bfe_i32 v103 /*v359*/, v120, 0, 8
	v_bfe_i32 v105 /*v361*/, v120, 16, 8
	s_set_vgpr_msb 0                        ;  msbs: dst=0 src0=0 src1=0 src2=0
	v_ashrrev_i32_e32 v120, 24, v120
	s_set_vgpr_msb 0x45                     ;  msbs: dst=1 src0=1 src1=1 src2=0
	v_mul_i32_i24_e32 v129 /*v385*/, v82 /*v338*/, v65 /*v321*/
	s_set_vgpr_msb 1                        ;  msbs: dst=0 src0=1 src1=0 src2=0
	v_mul_i32_i24_e32 v247, v109 /*v365*/, v247
	v_mul_i32_i24_e32 v248, v133 /*v389*/, v248
	s_set_vgpr_msb 0x41                     ;  msbs: dst=1 src0=1 src1=0 src2=0
	v_mul_i32_i24_e32 v70 /*v326*/, v97 /*v353*/, v88
	s_set_vgpr_msb 0x44                     ;  msbs: dst=1 src0=0 src1=1 src2=0
	v_mul_i32_i24_e32 v71 /*v327*/, v136, v4 /*v260*/
	s_set_vgpr_msb 0x45                     ;  msbs: dst=1 src0=1 src1=1 src2=0
	v_mul_i32_i24_e32 v127 /*v383*/, v96 /*v352*/, v38 /*v294*/
	s_set_vgpr_msb 20                       ;  msbs: dst=0 src0=0 src1=1 src2=1
	v_add3_u32 v100, v100, v122 /*v378*/, v123 /*v379*/
	s_set_vgpr_msb 0x45                     ;  msbs: dst=1 src0=1 src1=1 src2=0
	v_mul_i32_i24_e32 v122 /*v378*/, v97 /*v353*/, v54 /*v310*/
	s_set_vgpr_msb 0x44                     ;  msbs: dst=1 src0=0 src1=1 src2=0
	v_mul_i32_i24_e32 v123 /*v379*/, v136, v58 /*v314*/
	s_set_vgpr_msb 0x55                     ;  msbs: dst=1 src0=1 src1=1 src2=1
	v_add3_u32 v121 /*v377*/, v121 /*v377*/, v124 /*v380*/, v125 /*v381*/
	v_mul_i32_i24_e32 v124 /*v380*/, v101 /*v357*/, v3 /*v259*/
	s_set_vgpr_msb 1                        ;  msbs: dst=0 src0=1 src1=0 src2=0
	v_mad_i32_i24 v245, v110 /*v366*/, v246, v245
	s_set_vgpr_msb 0x55                     ;  msbs: dst=1 src0=1 src1=1 src2=1
	v_add3_u32 v126 /*v382*/, v126 /*v382*/, v134 /*v390*/, v137 /*v393*/
	v_mul_i32_i24_e32 v134 /*v390*/, v104 /*v360*/, v3 /*v259*/
	s_set_vgpr_msb 0x50                     ;  msbs: dst=1 src0=0 src1=0 src2=1
	v_mad_i32_i24 v138 /*v394*/, v242, v89, v138 /*v394*/
	s_set_vgpr_msb 0x54                     ;  msbs: dst=1 src0=0 src1=1 src2=1
	v_mad_i32_i24 v18 /*v274*/, v242, v55 /*v311*/, v18 /*v274*/
	s_set_vgpr_msb 0                        ;  msbs: dst=0 src0=0 src1=0 src2=0
	v_bfe_i32 v251, v82, 16, 8
	v_cvt_f32_f16_e64 v82, v150
	s_set_vgpr_msb 64                       ;  msbs: dst=1 src0=0 src1=0 src2=0
	v_dual_lshrrev_b32 v15 /*v271*/, 16, v150 :: v_dual_bitop2_b32 v48 /*v304*/, 15, v163 bitop3:0x40
	v_bfe_i32 v88 /*v344*/, v158, 16, 8
	s_set_vgpr_msb 0                        ;  msbs: dst=0 src0=0 src1=0 src2=0
	v_bfe_u32 v150, v144, 16, 4
	s_set_vgpr_msb 64                       ;  msbs: dst=1 src0=0 src1=0 src2=0
	v_bfe_i32 v92 /*v348*/, v161, 16, 8
	v_bfe_i32 v108 /*v364*/, v112, 8, 8
	s_set_vgpr_msb 0x45                     ;  msbs: dst=1 src0=1 src1=1 src2=0
	v_mul_i32_i24_e32 v128 /*v384*/, v84 /*v340*/, v80 /*v336*/
	v_mul_i32_i24_e32 v132 /*v388*/, v87 /*v343*/, v68 /*v324*/
	s_set_vgpr_msb 0x41                     ;  msbs: dst=1 src0=1 src1=0 src2=0
	v_mul_i32_i24_e32 v136 /*v392*/, v91 /*v347*/, v228
	s_set_vgpr_msb 0x45                     ;  msbs: dst=1 src0=1 src1=1 src2=0
	v_mul_i32_i24_e32 v130 /*v386*/, v97 /*v353*/, v34 /*v290*/
	s_set_vgpr_msb 0x44                     ;  msbs: dst=1 src0=0 src1=1 src2=0
	v_mul_i32_i24_e32 v17 /*v273*/, v136, v39 /*v295*/
	s_set_vgpr_msb 0x41                     ;  msbs: dst=1 src0=1 src1=0 src2=0
	v_mul_i32_i24_e32 v125 /*v381*/, v102 /*v358*/, v88
	s_set_vgpr_msb 4                        ;  msbs: dst=0 src0=0 src1=1 src2=0
	v_mul_i32_i24_e32 v246, v132, v4 /*v260*/
	s_set_vgpr_msb 0                        ;  msbs: dst=0 src0=0 src1=0 src2=0
	v_add3_u32 v245, v245, v247, v248
	s_set_vgpr_msb 5                        ;  msbs: dst=0 src0=1 src1=1 src2=0
	v_mul_i32_i24_e32 v247, v101 /*v357*/, v38 /*v294*/
	s_set_vgpr_msb 0x55                     ;  msbs: dst=1 src0=1 src1=1 src2=1
	v_mad_i32_i24 v129 /*v385*/, v74 /*v330*/, v64 /*v320*/, v129 /*v385*/
	s_set_vgpr_msb 0x41                     ;  msbs: dst=1 src0=1 src1=0 src2=0
	v_mul_i32_i24_e32 v137 /*v393*/, v105 /*v361*/, v88
	s_set_vgpr_msb 0x55                     ;  msbs: dst=1 src0=1 src1=1 src2=1
	v_add3_u32 v70 /*v326*/, v138 /*v394*/, v70 /*v326*/, v71 /*v327*/
	s_set_vgpr_msb 0x44                     ;  msbs: dst=1 src0=0 src1=1 src2=0
	v_mul_i32_i24_e32 v71 /*v327*/, v120, v4 /*v260*/
	s_set_vgpr_msb 0x45                     ;  msbs: dst=1 src0=1 src1=1 src2=0
	v_mul_i32_i24_e32 v138 /*v394*/, v104 /*v360*/, v38 /*v294*/
	s_set_vgpr_msb 0x54                     ;  msbs: dst=1 src0=0 src1=1 src2=1
	v_mad_i32_i24 v127 /*v383*/, v242, v37 /*v293*/, v127 /*v383*/
	s_set_vgpr_msb 0x55                     ;  msbs: dst=1 src0=1 src1=1 src2=1
	v_add3_u32 v18 /*v274*/, v18 /*v274*/, v122 /*v378*/, v123 /*v379*/
	v_mul_i32_i24_e32 v122 /*v378*/, v104 /*v360*/, v57 /*v313*/
	s_set_vgpr_msb 0x51                     ;  msbs: dst=1 src0=1 src1=0 src2=1
	v_mad_i32_i24 v124 /*v380*/, v100 /*v356*/, v89, v124 /*v380*/
	v_mad_i32_i24 v134 /*v390*/, v103 /*v359*/, v89, v134 /*v390*/
	s_set_vgpr_msb 64                       ;  msbs: dst=1 src0=0 src1=0 src2=0
	v_bfe_i32 v106 /*v362*/, v112, 0, 8
	v_bfe_i32 v111 /*v367*/, v112, 16, 8
	s_set_vgpr_msb 0                        ;  msbs: dst=0 src0=0 src1=0 src2=0
	v_ashrrev_i32_e32 v112, 24, v112
	s_set_vgpr_msb 64                       ;  msbs: dst=1 src0=0 src1=0 src2=0
	v_bfe_i32 v115 /*v371*/, v104, 8, 8
	s_set_vgpr_msb 0x41                     ;  msbs: dst=1 src0=1 src1=0 src2=0
	v_mul_i32_i24_e32 v131 /*v387*/, v88 /*v344*/, v239
	v_mul_i32_i24_e32 v135 /*v391*/, v92 /*v348*/, v150
	s_set_vgpr_msb 5                        ;  msbs: dst=0 src0=1 src1=1 src2=0
	v_mul_i32_i24_e32 v248, v102 /*v358*/, v34 /*v290*/
	s_set_vgpr_msb 0x55                     ;  msbs: dst=1 src0=1 src1=1 src2=1
	v_add3_u32 v129 /*v385*/, v129 /*v385*/, v132 /*v388*/, v136 /*v392*/
	s_set_vgpr_msb 0x44                     ;  msbs: dst=1 src0=0 src1=1 src2=0
	v_mul_i32_i24_e32 v132 /*v388*/, v132, v39 /*v295*/
	s_set_vgpr_msb 0x55                     ;  msbs: dst=1 src0=1 src1=1 src2=1
	v_mul_i32_i24_e32 v136 /*v392*/, v101 /*v357*/, v57 /*v313*/
	v_mad_i32_i24 v128 /*v384*/, v79 /*v335*/, v72 /*v328*/, v128 /*v384*/
	v_add3_u32 v17 /*v273*/, v127 /*v383*/, v130 /*v386*/, v17 /*v273*/
	v_mul_i32_i24_e32 v127 /*v383*/, v105 /*v361*/, v34 /*v290*/
	s_set_vgpr_msb 0x44                     ;  msbs: dst=1 src0=0 src1=1 src2=0
	v_mul_i32_i24_e32 v130 /*v386*/, v120, v39 /*v295*/
	s_set_vgpr_msb 0x45                     ;  msbs: dst=1 src0=1 src1=1 src2=0
	v_mul_i32_i24_e32 v123 /*v379*/, v105 /*v361*/, v54 /*v310*/
	s_set_vgpr_msb 5                        ;  msbs: dst=0 src0=1 src1=1 src2=0
	v_add3_u32 v246, v124 /*v380*/, v125 /*v381*/, v246
	s_set_vgpr_msb 0x44                     ;  msbs: dst=1 src0=0 src1=1 src2=0
	v_mul_i32_i24_e32 v124 /*v380*/, v120, v58 /*v314*/
	s_set_vgpr_msb 0x45                     ;  msbs: dst=1 src0=1 src1=1 src2=0
	v_mul_i32_i24_e32 v125 /*v381*/, v108 /*v364*/, v3 /*v259*/
	s_set_vgpr_msb 5                        ;  msbs: dst=0 src0=1 src1=1 src2=0
	v_mad_i32_i24 v247, v100 /*v356*/, v37 /*v293*/, v247
	s_set_vgpr_msb 0x55                     ;  msbs: dst=1 src0=1 src1=1 src2=1
	v_add3_u32 v71 /*v327*/, v134 /*v390*/, v137 /*v393*/, v71 /*v327*/
	v_mul_i32_i24_e32 v137 /*v393*/, v108 /*v364*/, v57 /*v313*/
	v_mad_i32_i24 v138 /*v394*/, v103 /*v359*/, v37 /*v293*/, v138 /*v394*/
	v_mad_i32_i24 v122 /*v378*/, v103 /*v359*/, v55 /*v311*/, v122 /*v378*/
	s_set_vgpr_msb 64                       ;  msbs: dst=1 src0=0 src1=0 src2=0
	v_bfe_i32 v113 /*v369*/, v104, 0, 8
	v_bfe_i32 v116 /*v372*/, v104, 16, 8
	s_set_vgpr_msb 0                        ;  msbs: dst=0 src0=0 src1=0 src2=0
	v_ashrrev_i32_e32 v104, 24, v104
	s_set_vgpr_msb 0x55                     ;  msbs: dst=1 src0=1 src1=1 src2=1
	v_add3_u32 v128 /*v384*/, v128 /*v384*/, v131 /*v387*/, v135 /*v391*/
	v_mul_i32_i24_e32 v131 /*v387*/, v102 /*v358*/, v54 /*v310*/
	s_set_vgpr_msb 0x44                     ;  msbs: dst=1 src0=0 src1=1 src2=0
	v_mul_i32_i24_e32 v135 /*v391*/, v132, v58 /*v314*/
	s_set_vgpr_msb 16                       ;  msbs: dst=0 src0=0 src1=0 src2=1
	v_add3_u32 v247, v247, v248, v132 /*v388*/
	s_set_vgpr_msb 1                        ;  msbs: dst=0 src0=1 src1=0 src2=0
	v_mul_i32_i24_e32 v248, v111 /*v367*/, v88
	s_set_vgpr_msb 0x44                     ;  msbs: dst=1 src0=0 src1=1 src2=0
	v_mul_i32_i24_e32 v132 /*v388*/, v112, v4 /*v260*/
	s_set_vgpr_msb 0x55                     ;  msbs: dst=1 src0=1 src1=1 src2=1
	v_mad_i32_i24 v136 /*v392*/, v100 /*v356*/, v55 /*v311*/, v136 /*v392*/
	v_add3_u32 v127 /*v383*/, v138 /*v394*/, v127 /*v383*/, v130 /*v386*/
	v_mul_i32_i24_e32 v130 /*v386*/, v111 /*v367*/, v54 /*v310*/
	s_set_vgpr_msb 0x44                     ;  msbs: dst=1 src0=0 src1=1 src2=0
	v_mul_i32_i24_e32 v138 /*v394*/, v112, v58 /*v314*/
	s_set_vgpr_msb 0x55                     ;  msbs: dst=1 src0=1 src1=1 src2=1
	v_add3_u32 v122 /*v378*/, v122 /*v378*/, v123 /*v379*/, v124 /*v380*/
	v_mul_i32_i24_e32 v123 /*v379*/, v115 /*v371*/, v3 /*v259*/
	s_set_vgpr_msb 0x51                     ;  msbs: dst=1 src0=1 src1=0 src2=1
	v_mad_i32_i24 v125 /*v381*/, v106 /*v362*/, v89, v125 /*v381*/
	s_set_vgpr_msb 0x55                     ;  msbs: dst=1 src0=1 src1=1 src2=1
	v_mad_i32_i24 v137 /*v393*/, v106 /*v362*/, v55 /*v311*/, v137 /*v393*/
	v_add3_u32 v131 /*v387*/, v136 /*v392*/, v131 /*v387*/, v135 /*v391*/
	v_mul_i32_i24_e32 v135 /*v391*/, v108 /*v364*/, v38 /*v294*/
	s_set_vgpr_msb 0x41                     ;  msbs: dst=1 src0=1 src1=0 src2=0
	v_mul_i32_i24_e32 v124 /*v380*/, v116 /*v372*/, v88
	s_set_vgpr_msb 17                       ;  msbs: dst=0 src0=1 src1=0 src2=1
	v_add3_u32 v248, v125 /*v381*/, v248, v132 /*v388*/
	s_set_vgpr_msb 0x44                     ;  msbs: dst=1 src0=0 src1=1 src2=0
	v_mul_i32_i24_e32 v125 /*v381*/, v104, v4 /*v260*/
	s_set_vgpr_msb 0x55                     ;  msbs: dst=1 src0=1 src1=1 src2=1
	v_add3_u32 v130 /*v386*/, v137 /*v393*/, v130 /*v386*/, v138 /*v394*/
	v_mul_i32_i24_e32 v137 /*v393*/, v115 /*v371*/, v57 /*v313*/
	s_set_vgpr_msb 0x51                     ;  msbs: dst=1 src0=1 src1=0 src2=1
	v_mad_i32_i24 v123 /*v379*/, v113 /*v369*/, v89, v123 /*v379*/
	s_set_vgpr_msb 64                       ;  msbs: dst=1 src0=0 src1=0 src2=0
	v_mul_i32_i24_e32 v19 /*v275*/, v88, v251
	s_set_vgpr_msb 0x41                     ;  msbs: dst=1 src0=1 src1=0 src2=0
	v_mul_i32_i24_e32 v20 /*v276*/, v4 /*v260*/, v252
	s_set_vgpr_msb 0x45                     ;  msbs: dst=1 src0=1 src1=1 src2=0
	v_mul_i32_i24_e32 v136 /*v392*/, v111 /*v367*/, v34 /*v290*/
	s_set_vgpr_msb 0x44                     ;  msbs: dst=1 src0=0 src1=1 src2=0
	v_mul_i32_i24_e32 v134 /*v390*/, v112, v39 /*v295*/
	s_set_vgpr_msb 0x55                     ;  msbs: dst=1 src0=1 src1=1 src2=1
	v_mul_i32_i24_e32 v132 /*v388*/, v115 /*v371*/, v38 /*v294*/
	v_mad_i32_i24 v135 /*v391*/, v106 /*v362*/, v37 /*v293*/, v135 /*v391*/
	v_mul_i32_i24_e32 v138 /*v394*/, v116 /*v372*/, v54 /*v310*/
	v_add3_u32 v123 /*v379*/, v123 /*v379*/, v124 /*v380*/, v125 /*v381*/
	s_set_vgpr_msb 0x44                     ;  msbs: dst=1 src0=0 src1=1 src2=0
	v_mul_i32_i24_e32 v124 /*v380*/, v104, v58 /*v314*/
	s_set_vgpr_msb 0x55                     ;  msbs: dst=1 src0=1 src1=1 src2=1
	v_mad_i32_i24 v137 /*v393*/, v113 /*v369*/, v55 /*v311*/, v137 /*v393*/
	v_bfe_i32 v69 /*v325*/, v69 /*v325*/, 0, 8
	v_add3_u32 v134 /*v390*/, v135 /*v391*/, v136 /*v392*/, v134 /*v390*/
	v_mul_i32_i24_e32 v135 /*v391*/, v116 /*v372*/, v34 /*v290*/
	s_set_vgpr_msb 0x44                     ;  msbs: dst=1 src0=0 src1=1 src2=0
	v_mul_i32_i24_e32 v136 /*v392*/, v104, v39 /*v295*/
	s_set_vgpr_msb 0x55                     ;  msbs: dst=1 src0=1 src1=1 src2=1
	v_mul_i32_i24_e32 v125 /*v381*/, v118 /*v374*/, v3 /*v259*/
	v_mad_i32_i24 v132 /*v388*/, v113 /*v369*/, v37 /*v293*/, v132 /*v388*/
	v_add3_u32 v124 /*v380*/, v137 /*v393*/, v138 /*v394*/, v124 /*v380*/
	v_mul_i32_i24_e32 v137 /*v393*/, v118 /*v374*/, v38 /*v294*/
	v_add3_u32 v16 /*v272*/, v16 /*v272*/, v19 /*v275*/, v20 /*v276*/
	s_set_vgpr_msb 0x41                     ;  msbs: dst=1 src0=1 src1=0 src2=0
	v_mul_i32_i24_e32 v20 /*v276*/, v38 /*v294*/, v250
	s_set_vgpr_msb 0x55                     ;  msbs: dst=1 src0=1 src1=1 src2=1
	v_mul_i32_i24_e32 v3 /*v259*/, v69 /*v325*/, v3 /*v259*/
	v_mul_i32_i24_e32 v38 /*v294*/, v69 /*v325*/, v38 /*v294*/
	v_add3_u32 v132 /*v388*/, v132 /*v388*/, v135 /*v391*/, v136 /*v392*/
	s_set_vgpr_msb 0x41                     ;  msbs: dst=1 src0=1 src1=0 src2=0
	v_mul_i32_i24_e32 v135 /*v391*/, v119 /*v375*/, v88
	s_set_vgpr_msb 0x45                     ;  msbs: dst=1 src0=1 src1=1 src2=0
	v_mul_i32_i24_e32 v136 /*v392*/, v120 /*v376*/, v4 /*v260*/
	s_set_vgpr_msb 0x51                     ;  msbs: dst=1 src0=1 src1=0 src2=1
	v_mad_i32_i24 v125 /*v381*/, v117 /*v373*/, v89, v125 /*v381*/
	s_set_vgpr_msb 0x55                     ;  msbs: dst=1 src0=1 src1=1 src2=1
	v_mad_i32_i24 v137 /*v393*/, v117 /*v373*/, v37 /*v293*/, v137 /*v393*/
	s_set_vgpr_msb 0x41                     ;  msbs: dst=1 src0=1 src1=0 src2=0
	v_mul_i32_i24_e32 v19 /*v275*/, v37 /*v293*/, v249
	s_set_vgpr_msb 17                       ;  msbs: dst=0 src0=1 src1=0 src2=1
	v_mad_i32_i24 v89, v77 /*v333*/, v89, v3 /*v259*/
	s_set_vgpr_msb 0x55                     ;  msbs: dst=1 src0=1 src1=1 src2=1
	v_mad_i32_i24 v37 /*v293*/, v77 /*v333*/, v37 /*v293*/, v38 /*v294*/
	v_mul_i32_i24_e32 v38 /*v294*/, v69 /*v325*/, v57 /*v313*/
	s_set_vgpr_msb 1                        ;  msbs: dst=0 src0=1 src1=0 src2=0
	v_mul_i32_i24_e32 v88, v79 /*v335*/, v88
	s_set_vgpr_msb 0x45                     ;  msbs: dst=1 src0=1 src1=1 src2=0
	v_mul_i32_i24_e32 v4 /*v260*/, v74 /*v330*/, v4 /*v260*/
	s_set_vgpr_msb 64                       ;  msbs: dst=1 src0=0 src1=0 src2=0
	v_bfe_i32 v85 /*v341*/, v160, 8, 8
	v_bfe_i32 v89 /*v345*/, v158, 8, 8
	v_bfe_u32 v24 /*v280*/, v144, 20, 4
	s_set_vgpr_msb 0                        ;  msbs: dst=0 src0=0 src1=0 src2=0
	v_bfe_i32 v160, v159, 16, 8
	s_set_vgpr_msb 64                       ;  msbs: dst=1 src0=0 src1=0 src2=0
	v_bfe_u32 v76 /*v332*/, v145, 16, 4
	s_set_vgpr_msb 0                        ;  msbs: dst=0 src0=0 src1=0 src2=0
	v_bfe_i32 v158, v155, 16, 8
	s_set_vgpr_msb 0x55                     ;  msbs: dst=1 src0=1 src1=1 src2=1
	v_mad_i32_i24 v38 /*v294*/, v77 /*v333*/, v55 /*v311*/, v38 /*v294*/
	s_set_vgpr_msb 16                       ;  msbs: dst=0 src0=0 src1=0 src2=1
	v_add3_u32 v88, v89, v88, v4 /*v260*/
	s_set_vgpr_msb 5                        ;  msbs: dst=0 src0=1 src1=1 src2=0
	v_mul_i32_i24_e32 v89, v79 /*v335*/, v34 /*v290*/
	s_set_vgpr_msb 0x45                     ;  msbs: dst=1 src0=1 src1=1 src2=0
	v_mul_i32_i24_e32 v4 /*v260*/, v74 /*v330*/, v39 /*v295*/
	v_mul_i32_i24_e32 v79 /*v335*/, v79 /*v335*/, v54 /*v310*/
	;; [unrolled: 1-line block ×3, first 2 shown]
	s_set_vgpr_msb 0                        ;  msbs: dst=0 src0=0 src1=0 src2=0
	v_dual_lshrrev_b32 v231, 16, v224 :: v_dual_ashrrev_i32 v162, 24, v159
	s_set_vgpr_msb 64                       ;  msbs: dst=1 src0=0 src1=0 src2=0
	v_bfe_u32 v75 /*v331*/, v145, 24, 4
	v_bfe_u32 v7 /*v263*/, v91, 8, 4
	s_set_vgpr_msb 0x55                     ;  msbs: dst=1 src0=1 src1=1 src2=1
	v_add3_u32 v38 /*v294*/, v38 /*v294*/, v79 /*v335*/, v74 /*v330*/
	s_set_vgpr_msb 0x44                     ;  msbs: dst=1 src0=0 src1=1 src2=0
	v_mul_i32_i24_e32 v74 /*v330*/, v160, v24 /*v280*/
	v_mul_i32_i24_e32 v79 /*v335*/, v158, v76 /*v332*/
	v_bfe_u32 v9 /*v265*/, v91, 24, 4
	v_bfe_i32 v98 /*v354*/, v142, 8, 8
	v_bfe_u32 v49 /*v305*/, v163, 8, 4
	v_bfe_u32 v53 /*v309*/, v163, 24, 4
	s_set_vgpr_msb 0x55                     ;  msbs: dst=1 src0=1 src1=1 src2=1
	v_add3_u32 v74 /*v330*/, v128 /*v384*/, v74 /*v330*/, v79 /*v335*/
	s_set_vgpr_msb 64                       ;  msbs: dst=1 src0=0 src1=0 src2=0
	v_mul_i32_i24_e32 v79 /*v335*/, v162, v235
	s_set_vgpr_msb 0x44                     ;  msbs: dst=1 src0=0 src1=1 src2=0
	v_mul_i32_i24_e32 v128 /*v384*/, v156, v75 /*v331*/
	s_set_vgpr_msb 0x55                     ;  msbs: dst=1 src0=1 src1=1 src2=1
	v_mul_i32_i24_e32 v138 /*v394*/, v119 /*v375*/, v34 /*v290*/
	v_add3_u32 v125 /*v381*/, v125 /*v381*/, v135 /*v391*/, v136 /*v392*/
	v_mul_i32_i24_e32 v135 /*v391*/, v120 /*v376*/, v39 /*v295*/
	v_mul_i32_i24_e32 v136 /*v392*/, v118 /*v374*/, v57 /*v313*/
	v_add3_u32 v79 /*v335*/, v129 /*v385*/, v79 /*v335*/, v128 /*v384*/
	v_mul_i32_i24_e32 v128 /*v384*/, v98 /*v354*/, v7 /*v263*/
	v_mul_i32_i24_e32 v129 /*v385*/, v99 /*v355*/, v9 /*v265*/
	s_set_vgpr_msb 64                       ;  msbs: dst=1 src0=0 src1=0 src2=0
	v_bfe_u32 v60 /*v316*/, v157, 8, 4
	v_bfe_u32 v62 /*v318*/, v157, 24, 4
	s_set_vgpr_msb 0x55                     ;  msbs: dst=1 src0=1 src1=1 src2=1
	v_add3_u32 v135 /*v391*/, v137 /*v393*/, v138 /*v394*/, v135 /*v391*/
	v_mul_i32_i24_e32 v137 /*v393*/, v119 /*v375*/, v54 /*v310*/
	v_mul_i32_i24_e32 v138 /*v394*/, v120 /*v376*/, v58 /*v314*/
	v_mad_i32_i24 v136 /*v392*/, v117 /*v373*/, v55 /*v311*/, v136 /*v392*/
	v_add3_u32 v70 /*v326*/, v70 /*v326*/, v129 /*v385*/, v128 /*v384*/
	v_mul_i32_i24_e32 v128 /*v384*/, v98 /*v354*/, v49 /*v305*/
	v_mul_i32_i24_e32 v129 /*v385*/, v99 /*v355*/, v53 /*v309*/
	s_set_vgpr_msb 64                       ;  msbs: dst=1 src0=0 src1=0 src2=0
	v_ashrrev_i32_e32 v139 /*v395*/, 24, v138
	s_set_vgpr_msb 0x55                     ;  msbs: dst=1 src0=1 src1=1 src2=1
	v_add3_u32 v136 /*v392*/, v136 /*v392*/, v137 /*v393*/, v138 /*v394*/
	s_set_vgpr_msb 64                       ;  msbs: dst=1 src0=0 src1=0 src2=0
	v_bfe_i32 v138 /*v394*/, v138, 8, 8
	s_set_vgpr_msb 20                       ;  msbs: dst=0 src0=0 src1=1 src2=1
	v_add3_u32 v100, v100, v20 /*v276*/, v19 /*v275*/
	s_set_vgpr_msb 0x55                     ;  msbs: dst=1 src0=1 src1=1 src2=1
	v_add3_u32 v17 /*v273*/, v17 /*v273*/, v129 /*v385*/, v128 /*v384*/
	v_mul_i32_i24_e32 v128 /*v384*/, v98 /*v354*/, v60 /*v316*/
	v_mul_i32_i24_e32 v129 /*v385*/, v99 /*v355*/, v62 /*v318*/
	s_set_vgpr_msb 64                       ;  msbs: dst=1 src0=0 src1=0 src2=0
	v_ashrrev_i32_e32 v20 /*v276*/, 24, v128
	v_bfe_i32 v19 /*v275*/, v128, 8, 8
	v_bfe_i32 v3 /*v259*/, v122, 8, 8
	v_ashrrev_i32_e32 v77 /*v333*/, 24, v122
	s_set_vgpr_msb 0x55                     ;  msbs: dst=1 src0=1 src1=1 src2=1
	v_add3_u32 v18 /*v274*/, v18 /*v274*/, v129 /*v385*/, v128 /*v384*/
	v_mul_i32_i24_e32 v128 /*v384*/, v138 /*v394*/, v7 /*v263*/
	v_mul_i32_i24_e32 v129 /*v385*/, v139 /*v395*/, v9 /*v265*/
	s_set_vgpr_msb 17                       ;  msbs: dst=0 src0=1 src1=0 src2=1
	v_add3_u32 v89, v37 /*v293*/, v89, v4 /*v260*/
	s_set_vgpr_msb 0x41                     ;  msbs: dst=1 src0=1 src1=0 src2=0
	v_ashrrev_i32_e32 v37 /*v293*/, 24, v116
	v_mul_i32_i24_e32 v55 /*v311*/, v55 /*v311*/, v249
	v_mul_i32_i24_e32 v57 /*v313*/, v57 /*v313*/, v250
	s_set_vgpr_msb 20                       ;  msbs: dst=0 src0=0 src1=1 src2=1
	v_add3_u32 v246, v246, v129 /*v385*/, v128 /*v384*/
	s_set_vgpr_msb 0x45                     ;  msbs: dst=1 src0=1 src1=1 src2=0
	v_mul_i32_i24_e32 v128 /*v384*/, v138 /*v394*/, v49 /*v305*/
	v_mul_i32_i24_e32 v129 /*v385*/, v139 /*v395*/, v53 /*v309*/
	s_set_vgpr_msb 0x44                     ;  msbs: dst=1 src0=0 src1=1 src2=0
	v_mul_i32_i24_e32 v21 /*v277*/, v253, v6 /*v262*/
	s_set_vgpr_msb 0x55                     ;  msbs: dst=1 src0=1 src1=1 src2=1
	v_add3_u32 v55 /*v311*/, v121 /*v377*/, v57 /*v313*/, v55 /*v311*/
	s_set_vgpr_msb 64                       ;  msbs: dst=1 src0=0 src1=0 src2=0
	v_bfe_i32 v57 /*v313*/, v118, 8, 8
	v_ashrrev_i32_e32 v121 /*v377*/, 24, v118
	s_set_vgpr_msb 20                       ;  msbs: dst=0 src0=0 src1=1 src2=1
	v_add3_u32 v247, v247, v129 /*v385*/, v128 /*v384*/
	s_set_vgpr_msb 0x45                     ;  msbs: dst=1 src0=1 src1=1 src2=0
	v_mul_i32_i24_e32 v128 /*v384*/, v138 /*v394*/, v60 /*v316*/
	v_mul_i32_i24_e32 v129 /*v385*/, v139 /*v395*/, v62 /*v318*/
	s_set_vgpr_msb 0x44                     ;  msbs: dst=1 src0=0 src1=1 src2=0
	v_mul_i32_i24_e32 v22 /*v278*/, v254, v7 /*v263*/
	v_bfe_i32 v4 /*v260*/, v116, 8, 8
	s_set_vgpr_msb 1                        ;  msbs: dst=0 src0=1 src1=0 src2=0
	v_mul_i32_i24_e32 v249, v73 /*v329*/, v249
	s_set_vgpr_msb 64                       ;  msbs: dst=1 src0=0 src1=0 src2=0
	v_bfe_u32 v8 /*v264*/, v91, 16, 4
	s_set_vgpr_msb 0x55                     ;  msbs: dst=1 src0=1 src1=1 src2=1
	v_add3_u32 v128 /*v384*/, v131 /*v387*/, v129 /*v385*/, v128 /*v384*/
	v_mul_i32_i24_e32 v129 /*v385*/, v19 /*v275*/, v7 /*v263*/
	v_mul_i32_i24_e32 v131 /*v387*/, v20 /*v276*/, v9 /*v265*/
	v_add3_u32 v16 /*v272*/, v16 /*v272*/, v22 /*v278*/, v21 /*v277*/
	s_set_vgpr_msb 0x41                     ;  msbs: dst=1 src0=1 src1=0 src2=0
	v_mul_i32_i24_e32 v22 /*v278*/, v34 /*v290*/, v251
	v_mul_i32_i24_e32 v34 /*v290*/, v39 /*v295*/, v252
	;; [unrolled: 1-line block ×3, first 2 shown]
	s_set_vgpr_msb 0x55                     ;  msbs: dst=1 src0=1 src1=1 src2=1
	v_add3_u32 v71 /*v327*/, v71 /*v327*/, v131 /*v387*/, v129 /*v385*/
	v_mul_i32_i24_e32 v129 /*v385*/, v19 /*v275*/, v49 /*v305*/
	v_mul_i32_i24_e32 v131 /*v387*/, v20 /*v276*/, v53 /*v309*/
	s_set_vgpr_msb 0x54                     ;  msbs: dst=1 src0=0 src1=1 src2=1
	v_add3_u32 v22 /*v278*/, v100, v22 /*v278*/, v34 /*v290*/
	s_set_vgpr_msb 1                        ;  msbs: dst=0 src0=1 src1=0 src2=0
	v_mul_i32_i24_e32 v100, v54 /*v310*/, v251
	s_set_vgpr_msb 64                       ;  msbs: dst=1 src0=0 src1=0 src2=0
	v_bfe_u32 v52 /*v308*/, v163, 16, 4
	v_bfe_u32 v61 /*v317*/, v157, 16, 4
	s_set_vgpr_msb 0x55                     ;  msbs: dst=1 src0=1 src1=1 src2=1
	v_add3_u32 v127 /*v383*/, v127 /*v383*/, v131 /*v387*/, v129 /*v385*/
	v_mul_i32_i24_e32 v129 /*v385*/, v19 /*v275*/, v60 /*v316*/
	v_mul_i32_i24_e32 v131 /*v387*/, v20 /*v276*/, v62 /*v318*/
	s_set_vgpr_msb 0x51                     ;  msbs: dst=1 src0=1 src1=0 src2=1
	v_add3_u32 v39 /*v295*/, v55 /*v311*/, v100, v39 /*v295*/
	s_set_vgpr_msb 5                        ;  msbs: dst=0 src0=1 src1=1 src2=0
	v_mul_i32_i24_e32 v100, v85 /*v341*/, v7 /*v263*/
	s_set_vgpr_msb 64                       ;  msbs: dst=1 src0=0 src1=0 src2=0
	v_bfe_i32 v21 /*v277*/, v138, 0, 8
	s_set_vgpr_msb 0                        ;  msbs: dst=0 src0=0 src1=0 src2=0
	v_bfe_i32 v138, v138, 16, 8
	s_set_vgpr_msb 0x55                     ;  msbs: dst=1 src0=1 src1=1 src2=1
	v_add3_u32 v122 /*v378*/, v122 /*v378*/, v131 /*v387*/, v129 /*v385*/
	v_mul_i32_i24_e32 v129 /*v385*/, v3 /*v259*/, v7 /*v263*/
	v_mul_i32_i24_e32 v131 /*v387*/, v77 /*v333*/, v9 /*v265*/
	s_set_vgpr_msb 64                       ;  msbs: dst=1 src0=0 src1=0 src2=0
	v_bfe_i32 v34 /*v290*/, v128, 0, 8
	s_set_vgpr_msb 0                        ;  msbs: dst=0 src0=0 src1=0 src2=0
	v_bfe_i32 v128, v128, 16, 8
	s_set_vgpr_msb 64                       ;  msbs: dst=1 src0=0 src1=0 src2=0
	v_bfe_i32 v54 /*v310*/, v122, 0, 8
	s_set_vgpr_msb 20                       ;  msbs: dst=0 src0=0 src1=1 src2=1
	v_bfe_i32 v122, v122, 16, 8
	v_add3_u32 v248, v248, v131 /*v387*/, v129 /*v385*/
	s_set_vgpr_msb 0x45                     ;  msbs: dst=1 src0=1 src1=1 src2=0
	v_mul_i32_i24_e32 v129 /*v385*/, v3 /*v259*/, v49 /*v305*/
	v_mul_i32_i24_e32 v131 /*v387*/, v77 /*v333*/, v53 /*v309*/
	;; [unrolled: 1-line block ×3, first 2 shown]
	s_set_vgpr_msb 0x44                     ;  msbs: dst=1 src0=0 src1=1 src2=0
	v_mul_i32_i24_e32 v23 /*v279*/, v255, v8 /*v264*/
	v_bfe_u32 v46 /*v302*/, v163, 20, 4
	s_set_vgpr_msb 0                        ;  msbs: dst=0 src0=0 src1=0 src2=0
	v_bfe_i32 v161, v161, 8, 8
	s_set_vgpr_msb 0x55                     ;  msbs: dst=1 src0=1 src1=1 src2=1
	v_add3_u32 v129 /*v385*/, v134 /*v390*/, v131 /*v387*/, v129 /*v385*/
	v_mul_i32_i24_e32 v131 /*v387*/, v3 /*v259*/, v60 /*v316*/
	v_mul_i32_i24_e32 v134 /*v390*/, v77 /*v333*/, v62 /*v318*/
	v_add3_u32 v16 /*v272*/, v16 /*v272*/, v23 /*v279*/, v25 /*v281*/
	s_set_vgpr_msb 0x44                     ;  msbs: dst=1 src0=0 src1=1 src2=0
	v_mul_i32_i24_e32 v25 /*v281*/, v254, v60 /*v316*/
	v_mul_i32_i24_e32 v23 /*v279*/, v254, v49 /*v305*/
	s_set_vgpr_msb 0                        ;  msbs: dst=0 src0=0 src1=0 src2=0
	v_bfe_i32 v159, v159, 8, 8
	s_set_vgpr_msb 0x55                     ;  msbs: dst=1 src0=1 src1=1 src2=1
	v_add3_u32 v130 /*v386*/, v130 /*v386*/, v134 /*v390*/, v131 /*v387*/
	v_mul_i32_i24_e32 v131 /*v387*/, v57 /*v313*/, v7 /*v263*/
	v_mul_i32_i24_e32 v134 /*v390*/, v121 /*v377*/, v9 /*v265*/
	s_set_vgpr_msb 1                        ;  msbs: dst=0 src0=1 src1=0 src2=0
	v_mul_i32_i24_e32 v251, v72 /*v328*/, v251
	v_mul_i32_i24_e32 v252, v64 /*v320*/, v252
	s_set_vgpr_msb 64                       ;  msbs: dst=1 src0=0 src1=0 src2=0
	v_bfe_u32 v5 /*v261*/, v91, 20, 4
	v_bfe_u32 v10 /*v266*/, v91, 4, 4
	s_set_vgpr_msb 0x55                     ;  msbs: dst=1 src0=1 src1=1 src2=1
	v_add3_u32 v123 /*v379*/, v123 /*v379*/, v134 /*v390*/, v131 /*v387*/
	v_mul_i32_i24_e32 v131 /*v387*/, v57 /*v313*/, v49 /*v305*/
	v_mul_i32_i24_e32 v134 /*v390*/, v121 /*v377*/, v53 /*v309*/
	s_set_vgpr_msb 64                       ;  msbs: dst=1 src0=0 src1=0 src2=0
	v_bfe_u32 v11 /*v267*/, v91, 12, 4
	s_set_vgpr_msb 1                        ;  msbs: dst=0 src0=1 src1=0 src2=0
	v_dual_lshrrev_b32 v91, 28, v91 :: v_dual_lshrrev_b32 v230, 28, v92
	v_mul_i32_i24_e32 v136, v64 /*v320*/, v136
	s_set_vgpr_msb 0x55                     ;  msbs: dst=1 src0=1 src1=1 src2=1
	v_add3_u32 v131 /*v387*/, v132 /*v388*/, v134 /*v390*/, v131 /*v387*/
	v_mul_i32_i24_e32 v132 /*v388*/, v57 /*v313*/, v60 /*v316*/
	v_mul_i32_i24_e32 v134 /*v390*/, v121 /*v377*/, v62 /*v318*/
	s_set_vgpr_msb 64                       ;  msbs: dst=1 src0=0 src1=0 src2=0
	v_bfe_i32 v1 /*v257*/, v86, 0, 8
	v_bfe_i32 v2 /*v258*/, v86, 8, 8
	s_set_vgpr_msb 0x45                     ;  msbs: dst=1 src0=1 src1=1 src2=0
	v_mul_i32_i24_e32 v116 /*v372*/, v72 /*v328*/, v116 /*v372*/
	s_set_vgpr_msb 1                        ;  msbs: dst=0 src0=1 src1=0 src2=0
	v_mul_i32_i24_e32 v104, v64 /*v320*/, v104
	s_set_vgpr_msb 0x55                     ;  msbs: dst=1 src0=1 src1=1 src2=1
	v_add3_u32 v124 /*v380*/, v124 /*v380*/, v134 /*v390*/, v132 /*v388*/
	v_mul_i32_i24_e32 v132 /*v388*/, v4 /*v260*/, v7 /*v263*/
	v_mul_i32_i24_e32 v7 /*v263*/, v82 /*v338*/, v9 /*v265*/
	;; [unrolled: 1-line block ×3, first 2 shown]
	s_set_vgpr_msb 64                       ;  msbs: dst=1 src0=0 src1=0 src2=0
	v_bfe_i32 v9 /*v265*/, v118, 0, 8
	s_set_vgpr_msb 0                        ;  msbs: dst=0 src0=0 src1=0 src2=0
	v_bfe_i32 v118, v118, 16, 8
	s_set_vgpr_msb 0x45                     ;  msbs: dst=1 src0=1 src1=1 src2=0
	v_mul_i32_i24_e32 v26 /*v282*/, v1 /*v257*/, v10 /*v266*/
	s_set_vgpr_msb 4                        ;  msbs: dst=0 src0=0 src1=1 src2=0
	v_add3_u32 v88, v88, v7 /*v263*/, v100
	s_set_vgpr_msb 5                        ;  msbs: dst=0 src0=1 src1=1 src2=0
	v_mul_i32_i24_e32 v100, v85 /*v341*/, v49 /*v305*/
	s_set_vgpr_msb 0x55                     ;  msbs: dst=1 src0=1 src1=1 src2=1
	v_mul_i32_i24_e32 v7 /*v263*/, v82 /*v338*/, v53 /*v309*/
	v_add3_u32 v125 /*v381*/, v125 /*v381*/, v134 /*v390*/, v132 /*v388*/
	v_mul_i32_i24_e32 v132 /*v388*/, v4 /*v260*/, v49 /*v305*/
	v_mul_i32_i24_e32 v134 /*v390*/, v37 /*v293*/, v53 /*v309*/
	s_set_vgpr_msb 64                       ;  msbs: dst=1 src0=0 src1=0 src2=0
	v_and_b32_e32 v49 /*v305*/, 15, v146
	s_set_vgpr_msb 4                        ;  msbs: dst=0 src0=0 src1=1 src2=0
	v_add3_u32 v89, v89, v7 /*v263*/, v100
	s_set_vgpr_msb 5                        ;  msbs: dst=0 src0=1 src1=1 src2=0
	v_mul_i32_i24_e32 v100, v85 /*v341*/, v60 /*v316*/
	s_set_vgpr_msb 0x55                     ;  msbs: dst=1 src0=1 src1=1 src2=1
	v_mul_i32_i24_e32 v7 /*v263*/, v82 /*v338*/, v62 /*v318*/
	v_add3_u32 v132 /*v388*/, v135 /*v391*/, v134 /*v390*/, v132 /*v388*/
	v_mul_i32_i24_e32 v134 /*v390*/, v4 /*v260*/, v60 /*v316*/
	v_mul_i32_i24_e32 v135 /*v391*/, v37 /*v293*/, v62 /*v318*/
	s_set_vgpr_msb 0x44                     ;  msbs: dst=1 src0=0 src1=1 src2=0
	v_mul_i32_i24_e32 v82 /*v338*/, v122, v61 /*v317*/
	s_set_vgpr_msb 0x45                     ;  msbs: dst=1 src0=1 src1=1 src2=0
	v_add3_u32 v7 /*v263*/, v38 /*v294*/, v7 /*v263*/, v100
	s_set_vgpr_msb 4                        ;  msbs: dst=0 src0=0 src1=1 src2=0
	v_lshrrev_b16 v100, 8, v63 /*v319*/
	s_set_vgpr_msb 0x55                     ;  msbs: dst=1 src0=1 src1=1 src2=1
	v_lshrrev_b16 v38 /*v294*/, 8, v66 /*v322*/
	v_add3_u32 v134 /*v390*/, v136 /*v392*/, v135 /*v391*/, v134 /*v390*/
	s_set_vgpr_msb 64                       ;  msbs: dst=1 src0=0 src1=0 src2=0
	v_bfe_i32 v136 /*v392*/, v142, 0, 8
	s_set_vgpr_msb 0                        ;  msbs: dst=0 src0=0 src1=0 src2=0
	v_bfe_i32 v142, v142, 16, 8
	v_and_b32_e32 v100, 15, v100
	s_set_vgpr_msb 0x44                     ;  msbs: dst=1 src0=0 src1=1 src2=0
	v_and_b32_e32 v38 /*v294*/, 0xffff, v38 /*v294*/
	v_bfe_i32 v135 /*v391*/, v155, 0, 8
	s_set_vgpr_msb 64                       ;  msbs: dst=1 src0=0 src1=0 src2=0
	v_and_b32_e32 v60 /*v316*/, 0xf0f0f0f, v144
	s_set_vgpr_msb 0x44                     ;  msbs: dst=1 src0=0 src1=1 src2=0
	v_mul_i32_i24_e32 v66 /*v322*/, v142, v8 /*v264*/
	s_set_vgpr_msb 0                        ;  msbs: dst=0 src0=0 src1=0 src2=0
	v_and_b32_e32 v100, 0xffff, v100
	s_set_vgpr_msb 0x45                     ;  msbs: dst=1 src0=1 src1=1 src2=0
	v_mul_i32_i24_e32 v55 /*v311*/, v85 /*v341*/, v38 /*v294*/
	s_set_vgpr_msb 0x44                     ;  msbs: dst=1 src0=0 src1=1 src2=0
	v_mul_i32_i24_e32 v85 /*v341*/, v118, v8 /*v264*/
	s_set_vgpr_msb 0                        ;  msbs: dst=0 src0=0 src1=0 src2=0
	v_lshrrev_b32_e32 v144, 4, v144
	s_set_vgpr_msb 0x44                     ;  msbs: dst=1 src0=0 src1=1 src2=0
	v_lshrrev_b16 v60 /*v316*/, 8, v60 /*v316*/
	s_set_vgpr_msb 0                        ;  msbs: dst=0 src0=0 src1=0 src2=0
	v_mul_i32_i24_e32 v250, v100, v250
	s_set_vgpr_msb 0x41                     ;  msbs: dst=1 src0=1 src1=0 src2=0
	v_mul_i32_i24_e32 v58 /*v314*/, v69 /*v325*/, v100
	s_set_vgpr_msb 0x44                     ;  msbs: dst=1 src0=0 src1=1 src2=0
	v_mul_i32_i24_e32 v69 /*v325*/, v128, v8 /*v264*/
	s_set_vgpr_msb 0                        ;  msbs: dst=0 src0=0 src1=0 src2=0
	v_lshrrev_b16 v144, 8, v144
	s_set_vgpr_msb 0x44                     ;  msbs: dst=1 src0=0 src1=1 src2=0
	v_and_b32_e32 v60 /*v316*/, 0xffff, v60 /*v316*/
	s_set_vgpr_msb 0                        ;  msbs: dst=0 src0=0 src1=0 src2=0
	v_add3_u32 v245, v245, v250, v249
	s_set_vgpr_msb 4                        ;  msbs: dst=0 src0=0 src1=1 src2=0
	v_lshrrev_b16 v250, 8, v67 /*v323*/
	s_set_vgpr_msb 0x44                     ;  msbs: dst=1 src0=0 src1=1 src2=0
	v_mul_i32_i24_e32 v67 /*v323*/, v142, v52 /*v308*/
	s_set_vgpr_msb 0                        ;  msbs: dst=0 src0=0 src1=0 src2=0
	v_bfe_i32 v249, v116, 0, 8
	v_bfe_i32 v116, v116, 16, 8
	v_and_b32_e32 v144, 15, v144
	v_and_b32_e32 v250, 15, v250
	s_set_vgpr_msb 1                        ;  msbs: dst=0 src0=1 src1=0 src2=0
	v_mul_i32_i24_e32 v132, v64 /*v320*/, v132
	s_set_vgpr_msb 0x45                     ;  msbs: dst=1 src0=1 src1=1 src2=0
	v_mul_i32_i24_e32 v27 /*v283*/, v2 /*v258*/, v11 /*v267*/
	s_set_vgpr_msb 64                       ;  msbs: dst=1 src0=0 src1=0 src2=0
	v_mul_i32_i24_e32 v29 /*v285*/, v237, v91
	v_and_b32_e32 v137 /*v393*/, 0xffff, v144
	s_set_vgpr_msb 0                        ;  msbs: dst=0 src0=0 src1=0 src2=0
	v_and_b32_e32 v250, 0xffff, v250
	v_add3_u32 v144, v245, v251, v252
	s_set_vgpr_msb 4                        ;  msbs: dst=0 src0=0 src1=1 src2=0
	v_mul_i32_i24_e32 v245, v161, v60 /*v316*/
	s_set_vgpr_msb 0x55                     ;  msbs: dst=1 src0=1 src1=1 src2=1
	v_add3_u32 v16 /*v272*/, v16 /*v272*/, v26 /*v282*/, v27 /*v283*/
	s_set_vgpr_msb 4                        ;  msbs: dst=0 src0=0 src1=1 src2=0
	v_mul_i32_i24_e32 v251, v159, v137 /*v393*/
	s_set_vgpr_msb 0x41                     ;  msbs: dst=1 src0=1 src1=0 src2=0
	v_mul_i32_i24_e32 v63 /*v319*/, v89 /*v345*/, v250
	v_and_b32_e32 v27 /*v283*/, 15, v147
	s_set_vgpr_msb 0                        ;  msbs: dst=0 src0=0 src1=0 src2=0
	v_dual_ashrrev_i32 v208, 24, v83 :: v_dual_bitop2_b32 v240, 15, v92 bitop3:0x40
	s_set_vgpr_msb 64                       ;  msbs: dst=1 src0=0 src1=0 src2=0
	v_bfe_u32 v12 /*v268*/, v92, 8, 4
	s_set_vgpr_msb 0x55                     ;  msbs: dst=1 src0=1 src1=1 src2=1
	v_add3_u32 v55 /*v311*/, v58 /*v314*/, v55 /*v311*/, v63 /*v319*/
	v_mul_i32_i24_e32 v63 /*v319*/, v136 /*v392*/, v6 /*v262*/
	v_mul_i32_i24_e32 v58 /*v314*/, v135 /*v391*/, v78 /*v334*/
	s_set_vgpr_msb 64                       ;  msbs: dst=1 src0=0 src1=0 src2=0
	v_bfe_u32 v13 /*v269*/, v92, 24, 4
	s_set_vgpr_msb 0                        ;  msbs: dst=0 src0=0 src1=0 src2=0
	v_bfe_u32 v241, v92, 16, 4
	s_set_vgpr_msb 1                        ;  msbs: dst=0 src0=1 src1=0 src2=0
	v_add3_u32 v245, v55 /*v311*/, v245, v251
	s_set_vgpr_msb 0x55                     ;  msbs: dst=1 src0=1 src1=1 src2=1
	v_add3_u32 v63 /*v319*/, v70 /*v326*/, v63 /*v319*/, v66 /*v322*/
	v_mul_i32_i24_e32 v66 /*v322*/, v136 /*v392*/, v48 /*v304*/
	s_set_vgpr_msb 0x44                     ;  msbs: dst=1 src0=0 src1=1 src2=0
	v_mul_i32_i24_e32 v70 /*v326*/, v128, v52 /*v308*/
	s_set_vgpr_msb 0x55                     ;  msbs: dst=1 src0=1 src1=1 src2=1
	v_add3_u32 v58 /*v314*/, v126 /*v382*/, v58 /*v314*/, v74 /*v330*/
	s_set_vgpr_msb 0x44                     ;  msbs: dst=1 src0=0 src1=1 src2=0
	v_mul_i32_i24_e32 v74 /*v330*/, v122, v8 /*v264*/
	v_mul_i32_i24_e32 v126 /*v382*/, v116, v61 /*v317*/
	s_set_vgpr_msb 0x55                     ;  msbs: dst=1 src0=1 src1=1 src2=1
	v_add3_u32 v17 /*v273*/, v17 /*v273*/, v66 /*v322*/, v67 /*v323*/
	v_mul_i32_i24_e32 v66 /*v322*/, v136 /*v392*/, v59 /*v315*/
	s_set_vgpr_msb 0x44                     ;  msbs: dst=1 src0=0 src1=1 src2=0
	v_mul_i32_i24_e32 v67 /*v323*/, v142, v61 /*v317*/
	s_set_vgpr_msb 0                        ;  msbs: dst=0 src0=0 src1=0 src2=0
	v_bfe_u32 v229, v92, 4, 4
	v_bfe_u32 v223, v92, 12, 4
	;; [unrolled: 1-line block ×3, first 2 shown]
	v_dual_lshrrev_b32 v92, 16, v80 :: v_dual_bitop2_b32 v204, 15, v93 bitop3:0x40
	s_set_vgpr_msb 0x55                     ;  msbs: dst=1 src0=1 src1=1 src2=1
	v_add3_u32 v18 /*v274*/, v18 /*v274*/, v66 /*v322*/, v67 /*v323*/
	v_mul_i32_i24_e32 v66 /*v322*/, v21 /*v277*/, v6 /*v262*/
	s_set_vgpr_msb 0x44                     ;  msbs: dst=1 src0=0 src1=1 src2=0
	v_mul_i32_i24_e32 v67 /*v323*/, v138, v8 /*v264*/
	s_set_vgpr_msb 0                        ;  msbs: dst=0 src0=0 src1=0 src2=0
	v_lshrrev_b32_e32 v90, 16, v81
	s_set_vgpr_msb 0x45                     ;  msbs: dst=1 src0=1 src1=1 src2=0
	v_mul_i32_i24_e32 v53 /*v309*/, v0 /*v256*/, v53 /*v309*/
	s_set_vgpr_msb 20                       ;  msbs: dst=0 src0=0 src1=1 src2=1
	v_bfe_u32 v206, v93, 8, 4
	v_bfe_u32 v213, v93, 16, 4
	v_add3_u32 v246, v246, v66 /*v322*/, v67 /*v323*/
	s_set_vgpr_msb 0x45                     ;  msbs: dst=1 src0=1 src1=1 src2=0
	v_mul_i32_i24_e32 v66 /*v322*/, v21 /*v277*/, v48 /*v304*/
	s_set_vgpr_msb 0x44                     ;  msbs: dst=1 src0=0 src1=1 src2=0
	v_mul_i32_i24_e32 v67 /*v323*/, v138, v52 /*v308*/
	s_set_vgpr_msb 0                        ;  msbs: dst=0 src0=0 src1=0 src2=0
	v_bfe_u32 v207, v93, 24, 4
	s_set_vgpr_msb 64                       ;  msbs: dst=1 src0=0 src1=0 src2=0
	v_bfe_u32 v42 /*v298*/, v93, 4, 4
	v_bfe_u32 v43 /*v299*/, v93, 12, 4
	v_dual_lshrrev_b32 v45 /*v301*/, 28, v93 :: v_dual_lshrrev_b32 v14 /*v270*/, 16, v151
	s_set_vgpr_msb 20                       ;  msbs: dst=0 src0=0 src1=1 src2=1
	v_add3_u32 v247, v247, v66 /*v322*/, v67 /*v323*/
	s_set_vgpr_msb 0x45                     ;  msbs: dst=1 src0=1 src1=1 src2=0
	v_mul_i32_i24_e32 v66 /*v322*/, v21 /*v277*/, v59 /*v315*/
	s_set_vgpr_msb 0x44                     ;  msbs: dst=1 src0=0 src1=1 src2=0
	v_mul_i32_i24_e32 v67 /*v323*/, v138, v61 /*v317*/
	v_bfe_u32 v47 /*v303*/, v93, 20, 4
	s_set_vgpr_msb 0                        ;  msbs: dst=0 src0=0 src1=0 src2=0
	v_lshrrev_b32_e32 v93, 16, v95
	v_bfe_i32 v155, v155, 8, 8
	s_set_vgpr_msb 0x55                     ;  msbs: dst=1 src0=1 src1=1 src2=1
	v_mul_i32_i24_e32 v20 /*v276*/, v20 /*v276*/, v65 /*v321*/
	v_add3_u32 v66 /*v322*/, v128 /*v384*/, v66 /*v322*/, v67 /*v323*/
	v_mul_i32_i24_e32 v67 /*v323*/, v34 /*v290*/, v6 /*v262*/
	s_set_vgpr_msb 64                       ;  msbs: dst=1 src0=0 src1=0 src2=0
	v_bfe_u32 v128 /*v384*/, v163, 12, 4
	s_set_vgpr_msb 0x55                     ;  msbs: dst=1 src0=1 src1=1 src2=1
	v_mul_i32_i24_e32 v19 /*v275*/, v19 /*v275*/, v38 /*v294*/
	v_mul_i32_i24_e32 v3 /*v259*/, v3 /*v259*/, v38 /*v294*/
	;; [unrolled: 1-line block ×3, first 2 shown]
	v_add3_u32 v67 /*v323*/, v71 /*v327*/, v67 /*v323*/, v69 /*v325*/
	v_mul_i32_i24_e32 v69 /*v325*/, v34 /*v290*/, v48 /*v304*/
	s_set_vgpr_msb 0x44                     ;  msbs: dst=1 src0=0 src1=1 src2=0
	v_mul_i32_i24_e32 v71 /*v327*/, v128, v61 /*v317*/
	s_set_vgpr_msb 0                        ;  msbs: dst=0 src0=0 src1=0 src2=0
	v_bfe_i32 v234, v86, 16, 8
	s_set_vgpr_msb 0x45                     ;  msbs: dst=1 src0=1 src1=1 src2=0
	v_mul_i32_i24_e32 v62 /*v318*/, v0 /*v256*/, v62 /*v318*/
	s_set_vgpr_msb 64                       ;  msbs: dst=1 src0=0 src1=0 src2=0
	v_bfe_u32 v148 /*v404*/, v145, 4, 4
	s_set_vgpr_msb 0x55                     ;  msbs: dst=1 src0=1 src1=1 src2=1
	v_add3_u32 v69 /*v325*/, v127 /*v383*/, v69 /*v325*/, v70 /*v326*/
	v_mul_i32_i24_e32 v70 /*v326*/, v34 /*v290*/, v59 /*v315*/
	s_set_vgpr_msb 64                       ;  msbs: dst=1 src0=0 src1=0 src2=0
	v_bfe_u32 v127 /*v383*/, v163, 4, 4
	v_bfe_u32 v149 /*v405*/, v145, 12, 4
	v_lshrrev_b32_e32 v150 /*v406*/, 28, v145
	v_bfe_u32 v151 /*v407*/, v145, 20, 4
	s_set_vgpr_msb 0x55                     ;  msbs: dst=1 src0=1 src1=1 src2=1
	v_add3_u32 v70 /*v326*/, v122 /*v378*/, v70 /*v326*/, v71 /*v327*/
	v_mul_i32_i24_e32 v71 /*v327*/, v54 /*v310*/, v6 /*v262*/
	s_set_vgpr_msb 0x44                     ;  msbs: dst=1 src0=0 src1=1 src2=0
	v_mul_i32_i24_e32 v122 /*v378*/, v118, v52 /*v308*/
	v_mul_i32_i24_e32 v28 /*v284*/, v234, v5 /*v261*/
	s_set_vgpr_msb 0x45                     ;  msbs: dst=1 src0=1 src1=1 src2=0
	v_mul_i32_i24_e32 v0 /*v256*/, v0 /*v256*/, v65 /*v321*/
	s_set_vgpr_msb 64                       ;  msbs: dst=1 src0=0 src1=0 src2=0
	v_bfe_u32 v26 /*v282*/, v147, 8, 4
	s_set_vgpr_msb 20                       ;  msbs: dst=0 src0=0 src1=1 src2=1
	v_add3_u32 v248, v248, v71 /*v327*/, v74 /*v330*/
	s_set_vgpr_msb 0x45                     ;  msbs: dst=1 src0=1 src1=1 src2=0
	v_mul_i32_i24_e32 v71 /*v327*/, v54 /*v310*/, v48 /*v304*/
	s_set_vgpr_msb 0x44                     ;  msbs: dst=1 src0=0 src1=1 src2=0
	v_mul_i32_i24_e32 v74 /*v330*/, v122, v52 /*v308*/
	s_set_vgpr_msb 4                        ;  msbs: dst=0 src0=0 src1=1 src2=0
	v_mul_i32_i24_e32 v142, v142, v80 /*v336*/
	v_mul_i32_i24_e32 v138, v138, v80 /*v336*/
	;; [unrolled: 1-line block ×4, first 2 shown]
	s_set_vgpr_msb 0x55                     ;  msbs: dst=1 src0=1 src1=1 src2=1
	v_add3_u32 v71 /*v327*/, v129 /*v385*/, v71 /*v327*/, v74 /*v330*/
	v_mul_i32_i24_e32 v74 /*v330*/, v54 /*v310*/, v59 /*v315*/
	s_set_vgpr_msb 64                       ;  msbs: dst=1 src0=0 src1=0 src2=0
	v_lshrrev_b32_e32 v129 /*v385*/, 28, v163
	s_set_vgpr_msb 4                        ;  msbs: dst=0 src0=0 src1=1 src2=0
	v_mul_i32_i24_e32 v163, v100, v96 /*v352*/
	s_set_vgpr_msb 0x44                     ;  msbs: dst=1 src0=0 src1=1 src2=0
	v_mul_i32_i24_e32 v96 /*v352*/, v100, v104 /*v360*/
	v_mul_i32_i24_e32 v104 /*v360*/, v100, v115 /*v371*/
	s_set_vgpr_msb 0x55                     ;  msbs: dst=1 src0=1 src1=1 src2=1
	v_add3_u32 v74 /*v330*/, v130 /*v386*/, v74 /*v330*/, v82 /*v338*/
	v_mul_i32_i24_e32 v82 /*v338*/, v9 /*v265*/, v6 /*v262*/
	s_set_vgpr_msb 1                        ;  msbs: dst=0 src0=1 src1=0 src2=0
	v_mad_i32_i24 v242, v73 /*v329*/, v242, v163
	s_set_vgpr_msb 4                        ;  msbs: dst=0 src0=0 src1=1 src2=0
	v_mul_i32_i24_e32 v163, v253, v48 /*v304*/
	s_set_vgpr_msb 0x55                     ;  msbs: dst=1 src0=1 src1=1 src2=1
	v_mad_i32_i24 v96 /*v352*/, v73 /*v329*/, v103 /*v359*/, v96 /*v352*/
	v_mad_i32_i24 v104 /*v360*/, v73 /*v329*/, v113 /*v369*/, v104 /*v360*/
	v_add3_u32 v82 /*v338*/, v123 /*v379*/, v82 /*v338*/, v85 /*v341*/
	v_mul_i32_i24_e32 v85 /*v341*/, v9 /*v265*/, v48 /*v304*/
	s_set_vgpr_msb 0x44                     ;  msbs: dst=1 src0=0 src1=1 src2=0
	v_mul_i32_i24_e32 v123 /*v379*/, v118, v61 /*v317*/
	s_set_vgpr_msb 0x45                     ;  msbs: dst=1 src0=1 src1=1 src2=0
	v_add3_u32 v22 /*v278*/, v22 /*v278*/, v23 /*v279*/, v163
	s_set_vgpr_msb 0x44                     ;  msbs: dst=1 src0=0 src1=1 src2=0
	v_mul_i32_i24_e32 v23 /*v279*/, v253, v59 /*v315*/
	s_set_vgpr_msb 5                        ;  msbs: dst=0 src0=1 src1=1 src2=0
	v_add3_u32 v104, v104 /*v360*/, v116 /*v372*/, v104
	s_set_vgpr_msb 0x55                     ;  msbs: dst=1 src0=1 src1=1 src2=1
	v_add3_u32 v122 /*v378*/, v131 /*v387*/, v85 /*v341*/, v122 /*v378*/
	v_mul_i32_i24_e32 v85 /*v341*/, v9 /*v265*/, v59 /*v315*/
	s_set_vgpr_msb 0                        ;  msbs: dst=0 src0=0 src1=0 src2=0
	v_bfe_u32 v163, v149, 16, 4
	s_set_vgpr_msb 0x55                     ;  msbs: dst=1 src0=1 src1=1 src2=1
	v_add3_u32 v23 /*v279*/, v39 /*v295*/, v25 /*v281*/, v23 /*v279*/
	v_mul_i32_i24_e32 v39 /*v295*/, v84 /*v340*/, v52 /*v308*/
	s_set_vgpr_msb 64                       ;  msbs: dst=1 src0=0 src1=0 src2=0
	v_bfe_u32 v25 /*v281*/, v149, 24, 4
	s_set_vgpr_msb 0x55                     ;  msbs: dst=1 src0=1 src1=1 src2=1
	v_add3_u32 v123 /*v379*/, v124 /*v380*/, v85 /*v341*/, v123 /*v379*/
	s_set_vgpr_msb 0x44                     ;  msbs: dst=1 src0=0 src1=1 src2=0
	v_mul_i32_i24_e32 v85 /*v341*/, v249, v6 /*v262*/
	v_mul_i32_i24_e32 v124 /*v380*/, v116, v8 /*v264*/
	s_set_vgpr_msb 0x45                     ;  msbs: dst=1 src0=1 src1=1 src2=0
	v_mul_i32_i24_e32 v8 /*v264*/, v84 /*v340*/, v8 /*v264*/
	v_mul_i32_i24_e32 v84 /*v340*/, v84 /*v340*/, v61 /*v317*/
	;; [unrolled: 1-line block ×3, first 2 shown]
	s_set_vgpr_msb 0x44                     ;  msbs: dst=1 src0=0 src1=1 src2=0
	v_mul_i32_i24_e32 v61 /*v317*/, v255, v61 /*v317*/
	s_set_vgpr_msb 0x55                     ;  msbs: dst=1 src0=1 src1=1 src2=1
	v_add3_u32 v124 /*v380*/, v125 /*v381*/, v85 /*v341*/, v124 /*v380*/
	s_set_vgpr_msb 0x44                     ;  msbs: dst=1 src0=0 src1=1 src2=0
	v_mul_i32_i24_e32 v85 /*v341*/, v249, v48 /*v304*/
	v_mul_i32_i24_e32 v125 /*v381*/, v116, v52 /*v308*/
	s_set_vgpr_msb 20                       ;  msbs: dst=0 src0=0 src1=1 src2=1
	v_add3_u32 v88, v88, v6 /*v262*/, v8 /*v264*/
	s_set_vgpr_msb 0x45                     ;  msbs: dst=1 src0=1 src1=1 src2=0
	v_mul_i32_i24_e32 v8 /*v264*/, v86 /*v342*/, v48 /*v304*/
	s_set_vgpr_msb 0x44                     ;  msbs: dst=1 src0=0 src1=1 src2=0
	v_bfe_u32 v6 /*v262*/, v157, 20, 4
	v_mul_i32_i24_e32 v52 /*v308*/, v255, v52 /*v308*/
	s_set_vgpr_msb 0x55                     ;  msbs: dst=1 src0=1 src1=1 src2=1
	v_add3_u32 v125 /*v381*/, v132 /*v388*/, v85 /*v341*/, v125 /*v381*/
	s_set_vgpr_msb 0x44                     ;  msbs: dst=1 src0=0 src1=1 src2=0
	v_mul_i32_i24_e32 v85 /*v341*/, v249, v59 /*v315*/
	s_set_vgpr_msb 0x45                     ;  msbs: dst=1 src0=1 src1=1 src2=0
	v_mul_i32_i24_e32 v59 /*v315*/, v86 /*v342*/, v59 /*v315*/
	s_set_vgpr_msb 20                       ;  msbs: dst=0 src0=0 src1=1 src2=1
	v_add3_u32 v89, v89, v8 /*v264*/, v39 /*v295*/
	s_set_vgpr_msb 64                       ;  msbs: dst=1 src0=0 src1=0 src2=0
	v_bfe_u32 v8 /*v264*/, v157, 4, 4
	v_bfe_u32 v39 /*v295*/, v157, 12, 4
	s_set_vgpr_msb 0                        ;  msbs: dst=0 src0=0 src1=0 src2=0
	v_lshrrev_b32_e32 v157, 28, v157
	s_set_vgpr_msb 0x55                     ;  msbs: dst=1 src0=1 src1=1 src2=1
	v_add3_u32 v7 /*v263*/, v7 /*v263*/, v59 /*v315*/, v84 /*v340*/
	s_set_vgpr_msb 64                       ;  msbs: dst=1 src0=0 src1=0 src2=0
	v_bfe_i32 v59 /*v315*/, v140, 0, 8
	v_ashrrev_i32_e32 v84 /*v340*/, 24, v140
	s_set_vgpr_msb 0x55                     ;  msbs: dst=1 src0=1 src1=1 src2=1
	v_add3_u32 v126 /*v382*/, v134 /*v390*/, v85 /*v341*/, v126 /*v382*/
	s_set_vgpr_msb 0x44                     ;  msbs: dst=1 src0=0 src1=1 src2=0
	v_mul_i32_i24_e32 v85 /*v341*/, v100, v101 /*v357*/
	s_set_vgpr_msb 0x45                     ;  msbs: dst=1 src0=1 src1=1 src2=0
	v_mul_i32_i24_e32 v86 /*v342*/, v72 /*v328*/, v102 /*v358*/
	s_set_vgpr_msb 5                        ;  msbs: dst=0 src0=1 src1=1 src2=0
	v_mul_i32_i24_e32 v251, v59 /*v315*/, v10 /*v266*/
	s_set_vgpr_msb 1                        ;  msbs: dst=0 src0=1 src1=0 src2=0
	v_mul_i32_i24_e32 v252, v84 /*v340*/, v91
	s_set_vgpr_msb 0x55                     ;  msbs: dst=1 src0=1 src1=1 src2=1
	v_mul_i32_i24_e32 v55 /*v311*/, v84 /*v340*/, v129 /*v385*/
	v_mad_i32_i24 v100 /*v356*/, v73 /*v329*/, v100 /*v356*/, v85 /*v341*/
	s_set_vgpr_msb 0x44                     ;  msbs: dst=1 src0=0 src1=1 src2=0
	v_mul_i32_i24_e32 v101 /*v357*/, v100, v108 /*v364*/
	s_set_vgpr_msb 4                        ;  msbs: dst=0 src0=0 src1=1 src2=0
	v_mul_i32_i24_e32 v100, v100, v118 /*v374*/
	s_set_vgpr_msb 1                        ;  msbs: dst=0 src0=1 src1=0 src2=0
	v_add3_u32 v251, v63 /*v319*/, v252, v251
	s_set_vgpr_msb 5                        ;  msbs: dst=0 src0=1 src1=1 src2=0
	v_mul_i32_i24_e32 v252, v59 /*v315*/, v127 /*v383*/
	s_set_vgpr_msb 0x45                     ;  msbs: dst=1 src0=1 src1=1 src2=0
	v_mul_i32_i24_e32 v63 /*v319*/, v72 /*v328*/, v97 /*v353*/
	s_set_vgpr_msb 5                        ;  msbs: dst=0 src0=1 src1=1 src2=0
	v_add3_u32 v132, v100 /*v356*/, v86 /*v342*/, v132
	s_set_vgpr_msb 0x55                     ;  msbs: dst=1 src0=1 src1=1 src2=1
	v_mad_i32_i24 v101 /*v357*/, v73 /*v329*/, v106 /*v362*/, v101 /*v357*/
	s_set_vgpr_msb 0x45                     ;  msbs: dst=1 src0=1 src1=1 src2=0
	v_mad_i32_i24 v73 /*v329*/, v73 /*v329*/, v117 /*v373*/, v100
	s_set_vgpr_msb 5                        ;  msbs: dst=0 src0=1 src1=1 src2=0
	v_add3_u32 v252, v17 /*v273*/, v55 /*v311*/, v252
	s_set_vgpr_msb 0x45                     ;  msbs: dst=1 src0=1 src1=1 src2=0
	v_mul_i32_i24_e32 v17 /*v273*/, v59 /*v315*/, v8 /*v264*/
	s_set_vgpr_msb 0x41                     ;  msbs: dst=1 src0=1 src1=0 src2=0
	v_mul_i32_i24_e32 v55 /*v311*/, v84 /*v340*/, v157
	s_set_vgpr_msb 4                        ;  msbs: dst=0 src0=0 src1=1 src2=0
	v_add3_u32 v136, v242, v63 /*v319*/, v136
	s_set_vgpr_msb 0                        ;  msbs: dst=0 src0=0 src1=0 src2=0
	v_and_b32_e32 v100, 15, v149
	s_set_vgpr_msb 0x45                     ;  msbs: dst=1 src0=1 src1=1 src2=0
	v_mul_i32_i24_e32 v100 /*v356*/, v72 /*v328*/, v105 /*v361*/
	s_set_vgpr_msb 1                        ;  msbs: dst=0 src0=1 src1=0 src2=0
	v_mul_i32_i24_e32 v120, v64 /*v320*/, v120
	s_set_vgpr_msb 0x55                     ;  msbs: dst=1 src0=1 src1=1 src2=1
	v_add3_u32 v17 /*v273*/, v18 /*v274*/, v55 /*v311*/, v17 /*v273*/
	s_set_vgpr_msb 64                       ;  msbs: dst=1 src0=0 src1=0 src2=0
	v_bfe_i32 v18 /*v274*/, v134, 0, 8
	v_ashrrev_i32_e32 v55 /*v311*/, 24, v134
	s_set_vgpr_msb 0x45                     ;  msbs: dst=1 src0=1 src1=1 src2=0
	v_mul_i32_i24_e32 v102 /*v358*/, v72 /*v328*/, v111 /*v367*/
	s_set_vgpr_msb 5                        ;  msbs: dst=0 src0=1 src1=1 src2=0
	v_add3_u32 v120, v96 /*v352*/, v100 /*v356*/, v120
	s_set_vgpr_msb 1                        ;  msbs: dst=0 src0=1 src1=0 src2=0
	v_mul_i32_i24_e32 v112, v64 /*v320*/, v112
	s_set_vgpr_msb 5                        ;  msbs: dst=0 src0=1 src1=1 src2=0
	v_mul_i32_i24_e32 v242, v18 /*v274*/, v10 /*v266*/
	s_set_vgpr_msb 0x41                     ;  msbs: dst=1 src0=1 src1=0 src2=0
	v_mul_i32_i24_e32 v63 /*v319*/, v55 /*v311*/, v91
	v_ashrrev_i32_e32 v111 /*v367*/, 24, v102
	s_set_vgpr_msb 0x55                     ;  msbs: dst=1 src0=1 src1=1 src2=1
	v_add3_u32 v22 /*v278*/, v22 /*v278*/, v52 /*v308*/, v53 /*v309*/
	s_set_vgpr_msb 5                        ;  msbs: dst=0 src0=1 src1=1 src2=0
	v_add3_u32 v112, v101 /*v357*/, v102 /*v358*/, v112
	s_set_vgpr_msb 64                       ;  msbs: dst=1 src0=0 src1=0 src2=0
	v_and_b32_e32 v53 /*v309*/, 0xf0f0f0f, v145
	s_set_vgpr_msb 4                        ;  msbs: dst=0 src0=0 src1=1 src2=0
	v_add3_u32 v242, v246, v63 /*v319*/, v242
	s_set_vgpr_msb 5                        ;  msbs: dst=0 src0=1 src1=1 src2=0
	v_mul_i32_i24_e32 v246, v18 /*v274*/, v127 /*v383*/
	s_set_vgpr_msb 0x45                     ;  msbs: dst=1 src0=1 src1=1 src2=0
	v_mul_i32_i24_e32 v63 /*v319*/, v55 /*v311*/, v129 /*v385*/
	s_set_vgpr_msb 0x41                     ;  msbs: dst=1 src0=1 src1=0 src2=0
	v_mul_i32_i24_e32 v116 /*v372*/, v111 /*v367*/, v91
	s_set_vgpr_msb 20                       ;  msbs: dst=0 src0=0 src1=1 src2=1
	v_add3_u32 v120, v120, v20 /*v276*/, v19 /*v275*/
	s_set_vgpr_msb 0x45                     ;  msbs: dst=1 src0=1 src1=1 src2=0
	v_mul_i32_i24_e32 v72 /*v328*/, v72 /*v328*/, v119 /*v375*/
	v_mul_i32_i24_e32 v64 /*v320*/, v64 /*v320*/, v120 /*v376*/
	s_set_vgpr_msb 4                        ;  msbs: dst=0 src0=0 src1=1 src2=0
	v_add3_u32 v246, v247, v63 /*v319*/, v246
	s_set_vgpr_msb 5                        ;  msbs: dst=0 src0=1 src1=1 src2=0
	v_mul_i32_i24_e32 v247, v18 /*v274*/, v8 /*v264*/
	s_set_vgpr_msb 0x41                     ;  msbs: dst=1 src0=1 src1=0 src2=0
	v_mul_i32_i24_e32 v63 /*v319*/, v55 /*v311*/, v157
	s_set_vgpr_msb 5                        ;  msbs: dst=0 src0=1 src1=1 src2=0
	v_mul_i32_i24_e32 v145, v2 /*v258*/, v128 /*v384*/
	s_set_vgpr_msb 0x55                     ;  msbs: dst=1 src0=1 src1=1 src2=1
	v_add3_u32 v64 /*v320*/, v73 /*v329*/, v72 /*v328*/, v64 /*v320*/
	s_set_vgpr_msb 64                       ;  msbs: dst=1 src0=0 src1=0 src2=0
	v_lshrrev_b32_e32 v72 /*v328*/, 28, v146
	s_set_vgpr_msb 0x55                     ;  msbs: dst=1 src0=1 src1=1 src2=1
	v_add3_u32 v23 /*v279*/, v23 /*v279*/, v61 /*v317*/, v62 /*v318*/
	s_set_vgpr_msb 5                        ;  msbs: dst=0 src0=1 src1=1 src2=0
	v_add3_u32 v247, v66 /*v322*/, v63 /*v319*/, v247
	s_set_vgpr_msb 64                       ;  msbs: dst=1 src0=0 src1=0 src2=0
	v_bfe_i32 v63 /*v319*/, v124, 0, 8
	v_ashrrev_i32_e32 v66 /*v322*/, 24, v124
	s_set_vgpr_msb 4                        ;  msbs: dst=0 src0=0 src1=1 src2=0
	v_mul_i32_i24_e32 v255, v255, v80 /*v336*/
	s_set_vgpr_msb 64                       ;  msbs: dst=1 src0=0 src1=0 src2=0
	v_bfe_u32 v117 /*v373*/, v149, 8, 4
	v_bfe_u32 v85 /*v341*/, v149, 4, 4
	s_set_vgpr_msb 0x45                     ;  msbs: dst=1 src0=1 src1=1 src2=0
	v_mul_i32_i24_e32 v86 /*v342*/, v63 /*v319*/, v10 /*v266*/
	s_set_vgpr_msb 0x41                     ;  msbs: dst=1 src0=1 src1=0 src2=0
	v_mul_i32_i24_e32 v97 /*v353*/, v66 /*v322*/, v91
	s_set_vgpr_msb 64                       ;  msbs: dst=1 src0=0 src1=0 src2=0
	v_bfe_u32 v52 /*v308*/, v147, 16, 4
	v_bfe_u32 v131 /*v387*/, v149, 20, 4
	;; [unrolled: 1-line block ×4, first 2 shown]
	s_set_vgpr_msb 0x55                     ;  msbs: dst=1 src0=1 src1=1 src2=1
	v_add3_u32 v67 /*v323*/, v67 /*v323*/, v97 /*v353*/, v86 /*v342*/
	v_mul_i32_i24_e32 v86 /*v342*/, v63 /*v319*/, v127 /*v383*/
	v_mul_i32_i24_e32 v97 /*v353*/, v66 /*v322*/, v129 /*v385*/
	s_set_vgpr_msb 64                       ;  msbs: dst=1 src0=0 src1=0 src2=0
	v_bfe_u32 v130 /*v386*/, v148, 8, 4
	v_bfe_u32 v115 /*v371*/, v148, 24, 4
	;; [unrolled: 1-line block ×3, first 2 shown]
	s_set_vgpr_msb 4                        ;  msbs: dst=0 src0=0 src1=1 src2=0
	v_mul_i32_i24_e32 v118, v118, v80 /*v336*/
	s_set_vgpr_msb 0x55                     ;  msbs: dst=1 src0=1 src1=1 src2=1
	v_add3_u32 v69 /*v325*/, v69 /*v325*/, v97 /*v353*/, v86 /*v342*/
	v_mul_i32_i24_e32 v86 /*v342*/, v63 /*v319*/, v8 /*v264*/
	s_set_vgpr_msb 0x41                     ;  msbs: dst=1 src0=1 src1=0 src2=0
	v_mul_i32_i24_e32 v97 /*v353*/, v66 /*v322*/, v157
	s_set_vgpr_msb 4                        ;  msbs: dst=0 src0=0 src1=1 src2=0
	v_mul_i32_i24_e32 v116, v116, v80 /*v336*/
	s_set_vgpr_msb 64                       ;  msbs: dst=1 src0=0 src1=0 src2=0
	v_mul_i32_i24_e32 v30 /*v286*/, v227, v240
	s_set_vgpr_msb 0x44                     ;  msbs: dst=1 src0=0 src1=1 src2=0
	v_mul_i32_i24_e32 v31 /*v287*/, v226, v12 /*v268*/
	v_bfe_i32 v80 /*v336*/, v135, 0, 8
	s_set_vgpr_msb 0x55                     ;  msbs: dst=1 src0=1 src1=1 src2=1
	v_add3_u32 v70 /*v326*/, v70 /*v326*/, v97 /*v353*/, v86 /*v342*/
	s_set_vgpr_msb 64                       ;  msbs: dst=1 src0=0 src1=0 src2=0
	v_bfe_i32 v86 /*v342*/, v114, 0, 8
	v_ashrrev_i32_e32 v97 /*v353*/, 24, v114
	v_bfe_i32 v152 /*v408*/, v127, 8, 8
	s_set_vgpr_msb 0                        ;  msbs: dst=0 src0=0 src1=0 src2=0
	v_bfe_i32 v215, v87, 0, 8
	v_bfe_i32 v205, v87, 8, 8
	s_set_vgpr_msb 0x45                     ;  msbs: dst=1 src0=1 src1=1 src2=0
	v_mul_i32_i24_e32 v96 /*v352*/, v86 /*v342*/, v10 /*v266*/
	s_set_vgpr_msb 0x41                     ;  msbs: dst=1 src0=1 src1=0 src2=0
	v_mul_i32_i24_e32 v100 /*v356*/, v97 /*v353*/, v91
	s_set_vgpr_msb 0                        ;  msbs: dst=0 src0=0 src1=0 src2=0
	v_bfe_i32 v216, v87, 16, 8
	v_dual_ashrrev_i32 v217, 24, v87 :: v_dual_ashrrev_i32 v220, 24, v85
	v_cvt_f32_f16_e32 v87, v81
	s_set_vgpr_msb 20                       ;  msbs: dst=0 src0=0 src1=1 src2=1
	v_add3_u32 v248, v248, v100 /*v356*/, v96 /*v352*/
	s_set_vgpr_msb 0x45                     ;  msbs: dst=1 src0=1 src1=1 src2=0
	v_mul_i32_i24_e32 v96 /*v352*/, v86 /*v342*/, v127 /*v383*/
	v_mul_i32_i24_e32 v100 /*v356*/, v97 /*v353*/, v129 /*v385*/
	s_set_vgpr_msb 0                        ;  msbs: dst=0 src0=0 src1=0 src2=0
	v_cvt_f32_f16_e32 v81, v95
	v_lshrrev_b32_e32 v95, 16, v94
	v_cvt_f32_f16_e32 v86, v80
	v_cvt_f32_f16_e32 v80, v94
	s_set_vgpr_msb 0x55                     ;  msbs: dst=1 src0=1 src1=1 src2=1
	v_add3_u32 v71 /*v327*/, v71 /*v327*/, v100 /*v356*/, v96 /*v352*/
	v_mul_i32_i24_e32 v96 /*v352*/, v86 /*v342*/, v8 /*v264*/
	s_set_vgpr_msb 0x41                     ;  msbs: dst=1 src0=1 src1=0 src2=0
	v_mul_i32_i24_e32 v100 /*v356*/, v97 /*v353*/, v157
	s_set_vgpr_msb 0                        ;  msbs: dst=0 src0=0 src1=0 src2=0
	v_lshrrev_b32_e32 v94, 16, v225
	s_set_vgpr_msb 64                       ;  msbs: dst=1 src0=0 src1=0 src2=0
	v_bfe_i32 v140 /*v396*/, v125, 16, 8
	v_dual_lshrrev_b32 v113 /*v369*/, 28, v148 :: v_dual_bitop2_b32 v108 /*v364*/, 15, v148 bitop3:0x40
	s_set_vgpr_msb 0x55                     ;  msbs: dst=1 src0=1 src1=1 src2=1
	v_add3_u32 v74 /*v330*/, v74 /*v330*/, v100 /*v356*/, v96 /*v352*/
	s_set_vgpr_msb 64                       ;  msbs: dst=1 src0=0 src1=0 src2=0
	v_bfe_i32 v96 /*v352*/, v106, 0, 8
	v_ashrrev_i32_e32 v100 /*v356*/, 24, v106
	v_bfe_u32 v118 /*v374*/, v148, 16, 4
	s_set_vgpr_msb 0x44                     ;  msbs: dst=1 src0=0 src1=1 src2=0
	v_mul_i32_i24_e32 v32 /*v288*/, v221, v13 /*v269*/
	v_bfe_i32 v153 /*v409*/, v109, 8, 8
	s_set_vgpr_msb 0x45                     ;  msbs: dst=1 src0=1 src1=1 src2=0
	v_mul_i32_i24_e32 v101 /*v357*/, v96 /*v352*/, v10 /*v266*/
	s_set_vgpr_msb 0x41                     ;  msbs: dst=1 src0=1 src1=0 src2=0
	v_mul_i32_i24_e32 v102 /*v358*/, v100 /*v356*/, v91
	v_mul_i32_i24_e32 v105 /*v361*/, v100 /*v356*/, v157
	s_set_vgpr_msb 1                        ;  msbs: dst=0 src0=1 src1=0 src2=0
	v_mul_i32_i24_e32 v91, v87 /*v343*/, v91
	s_set_vgpr_msb 64                       ;  msbs: dst=1 src0=0 src1=0 src2=0
	v_mul_i32_i24_e32 v33 /*v289*/, v214, v241
	v_bfe_i32 v143 /*v399*/, v108, 0, 8
	s_set_vgpr_msb 0x55                     ;  msbs: dst=1 src0=1 src1=1 src2=1
	v_add3_u32 v82 /*v338*/, v82 /*v338*/, v102 /*v358*/, v101 /*v357*/
	v_mul_i32_i24_e32 v101 /*v357*/, v96 /*v352*/, v127 /*v383*/
	v_mul_i32_i24_e32 v102 /*v358*/, v100 /*v356*/, v129 /*v385*/
	s_set_vgpr_msb 64                       ;  msbs: dst=1 src0=0 src1=0 src2=0
	v_bfe_i32 v145 /*v401*/, v110, 8, 8
	v_bfe_i32 v146 /*v402*/, v110, 16, 8
	v_dual_ashrrev_i32 v155 /*v411*/, 24, v110 :: v_dual_ashrrev_i32 v156 /*v412*/, 24, v108
	s_set_vgpr_msb 0x55                     ;  msbs: dst=1 src0=1 src1=1 src2=1
	v_add3_u32 v101 /*v357*/, v122 /*v378*/, v102 /*v358*/, v101 /*v357*/
	v_mul_i32_i24_e32 v102 /*v358*/, v96 /*v352*/, v8 /*v264*/
	v_mul_i32_i24_e32 v122 /*v378*/, v111 /*v367*/, v129 /*v385*/
	s_set_vgpr_msb 64                       ;  msbs: dst=1 src0=0 src1=0 src2=0
	v_bfe_i32 v147 /*v403*/, v108, 16, 8
	v_bfe_i32 v154 /*v410*/, v111, 8, 8
	;; [unrolled: 1-line block ×3, first 2 shown]
	s_set_vgpr_msb 0x55                     ;  msbs: dst=1 src0=1 src1=1 src2=1
	v_add3_u32 v102 /*v358*/, v123 /*v379*/, v105 /*v361*/, v102 /*v358*/
	s_set_vgpr_msb 64                       ;  msbs: dst=1 src0=0 src1=0 src2=0
	v_bfe_i32 v105 /*v361*/, v102, 0, 8
	s_set_vgpr_msb 0x41                     ;  msbs: dst=1 src0=1 src1=0 src2=0
	v_mul_i32_i24_e32 v123 /*v379*/, v111 /*v367*/, v157
	s_set_vgpr_msb 64                       ;  msbs: dst=1 src0=0 src1=0 src2=0
	v_bfe_i32 v159 /*v415*/, v107, 16, 8
	v_bfe_i32 v61 /*v317*/, v154, 0, 8
	v_bfe_i32 v62 /*v318*/, v154, 8, 8
	s_set_vgpr_msb 0x45                     ;  msbs: dst=1 src0=1 src1=1 src2=0
	v_mul_i32_i24_e32 v104 /*v360*/, v105 /*v361*/, v10 /*v266*/
	v_mul_i32_i24_e32 v10 /*v266*/, v90 /*v346*/, v10 /*v266*/
	s_set_vgpr_msb 64                       ;  msbs: dst=1 src0=0 src1=0 src2=0
	v_bfe_i32 v160 /*v416*/, v97, 0, 8
	v_bfe_i32 v161 /*v417*/, v97, 8, 8
	;; [unrolled: 1-line block ×3, first 2 shown]
	s_set_vgpr_msb 0x55                     ;  msbs: dst=1 src0=1 src1=1 src2=1
	v_add3_u32 v104 /*v360*/, v124 /*v380*/, v116 /*v372*/, v104 /*v360*/
	s_set_vgpr_msb 16                       ;  msbs: dst=0 src0=0 src1=0 src2=1
	v_add3_u32 v91, v88, v91, v10 /*v266*/
	s_set_vgpr_msb 5                        ;  msbs: dst=0 src0=1 src1=1 src2=0
	v_mul_i32_i24_e32 v88, v90 /*v346*/, v127 /*v383*/
	s_set_vgpr_msb 0x45                     ;  msbs: dst=1 src0=1 src1=1 src2=0
	v_mul_i32_i24_e32 v10 /*v266*/, v87 /*v343*/, v129 /*v385*/
	v_mul_i32_i24_e32 v116 /*v372*/, v105 /*v361*/, v127 /*v383*/
	s_set_vgpr_msb 64                       ;  msbs: dst=1 src0=0 src1=0 src2=0
	v_bfe_u32 v124 /*v380*/, v146, 16, 4
	v_dual_ashrrev_i32 v165 /*v421*/, 24, v97 :: v_dual_ashrrev_i32 v171 /*v427*/, 24, v99
	s_set_vgpr_msb 0x44                     ;  msbs: dst=1 src0=0 src1=1 src2=0
	v_add3_u32 v10 /*v266*/, v89, v10 /*v266*/, v88
	s_set_vgpr_msb 5                        ;  msbs: dst=0 src0=1 src1=1 src2=0
	v_mul_i32_i24_e32 v88, v90 /*v346*/, v8 /*v264*/
	s_set_vgpr_msb 1                        ;  msbs: dst=0 src0=1 src1=0 src2=0
	v_mul_i32_i24_e32 v89, v87 /*v343*/, v157
	s_set_vgpr_msb 0x55                     ;  msbs: dst=1 src0=1 src1=1 src2=1
	v_add3_u32 v116 /*v372*/, v125 /*v381*/, v122 /*v378*/, v116 /*v372*/
	v_mul_i32_i24_e32 v122 /*v378*/, v105 /*v361*/, v8 /*v264*/
	s_set_vgpr_msb 64                       ;  msbs: dst=1 src0=0 src1=0 src2=0
	v_bfe_i32 v125 /*v381*/, v153, 0, 8
	v_bfe_i32 v87 /*v343*/, v153, 8, 8
	s_set_vgpr_msb 0x41                     ;  msbs: dst=1 src0=1 src1=0 src2=0
	v_add3_u32 v7 /*v263*/, v7 /*v263*/, v89, v88
	s_set_vgpr_msb 4                        ;  msbs: dst=0 src0=0 src1=1 src2=0
	v_cvt_f32_f16_e32 v89, v90
	v_cvt_f32_f16_e32 v88, v92
	v_mul_i32_i24_e32 v90, v253, v81 /*v337*/
	v_mul_i32_i24_e32 v92, v254, v38 /*v294*/
	s_set_vgpr_msb 0x55                     ;  msbs: dst=1 src0=1 src1=1 src2=1
	v_add3_u32 v122 /*v378*/, v126 /*v382*/, v123 /*v379*/, v122 /*v378*/
	s_set_vgpr_msb 64                       ;  msbs: dst=1 src0=0 src1=0 src2=0
	v_bfe_i32 v126 /*v382*/, v140, 8, 8
	s_set_vgpr_msb 0                        ;  msbs: dst=0 src0=0 src1=0 src2=0
	v_bfe_i32 v140, v140, 16, 8
	s_set_vgpr_msb 5                        ;  msbs: dst=0 src0=1 src1=1 src2=0
	v_mul_i32_i24_e32 v253, v99 /*v355*/, v65 /*v321*/
	s_set_vgpr_msb 0                        ;  msbs: dst=0 src0=0 src1=0 src2=0
	v_add3_u32 v90, v144, v92, v90
	s_set_vgpr_msb 5                        ;  msbs: dst=0 src0=1 src1=1 src2=0
	v_lshrrev_b16 v92, 8, v53 /*v309*/
	v_mul_i32_i24_e32 v144, v126 /*v382*/, v11 /*v267*/
	v_mul_i32_i24_e32 v254, v98 /*v354*/, v38 /*v294*/
	s_set_vgpr_msb 64                       ;  msbs: dst=1 src0=0 src1=0 src2=0
	v_bfe_i32 v90 /*v346*/, v153, 16, 8
	s_set_vgpr_msb 0                        ;  msbs: dst=0 src0=0 src1=0 src2=0
	v_ashrrev_i32_e32 v153, 24, v153
	s_set_vgpr_msb 64                       ;  msbs: dst=1 src0=0 src1=0 src2=0
	v_and_b32_e32 v141 /*v397*/, 0xffff, v92
	s_set_vgpr_msb 16                       ;  msbs: dst=0 src0=0 src1=0 src2=1
	v_add3_u32 v255, v90, v255, v0 /*v256*/
	s_set_vgpr_msb 0                        ;  msbs: dst=0 src0=0 src1=0 src2=0
	v_add3_u32 v136, v136, v253, v254
	s_set_vgpr_msb 64                       ;  msbs: dst=1 src0=0 src1=0 src2=0
	v_bfe_u32 v123 /*v379*/, v146, 24, 4
	s_set_vgpr_msb 4                        ;  msbs: dst=0 src0=0 src1=1 src2=0
	v_mul_i32_i24_e32 v90, v153, v150 /*v406*/
	v_mul_i32_i24_e32 v92, v155, v141 /*v397*/
	s_set_vgpr_msb 64                       ;  msbs: dst=1 src0=0 src1=0 src2=0
	v_ashrrev_i32_e32 v99 /*v355*/, 24, v127
	v_bfe_i32 v0 /*v256*/, v137, 0, 8
	v_bfe_i32 v98 /*v354*/, v139, 16, 8
	s_set_vgpr_msb 16                       ;  msbs: dst=0 src0=0 src1=0 src2=1
	v_mul_i32_i24_e32 v97, v234, v239
	v_add3_u32 v92, v245, v92, v79 /*v335*/
	s_set_vgpr_msb 4                        ;  msbs: dst=0 src0=0 src1=1 src2=0
	v_mul_i32_i24_e32 v245, v140, v5 /*v261*/
	s_set_vgpr_msb 64                       ;  msbs: dst=1 src0=0 src1=0 src2=0
	v_bfe_i32 v162 /*v418*/, v105, 16, 8
	v_ashrrev_i32_e32 v163 /*v419*/, 24, v105
	v_bfe_u32 v103 /*v359*/, v148, 4, 4
	s_set_vgpr_msb 1                        ;  msbs: dst=0 src0=1 src1=0 src2=0
	v_add3_u32 v92, v58 /*v314*/, v92, v90
	s_set_vgpr_msb 0                        ;  msbs: dst=0 src0=0 src1=0 src2=0
	v_add3_u32 v144, v251, v144, v245
	s_set_vgpr_msb 5                        ;  msbs: dst=0 src0=1 src1=1 src2=0
	v_mul_i32_i24_e32 v245, v126 /*v382*/, v128 /*v384*/
	s_set_vgpr_msb 4                        ;  msbs: dst=0 src0=0 src1=1 src2=0
	v_mul_i32_i24_e32 v251, v140, v46 /*v302*/
	s_set_vgpr_msb 64                       ;  msbs: dst=1 src0=0 src1=0 src2=0
	v_bfe_u32 v119 /*v375*/, v146, 4, 4
	v_bfe_i32 v157 /*v413*/, v96, 0, 8
	v_bfe_i32 v177 /*v433*/, v96, 8, 8
	v_bfe_i32 v180 /*v436*/, v96, 16, 8
	s_set_vgpr_msb 0                        ;  msbs: dst=0 src0=0 src1=0 src2=0
	v_add3_u32 v245, v252, v245, v251
	s_set_vgpr_msb 5                        ;  msbs: dst=0 src0=1 src1=1 src2=0
	v_mul_i32_i24_e32 v251, v126 /*v382*/, v39 /*v295*/
	s_set_vgpr_msb 4                        ;  msbs: dst=0 src0=0 src1=1 src2=0
	v_mul_i32_i24_e32 v252, v140, v6 /*v262*/
	s_set_vgpr_msb 64                       ;  msbs: dst=1 src0=0 src1=0 src2=0
	v_bfe_i32 v166 /*v422*/, v98, 0, 8
	v_bfe_i32 v172 /*v428*/, v101, 0, 8
	;; [unrolled: 1-line block ×4, first 2 shown]
	s_set_vgpr_msb 1                        ;  msbs: dst=0 src0=1 src1=0 src2=0
	v_add3_u32 v251, v17 /*v273*/, v251, v252
	s_set_vgpr_msb 0                        ;  msbs: dst=0 src0=0 src1=0 src2=0
	v_bfe_i32 v252, v134, 8, 8
	v_bfe_i32 v134, v134, 16, 8
	s_set_vgpr_msb 0x45                     ;  msbs: dst=1 src0=1 src1=1 src2=0
	v_mul_i32_i24_e32 v17 /*v273*/, v138 /*v394*/, v38 /*v294*/
	s_set_vgpr_msb 64                       ;  msbs: dst=1 src0=0 src1=0 src2=0
	v_dual_lshrrev_b32 v138 /*v394*/, 28, v147 :: v_dual_ashrrev_i32 v175 /*v431*/, 24, v101
	v_ashrrev_i32_e32 v179 /*v435*/, 24, v98
	s_set_vgpr_msb 4                        ;  msbs: dst=0 src0=0 src1=1 src2=0
	v_mul_i32_i24_e32 v253, v252, v11 /*v267*/
	v_mul_i32_i24_e32 v254, v134, v5 /*v261*/
	s_set_vgpr_msb 64                       ;  msbs: dst=1 src0=0 src1=0 src2=0
	v_bfe_i32 v176 /*v432*/, v98, 8, 8
	v_bfe_i32 v178 /*v434*/, v98, 16, 8
	s_set_vgpr_msb 0                        ;  msbs: dst=0 src0=0 src1=0 src2=0
	v_cvt_f32_f16_e64 v84, v224
	v_mul_i32_i24_e32 v232, v205, v223
	v_add3_u32 v242, v242, v253, v254
	s_set_vgpr_msb 4                        ;  msbs: dst=0 src0=0 src1=1 src2=0
	v_mul_i32_i24_e32 v253, v252, v128 /*v384*/
	v_mul_i32_i24_e32 v254, v134, v46 /*v302*/
	s_set_vgpr_msb 0                        ;  msbs: dst=0 src0=0 src1=0 src2=0
	v_mul_i32_i24_e32 v233, v215, v229
	v_mul_i32_i24_e32 v224, v217, v230
	s_set_vgpr_msb 64                       ;  msbs: dst=1 src0=0 src1=0 src2=0
	v_bfe_i32 v73 /*v329*/, v154, 16, 8
	s_set_vgpr_msb 0                        ;  msbs: dst=0 src0=0 src1=0 src2=0
	v_ashrrev_i32_e32 v154, 24, v154
	v_add3_u32 v246, v246, v253, v254
	s_set_vgpr_msb 4                        ;  msbs: dst=0 src0=0 src1=1 src2=0
	v_mul_i32_i24_e32 v253, v252, v39 /*v295*/
	v_mul_i32_i24_e32 v254, v134, v6 /*v262*/
	s_set_vgpr_msb 64                       ;  msbs: dst=1 src0=0 src1=0 src2=0
	v_bfe_u32 v106 /*v362*/, v148, 12, 4
	s_set_vgpr_msb 0                        ;  msbs: dst=0 src0=0 src1=0 src2=0
	v_bfe_u32 v148, v148, 20, 4
	s_set_vgpr_msb 64                       ;  msbs: dst=1 src0=0 src1=0 src2=0
	v_bfe_u32 v120 /*v376*/, v146, 12, 4
	s_set_vgpr_msb 0                        ;  msbs: dst=0 src0=0 src1=0 src2=0
	v_bfe_u32 v146, v146, 20, 4
	v_add3_u32 v247, v247, v253, v254
	v_bfe_i32 v253, v124, 8, 8
	v_bfe_i32 v124, v124, 16, 8
	s_set_vgpr_msb 5                        ;  msbs: dst=0 src0=1 src1=1 src2=0
	v_mul_i32_i24_e32 v254, v139 /*v395*/, v65 /*v321*/
	s_set_vgpr_msb 64                       ;  msbs: dst=1 src0=0 src1=0 src2=0
	v_bfe_u32 v139 /*v395*/, v147, 20, 4
	v_bfe_i32 v167 /*v423*/, v103, 8, 8
	s_set_vgpr_msb 0                        ;  msbs: dst=0 src0=0 src1=0 src2=0
	v_bfe_i32 v218, v85, 0, 8
	s_set_vgpr_msb 0x44                     ;  msbs: dst=1 src0=0 src1=1 src2=0
	v_mul_i32_i24_e32 v53 /*v309*/, v124, v46 /*v302*/
	s_set_vgpr_msb 16                       ;  msbs: dst=0 src0=0 src1=0 src2=1
	v_add3_u32 v132, v132, v254, v17 /*v273*/
	s_set_vgpr_msb 4                        ;  msbs: dst=0 src0=0 src1=1 src2=0
	v_mul_i32_i24_e32 v254, v253, v11 /*v267*/
	s_set_vgpr_msb 0x44                     ;  msbs: dst=1 src0=0 src1=1 src2=0
	v_mul_i32_i24_e32 v17 /*v273*/, v124, v5 /*v261*/
	v_bfe_i32 v35 /*v291*/, v85, 8, 8
	s_set_vgpr_msb 0                        ;  msbs: dst=0 src0=0 src1=0 src2=0
	v_bfe_i32 v219, v85, 16, 8
	v_cvt_f32_f16_e64 v85, v225
	v_mul_i32_i24_e32 v225, v216, v222
	s_set_vgpr_msb 17                       ;  msbs: dst=0 src0=1 src1=0 src2=1
	v_add3_u32 v254, v67 /*v323*/, v254, v17 /*v273*/
	s_set_vgpr_msb 0x44                     ;  msbs: dst=1 src0=0 src1=1 src2=0
	v_mul_i32_i24_e32 v17 /*v273*/, v253, v128 /*v384*/
	v_mul_i32_i24_e32 v67 /*v323*/, v124, v6 /*v262*/
	s_set_vgpr_msb 0                        ;  msbs: dst=0 src0=0 src1=0 src2=0
	v_mul_i32_i24_e32 v244, v219, v213
	v_bfe_i32 v212, v83, 0, 8
	s_set_vgpr_msb 64                       ;  msbs: dst=1 src0=0 src1=0 src2=0
	v_bfe_i32 v169 /*v425*/, v99, 8, 8
	s_set_vgpr_msb 0x55                     ;  msbs: dst=1 src0=1 src1=1 src2=1
	v_add3_u32 v17 /*v273*/, v69 /*v325*/, v17 /*v273*/, v53 /*v309*/
	s_set_vgpr_msb 0x44                     ;  msbs: dst=1 src0=0 src1=1 src2=0
	v_mul_i32_i24_e32 v53 /*v309*/, v253, v39 /*v295*/
	s_set_vgpr_msb 1                        ;  msbs: dst=0 src0=1 src1=0 src2=0
	v_mul_i32_i24_e32 v209, v35 /*v291*/, v206
	s_set_vgpr_msb 64                       ;  msbs: dst=1 src0=0 src1=0 src2=0
	v_bfe_i32 v168 /*v424*/, v99, 0, 8
	v_bfe_i32 v170 /*v426*/, v99, 16, 8
	s_set_vgpr_msb 0                        ;  msbs: dst=0 src0=0 src1=0 src2=0
	v_bfe_i32 v211, v83, 8, 8
	s_set_vgpr_msb 0x55                     ;  msbs: dst=1 src0=1 src1=1 src2=1
	v_add3_u32 v53 /*v309*/, v70 /*v326*/, v53 /*v309*/, v67 /*v323*/
	s_set_vgpr_msb 64                       ;  msbs: dst=1 src0=0 src1=0 src2=0
	v_bfe_i32 v67 /*v323*/, v114, 8, 8
	s_set_vgpr_msb 0                        ;  msbs: dst=0 src0=0 src1=0 src2=0
	v_bfe_i32 v114, v114, 16, 8
	s_set_vgpr_msb 0x45                     ;  msbs: dst=1 src0=1 src1=1 src2=0
	v_mul_i32_i24_e32 v70 /*v326*/, v77 /*v333*/, v65 /*v321*/
	s_set_vgpr_msb 64                       ;  msbs: dst=1 src0=0 src1=0 src2=0
	v_bfe_i32 v77 /*v333*/, v102, 16, 8
	s_set_vgpr_msb 0                        ;  msbs: dst=0 src0=0 src1=0 src2=0
	v_bfe_i32 v210, v83, 16, 8
	s_set_vgpr_msb 0x45                     ;  msbs: dst=1 src0=1 src1=1 src2=0
	v_mul_i32_i24_e32 v19 /*v275*/, v67 /*v323*/, v11 /*v267*/
	s_set_vgpr_msb 0x44                     ;  msbs: dst=1 src0=0 src1=1 src2=0
	v_mul_i32_i24_e32 v20 /*v276*/, v114, v5 /*v261*/
	v_mul_i32_i24_e32 v69 /*v325*/, v114, v6 /*v262*/
	s_set_vgpr_msb 20                       ;  msbs: dst=0 src0=0 src1=1 src2=1
	v_add3_u32 v112, v112, v70 /*v326*/, v3 /*v259*/
	s_set_vgpr_msb 0x45                     ;  msbs: dst=1 src0=1 src1=1 src2=0
	v_mul_i32_i24_e32 v79 /*v335*/, v77 /*v333*/, v46 /*v302*/
	s_set_vgpr_msb 1                        ;  msbs: dst=0 src0=1 src1=0 src2=0
	v_mul_i32_i24_e32 v98, v77 /*v333*/, v239
	s_set_vgpr_msb 20                       ;  msbs: dst=0 src0=0 src1=1 src2=1
	v_add3_u32 v248, v248, v19 /*v275*/, v20 /*v276*/
	s_set_vgpr_msb 0x45                     ;  msbs: dst=1 src0=1 src1=1 src2=0
	v_mul_i32_i24_e32 v19 /*v275*/, v67 /*v323*/, v128 /*v384*/
	s_set_vgpr_msb 0x44                     ;  msbs: dst=1 src0=0 src1=1 src2=0
	v_mul_i32_i24_e32 v20 /*v276*/, v114, v46 /*v302*/
	s_set_vgpr_msb 0                        ;  msbs: dst=0 src0=0 src1=0 src2=0
	v_cvt_f32_f16_e64 v83, v151
	v_mul_i32_i24_e32 v151, v218, v204
	s_set_vgpr_msb 4                        ;  msbs: dst=0 src0=0 src1=1 src2=0
	v_mul_i32_i24_e32 v99, v208, v45 /*v301*/
	v_pk_mul_f32 v[88:89], v[88:89], s[10:11] op_sel_hi:[1,0]
	s_set_vgpr_msb 0x55                     ;  msbs: dst=1 src0=1 src1=1 src2=1
	v_add3_u32 v19 /*v275*/, v71 /*v327*/, v19 /*v275*/, v20 /*v276*/
	v_mul_i32_i24_e32 v20 /*v276*/, v67 /*v323*/, v39 /*v295*/
	s_set_vgpr_msb 0                        ;  msbs: dst=0 src0=0 src1=0 src2=0
	v_add_nc_u32_e32 v197, 4, v197
	s_set_vgpr_msb 64                       ;  msbs: dst=1 src0=0 src1=0 src2=0
	v_ashrrev_i32_e32 v144 /*v400*/, 24, v111
	s_add_co_i32 s12, s12, 4
	s_set_vgpr_msb 0                        ;  msbs: dst=0 src0=0 src1=0 src2=0
	v_ashrrev_i32_e32 v96, 24, v96
	s_set_vgpr_msb 0x55                     ;  msbs: dst=1 src0=1 src1=1 src2=1
	v_add3_u32 v20 /*v276*/, v74 /*v330*/, v20 /*v276*/, v69 /*v325*/
	s_set_vgpr_msb 64                       ;  msbs: dst=1 src0=0 src1=0 src2=0
	v_bfe_i32 v69 /*v325*/, v106, 8, 8
	s_set_vgpr_msb 0                        ;  msbs: dst=0 src0=0 src1=0 src2=0
	v_bfe_i32 v106, v106, 16, 8
	s_cmp_lt_u32 s12, 28
	v_add_nc_u32_e32 v198, 32, v198
	s_set_vgpr_msb 0x45                     ;  msbs: dst=1 src0=1 src1=1 src2=0
	v_mul_i32_i24_e32 v3 /*v259*/, v69 /*v325*/, v11 /*v267*/
	s_set_vgpr_msb 0x44                     ;  msbs: dst=1 src0=0 src1=1 src2=0
	v_mul_i32_i24_e32 v70 /*v326*/, v106, v5 /*v261*/
	v_mul_i32_i24_e32 v71 /*v327*/, v106, v46 /*v302*/
	v_mul_i32_i24_e32 v74 /*v330*/, v106, v6 /*v262*/
	s_set_vgpr_msb 0x55                     ;  msbs: dst=1 src0=1 src1=1 src2=1
	s_delay_alu instid0(VALU_DEP_3) | instskip(SKIP_2) | instid1(VALU_DEP_2)
	v_add3_u32 v3 /*v259*/, v82 /*v338*/, v3 /*v259*/, v70 /*v326*/
	v_mul_i32_i24_e32 v70 /*v326*/, v69 /*v325*/, v128 /*v384*/
	v_mul_i32_i24_e32 v82 /*v338*/, v77 /*v333*/, v6 /*v262*/
	v_add3_u32 v70 /*v326*/, v101 /*v357*/, v70 /*v326*/, v71 /*v327*/
	v_mul_i32_i24_e32 v71 /*v327*/, v69 /*v325*/, v39 /*v295*/
	s_set_vgpr_msb 64                       ;  msbs: dst=1 src0=0 src1=0 src2=0
	v_ashrrev_i32_e32 v101 /*v357*/, 24, v135
	s_set_vgpr_msb 0x55                     ;  msbs: dst=1 src0=1 src1=1 src2=1
	s_delay_alu instid0(VALU_DEP_2)
	v_add3_u32 v71 /*v327*/, v102 /*v358*/, v71 /*v327*/, v74 /*v330*/
	s_set_vgpr_msb 64                       ;  msbs: dst=1 src0=0 src1=0 src2=0
	v_bfe_i32 v74 /*v330*/, v102, 8, 8
	s_set_vgpr_msb 5                        ;  msbs: dst=0 src0=1 src1=1 src2=0
	v_mul_i32_i24_e32 v102, v121 /*v377*/, v65 /*v321*/
	s_set_vgpr_msb 64                       ;  msbs: dst=1 src0=0 src1=0 src2=0
	v_bfe_u32 v121 /*v377*/, v149, 12, 4
	v_bfe_i32 v102 /*v358*/, v131, 0, 8
	s_set_vgpr_msb 1                        ;  msbs: dst=0 src0=1 src1=0 src2=0
	v_mul_i32_i24_e32 v101, v74 /*v330*/, v250
	s_set_vgpr_msb 16                       ;  msbs: dst=0 src0=0 src1=0 src2=1
	v_add3_u32 v104, v104, v102, v57 /*v313*/
	s_set_vgpr_msb 5                        ;  msbs: dst=0 src0=1 src1=1 src2=0
	v_mul_i32_i24_e32 v102, v74 /*v330*/, v11 /*v267*/
	s_set_vgpr_msb 0x45                     ;  msbs: dst=1 src0=1 src1=1 src2=0
	v_mul_i32_i24_e32 v57 /*v313*/, v77 /*v333*/, v5 /*v261*/
	v_mul_i32_i24_e32 v5 /*v261*/, v88 /*v344*/, v5 /*v261*/
	s_set_vgpr_msb 0x51                     ;  msbs: dst=1 src0=1 src1=0 src2=1
	s_delay_alu instid0(VALU_DEP_2) | instskip(SKIP_4) | instid1(VALU_DEP_2)
	v_add3_u32 v57 /*v313*/, v104 /*v360*/, v102, v57 /*v313*/
	s_set_vgpr_msb 5                        ;  msbs: dst=0 src0=1 src1=1 src2=0
	v_mul_i32_i24_e32 v102, v74 /*v330*/, v128 /*v384*/
	s_set_vgpr_msb 0x51                     ;  msbs: dst=1 src0=1 src1=0 src2=1
	v_ashrrev_i32_e32 v104 /*v360*/, 24, v133
	v_add3_u32 v79 /*v335*/, v116 /*v372*/, v102, v79 /*v335*/
	s_set_vgpr_msb 5                        ;  msbs: dst=0 src0=1 src1=1 src2=0
	v_mul_i32_i24_e32 v102, v74 /*v330*/, v39 /*v295*/
	s_set_vgpr_msb 64                       ;  msbs: dst=1 src0=0 src1=0 src2=0
	v_bfe_i32 v116 /*v372*/, v130, 8, 8
	s_set_vgpr_msb 0x51                     ;  msbs: dst=1 src0=1 src1=0 src2=1
	s_delay_alu instid0(VALU_DEP_2)
	v_add3_u32 v82 /*v338*/, v122 /*v378*/, v102, v82 /*v338*/
	s_set_vgpr_msb 5                        ;  msbs: dst=0 src0=1 src1=1 src2=0
	v_mul_i32_i24_e32 v102, v4 /*v260*/, v38 /*v294*/
	s_set_vgpr_msb 0x45                     ;  msbs: dst=1 src0=1 src1=1 src2=0
	v_mul_i32_i24_e32 v4 /*v260*/, v37 /*v293*/, v65 /*v321*/
	s_set_vgpr_msb 64                       ;  msbs: dst=1 src0=0 src1=0 src2=0
	v_lshrrev_b32_e32 v122 /*v378*/, 28, v149
	s_set_vgpr_msb 0                        ;  msbs: dst=0 src0=0 src1=0 src2=0
	v_bfe_u32 v149, v147, 24, 4
	s_set_vgpr_msb 21                       ;  msbs: dst=0 src0=1 src1=1 src2=1
	v_add3_u32 v147, v16 /*v272*/, v28 /*v284*/, v29 /*v285*/
	s_set_vgpr_msb 64                       ;  msbs: dst=1 src0=0 src1=0 src2=0
	v_bfe_i32 v16 /*v272*/, v143, 0, 8
	s_set_vgpr_msb 0x45                     ;  msbs: dst=1 src0=1 src1=1 src2=0
	v_add3_u32 v4 /*v260*/, v64 /*v320*/, v4 /*v260*/, v102
	s_set_vgpr_msb 5                        ;  msbs: dst=0 src0=1 src1=1 src2=0
	v_mul_i32_i24_e32 v102, v1 /*v257*/, v127 /*v383*/
	s_set_vgpr_msb 64                       ;  msbs: dst=1 src0=0 src1=0 src2=0
	v_dual_ashrrev_i32 v37 /*v293*/, 24, v141 :: v_dual_ashrrev_i32 v64 /*v320*/, 24, v139
	v_ashrrev_i32_e32 v65 /*v321*/, 24, v129
	v_bfe_i32 v29 /*v285*/, v141, 8, 8
	s_set_vgpr_msb 1                        ;  msbs: dst=0 src0=1 src1=0 src2=0
	v_add3_u32 v145, v22 /*v278*/, v102, v145
	s_set_vgpr_msb 5                        ;  msbs: dst=0 src0=1 src1=1 src2=0
	v_mul_i32_i24_e32 v102, v1 /*v257*/, v8 /*v264*/
	s_set_vgpr_msb 0x45                     ;  msbs: dst=1 src0=1 src1=1 src2=0
	v_mul_i32_i24_e32 v8 /*v264*/, v2 /*v258*/, v39 /*v295*/
	s_set_vgpr_msb 64                       ;  msbs: dst=1 src0=0 src1=0 src2=0
	v_bfe_i32 v22 /*v278*/, v143, 8, 8
	v_bfe_i32 v38 /*v294*/, v126, 0, 8
	;; [unrolled: 1-line block ×3, first 2 shown]
	v_mul_i32_i24_e32 v28 /*v284*/, v220, v207
	s_set_vgpr_msb 0x51                     ;  msbs: dst=1 src0=1 src1=0 src2=1
	v_add3_u32 v8 /*v264*/, v23 /*v279*/, v102, v8 /*v264*/
	s_set_vgpr_msb 64                       ;  msbs: dst=1 src0=0 src1=0 src2=0
	v_bfe_i32 v23 /*v279*/, v143, 16, 8
	s_set_vgpr_msb 0                        ;  msbs: dst=0 src0=0 src1=0 src2=0
	v_ashrrev_i32_e32 v143, 24, v143
	s_set_vgpr_msb 5                        ;  msbs: dst=0 src0=1 src1=1 src2=0
	v_mul_i32_i24_e32 v90, v22 /*v278*/, v12 /*v268*/
	v_mul_i32_i24_e32 v102, v89 /*v345*/, v11 /*v267*/
	s_set_vgpr_msb 0x45                     ;  msbs: dst=1 src0=1 src1=1 src2=0
	v_mul_i32_i24_e32 v11 /*v267*/, v88 /*v344*/, v46 /*v302*/
	s_set_vgpr_msb 0x44                     ;  msbs: dst=1 src0=0 src1=1 src2=0
	v_mul_i32_i24_e32 v58 /*v314*/, v143, v13 /*v269*/
	s_set_vgpr_msb 16                       ;  msbs: dst=0 src0=0 src1=0 src2=1
	v_add3_u32 v91, v91, v102, v5 /*v261*/
	s_set_vgpr_msb 5                        ;  msbs: dst=0 src0=1 src1=1 src2=0
	v_mul_i32_i24_e32 v102, v89 /*v345*/, v128 /*v384*/
	s_set_vgpr_msb 64                       ;  msbs: dst=1 src0=0 src1=0 src2=0
	v_bfe_i32 v5 /*v261*/, v141, 0, 8
	s_set_vgpr_msb 4                        ;  msbs: dst=0 src0=0 src1=1 src2=0
	v_add3_u32 v144, v144, v58 /*v314*/, v90
	s_set_vgpr_msb 5                        ;  msbs: dst=0 src0=1 src1=1 src2=0
	v_mul_i32_i24_e32 v90, v22 /*v278*/, v130 /*v386*/
	s_set_vgpr_msb 0x44                     ;  msbs: dst=1 src0=0 src1=1 src2=0
	v_mul_i32_i24_e32 v58 /*v314*/, v143, v115 /*v371*/
	s_set_vgpr_msb 0x51                     ;  msbs: dst=1 src0=1 src1=0 src2=1
	v_add3_u32 v10 /*v266*/, v10 /*v266*/, v102, v11 /*v267*/
	s_set_vgpr_msb 64                       ;  msbs: dst=1 src0=0 src1=0 src2=0
	v_bfe_i32 v11 /*v267*/, v141, 16, 8
	s_set_vgpr_msb 5                        ;  msbs: dst=0 src0=1 src1=1 src2=0
	v_mul_i32_i24_e32 v141, v89 /*v345*/, v39 /*v295*/
	s_set_vgpr_msb 0x45                     ;  msbs: dst=1 src0=1 src1=1 src2=0
	v_mul_i32_i24_e32 v39 /*v295*/, v88 /*v344*/, v6 /*v262*/
	s_set_vgpr_msb 4                        ;  msbs: dst=0 src0=0 src1=1 src2=0
	v_add3_u32 v245, v245, v58 /*v314*/, v90
	s_set_vgpr_msb 5                        ;  msbs: dst=0 src0=1 src1=1 src2=0
	v_mul_i32_i24_e32 v90, v22 /*v278*/, v48 /*v304*/
	s_set_vgpr_msb 0x44                     ;  msbs: dst=1 src0=0 src1=1 src2=0
	v_mul_i32_i24_e32 v58 /*v314*/, v143, v123 /*v379*/
	s_set_vgpr_msb 64                       ;  msbs: dst=1 src0=0 src1=0 src2=0
	v_ashrrev_i32_e32 v88 /*v344*/, 24, v137
	s_set_vgpr_msb 17                       ;  msbs: dst=0 src0=1 src1=0 src2=1
	v_add3_u32 v141, v7 /*v263*/, v141, v39 /*v295*/
	s_set_vgpr_msb 64                       ;  msbs: dst=1 src0=0 src1=0 src2=0
	v_bfe_i32 v7 /*v263*/, v127, 0, 8
	v_bfe_i32 v39 /*v295*/, v127, 16, 8
	s_set_vgpr_msb 4                        ;  msbs: dst=0 src0=0 src1=1 src2=0
	v_add3_u32 v251, v251, v58 /*v314*/, v90
	s_set_vgpr_msb 64                       ;  msbs: dst=1 src0=0 src1=0 src2=0
	v_bfe_i32 v58 /*v314*/, v139, 8, 8
	s_set_vgpr_msb 5                        ;  msbs: dst=0 src0=1 src1=1 src2=0
	v_mul_i32_i24_e32 v90, v136 /*v392*/, v81 /*v337*/
	s_set_vgpr_msb 20                       ;  msbs: dst=0 src0=0 src1=1 src2=1
	v_add3_u32 v127, v147, v31 /*v287*/, v30 /*v286*/
	s_set_vgpr_msb 64                       ;  msbs: dst=1 src0=0 src1=0 src2=0
	v_bfe_i32 v136 /*v392*/, v131, 8, 8
	v_bfe_i32 v30 /*v286*/, v131, 16, 8
	v_ashrrev_i32_e32 v31 /*v287*/, 24, v131
	s_set_vgpr_msb 0                        ;  msbs: dst=0 src0=0 src1=0 src2=0
	v_add3_u32 v136, v136, v90, v142
	s_set_vgpr_msb 5                        ;  msbs: dst=0 src0=1 src1=1 src2=0
	v_mul_i32_i24_e32 v90, v58 /*v314*/, v12 /*v268*/
	v_mul_i32_i24_e32 v142, v64 /*v320*/, v13 /*v269*/
	s_set_vgpr_msb 0                        ;  msbs: dst=0 src0=0 src1=0 src2=0
	v_mul_i32_i24_e32 v131, v237, v157
	s_set_vgpr_msb 64                       ;  msbs: dst=1 src0=0 src1=0 src2=0
	v_ashrrev_i32_e32 v128 /*v384*/, 24, v126
	s_set_vgpr_msb 0                        ;  msbs: dst=0 src0=0 src1=0 src2=0
	v_bfe_i32 v147, v129, 0, 8
	v_bfe_i32 v157, v129, 16, 8
	v_add3_u32 v142, v242, v142, v90
	s_set_vgpr_msb 5                        ;  msbs: dst=0 src0=1 src1=1 src2=0
	v_mul_i32_i24_e32 v90, v58 /*v314*/, v130 /*v386*/
	v_mul_i32_i24_e32 v242, v64 /*v320*/, v115 /*v371*/
	s_set_vgpr_msb 64                       ;  msbs: dst=1 src0=0 src1=0 src2=0
	v_bfe_i32 v89 /*v345*/, v139, 0, 8
	s_set_vgpr_msb 4                        ;  msbs: dst=0 src0=0 src1=1 src2=0
	v_mul_i32_i24_e32 v102, v212, v42 /*v298*/
	s_set_vgpr_msb 0                        ;  msbs: dst=0 src0=0 src1=0 src2=0
	v_add3_u32 v242, v246, v242, v90
	s_set_vgpr_msb 5                        ;  msbs: dst=0 src0=1 src1=1 src2=0
	v_mul_i32_i24_e32 v90, v58 /*v314*/, v48 /*v304*/
	v_mul_i32_i24_e32 v246, v64 /*v320*/, v123 /*v379*/
	s_set_vgpr_msb 0                        ;  msbs: dst=0 src0=0 src1=0 src2=0
	s_delay_alu instid0(VALU_DEP_1)
	v_add3_u32 v246, v247, v246, v90
	v_bfe_i32 v247, v129, 8, 8
	s_set_vgpr_msb 5                        ;  msbs: dst=0 src0=1 src1=1 src2=0
	v_mul_i32_i24_e32 v90, v21 /*v277*/, v81 /*v337*/
	s_set_vgpr_msb 64                       ;  msbs: dst=1 src0=0 src1=0 src2=0
	v_bfe_i32 v21 /*v277*/, v123, 8, 8
	s_set_vgpr_msb 0                        ;  msbs: dst=0 src0=0 src1=0 src2=0
	s_delay_alu instid0(VALU_DEP_2)
	v_add3_u32 v132, v132, v90, v138
	s_set_vgpr_msb 4                        ;  msbs: dst=0 src0=0 src1=1 src2=0
	v_mul_i32_i24_e32 v90, v247, v12 /*v268*/
	s_set_vgpr_msb 5                        ;  msbs: dst=0 src0=1 src1=1 src2=0
	v_mul_i32_i24_e32 v138, v65 /*v321*/, v13 /*v269*/
	s_set_vgpr_msb 0                        ;  msbs: dst=0 src0=0 src1=0 src2=0
	s_delay_alu instid0(VALU_DEP_1)
	v_add3_u32 v138, v254, v138, v90
	s_set_vgpr_msb 4                        ;  msbs: dst=0 src0=0 src1=1 src2=0
	v_mul_i32_i24_e32 v90, v247, v130 /*v386*/
	s_set_vgpr_msb 5                        ;  msbs: dst=0 src0=1 src1=1 src2=0
	v_mul_i32_i24_e32 v254, v65 /*v321*/, v115 /*v371*/
	s_set_vgpr_msb 1                        ;  msbs: dst=0 src0=1 src1=0 src2=0
	s_delay_alu instid0(VALU_DEP_1) | instskip(SKIP_4) | instid1(VALU_DEP_1)
	v_add3_u32 v254, v17 /*v273*/, v254, v90
	s_set_vgpr_msb 4                        ;  msbs: dst=0 src0=0 src1=1 src2=0
	v_mul_i32_i24_e32 v90, v247, v48 /*v304*/
	s_set_vgpr_msb 0x45                     ;  msbs: dst=1 src0=1 src1=1 src2=0
	v_mul_i32_i24_e32 v17 /*v273*/, v65 /*v321*/, v123 /*v379*/
	v_add3_u32 v17 /*v273*/, v53 /*v309*/, v17 /*v273*/, v90
	s_set_vgpr_msb 64                       ;  msbs: dst=1 src0=0 src1=0 src2=0
	v_ashrrev_i32_e32 v53 /*v309*/, 24, v123
	s_set_vgpr_msb 5                        ;  msbs: dst=0 src0=1 src1=1 src2=0
	v_mul_i32_i24_e32 v90, v34 /*v290*/, v81 /*v337*/
	s_set_vgpr_msb 64                       ;  msbs: dst=1 src0=0 src1=0 src2=0
	v_ashrrev_i32_e32 v34 /*v290*/, 24, v119
	s_set_vgpr_msb 0                        ;  msbs: dst=0 src0=0 src1=0 src2=0
	s_delay_alu instid0(VALU_DEP_2) | instskip(SKIP_4) | instid1(VALU_DEP_1)
	v_add3_u32 v120, v120, v90, v128
	s_set_vgpr_msb 5                        ;  msbs: dst=0 src0=1 src1=1 src2=0
	v_mul_i32_i24_e32 v90, v21 /*v277*/, v12 /*v268*/
	v_mul_i32_i24_e32 v128, v53 /*v309*/, v13 /*v269*/
	s_set_vgpr_msb 0                        ;  msbs: dst=0 src0=0 src1=0 src2=0
	v_add3_u32 v128, v248, v128, v90
	s_set_vgpr_msb 5                        ;  msbs: dst=0 src0=1 src1=1 src2=0
	v_mul_i32_i24_e32 v90, v21 /*v277*/, v130 /*v386*/
	v_mul_i32_i24_e32 v248, v53 /*v309*/, v115 /*v371*/
	s_set_vgpr_msb 1                        ;  msbs: dst=0 src0=1 src1=0 src2=0
	s_delay_alu instid0(VALU_DEP_1) | instskip(SKIP_4) | instid1(VALU_DEP_1)
	v_add3_u32 v248, v19 /*v275*/, v248, v90
	s_set_vgpr_msb 5                        ;  msbs: dst=0 src0=1 src1=1 src2=0
	v_mul_i32_i24_e32 v90, v21 /*v277*/, v48 /*v304*/
	s_set_vgpr_msb 0x45                     ;  msbs: dst=1 src0=1 src1=1 src2=0
	v_mul_i32_i24_e32 v19 /*v275*/, v53 /*v309*/, v123 /*v379*/
	v_add3_u32 v19 /*v275*/, v20 /*v276*/, v19 /*v275*/, v90
	s_set_vgpr_msb 64                       ;  msbs: dst=1 src0=0 src1=0 src2=0
	v_bfe_i32 v20 /*v276*/, v119, 8, 8
	s_set_vgpr_msb 5                        ;  msbs: dst=0 src0=1 src1=1 src2=0
	v_mul_i32_i24_e32 v90, v54 /*v310*/, v81 /*v337*/
	s_set_vgpr_msb 0x45                     ;  msbs: dst=1 src0=1 src1=1 src2=0
	v_mul_i32_i24_e32 v54 /*v310*/, v34 /*v290*/, v123 /*v379*/
	s_set_vgpr_msb 0                        ;  msbs: dst=0 src0=0 src1=0 src2=0
	s_delay_alu instid0(VALU_DEP_2) | instskip(SKIP_4) | instid1(VALU_DEP_1)
	v_add3_u32 v112, v112, v90, v122
	s_set_vgpr_msb 5                        ;  msbs: dst=0 src0=1 src1=1 src2=0
	v_mul_i32_i24_e32 v90, v20 /*v276*/, v12 /*v268*/
	v_mul_i32_i24_e32 v122, v34 /*v290*/, v13 /*v269*/
	s_set_vgpr_msb 1                        ;  msbs: dst=0 src0=1 src1=0 src2=0
	v_add3_u32 v122, v3 /*v259*/, v122, v90
	s_set_vgpr_msb 5                        ;  msbs: dst=0 src0=1 src1=1 src2=0
	v_mul_i32_i24_e32 v90, v20 /*v276*/, v130 /*v386*/
	s_set_vgpr_msb 0x45                     ;  msbs: dst=1 src0=1 src1=1 src2=0
	v_mul_i32_i24_e32 v3 /*v259*/, v34 /*v290*/, v115 /*v371*/
	s_delay_alu instid0(VALU_DEP_1)
	v_add3_u32 v3 /*v259*/, v70 /*v326*/, v3 /*v259*/, v90
	s_set_vgpr_msb 5                        ;  msbs: dst=0 src0=1 src1=1 src2=0
	v_mul_i32_i24_e32 v90, v20 /*v276*/, v48 /*v304*/
	s_set_vgpr_msb 64                       ;  msbs: dst=1 src0=0 src1=0 src2=0
	v_bfe_i32 v70 /*v326*/, v117, 8, 8
	s_set_vgpr_msb 0x45                     ;  msbs: dst=1 src0=1 src1=1 src2=0
	s_delay_alu instid0(VALU_DEP_2)
	v_add3_u32 v54 /*v310*/, v71 /*v327*/, v54 /*v310*/, v90
	s_set_vgpr_msb 64                       ;  msbs: dst=1 src0=0 src1=0 src2=0
	v_ashrrev_i32_e32 v71 /*v327*/, 24, v117
	s_set_vgpr_msb 5                        ;  msbs: dst=0 src0=1 src1=1 src2=0
	v_mul_i32_i24_e32 v90, v9 /*v265*/, v81 /*v337*/
	s_set_vgpr_msb 0x45                     ;  msbs: dst=1 src0=1 src1=1 src2=0
	s_delay_alu instid0(VALU_DEP_2) | instskip(SKIP_1) | instid1(VALU_DEP_2)
	v_mul_i32_i24_e32 v9 /*v265*/, v71 /*v327*/, v115 /*v371*/
	s_set_vgpr_msb 0                        ;  msbs: dst=0 src0=0 src1=0 src2=0
	v_add3_u32 v104, v104, v90, v118
	s_set_vgpr_msb 5                        ;  msbs: dst=0 src0=1 src1=1 src2=0
	v_mul_i32_i24_e32 v90, v70 /*v326*/, v12 /*v268*/
	v_mul_i32_i24_e32 v118, v71 /*v327*/, v13 /*v269*/
	s_set_vgpr_msb 1                        ;  msbs: dst=0 src0=1 src1=0 src2=0
	s_delay_alu instid0(VALU_DEP_1) | instskip(SKIP_4) | instid1(VALU_DEP_2)
	v_add3_u32 v118, v57 /*v313*/, v118, v90
	s_set_vgpr_msb 5                        ;  msbs: dst=0 src0=1 src1=1 src2=0
	v_mul_i32_i24_e32 v90, v70 /*v326*/, v130 /*v386*/
	s_set_vgpr_msb 0x45                     ;  msbs: dst=1 src0=1 src1=1 src2=0
	v_mul_i32_i24_e32 v57 /*v313*/, v71 /*v327*/, v123 /*v379*/
	v_add3_u32 v9 /*v265*/, v79 /*v335*/, v9 /*v265*/, v90
	s_set_vgpr_msb 5                        ;  msbs: dst=0 src0=1 src1=1 src2=0
	v_mul_i32_i24_e32 v90, v70 /*v326*/, v48 /*v304*/
	s_set_vgpr_msb 64                       ;  msbs: dst=1 src0=0 src1=0 src2=0
	v_bfe_i32 v79 /*v335*/, v137, 8, 8
	s_set_vgpr_msb 0x45                     ;  msbs: dst=1 src0=1 src1=1 src2=0
	s_delay_alu instid0(VALU_DEP_2)
	v_add3_u32 v57 /*v313*/, v82 /*v338*/, v57 /*v313*/, v90
	s_set_vgpr_msb 4                        ;  msbs: dst=0 src0=0 src1=1 src2=0
	v_mul_i32_i24_e32 v90, v249, v81 /*v337*/
	s_set_vgpr_msb 64                       ;  msbs: dst=1 src0=0 src1=0 src2=0
	v_bfe_i32 v81 /*v337*/, v135, 16, 8
	v_bfe_i32 v82 /*v338*/, v137, 16, 8
	s_set_vgpr_msb 0                        ;  msbs: dst=0 src0=0 src1=0 src2=0
	v_bfe_i32 v249, v130, 0, 8
	s_set_vgpr_msb 1                        ;  msbs: dst=0 src0=1 src1=0 src2=0
	v_add3_u32 v116, v4 /*v260*/, v90, v116
	s_set_vgpr_msb 64                       ;  msbs: dst=1 src0=0 src1=0 src2=0
	v_bfe_i32 v4 /*v260*/, v135, 8, 8
	s_set_vgpr_msb 4                        ;  msbs: dst=0 src0=0 src1=1 src2=0
	v_mul_i32_i24_e32 v90, v234, v46 /*v302*/
	v_mul_i32_i24_e32 v135, v237, v129 /*v385*/
	s_set_vgpr_msb 64                       ;  msbs: dst=1 src0=0 src1=0 src2=0
	v_bfe_i32 v46 /*v302*/, v133, 0, 8
	v_bfe_i32 v129 /*v385*/, v125, 0, 8
	s_set_vgpr_msb 0                        ;  msbs: dst=0 src0=0 src1=0 src2=0
	v_add3_u32 v135, v145, v90, v135
	s_set_vgpr_msb 4                        ;  msbs: dst=0 src0=0 src1=1 src2=0
	v_mul_i32_i24_e32 v90, v234, v6 /*v262*/
	s_set_vgpr_msb 64                       ;  msbs: dst=1 src0=0 src1=0 src2=0
	v_bfe_i32 v6 /*v262*/, v133, 8, 8
	s_set_vgpr_msb 4                        ;  msbs: dst=0 src0=0 src1=1 src2=0
	v_mul_i32_i24_e32 v234, v215, v119 /*v375*/
	s_set_vgpr_msb 1                        ;  msbs: dst=0 src0=1 src1=0 src2=0
	v_add3_u32 v131, v8 /*v264*/, v90, v131
	s_set_vgpr_msb 64                       ;  msbs: dst=1 src0=0 src1=0 src2=0
	v_bfe_i32 v8 /*v264*/, v133, 16, 8
	s_set_vgpr_msb 4                        ;  msbs: dst=0 src0=0 src1=1 src2=0
	v_mul_i32_i24_e32 v90, v161, v12 /*v268*/
	s_set_vgpr_msb 5                        ;  msbs: dst=0 src0=1 src1=1 src2=0
	v_mul_i32_i24_e32 v133, v91 /*v347*/, v13 /*v269*/
	s_set_vgpr_msb 64                       ;  msbs: dst=1 src0=0 src1=0 src2=0
	v_bfe_i32 v12 /*v268*/, v130, 16, 8
	v_ashrrev_i32_e32 v13 /*v269*/, 24, v130
	s_set_vgpr_msb 0                        ;  msbs: dst=0 src0=0 src1=0 src2=0
	v_add3_u32 v133, v91, v133, v90
	s_set_vgpr_msb 4                        ;  msbs: dst=0 src0=0 src1=1 src2=0
	v_mul_i32_i24_e32 v90, v161, v130 /*v386*/
	s_set_vgpr_msb 5                        ;  msbs: dst=0 src0=1 src1=1 src2=0
	v_mul_i32_i24_e32 v91, v91 /*v347*/, v115 /*v371*/
	s_set_vgpr_msb 1                        ;  msbs: dst=0 src0=1 src1=0 src2=0
	s_delay_alu instid0(VALU_DEP_1)
	v_add3_u32 v137, v10 /*v266*/, v91, v90
	s_set_vgpr_msb 4                        ;  msbs: dst=0 src0=0 src1=1 src2=0
	v_cvt_f32_f16_e32 v91, v93
	v_cvt_f32_f16_e32 v90, v95
	v_mul_i32_i24_e32 v93, v161, v48 /*v304*/
	s_set_vgpr_msb 5                        ;  msbs: dst=0 src0=1 src1=1 src2=0
	v_mul_i32_i24_e32 v95, v91 /*v347*/, v123 /*v379*/
	s_set_vgpr_msb 64                       ;  msbs: dst=1 src0=0 src1=0 src2=0
	v_bfe_i32 v91 /*v347*/, v125, 8, 8
	s_set_vgpr_msb 1                        ;  msbs: dst=0 src0=1 src1=0 src2=0
	v_ashrrev_i32_e32 v161, 24, v125
	v_mul_i32_i24_e32 v125, v2 /*v258*/, v250
	s_set_vgpr_msb 64                       ;  msbs: dst=1 src0=0 src1=0 src2=0
	v_bfe_i32 v10 /*v266*/, v126, 8, 8
	s_set_vgpr_msb 0                        ;  msbs: dst=0 src0=0 src1=0 src2=0
	v_add3_u32 v95, v141, v95, v93
	s_set_vgpr_msb 1                        ;  msbs: dst=0 src0=1 src1=0 src2=0
	v_mul_i32_i24_e32 v93, v1 /*v257*/, v243
	s_set_vgpr_msb 5                        ;  msbs: dst=0 src0=1 src1=1 src2=0
	v_mul_i32_i24_e32 v126, v90 /*v346*/, v151 /*v407*/
	s_set_vgpr_msb 64                       ;  msbs: dst=1 src0=0 src1=0 src2=0
	v_bfe_i32 v2 /*v258*/, v123, 16, 8
	v_bfe_i32 v1 /*v257*/, v121, 16, 8
	s_set_vgpr_msb 0                        ;  msbs: dst=0 src0=0 src1=0 src2=0
	v_pk_mul_f32 v[90:91], v[90:91], s[10:11] op_sel_hi:[1,0]
	v_add3_u32 v125, v255, v93, v125
	s_set_vgpr_msb 5                        ;  msbs: dst=0 src0=1 src1=1 src2=0
	v_mul_i32_i24_e32 v93, v87 /*v343*/, v149 /*v405*/
	s_set_vgpr_msb 0                        ;  msbs: dst=0 src0=0 src1=0 src2=0
	v_bfe_i32 v255, v121, 0, 8
	s_set_vgpr_msb 5                        ;  msbs: dst=0 src0=1 src1=1 src2=0
	s_delay_alu instid0(VALU_DEP_2) | instskip(SKIP_1) | instid1(VALU_DEP_1)
	v_mad_i32_i24 v93, v125 /*v381*/, v148 /*v404*/, v93
	s_set_vgpr_msb 0                        ;  msbs: dst=0 src0=0 src1=0 src2=0
	v_add3_u32 v126, v92, v93, v126
	s_set_vgpr_msb 1                        ;  msbs: dst=0 src0=1 src1=0 src2=0
	v_mul_i32_i24_e32 v92, v16 /*v272*/, v240
	v_mul_i32_i24_e32 v93, v23 /*v279*/, v241
	s_set_vgpr_msb 0                        ;  msbs: dst=0 src0=0 src1=0 src2=0
	s_delay_alu instid0(VALU_DEP_1) | instskip(SKIP_4) | instid1(VALU_DEP_1)
	v_add3_u32 v129, v144, v92, v93
	s_set_vgpr_msb 5                        ;  msbs: dst=0 src0=1 src1=1 src2=0
	v_mul_i32_i24_e32 v92, v16 /*v272*/, v108 /*v364*/
	v_mul_i32_i24_e32 v93, v23 /*v279*/, v118 /*v374*/
	s_set_vgpr_msb 0                        ;  msbs: dst=0 src0=0 src1=0 src2=0
	v_add3_u32 v130, v245, v92, v93
	s_set_vgpr_msb 5                        ;  msbs: dst=0 src0=1 src1=1 src2=0
	v_mul_i32_i24_e32 v92, v16 /*v272*/, v49 /*v305*/
	v_mul_i32_i24_e32 v93, v23 /*v279*/, v124 /*v380*/
	s_set_vgpr_msb 0                        ;  msbs: dst=0 src0=0 src1=0 src2=0
	v_bfe_i32 v245, v109, 0, 8
	s_delay_alu instid0(VALU_DEP_2)
	v_add3_u32 v139, v251, v92, v93
	s_set_vgpr_msb 1                        ;  msbs: dst=0 src0=1 src1=0 src2=0
	v_mul_i32_i24_e32 v92, v59 /*v315*/, v243
	s_set_vgpr_msb 5                        ;  msbs: dst=0 src0=1 src1=1 src2=0
	v_mul_i32_i24_e32 v93, v84 /*v340*/, v68 /*v324*/
	s_set_vgpr_msb 0                        ;  msbs: dst=0 src0=0 src1=0 src2=0
	v_bfe_i32 v251, v109, 16, 8
	s_set_vgpr_msb 64                       ;  msbs: dst=1 src0=0 src1=0 src2=0
	v_bfe_i32 v59 /*v315*/, v117, 16, 8
	v_bfe_i32 v84 /*v340*/, v115, 8, 8
	s_set_vgpr_msb 0                        ;  msbs: dst=0 src0=0 src1=0 src2=0
	v_add3_u32 v136, v136, v93, v92
	s_set_vgpr_msb 1                        ;  msbs: dst=0 src0=1 src1=0 src2=0
	v_mul_i32_i24_e32 v92, v89 /*v345*/, v240
	v_mul_i32_i24_e32 v93, v98 /*v354*/, v241
	s_set_vgpr_msb 0                        ;  msbs: dst=0 src0=0 src1=0 src2=0
	s_delay_alu instid0(VALU_DEP_1) | instskip(SKIP_4) | instid1(VALU_DEP_1)
	v_add3_u32 v141, v142, v92, v93
	s_set_vgpr_msb 5                        ;  msbs: dst=0 src0=1 src1=1 src2=0
	v_mul_i32_i24_e32 v92, v89 /*v345*/, v108 /*v364*/
	v_mul_i32_i24_e32 v93, v98 /*v354*/, v118 /*v374*/
	s_set_vgpr_msb 0                        ;  msbs: dst=0 src0=0 src1=0 src2=0
	v_add3_u32 v142, v242, v92, v93
	s_set_vgpr_msb 5                        ;  msbs: dst=0 src0=1 src1=1 src2=0
	v_mul_i32_i24_e32 v92, v89 /*v345*/, v49 /*v305*/
	v_mul_i32_i24_e32 v93, v98 /*v354*/, v124 /*v380*/
	s_set_vgpr_msb 0                        ;  msbs: dst=0 src0=0 src1=0 src2=0
	s_delay_alu instid0(VALU_DEP_1)
	v_add3_u32 v144, v246, v92, v93
	s_set_vgpr_msb 1                        ;  msbs: dst=0 src0=1 src1=0 src2=0
	v_mul_i32_i24_e32 v92, v18 /*v274*/, v243
	s_set_vgpr_msb 5                        ;  msbs: dst=0 src0=1 src1=1 src2=0
	v_mul_i32_i24_e32 v93, v55 /*v311*/, v68 /*v324*/
	s_set_vgpr_msb 0                        ;  msbs: dst=0 src0=0 src1=0 src2=0
	v_bfe_i32 v246, v123, 0, 8
	s_set_vgpr_msb 64                       ;  msbs: dst=1 src0=0 src1=0 src2=0
	v_ashrrev_i32_e32 v55 /*v311*/, 24, v109
	v_bfe_i32 v18 /*v274*/, v119, 16, 8
	s_set_vgpr_msb 0                        ;  msbs: dst=0 src0=0 src1=0 src2=0
	v_add3_u32 v132, v132, v93, v92
	v_mul_i32_i24_e32 v92, v147, v240
	v_mul_i32_i24_e32 v93, v157, v241
	s_delay_alu instid0(VALU_DEP_1) | instskip(SKIP_4) | instid1(VALU_DEP_1)
	v_add3_u32 v138, v138, v92, v93
	s_set_vgpr_msb 4                        ;  msbs: dst=0 src0=0 src1=1 src2=0
	v_mul_i32_i24_e32 v92, v147, v108 /*v364*/
	v_mul_i32_i24_e32 v93, v157, v118 /*v374*/
	s_set_vgpr_msb 0                        ;  msbs: dst=0 src0=0 src1=0 src2=0
	v_add3_u32 v145, v254, v92, v93
	s_set_vgpr_msb 4                        ;  msbs: dst=0 src0=0 src1=1 src2=0
	v_mul_i32_i24_e32 v92, v147, v49 /*v305*/
	v_mul_i32_i24_e32 v93, v157, v124 /*v380*/
	v_bfe_i32 v254, v121, 8, 8
	s_set_vgpr_msb 0                        ;  msbs: dst=0 src0=0 src1=0 src2=0
	v_mul_i32_i24_e32 v147, v147, v152
	s_set_vgpr_msb 1                        ;  msbs: dst=0 src0=1 src1=0 src2=0
	v_add3_u32 v242, v17 /*v273*/, v92, v93
	v_mul_i32_i24_e32 v92, v63 /*v319*/, v243
	s_set_vgpr_msb 5                        ;  msbs: dst=0 src0=1 src1=1 src2=0
	v_mul_i32_i24_e32 v93, v66 /*v322*/, v68 /*v324*/
	s_set_vgpr_msb 64                       ;  msbs: dst=1 src0=0 src1=0 src2=0
	v_ashrrev_i32_e32 v17 /*v273*/, 24, v121
	v_bfe_i32 v63 /*v319*/, v115, 16, 8
	v_bfe_i32 v66 /*v322*/, v110, 0, 8
	s_set_vgpr_msb 4                        ;  msbs: dst=0 src0=0 src1=1 src2=0
	v_mul_i32_i24_e32 v110, v226, v48 /*v304*/
	s_set_vgpr_msb 0                        ;  msbs: dst=0 src0=0 src1=0 src2=0
	v_add3_u32 v109, v120, v93, v92
	v_mul_i32_i24_e32 v92, v246, v240
	s_set_vgpr_msb 1                        ;  msbs: dst=0 src0=1 src1=0 src2=0
	v_mul_i32_i24_e32 v93, v2 /*v258*/, v241
	s_set_vgpr_msb 0                        ;  msbs: dst=0 src0=0 src1=0 src2=0
	s_delay_alu instid0(VALU_DEP_1)
	v_add3_u32 v120, v128, v92, v93
	s_set_vgpr_msb 4                        ;  msbs: dst=0 src0=0 src1=1 src2=0
	v_mul_i32_i24_e32 v92, v246, v108 /*v364*/
	s_set_vgpr_msb 5                        ;  msbs: dst=0 src0=1 src1=1 src2=0
	v_mul_i32_i24_e32 v93, v2 /*v258*/, v118 /*v374*/
	s_set_vgpr_msb 0                        ;  msbs: dst=0 src0=0 src1=0 src2=0
	s_delay_alu instid0(VALU_DEP_1)
	v_add3_u32 v121, v248, v92, v93
	s_set_vgpr_msb 4                        ;  msbs: dst=0 src0=0 src1=1 src2=0
	v_mul_i32_i24_e32 v92, v246, v49 /*v305*/
	s_set_vgpr_msb 5                        ;  msbs: dst=0 src0=1 src1=1 src2=0
	v_mul_i32_i24_e32 v93, v2 /*v258*/, v124 /*v380*/
	s_set_vgpr_msb 0                        ;  msbs: dst=0 src0=0 src1=0 src2=0
	v_bfe_i32 v248, v119, 0, 8
	s_set_vgpr_msb 1                        ;  msbs: dst=0 src0=1 src1=0 src2=0
	s_delay_alu instid0(VALU_DEP_2)
	v_add3_u32 v123, v19 /*v275*/, v92, v93
	v_mul_i32_i24_e32 v92, v86 /*v342*/, v243
	s_set_vgpr_msb 5                        ;  msbs: dst=0 src0=1 src1=1 src2=0
	v_mul_i32_i24_e32 v93, v97 /*v353*/, v68 /*v324*/
	s_set_vgpr_msb 64                       ;  msbs: dst=1 src0=0 src1=0 src2=0
	v_bfe_i32 v19 /*v275*/, v115, 0, 8
	v_bfe_i32 v86 /*v342*/, v111, 0, 8
	;; [unrolled: 1-line block ×3, first 2 shown]
	s_set_vgpr_msb 0                        ;  msbs: dst=0 src0=0 src1=0 src2=0
	v_add3_u32 v112, v112, v93, v92
	v_mul_i32_i24_e32 v92, v248, v240
	s_set_vgpr_msb 1                        ;  msbs: dst=0 src0=1 src1=0 src2=0
	v_mul_i32_i24_e32 v93, v18 /*v274*/, v241
	s_set_vgpr_msb 0                        ;  msbs: dst=0 src0=0 src1=0 src2=0
	s_delay_alu instid0(VALU_DEP_1)
	v_add3_u32 v119, v122, v92, v93
	s_set_vgpr_msb 4                        ;  msbs: dst=0 src0=0 src1=1 src2=0
	v_mul_i32_i24_e32 v92, v248, v108 /*v364*/
	s_set_vgpr_msb 5                        ;  msbs: dst=0 src0=1 src1=1 src2=0
	v_mul_i32_i24_e32 v93, v18 /*v274*/, v118 /*v374*/
	s_set_vgpr_msb 1                        ;  msbs: dst=0 src0=1 src1=0 src2=0
	s_delay_alu instid0(VALU_DEP_1)
	v_add3_u32 v122, v3 /*v259*/, v92, v93
	s_set_vgpr_msb 4                        ;  msbs: dst=0 src0=0 src1=1 src2=0
	v_mul_i32_i24_e32 v92, v248, v49 /*v305*/
	s_set_vgpr_msb 5                        ;  msbs: dst=0 src0=1 src1=1 src2=0
	v_mul_i32_i24_e32 v93, v18 /*v274*/, v124 /*v380*/
	s_set_vgpr_msb 64                       ;  msbs: dst=1 src0=0 src1=0 src2=0
	v_ashrrev_i32_e32 v3 /*v259*/, 24, v115
	s_set_vgpr_msb 1                        ;  msbs: dst=0 src0=1 src1=0 src2=0
	s_delay_alu instid0(VALU_DEP_2)
	v_add3_u32 v128, v54 /*v310*/, v92, v93
	s_set_vgpr_msb 64                       ;  msbs: dst=1 src0=0 src1=0 src2=0
	v_bfe_i32 v54 /*v310*/, v117, 0, 8
	s_set_vgpr_msb 1                        ;  msbs: dst=0 src0=1 src1=0 src2=0
	v_mul_i32_i24_e32 v92, v96 /*v352*/, v243
	s_set_vgpr_msb 5                        ;  msbs: dst=0 src0=1 src1=1 src2=0
	v_mul_i32_i24_e32 v93, v100 /*v356*/, v68 /*v324*/
	s_set_vgpr_msb 64                       ;  msbs: dst=1 src0=0 src1=0 src2=0
	v_bfe_i32 v96 /*v352*/, v111, 16, 8
	s_set_vgpr_msb 20                       ;  msbs: dst=0 src0=0 src1=1 src2=1
	v_add3_u32 v111, v127, v33 /*v289*/, v32 /*v288*/
	s_set_vgpr_msb 1                        ;  msbs: dst=0 src0=1 src1=0 src2=0
	v_mul_i32_i24_e32 v127, v92 /*v348*/, v241
	s_set_vgpr_msb 64                       ;  msbs: dst=1 src0=0 src1=0 src2=0
	v_bfe_i32 v100 /*v356*/, v113, 8, 8
	s_set_vgpr_msb 0                        ;  msbs: dst=0 src0=0 src1=0 src2=0
	v_add3_u32 v104, v104, v93, v92
	s_set_vgpr_msb 1                        ;  msbs: dst=0 src0=1 src1=0 src2=0
	v_mul_i32_i24_e32 v92, v54 /*v310*/, v240
	v_mul_i32_i24_e32 v93, v59 /*v315*/, v241
	s_set_vgpr_msb 0                        ;  msbs: dst=0 src0=0 src1=0 src2=0
	s_delay_alu instid0(VALU_DEP_1) | instskip(SKIP_4) | instid1(VALU_DEP_1)
	v_add3_u32 v115, v118, v92, v93
	s_set_vgpr_msb 5                        ;  msbs: dst=0 src0=1 src1=1 src2=0
	v_mul_i32_i24_e32 v92, v54 /*v310*/, v108 /*v364*/
	v_mul_i32_i24_e32 v93, v59 /*v315*/, v118 /*v374*/
	s_set_vgpr_msb 1                        ;  msbs: dst=0 src0=1 src1=0 src2=0
	v_add3_u32 v117, v9 /*v265*/, v92, v93
	s_set_vgpr_msb 5                        ;  msbs: dst=0 src0=1 src1=1 src2=0
	v_mul_i32_i24_e32 v92, v54 /*v310*/, v49 /*v305*/
	v_mul_i32_i24_e32 v93, v59 /*v315*/, v124 /*v380*/
	s_set_vgpr_msb 64                       ;  msbs: dst=1 src0=0 src1=0 src2=0
	v_bfe_i32 v9 /*v265*/, v103, 0, 8
	s_set_vgpr_msb 1                        ;  msbs: dst=0 src0=1 src1=0 src2=0
	s_delay_alu instid0(VALU_DEP_2)
	v_add3_u32 v118, v57 /*v313*/, v92, v93
	v_mul_i32_i24_e32 v92, v105 /*v361*/, v243
	s_set_vgpr_msb 5                        ;  msbs: dst=0 src0=1 src1=1 src2=0
	v_mul_i32_i24_e32 v93, v111 /*v367*/, v68 /*v324*/
	s_set_vgpr_msb 64                       ;  msbs: dst=1 src0=0 src1=0 src2=0
	v_ashrrev_i32_e32 v111 /*v367*/, 24, v113
	s_set_vgpr_msb 0                        ;  msbs: dst=0 src0=0 src1=0 src2=0
	v_bfe_i32 v243, v107, 0, 8
	s_set_vgpr_msb 64                       ;  msbs: dst=1 src0=0 src1=0 src2=0
	v_bfe_i32 v105 /*v361*/, v113, 16, 8
	s_set_vgpr_msb 0                        ;  msbs: dst=0 src0=0 src1=0 src2=0
	v_add3_u32 v116, v116, v93, v92
	s_set_vgpr_msb 4                        ;  msbs: dst=0 src0=0 src1=1 src2=0
	v_mul_i32_i24_e32 v93, v226, v130 /*v386*/
	s_set_vgpr_msb 64                       ;  msbs: dst=1 src0=0 src1=0 src2=0
	v_bfe_i32 v130 /*v386*/, v108, 8, 8
	s_set_vgpr_msb 4                        ;  msbs: dst=0 src0=0 src1=1 src2=0
	v_mul_i32_i24_e32 v108, v227, v49 /*v305*/
	v_mul_i32_i24_e32 v92, v227, v108 /*v364*/
	s_set_vgpr_msb 0                        ;  msbs: dst=0 src0=0 src1=0 src2=0
	v_add3_u32 v98, v116, v101, v98
	s_set_vgpr_msb 4                        ;  msbs: dst=0 src0=0 src1=1 src2=0
	v_mul_i32_i24_e32 v101, v221, v123 /*v379*/
	s_set_vgpr_msb 1                        ;  msbs: dst=0 src0=1 src1=0 src2=0
	v_mul_i32_i24_e32 v116, v140 /*v396*/, v146
	s_set_vgpr_msb 0                        ;  msbs: dst=0 src0=0 src1=0 src2=0
	v_add3_u32 v108, v131, v110, v108
	s_set_vgpr_msb 1                        ;  msbs: dst=0 src0=1 src1=0 src2=0
	v_mul_i32_i24_e32 v110, v95 /*v351*/, v240
	v_ashrrev_i32_e32 v240, 24, v107
	s_set_vgpr_msb 5                        ;  msbs: dst=0 src0=1 src1=1 src2=0
	v_mul_i32_i24_e32 v107, v95 /*v351*/, v108 /*v364*/
	v_mul_i32_i24_e32 v131, v92 /*v348*/, v124 /*v380*/
	s_set_vgpr_msb 0                        ;  msbs: dst=0 src0=0 src1=0 src2=0
	v_add3_u32 v113, v135, v93, v92
	v_add3_u32 v110, v133, v110, v127
	s_set_vgpr_msb 5                        ;  msbs: dst=0 src0=1 src1=1 src2=0
	v_mul_i32_i24_e32 v127, v92 /*v348*/, v118 /*v374*/
	s_set_vgpr_msb 64                       ;  msbs: dst=1 src0=0 src1=0 src2=0
	v_bfe_i32 v92 /*v348*/, v105, 8, 8
	s_set_vgpr_msb 1                        ;  msbs: dst=0 src0=1 src1=0 src2=0
	v_cvt_f32_f16_e64 v93, v14 /*v270*/
	s_set_vgpr_msb 64                       ;  msbs: dst=1 src0=0 src1=0 src2=0
	v_ashrrev_i32_e32 v14 /*v270*/, 24, v103
	s_set_vgpr_msb 1                        ;  msbs: dst=0 src0=1 src1=0 src2=0
	v_cvt_f32_f16_e64 v92, v15 /*v271*/
	s_set_vgpr_msb 0                        ;  msbs: dst=0 src0=0 src1=0 src2=0
	v_add3_u32 v127, v137, v107, v127
	s_set_vgpr_msb 5                        ;  msbs: dst=0 src0=1 src1=1 src2=0
	v_mul_i32_i24_e32 v107, v95 /*v351*/, v49 /*v305*/
	s_set_vgpr_msb 64                       ;  msbs: dst=1 src0=0 src1=0 src2=0
	v_bfe_i32 v95 /*v351*/, v105, 0, 8
	s_set_vgpr_msb 0x45                     ;  msbs: dst=1 src0=1 src1=1 src2=0
	v_mul_i32_i24_e32 v15 /*v271*/, v35 /*v291*/, v26 /*v282*/
	s_set_vgpr_msb 0                        ;  msbs: dst=0 src0=0 src1=0 src2=0
	v_pk_mul_f32 v[92:93], v[92:93], s[10:11] op_sel_hi:[1,0]
	v_add3_u32 v131, v95, v107, v131
	s_set_vgpr_msb 4                        ;  msbs: dst=0 src0=0 src1=1 src2=0
	v_mul_i32_i24_e32 v95, v237, v68 /*v324*/
	v_mul_i32_i24_e32 v107, v214, v124 /*v380*/
	;; [unrolled: 1-line block ×3, first 2 shown]
	s_set_vgpr_msb 0                        ;  msbs: dst=0 src0=0 src1=0 src2=0
	s_delay_alu instid0(VALU_DEP_3) | instskip(SKIP_4) | instid1(VALU_DEP_1)
	v_add3_u32 v105, v125, v97, v95
	s_set_vgpr_msb 5                        ;  msbs: dst=0 src0=1 src1=1 src2=0
	v_mul_i32_i24_e32 v95, v61 /*v317*/, v93 /*v349*/
	v_mul_i32_i24_e32 v97, v62 /*v318*/, v110 /*v366*/
	s_set_vgpr_msb 0                        ;  msbs: dst=0 src0=0 src1=0 src2=0
	v_add3_u32 v125, v126, v95, v97
	s_set_vgpr_msb 1                        ;  msbs: dst=0 src0=1 src1=0 src2=0
	v_mul_i32_i24_e32 v95, v5 /*v261*/, v229
	v_mul_i32_i24_e32 v97, v37 /*v293*/, v230
	s_set_vgpr_msb 0                        ;  msbs: dst=0 src0=0 src1=0 src2=0
	s_delay_alu instid0(VALU_DEP_1) | instskip(SKIP_4) | instid1(VALU_DEP_1)
	v_add3_u32 v126, v129, v97, v95
	s_set_vgpr_msb 5                        ;  msbs: dst=0 src0=1 src1=1 src2=0
	v_mul_i32_i24_e32 v95, v5 /*v261*/, v103 /*v359*/
	v_mul_i32_i24_e32 v97, v37 /*v293*/, v113 /*v369*/
	s_set_vgpr_msb 0                        ;  msbs: dst=0 src0=0 src1=0 src2=0
	v_add3_u32 v129, v130, v97, v95
	s_set_vgpr_msb 5                        ;  msbs: dst=0 src0=1 src1=1 src2=0
	v_mul_i32_i24_e32 v95, v5 /*v261*/, v119 /*v375*/
	v_mul_i32_i24_e32 v97, v37 /*v293*/, v72 /*v328*/
	s_set_vgpr_msb 0x41                     ;  msbs: dst=1 src0=1 src1=0 src2=0
	v_mul_i32_i24_e32 v5 /*v261*/, v5 /*v261*/, v236
	s_set_vgpr_msb 0                        ;  msbs: dst=0 src0=0 src1=0 src2=0
	s_delay_alu instid0(VALU_DEP_2)
	v_add3_u32 v130, v139, v97, v95
	v_mul_i32_i24_e32 v95, v140, v239
	s_set_vgpr_msb 1                        ;  msbs: dst=0 src0=1 src1=0 src2=0
	v_mul_i32_i24_e32 v97, v126 /*v382*/, v250
	s_set_vgpr_msb 64                       ;  msbs: dst=1 src0=0 src1=0 src2=0
	v_bfe_i32 v126 /*v382*/, v103, 16, 8
	s_set_vgpr_msb 4                        ;  msbs: dst=0 src0=0 src1=1 src2=0
	v_mul_i32_i24_e32 v103, v211, v43 /*v299*/
	s_set_vgpr_msb 0                        ;  msbs: dst=0 src0=0 src1=0 src2=0
	v_add3_u32 v133, v136, v97, v95
	s_set_vgpr_msb 1                        ;  msbs: dst=0 src0=1 src1=0 src2=0
	v_mul_i32_i24_e32 v95, v80 /*v336*/, v229
	v_mul_i32_i24_e32 v97, v101 /*v357*/, v230
	s_set_vgpr_msb 0                        ;  msbs: dst=0 src0=0 src1=0 src2=0
	s_delay_alu instid0(VALU_DEP_1)
	v_add3_u32 v135, v141, v97, v95
	s_set_vgpr_msb 5                        ;  msbs: dst=0 src0=1 src1=1 src2=0
	v_mul_i32_i24_e32 v95, v80 /*v336*/, v103 /*v359*/
	v_mul_i32_i24_e32 v97, v101 /*v357*/, v113 /*v369*/
	s_set_vgpr_msb 4                        ;  msbs: dst=0 src0=0 src1=1 src2=0
	v_mul_i32_i24_e32 v141, v205, v106 /*v362*/
	s_set_vgpr_msb 0                        ;  msbs: dst=0 src0=0 src1=0 src2=0
	s_delay_alu instid0(VALU_DEP_2)
	v_add3_u32 v136, v142, v97, v95
	s_set_vgpr_msb 5                        ;  msbs: dst=0 src0=1 src1=1 src2=0
	v_mul_i32_i24_e32 v95, v80 /*v336*/, v119 /*v375*/
	v_mul_i32_i24_e32 v97, v101 /*v357*/, v72 /*v328*/
	s_set_vgpr_msb 4                        ;  msbs: dst=0 src0=0 src1=1 src2=0
	v_mul_i32_i24_e32 v142, v215, v103 /*v359*/
	s_set_vgpr_msb 0                        ;  msbs: dst=0 src0=0 src1=0 src2=0
	s_delay_alu instid0(VALU_DEP_2)
	v_add3_u32 v137, v144, v97, v95
	v_mul_i32_i24_e32 v95, v134, v239
	v_mul_i32_i24_e32 v97, v252, v250
	v_add3_u32 v144, v111, v233, v232
	s_set_vgpr_msb 4                        ;  msbs: dst=0 src0=0 src1=1 src2=0
	v_mul_i32_i24_e32 v111, v226, v60 /*v316*/
	s_set_vgpr_msb 0                        ;  msbs: dst=0 src0=0 src1=0 src2=0
	v_mul_i32_i24_e32 v232, v216, v148
	s_set_vgpr_msb 4                        ;  msbs: dst=0 src0=0 src1=1 src2=0
	v_mul_i32_i24_e32 v233, v205, v120 /*v376*/
	s_set_vgpr_msb 0                        ;  msbs: dst=0 src0=0 src1=0 src2=0
	v_add3_u32 v132, v132, v97, v95
	s_set_vgpr_msb 1                        ;  msbs: dst=0 src0=1 src1=0 src2=0
	v_mul_i32_i24_e32 v95, v129 /*v385*/, v229
	s_set_vgpr_msb 0                        ;  msbs: dst=0 src0=0 src1=0 src2=0
	v_mul_i32_i24_e32 v97, v161, v230
	v_add3_u32 v224, v144, v225, v224
	s_set_vgpr_msb 4                        ;  msbs: dst=0 src0=0 src1=1 src2=0
	v_mul_i32_i24_e32 v144, v153, v122 /*v378*/
	s_set_vgpr_msb 5                        ;  msbs: dst=0 src0=1 src1=1 src2=0
	v_mul_i32_i24_e32 v252, v35 /*v291*/, v117 /*v373*/
	s_set_vgpr_msb 0                        ;  msbs: dst=0 src0=0 src1=0 src2=0
	v_add3_u32 v134, v138, v97, v95
	s_set_vgpr_msb 5                        ;  msbs: dst=0 src0=1 src1=1 src2=0
	v_mul_i32_i24_e32 v95, v129 /*v385*/, v103 /*v359*/
	s_set_vgpr_msb 4                        ;  msbs: dst=0 src0=0 src1=1 src2=0
	v_mul_i32_i24_e32 v97, v161, v113 /*v369*/
	s_set_vgpr_msb 0                        ;  msbs: dst=0 src0=0 src1=0 src2=0
	s_delay_alu instid0(VALU_DEP_1)
	v_add3_u32 v138, v145, v97, v95
	s_set_vgpr_msb 5                        ;  msbs: dst=0 src0=1 src1=1 src2=0
	v_mul_i32_i24_e32 v95, v129 /*v385*/, v119 /*v375*/
	s_set_vgpr_msb 4                        ;  msbs: dst=0 src0=0 src1=1 src2=0
	v_mul_i32_i24_e32 v97, v161, v72 /*v328*/
	s_set_vgpr_msb 0                        ;  msbs: dst=0 src0=0 src1=0 src2=0
	v_mul_i32_i24_e32 v161, v161, v235
	s_delay_alu instid0(VALU_DEP_2)
	v_add3_u32 v139, v242, v97, v95
	v_mul_i32_i24_e32 v95, v124, v239
	v_mul_i32_i24_e32 v97, v253, v250
	s_set_vgpr_msb 4                        ;  msbs: dst=0 src0=0 src1=1 src2=0
	v_mul_i32_i24_e32 v253, v218, v27 /*v283*/
	s_set_vgpr_msb 0                        ;  msbs: dst=0 src0=0 src1=0 src2=0
	s_delay_alu instid0(VALU_DEP_2) | instskip(SKIP_4) | instid1(VALU_DEP_1)
	v_add3_u32 v109, v109, v97, v95
	s_set_vgpr_msb 1                        ;  msbs: dst=0 src0=1 src1=0 src2=0
	v_mul_i32_i24_e32 v95, v19 /*v275*/, v229
	v_mul_i32_i24_e32 v97, v3 /*v259*/, v230
	s_set_vgpr_msb 0                        ;  msbs: dst=0 src0=0 src1=0 src2=0
	v_add3_u32 v120, v120, v97, v95
	s_set_vgpr_msb 5                        ;  msbs: dst=0 src0=1 src1=1 src2=0
	v_mul_i32_i24_e32 v95, v19 /*v275*/, v103 /*v359*/
	v_mul_i32_i24_e32 v97, v3 /*v259*/, v113 /*v369*/
	s_set_vgpr_msb 0                        ;  msbs: dst=0 src0=0 src1=0 src2=0
	s_delay_alu instid0(VALU_DEP_1) | instskip(SKIP_4) | instid1(VALU_DEP_1)
	v_add3_u32 v121, v121, v97, v95
	s_set_vgpr_msb 5                        ;  msbs: dst=0 src0=1 src1=1 src2=0
	v_mul_i32_i24_e32 v95, v19 /*v275*/, v119 /*v375*/
	v_mul_i32_i24_e32 v97, v3 /*v259*/, v72 /*v328*/
	s_set_vgpr_msb 0                        ;  msbs: dst=0 src0=0 src1=0 src2=0
	v_add3_u32 v123, v123, v97, v95
	v_mul_i32_i24_e32 v95, v114, v239
	s_set_vgpr_msb 1                        ;  msbs: dst=0 src0=1 src1=0 src2=0
	v_mul_i32_i24_e32 v97, v67 /*v323*/, v250
	s_set_vgpr_msb 0                        ;  msbs: dst=0 src0=0 src1=0 src2=0
	s_delay_alu instid0(VALU_DEP_1) | instskip(SKIP_2) | instid1(VALU_DEP_1)
	v_add3_u32 v112, v112, v97, v95
	v_mul_i32_i24_e32 v95, v243, v229
	v_mul_i32_i24_e32 v97, v240, v230
	v_add3_u32 v114, v119, v97, v95
	s_set_vgpr_msb 4                        ;  msbs: dst=0 src0=0 src1=1 src2=0
	v_mul_i32_i24_e32 v95, v243, v103 /*v359*/
	v_mul_i32_i24_e32 v97, v240, v113 /*v369*/
	s_set_vgpr_msb 0                        ;  msbs: dst=0 src0=0 src1=0 src2=0
	s_delay_alu instid0(VALU_DEP_1)
	v_add3_u32 v119, v122, v97, v95
	s_set_vgpr_msb 4                        ;  msbs: dst=0 src0=0 src1=1 src2=0
	v_mul_i32_i24_e32 v95, v243, v119 /*v375*/
	v_mul_i32_i24_e32 v97, v240, v72 /*v328*/
	s_set_vgpr_msb 5                        ;  msbs: dst=0 src0=1 src1=1 src2=0
	v_mul_i32_i24_e32 v122, v84 /*v340*/, v106 /*v362*/
	s_set_vgpr_msb 0                        ;  msbs: dst=0 src0=0 src1=0 src2=0
	s_delay_alu instid0(VALU_DEP_2)
	v_add3_u32 v124, v128, v97, v95
	v_mul_i32_i24_e32 v95, v106, v239
	s_set_vgpr_msb 1                        ;  msbs: dst=0 src0=1 src1=0 src2=0
	v_mul_i32_i24_e32 v97, v69 /*v325*/, v250
	s_set_vgpr_msb 4                        ;  msbs: dst=0 src0=0 src1=1 src2=0
	v_mul_i32_i24_e32 v106, v214, v118 /*v374*/
	s_set_vgpr_msb 0                        ;  msbs: dst=0 src0=0 src1=0 src2=0
	v_mul_i32_i24_e32 v250, v218, v100
	v_add3_u32 v128, v104, v97, v95
	s_set_vgpr_msb 4                        ;  msbs: dst=0 src0=0 src1=1 src2=0
	v_mul_i32_i24_e32 v104, v221, v115 /*v371*/
	s_set_vgpr_msb 1                        ;  msbs: dst=0 src0=1 src1=0 src2=0
	v_mul_i32_i24_e32 v95, v9 /*v265*/, v229
	v_mul_i32_i24_e32 v97, v14 /*v270*/, v230
	s_set_vgpr_msb 0                        ;  msbs: dst=0 src0=0 src1=0 src2=0
	v_add3_u32 v145, v113, v106, v104
	v_mul_i32_i24_e32 v104, v238, v229
	v_mul_i32_i24_e32 v106, v162, v230
	v_add3_u32 v229, v108, v107, v101
	s_set_vgpr_msb 4                        ;  msbs: dst=0 src0=0 src1=1 src2=0
	v_mul_i32_i24_e32 v101, v238, v103 /*v359*/
	s_set_vgpr_msb 0                        ;  msbs: dst=0 src0=0 src1=0 src2=0
	v_add3_u32 v115, v115, v97, v95
	s_set_vgpr_msb 5                        ;  msbs: dst=0 src0=1 src1=1 src2=0
	v_mul_i32_i24_e32 v95, v9 /*v265*/, v103 /*v359*/
	s_set_vgpr_msb 0                        ;  msbs: dst=0 src0=0 src1=0 src2=0
	v_add3_u32 v230, v110, v106, v104
	s_set_vgpr_msb 4                        ;  msbs: dst=0 src0=0 src1=1 src2=0
	v_mul_i32_i24_e32 v104, v162, v113 /*v369*/
	v_mul_i32_i24_e32 v106, v238, v119 /*v375*/
	;; [unrolled: 1-line block ×3, first 2 shown]
	s_set_vgpr_msb 5                        ;  msbs: dst=0 src0=1 src1=1 src2=0
	v_mul_i32_i24_e32 v97, v14 /*v270*/, v113 /*v369*/
	s_set_vgpr_msb 0                        ;  msbs: dst=0 src0=0 src1=0 src2=0
	v_add3_u32 v225, v145, v142, v141
	v_add3_u32 v238, v127, v104, v101
	v_mul_i32_i24_e32 v101, v227, v152
	s_set_vgpr_msb 5                        ;  msbs: dst=0 src0=1 src1=1 src2=0
	v_mul_i32_i24_e32 v104, v73 /*v329*/, v109 /*v365*/
	s_set_vgpr_msb 0                        ;  msbs: dst=0 src0=0 src1=0 src2=0
	v_add3_u32 v227, v131, v110, v106
	s_set_vgpr_msb 4                        ;  msbs: dst=0 src0=0 src1=1 src2=0
	v_mul_i32_i24_e32 v106, v154, v133 /*v389*/
	s_set_vgpr_msb 1                        ;  msbs: dst=0 src0=1 src1=0 src2=0
	v_mul_i32_i24_e32 v110, v29 /*v285*/, v223
	s_set_vgpr_msb 0                        ;  msbs: dst=0 src0=0 src1=0 src2=0
	v_add3_u32 v226, v105, v111, v101
	s_set_vgpr_msb 1                        ;  msbs: dst=0 src0=1 src1=0 src2=0
	v_mul_i32_i24_e32 v101, v11 /*v267*/, v222
	s_set_vgpr_msb 5                        ;  msbs: dst=0 src0=1 src1=1 src2=0
	v_mul_i32_i24_e32 v105, v29 /*v285*/, v106 /*v362*/
	s_set_vgpr_msb 0                        ;  msbs: dst=0 src0=0 src1=0 src2=0
	v_add3_u32 v131, v125, v104, v106
	s_set_vgpr_msb 1                        ;  msbs: dst=0 src0=1 src1=0 src2=0
	v_mul_i32_i24_e32 v104, v11 /*v267*/, v148
	v_mul_i32_i24_e32 v106, v11 /*v267*/, v146
	s_set_vgpr_msb 0                        ;  msbs: dst=0 src0=0 src1=0 src2=0
	v_add3_u32 v239, v126, v110, v101
	s_set_vgpr_msb 5                        ;  msbs: dst=0 src0=1 src1=1 src2=0
	v_mul_i32_i24_e32 v101, v29 /*v285*/, v120 /*v376*/
	v_mul_i32_i24_e32 v110, v22 /*v278*/, v60 /*v316*/
	s_set_vgpr_msb 0                        ;  msbs: dst=0 src0=0 src1=0 src2=0
	v_add3_u32 v241, v129, v105, v104
	v_mul_i32_i24_e32 v104, v143, v228
	s_set_vgpr_msb 1                        ;  msbs: dst=0 src0=1 src1=0 src2=0
	v_mul_i32_i24_e32 v105, v4 /*v260*/, v223
	s_set_vgpr_msb 0                        ;  msbs: dst=0 src0=0 src1=0 src2=0
	v_add3_u32 v242, v130, v101, v106
	s_set_vgpr_msb 1                        ;  msbs: dst=0 src0=1 src1=0 src2=0
	v_mul_i32_i24_e32 v101, v81 /*v337*/, v222
	s_set_vgpr_msb 5                        ;  msbs: dst=0 src0=1 src1=1 src2=0
	v_mul_i32_i24_e32 v106, v4 /*v260*/, v106 /*v362*/
	s_set_vgpr_msb 64                       ;  msbs: dst=1 src0=0 src1=0 src2=0
	v_add3_u32 v22 /*v278*/, v133, v104, v110
	s_set_vgpr_msb 1                        ;  msbs: dst=0 src0=1 src1=0 src2=0
	v_mul_i32_i24_e32 v104, v81 /*v337*/, v148
	s_set_vgpr_msb 5                        ;  msbs: dst=0 src0=1 src1=1 src2=0
	v_mul_i32_i24_e32 v110, v91 /*v347*/, v106 /*v362*/
	s_set_vgpr_msb 64                       ;  msbs: dst=1 src0=0 src1=0 src2=0
	v_add3_u32 v32 /*v288*/, v135, v105, v101
	s_set_vgpr_msb 5                        ;  msbs: dst=0 src0=1 src1=1 src2=0
	v_mul_i32_i24_e32 v101, v4 /*v260*/, v120 /*v376*/
	s_set_vgpr_msb 1                        ;  msbs: dst=0 src0=1 src1=0 src2=0
	v_mul_i32_i24_e32 v105, v81 /*v337*/, v146
	s_set_vgpr_msb 64                       ;  msbs: dst=1 src0=0 src1=0 src2=0
	v_add3_u32 v33 /*v289*/, v136, v106, v104
	s_set_vgpr_msb 1                        ;  msbs: dst=0 src0=1 src1=0 src2=0
	v_mul_i32_i24_e32 v104, v64 /*v320*/, v228
	v_mul_i32_i24_e32 v106, v91 /*v347*/, v223
	s_set_vgpr_msb 0                        ;  msbs: dst=0 src0=0 src1=0 src2=0
	v_add3_u32 v140, v117, v97, v95
	s_set_vgpr_msb 64                       ;  msbs: dst=1 src0=0 src1=0 src2=0
	v_add3_u32 v48 /*v304*/, v137, v101, v105
	s_set_vgpr_msb 1                        ;  msbs: dst=0 src0=1 src1=0 src2=0
	v_mul_i32_i24_e32 v101, v140 /*v396*/, v222
	s_set_vgpr_msb 5                        ;  msbs: dst=0 src0=1 src1=1 src2=0
	v_mul_i32_i24_e32 v105, v58 /*v314*/, v60 /*v316*/
	v_mul_i32_i24_e32 v95, v9 /*v265*/, v119 /*v375*/
	;; [unrolled: 1-line block ×3, first 2 shown]
	s_set_vgpr_msb 4                        ;  msbs: dst=0 src0=0 src1=1 src2=0
	v_mul_i32_i24_e32 v141, v159, v106 /*v362*/
	s_set_vgpr_msb 64                       ;  msbs: dst=1 src0=0 src1=0 src2=0
	v_add3_u32 v57 /*v313*/, v134, v106, v101
	v_add3_u32 v49 /*v305*/, v132, v104, v105
	s_set_vgpr_msb 1                        ;  msbs: dst=0 src0=1 src1=0 src2=0
	v_mul_i32_i24_e32 v104, v140 /*v396*/, v148
	s_set_vgpr_msb 5                        ;  msbs: dst=0 src0=1 src1=1 src2=0
	v_mul_i32_i24_e32 v101, v91 /*v347*/, v120 /*v376*/
	s_set_vgpr_msb 0                        ;  msbs: dst=0 src0=0 src1=0 src2=0
	v_add3_u32 v118, v118, v97, v95
	v_mul_i32_i24_e32 v134, v159, v223
	s_set_vgpr_msb 4                        ;  msbs: dst=0 src0=0 src1=1 src2=0
	v_mul_i32_i24_e32 v142, v159, v120 /*v376*/
	s_set_vgpr_msb 64                       ;  msbs: dst=1 src0=0 src1=0 src2=0
	v_add3_u32 v58 /*v314*/, v138, v110, v104
	s_set_vgpr_msb 1                        ;  msbs: dst=0 src0=1 src1=0 src2=0
	v_mul_i32_i24_e32 v104, v65 /*v321*/, v228
	v_mul_i32_i24_e32 v110, v84 /*v340*/, v223
	s_set_vgpr_msb 64                       ;  msbs: dst=1 src0=0 src1=0 src2=0
	v_add3_u32 v64 /*v320*/, v139, v101, v116
	s_set_vgpr_msb 1                        ;  msbs: dst=0 src0=1 src1=0 src2=0
	v_mul_i32_i24_e32 v116, v63 /*v319*/, v222
	s_set_vgpr_msb 4                        ;  msbs: dst=0 src0=0 src1=1 src2=0
	v_mul_i32_i24_e32 v101, v247, v60 /*v316*/
	s_set_vgpr_msb 0                        ;  msbs: dst=0 src0=0 src1=0 src2=0
	v_mul_i32_i24_e32 v159, v160, v222
	v_mul_i32_i24_e32 v162, v216, v146
	s_set_vgpr_msb 4                        ;  msbs: dst=0 src0=0 src1=1 src2=0
	v_mul_i32_i24_e32 v135, v153, v45 /*v301*/
	s_set_vgpr_msb 64                       ;  msbs: dst=1 src0=0 src1=0 src2=0
	v_add3_u32 v65 /*v321*/, v120, v110, v116
	s_set_vgpr_msb 0                        ;  msbs: dst=0 src0=0 src1=0 src2=0
	v_add3_u32 v247, v109, v104, v101
	s_set_vgpr_msb 1                        ;  msbs: dst=0 src0=1 src1=0 src2=0
	v_mul_i32_i24_e32 v104, v63 /*v319*/, v148
	s_set_vgpr_msb 5                        ;  msbs: dst=0 src0=1 src1=1 src2=0
	v_mul_i32_i24_e32 v109, v84 /*v340*/, v120 /*v376*/
	s_set_vgpr_msb 1                        ;  msbs: dst=0 src0=1 src1=0 src2=0
	v_mul_i32_i24_e32 v110, v63 /*v319*/, v146
	v_mul_i32_i24_e32 v116, v53 /*v309*/, v228
	s_set_vgpr_msb 5                        ;  msbs: dst=0 src0=1 src1=1 src2=0
	v_mul_i32_i24_e32 v120, v21 /*v277*/, v60 /*v316*/
	s_set_vgpr_msb 64                       ;  msbs: dst=1 src0=0 src1=0 src2=0
	v_add3_u32 v67 /*v323*/, v121, v122, v104
	s_set_vgpr_msb 1                        ;  msbs: dst=0 src0=1 src1=0 src2=0
	v_mul_i32_i24_e32 v121, v158 /*v414*/, v223
	s_set_vgpr_msb 64                       ;  msbs: dst=1 src0=0 src1=0 src2=0
	v_add3_u32 v53 /*v309*/, v123, v109, v110
	s_set_vgpr_msb 1                        ;  msbs: dst=0 src0=1 src1=0 src2=0
	v_mul_i32_i24_e32 v109, v159 /*v415*/, v222
	s_set_vgpr_msb 5                        ;  msbs: dst=0 src0=1 src1=1 src2=0
	v_mul_i32_i24_e32 v110, v158 /*v414*/, v106 /*v362*/
	s_set_vgpr_msb 64                       ;  msbs: dst=1 src0=0 src1=0 src2=0
	v_add3_u32 v21 /*v277*/, v112, v116, v120
	s_set_vgpr_msb 1                        ;  msbs: dst=0 src0=1 src1=0 src2=0
	v_mul_i32_i24_e32 v112, v159 /*v415*/, v148
	s_set_vgpr_msb 5                        ;  msbs: dst=0 src0=1 src1=1 src2=0
	v_mul_i32_i24_e32 v116, v20 /*v276*/, v60 /*v316*/
	s_set_vgpr_msb 64                       ;  msbs: dst=1 src0=0 src1=0 src2=0
	v_add3_u32 v68 /*v324*/, v114, v121, v109
	s_set_vgpr_msb 5                        ;  msbs: dst=0 src0=1 src1=1 src2=0
	v_mul_i32_i24_e32 v109, v158 /*v414*/, v120 /*v376*/
	s_set_vgpr_msb 1                        ;  msbs: dst=0 src0=1 src1=0 src2=0
	v_mul_i32_i24_e32 v114, v159 /*v415*/, v146
	s_set_vgpr_msb 64                       ;  msbs: dst=1 src0=0 src1=0 src2=0
	v_add3_u32 v69 /*v325*/, v119, v110, v112
	s_set_vgpr_msb 1                        ;  msbs: dst=0 src0=1 src1=0 src2=0
	v_mul_i32_i24_e32 v110, v34 /*v290*/, v228
	v_mul_i32_i24_e32 v112, v167 /*v423*/, v223
	s_set_vgpr_msb 4                        ;  msbs: dst=0 src0=0 src1=1 src2=0
	v_mul_i32_i24_e32 v104, v154, v44 /*v300*/
	s_set_vgpr_msb 64                       ;  msbs: dst=1 src0=0 src1=0 src2=0
	v_add3_u32 v34 /*v290*/, v124, v109, v114
	s_set_vgpr_msb 1                        ;  msbs: dst=0 src0=1 src1=0 src2=0
	v_mul_i32_i24_e32 v109, v126 /*v382*/, v222
	s_set_vgpr_msb 5                        ;  msbs: dst=0 src0=1 src1=1 src2=0
	v_mul_i32_i24_e32 v114, v167 /*v423*/, v106 /*v362*/
	s_set_vgpr_msb 64                       ;  msbs: dst=1 src0=0 src1=0 src2=0
	v_add3_u32 v20 /*v276*/, v128, v110, v116
	s_set_vgpr_msb 1                        ;  msbs: dst=0 src0=1 src1=0 src2=0
	v_mul_i32_i24_e32 v110, v126 /*v382*/, v148
	s_set_vgpr_msb 5                        ;  msbs: dst=0 src0=1 src1=1 src2=0
	v_mul_i32_i24_e32 v116, v167 /*v423*/, v120 /*v376*/
	s_set_vgpr_msb 64                       ;  msbs: dst=1 src0=0 src1=0 src2=0
	v_add3_u32 v72 /*v328*/, v115, v112, v109
	s_set_vgpr_msb 1                        ;  msbs: dst=0 src0=1 src1=0 src2=0
	v_mul_i32_i24_e32 v109, v126 /*v382*/, v146
	s_set_vgpr_msb 0                        ;  msbs: dst=0 src0=0 src1=0 src2=0
	v_mul_i32_i24_e32 v148, v160, v148
	s_set_vgpr_msb 64                       ;  msbs: dst=1 src0=0 src1=0 src2=0
	v_add3_u32 v74 /*v330*/, v140, v114, v110
	s_set_vgpr_msb 5                        ;  msbs: dst=0 src0=1 src1=1 src2=0
	v_mul_i32_i24_e32 v110, v70 /*v326*/, v60 /*v316*/
	s_set_vgpr_msb 0                        ;  msbs: dst=0 src0=0 src1=0 src2=0
	v_mul_i32_i24_e32 v132, v221, v228
	s_set_vgpr_msb 64                       ;  msbs: dst=1 src0=0 src1=0 src2=0
	v_add3_u32 v77 /*v333*/, v118, v116, v109
	s_set_vgpr_msb 1                        ;  msbs: dst=0 src0=1 src1=0 src2=0
	v_mul_i32_i24_e32 v109, v71 /*v327*/, v228
	s_set_vgpr_msb 0                        ;  msbs: dst=0 src0=0 src1=0 src2=0
	v_mul_i32_i24_e32 v160, v160, v146
	s_set_vgpr_msb 4                        ;  msbs: dst=0 src0=0 src1=1 src2=0
	v_mul_i32_i24_e32 v115, v154, v114 /*v370*/
	v_mul_i32_i24_e32 v145, v153, v138 /*v394*/
	s_set_vgpr_msb 0                        ;  msbs: dst=0 src0=0 src1=0 src2=0
	v_mul_i32_i24_e32 v153, v214, v150
	v_add3_u32 v98, v98, v109, v110
	s_set_vgpr_msb 4                        ;  msbs: dst=0 src0=0 src1=1 src2=0
	v_mul_i32_i24_e32 v110, v154, v112 /*v368*/
	s_set_vgpr_msb 0x44                     ;  msbs: dst=1 src0=0 src1=1 src2=0
	v_mul_i32_i24_e32 v60 /*v316*/, v216, v24 /*v280*/
	s_set_vgpr_msb 0                        ;  msbs: dst=0 src0=0 src1=0 src2=0
	v_add3_u32 v154, v230, v134, v159
	v_add3_u32 v216, v238, v141, v148
	s_set_vgpr_msb 1                        ;  msbs: dst=0 src0=1 src1=0 src2=0
	v_mul_i32_i24_e32 v134, v152 /*v408*/, v206
	v_mul_i32_i24_e32 v141, v99 /*v355*/, v207
	s_set_vgpr_msb 4                        ;  msbs: dst=0 src0=0 src1=1 src2=0
	v_cvt_f32_f16_e32 v95, v94
	v_cvt_f32_f16_e64 v94, v231
	v_mul_i32_i24_e32 v231, v217, v113 /*v369*/
	s_set_vgpr_msb 0                        ;  msbs: dst=0 src0=0 src1=0 src2=0
	v_mul_i32_i24_e32 v107, v219, v163
	s_set_vgpr_msb 4                        ;  msbs: dst=0 src0=0 src1=1 src2=0
	v_mul_i32_i24_e32 v111, v219, v52 /*v308*/
	s_set_vgpr_msb 5                        ;  msbs: dst=0 src0=1 src1=1 src2=0
	v_mul_i32_i24_e32 v105, v61 /*v317*/, v36 /*v292*/
	v_mul_i32_i24_e32 v114, v61 /*v317*/, v50 /*v306*/
	;; [unrolled: 1-line block ×3, first 2 shown]
	s_set_vgpr_msb 64                       ;  msbs: dst=1 src0=0 src1=0 src2=0
	v_mul_i32_i24_e32 v61 /*v317*/, v217, v235
	s_set_vgpr_msb 4                        ;  msbs: dst=0 src0=0 src1=1 src2=0
	v_mul_i32_i24_e32 v139, v219, v76 /*v332*/
	s_set_vgpr_msb 0                        ;  msbs: dst=0 src0=0 src1=0 src2=0
	v_add3_u32 v217, v227, v142, v160
	s_set_vgpr_msb 5                        ;  msbs: dst=0 src0=1 src1=1 src2=0
	v_mul_i32_i24_e32 v142, v152 /*v408*/, v117 /*v373*/
	s_set_vgpr_msb 0                        ;  msbs: dst=0 src0=0 src1=0 src2=0
	v_add3_u32 v219, v226, v153, v132
	s_set_vgpr_msb 5                        ;  msbs: dst=0 src0=1 src1=1 src2=0
	v_mul_i32_i24_e32 v132, v99 /*v355*/, v25 /*v281*/
	;; [unrolled: 4-line block ×3, first 2 shown]
	s_set_vgpr_msb 1                        ;  msbs: dst=0 src0=1 src1=0 src2=0
	v_mul_i32_i24_e32 v141, v99 /*v355*/, v149
	s_set_vgpr_msb 4                        ;  msbs: dst=0 src0=0 src1=1 src2=0
	v_mul_i32_i24_e32 v126, v212, v85 /*v341*/
	s_set_vgpr_msb 0                        ;  msbs: dst=0 src0=0 src1=0 src2=0
	v_add3_u32 v222, v241, v132, v142
	s_set_vgpr_msb 1                        ;  msbs: dst=0 src0=1 src1=0 src2=0
	v_mul_i32_i24_e32 v132, v16 /*v272*/, v152
	v_mul_i32_i24_e32 v142, v23 /*v279*/, v150
	s_set_vgpr_msb 0                        ;  msbs: dst=0 src0=0 src1=0 src2=0
	v_add3_u32 v226, v242, v141, v134
	s_set_vgpr_msb 1                        ;  msbs: dst=0 src0=1 src1=0 src2=0
	v_mul_i32_i24_e32 v134, v136 /*v392*/, v206
	v_mul_i32_i24_e32 v141, v31 /*v287*/, v207
	s_set_vgpr_msb 4                        ;  msbs: dst=0 src0=0 src1=1 src2=0
	v_mul_i32_i24_e32 v130, v212, v132 /*v388*/
	s_set_vgpr_msb 1                        ;  msbs: dst=0 src0=1 src1=0 src2=0
	v_add3_u32 v227, v22 /*v278*/, v132, v142
	s_set_vgpr_msb 5                        ;  msbs: dst=0 src0=1 src1=1 src2=0
	v_mul_i32_i24_e32 v132, v136 /*v392*/, v117 /*v373*/
	s_set_vgpr_msb 1                        ;  msbs: dst=0 src0=1 src1=0 src2=0
	v_mul_i32_i24_e32 v148, v31 /*v287*/, v149
	v_add3_u32 v230, v32 /*v288*/, v141, v134
	s_set_vgpr_msb 5                        ;  msbs: dst=0 src0=1 src1=1 src2=0
	v_mul_i32_i24_e32 v134, v31 /*v287*/, v25 /*v281*/
	s_set_vgpr_msb 4                        ;  msbs: dst=0 src0=0 src1=1 src2=0
	v_mul_i32_i24_e32 v141, v212, v148 /*v404*/
	v_mul_i32_i24_e32 v108, v220, v25 /*v281*/
	s_set_vgpr_msb 0                        ;  msbs: dst=0 src0=0 src1=0 src2=0
	v_mul_i32_i24_e32 v113, v220, v149
	s_set_vgpr_msb 5                        ;  msbs: dst=0 src0=1 src1=1 src2=0
	v_mul_i32_i24_e32 v101, v73 /*v329*/, v41 /*v297*/
	s_set_vgpr_msb 1                        ;  msbs: dst=0 src0=1 src1=0 src2=0
	v_add3_u32 v212, v33 /*v289*/, v134, v132
	s_set_vgpr_msb 5                        ;  msbs: dst=0 src0=1 src1=1 src2=0
	v_mul_i32_i24_e32 v134, v136 /*v392*/, v26 /*v282*/
	v_mul_i32_i24_e32 v109, v73 /*v329*/, v83 /*v339*/
	s_set_vgpr_msb 0                        ;  msbs: dst=0 src0=0 src1=0 src2=0
	v_add3_u32 v229, v229, v234, v233
	s_set_vgpr_msb 5                        ;  msbs: dst=0 src0=1 src1=1 src2=0
	v_mul_i32_i24_e32 v112, v73 /*v329*/, v94 /*v350*/
	s_set_vgpr_msb 4                        ;  msbs: dst=0 src0=0 src1=1 src2=0
	v_mul_i32_i24_e32 v140, v220, v75 /*v331*/
	s_set_vgpr_msb 64                       ;  msbs: dst=1 src0=0 src1=0 src2=0
	v_mul_i32_i24_e32 v70 /*v326*/, v158, v213
	s_set_vgpr_msb 0                        ;  msbs: dst=0 src0=0 src1=0 src2=0
	v_mul_i32_i24_e32 v220, v156, v207
	s_set_vgpr_msb 64                       ;  msbs: dst=1 src0=0 src1=0 src2=0
	v_mul_i32_i24_e32 v22 /*v278*/, v158, v163
	s_set_vgpr_msb 4                        ;  msbs: dst=0 src0=0 src1=1 src2=0
	v_mul_i32_i24_e32 v228, v156, v25 /*v281*/
	s_set_vgpr_msb 0x44                     ;  msbs: dst=1 src0=0 src1=1 src2=0
	v_mul_i32_i24_e32 v73 /*v329*/, v158, v52 /*v308*/
	s_set_vgpr_msb 0                        ;  msbs: dst=0 src0=0 src1=0 src2=0
	v_mul_i32_i24_e32 v233, v156, v149
	s_set_vgpr_msb 1                        ;  msbs: dst=0 src0=1 src1=0 src2=0
	v_mul_i32_i24_e32 v153, v89 /*v345*/, v152
	v_mul_i32_i24_e32 v156, v98 /*v354*/, v150
	v_add3_u32 v234, v48 /*v304*/, v148, v134
	v_mul_i32_i24_e32 v148, v153 /*v409*/, v206
	v_mul_i32_i24_e32 v158, v55 /*v311*/, v207
	s_set_vgpr_msb 0                        ;  msbs: dst=0 src0=0 src1=0 src2=0
	v_mul_i32_i24_e32 v214, v215, v236
	s_set_vgpr_msb 1                        ;  msbs: dst=0 src0=1 src1=0 src2=0
	v_add3_u32 v238, v49 /*v305*/, v153, v156
	s_set_vgpr_msb 5                        ;  msbs: dst=0 src0=1 src1=1 src2=0
	v_mul_i32_i24_e32 v153, v153 /*v409*/, v117 /*v373*/
	v_mul_i32_i24_e32 v156, v55 /*v311*/, v25 /*v281*/
	s_set_vgpr_msb 1                        ;  msbs: dst=0 src0=1 src1=0 src2=0
	v_add3_u32 v239, v57 /*v313*/, v158, v148
	s_set_vgpr_msb 5                        ;  msbs: dst=0 src0=1 src1=1 src2=0
	v_mul_i32_i24_e32 v148, v153 /*v409*/, v26 /*v282*/
	s_set_vgpr_msb 1                        ;  msbs: dst=0 src0=1 src1=0 src2=0
	v_mul_i32_i24_e32 v158, v55 /*v311*/, v149
	s_set_vgpr_msb 0                        ;  msbs: dst=0 src0=0 src1=0 src2=0
	v_mul_i32_i24_e32 v215, v155, v206
	s_set_vgpr_msb 1                        ;  msbs: dst=0 src0=1 src1=0 src2=0
	v_add3_u32 v241, v58 /*v314*/, v156, v153
	s_set_vgpr_msb 0                        ;  msbs: dst=0 src0=0 src1=0 src2=0
	v_mul_i32_i24_e32 v153, v157, v150
	s_set_vgpr_msb 1                        ;  msbs: dst=0 src0=1 src1=0 src2=0
	v_mul_i32_i24_e32 v156, v154 /*v410*/, v206
	s_set_vgpr_msb 0x41                     ;  msbs: dst=1 src0=1 src1=0 src2=0
	v_add3_u32 v16 /*v272*/, v64 /*v320*/, v158, v148
	s_set_vgpr_msb 1                        ;  msbs: dst=0 src0=1 src1=0 src2=0
	v_mul_i32_i24_e32 v148, v144 /*v400*/, v207
	s_set_vgpr_msb 5                        ;  msbs: dst=0 src0=1 src1=1 src2=0
	v_mul_i32_i24_e32 v157, v154 /*v410*/, v117 /*v373*/
	s_set_vgpr_msb 0                        ;  msbs: dst=0 src0=0 src1=0 src2=0
	v_add3_u32 v247, v247, v147, v153
	s_set_vgpr_msb 5                        ;  msbs: dst=0 src0=1 src1=1 src2=0
	v_mul_i32_i24_e32 v147, v144 /*v400*/, v25 /*v281*/
	s_set_vgpr_msb 1                        ;  msbs: dst=0 src0=1 src1=0 src2=0
	v_mul_i32_i24_e32 v153, v144 /*v400*/, v149
	s_set_vgpr_msb 0x41                     ;  msbs: dst=1 src0=1 src1=0 src2=0
	v_add3_u32 v33 /*v289*/, v65 /*v321*/, v148, v156
	s_set_vgpr_msb 5                        ;  msbs: dst=0 src0=1 src1=1 src2=0
	v_mul_i32_i24_e32 v148, v154 /*v410*/, v26 /*v282*/
	s_set_vgpr_msb 1                        ;  msbs: dst=0 src0=1 src1=0 src2=0
	v_mul_i32_i24_e32 v156, v2 /*v258*/, v150
	s_set_vgpr_msb 0x41                     ;  msbs: dst=1 src0=1 src1=0 src2=0
	v_add3_u32 v48 /*v304*/, v67 /*v323*/, v147, v157
	s_set_vgpr_msb 0                        ;  msbs: dst=0 src0=0 src1=0 src2=0
	v_mul_i32_i24_e32 v147, v246, v152
	s_set_vgpr_msb 1                        ;  msbs: dst=0 src0=1 src1=0 src2=0
	v_mul_i32_i24_e32 v157, v161 /*v417*/, v206
	v_add3_u32 v246, v53 /*v309*/, v153, v148
	v_mul_i32_i24_e32 v148, v165 /*v421*/, v207
	s_set_vgpr_msb 5                        ;  msbs: dst=0 src0=1 src1=1 src2=0
	v_mul_i32_i24_e32 v158, v161 /*v417*/, v117 /*v373*/
	s_set_vgpr_msb 0x41                     ;  msbs: dst=1 src0=1 src1=0 src2=0
	v_add3_u32 v2 /*v258*/, v21 /*v277*/, v147, v156
	s_set_vgpr_msb 5                        ;  msbs: dst=0 src0=1 src1=1 src2=0
	v_mul_i32_i24_e32 v147, v165 /*v421*/, v25 /*v281*/
	s_set_vgpr_msb 1                        ;  msbs: dst=0 src0=1 src1=0 src2=0
	v_mul_i32_i24_e32 v242, v7 /*v263*/, v204
	s_set_vgpr_msb 0x41                     ;  msbs: dst=1 src0=1 src1=0 src2=0
	v_add3_u32 v21 /*v277*/, v68 /*v324*/, v148, v157
	s_set_vgpr_msb 5                        ;  msbs: dst=0 src0=1 src1=1 src2=0
	v_mul_i32_i24_e32 v148, v161 /*v417*/, v26 /*v282*/
	s_set_vgpr_msb 1                        ;  msbs: dst=0 src0=1 src1=0 src2=0
	v_mul_i32_i24_e32 v157, v165 /*v421*/, v149
	s_set_vgpr_msb 0x41                     ;  msbs: dst=1 src0=1 src1=0 src2=0
	v_add3_u32 v53 /*v309*/, v69 /*v325*/, v147, v158
	s_set_vgpr_msb 0                        ;  msbs: dst=0 src0=0 src1=0 src2=0
	v_mul_i32_i24_e32 v147, v248, v152
	s_set_vgpr_msb 1                        ;  msbs: dst=0 src0=1 src1=0 src2=0
	v_mul_i32_i24_e32 v158, v18 /*v274*/, v150
	v_mul_i32_i24_e32 v149, v171 /*v427*/, v149
	s_set_vgpr_msb 0x41                     ;  msbs: dst=1 src0=1 src1=0 src2=0
	v_add3_u32 v18 /*v274*/, v34 /*v290*/, v157, v148
	s_set_vgpr_msb 1                        ;  msbs: dst=0 src0=1 src1=0 src2=0
	v_mul_i32_i24_e32 v148, v169 /*v425*/, v206
	v_mul_i32_i24_e32 v157, v171 /*v427*/, v207
	s_set_vgpr_msb 0x41                     ;  msbs: dst=1 src0=1 src1=0 src2=0
	v_add3_u32 v20 /*v276*/, v20 /*v276*/, v147, v158
	s_set_vgpr_msb 5                        ;  msbs: dst=0 src0=1 src1=1 src2=0
	v_mul_i32_i24_e32 v158, v171 /*v427*/, v25 /*v281*/
	s_set_vgpr_msb 1                        ;  msbs: dst=0 src0=1 src1=0 src2=0
	v_mul_i32_i24_e32 v152, v54 /*v310*/, v152
	v_mul_i32_i24_e32 v206, v59 /*v315*/, v150
	s_set_vgpr_msb 0x41                     ;  msbs: dst=1 src0=1 src1=0 src2=0
	v_add3_u32 v25 /*v281*/, v72 /*v328*/, v157, v148
	s_set_vgpr_msb 5                        ;  msbs: dst=0 src0=1 src1=1 src2=0
	v_mul_i32_i24_e32 v148, v169 /*v425*/, v26 /*v282*/
	s_set_vgpr_msb 0x45                     ;  msbs: dst=1 src0=1 src1=1 src2=0
	v_mul_i32_i24_e32 v49 /*v305*/, v0 /*v256*/, v42 /*v298*/
	s_set_vgpr_msb 1                        ;  msbs: dst=0 src0=1 src1=0 src2=0
	v_mul_i32_i24_e32 v248, v7 /*v263*/, v100
	s_set_vgpr_msb 0x45                     ;  msbs: dst=1 src0=1 src1=1 src2=0
	v_mul_i32_i24_e32 v65 /*v321*/, v0 /*v256*/, v85 /*v341*/
	v_mul_i32_i24_e32 v58 /*v314*/, v7 /*v263*/, v27 /*v283*/
	s_set_vgpr_msb 0x41                     ;  msbs: dst=1 src0=1 src1=0 src2=0
	v_add3_u32 v68 /*v324*/, v77 /*v333*/, v149, v148
	s_set_vgpr_msb 0x45                     ;  msbs: dst=1 src0=1 src1=1 src2=0
	v_mul_i32_i24_e32 v69 /*v325*/, v0 /*v256*/, v132 /*v388*/
	s_set_vgpr_msb 5                        ;  msbs: dst=0 src0=1 src1=1 src2=0
	v_mul_i32_i24_e32 v157, v7 /*v263*/, v78 /*v334*/
	v_mul_i32_i24_e32 v149, v0 /*v256*/, v148 /*v404*/
	s_set_vgpr_msb 64                       ;  msbs: dst=1 src0=0 src1=0 src2=0
	v_add3_u32 v0 /*v256*/, v98, v152, v206
	s_set_vgpr_msb 1                        ;  msbs: dst=0 src0=1 src1=0 src2=0
	v_mul_i32_i24_e32 v98, v102 /*v358*/, v204
	s_set_vgpr_msb 0x41                     ;  msbs: dst=1 src0=1 src1=0 src2=0
	v_mul_i32_i24_e32 v7 /*v263*/, v30 /*v286*/, v213
	s_set_vgpr_msb 64                       ;  msbs: dst=1 src0=0 src1=0 src2=0
	v_add3_u32 v54 /*v310*/, v229, v162, v237
	s_set_vgpr_msb 4                        ;  msbs: dst=0 src0=0 src1=1 src2=0
	v_mul_i32_i24_e32 v162, v205, v137 /*v393*/
	v_mul_i32_i24_e32 v223, v155, v117 /*v373*/
	v_mul_i32_i24_e32 v155, v155, v26 /*v282*/
	s_set_vgpr_msb 0x45                     ;  msbs: dst=1 src0=1 src1=1 src2=0
	v_mul_i32_i24_e32 v64 /*v320*/, v88 /*v344*/, v45 /*v301*/
	v_mul_i32_i24_e32 v26 /*v282*/, v88 /*v344*/, v122 /*v378*/
	;; [unrolled: 1-line block ×3, first 2 shown]
	s_set_vgpr_msb 5                        ;  msbs: dst=0 src0=1 src1=1 src2=0
	v_mul_i32_i24_e32 v150, v88 /*v344*/, v150 /*v406*/
	s_set_vgpr_msb 64                       ;  msbs: dst=1 src0=0 src1=0 src2=0
	v_add3_u32 v88 /*v344*/, v219, v214, v162
	s_set_vgpr_msb 1                        ;  msbs: dst=0 src0=1 src1=0 src2=0
	v_mul_i32_i24_e32 v162, v102 /*v358*/, v100
	v_mul_i32_i24_e32 v205, v30 /*v286*/, v163
	s_set_vgpr_msb 0x50                     ;  msbs: dst=1 src0=0 src1=0 src2=1
	v_add3_u32 v7 /*v263*/, v230, v98, v7 /*v263*/
	s_set_vgpr_msb 5                        ;  msbs: dst=0 src0=1 src1=1 src2=0
	v_mul_i32_i24_e32 v98, v102 /*v358*/, v27 /*v283*/
	v_mul_i32_i24_e32 v214, v30 /*v286*/, v52 /*v308*/
	s_set_vgpr_msb 64                       ;  msbs: dst=1 src0=0 src1=0 src2=0
	v_add3_u32 v59 /*v315*/, v154, v220, v215
	v_add3_u32 v103 /*v359*/, v212, v162, v205
	s_set_vgpr_msb 1                        ;  msbs: dst=0 src0=1 src1=0 src2=0
	v_mul_i32_i24_e32 v162, v80 /*v336*/, v236
	v_mul_i32_i24_e32 v212, v101 /*v357*/, v235
	s_set_vgpr_msb 0                        ;  msbs: dst=0 src0=0 src1=0 src2=0
	v_mul_i32_i24_e32 v215, v245, v204
	s_set_vgpr_msb 64                       ;  msbs: dst=1 src0=0 src1=0 src2=0
	v_add3_u32 v80 /*v336*/, v234, v98, v214
	s_set_vgpr_msb 0                        ;  msbs: dst=0 src0=0 src1=0 src2=0
	v_mul_i32_i24_e32 v98, v251, v213
	v_mul_i32_i24_e32 v214, v245, v100
	s_set_vgpr_msb 64                       ;  msbs: dst=1 src0=0 src1=0 src2=0
	v_add3_u32 v101 /*v357*/, v238, v212, v162
	s_set_vgpr_msb 0                        ;  msbs: dst=0 src0=0 src1=0 src2=0
	v_mul_i32_i24_e32 v162, v251, v163
	s_set_vgpr_msb 5                        ;  msbs: dst=0 src0=1 src1=1 src2=0
	v_mul_i32_i24_e32 v147, v169 /*v425*/, v117 /*v373*/
	s_set_vgpr_msb 64                       ;  msbs: dst=1 src0=0 src1=0 src2=0
	v_add3_u32 v106 /*v362*/, v239, v215, v98
	s_set_vgpr_msb 4                        ;  msbs: dst=0 src0=0 src1=1 src2=0
	v_mul_i32_i24_e32 v98, v245, v27 /*v283*/
	v_mul_i32_i24_e32 v215, v251, v52 /*v308*/
	s_set_vgpr_msb 64                       ;  msbs: dst=1 src0=0 src1=0 src2=0
	v_add3_u32 v108 /*v364*/, v241, v214, v162
	s_set_vgpr_msb 1                        ;  msbs: dst=0 src0=1 src1=0 src2=0
	v_mul_i32_i24_e32 v162, v129 /*v385*/, v236
	v_mul_i32_i24_e32 v214, v86 /*v342*/, v204
	s_set_vgpr_msb 5                        ;  msbs: dst=0 src0=1 src1=1 src2=0
	v_mul_i32_i24_e32 v117, v125 /*v381*/, v42 /*v298*/
	s_set_vgpr_msb 0x41                     ;  msbs: dst=1 src0=1 src1=0 src2=0
	v_add3_u32 v113 /*v369*/, v16 /*v272*/, v98, v215
	s_set_vgpr_msb 1                        ;  msbs: dst=0 src0=1 src1=0 src2=0
	v_mul_i32_i24_e32 v98, v96 /*v352*/, v213
	v_mul_i32_i24_e32 v215, v86 /*v342*/, v100
	s_set_vgpr_msb 64                       ;  msbs: dst=1 src0=0 src1=0 src2=0
	v_add3_u32 v115 /*v371*/, v247, v161, v162
	s_set_vgpr_msb 1                        ;  msbs: dst=0 src0=1 src1=0 src2=0
	v_mul_i32_i24_e32 v161, v96 /*v352*/, v163
	s_set_vgpr_msb 5                        ;  msbs: dst=0 src0=1 src1=1 src2=0
	v_mul_i32_i24_e32 v162, v96 /*v352*/, v52 /*v308*/
	s_set_vgpr_msb 0x41                     ;  msbs: dst=1 src0=1 src1=0 src2=0
	v_add3_u32 v117 /*v373*/, v33 /*v289*/, v214, v98
	s_set_vgpr_msb 5                        ;  msbs: dst=0 src0=1 src1=1 src2=0
	v_mul_i32_i24_e32 v98, v86 /*v342*/, v27 /*v283*/
	s_set_vgpr_msb 1                        ;  msbs: dst=0 src0=1 src1=0 src2=0
	v_mul_i32_i24_e32 v214, v3 /*v259*/, v235
	s_set_vgpr_msb 0x41                     ;  msbs: dst=1 src0=1 src1=0 src2=0
	v_add3_u32 v118 /*v374*/, v48 /*v304*/, v215, v161
	s_set_vgpr_msb 1                        ;  msbs: dst=0 src0=1 src1=0 src2=0
	v_mul_i32_i24_e32 v161, v19 /*v275*/, v236
	v_mul_i32_i24_e32 v215, v160 /*v416*/, v204
	s_set_vgpr_msb 64                       ;  msbs: dst=1 src0=0 src1=0 src2=0
	v_add3_u32 v119 /*v375*/, v246, v98, v162
	s_set_vgpr_msb 1                        ;  msbs: dst=0 src0=1 src1=0 src2=0
	v_mul_i32_i24_e32 v98, v164 /*v420*/, v213
	v_mul_i32_i24_e32 v162, v160 /*v416*/, v100
	s_set_vgpr_msb 0x41                     ;  msbs: dst=1 src0=1 src1=0 src2=0
	v_add3_u32 v120 /*v376*/, v2 /*v258*/, v214, v161
	s_set_vgpr_msb 1                        ;  msbs: dst=0 src0=1 src1=0 src2=0
	v_mul_i32_i24_e32 v161, v164 /*v420*/, v163
	s_set_vgpr_msb 5                        ;  msbs: dst=0 src0=1 src1=1 src2=0
	v_mul_i32_i24_e32 v214, v164 /*v420*/, v52 /*v308*/
	s_set_vgpr_msb 0x41                     ;  msbs: dst=1 src0=1 src1=0 src2=0
	v_add3_u32 v123 /*v379*/, v21 /*v277*/, v215, v98
	s_set_vgpr_msb 5                        ;  msbs: dst=0 src0=1 src1=1 src2=0
	v_mul_i32_i24_e32 v98, v160 /*v416*/, v27 /*v283*/
	v_mul_i32_i24_e32 v106, v62 /*v318*/, v40 /*v296*/
	;; [unrolled: 1-line block ×6, first 2 shown]
	s_set_vgpr_msb 0x41                     ;  msbs: dst=1 src0=1 src1=0 src2=0
	v_mul_i32_i24_e32 v62 /*v318*/, v135 /*v391*/, v204
	v_mul_i32_i24_e32 v32 /*v288*/, v39 /*v295*/, v213
	;; [unrolled: 1-line block ×3, first 2 shown]
	s_set_vgpr_msb 0x45                     ;  msbs: dst=1 src0=1 src1=1 src2=0
	v_mul_i32_i24_e32 v67 /*v323*/, v39 /*v295*/, v52 /*v308*/
	s_set_vgpr_msb 0x41                     ;  msbs: dst=1 src0=1 src1=0 src2=0
	v_add3_u32 v124 /*v380*/, v53 /*v309*/, v162, v161
	s_set_vgpr_msb 0                        ;  msbs: dst=0 src0=0 src1=0 src2=0
	v_mul_i32_i24_e32 v161, v243, v236
	v_mul_i32_i24_e32 v162, v240, v235
	s_set_vgpr_msb 0x41                     ;  msbs: dst=1 src0=1 src1=0 src2=0
	v_add3_u32 v125 /*v381*/, v18 /*v274*/, v98, v214
	s_set_vgpr_msb 1                        ;  msbs: dst=0 src0=1 src1=0 src2=0
	v_mul_i32_i24_e32 v98, v168 /*v424*/, v204
	v_mul_i32_i24_e32 v204, v170 /*v426*/, v213
	s_set_vgpr_msb 5                        ;  msbs: dst=0 src0=1 src1=1 src2=0
	v_mul_i32_i24_e32 v120, v87 /*v343*/, v43 /*v299*/
	v_mul_i32_i24_e32 v128, v87 /*v343*/, v121 /*v377*/
	;; [unrolled: 1-line block ×3, first 2 shown]
	s_set_vgpr_msb 0x41                     ;  msbs: dst=1 src0=1 src1=0 src2=0
	v_mul_i32_i24_e32 v71 /*v327*/, v135 /*v391*/, v100
	s_set_vgpr_msb 0x45                     ;  msbs: dst=1 src0=1 src1=1 src2=0
	v_mul_i32_i24_e32 v23 /*v279*/, v135 /*v391*/, v27 /*v283*/
	s_set_vgpr_msb 0x41                     ;  msbs: dst=1 src0=1 src1=0 src2=0
	v_add3_u32 v57 /*v313*/, v74 /*v330*/, v158, v147
	s_set_vgpr_msb 0x45                     ;  msbs: dst=1 src0=1 src1=1 src2=0
	v_mul_i32_i24_e32 v74 /*v330*/, v11 /*v267*/, v24 /*v280*/
	s_set_vgpr_msb 0x41                     ;  msbs: dst=1 src0=1 src1=0 src2=0
	v_mul_i32_i24_e32 v11 /*v267*/, v37 /*v293*/, v235
	s_set_vgpr_msb 5                        ;  msbs: dst=0 src0=1 src1=1 src2=0
	v_mul_i32_i24_e32 v158, v39 /*v295*/, v76 /*v332*/
	s_set_vgpr_msb 64                       ;  msbs: dst=1 src0=0 src1=0 src2=0
	v_add3_u32 v39 /*v295*/, v225, v232, v231
	v_add3_u32 v87 /*v343*/, v217, v233, v155
	s_set_vgpr_msb 0x50                     ;  msbs: dst=1 src0=0 src1=0 src2=1
	v_add3_u32 v89 /*v345*/, v221, v242, v32 /*v288*/
	v_add3_u32 v34 /*v290*/, v222, v248, v34 /*v290*/
	s_set_vgpr_msb 0x54                     ;  msbs: dst=1 src0=0 src1=1 src2=1
	v_add3_u32 v67 /*v323*/, v226, v58 /*v314*/, v67 /*v323*/
	s_set_vgpr_msb 0x41                     ;  msbs: dst=1 src0=1 src1=0 src2=0
	v_add3_u32 v181 /*v437*/, v20 /*v276*/, v162, v161
	s_set_vgpr_msb 1                        ;  msbs: dst=0 src0=1 src1=0 src2=0
	v_mul_i32_i24_e32 v161, v168 /*v424*/, v100
	v_mul_i32_i24_e32 v162, v170 /*v426*/, v163
	v_add3_u32 v100, v25 /*v281*/, v98, v204
	s_set_vgpr_msb 0x45                     ;  msbs: dst=1 src0=1 src1=1 src2=0
	v_mul_i32_i24_e32 v25 /*v281*/, v81 /*v337*/, v24 /*v280*/
	v_mul_i32_i24_e32 v4 /*v260*/, v4 /*v260*/, v137 /*v393*/
	s_set_vgpr_msb 4                        ;  msbs: dst=0 src0=0 src1=1 src2=0
	v_mul_i32_i24_e32 v97, v210, v47 /*v303*/
	s_set_vgpr_msb 5                        ;  msbs: dst=0 src0=1 src1=1 src2=0
	v_mul_i32_i24_e32 v122, v90 /*v346*/, v47 /*v303*/
	s_set_vgpr_msb 4                        ;  msbs: dst=0 src0=0 src1=1 src2=0
	v_mul_i32_i24_e32 v118, v210, v131 /*v387*/
	v_mul_i32_i24_e32 v119, v208, v122 /*v378*/
	s_set_vgpr_msb 5                        ;  msbs: dst=0 src0=1 src1=1 src2=0
	v_mul_i32_i24_e32 v129, v90 /*v346*/, v131 /*v387*/
	s_set_vgpr_msb 4                        ;  msbs: dst=0 src0=0 src1=1 src2=0
	v_mul_i32_i24_e32 v124, v210, v139 /*v395*/
	;; [unrolled: 5-line block ×3, first 2 shown]
	v_mul_i32_i24_e32 v132, v210, v151 /*v407*/
	v_mul_i32_i24_e32 v134, v208, v150 /*v406*/
	s_set_vgpr_msb 5                        ;  msbs: dst=0 src0=1 src1=1 src2=0
	v_mul_i32_i24_e32 v153, v79 /*v335*/, v43 /*v299*/
	v_mul_i32_i24_e32 v156, v82 /*v338*/, v47 /*v303*/
	v_mul_i32_i24_e32 v159, v79 /*v335*/, v121 /*v377*/
	v_mul_i32_i24_e32 v160, v82 /*v338*/, v131 /*v387*/
	v_mul_i32_i24_e32 v208, v79 /*v335*/, v134 /*v390*/
	v_mul_i32_i24_e32 v210, v82 /*v338*/, v139 /*v395*/
	v_mul_i32_i24_e32 v218, v99 /*v355*/, v75 /*v331*/
	v_mul_i32_i24_e32 v147, v79 /*v335*/, v149 /*v405*/
	v_mul_i32_i24_e32 v148, v82 /*v338*/, v151 /*v407*/
	s_set_vgpr_msb 64                       ;  msbs: dst=1 src0=0 src1=0 src2=0
	v_add3_u32 v37 /*v293*/, v224, v209, v151
	s_set_vgpr_msb 0x45                     ;  msbs: dst=1 src0=1 src1=1 src2=0
	v_mul_i32_i24_e32 v77 /*v333*/, v46 /*v302*/, v42 /*v298*/
	v_mul_i32_i24_e32 v79 /*v335*/, v104 /*v360*/, v45 /*v301*/
	s_set_vgpr_msb 4                        ;  msbs: dst=0 src0=0 src1=1 src2=0
	v_mul_i32_i24_e32 v207, v249, v36 /*v292*/
	s_set_vgpr_msb 64                       ;  msbs: dst=1 src0=0 src1=0 src2=0
	v_add3_u32 v82 /*v338*/, v216, v228, v223
	s_set_vgpr_msb 0x45                     ;  msbs: dst=1 src0=1 src1=1 src2=0
	v_mul_i32_i24_e32 v90 /*v346*/, v46 /*v302*/, v85 /*v341*/
	v_mul_i32_i24_e32 v98 /*v354*/, v104 /*v360*/, v122 /*v378*/
	s_set_vgpr_msb 4                        ;  msbs: dst=0 src0=0 src1=1 src2=0
	v_mul_i32_i24_e32 v221, v249, v50 /*v306*/
	s_set_vgpr_msb 0x54                     ;  msbs: dst=1 src0=0 src1=1 src2=1
	v_add3_u32 v99 /*v355*/, v227, v11 /*v267*/, v5 /*v261*/
	s_set_vgpr_msb 0x45                     ;  msbs: dst=1 src0=1 src1=1 src2=0
	v_mul_i32_i24_e32 v48 /*v304*/, v46 /*v302*/, v132 /*v388*/
	v_mul_i32_i24_e32 v21 /*v277*/, v104 /*v360*/, v138 /*v394*/
	s_set_vgpr_msb 4                        ;  msbs: dst=0 src0=0 src1=1 src2=0
	v_mul_i32_i24_e32 v239, v249, v51 /*v307*/
	s_set_vgpr_msb 1                        ;  msbs: dst=0 src0=1 src1=0 src2=0
	v_add3_u32 v98, v57 /*v313*/, v161, v162
	s_set_vgpr_msb 5                        ;  msbs: dst=0 src0=1 src1=1 src2=0
	v_mul_i32_i24_e32 v243, v30 /*v286*/, v76 /*v332*/
	s_set_vgpr_msb 0x45                     ;  msbs: dst=1 src0=1 src1=1 src2=0
	v_mul_i32_i24_e32 v2 /*v258*/, v31 /*v287*/, v75 /*v331*/
	s_set_vgpr_msb 4                        ;  msbs: dst=0 src0=0 src1=1 src2=0
	v_mul_i32_i24_e32 v214, v249, v93 /*v349*/
	s_set_vgpr_msb 5                        ;  msbs: dst=0 src0=1 src1=1 src2=0
	v_mul_i32_i24_e32 v247, v168 /*v424*/, v27 /*v283*/
	v_mul_i32_i24_e32 v249, v170 /*v426*/, v52 /*v308*/
	s_set_vgpr_msb 0x44                     ;  msbs: dst=1 src0=0 src1=1 src2=0
	v_mul_i32_i24_e32 v30 /*v286*/, v255, v85 /*v341*/
	s_set_vgpr_msb 0x41                     ;  msbs: dst=1 src0=1 src1=0 src2=0
	v_add3_u32 v31 /*v287*/, v39 /*v295*/, v252, v250
	s_set_vgpr_msb 5                        ;  msbs: dst=0 src0=1 src1=1 src2=0
	v_mul_i32_i24_e32 v250, v17 /*v273*/, v122 /*v378*/
	s_set_vgpr_msb 0x55                     ;  msbs: dst=1 src0=1 src1=1 src2=1
	v_add3_u32 v39 /*v295*/, v59 /*v315*/, v62 /*v318*/, v70 /*v326*/
	s_set_vgpr_msb 0x44                     ;  msbs: dst=1 src0=0 src1=1 src2=0
	v_mul_i32_i24_e32 v5 /*v261*/, v251, v76 /*v332*/
	s_set_vgpr_msb 0x55                     ;  msbs: dst=1 src0=1 src1=1 src2=1
	v_add3_u32 v57 /*v313*/, v87 /*v343*/, v23 /*v279*/, v73 /*v329*/
	v_add3_u32 v58 /*v314*/, v88 /*v344*/, v60 /*v316*/, v61 /*v317*/
	;; [unrolled: 1-line block ×5, first 2 shown]
	s_set_vgpr_msb 5                        ;  msbs: dst=0 src0=1 src1=1 src2=0
	v_mul_i32_i24_e32 v251, v97 /*v353*/, v85 /*v341*/
	s_set_vgpr_msb 0x55                     ;  msbs: dst=1 src0=1 src1=1 src2=1
	v_mul_i32_i24_e32 v23 /*v279*/, v111 /*v367*/, v122 /*v378*/
	v_add3_u32 v72 /*v328*/, v101 /*v357*/, v4 /*v260*/, v25 /*v281*/
	v_mul_i32_i24_e32 v25 /*v281*/, v97 /*v353*/, v132 /*v388*/
	v_mul_i32_i24_e32 v65 /*v321*/, v111 /*v367*/, v138 /*v394*/
	;; [unrolled: 1-line block ×4, first 2 shown]
	s_set_vgpr_msb 5                        ;  msbs: dst=0 src0=1 src1=1 src2=0
	v_mul_i32_i24_e32 v224, v6 /*v262*/, v43 /*v299*/
	v_mul_i32_i24_e32 v225, v8 /*v264*/, v47 /*v303*/
	;; [unrolled: 1-line block ×12, first 2 shown]
	s_set_vgpr_msb 1                        ;  msbs: dst=0 src0=1 src1=0 src2=0
	v_mul_i32_i24_e32 v236, v9 /*v265*/, v236
	s_set_vgpr_msb 0x44                     ;  msbs: dst=1 src0=0 src1=1 src2=0
	v_mul_i32_i24_e32 v6 /*v262*/, v255, v42 /*v298*/
	s_set_vgpr_msb 1                        ;  msbs: dst=0 src0=1 src1=0 src2=0
	v_mul_i32_i24_e32 v235, v14 /*v270*/, v235
	s_set_vgpr_msb 0x41                     ;  msbs: dst=1 src0=1 src1=0 src2=0
	v_add3_u32 v142 /*v398*/, v68 /*v324*/, v247, v249
	s_set_vgpr_msb 0x45                     ;  msbs: dst=1 src0=1 src1=1 src2=0
	v_mul_i32_i24_e32 v27 /*v283*/, v17 /*v273*/, v45 /*v301*/
	v_add3_u32 v33 /*v289*/, v54 /*v310*/, v15 /*v271*/, v253
	s_set_vgpr_msb 4                        ;  msbs: dst=0 src0=0 src1=1 src2=0
	v_mul_i32_i24_e32 v252, v255, v132 /*v388*/
	s_set_vgpr_msb 5                        ;  msbs: dst=0 src0=1 src1=1 src2=0
	v_mul_i32_i24_e32 v253, v17 /*v273*/, v138 /*v394*/
	s_set_vgpr_msb 0x45                     ;  msbs: dst=1 src0=1 src1=1 src2=0
	v_mul_i32_i24_e32 v53 /*v309*/, v140 /*v396*/, v24 /*v280*/
	s_set_vgpr_msb 0x44                     ;  msbs: dst=1 src0=0 src1=1 src2=0
	v_mul_i32_i24_e32 v3 /*v259*/, v245, v78 /*v334*/
	s_set_vgpr_msb 0x51                     ;  msbs: dst=1 src0=1 src1=0 src2=1
	v_add3_u32 v52 /*v308*/, v37 /*v293*/, v244, v28 /*v284*/
	s_set_vgpr_msb 5                        ;  msbs: dst=0 src0=1 src1=1 src2=0
	v_mul_i32_i24_e32 v244, v97 /*v353*/, v42 /*v298*/
	s_set_vgpr_msb 0x55                     ;  msbs: dst=1 src0=1 src1=1 src2=1
	v_add3_u32 v54 /*v310*/, v82 /*v338*/, v71 /*v327*/, v22 /*v278*/
	s_set_vgpr_msb 5                        ;  msbs: dst=0 src0=1 src1=1 src2=0
	v_mul_i32_i24_e32 v245, v111 /*v367*/, v45 /*v301*/
	s_set_vgpr_msb 0x55                     ;  msbs: dst=1 src0=1 src1=1 src2=1
	v_mul_i32_i24_e32 v13 /*v269*/, v66 /*v322*/, v36 /*v292*/
	v_mul_i32_i24_e32 v8 /*v264*/, v29 /*v285*/, v137 /*v393*/
	v_add3_u32 v68 /*v324*/, v7 /*v263*/, v79 /*v335*/, v77 /*v333*/
	v_mul_i32_i24_e32 v28 /*v284*/, v66 /*v322*/, v50 /*v306*/
	v_add3_u32 v69 /*v325*/, v103 /*v359*/, v98 /*v354*/, v90 /*v346*/
	v_add3_u32 v70 /*v326*/, v80 /*v336*/, v21 /*v277*/, v48 /*v304*/
	s_set_vgpr_msb 0x51                     ;  msbs: dst=1 src0=1 src1=0 src2=1
	v_add3_u32 v77 /*v333*/, v108 /*v364*/, v250, v30 /*v286*/
	s_set_vgpr_msb 0x45                     ;  msbs: dst=1 src0=1 src1=1 src2=0
	v_mul_i32_i24_e32 v48 /*v304*/, v66 /*v322*/, v51 /*v307*/
	s_set_vgpr_msb 5                        ;  msbs: dst=0 src0=1 src1=1 src2=0
	v_mul_i32_i24_e32 v250, v91 /*v347*/, v137 /*v393*/
	s_set_vgpr_msb 0x45                     ;  msbs: dst=1 src0=1 src1=1 src2=0
	v_add3_u32 v82 /*v338*/, v118 /*v374*/, v23 /*v279*/, v251
	v_mul_i32_i24_e32 v63 /*v319*/, v96 /*v352*/, v76 /*v332*/
	s_set_vgpr_msb 5                        ;  msbs: dst=0 src0=1 src1=1 src2=0
	v_mul_i32_i24_e32 v251, v66 /*v322*/, v93 /*v349*/
	s_set_vgpr_msb 0x55                     ;  msbs: dst=1 src0=1 src1=1 src2=1
	v_mul_i32_i24_e32 v66 /*v322*/, v95 /*v351*/, v42 /*v298*/
	v_add3_u32 v96 /*v352*/, v119 /*v375*/, v65 /*v321*/, v25 /*v281*/
	v_mul_i32_i24_e32 v25 /*v281*/, v163 /*v419*/, v45 /*v301*/
	v_mul_i32_i24_e32 v65 /*v321*/, v95 /*v351*/, v85 /*v341*/
	v_add3_u32 v98 /*v354*/, v120 /*v376*/, v84 /*v340*/, v88 /*v344*/
	v_mul_i32_i24_e32 v84 /*v340*/, v163 /*v419*/, v122 /*v378*/
	s_set_vgpr_msb 4                        ;  msbs: dst=0 src0=0 src1=1 src2=0
	v_mul_i32_i24_e32 v127, v211, v121 /*v377*/
	v_mul_i32_i24_e32 v133, v211, v134 /*v390*/
	;; [unrolled: 1-line block ×3, first 2 shown]
	s_set_vgpr_msb 5                        ;  msbs: dst=0 src0=1 src1=1 src2=0
	v_mul_i32_i24_e32 v206, v38 /*v294*/, v36 /*v292*/
	v_mul_i32_i24_e32 v209, v40 /*v296*/, v10 /*v266*/
	;; [unrolled: 1-line block ×25, first 2 shown]
	s_set_vgpr_msb 0x44                     ;  msbs: dst=1 src0=0 src1=1 src2=0
	v_mul_i32_i24_e32 v12 /*v268*/, v254, v43 /*v299*/
	s_set_vgpr_msb 0x45                     ;  msbs: dst=1 src0=1 src1=1 src2=0
	v_mul_i32_i24_e32 v14 /*v270*/, v1 /*v257*/, v47 /*v303*/
	s_set_vgpr_msb 0x41                     ;  msbs: dst=1 src0=1 src1=0 src2=0
	v_add3_u32 v127 /*v383*/, v0 /*v256*/, v235, v236
	s_set_vgpr_msb 0x44                     ;  msbs: dst=1 src0=0 src1=1 src2=0
	v_mul_i32_i24_e32 v16 /*v272*/, v254, v121 /*v377*/
	s_set_vgpr_msb 0x45                     ;  msbs: dst=1 src0=1 src1=1 src2=0
	v_mul_i32_i24_e32 v18 /*v274*/, v1 /*v257*/, v131 /*v387*/
	s_set_vgpr_msb 0x44                     ;  msbs: dst=1 src0=0 src1=1 src2=0
	v_mul_i32_i24_e32 v19 /*v275*/, v254, v134 /*v390*/
	s_set_vgpr_msb 0x45                     ;  msbs: dst=1 src0=1 src1=1 src2=0
	v_mul_i32_i24_e32 v20 /*v276*/, v1 /*v257*/, v139 /*v395*/
	v_mul_i32_i24_e32 v32 /*v288*/, v55 /*v311*/, v75 /*v331*/
	s_set_vgpr_msb 4                        ;  msbs: dst=0 src0=0 src1=1 src2=0
	v_mul_i32_i24_e32 v247, v255, v148 /*v404*/
	v_mul_i32_i24_e32 v235, v254, v149 /*v405*/
	s_set_vgpr_msb 5                        ;  msbs: dst=0 src0=1 src1=1 src2=0
	v_mul_i32_i24_e32 v236, v1 /*v257*/, v151 /*v407*/
	v_mul_i32_i24_e32 v249, v17 /*v273*/, v150 /*v406*/
	s_set_vgpr_msb 0x45                     ;  msbs: dst=1 src0=1 src1=1 src2=0
	v_mul_i32_i24_e32 v37 /*v293*/, v100 /*v356*/, v43 /*v299*/
	v_mul_i32_i24_e32 v38 /*v294*/, v105 /*v361*/, v47 /*v303*/
	;; [unrolled: 1-line block ×5, first 2 shown]
	s_set_vgpr_msb 5                        ;  msbs: dst=0 src0=1 src1=1 src2=0
	v_mul_i32_i24_e32 v254, v41 /*v297*/, v147 /*v403*/
	v_mul_i32_i24_e32 v255, v41 /*v297*/, v146 /*v402*/
	s_set_vgpr_msb 0x55                     ;  msbs: dst=1 src0=1 src1=1 src2=1
	v_mul_i32_i24_e32 v0 /*v256*/, v44 /*v300*/, v156 /*v412*/
	v_mul_i32_i24_e32 v1 /*v257*/, v44 /*v300*/, v155 /*v411*/
	;; [unrolled: 1-line block ×3, first 2 shown]
	v_add3_u32 v67 /*v323*/, v99 /*v355*/, v8 /*v264*/, v74 /*v330*/
	v_mul_i32_i24_e32 v60 /*v316*/, v105 /*v361*/, v131 /*v387*/
	v_mul_i32_i24_e32 v26 /*v282*/, v143 /*v399*/, v50 /*v306*/
	;; [unrolled: 1-line block ×6, first 2 shown]
	v_add3_u32 v74 /*v330*/, v106 /*v362*/, v27 /*v283*/, v6 /*v262*/
	v_mul_i32_i24_e32 v71 /*v327*/, v100 /*v356*/, v134 /*v390*/
	v_mul_i32_i24_e32 v73 /*v329*/, v105 /*v361*/, v139 /*v395*/
	s_set_vgpr_msb 0x41                     ;  msbs: dst=1 src0=1 src1=0 src2=0
	v_add3_u32 v79 /*v335*/, v113 /*v369*/, v253, v252
	s_set_vgpr_msb 0x45                     ;  msbs: dst=1 src0=1 src1=1 src2=0
	v_mul_i32_i24_e32 v46 /*v302*/, v143 /*v399*/, v51 /*v307*/
	s_set_vgpr_msb 0x51                     ;  msbs: dst=1 src0=1 src1=0 src2=1
	v_add3_u32 v80 /*v336*/, v115 /*v371*/, v250, v53 /*v309*/
	s_set_vgpr_msb 0x45                     ;  msbs: dst=1 src0=1 src1=1 src2=0
	v_mul_i32_i24_e32 v49 /*v305*/, v107 /*v363*/, v130 /*v386*/
	v_mul_i32_i24_e32 v53 /*v309*/, v107 /*v363*/, v145 /*v401*/
	s_set_vgpr_msb 0x41                     ;  msbs: dst=1 src0=1 src1=0 src2=0
	v_add3_u32 v81 /*v337*/, v117 /*v373*/, v245, v244
	s_set_vgpr_msb 0x45                     ;  msbs: dst=1 src0=1 src1=1 src2=0
	v_mul_i32_i24_e32 v21 /*v277*/, v94 /*v350*/, v147 /*v403*/
	v_mul_i32_i24_e32 v22 /*v278*/, v94 /*v350*/, v146 /*v402*/
	;; [unrolled: 1-line block ×8, first 2 shown]
	s_set_vgpr_msb 5                        ;  msbs: dst=0 src0=1 src1=1 src2=0
	v_mul_i32_i24_e32 v250, v143 /*v399*/, v93 /*v349*/
	v_mul_i32_i24_e32 v252, v110 /*v366*/, v130 /*v386*/
	;; [unrolled: 1-line block ×5, first 2 shown]
	s_set_vgpr_msb 0x55                     ;  msbs: dst=1 src0=1 src1=1 src2=1
	v_mul_i32_i24_e32 v86 /*v342*/, v95 /*v351*/, v132 /*v388*/
	v_add3_u32 v99 /*v355*/, v123 /*v379*/, v25 /*v281*/, v66 /*v322*/
	v_mul_i32_i24_e32 v25 /*v281*/, v163 /*v419*/, v138 /*v394*/
	v_mul_i32_i24_e32 v101 /*v357*/, v92 /*v348*/, v43 /*v299*/
	v_add3_u32 v100 /*v356*/, v124 /*v380*/, v84 /*v340*/, v65 /*v321*/
	v_mul_i32_i24_e32 v104 /*v360*/, v162 /*v418*/, v47 /*v303*/
	v_mul_i32_i24_e32 v103 /*v359*/, v92 /*v348*/, v121 /*v377*/
	;; [unrolled: 1-line block ×43, first 2 shown]
	s_set_vgpr_msb 0x41                     ;  msbs: dst=1 src0=1 src1=0 src2=0
	v_mul_i32_i24_e32 v109 /*v365*/, v44 /*v300*/, v96
	s_set_vgpr_msb 0x45                     ;  msbs: dst=1 src0=1 src1=1 src2=0
	v_mul_i32_i24_e32 v110 /*v366*/, v44 /*v300*/, v179 /*v435*/
	s_set_vgpr_msb 0x41                     ;  msbs: dst=1 src0=1 src1=0 src2=0
	v_mul_i32_i24_e32 v111 /*v367*/, v112 /*v368*/, v96
	v_mul_i32_i24_e32 v113 /*v369*/, v114 /*v370*/, v96
	;; [unrolled: 1-line block ×3, first 2 shown]
	s_set_vgpr_msb 0x45                     ;  msbs: dst=1 src0=1 src1=1 src2=0
	v_mul_i32_i24_e32 v45 /*v301*/, v133 /*v389*/, v179 /*v435*/
	v_mul_i32_i24_e32 v138 /*v394*/, v136 /*v392*/, v141 /*v397*/
	;; [unrolled: 1-line block ×5, first 2 shown]
	s_set_vgpr_msb 5                        ;  msbs: dst=0 src0=1 src1=1 src2=0
	v_mul_i32_i24_e32 v96, v158 /*v414*/, v137 /*v393*/
	s_set_vgpr_msb 0x45                     ;  msbs: dst=1 src0=1 src1=1 src2=0
	v_mul_i32_i24_e32 v133 /*v389*/, v169 /*v425*/, v141 /*v397*/
	v_mul_i32_i24_e32 v141 /*v397*/, v167 /*v423*/, v137 /*v393*/
	s_set_vgpr_msb 0x54                     ;  msbs: dst=1 src0=0 src1=1 src2=1
	v_add3_u32 v143 /*v399*/, v100, v144 /*v400*/, v143 /*v399*/
	v_add3_u32 v144 /*v400*/, v98, v147 /*v403*/, v146 /*v402*/
	s_set_vgpr_msb 0x51                     ;  msbs: dst=1 src0=1 src1=0 src2=1
	v_add3_u32 v137 /*v393*/, v181 /*v437*/, v96, v159 /*v415*/
	s_set_vgpr_msb 5                        ;  msbs: dst=0 src0=1 src1=1 src2=0
	v_mul_i32_i24_e32 v222, v56 /*v312*/, v10 /*v266*/
	s_set_vgpr_msb 0x55                     ;  msbs: dst=1 src0=1 src1=1 src2=1
	v_add3_u32 v127 /*v383*/, v127 /*v383*/, v141 /*v397*/, v140 /*v396*/
	s_set_vgpr_msb 5                        ;  msbs: dst=0 src0=1 src1=1 src2=0
	v_mul_i32_i24_e32 v240, v107 /*v363*/, v10 /*v266*/
	s_set_vgpr_msb 0x45                     ;  msbs: dst=1 src0=1 src1=1 src2=0
	v_mul_i32_i24_e32 v123 /*v379*/, v173 /*v429*/, v43 /*v299*/
	v_mul_i32_i24_e32 v106 /*v362*/, v157 /*v413*/, v50 /*v306*/
	;; [unrolled: 1-line block ×5, first 2 shown]
	s_set_vgpr_msb 1                        ;  msbs: dst=0 src0=1 src1=0 src2=0
	v_add3_u32 v117, v39 /*v295*/, v135, v117
	v_add3_u32 v102, v52 /*v308*/, v102, v103
	;; [unrolled: 1-line block ×6, first 2 shown]
	s_set_vgpr_msb 5                        ;  msbs: dst=0 src0=1 src1=1 src2=0
	v_add3_u32 v113, v58 /*v314*/, v134 /*v390*/, v146
	s_set_vgpr_msb 17                       ;  msbs: dst=0 src0=1 src1=0 src2=1
	v_add3_u32 v135, v67 /*v323*/, v218, v132 /*v388*/
	s_set_vgpr_msb 1                        ;  msbs: dst=0 src0=1 src1=0 src2=0
	v_add3_u32 v136, v59 /*v315*/, v153, v156
	v_add3_u32 v143, v68 /*v324*/, v224, v225
	;; [unrolled: 1-line block ×6, first 2 shown]
	s_set_vgpr_msb 21                       ;  msbs: dst=0 src0=1 src1=1 src2=1
	v_add3_u32 v156, v72 /*v328*/, v2 /*v258*/, v138 /*v394*/
	v_add3_u32 v159, v80 /*v336*/, v32 /*v288*/, v139 /*v395*/
	;; [unrolled: 1-line block ×10, first 2 shown]
	s_set_vgpr_msb 0x55                     ;  msbs: dst=1 src0=1 src1=1 src2=1
	v_add3_u32 v2 /*v258*/, v100 /*v356*/, v103 /*v359*/, v108 /*v364*/
	v_add3_u32 v12 /*v268*/, v144 /*v400*/, v128 /*v384*/, v129 /*v385*/
	;; [unrolled: 1-line block ×3, first 2 shown]
	v_mul_i32_i24_e32 v9 /*v265*/, v112 /*v368*/, v156 /*v412*/
	v_mul_i32_i24_e32 v10 /*v266*/, v112 /*v368*/, v155 /*v411*/
	v_add3_u32 v102 /*v358*/, v125 /*v381*/, v25 /*v281*/, v86 /*v342*/
	v_mul_i32_i24_e32 v66 /*v322*/, v163 /*v419*/, v150 /*v406*/
	v_mul_i32_i24_e32 v85 /*v341*/, v83 /*v339*/, v180 /*v436*/
	;; [unrolled: 1-line block ×8, first 2 shown]
	s_set_vgpr_msb 0                        ;  msbs: dst=0 src0=0 src1=0 src2=0
	ds_load_b32 v96, v199
	ds_load_b32 v100, v200
	;; [unrolled: 1-line block ×3, first 2 shown]
	s_set_vgpr_msb 64                       ;  msbs: dst=1 src0=0 src1=0 src2=0
	ds_load_b32 v146 /*v402*/, v201
	s_set_vgpr_msb 21                       ;  msbs: dst=0 src0=1 src1=1 src2=1
	v_add3_u32 v248, v143 /*v399*/, v123 /*v379*/, v124 /*v380*/
	s_set_vgpr_msb 0                        ;  msbs: dst=0 src0=0 src1=0 src2=0
	v_add3_u32 v117, v117, v120, v122
	v_add3_u32 v97, v102, v97, v99
	v_add3_u32 v99, v103, v128, v129
	v_add3_u32 v103, v107, v126, v127
	v_add3_u32 v107, v108, v137, v138
	v_add3_u32 v108, v111, v130, v133
	v_add3_u32 v111, v113, v139, v140
	v_add3_u32 v113, v135, v157, v158
	v_add3_u32 v120, v143, v207, v211
	v_add3_u32 v122, v136, v206, v209
	v_add3_u32 v126, v145, v221, v223
	v_add3_u32 v127, v144, v219, v222
	v_add3_u32 v128, v153, v239, v241
	v_add3_u32 v129, v146, v238, v240
	v_add3_u32 v130, v156, v242, v243
	s_set_vgpr_msb 20                       ;  msbs: dst=0 src0=0 src1=1 src2=1
	v_add3_u32 v133, v159, v3 /*v259*/, v5 /*v261*/
	v_add3_u32 v135, v208, v13 /*v269*/, v17 /*v273*/
	;; [unrolled: 1-line block ×9, first 2 shown]
	s_set_vgpr_msb 21                       ;  msbs: dst=0 src0=1 src1=1 src2=1
	v_add3_u32 v153, v12 /*v268*/, v115 /*v371*/, v118 /*v374*/
	v_add3_u32 v156, v2 /*v258*/, v106 /*v362*/, v117 /*v373*/
	;; [unrolled: 1-line block ×3, first 2 shown]
	s_set_vgpr_msb 0x55                     ;  msbs: dst=1 src0=1 src1=1 src2=1
	v_mul_i32_i24_e32 v25 /*v281*/, v162 /*v418*/, v151 /*v407*/
	v_mul_i32_i24_e32 v50 /*v306*/, v173 /*v429*/, v149 /*v405*/
	;; [unrolled: 1-line block ×3, first 2 shown]
	v_add3_u32 v142 /*v398*/, v142 /*v398*/, v148 /*v404*/, v145 /*v401*/
	s_set_vgpr_msb 20                       ;  msbs: dst=0 src0=0 src1=1 src2=1
	v_add3_u32 v145, v248, v92 /*v348*/, v97 /*v353*/
	s_set_vgpr_msb 0                        ;  msbs: dst=0 src0=0 src1=0 src2=0
	v_add3_u32 v105, v117, v105, v106
	v_cvt_f32_i32_e32 v102, v97
	v_add3_u32 v97, v99, v114, v116
	v_add3_u32 v99, v103, v118, v119
	;; [unrolled: 1-line block ×14, first 2 shown]
	s_set_vgpr_msb 16                       ;  msbs: dst=0 src0=0 src1=0 src2=1
	v_add3_u32 v121, v136, v254, v0 /*v256*/
	v_add3_u32 v122, v135, v255, v1 /*v257*/
	s_set_vgpr_msb 20                       ;  msbs: dst=0 src0=0 src1=1 src2=1
	v_add3_u32 v123, v138, v7 /*v263*/, v9 /*v265*/
	v_add3_u32 v124, v137, v8 /*v264*/, v10 /*v266*/
	;; [unrolled: 1-line block ×9, first 2 shown]
	s_set_vgpr_msb 0x45                     ;  msbs: dst=1 src0=1 src1=1 src2=0
	v_mul_i32_i24_e32 v42 /*v298*/, v157 /*v413*/, v93 /*v349*/
	v_mul_i32_i24_e32 v43 /*v299*/, v166 /*v422*/, v93 /*v349*/
	s_set_vgpr_msb 0                        ;  msbs: dst=0 src0=0 src1=0 src2=0
	v_pk_mul_f32 v[94:95], v[94:95], s[10:11] op_sel_hi:[1,0]
	s_set_vgpr_msb 21                       ;  msbs: dst=0 src0=1 src1=1 src2=1
	v_add3_u32 v224, v79 /*v335*/, v19 /*v275*/, v20 /*v276*/
	s_set_vgpr_msb 0x55                     ;  msbs: dst=1 src0=1 src1=1 src2=1
	v_add3_u32 v14 /*v270*/, v102 /*v358*/, v105 /*v361*/, v116 /*v372*/
	v_add3_u32 v16 /*v272*/, v142 /*v398*/, v130 /*v386*/, v131 /*v387*/
	s_set_vgpr_msb 20                       ;  msbs: dst=0 src0=0 src1=1 src2=1
	v_add3_u32 v130, v145, v76 /*v332*/, v110 /*v366*/
	s_set_vgpr_msb 0                        ;  msbs: dst=0 src0=0 src1=0 src2=0
	v_add3_u32 v101, v105, v101, v104
	v_add3_u32 v97, v97, v109, v110
	v_cvt_f32_i32_e32 v104, v99
	v_add3_u32 v99, v103, v112, v115
	v_add3_u32 v132, v107, v132, v134
	v_cvt_f32_i32_e32 v109, v111
	v_cvt_f32_i32_e32 v108, v108
	;; [unrolled: 1-line block ×5, first 2 shown]
	v_add3_u32 v134, v114, v147, v148
	v_add3_u32 v139, v119, v226, v227
	v_cvt_f32_i32_e32 v115, v122
	v_cvt_f32_i32_e32 v114, v121
	;; [unrolled: 1-line block ×5, first 2 shown]
	v_add3_u32 v126, v120, v235, v236
	s_set_vgpr_msb 20                       ;  msbs: dst=0 src0=0 src1=1 src2=1
	v_add3_u32 v127, v127, v4 /*v260*/, v6 /*v262*/
	v_cvt_f32_i32_e32 v120, v129
	v_cvt_f32_i32_e32 v123, v135
	v_cvt_f32_i32_e32 v122, v133
	v_add3_u32 v128, v128, v24 /*v280*/, v25 /*v281*/
	v_add3_u32 v129, v138, v50 /*v306*/, v56 /*v312*/
	s_set_vgpr_msb 0x45                     ;  msbs: dst=1 src0=1 src1=1 src2=0
	v_mul_i32_i24_e32 v23 /*v279*/, v114 /*v370*/, v156 /*v412*/
	v_mul_i32_i24_e32 v93 /*v349*/, v94 /*v350*/, v180 /*v436*/
	;; [unrolled: 1-line block ×4, first 2 shown]
	s_set_vgpr_msb 20                       ;  msbs: dst=0 src0=0 src1=1 src2=1
	v_cvt_f32_i32_e32 v131, v131
	v_add3_u32 v140, v224, v46 /*v302*/, v49 /*v305*/
	s_set_vgpr_msb 21                       ;  msbs: dst=0 src0=1 src1=1 src2=1
	v_add3_u32 v157, v16 /*v272*/, v121 /*v377*/, v125 /*v381*/
	v_add3_u32 v158, v14 /*v270*/, v119 /*v375*/, v122 /*v378*/
	s_set_vgpr_msb 0                        ;  msbs: dst=0 src0=0 src1=0 src2=0
	v_cvt_f32_i32_e32 v106, v106
	v_cvt_f32_i32_e32 v121, v130
	v_cvt_f32_i32_e32 v103, v101
	v_cvt_f32_i32_e32 v105, v97
	v_cvt_f32_i32_e32 v107, v99
	v_cvt_f32_i32_e32 v130, v132
	v_pk_fma_f32 v[108:109], v[80:81], v[108:109], v[90:91] neg_lo:[0,0,1] neg_hi:[0,0,1]
	v_pk_fma_f32 v[110:111], v[80:81], v[110:111], v[90:91] neg_lo:[0,0,1] neg_hi:[0,0,1]
	v_add3_u32 v97, v139, v214, v217
	v_add3_u32 v99, v134, v213, v215
	v_pk_fma_f32 v[114:115], v[82:83], v[114:115], v[92:93] neg_lo:[0,0,1] neg_hi:[0,0,1]
	v_pk_fma_f32 v[116:117], v[82:83], v[116:117], v[92:93] neg_lo:[0,0,1] neg_hi:[0,0,1]
	v_add3_u32 v101, v127, v251, v253
	v_add3_u32 v126, v126, v250, v252
	v_pk_fma_f32 v[122:123], v[84:85], v[122:123], v[94:95] neg_lo:[0,0,1] neg_hi:[0,0,1]
	s_set_vgpr_msb 20                       ;  msbs: dst=0 src0=0 src1=1 src2=1
	v_add3_u32 v127, v129, v43 /*v299*/, v51 /*v307*/
	v_add3_u32 v128, v128, v42 /*v298*/, v47 /*v303*/
	v_add3_u32 v125, v140, v21 /*v277*/, v23 /*v279*/
	v_add3_u32 v136, v158, v93 /*v349*/, v113 /*v369*/
	v_add3_u32 v137, v157, v94 /*v350*/, v114 /*v370*/
	s_set_vgpr_msb 0                        ;  msbs: dst=0 src0=0 src1=0 src2=0
	v_pk_fma_f32 v[102:103], v[86:87], v[102:103], v[88:89] neg_lo:[0,0,1] neg_hi:[0,0,1]
	v_pk_fma_f32 v[104:105], v[86:87], v[104:105], v[88:89] neg_lo:[0,0,1] neg_hi:[0,0,1]
	;; [unrolled: 1-line block ×4, first 2 shown]
	s_wait_dscnt 0x3
	v_pk_fma_f32 v[26:27], v[96:97], v[108:109], v[26:27] op_sel_hi:[0,1,1]
	s_wait_dscnt 0x2
	v_pk_fma_f32 v[24:25], v[100:101], v[110:111], v[24:25] op_sel_hi:[0,1,1]
	v_add3_u32 v88, v99, v161, v163
	v_add3_u32 v89, v97, v162, v204
	v_pk_fma_f32 v[18:19], v[96:97], v[114:115], v[18:19] op_sel_hi:[0,1,1]
	v_pk_fma_f32 v[16:17], v[100:101], v[116:117], v[16:17] op_sel_hi:[0,1,1]
	s_set_vgpr_msb 16                       ;  msbs: dst=0 src0=0 src1=0 src2=1
	v_add3_u32 v97, v126, v244, v40 /*v296*/
	v_add3_u32 v99, v101, v245, v41 /*v297*/
	s_set_vgpr_msb 0                        ;  msbs: dst=0 src0=0 src1=0 src2=0
	v_pk_fma_f32 v[4:5], v[100:101], v[122:123], v[4:5] op_sel_hi:[0,1,1]
	s_set_vgpr_msb 20                       ;  msbs: dst=0 src0=0 src1=1 src2=1
	v_add3_u32 v101, v128, v35 /*v291*/, v44 /*v300*/
	v_add3_u32 v110, v127, v36 /*v292*/, v45 /*v301*/
	v_cvt_f32_i32_e32 v113, v118
	v_cvt_f32_i32_e32 v118, v125
	;; [unrolled: 1-line block ×10, first 2 shown]
	s_set_vgpr_msb 0                        ;  msbs: dst=0 src0=0 src1=0 src2=0
	v_pk_fma_f32 v[112:113], v[80:81], v[112:113], v[90:91] neg_lo:[0,0,1] neg_hi:[0,0,1]
	v_pk_fma_f32 v[118:119], v[82:83], v[118:119], v[92:93] neg_lo:[0,0,1] neg_hi:[0,0,1]
	;; [unrolled: 1-line block ×7, first 2 shown]
	v_dual_add_nc_u32 v203, 16, v203 :: v_dual_add_nc_u32 v202, 4, v202
	v_dual_add_nc_u32 v201, 4, v201 :: v_dual_add_nc_u32 v200, 4, v200
	v_add_nc_u32_e32 v199, 4, v199
	s_wait_dscnt 0x0
	s_set_vgpr_msb 1                        ;  msbs: dst=0 src0=1 src1=0 src2=0
	v_pk_fma_f32 v[22:23], v[146:147] /*v[402:403]*/, v[112:113], v[22:23] op_sel_hi:[0,1,1]
	v_pk_fma_f32 v[14:15], v[146:147] /*v[402:403]*/, v[118:119], v[14:15] op_sel_hi:[0,1,1]
	s_set_vgpr_msb 0                        ;  msbs: dst=0 src0=0 src1=0 src2=0
	v_pk_fma_f32 v[6:7], v[96:97], v[120:121], v[6:7] op_sel_hi:[0,1,1]
	s_set_vgpr_msb 1                        ;  msbs: dst=0 src0=1 src1=0 src2=0
	v_pk_fma_f32 v[2:3], v[146:147] /*v[402:403]*/, v[124:125], v[2:3] op_sel_hi:[0,1,1]
	s_set_vgpr_msb 0                        ;  msbs: dst=0 src0=0 src1=0 src2=0
	v_pk_fma_f32 v[36:37], v[96:97], v[102:103], v[36:37] op_sel_hi:[0,1,1]
	v_pk_fma_f32 v[34:35], v[100:101], v[104:105], v[34:35] op_sel_hi:[0,1,1]
	s_set_vgpr_msb 1                        ;  msbs: dst=0 src0=1 src1=0 src2=0
	v_pk_fma_f32 v[32:33], v[146:147] /*v[402:403]*/, v[106:107], v[32:33] op_sel_hi:[0,1,1]
	s_set_vgpr_msb 0                        ;  msbs: dst=0 src0=0 src1=0 src2=0
	v_pk_fma_f32 v[30:31], v[98:99], v[86:87], v[30:31] op_sel_hi:[0,1,1]
	v_pk_fma_f32 v[20:21], v[98:99], v[80:81], v[20:21] op_sel_hi:[0,1,1]
	;; [unrolled: 1-line block ×4, first 2 shown]
	s_cbranch_scc1 .LBB118_12
; %bb.13:                               ;   in Loop: Header=BB118_7 Depth=1
	s_barrier_signal -1
	s_barrier_wait -1
	s_branch .LBB118_6
.LBB118_14:
	v_dual_mov_b32 v8, v9 :: v_dual_mov_b32 v10, v29
	s_mov_b32 s0, exec_lo
	v_cmpx_gt_u32_e64 s6, v41
	s_cbranch_execz .LBB118_3
.LBB118_15:
	v_mul_lo_u32 v29, v41, s11
	v_add_nc_u32_e32 v9, s15, v10
	s_delay_alu instid0(VALU_DEP_1)
	v_cmp_gt_u32_e32 vcc_lo, s11, v9
	s_and_saveexec_b32 s0, vcc_lo
	s_cbranch_execz .LBB118_17
; %bb.16:
	s_delay_alu instid0(VALU_DEP_3)
	v_add_nc_u32_e32 v10, v9, v29
	s_wait_kmcnt 0x0
	global_store_b32 v10, v36, s[8:9] scale_offset
.LBB118_17:
	s_wait_xcnt 0x0
	s_or_b32 exec_lo, exec_lo, s0
	v_add_nc_u32_e32 v10, 32, v9
	s_delay_alu instid0(VALU_DEP_1)
	v_cmp_gt_u32_e64 s0, s11, v10
	s_and_saveexec_b32 s1, s0
	s_cbranch_execz .LBB118_19
; %bb.18:
	v_add_nc_u32_e32 v11, v10, v29
	s_wait_kmcnt 0x0
	global_store_b32 v11, v34, s[8:9] scale_offset
.LBB118_19:
	s_wait_xcnt 0x0
	s_or_b32 exec_lo, exec_lo, s1
	v_add_nc_u32_e32 v11, 64, v9
	s_delay_alu instid0(VALU_DEP_1)
	v_cmp_gt_u32_e64 s1, s11, v11
	s_and_saveexec_b32 s2, s1
	s_cbranch_execz .LBB118_21
; %bb.20:
	v_add_nc_u32_e32 v28, v11, v29
	s_wait_kmcnt 0x0
	global_store_b32 v28, v32, s[8:9] scale_offset
.LBB118_21:
	;; [unrolled: 12-line block ×3, first 2 shown]
	s_wait_xcnt 0x0
	s_or_b32 exec_lo, exec_lo, s3
	v_add3_u32 v29, v8, s14, 8
	s_delay_alu instid0(VALU_DEP_1)
	v_cmp_gt_u32_e64 s3, s6, v29
	s_and_b32 exec_lo, exec_lo, s3
	s_cbranch_execz .LBB118_3
; %bb.24:
	v_mul_lo_u32 v29, v29, s11
	s_and_saveexec_b32 s3, vcc_lo
	s_cbranch_execnz .LBB118_64
; %bb.25:
	s_or_b32 exec_lo, exec_lo, s3
	s_and_saveexec_b32 s3, s0
	s_cbranch_execnz .LBB118_65
.LBB118_26:
	s_or_b32 exec_lo, exec_lo, s3
	s_and_saveexec_b32 s3, s1
	s_cbranch_execnz .LBB118_66
.LBB118_27:
	s_or_b32 exec_lo, exec_lo, s3
	s_and_saveexec_b32 s3, s2
	s_cbranch_execz .LBB118_29
.LBB118_28:
	v_add_nc_u32_e32 v29, v29, v28
	s_wait_kmcnt 0x0
	global_store_b32 v29, v31, s[8:9] scale_offset
.LBB118_29:
	s_wait_xcnt 0x0
	s_or_b32 exec_lo, exec_lo, s3
	v_add3_u32 v29, v8, s14, 16
	s_delay_alu instid0(VALU_DEP_1)
	v_cmp_gt_u32_e64 s3, s6, v29
	s_and_b32 exec_lo, exec_lo, s3
	s_cbranch_execz .LBB118_3
; %bb.30:
	v_mul_lo_u32 v29, v29, s11
	s_and_saveexec_b32 s3, vcc_lo
	s_cbranch_execnz .LBB118_67
; %bb.31:
	s_or_b32 exec_lo, exec_lo, s3
	s_and_saveexec_b32 s3, s0
	s_cbranch_execnz .LBB118_68
.LBB118_32:
	s_or_b32 exec_lo, exec_lo, s3
	s_and_saveexec_b32 s3, s1
	s_cbranch_execnz .LBB118_69
.LBB118_33:
	s_or_b32 exec_lo, exec_lo, s3
	s_and_saveexec_b32 s3, s2
	s_cbranch_execz .LBB118_35
.LBB118_34:
	v_add_nc_u32_e32 v22, v29, v28
	s_wait_kmcnt 0x0
	global_store_b32 v22, v20, s[8:9] scale_offset
.LBB118_35:
	s_wait_xcnt 0x0
	s_or_b32 exec_lo, exec_lo, s3
	v_add3_u32 v20, v8, s14, 24
	s_delay_alu instid0(VALU_DEP_1)
	v_cmp_gt_u32_e64 s3, s6, v20
	s_and_b32 exec_lo, exec_lo, s3
	s_cbranch_execz .LBB118_3
; %bb.36:
	v_mul_lo_u32 v20, v20, s11
	s_and_saveexec_b32 s3, vcc_lo
	s_cbranch_execnz .LBB118_70
; %bb.37:
	s_or_b32 exec_lo, exec_lo, s3
	s_and_saveexec_b32 s3, s0
	s_cbranch_execnz .LBB118_71
.LBB118_38:
	s_or_b32 exec_lo, exec_lo, s3
	s_and_saveexec_b32 s3, s1
	s_cbranch_execnz .LBB118_72
.LBB118_39:
	s_or_b32 exec_lo, exec_lo, s3
	s_and_saveexec_b32 s3, s2
	s_cbranch_execz .LBB118_41
.LBB118_40:
	v_add_nc_u32_e32 v20, v20, v28
	s_wait_kmcnt 0x0
	global_store_b32 v20, v21, s[8:9] scale_offset
.LBB118_41:
	s_wait_xcnt 0x0
	s_or_b32 exec_lo, exec_lo, s3
	v_add3_u32 v20, v8, s14, 32
	s_delay_alu instid0(VALU_DEP_1)
	v_cmp_gt_u32_e64 s3, s6, v20
	s_and_b32 exec_lo, exec_lo, s3
	s_cbranch_execz .LBB118_3
; %bb.42:
	v_mul_lo_u32 v20, v20, s11
	s_and_saveexec_b32 s3, vcc_lo
	s_cbranch_execnz .LBB118_73
; %bb.43:
	s_or_b32 exec_lo, exec_lo, s3
	s_and_saveexec_b32 s3, s0
	s_cbranch_execnz .LBB118_74
.LBB118_44:
	s_or_b32 exec_lo, exec_lo, s3
	s_and_saveexec_b32 s3, s1
	s_cbranch_execnz .LBB118_75
.LBB118_45:
	s_or_b32 exec_lo, exec_lo, s3
	s_and_saveexec_b32 s3, s2
	s_cbranch_execz .LBB118_47
.LBB118_46:
	v_add_nc_u32_e32 v14, v20, v28
	s_wait_kmcnt 0x0
	global_store_b32 v14, v12, s[8:9] scale_offset
.LBB118_47:
	s_wait_xcnt 0x0
	s_or_b32 exec_lo, exec_lo, s3
	v_add3_u32 v12, v8, s14, 40
	s_delay_alu instid0(VALU_DEP_1)
	v_cmp_gt_u32_e64 s3, s6, v12
	s_and_b32 exec_lo, exec_lo, s3
	s_cbranch_execz .LBB118_3
; %bb.48:
	v_mul_lo_u32 v12, v12, s11
	s_and_saveexec_b32 s3, vcc_lo
	s_cbranch_execnz .LBB118_76
; %bb.49:
	s_or_b32 exec_lo, exec_lo, s3
	s_and_saveexec_b32 s3, s0
	s_cbranch_execnz .LBB118_77
.LBB118_50:
	s_or_b32 exec_lo, exec_lo, s3
	s_and_saveexec_b32 s3, s1
	s_cbranch_execnz .LBB118_78
.LBB118_51:
	s_or_b32 exec_lo, exec_lo, s3
	s_and_saveexec_b32 s3, s2
	s_cbranch_execz .LBB118_53
.LBB118_52:
	v_add_nc_u32_e32 v12, v12, v28
	s_wait_kmcnt 0x0
	global_store_b32 v12, v13, s[8:9] scale_offset
.LBB118_53:
	s_wait_xcnt 0x0
	s_or_b32 exec_lo, exec_lo, s3
	v_add3_u32 v12, v8, s14, 48
	s_delay_alu instid0(VALU_DEP_1)
	v_cmp_gt_u32_e64 s3, s6, v12
	s_and_b32 exec_lo, exec_lo, s3
	s_cbranch_execz .LBB118_3
; %bb.54:
	v_mul_lo_u32 v12, v12, s11
	s_and_saveexec_b32 s3, vcc_lo
	s_cbranch_execnz .LBB118_79
; %bb.55:
	s_or_b32 exec_lo, exec_lo, s3
	s_and_saveexec_b32 s3, s0
	s_cbranch_execnz .LBB118_80
.LBB118_56:
	s_or_b32 exec_lo, exec_lo, s3
	s_and_saveexec_b32 s3, s1
	s_cbranch_execnz .LBB118_81
.LBB118_57:
	s_or_b32 exec_lo, exec_lo, s3
	s_and_saveexec_b32 s3, s2
	s_cbranch_execz .LBB118_59
.LBB118_58:
	v_add_nc_u32_e32 v2, v12, v28
	s_wait_kmcnt 0x0
	global_store_b32 v2, v0, s[8:9] scale_offset
.LBB118_59:
	s_wait_xcnt 0x0
	s_or_b32 exec_lo, exec_lo, s3
	v_add3_u32 v0, v8, s14, 56
	s_delay_alu instid0(VALU_DEP_1)
	v_cmp_gt_u32_e64 s3, s6, v0
	s_and_b32 exec_lo, exec_lo, s3
	s_cbranch_execz .LBB118_3
; %bb.60:
	v_mul_lo_u32 v0, v0, s11
	s_and_saveexec_b32 s3, vcc_lo
	s_cbranch_execnz .LBB118_82
; %bb.61:
	s_or_b32 exec_lo, exec_lo, s3
	s_and_saveexec_b32 s3, s0
	s_cbranch_execnz .LBB118_83
.LBB118_62:
	s_or_b32 exec_lo, exec_lo, s3
	s_and_saveexec_b32 s0, s1
	s_cbranch_execnz .LBB118_84
.LBB118_63:
	s_or_b32 exec_lo, exec_lo, s0
	s_delay_alu instid0(SALU_CYCLE_1)
	s_and_b32 exec_lo, exec_lo, s2
	s_cbranch_execz .LBB118_3
	s_branch .LBB118_85
.LBB118_64:
	s_delay_alu instid0(VALU_DEP_1)
	v_add_nc_u32_e32 v30, v29, v9
	s_wait_kmcnt 0x0
	global_store_b32 v30, v37, s[8:9] scale_offset
	s_wait_xcnt 0x0
	s_or_b32 exec_lo, exec_lo, s3
	s_and_saveexec_b32 s3, s0
	s_cbranch_execz .LBB118_26
.LBB118_65:
	s_delay_alu instid0(VALU_DEP_1)
	v_add_nc_u32_e32 v30, v29, v10
	s_wait_kmcnt 0x0
	global_store_b32 v30, v35, s[8:9] scale_offset
	s_wait_xcnt 0x0
	s_or_b32 exec_lo, exec_lo, s3
	s_and_saveexec_b32 s3, s1
	s_cbranch_execz .LBB118_27
.LBB118_66:
	s_delay_alu instid0(VALU_DEP_1)
	v_add_nc_u32_e32 v30, v29, v11
	s_wait_kmcnt 0x0
	global_store_b32 v30, v33, s[8:9] scale_offset
	s_wait_xcnt 0x0
	s_or_b32 exec_lo, exec_lo, s3
	s_and_saveexec_b32 s3, s2
	s_cbranch_execnz .LBB118_28
	s_branch .LBB118_29
.LBB118_67:
	s_delay_alu instid0(VALU_DEP_1)
	v_add_nc_u32_e32 v30, v29, v9
	s_wait_kmcnt 0x0
	global_store_b32 v30, v26, s[8:9] scale_offset
	s_wait_xcnt 0x0
	s_or_b32 exec_lo, exec_lo, s3
	s_and_saveexec_b32 s3, s0
	s_cbranch_execz .LBB118_32
.LBB118_68:
	s_delay_alu instid0(VALU_DEP_1)
	v_add_nc_u32_e32 v26, v29, v10
	s_wait_kmcnt 0x0
	global_store_b32 v26, v24, s[8:9] scale_offset
	s_wait_xcnt 0x0
	s_or_b32 exec_lo, exec_lo, s3
	s_and_saveexec_b32 s3, s1
	s_cbranch_execz .LBB118_33
.LBB118_69:
	s_delay_alu instid0(VALU_DEP_1)
	v_add_nc_u32_e32 v24, v29, v11
	s_wait_kmcnt 0x0
	global_store_b32 v24, v22, s[8:9] scale_offset
	s_wait_xcnt 0x0
	s_or_b32 exec_lo, exec_lo, s3
	s_and_saveexec_b32 s3, s2
	s_cbranch_execnz .LBB118_34
	s_branch .LBB118_35
.LBB118_70:
	s_delay_alu instid0(VALU_DEP_1)
	v_add_nc_u32_e32 v22, v20, v9
	s_wait_kmcnt 0x0
	global_store_b32 v22, v27, s[8:9] scale_offset
	s_wait_xcnt 0x0
	s_or_b32 exec_lo, exec_lo, s3
	s_and_saveexec_b32 s3, s0
	s_cbranch_execz .LBB118_38
.LBB118_71:
	s_delay_alu instid0(VALU_DEP_1)
	v_add_nc_u32_e32 v22, v20, v10
	s_wait_kmcnt 0x0
	global_store_b32 v22, v25, s[8:9] scale_offset
	s_wait_xcnt 0x0
	s_or_b32 exec_lo, exec_lo, s3
	s_and_saveexec_b32 s3, s1
	s_cbranch_execz .LBB118_39
.LBB118_72:
	s_delay_alu instid0(VALU_DEP_1)
	v_add_nc_u32_e32 v22, v20, v11
	s_wait_kmcnt 0x0
	global_store_b32 v22, v23, s[8:9] scale_offset
	s_wait_xcnt 0x0
	s_or_b32 exec_lo, exec_lo, s3
	s_and_saveexec_b32 s3, s2
	s_cbranch_execnz .LBB118_40
	s_branch .LBB118_41
.LBB118_73:
	s_delay_alu instid0(VALU_DEP_1)
	v_add_nc_u32_e32 v21, v20, v9
	s_wait_kmcnt 0x0
	global_store_b32 v21, v18, s[8:9] scale_offset
	s_wait_xcnt 0x0
	s_or_b32 exec_lo, exec_lo, s3
	s_and_saveexec_b32 s3, s0
	s_cbranch_execz .LBB118_44
.LBB118_74:
	s_delay_alu instid0(VALU_DEP_1)
	v_add_nc_u32_e32 v18, v20, v10
	s_wait_kmcnt 0x0
	global_store_b32 v18, v16, s[8:9] scale_offset
	s_wait_xcnt 0x0
	s_or_b32 exec_lo, exec_lo, s3
	s_and_saveexec_b32 s3, s1
	s_cbranch_execz .LBB118_45
.LBB118_75:
	s_delay_alu instid0(VALU_DEP_1)
	v_add_nc_u32_e32 v16, v20, v11
	s_wait_kmcnt 0x0
	global_store_b32 v16, v14, s[8:9] scale_offset
	s_wait_xcnt 0x0
	s_or_b32 exec_lo, exec_lo, s3
	s_and_saveexec_b32 s3, s2
	s_cbranch_execnz .LBB118_46
	s_branch .LBB118_47
.LBB118_76:
	s_delay_alu instid0(VALU_DEP_1)
	v_add_nc_u32_e32 v14, v12, v9
	s_wait_kmcnt 0x0
	global_store_b32 v14, v19, s[8:9] scale_offset
	s_wait_xcnt 0x0
	s_or_b32 exec_lo, exec_lo, s3
	s_and_saveexec_b32 s3, s0
	s_cbranch_execz .LBB118_50
.LBB118_77:
	s_delay_alu instid0(VALU_DEP_1)
	v_add_nc_u32_e32 v14, v12, v10
	s_wait_kmcnt 0x0
	global_store_b32 v14, v17, s[8:9] scale_offset
	s_wait_xcnt 0x0
	s_or_b32 exec_lo, exec_lo, s3
	s_and_saveexec_b32 s3, s1
	s_cbranch_execz .LBB118_51
.LBB118_78:
	s_delay_alu instid0(VALU_DEP_1)
	v_add_nc_u32_e32 v14, v12, v11
	s_wait_kmcnt 0x0
	global_store_b32 v14, v15, s[8:9] scale_offset
	s_wait_xcnt 0x0
	s_or_b32 exec_lo, exec_lo, s3
	s_and_saveexec_b32 s3, s2
	s_cbranch_execnz .LBB118_52
	s_branch .LBB118_53
.LBB118_79:
	s_delay_alu instid0(VALU_DEP_1)
	v_add_nc_u32_e32 v13, v12, v9
	s_wait_kmcnt 0x0
	global_store_b32 v13, v6, s[8:9] scale_offset
	s_wait_xcnt 0x0
	s_or_b32 exec_lo, exec_lo, s3
	s_and_saveexec_b32 s3, s0
	s_cbranch_execz .LBB118_56
.LBB118_80:
	s_delay_alu instid0(VALU_DEP_1)
	v_add_nc_u32_e32 v6, v12, v10
	s_wait_kmcnt 0x0
	global_store_b32 v6, v4, s[8:9] scale_offset
	s_wait_xcnt 0x0
	s_or_b32 exec_lo, exec_lo, s3
	s_and_saveexec_b32 s3, s1
	s_cbranch_execz .LBB118_57
.LBB118_81:
	s_delay_alu instid0(VALU_DEP_1)
	v_add_nc_u32_e32 v4, v12, v11
	s_wait_kmcnt 0x0
	global_store_b32 v4, v2, s[8:9] scale_offset
	s_wait_xcnt 0x0
	s_or_b32 exec_lo, exec_lo, s3
	s_and_saveexec_b32 s3, s2
	s_cbranch_execnz .LBB118_58
	s_branch .LBB118_59
.LBB118_82:
	s_delay_alu instid0(VALU_DEP_1)
	v_add_nc_u32_e32 v2, v0, v9
	s_wait_kmcnt 0x0
	global_store_b32 v2, v7, s[8:9] scale_offset
	s_wait_xcnt 0x0
	s_or_b32 exec_lo, exec_lo, s3
	s_and_saveexec_b32 s3, s0
	s_cbranch_execz .LBB118_62
.LBB118_83:
	s_delay_alu instid0(VALU_DEP_1)
	v_add_nc_u32_e32 v2, v0, v10
	s_wait_kmcnt 0x0
	global_store_b32 v2, v5, s[8:9] scale_offset
	s_wait_xcnt 0x0
	s_or_b32 exec_lo, exec_lo, s3
	s_and_saveexec_b32 s0, s1
	s_cbranch_execz .LBB118_63
.LBB118_84:
	s_delay_alu instid0(VALU_DEP_1) | instskip(SKIP_4) | instid1(SALU_CYCLE_1)
	v_add_nc_u32_e32 v2, v0, v11
	s_wait_kmcnt 0x0
	global_store_b32 v2, v3, s[8:9] scale_offset
	s_wait_xcnt 0x0
	s_or_b32 exec_lo, exec_lo, s0
	s_and_b32 exec_lo, exec_lo, s2
	s_cbranch_execz .LBB118_3
.LBB118_85:
	v_add_nc_u32_e32 v0, v0, v28
	s_wait_kmcnt 0x0
	global_store_b32 v0, v1, s[8:9] scale_offset
	s_sendmsg sendmsg(MSG_DEALLOC_VGPRS)
	s_endpgm
	.section	.rodata,"a",@progbits
	.p2align	6, 0x0
	.amdhsa_kernel _ZL12mul_mat_q4_0IfLb1EEvPKvS1_PT_iiiii
		.amdhsa_group_segment_fixed_size 30336
		.amdhsa_private_segment_fixed_size 0
		.amdhsa_kernarg_size 44
		.amdhsa_user_sgpr_count 2
		.amdhsa_user_sgpr_dispatch_ptr 0
		.amdhsa_user_sgpr_queue_ptr 0
		.amdhsa_user_sgpr_kernarg_segment_ptr 1
		.amdhsa_user_sgpr_dispatch_id 0
		.amdhsa_user_sgpr_kernarg_preload_length 0
		.amdhsa_user_sgpr_kernarg_preload_offset 0
		.amdhsa_user_sgpr_private_segment_size 0
		.amdhsa_wavefront_size32 1
		.amdhsa_uses_dynamic_stack 0
		.amdhsa_enable_private_segment 0
		.amdhsa_system_sgpr_workgroup_id_x 1
		.amdhsa_system_sgpr_workgroup_id_y 1
		.amdhsa_system_sgpr_workgroup_id_z 0
		.amdhsa_system_sgpr_workgroup_info 0
		.amdhsa_system_vgpr_workitem_id 1
		.amdhsa_next_free_vgpr 438
		.amdhsa_next_free_sgpr 17
		.amdhsa_named_barrier_count 0
		.amdhsa_reserve_vcc 1
		.amdhsa_float_round_mode_32 0
		.amdhsa_float_round_mode_16_64 0
		.amdhsa_float_denorm_mode_32 3
		.amdhsa_float_denorm_mode_16_64 3
		.amdhsa_fp16_overflow 0
		.amdhsa_memory_ordered 1
		.amdhsa_forward_progress 1
		.amdhsa_inst_pref_size 255
		.amdhsa_round_robin_scheduling 0
		.amdhsa_exception_fp_ieee_invalid_op 0
		.amdhsa_exception_fp_denorm_src 0
		.amdhsa_exception_fp_ieee_div_zero 0
		.amdhsa_exception_fp_ieee_overflow 0
		.amdhsa_exception_fp_ieee_underflow 0
		.amdhsa_exception_fp_ieee_inexact 0
		.amdhsa_exception_int_div_zero 0
	.end_amdhsa_kernel
	.section	.text._ZL12mul_mat_q4_0IfLb1EEvPKvS1_PT_iiiii,"axG",@progbits,_ZL12mul_mat_q4_0IfLb1EEvPKvS1_PT_iiiii,comdat
.Lfunc_end118:
	.size	_ZL12mul_mat_q4_0IfLb1EEvPKvS1_PT_iiiii, .Lfunc_end118-_ZL12mul_mat_q4_0IfLb1EEvPKvS1_PT_iiiii
                                        ; -- End function
	.set _ZL12mul_mat_q4_0IfLb1EEvPKvS1_PT_iiiii.num_vgpr, 438
	.set _ZL12mul_mat_q4_0IfLb1EEvPKvS1_PT_iiiii.num_agpr, 0
	.set _ZL12mul_mat_q4_0IfLb1EEvPKvS1_PT_iiiii.numbered_sgpr, 17
	.set _ZL12mul_mat_q4_0IfLb1EEvPKvS1_PT_iiiii.num_named_barrier, 0
	.set _ZL12mul_mat_q4_0IfLb1EEvPKvS1_PT_iiiii.private_seg_size, 0
	.set _ZL12mul_mat_q4_0IfLb1EEvPKvS1_PT_iiiii.uses_vcc, 1
	.set _ZL12mul_mat_q4_0IfLb1EEvPKvS1_PT_iiiii.uses_flat_scratch, 0
	.set _ZL12mul_mat_q4_0IfLb1EEvPKvS1_PT_iiiii.has_dyn_sized_stack, 0
	.set _ZL12mul_mat_q4_0IfLb1EEvPKvS1_PT_iiiii.has_recursion, 0
	.set _ZL12mul_mat_q4_0IfLb1EEvPKvS1_PT_iiiii.has_indirect_call, 0
	.section	.AMDGPU.csdata,"",@progbits
; Kernel info:
; codeLenInByte = 39004
; TotalNumSgprs: 19
; NumVgprs: 438
; ScratchSize: 0
; MemoryBound: 0
; FloatMode: 240
; IeeeMode: 1
; LDSByteSize: 30336 bytes/workgroup (compile time only)
; SGPRBlocks: 0
; VGPRBlocks: 27
; NumSGPRsForWavesPerEU: 19
; NumVGPRsForWavesPerEU: 438
; NamedBarCnt: 0
; Occupancy: 2
; WaveLimiterHint : 0
; COMPUTE_PGM_RSRC2:SCRATCH_EN: 0
; COMPUTE_PGM_RSRC2:USER_SGPR: 2
; COMPUTE_PGM_RSRC2:TRAP_HANDLER: 0
; COMPUTE_PGM_RSRC2:TGID_X_EN: 1
; COMPUTE_PGM_RSRC2:TGID_Y_EN: 1
; COMPUTE_PGM_RSRC2:TGID_Z_EN: 0
; COMPUTE_PGM_RSRC2:TIDIG_COMP_CNT: 1
	.section	.text._ZL12mul_mat_q4_1IfLb0EEvPKvS1_PT_iiiii,"axG",@progbits,_ZL12mul_mat_q4_1IfLb0EEvPKvS1_PT_iiiii,comdat
	.globl	_ZL12mul_mat_q4_1IfLb0EEvPKvS1_PT_iiiii ; -- Begin function _ZL12mul_mat_q4_1IfLb0EEvPKvS1_PT_iiiii
	.p2align	8
	.type	_ZL12mul_mat_q4_1IfLb0EEvPKvS1_PT_iiiii,@function
_ZL12mul_mat_q4_1IfLb0EEvPKvS1_PT_iiiii: ; @_ZL12mul_mat_q4_1IfLb0EEvPKvS1_PT_iiiii
; %bb.0:
	s_clause 0x1
	s_load_b32 s10, s[0:1], 0x18
	s_load_b96 s[4:6], s[0:1], 0x20
	s_bfe_u32 s2, ttmp6, 0x4000c
	s_bfe_u32 s7, ttmp6, 0x40010
	s_add_co_i32 s2, s2, 1
	s_and_b32 s3, ttmp6, 15
	s_mul_i32 s2, ttmp9, s2
	s_add_co_i32 s7, s7, 1
	s_add_co_i32 s3, s3, s2
	s_mul_i32 s2, ttmp7, s7
	s_bfe_u32 s7, ttmp6, 0x40004
	s_getreg_b32 s8, hwreg(HW_REG_IB_STS2, 6, 4)
	s_add_co_i32 s7, s7, s2
	s_cmp_eq_u32 s8, 0
	v_bfe_u32 v19, v0, 10, 10
	s_cselect_b32 s7, ttmp7, s7
	v_and_b32_e32 v25, 0x3ff, v0
	s_cselect_b32 s2, ttmp9, s3
	s_lshl_b32 s7, s7, 6
	s_mov_b32 s3, 0
	s_wait_kmcnt 0x0
	s_cmp_gt_i32 s10, 31
	s_cbranch_scc1 .LBB119_4
; %bb.1:
	v_bfe_u32 v18, v0, 10, 10
	v_and_b32_e32 v20, 0x3ff, v0
	s_delay_alu instid0(VALU_DEP_2)
	v_add_nc_u32_e32 v39, s7, v18
	s_load_b64 s[8:9], s[0:1], 0x10
	s_and_not1_b32 vcc_lo, exec_lo, s3
	s_lshl_b32 s14, s2, 7
	s_cbranch_vccz .LBB119_5
; %bb.2:
	v_dual_mov_b32 v11, 0 :: v_dual_mov_b32 v10, 0
	v_mov_b64_e32 v[0:1], 0
	v_mov_b64_e32 v[32:33], 0
	;; [unrolled: 1-line block ×7, first 2 shown]
	v_dual_mov_b32 v23, 0 :: v_dual_mov_b32 v22, 0
	v_dual_mov_b32 v13, 0 :: v_dual_mov_b32 v12, 0
	;; [unrolled: 1-line block ×8, first 2 shown]
	s_wait_xcnt 0x0
	s_mov_b32 s0, exec_lo
	v_cmpx_gt_u32_e64 s4, v39
	s_cbranch_execnz .LBB119_15
.LBB119_3:
	s_sendmsg sendmsg(MSG_DEALLOC_VGPRS)
	s_endpgm
.LBB119_4:
                                        ; implicit-def: $vgpr18
                                        ; implicit-def: $vgpr20
                                        ; implicit-def: $vgpr39
	s_load_b64 s[8:9], s[0:1], 0x10
	s_lshl_b32 s14, s2, 7
.LBB119_5:
	v_dual_add_nc_u32 v39, s7, v19 :: v_dual_mov_b32 v21, 0
	s_add_co_i32 s16, s4, -1
	s_ashr_i32 s11, s10, 31
	v_cvt_f64_i32_e32 v[2:3], s16
	s_delay_alu instid0(VALU_DEP_2) | instskip(SKIP_2) | instid1(VALU_DEP_3)
	v_dual_add_nc_u32 v1, 8, v39 :: v_dual_add_nc_u32 v8, 16, v39
	v_dual_add_nc_u32 v10, 24, v39 :: v_dual_add_nc_u32 v12, 32, v39
	v_cvt_f64_u32_e32 v[4:5], v39
	v_cvt_f64_u32_e32 v[6:7], v1
	s_delay_alu instid0(VALU_DEP_4)
	v_cvt_f64_u32_e32 v[8:9], v8
	s_ashr_i32 s12, s5, 31
	v_cvt_f64_u32_e32 v[12:13], v12
	s_lshr_b32 s11, s11, 27
	s_lshr_b32 s12, s12, 27
	s_add_co_i32 s17, s10, s11
	s_add_co_i32 s10, s5, s12
	s_ashr_i32 s5, s17, 5
	v_dual_add_nc_u32 v14, 40, v39 :: v_dual_add_nc_u32 v1, 48, v39
	v_mul_lo_u32 v38, s5, v19
	v_bfe_u32 v18, v0, 2, 8
	v_dual_lshlrev_b32 v30, 7, v19 :: v_dual_bitop2_b32 v28, 31, v0 bitop3:0x40
	s_delay_alu instid0(VALU_DEP_4) | instskip(SKIP_3) | instid1(VALU_DEP_2)
	v_cvt_f64_u32_e32 v[16:17], v1
	v_dual_lshlrev_b32 v1, 2, v25 :: v_dual_bitop2_b32 v24, 7, v0 bitop3:0x40
	v_dual_add_nc_u32 v20, 56, v39 :: v_dual_bitop2_b32 v29, 3, v0 bitop3:0x40
	s_lshl_b32 s18, s5, 3
	v_mad_u32_u24 v43, 0x84, v19, v1
	v_dual_mov_b32 v27, v21 :: v_dual_bitop2_b32 v26, 28, v1 bitop3:0x40
	s_delay_alu instid0(VALU_DEP_3)
	v_cvt_f64_u32_e32 v[22:23], v20
	v_dual_lshlrev_b32 v32, 2, v24 :: v_dual_bitop2_b32 v20, 12, v1 bitop3:0x40
	v_lshl_or_b32 v1, v28, 2, 0x4200
	v_lshl_add_u32 v28, v19, 3, v18
	v_add_nc_u32_e32 v40, s18, v38
	v_cvt_f64_u32_e32 v[10:11], v10
	v_dual_min_num_f64 v[4:5], v[4:5], v[2:3] :: v_dual_lshlrev_b32 v33, 2, v29
	v_min_num_f64_e32 v[6:7], v[6:7], v[2:3]
	v_min_num_f64_e32 v[8:9], v[8:9], v[2:3]
	v_dual_min_num_f64 v[12:13], v[12:13], v[2:3] :: v_dual_add_nc_u32 v42, s18, v40
	v_cvt_f64_u32_e32 v[14:15], v14
	s_ashr_i32 s19, s10, 5
	v_bfe_u32 v41, v0, 3, 7
	v_and_b32_e32 v0, 0xfc, v0
	v_add_nc_u32_e32 v44, s18, v42
	v_add_nc_u32_e32 v34, 0x400, v30
	;; [unrolled: 1-line block ×3, first 2 shown]
	v_lshl_add_u32 v31, v19, 2, v41
	s_wait_xcnt 0x0
	s_load_b128 s[0:3], s[0:1], 0x0
	s_and_not1_b32 s17, s17, 31
	v_min_num_f64_e32 v[16:17], v[16:17], v[2:3]
	s_mul_i32 s10, s5, s14
	v_mul_lo_u32 v62, s5, v31
	v_add_nc_u32_e32 v180, 0x4200, v30
	v_mov_b64_e32 v[36:37], 0
	s_ashr_i32 s11, s10, 31
	v_add_nc_u32_e32 v45, 0x420, v43
	v_add_nc_u32_e32 v47, 0x840, v43
	v_add_nc_u32_e32 v49, 0xc60, v43
	v_add_nc_u32_e32 v51, 0x1080, v43
	v_add_nc_u32_e32 v53, 0x14a0, v43
	v_add_nc_u32_e32 v57, 0x18c0, v43
	v_add_nc_u32_e32 v59, 0x1ce0, v43
	v_add_nc_u32_e32 v61, 0x2100, v43
	v_add_nc_u32_e32 v63, 0x2520, v43
	v_add_nc_u32_e32 v65, 0x2940, v43
	v_cvt_i32_f64_e32 v4, v[4:5]
	v_add_nc_u32_e32 v67, 0x2d60, v43
	v_cvt_i32_f64_e32 v5, v[6:7]
	v_cvt_i32_f64_e32 v6, v[8:9]
	;; [unrolled: 1-line block ×3, first 2 shown]
	v_and_b32_e32 v9, 0x7fc, v31
	v_min_num_f64_e32 v[14:15], v[14:15], v[2:3]
	s_wait_kmcnt 0x0
	v_add_nc_u64_e32 v[54:55], s[2:3], v[26:27]
	v_mov_b64_e32 v[26:27], 0
	v_add_nc_u32_e32 v69, 0x3180, v43
	v_add3_u32 v9, v9, v32, 0x6200
	v_add_nc_u32_e32 v71, 0x35a0, v43
	v_add_nc_u32_e32 v73, 0x39c0, v43
	;; [unrolled: 1-line block ×3, first 2 shown]
	v_mul_u32_u24_e32 v186, 0x84, v25
	v_lshl_add_u32 v187, v19, 4, 0x7280
	v_mad_u32_u24 v188, 0x84, v25, 64
	s_mul_u64 s[12:13], s[10:11], 20
	s_mov_b32 s11, 0
	s_add_co_i32 s15, s5, 3
	s_add_nc_u64 s[0:1], s[0:1], s[12:13]
	s_mov_b32 s10, s11
	v_dual_add_nc_u32 v46, s18, v44 :: v_dual_add_nc_u32 v12, 32, v31
	v_add_nc_u32_e32 v172, v1, v34
	v_mul_lo_u32 v79, s19, v4
	v_add_nc_u32_e32 v4, 0x1000, v30
	v_mul_lo_u32 v156, s19, v5
	v_mul_lo_u32 v157, s19, v6
	;; [unrolled: 1-line block ×3, first 2 shown]
	v_add_nc_u32_e32 v8, 32, v25
	v_cvt_i32_f64_e32 v13, v[16:17]
	v_dual_min_num_f64 v[10:11], v[10:11], v[2:3] :: v_dual_bitop2_b32 v16, 63, v28 bitop3:0x40
	v_min_num_f64_e32 v[2:3], v[22:23], v[2:3]
	v_add_nc_u32_e32 v6, 0x60, v25
	v_and_b32_e32 v17, 0xffc, v12
	s_delay_alu instid0(VALU_DEP_4)
	v_or_b32_e32 v23, s7, v16
	v_lshlrev_b32_e32 v12, 5, v12
	v_add_nc_u32_e32 v5, 0x1400, v30
	v_and_b32_e32 v6, 0x1fc, v6
	v_add3_u32 v17, v17, v32, 0x6200
	v_add_nc_u32_e32 v175, v1, v4
	v_mul_lo_u32 v161, s19, v13
	v_lshlrev_b32_e32 v13, 5, v25
	v_cvt_i32_f64_e32 v7, v[10:11]
	v_cvt_i32_f64_e32 v2, v[2:3]
	v_lshl_or_b32 v3, v16, 4, v33
	v_min_i32_e32 v16, s16, v23
	v_dual_lshlrev_b32 v10, 5, v31 :: v_dual_lshrrev_b32 v163, 3, v8
	s_delay_alu instid0(VALU_DEP_3) | instskip(NEXT) | instid1(VALU_DEP_3)
	v_add_nc_u32_e32 v75, 0x7280, v3
	v_mad_u32 v77, v16, s19, v29
	v_and_b32_e32 v16, 0x1fc, v8
	v_add_nc_u32_e32 v48, s18, v46
	v_add_nc_u32_e32 v3, 0xc00, v30
	;; [unrolled: 1-line block ×3, first 2 shown]
	v_mov_b64_e32 v[8:9], 0
	s_delay_alu instid0(VALU_DEP_3)
	v_add_nc_u32_e32 v174, v1, v3
	v_mul_lo_u32 v158, s19, v7
	v_add_nc_u32_e32 v7, 64, v25
	v_cvt_i32_f64_e32 v11, v[14:15]
	v_add_nc_u32_e32 v14, 64, v31
	v_add_nc_u32_e32 v15, 0x60, v31
	v_mul_lo_u32 v162, s19, v2
	v_and_b32_e32 v7, 0x1fc, v7
	v_add_nc_u32_e32 v2, v13, v6
	v_and_b32_e32 v22, 0xffc, v14
	v_and_b32_e32 v28, 0xffc, v15
	v_dual_lshlrev_b32 v14, 5, v14 :: v_dual_lshlrev_b32 v15, 5, v15
	v_dual_add_nc_u32 v6, v13, v7 :: v_dual_add_nc_u32 v7, v13, v16
	v_add_nc_u32_e32 v50, s18, v48
	v_add_nc_u32_e32 v0, v13, v0
	v_add3_u32 v23, v28, v32, 0x6200
	v_add_nc_u32_e32 v13, 0x1c00, v30
	v_add3_u32 v22, v22, v32, 0x6200
	v_add_nc_u32_e32 v52, s18, v50
	v_add_nc_u32_e32 v165, 0x6e00, v2
	v_dual_add_nc_u32 v170, v23, v15 :: v_dual_add_nc_u32 v166, v17, v12
	s_delay_alu instid0(VALU_DEP_3) | instskip(SKIP_3) | instid1(VALU_DEP_4)
	v_dual_add_nc_u32 v168, v22, v14 :: v_dual_add_nc_u32 v56, s18, v52
	v_add_nc_u32_e32 v167, 0x6a00, v6
	v_add_nc_u32_e32 v169, 0x6600, v7
	;; [unrolled: 1-line block ×3, first 2 shown]
	v_dual_add_nc_u32 v178, v1, v13 :: v_dual_add_nc_u32 v58, s18, v56
	v_add_nc_u32_e32 v173, v1, v35
	v_add_nc_u32_e32 v181, 0x6e10, v2
	;; [unrolled: 1-line block ×5, first 2 shown]
	v_mul_lo_u32 v160, s19, v11
	v_add_nc_u32_e32 v11, 0x1800, v30
	v_add_nc_u32_e32 v176, v1, v5
	;; [unrolled: 1-line block ×3, first 2 shown]
	v_dual_add_nc_u32 v64, s18, v60 :: v_dual_add_nc_u32 v179, v1, v30
	s_delay_alu instid0(VALU_DEP_4) | instskip(SKIP_2) | instid1(VALU_DEP_4)
	v_add_nc_u32_e32 v177, v1, v11
	v_mov_b64_e32 v[6:7], 0
	v_mov_b64_e32 v[4:5], 0
	v_add_nc_u32_e32 v66, s18, v64
	v_mov_b64_e32 v[34:35], 0
	v_mov_b64_e32 v[2:3], 0
	;; [unrolled: 1-line block ×4, first 2 shown]
	v_add_nc_u32_e32 v68, s18, v66
	v_add_nc_u32_e32 v70, s17, v62
	v_mov_b64_e32 v[28:29], 0
	v_mov_b64_e32 v[14:15], 0
	v_mov_b64_e32 v[12:13], 0
	s_delay_alu instid0(VALU_DEP_4)
	v_dual_add_nc_u32 v72, s18, v68 :: v_dual_add_nc_u32 v74, s17, v70
	v_mov_b64_e32 v[22:23], 0
	v_mov_b64_e32 v[10:11], 0
	;; [unrolled: 1-line block ×4, first 2 shown]
	v_dual_add_nc_u32 v76, s18, v72 :: v_dual_add_nc_u32 v78, s17, v74
	s_branch .LBB119_7
.LBB119_6:                              ;   in Loop: Header=BB119_7 Depth=1
	s_add_co_i32 s10, s10, 8
	s_add_co_i32 s15, s15, -8
	s_cmp_ge_i32 s10, s5
	s_cbranch_scc1 .LBB119_14
.LBB119_7:                              ; =>This Loop Header: Depth=1
                                        ;     Child Loop BB119_9 Depth 2
                                        ;     Child Loop BB119_12 Depth 2
	s_mul_u64 s[12:13], s[10:11], 20
	s_cmp_gt_u32 s15, 3
	s_add_nc_u64 s[12:13], s[0:1], s[12:13]
	s_wait_xcnt 0x0
	v_mad_nc_u64_u32 v[80:81], v18, 20, s[12:13]
	s_delay_alu instid0(VALU_DEP_1) | instskip(NEXT) | instid1(VALU_DEP_1)
	v_mad_nc_u64_u32 v[82:83], v38, 20, v[80:81]
	v_add_nc_u64_e32 v[82:83], v[82:83], v[20:21]
	global_load_b32 v82, v[82:83], off offset:4
	s_wait_loadcnt 0x0
	ds_store_b32 v43, v82
	s_wait_xcnt 0x0
	v_mad_nc_u64_u32 v[82:83], v40, 20, v[80:81]
	s_delay_alu instid0(VALU_DEP_1)
	v_add_nc_u64_e32 v[82:83], v[82:83], v[20:21]
	global_load_b32 v82, v[82:83], off offset:4
	s_wait_loadcnt 0x0
	ds_store_b32 v45, v82
	s_wait_xcnt 0x0
	v_mad_nc_u64_u32 v[82:83], v42, 20, v[80:81]
	s_delay_alu instid0(VALU_DEP_1)
	;; [unrolled: 7-line block ×13, first 2 shown]
	v_add_nc_u64_e32 v[82:83], v[82:83], v[20:21]
	global_load_b32 v82, v[82:83], off offset:4
	s_wait_loadcnt 0x0
	ds_store_b32 v71, v82
	s_wait_xcnt 0x0
	v_mad_nc_u64_u32 v[82:83], v72, 20, v[80:81]
	v_mad_nc_u64_u32 v[80:81], v76, 20, v[80:81]
	s_delay_alu instid0(VALU_DEP_2) | instskip(NEXT) | instid1(VALU_DEP_2)
	v_add_nc_u64_e32 v[82:83], v[82:83], v[20:21]
	v_add_nc_u64_e32 v[80:81], v[80:81], v[20:21]
	s_clause 0x1
	global_load_b32 v82, v[82:83], off offset:4
	global_load_b32 v80, v[80:81], off offset:4
	s_wait_loadcnt 0x1
	ds_store_b32 v73, v82
	s_wait_loadcnt 0x0
	ds_store_b32 v185, v80
	s_wait_xcnt 0x0
	v_mad_nc_u64_u32 v[80:81], v24, 20, s[12:13]
	s_delay_alu instid0(VALU_DEP_1)
	v_mad_nc_u64_u32 v[82:83], v62, 20, v[80:81]
	global_load_b32 v82, v[82:83], off
	s_wait_loadcnt 0x0
	ds_store_b32 v164, v82
	s_wait_xcnt 0x0
	v_mad_nc_u64_u32 v[82:83], v70, 20, v[80:81]
	global_load_b32 v82, v[82:83], off
	s_wait_loadcnt 0x0
	ds_store_b32 v166, v82
	s_wait_xcnt 0x0
	v_mad_nc_u64_u32 v[82:83], v74, 20, v[80:81]
	v_mad_nc_u64_u32 v[80:81], v78, 20, v[80:81]
	s_clause 0x1
	global_load_b32 v82, v[82:83], off
	global_load_b32 v80, v[80:81], off
	s_wait_loadcnt 0x1
	ds_store_b32 v168, v82
	s_wait_loadcnt 0x0
	ds_store_b32 v170, v80
	s_cbranch_scc0 .LBB119_6
; %bb.8:                                ;   in Loop: Header=BB119_7 Depth=1
	s_wait_xcnt 0x1
	v_dual_add_nc_u32 v82, s10, v41 :: v_dual_mov_b32 v190, v180
	v_dual_mov_b32 v196, v186 :: v_dual_add_nc_u32 v189, s10, v77
	s_mov_b32 s12, -4
	s_wait_xcnt 0x0
	s_delay_alu instid0(VALU_DEP_2) | instskip(SKIP_2) | instid1(VALU_DEP_3)
	v_dual_mov_b32 v191, v187 :: v_dual_add_nc_u32 v80, v82, v79
	v_dual_mov_b32 v192, v171 :: v_dual_mov_b32 v193, v169
	v_mov_b32_e32 v194, v167
	v_mad_nc_i64_i32 v[80:81], v80, 36, v[54:55]
	v_mov_b32_e32 v195, v165
	global_load_b32 v80, v[80:81], off offset:4
	s_wait_loadcnt 0x0
	ds_store_b32 v179, v80
	s_wait_xcnt 0x0
	v_add_nc_u32_e32 v80, v82, v156
	s_delay_alu instid0(VALU_DEP_1)
	v_mad_nc_i64_i32 v[80:81], v80, 36, v[54:55]
	global_load_b32 v80, v[80:81], off offset:4
	s_wait_loadcnt 0x0
	ds_store_b32 v172, v80
	s_wait_xcnt 0x0
	v_add_nc_u32_e32 v80, v82, v157
	s_delay_alu instid0(VALU_DEP_1)
	v_mad_nc_i64_i32 v[80:81], v80, 36, v[54:55]
	;; [unrolled: 7-line block ×7, first 2 shown]
	global_load_b32 v80, v[80:81], off offset:4
	s_wait_loadcnt 0x0
	ds_store_b32 v178, v80
	s_wait_xcnt 0x0
	v_mad_nc_u64_u32 v[80:81], v189, 36, s[2:3]
	global_load_b32 v80, v[80:81], off
	s_wait_loadcnt 0x0
	ds_store_b32 v75, v80
	s_wait_dscnt 0x0
	s_barrier_signal -1
	s_barrier_wait -1
.LBB119_9:                              ;   Parent Loop BB119_7 Depth=1
                                        ; =>  This Inner Loop Header: Depth=2
	ds_load_2addr_b32 v[82:83], v190 offset1:3
	s_wait_xcnt 0x0
	ds_load_2addr_b32 v[80:81], v190 offset0:4 offset1:7
	ds_load_2addr_b32 v[86:87], v190 offset0:1 offset1:2
	;; [unrolled: 1-line block ×3, first 2 shown]
	ds_load_b32 v197, v192
	ds_load_b32 v198, v193
	ds_load_b32 v199, v194
	ds_load_2addr_b32 v[88:89], v196 offset0:2 offset1:3
	ds_load_b32 v200, v195
	ds_load_2addr_b32 v[90:91], v191 offset1:32
	ds_load_2addr_b32 v[136:137], v191 offset0:128 offset1:160
	ds_load_2addr_b32 v[150:151], v191 offset0:64 offset1:96
	;; [unrolled: 1-line block ×3, first 2 shown]
	ds_load_2addr_b32 v[236:237], v196 offset1:1
	v_add_nc_u32_e32 v92, 0x2100, v196
	v_add_nc_u32_e32 v93, 0x2108, v196
	;; [unrolled: 1-line block ×21, first 2 shown]
	s_set_vgpr_msb 64                       ;  msbs: dst=1 src0=0 src1=0 src2=0
	v_add_nc_u32_e32 v2 /*v258*/, 0xc00, v190
	v_add_nc_u32_e32 v3 /*v259*/, 0x1800, v190
	;; [unrolled: 1-line block ×3, first 2 shown]
	s_set_vgpr_msb 0                        ;  msbs: dst=0 src0=0 src1=0 src2=0
	v_add_nc_u32_e32 v201, 0x1814, v190
	v_add_nc_u32_e32 v202, 0x1c04, v190
	;; [unrolled: 1-line block ×3, first 2 shown]
	ds_load_2addr_b32 v[242:243], v92 offset1:1
	ds_load_2addr_b32 v[142:143], v93 offset1:1
	;; [unrolled: 1-line block ×5, first 2 shown]
	ds_load_2addr_b32 v[144:145], v96 offset0:4 offset1:7
	ds_load_2addr_b32 v[138:139], v97 offset1:1
	ds_load_2addr_b32 v[132:133], v98 offset1:1
	ds_load_2addr_b32 v[120:121], v99 offset0:4 offset1:7
	ds_load_2addr_b32 v[118:119], v100 offset0:4 offset1:7
	ds_load_2addr_b32 v[130:131], v102 offset1:1
	ds_load_2addr_b32 v[128:129], v104 offset1:1
	;; [unrolled: 1-line block ×8, first 2 shown]
	s_set_vgpr_msb 1                        ;  msbs: dst=0 src0=1 src1=0 src2=0
	ds_load_2addr_b32 v[92:93], v2 /*v258*/ offset0:4 offset1:7
	ds_load_2addr_b32 v[96:97], v3 /*v259*/ offset0:4 offset1:7
	s_set_vgpr_msb 0                        ;  msbs: dst=0 src0=0 src1=0 src2=0
	ds_load_2addr_b32 v[148:149], v107 offset1:1
	ds_load_2addr_b32 v[146:147], v108 offset1:1
	;; [unrolled: 1-line block ×4, first 2 shown]
	ds_load_2addr_b32 v[122:123], v110 offset0:4 offset1:7
	ds_load_2addr_b32 v[106:107], v110 offset1:3
	s_set_vgpr_msb 1                        ;  msbs: dst=0 src0=1 src1=0 src2=0
	ds_load_2addr_b32 v[98:99], v4 /*v260*/ offset0:4 offset1:7
	s_set_vgpr_msb 0                        ;  msbs: dst=0 src0=0 src1=0 src2=0
	ds_load_2addr_b32 v[112:113], v112 offset1:1
	ds_load_2addr_b32 v[104:105], v201 offset1:1
	;; [unrolled: 1-line block ×4, first 2 shown]
	s_wait_dscnt 0x2a
	s_set_vgpr_msb 64                       ;  msbs: dst=1 src0=0 src1=0 src2=0
	v_bfe_i32 v9 /*v265*/, v86, 0, 8
	v_bfe_i32 v10 /*v266*/, v86, 8, 8
	;; [unrolled: 1-line block ×3, first 2 shown]
	s_wait_dscnt 0x29
	s_set_vgpr_msb 0                        ;  msbs: dst=0 src0=0 src1=0 src2=0
	v_dual_ashrrev_i32 v86, 24, v86 :: v_dual_ashrrev_i32 v247, 24, v84
	s_set_vgpr_msb 64                       ;  msbs: dst=1 src0=0 src1=0 src2=0
	v_bfe_i32 v12 /*v268*/, v84, 0, 8
	v_bfe_i32 v13 /*v269*/, v84, 8, 8
	s_set_vgpr_msb 0                        ;  msbs: dst=0 src0=0 src1=0 src2=0
	v_bfe_i32 v249, v84, 16, 8
	v_bfe_i32 v234, v87, 0, 8
	;; [unrolled: 1-line block ×4, first 2 shown]
	v_dual_ashrrev_i32 v205, 24, v87 :: v_dual_ashrrev_i32 v217, 24, v85
	v_bfe_i32 v201, v85, 8, 8
	v_bfe_i32 v202, v85, 0, 8
	;; [unrolled: 1-line block ×5, first 2 shown]
	v_ashrrev_i32_e32 v227, 24, v83
	v_bfe_i32 v228, v83, 16, 8
	s_set_vgpr_msb 64                       ;  msbs: dst=1 src0=0 src1=0 src2=0
	v_bfe_i32 v15 /*v271*/, v81, 0, 8
	v_bfe_i32 v18 /*v274*/, v81, 8, 8
	;; [unrolled: 1-line block ×3, first 2 shown]
	s_wait_dscnt 0x1f
	v_dual_ashrrev_i32 v54 /*v310*/, 24, v81 :: v_dual_bitop2_b32 v80 /*v336*/, 15, v236 bitop3:0x40
	s_set_vgpr_msb 0                        ;  msbs: dst=0 src0=0 src1=0 src2=0
	v_pk_mul_f16 v83, v199, v91
	v_pk_mul_f16 v84, v90, v199
	;; [unrolled: 1-line block ×4, first 2 shown]
	s_set_vgpr_msb 64                       ;  msbs: dst=1 src0=0 src1=0 src2=0
	v_pk_mul_f16 v14 /*v270*/, v199, v137
	v_pk_mul_f16 v16 /*v272*/, v199, v136
	;; [unrolled: 1-line block ×4, first 2 shown]
	s_set_vgpr_msb 0                        ;  msbs: dst=0 src0=0 src1=0 src2=0
	v_pk_mul_f16 v223, v90, v197
	v_pk_mul_f16 v214, v90, v198
	;; [unrolled: 1-line block ×12, first 2 shown]
	s_set_vgpr_msb 64                       ;  msbs: dst=1 src0=0 src1=0 src2=0
	v_pk_mul_f16 v145 /*v401*/, v198, v136
	s_set_vgpr_msb 0                        ;  msbs: dst=0 src0=0 src1=0 src2=0
	v_pk_mul_f16 v220, v197, v137
	s_set_vgpr_msb 64                       ;  msbs: dst=1 src0=0 src1=0 src2=0
	v_pk_mul_f16 v146 /*v402*/, v198, v137
	s_set_vgpr_msb 0                        ;  msbs: dst=0 src0=0 src1=0 src2=0
	v_pk_mul_f16 v215, v197, v152
	v_pk_mul_f16 v218, v197, v153
	;; [unrolled: 1-line block ×4, first 2 shown]
	s_set_vgpr_msb 64                       ;  msbs: dst=1 src0=0 src1=0 src2=0
	v_pk_mul_f16 v147 /*v403*/, v199, v152
	v_pk_mul_f16 v153 /*v409*/, v199, v153
	;; [unrolled: 1-line block ×4, first 2 shown]
	v_bfe_u32 v88 /*v344*/, v236, 8, 4
	v_bfe_u32 v93 /*v349*/, v236, 16, 4
	;; [unrolled: 1-line block ×3, first 2 shown]
	s_set_vgpr_msb 0                        ;  msbs: dst=0 src0=0 src1=0 src2=0
	v_lshrrev_b32_e32 v81, 28, v236
	v_bfe_u32 v90, v236, 4, 4
	v_bfe_u32 v91, v236, 20, 4
	s_set_vgpr_msb 64                       ;  msbs: dst=1 src0=0 src1=0 src2=0
	v_bfe_u32 v73 /*v329*/, v89, 20, 4
	s_set_vgpr_msb 0                        ;  msbs: dst=0 src0=0 src1=0 src2=0
	v_dual_lshrrev_b32 v236, 4, v236 :: v_dual_bitop2_b32 v230, 15, v89 bitop3:0x40
	v_bfe_u32 v229, v89, 16, 4
	s_wait_dscnt 0x1d
	v_dual_lshrrev_b32 v200, 28, v88 :: v_dual_bitop2_b32 v253, 15, v142 bitop3:0x40
	v_bfe_u32 v225, v89, 24, 4
	s_set_vgpr_msb 64                       ;  msbs: dst=1 src0=0 src1=0 src2=0
	v_dual_lshrrev_b32 v19 /*v275*/, 4, v88 :: v_dual_lshrrev_b32 v5 /*v261*/, 28, v89
	v_and_b32_e32 v28 /*v284*/, 0xf0f0f0f, v89
	v_bfe_u32 v7 /*v263*/, v89, 4, 4
	v_bfe_u32 v75 /*v331*/, v89, 12, 4
	s_set_vgpr_msb 0                        ;  msbs: dst=0 src0=0 src1=0 src2=0
	v_bfe_u32 v89, v242, 20, 4
	s_set_vgpr_msb 64                       ;  msbs: dst=1 src0=0 src1=0 src2=0
	v_dual_lshrrev_b32 v8 /*v264*/, 28, v242 :: v_dual_bitop2_b32 v61 /*v317*/, 15, v242 bitop3:0x40
	v_bfe_u32 v64 /*v320*/, v242, 8, 4
	s_set_vgpr_msb 0                        ;  msbs: dst=0 src0=0 src1=0 src2=0
	v_bfe_u32 v254, v242, 4, 4
	v_bfe_u32 v255, v242, 12, 4
	s_set_vgpr_msb 64                       ;  msbs: dst=1 src0=0 src1=0 src2=0
	v_bfe_u32 v37 /*v293*/, v142, 8, 4
	s_set_vgpr_msb 0                        ;  msbs: dst=0 src0=0 src1=0 src2=0
	v_bfe_u32 v240, v142, 24, 4
	v_bfe_u32 v241, v142, 16, 4
	v_bfe_u32 v198, v142, 4, 4
	v_bfe_u32 v152, v142, 12, 4
	v_lshrrev_b32_e32 v197, 28, v142
	v_bfe_u32 v153, v142, 20, 4
	s_wait_dscnt 0x19
	s_set_vgpr_msb 64                       ;  msbs: dst=1 src0=0 src1=0 src2=0
	v_bfe_i32 v38 /*v294*/, v144, 8, 8
	s_set_vgpr_msb 0                        ;  msbs: dst=0 src0=0 src1=0 src2=0
	v_bfe_u32 v142, v242, 24, 4
	s_set_vgpr_msb 64                       ;  msbs: dst=1 src0=0 src1=0 src2=0
	v_bfe_u32 v90 /*v346*/, v242, 16, 4
	s_wait_dscnt 0x18
	s_set_vgpr_msb 0                        ;  msbs: dst=0 src0=0 src1=0 src2=0
	v_bfe_u32 v242, v138, 12, 4
	v_bfe_i32 v232, v82, 0, 8
	s_set_vgpr_msb 64                       ;  msbs: dst=1 src0=0 src1=0 src2=0
	v_bfe_u32 v29 /*v285*/, v243, 20, 4
	v_dual_lshrrev_b32 v36 /*v292*/, 28, v243 :: v_dual_bitop2_b32 v30 /*v286*/, 15, v243 bitop3:0x40
	v_bfe_u32 v21 /*v277*/, v243, 8, 4
	v_bfe_u32 v31 /*v287*/, v243, 16, 4
	;; [unrolled: 1-line block ×5, first 2 shown]
	s_set_vgpr_msb 0                        ;  msbs: dst=0 src0=0 src1=0 src2=0
	v_bfe_i32 v243, v144, 0, 8
	s_set_vgpr_msb 64                       ;  msbs: dst=1 src0=0 src1=0 src2=0
	v_bfe_i32 v39 /*v295*/, v144, 16, 8
	s_set_vgpr_msb 0                        ;  msbs: dst=0 src0=0 src1=0 src2=0
	v_ashrrev_i32_e32 v144, 24, v144
	s_set_vgpr_msb 64                       ;  msbs: dst=1 src0=0 src1=0 src2=0
	v_bfe_i32 v40 /*v296*/, v244, 0, 8
	v_bfe_i32 v41 /*v297*/, v244, 8, 8
	;; [unrolled: 1-line block ×3, first 2 shown]
	v_dual_ashrrev_i32 v43 /*v299*/, 24, v244 :: v_dual_ashrrev_i32 v47 /*v303*/, 24, v154
	v_dual_ashrrev_i32 v1 /*v257*/, 24, v245 :: v_dual_lshrrev_b32 v50 /*v306*/, 28, v138
	s_set_vgpr_msb 0                        ;  msbs: dst=0 src0=0 src1=0 src2=0
	v_bfe_u32 v244, v138, 4, 4
	s_set_vgpr_msb 64                       ;  msbs: dst=1 src0=0 src1=0 src2=0
	v_bfe_u32 v49 /*v305*/, v138, 20, 4
	s_wait_dscnt 0x16
	v_dual_ashrrev_i32 v58 /*v314*/, 24, v120 :: v_dual_bitop2_b32 v69 /*v325*/, 15, v138 bitop3:0x40
	s_wait_dscnt 0x15
	v_bfe_i32 v59 /*v315*/, v118, 8, 8
	s_set_vgpr_msb 0x41                     ;  msbs: dst=1 src0=1 src1=0 src2=0
	v_mul_i32_i24_e32 v118 /*v374*/, v38 /*v294*/, v242
	s_set_vgpr_msb 0                        ;  msbs: dst=0 src0=0 src1=0 src2=0
	v_bfe_i32 v235, v82, 8, 8
	v_bfe_i32 v246, v82, 16, 8
	v_ashrrev_i32_e32 v82, 24, v82
	v_pk_mul_f16 v207, v199, v150
	v_bfe_i32 v150, v245, 0, 8
	s_set_vgpr_msb 64                       ;  msbs: dst=1 src0=0 src1=0 src2=0
	v_bfe_i32 v0 /*v256*/, v245, 8, 8
	s_set_vgpr_msb 0                        ;  msbs: dst=0 src0=0 src1=0 src2=0
	v_bfe_i32 v238, v245, 16, 8
	s_set_vgpr_msb 64                       ;  msbs: dst=1 src0=0 src1=0 src2=0
	v_bfe_u32 v70 /*v326*/, v138, 8, 4
	v_bfe_u32 v92 /*v348*/, v138, 16, 4
	s_set_vgpr_msb 0                        ;  msbs: dst=0 src0=0 src1=0 src2=0
	v_bfe_u32 v138, v138, 24, 4
	s_set_vgpr_msb 64                       ;  msbs: dst=1 src0=0 src1=0 src2=0
	v_dual_ashrrev_i32 v63 /*v319*/, 24, v118 :: v_dual_bitop2_b32 v53 /*v309*/, 15, v139 bitop3:0x40
	s_set_vgpr_msb 0                        ;  msbs: dst=0 src0=0 src1=0 src2=0
	v_bfe_i32 v245, v120, 8, 8
	s_set_vgpr_msb 64                       ;  msbs: dst=1 src0=0 src1=0 src2=0
	v_bfe_i32 v60 /*v316*/, v118, 0, 8
	v_bfe_i32 v62 /*v318*/, v118, 16, 8
	s_set_vgpr_msb 0x41                     ;  msbs: dst=1 src0=1 src1=0 src2=0
	v_mul_i32_i24_e32 v71 /*v327*/, v80 /*v336*/, v232
	s_wait_dscnt 0xe
	s_set_vgpr_msb 64                       ;  msbs: dst=1 src0=0 src1=0 src2=0
	v_bfe_u32 v78 /*v334*/, v134, 12, 4
	s_wait_dscnt 0xc
	v_bfe_i32 v83 /*v339*/, v92, 8, 8
	s_set_vgpr_msb 0x41                     ;  msbs: dst=1 src0=1 src1=0 src2=0
	v_mul_i32_i24_e32 v112 /*v368*/, v38 /*v294*/, v255
	s_set_vgpr_msb 0x45                     ;  msbs: dst=1 src0=1 src1=1 src2=0
	v_mul_i32_i24_e32 v119 /*v375*/, v39 /*v295*/, v49 /*v305*/
	s_set_vgpr_msb 0x44                     ;  msbs: dst=1 src0=0 src1=1 src2=0
	v_mul_i32_i24_e32 v120 /*v376*/, v144, v50 /*v306*/
	s_set_vgpr_msb 0x41                     ;  msbs: dst=1 src0=1 src1=0 src2=0
	v_mul_i32_i24_e32 v122 /*v378*/, v69 /*v325*/, v232
	v_mul_i32_i24_e32 v128 /*v384*/, v59 /*v315*/, v255
	s_set_vgpr_msb 0x50                     ;  msbs: dst=1 src0=0 src1=0 src2=1
	v_mad_i32_i24 v118 /*v374*/, v243, v244, v118 /*v374*/
	s_set_vgpr_msb 0                        ;  msbs: dst=0 src0=0 src1=0 src2=0
	v_bfe_i32 v250, v80, 0, 8
	v_bfe_i32 v251, v80, 8, 8
	s_set_vgpr_msb 64                       ;  msbs: dst=1 src0=0 src1=0 src2=0
	v_bfe_i32 v6 /*v262*/, v80, 16, 8
	s_set_vgpr_msb 0                        ;  msbs: dst=0 src0=0 src1=0 src2=0
	v_ashrrev_i32_e32 v80, 24, v80
	s_set_vgpr_msb 64                       ;  msbs: dst=1 src0=0 src1=0 src2=0
	v_bfe_i32 v56 /*v312*/, v120, 0, 8
	v_bfe_i32 v57 /*v313*/, v120, 16, 8
	s_set_vgpr_msb 0x41                     ;  msbs: dst=1 src0=1 src1=0 src2=0
	v_mul_i32_i24_e32 v72 /*v328*/, v93 /*v349*/, v246
	v_mul_i32_i24_e32 v77 /*v333*/, v121 /*v377*/, v82
	s_set_vgpr_msb 64                       ;  msbs: dst=1 src0=0 src1=0 src2=0
	v_bfe_u32 v79 /*v335*/, v134, 4, 4
	v_bfe_u32 v81 /*v337*/, v134, 20, 4
	s_wait_dscnt 0xa
	v_dual_lshrrev_b32 v82 /*v338*/, 28, v134 :: v_dual_ashrrev_i32 v91 /*v347*/, 24, v148
	v_bfe_i32 v84 /*v340*/, v92, 0, 8
	v_bfe_i32 v85 /*v341*/, v92, 16, 8
	s_set_vgpr_msb 0                        ;  msbs: dst=0 src0=0 src1=0 src2=0
	v_dual_ashrrev_i32 v92, 24, v92 :: v_dual_bitop2_b32 v120, 15, v134 bitop3:0x40
	s_set_vgpr_msb 0x41                     ;  msbs: dst=1 src0=1 src1=0 src2=0
	v_mul_i32_i24_e32 v113 /*v369*/, v61 /*v317*/, v232
	v_mul_i32_i24_e32 v114 /*v370*/, v39 /*v295*/, v89
	s_set_vgpr_msb 0x44                     ;  msbs: dst=1 src0=0 src1=1 src2=0
	v_mul_i32_i24_e32 v115 /*v371*/, v144, v8 /*v264*/
	s_set_vgpr_msb 0x41                     ;  msbs: dst=1 src0=1 src1=0 src2=0
	v_mul_i32_i24_e32 v123 /*v379*/, v92 /*v348*/, v246
	s_set_vgpr_msb 64                       ;  msbs: dst=1 src0=0 src1=0 src2=0
	v_mul_i32_i24_e32 v124 /*v380*/, v138, v82
	v_mul_i32_i24_e32 v125 /*v381*/, v245, v255
	s_set_vgpr_msb 0x51                     ;  msbs: dst=1 src0=1 src1=0 src2=1
	v_mul_i32_i24_e32 v129 /*v385*/, v62 /*v318*/, v89
	v_mad_i32_i24 v71 /*v327*/, v88 /*v344*/, v235, v71 /*v327*/
	s_set_vgpr_msb 0x45                     ;  msbs: dst=1 src0=1 src1=1 src2=0
	v_mul_i32_i24_e32 v130 /*v386*/, v63 /*v319*/, v8 /*v264*/
	s_set_vgpr_msb 0x50                     ;  msbs: dst=1 src0=0 src1=0 src2=1
	v_mul_i32_i24_e32 v131 /*v387*/, v245, v242
	v_mad_i32_i24 v112 /*v368*/, v243, v254, v112 /*v368*/
	s_set_vgpr_msb 0x55                     ;  msbs: dst=1 src0=1 src1=1 src2=1
	v_add3_u32 v118 /*v374*/, v118 /*v374*/, v119 /*v375*/, v120 /*v376*/
	v_mul_i32_i24_e32 v119 /*v375*/, v83 /*v339*/, v78 /*v334*/
	s_set_vgpr_msb 0x51                     ;  msbs: dst=1 src0=1 src1=0 src2=1
	v_mad_i32_i24 v122 /*v378*/, v70 /*v326*/, v235, v122 /*v378*/
	v_mad_i32_i24 v128 /*v384*/, v60 /*v316*/, v254, v128 /*v384*/
	s_set_vgpr_msb 64                       ;  msbs: dst=1 src0=0 src1=0 src2=0
	v_bfe_i32 v86 /*v342*/, v96, 8, 8
	s_set_vgpr_msb 0x41                     ;  msbs: dst=1 src0=1 src1=0 src2=0
	v_mul_i32_i24_e32 v116 /*v372*/, v90 /*v346*/, v246
	s_set_vgpr_msb 64                       ;  msbs: dst=1 src0=0 src1=0 src2=0
	v_mul_i32_i24_e32 v117 /*v373*/, v142, v82
	s_set_vgpr_msb 0x41                     ;  msbs: dst=1 src0=1 src1=0 src2=0
	v_mul_i32_i24_e32 v126 /*v382*/, v57 /*v313*/, v89
	s_set_vgpr_msb 0x55                     ;  msbs: dst=1 src0=1 src1=1 src2=1
	v_mul_i32_i24_e32 v127 /*v383*/, v58 /*v314*/, v8 /*v264*/
	v_mul_i32_i24_e32 v132 /*v388*/, v57 /*v313*/, v49 /*v305*/
	;; [unrolled: 1-line block ×3, first 2 shown]
	v_add3_u32 v71 /*v327*/, v71 /*v327*/, v72 /*v328*/, v77 /*v333*/
	s_set_vgpr_msb 0x41                     ;  msbs: dst=1 src0=1 src1=0 src2=0
	v_mul_i32_i24_e32 v72 /*v328*/, v59 /*v315*/, v242
	s_set_vgpr_msb 0x55                     ;  msbs: dst=1 src0=1 src1=1 src2=1
	v_add3_u32 v112 /*v368*/, v112 /*v368*/, v114 /*v370*/, v115 /*v371*/
	v_mul_i32_i24_e32 v115 /*v371*/, v38 /*v294*/, v78 /*v334*/
	s_set_vgpr_msb 0x51                     ;  msbs: dst=1 src0=1 src1=0 src2=1
	v_mad_i32_i24 v113 /*v369*/, v64 /*v320*/, v235, v113 /*v369*/
	s_set_vgpr_msb 0x55                     ;  msbs: dst=1 src0=1 src1=1 src2=1
	v_mul_i32_i24_e32 v120 /*v376*/, v85 /*v341*/, v81 /*v337*/
	v_add3_u32 v122 /*v378*/, v122 /*v378*/, v123 /*v379*/, v124 /*v380*/
	s_set_vgpr_msb 0x44                     ;  msbs: dst=1 src0=0 src1=1 src2=0
	v_mul_i32_i24_e32 v123 /*v379*/, v92, v82 /*v338*/
	s_set_vgpr_msb 0x51                     ;  msbs: dst=1 src0=1 src1=0 src2=1
	v_mul_i32_i24_e32 v124 /*v380*/, v83 /*v339*/, v255
	v_mad_i32_i24 v125 /*v381*/, v56 /*v312*/, v254, v125 /*v381*/
	s_set_vgpr_msb 0x55                     ;  msbs: dst=1 src0=1 src1=1 src2=1
	v_add3_u32 v128 /*v384*/, v128 /*v384*/, v129 /*v385*/, v130 /*v386*/
	s_set_vgpr_msb 0x51                     ;  msbs: dst=1 src0=1 src1=0 src2=1
	v_mul_i32_i24_e32 v129 /*v385*/, v83 /*v339*/, v242
	v_mad_i32_i24 v131 /*v387*/, v56 /*v312*/, v244, v131 /*v387*/
	s_set_vgpr_msb 0x55                     ;  msbs: dst=1 src0=1 src1=1 src2=1
	v_mad_i32_i24 v119 /*v375*/, v84 /*v340*/, v79 /*v335*/, v119 /*v375*/
	s_set_vgpr_msb 64                       ;  msbs: dst=1 src0=0 src1=0 src2=0
	v_bfe_i32 v87 /*v343*/, v96, 0, 8
	v_bfe_i32 v89 /*v345*/, v96, 16, 8
	s_set_vgpr_msb 0                        ;  msbs: dst=0 src0=0 src1=0 src2=0
	v_ashrrev_i32_e32 v96, 24, v96
	s_set_vgpr_msb 0x55                     ;  msbs: dst=1 src0=1 src1=1 src2=1
	v_mul_i32_i24_e32 v77 /*v333*/, v62 /*v318*/, v49 /*v305*/
	v_mul_i32_i24_e32 v114 /*v370*/, v63 /*v319*/, v50 /*v306*/
	v_add3_u32 v113 /*v369*/, v113 /*v369*/, v116 /*v372*/, v117 /*v373*/
	v_mul_i32_i24_e32 v116 /*v372*/, v39 /*v295*/, v81 /*v337*/
	s_set_vgpr_msb 0x44                     ;  msbs: dst=1 src0=0 src1=1 src2=0
	v_mul_i32_i24_e32 v117 /*v373*/, v144, v82 /*v338*/
	s_set_vgpr_msb 0x55                     ;  msbs: dst=1 src0=1 src1=1 src2=1
	v_add3_u32 v125 /*v381*/, v125 /*v381*/, v126 /*v382*/, v127 /*v383*/
	s_set_vgpr_msb 0x41                     ;  msbs: dst=1 src0=1 src1=0 src2=0
	v_mul_i32_i24_e32 v126 /*v382*/, v85 /*v341*/, v89
	s_set_vgpr_msb 0x44                     ;  msbs: dst=1 src0=0 src1=1 src2=0
	v_mul_i32_i24_e32 v127 /*v383*/, v92, v8 /*v264*/
	s_set_vgpr_msb 0x55                     ;  msbs: dst=1 src0=1 src1=1 src2=1
	v_mul_i32_i24_e32 v130 /*v386*/, v85 /*v341*/, v49 /*v305*/
	v_add3_u32 v131 /*v387*/, v131 /*v387*/, v132 /*v388*/, v133 /*v389*/
	s_set_vgpr_msb 0x44                     ;  msbs: dst=1 src0=0 src1=1 src2=0
	v_mul_i32_i24_e32 v132 /*v388*/, v92, v50 /*v306*/
	v_mul_i32_i24_e32 v133 /*v389*/, v245, v78 /*v334*/
	s_set_vgpr_msb 0x51                     ;  msbs: dst=1 src0=1 src1=0 src2=1
	v_mad_i32_i24 v72 /*v328*/, v60 /*v316*/, v244, v72 /*v328*/
	s_set_vgpr_msb 0x54                     ;  msbs: dst=1 src0=0 src1=1 src2=1
	v_mad_i32_i24 v115 /*v371*/, v243, v79 /*v335*/, v115 /*v371*/
	s_set_vgpr_msb 0x55                     ;  msbs: dst=1 src0=1 src1=1 src2=1
	v_add3_u32 v119 /*v375*/, v119 /*v375*/, v120 /*v376*/, v123 /*v379*/
	v_mul_i32_i24_e32 v123 /*v379*/, v86 /*v342*/, v78 /*v334*/
	s_set_vgpr_msb 0x51                     ;  msbs: dst=1 src0=1 src1=0 src2=1
	v_mad_i32_i24 v124 /*v380*/, v84 /*v340*/, v254, v124 /*v380*/
	v_mad_i32_i24 v129 /*v385*/, v84 /*v340*/, v244, v129 /*v385*/
	s_set_vgpr_msb 64                       ;  msbs: dst=1 src0=0 src1=0 src2=0
	v_bfe_u32 v22 /*v278*/, v237, 24, 4
	s_wait_dscnt 0x4
	v_bfe_i32 v107 /*v363*/, v98, 8, 8
	v_bfe_i32 v108 /*v364*/, v98, 0, 8
	;; [unrolled: 1-line block ×3, first 2 shown]
	s_set_vgpr_msb 0                        ;  msbs: dst=0 src0=0 src1=0 src2=0
	v_ashrrev_i32_e32 v98, 24, v98
	s_set_vgpr_msb 0x55                     ;  msbs: dst=1 src0=1 src1=1 src2=1
	v_add3_u32 v72 /*v328*/, v72 /*v328*/, v77 /*v333*/, v114 /*v370*/
	v_mul_i32_i24_e32 v77 /*v333*/, v57 /*v313*/, v81 /*v337*/
	v_mul_i32_i24_e32 v114 /*v370*/, v58 /*v314*/, v82 /*v338*/
	v_add3_u32 v115 /*v371*/, v115 /*v371*/, v116 /*v372*/, v117 /*v373*/
	v_mul_i32_i24_e32 v116 /*v372*/, v59 /*v315*/, v78 /*v334*/
	v_add3_u32 v124 /*v380*/, v124 /*v380*/, v126 /*v382*/, v127 /*v383*/
	v_mul_i32_i24_e32 v126 /*v382*/, v89 /*v345*/, v81 /*v337*/
	s_set_vgpr_msb 0x44                     ;  msbs: dst=1 src0=0 src1=1 src2=0
	v_mul_i32_i24_e32 v127 /*v383*/, v96, v82 /*v338*/
	s_set_vgpr_msb 0x55                     ;  msbs: dst=1 src0=1 src1=1 src2=1
	v_add3_u32 v129 /*v385*/, v129 /*v385*/, v130 /*v386*/, v132 /*v388*/
	s_set_vgpr_msb 0x41                     ;  msbs: dst=1 src0=1 src1=0 src2=0
	v_mul_i32_i24_e32 v130 /*v386*/, v86 /*v342*/, v255
	s_set_vgpr_msb 0x55                     ;  msbs: dst=1 src0=1 src1=1 src2=1
	v_mad_i32_i24 v133 /*v389*/, v56 /*v312*/, v79 /*v335*/, v133 /*v389*/
	v_mad_i32_i24 v123 /*v379*/, v87 /*v343*/, v79 /*v335*/, v123 /*v379*/
	s_set_vgpr_msb 64                       ;  msbs: dst=1 src0=0 src1=0 src2=0
	v_dual_lshrrev_b32 v23 /*v279*/, 28, v237 :: v_dual_bitop2_b32 v24 /*v280*/, 15, v237 bitop3:0x40
	s_set_vgpr_msb 0                        ;  msbs: dst=0 src0=0 src1=0 src2=0
	v_bfe_u32 v239, v88, 24, 4
	s_set_vgpr_msb 64                       ;  msbs: dst=1 src0=0 src1=0 src2=0
	v_dual_ashrrev_i32 v94 /*v350*/, 24, v122 :: v_dual_ashrrev_i32 v98 /*v354*/, 24, v149
	v_dual_ashrrev_i32 v97 /*v353*/, 24, v146 :: v_dual_ashrrev_i32 v134 /*v390*/, 24, v108
	v_bfe_i32 v99 /*v355*/, v148, 0, 8
	s_set_vgpr_msb 0x45                     ;  msbs: dst=1 src0=1 src1=1 src2=0
	v_mul_i32_i24_e32 v117 /*v373*/, v62 /*v318*/, v81 /*v337*/
	v_mul_i32_i24_e32 v120 /*v376*/, v63 /*v319*/, v82 /*v338*/
	s_set_vgpr_msb 0x41                     ;  msbs: dst=1 src0=1 src1=0 src2=0
	v_mul_i32_i24_e32 v132 /*v388*/, v89 /*v345*/, v89
	s_set_vgpr_msb 0x55                     ;  msbs: dst=1 src0=1 src1=1 src2=1
	v_add3_u32 v77 /*v333*/, v133 /*v389*/, v77 /*v333*/, v114 /*v370*/
	s_set_vgpr_msb 0x44                     ;  msbs: dst=1 src0=0 src1=1 src2=0
	v_mul_i32_i24_e32 v114 /*v370*/, v96, v8 /*v264*/
	s_set_vgpr_msb 0x41                     ;  msbs: dst=1 src0=1 src1=0 src2=0
	v_mul_i32_i24_e32 v133 /*v389*/, v86 /*v342*/, v242
	s_set_vgpr_msb 0x55                     ;  msbs: dst=1 src0=1 src1=1 src2=1
	v_mad_i32_i24 v116 /*v372*/, v60 /*v316*/, v79 /*v335*/, v116 /*v372*/
	v_add3_u32 v123 /*v379*/, v123 /*v379*/, v126 /*v382*/, v127 /*v383*/
	v_mul_i32_i24_e32 v126 /*v382*/, v91 /*v347*/, v22 /*v278*/
	s_set_vgpr_msb 0x51                     ;  msbs: dst=1 src0=1 src1=0 src2=1
	v_mad_i32_i24 v130 /*v386*/, v87 /*v343*/, v254, v130 /*v386*/
	s_set_vgpr_msb 64                       ;  msbs: dst=1 src0=0 src1=0 src2=0
	v_bfe_u32 v25 /*v281*/, v237, 4, 4
	s_set_vgpr_msb 0                        ;  msbs: dst=0 src0=0 src1=0 src2=0
	v_dual_lshrrev_b32 v252, 4, v237 :: v_dual_bitop2_b32 v199, 15, v88 bitop3:0x40
	s_set_vgpr_msb 64                       ;  msbs: dst=1 src0=0 src1=0 src2=0
	v_bfe_u32 v26 /*v282*/, v237, 16, 4
	s_set_vgpr_msb 0                        ;  msbs: dst=0 src0=0 src1=0 src2=0
	v_bfe_u32 v118, v134, 8, 4
	s_set_vgpr_msb 64                       ;  msbs: dst=1 src0=0 src1=0 src2=0
	v_bfe_u32 v95 /*v351*/, v134, 16, 4
	s_set_vgpr_msb 0                        ;  msbs: dst=0 src0=0 src1=0 src2=0
	v_bfe_u32 v134, v134, 24, 4
	s_set_vgpr_msb 64                       ;  msbs: dst=1 src0=0 src1=0 src2=0
	v_bfe_i32 v100 /*v356*/, v122, 0, 8
	v_bfe_i32 v101 /*v357*/, v146, 0, 8
	;; [unrolled: 1-line block ×5, first 2 shown]
	s_set_vgpr_msb 0x55                     ;  msbs: dst=1 src0=1 src1=1 src2=1
	v_add3_u32 v116 /*v372*/, v116 /*v372*/, v117 /*v373*/, v120 /*v376*/
	v_mul_i32_i24_e32 v117 /*v373*/, v89 /*v345*/, v49 /*v305*/
	s_set_vgpr_msb 0x44                     ;  msbs: dst=1 src0=0 src1=1 src2=0
	v_mul_i32_i24_e32 v120 /*v376*/, v96, v50 /*v306*/
	s_set_vgpr_msb 0                        ;  msbs: dst=0 src0=0 src1=0 src2=0
	v_mul_i32_i24_e32 v232, v120, v232
	s_set_vgpr_msb 0x55                     ;  msbs: dst=1 src0=1 src1=1 src2=1
	v_mul_i32_i24_e32 v127 /*v383*/, v97 /*v353*/, v23 /*v279*/
	v_add3_u32 v114 /*v370*/, v130 /*v386*/, v132 /*v388*/, v114 /*v370*/
	s_set_vgpr_msb 0x41                     ;  msbs: dst=1 src0=1 src1=0 src2=0
	v_mul_i32_i24_e32 v130 /*v386*/, v98 /*v354*/, v239
	s_set_vgpr_msb 0x45                     ;  msbs: dst=1 src0=1 src1=1 src2=0
	v_mul_i32_i24_e32 v132 /*v388*/, v99 /*v355*/, v24 /*v280*/
	s_set_vgpr_msb 0x51                     ;  msbs: dst=1 src0=1 src1=0 src2=1
	v_mad_i32_i24 v133 /*v389*/, v87 /*v343*/, v244, v133 /*v389*/
	v_mad_i32_i24 v126 /*v382*/, v94 /*v350*/, v81, v126 /*v382*/
	s_set_vgpr_msb 64                       ;  msbs: dst=1 src0=0 src1=0 src2=0
	v_bfe_u32 v27 /*v283*/, v237, 20, 4
	s_set_vgpr_msb 0                        ;  msbs: dst=0 src0=0 src1=0 src2=0
	v_bfe_u32 v231, v88, 16, 4
	s_set_vgpr_msb 64                       ;  msbs: dst=1 src0=0 src1=0 src2=0
	v_bfe_i32 v104 /*v360*/, v122, 16, 8
	v_bfe_i32 v105 /*v361*/, v146, 16, 8
	;; [unrolled: 1-line block ×6, first 2 shown]
	s_set_vgpr_msb 1                        ;  msbs: dst=0 src0=1 src1=0 src2=0
	v_mul_i32_i24_e32 v246, v95 /*v351*/, v246
	s_set_vgpr_msb 0                        ;  msbs: dst=0 src0=0 src1=0 src2=0
	v_mul_i32_i24_e32 v82, v134, v82
	s_set_vgpr_msb 0x55                     ;  msbs: dst=1 src0=1 src1=1 src2=1
	v_add3_u32 v117 /*v373*/, v133 /*v389*/, v117 /*v373*/, v120 /*v376*/
	v_mul_i32_i24_e32 v120 /*v376*/, v101 /*v357*/, v25 /*v281*/
	s_set_vgpr_msb 0x41                     ;  msbs: dst=1 src0=1 src1=0 src2=0
	v_mul_i32_i24_e32 v133 /*v389*/, v102 /*v358*/, v199
	s_set_vgpr_msb 0                        ;  msbs: dst=0 src0=0 src1=0 src2=0
	v_mad_i32_i24 v232, v118, v235, v232
	s_set_vgpr_msb 5                        ;  msbs: dst=0 src0=1 src1=1 src2=0
	v_mul_i32_i24_e32 v235, v103 /*v359*/, v26 /*v282*/
	s_set_vgpr_msb 0x55                     ;  msbs: dst=1 src0=1 src1=1 src2=1
	v_add3_u32 v126 /*v382*/, v126 /*v382*/, v127 /*v383*/, v130 /*v386*/
	v_mul_i32_i24_e32 v127 /*v383*/, v96 /*v352*/, v93 /*v349*/
	s_set_vgpr_msb 0x51                     ;  msbs: dst=1 src0=1 src1=0 src2=1
	v_mad_i32_i24 v132 /*v388*/, v100 /*v356*/, v90, v132 /*v388*/
	s_set_vgpr_msb 0                        ;  msbs: dst=0 src0=0 src1=0 src2=0
	v_add3_u32 v82, v232, v246, v82
	s_set_vgpr_msb 5                        ;  msbs: dst=0 src0=1 src1=1 src2=0
	v_mul_i32_i24_e32 v232, v105 /*v361*/, v27 /*v283*/
	s_set_vgpr_msb 1                        ;  msbs: dst=0 src0=1 src1=0 src2=0
	v_mul_i32_i24_e32 v246, v106 /*v362*/, v231
	s_set_vgpr_msb 0x55                     ;  msbs: dst=1 src0=1 src1=1 src2=1
	v_mul_i32_i24_e32 v130 /*v386*/, v32 /*v288*/, v73 /*v329*/
	v_add3_u32 v120 /*v376*/, v132 /*v388*/, v120 /*v376*/, v133 /*v389*/
	v_mul_i32_i24_e32 v132 /*v388*/, v76 /*v332*/, v80 /*v336*/
	v_mul_i32_i24_e32 v133 /*v389*/, v107 /*v363*/, v78 /*v334*/
	s_set_vgpr_msb 1                        ;  msbs: dst=0 src0=1 src1=0 src2=0
	v_mad_i32_i24 v235, v104 /*v360*/, v91, v235
	s_set_vgpr_msb 0x55                     ;  msbs: dst=1 src0=1 src1=1 src2=1
	v_mad_i32_i24 v127 /*v383*/, v74 /*v330*/, v88 /*v344*/, v127 /*v383*/
	s_set_vgpr_msb 64                       ;  msbs: dst=1 src0=0 src1=0 src2=0
	v_bfe_u32 v51 /*v307*/, v139, 8, 4
	v_bfe_u32 v52 /*v308*/, v139, 24, 4
	s_set_vgpr_msb 0x55                     ;  msbs: dst=1 src0=1 src1=1 src2=1
	v_mad_i32_i24 v133 /*v389*/, v108 /*v364*/, v79 /*v335*/, v133 /*v389*/
	s_set_vgpr_msb 0                        ;  msbs: dst=0 src0=0 src1=0 src2=0
	v_add3_u32 v235, v235, v232, v246
	s_set_vgpr_msb 5                        ;  msbs: dst=0 src0=1 src1=1 src2=0
	v_mul_i32_i24_e32 v232, v109 /*v365*/, v81 /*v337*/
	s_set_vgpr_msb 4                        ;  msbs: dst=0 src0=0 src1=1 src2=0
	v_mul_i32_i24_e32 v246, v98, v82 /*v338*/
	s_set_vgpr_msb 0x55                     ;  msbs: dst=1 src0=1 src1=1 src2=1
	v_add3_u32 v127 /*v383*/, v130 /*v386*/, v132 /*v388*/, v127 /*v383*/
	s_set_vgpr_msb 0x41                     ;  msbs: dst=1 src0=1 src1=0 src2=0
	v_mul_i32_i24_e32 v130 /*v386*/, v107 /*v363*/, v255
	v_mul_i32_i24_e32 v132 /*v388*/, v109 /*v365*/, v89
	s_set_vgpr_msb 64                       ;  msbs: dst=1 src0=0 src1=0 src2=0
	v_bfe_i32 v65 /*v321*/, v130, 8, 8
	s_set_vgpr_msb 1                        ;  msbs: dst=0 src0=1 src1=0 src2=0
	v_add3_u32 v246, v133 /*v389*/, v232, v246
	s_set_vgpr_msb 4                        ;  msbs: dst=0 src0=0 src1=1 src2=0
	v_mul_i32_i24_e32 v232, v98, v8 /*v264*/
	s_set_vgpr_msb 0x51                     ;  msbs: dst=1 src0=1 src1=0 src2=1
	v_mul_i32_i24_e32 v133 /*v389*/, v107 /*v363*/, v242
	v_mad_i32_i24 v130 /*v386*/, v108 /*v364*/, v254, v130 /*v386*/
	v_dual_ashrrev_i32 v66 /*v322*/, 24, v130 :: v_dual_ashrrev_i32 v68 /*v324*/, 24, v128
	s_set_vgpr_msb 64                       ;  msbs: dst=1 src0=0 src1=0 src2=0
	v_bfe_i32 v67 /*v323*/, v128, 8, 8
	s_set_vgpr_msb 0x51                     ;  msbs: dst=1 src0=1 src1=0 src2=1
	v_mad_i32_i24 v133 /*v389*/, v108 /*v364*/, v244, v133 /*v389*/
	s_set_vgpr_msb 0x45                     ;  msbs: dst=1 src0=1 src1=1 src2=0
	v_add3_u32 v130 /*v386*/, v130 /*v386*/, v132 /*v388*/, v232
	s_set_vgpr_msb 5                        ;  msbs: dst=0 src0=1 src1=1 src2=0
	v_mul_i32_i24_e32 v232, v109 /*v365*/, v49 /*v305*/
	s_set_vgpr_msb 0x44                     ;  msbs: dst=1 src0=0 src1=1 src2=0
	v_mul_i32_i24_e32 v132 /*v388*/, v98, v50 /*v306*/
	s_set_vgpr_msb 0                        ;  msbs: dst=0 src0=0 src1=0 src2=0
	v_lshrrev_b16 v122, 8, v122
	s_set_vgpr_msb 64                       ;  msbs: dst=1 src0=0 src1=0 src2=0
	v_bfe_u32 v110 /*v366*/, v135, 8, 4
	v_bfe_u32 v111 /*v367*/, v135, 24, 4
	s_wait_dscnt 0x3
	v_bfe_i32 v136 /*v392*/, v112, 8, 8
	s_set_vgpr_msb 0x51                     ;  msbs: dst=1 src0=1 src1=0 src2=1
	v_add3_u32 v132 /*v388*/, v133 /*v389*/, v232, v132 /*v388*/
	s_set_vgpr_msb 5                        ;  msbs: dst=0 src0=1 src1=1 src2=0
	v_mul_i32_i24_e32 v232, v41 /*v297*/, v21 /*v277*/
	s_set_vgpr_msb 0x45                     ;  msbs: dst=1 src0=1 src1=1 src2=0
	v_mul_i32_i24_e32 v133 /*v389*/, v43 /*v299*/, v33 /*v289*/
	s_set_vgpr_msb 64                       ;  msbs: dst=1 src0=0 src1=0 src2=0
	v_bfe_i32 v135 /*v391*/, v122, 0, 8
	v_ashrrev_i32_e32 v137 /*v393*/, 24, v112
	v_bfe_i32 v138 /*v394*/, v130, 16, 8
	s_set_vgpr_msb 0                        ;  msbs: dst=0 src0=0 src1=0 src2=0
	v_and_b32_e32 v237, 0xf0f0f0f, v237
	s_set_vgpr_msb 0x45                     ;  msbs: dst=1 src0=1 src1=1 src2=0
	v_add3_u32 v112 /*v368*/, v112 /*v368*/, v133 /*v389*/, v232
	s_set_vgpr_msb 0                        ;  msbs: dst=0 src0=0 src1=0 src2=0
	v_mul_i32_i24_e32 v232, v254, v250
	s_set_vgpr_msb 64                       ;  msbs: dst=1 src0=0 src1=0 src2=0
	v_mul_i32_i24_e32 v133 /*v389*/, v255, v251
	s_set_vgpr_msb 1                        ;  msbs: dst=0 src0=1 src1=0 src2=0
	v_mul_i32_i24_e32 v122, v135 /*v391*/, v255
	v_lshrrev_b16 v237, 8, v237
	s_set_vgpr_msb 64                       ;  msbs: dst=1 src0=0 src1=0 src2=0
	v_bfe_i32 v44 /*v300*/, v154, 0, 8
	v_bfe_i32 v45 /*v301*/, v154, 8, 8
	s_set_vgpr_msb 0x45                     ;  msbs: dst=1 src0=1 src1=1 src2=0
	v_add3_u32 v113 /*v369*/, v113 /*v369*/, v133 /*v389*/, v232
	s_set_vgpr_msb 5                        ;  msbs: dst=0 src0=1 src1=1 src2=0
	v_mul_i32_i24_e32 v232, v41 /*v297*/, v51 /*v307*/
	s_set_vgpr_msb 0x45                     ;  msbs: dst=1 src0=1 src1=1 src2=0
	v_mul_i32_i24_e32 v133 /*v389*/, v43 /*v299*/, v52 /*v308*/
	s_set_vgpr_msb 1                        ;  msbs: dst=0 src0=1 src1=0 src2=0
	v_mad_i32_i24 v122, v100 /*v356*/, v254, v122
	s_set_vgpr_msb 5                        ;  msbs: dst=0 src0=1 src1=1 src2=0
	v_mul_i32_i24_e32 v254, v94 /*v350*/, v82 /*v338*/
	s_set_vgpr_msb 64                       ;  msbs: dst=1 src0=0 src1=0 src2=0
	v_bfe_i32 v46 /*v302*/, v154, 16, 8
	s_set_vgpr_msb 0                        ;  msbs: dst=0 src0=0 src1=0 src2=0
	v_bfe_i32 v154, v155, 0, 8
	s_set_vgpr_msb 0x45                     ;  msbs: dst=1 src0=1 src1=1 src2=0
	v_add3_u32 v118 /*v374*/, v118 /*v374*/, v133 /*v389*/, v232
	s_set_vgpr_msb 0                        ;  msbs: dst=0 src0=0 src1=0 src2=0
	v_mul_i32_i24_e32 v232, v244, v250
	s_set_vgpr_msb 64                       ;  msbs: dst=1 src0=0 src1=0 src2=0
	v_mul_i32_i24_e32 v133 /*v389*/, v242, v251
	s_set_vgpr_msb 1                        ;  msbs: dst=0 src0=1 src1=0 src2=0
	v_mul_i32_i24_e32 v242, v135 /*v391*/, v242
	s_set_vgpr_msb 0                        ;  msbs: dst=0 src0=0 src1=0 src2=0
	v_bfe_i32 v146, v146, 8, 8
	v_bfe_i32 v255, v155, 16, 8
	v_bfe_u32 v211, v88, 20, 4
	s_set_vgpr_msb 0x45                     ;  msbs: dst=1 src0=1 src1=1 src2=0
	v_add3_u32 v122 /*v378*/, v122 /*v378*/, v133 /*v389*/, v232
	s_set_vgpr_msb 5                        ;  msbs: dst=0 src0=1 src1=1 src2=0
	v_mul_i32_i24_e32 v232, v65 /*v321*/, v21 /*v277*/
	s_set_vgpr_msb 0x45                     ;  msbs: dst=1 src0=1 src1=1 src2=0
	v_mul_i32_i24_e32 v133 /*v389*/, v66 /*v322*/, v33 /*v289*/
	s_set_vgpr_msb 1                        ;  msbs: dst=0 src0=1 src1=0 src2=0
	v_mad_i32_i24 v242, v100 /*v356*/, v244, v242
	s_set_vgpr_msb 5                        ;  msbs: dst=0 src0=1 src1=1 src2=0
	v_mul_i32_i24_e32 v244, v135 /*v391*/, v78 /*v334*/
	s_set_vgpr_msb 0                        ;  msbs: dst=0 src0=0 src1=0 src2=0
	v_bfe_u32 v203, v88, 4, 4
	s_set_vgpr_msb 64                       ;  msbs: dst=1 src0=0 src1=0 src2=0
	v_bfe_u32 v55 /*v311*/, v139, 16, 4
	s_set_vgpr_msb 0x45                     ;  msbs: dst=1 src0=1 src1=1 src2=0
	v_add3_u32 v125 /*v381*/, v125 /*v381*/, v133 /*v389*/, v232
	s_set_vgpr_msb 5                        ;  msbs: dst=0 src0=1 src1=1 src2=0
	v_mul_i32_i24_e32 v232, v67 /*v323*/, v21 /*v277*/
	s_set_vgpr_msb 0x45                     ;  msbs: dst=1 src0=1 src1=1 src2=0
	v_mul_i32_i24_e32 v133 /*v389*/, v68 /*v324*/, v33 /*v289*/
	s_set_vgpr_msb 5                        ;  msbs: dst=0 src0=1 src1=1 src2=0
	v_mad_i32_i24 v244, v100 /*v356*/, v79 /*v335*/, v244
	s_set_vgpr_msb 0                        ;  msbs: dst=0 src0=0 src1=0 src2=0
	v_mul_i32_i24_e32 v144, v81, v144
	v_mul_i32_i24_e32 v92, v81, v92
	;; [unrolled: 1-line block ×3, first 2 shown]
	s_set_vgpr_msb 0x45                     ;  msbs: dst=1 src0=1 src1=1 src2=0
	v_add3_u32 v128 /*v384*/, v128 /*v384*/, v133 /*v389*/, v232
	s_set_vgpr_msb 5                        ;  msbs: dst=0 src0=1 src1=1 src2=0
	v_mul_i32_i24_e32 v232, v65 /*v321*/, v51 /*v307*/
	s_set_vgpr_msb 0x45                     ;  msbs: dst=1 src0=1 src1=1 src2=0
	v_mul_i32_i24_e32 v133 /*v389*/, v66 /*v322*/, v52 /*v308*/
	s_set_vgpr_msb 0                        ;  msbs: dst=0 src0=0 src1=0 src2=0
	v_mul_i32_i24_e32 v98, v81, v98
	v_and_b32_e32 v88, 0xf0f0f0f, v88
	v_bfe_i32 v149, v149, 8, 8
	s_set_vgpr_msb 64                       ;  msbs: dst=1 src0=0 src1=0 src2=0
	v_lshrrev_b32_e32 v139 /*v395*/, 28, v135
	s_set_vgpr_msb 0x45                     ;  msbs: dst=1 src0=1 src1=1 src2=0
	v_add3_u32 v131 /*v387*/, v131 /*v387*/, v133 /*v389*/, v232
	s_set_vgpr_msb 5                        ;  msbs: dst=0 src0=1 src1=1 src2=0
	v_mul_i32_i24_e32 v232, v67 /*v323*/, v51 /*v307*/
	s_set_vgpr_msb 0x45                     ;  msbs: dst=1 src0=1 src1=1 src2=0
	v_mul_i32_i24_e32 v133 /*v389*/, v68 /*v324*/, v52 /*v308*/
	s_set_vgpr_msb 0                        ;  msbs: dst=0 src0=0 src1=0 src2=0
	v_lshrrev_b16 v88, 8, v88
	v_bfe_u32 v208, v143, 8, 4
	s_set_vgpr_msb 64                       ;  msbs: dst=1 src0=0 src1=0 src2=0
	v_dual_ashrrev_i32 v144 /*v400*/, 24, v116 :: v_dual_ashrrev_i32 v154 /*v410*/, 24, v114
	s_set_vgpr_msb 0x45                     ;  msbs: dst=1 src0=1 src1=1 src2=0
	v_add3_u32 v72 /*v328*/, v72 /*v328*/, v133 /*v389*/, v232
	s_set_vgpr_msb 5                        ;  msbs: dst=0 src0=1 src1=1 src2=0
	v_mul_i32_i24_e32 v232, v41 /*v297*/, v110 /*v366*/
	s_set_vgpr_msb 0x45                     ;  msbs: dst=1 src0=1 src1=1 src2=0
	v_mul_i32_i24_e32 v133 /*v389*/, v43 /*v299*/, v111 /*v367*/
	s_set_vgpr_msb 64                       ;  msbs: dst=1 src0=0 src1=0 src2=0
	v_bfe_i32 v141 /*v397*/, v114, 16, 8
	v_bfe_i32 v140 /*v396*/, v116, 16, 8
	v_ashrrev_i32_e32 v155 /*v411*/, 24, v106
	s_wait_dscnt 0x1
	s_set_vgpr_msb 0                        ;  msbs: dst=0 src0=0 src1=0 src2=0
	v_bfe_i32 v106, v111, 0, 8
	s_set_vgpr_msb 0x45                     ;  msbs: dst=1 src0=1 src1=1 src2=0
	v_add3_u32 v115 /*v371*/, v115 /*v371*/, v133 /*v389*/, v232
	s_set_vgpr_msb 5                        ;  msbs: dst=0 src0=1 src1=1 src2=0
	v_mul_i32_i24_e32 v232, v104 /*v360*/, v81 /*v337*/
	s_set_vgpr_msb 64                       ;  msbs: dst=1 src0=0 src1=0 src2=0
	v_bfe_i32 v133 /*v389*/, v108, 8, 8
	v_bfe_i32 v157 /*v413*/, v93, 8, 8
	;; [unrolled: 1-line block ×3, first 2 shown]
	v_dual_lshrrev_b32 v186 /*v442*/, 16, v151 :: v_dual_lshrrev_b32 v187 /*v443*/, 16, v206
	s_set_vgpr_msb 0                        ;  msbs: dst=0 src0=0 src1=0 src2=0
	v_add3_u32 v244, v244, v232, v254
	s_set_vgpr_msb 1                        ;  msbs: dst=0 src0=1 src1=0 src2=0
	v_mul_i32_i24_e32 v232, v104 /*v360*/, v89
	s_set_vgpr_msb 5                        ;  msbs: dst=0 src0=1 src1=1 src2=0
	v_mul_i32_i24_e32 v254, v94 /*v350*/, v8 /*v264*/
	s_set_vgpr_msb 4                        ;  msbs: dst=0 src0=0 src1=1 src2=0
	v_mul_i32_i24_e32 v89, v89, v6 /*v262*/
	s_set_vgpr_msb 64                       ;  msbs: dst=1 src0=0 src1=0 src2=0
	v_bfe_i32 v159 /*v415*/, v99, 8, 8
	v_bfe_i32 v160 /*v416*/, v99, 16, 8
	v_dual_lshrrev_b32 v184 /*v440*/, 16, v210 :: v_dual_lshrrev_b32 v185 /*v441*/, 16, v207
	v_add3_u32 v100 /*v356*/, v122, v232, v254
	s_set_vgpr_msb 5                        ;  msbs: dst=0 src0=1 src1=1 src2=0
	v_mul_i32_i24_e32 v122, v104 /*v360*/, v49 /*v305*/
	v_mul_i32_i24_e32 v232, v94 /*v350*/, v50 /*v306*/
	s_set_vgpr_msb 0                        ;  msbs: dst=0 src0=0 src1=0 src2=0
	v_bfe_i32 v254, v155, 8, 8
	v_ashrrev_i32_e32 v155, 24, v155
	s_set_vgpr_msb 64                       ;  msbs: dst=1 src0=0 src1=0 src2=0
	v_dual_lshrrev_b32 v182 /*v438*/, 16, v212 :: v_dual_lshrrev_b32 v183 /*v439*/, 16, v209
	v_add3_u32 v94 /*v350*/, v242, v122, v232
	s_set_vgpr_msb 5                        ;  msbs: dst=0 src0=1 src1=1 src2=0
	v_mul_i32_i24_e32 v122, v133 /*v389*/, v110 /*v366*/
	v_mul_i32_i24_e32 v232, v134 /*v390*/, v111 /*v367*/
	s_set_vgpr_msb 0                        ;  msbs: dst=0 src0=0 src1=0 src2=0
	v_lshrrev_b16 v242, 8, v252
	v_bfe_u32 v252, v143, 24, 4
	s_set_vgpr_msb 64                       ;  msbs: dst=1 src0=0 src1=0 src2=0
	v_bfe_u32 v142 /*v398*/, v95, 20, 4
	v_bfe_i32 v143 /*v399*/, v97, 8, 8
	s_set_vgpr_msb 0x41                     ;  msbs: dst=1 src0=1 src1=0 src2=0
	v_add3_u32 v104 /*v360*/, v119 /*v375*/, v232, v122
	s_set_vgpr_msb 5                        ;  msbs: dst=0 src0=1 src1=1 src2=0
	v_mul_i32_i24_e32 v122, v133 /*v389*/, v21 /*v277*/
	v_mul_i32_i24_e32 v232, v134 /*v390*/, v33 /*v289*/
	s_set_vgpr_msb 64                       ;  msbs: dst=1 src0=0 src1=0 src2=0
	v_bfe_i32 v156 /*v412*/, v97, 16, 8
	v_dual_lshrrev_b32 v178 /*v434*/, 16, v218 :: v_dual_lshrrev_b32 v180 /*v436*/, 16, v213
	v_dual_lshrrev_b32 v179 /*v435*/, 16, v214 :: v_dual_lshrrev_b32 v181 /*v437*/, 16, v215
	s_set_vgpr_msb 0x41                     ;  msbs: dst=1 src0=1 src1=0 src2=0
	v_add3_u32 v119 /*v375*/, v124 /*v380*/, v232, v122
	s_set_vgpr_msb 5                        ;  msbs: dst=0 src0=1 src1=1 src2=0
	v_mul_i32_i24_e32 v122, v133 /*v389*/, v51 /*v307*/
	v_mul_i32_i24_e32 v232, v134 /*v390*/, v52 /*v308*/
	s_set_vgpr_msb 0x41                     ;  msbs: dst=1 src0=1 src1=0 src2=0
	v_dual_lshrrev_b32 v173 /*v429*/, 16, v226 :: v_dual_lshrrev_b32 v174 /*v430*/, 16, v223
	v_dual_lshrrev_b32 v175 /*v431*/, 16, v221 :: v_dual_lshrrev_b32 v176 /*v432*/, 16, v222
	s_delay_alu instid0(VALU_DEP_3)
	v_add3_u32 v124 /*v380*/, v129 /*v385*/, v232, v122
	s_set_vgpr_msb 5                        ;  msbs: dst=0 src0=1 src1=1 src2=0
	v_mul_i32_i24_e32 v122, v65 /*v321*/, v110 /*v366*/
	v_mul_i32_i24_e32 v232, v66 /*v322*/, v111 /*v367*/
	s_set_vgpr_msb 64                       ;  msbs: dst=1 src0=0 src1=0 src2=0
	v_bfe_i32 v129 /*v385*/, v130, 0, 8
	s_set_vgpr_msb 1                        ;  msbs: dst=0 src0=1 src1=0 src2=0
	v_mul_i32_i24_e32 v130, v79 /*v335*/, v250
	s_set_vgpr_msb 64                       ;  msbs: dst=1 src0=0 src1=0 src2=0
	v_ashrrev_i32_e32 v79 /*v335*/, 24, v147
	s_set_vgpr_msb 0x45                     ;  msbs: dst=1 src0=1 src1=1 src2=0
	v_mul_i32_i24_e32 v66 /*v322*/, v66 /*v322*/, v22 /*v278*/
	s_set_vgpr_msb 0x41                     ;  msbs: dst=1 src0=1 src1=0 src2=0
	v_add3_u32 v77 /*v333*/, v77 /*v333*/, v232, v122
	s_set_vgpr_msb 5                        ;  msbs: dst=0 src0=1 src1=1 src2=0
	v_mul_i32_i24_e32 v122, v67 /*v323*/, v110 /*v366*/
	v_mul_i32_i24_e32 v232, v68 /*v324*/, v111 /*v367*/
	s_set_vgpr_msb 0x45                     ;  msbs: dst=1 src0=1 src1=1 src2=0
	v_mul_i32_i24_e32 v68 /*v324*/, v68 /*v324*/, v22 /*v278*/
	s_set_vgpr_msb 0                        ;  msbs: dst=0 src0=0 src1=0 src2=0
	v_dual_add_nc_u32 v196, 16, v196 :: v_dual_add_nc_u32 v195, 4, v195
	v_dual_add_nc_u32 v194, 4, v194 :: v_dual_add_nc_u32 v193, 4, v193
	s_set_vgpr_msb 0x41                     ;  msbs: dst=1 src0=1 src1=0 src2=0
	v_add3_u32 v116 /*v372*/, v116 /*v372*/, v232, v122
	s_set_vgpr_msb 5                        ;  msbs: dst=0 src0=1 src1=1 src2=0
	v_mul_i32_i24_e32 v122, v136 /*v392*/, v110 /*v366*/
	v_mul_i32_i24_e32 v232, v137 /*v393*/, v111 /*v367*/
	s_set_vgpr_msb 0                        ;  msbs: dst=0 src0=0 src1=0 src2=0
	v_dual_add_nc_u32 v192, 4, v192 :: v_dual_add_nc_u32 v191, 4, v191
	v_add_nc_u32_e32 v190, 32, v190
	s_add_co_i32 s12, s12, 4
	s_set_vgpr_msb 0x41                     ;  msbs: dst=1 src0=1 src1=0 src2=0
	v_add3_u32 v123 /*v379*/, v123 /*v379*/, v232, v122
	s_set_vgpr_msb 5                        ;  msbs: dst=0 src0=1 src1=1 src2=0
	v_mul_i32_i24_e32 v122, v136 /*v392*/, v21 /*v277*/
	v_mul_i32_i24_e32 v232, v137 /*v393*/, v33 /*v289*/
	s_cmp_lt_u32 s12, 12
	s_set_vgpr_msb 0x41                     ;  msbs: dst=1 src0=1 src1=0 src2=0
	v_lshrrev_b32_e32 v177 /*v433*/, 16, v220
	s_delay_alu instid0(VALU_DEP_2) | instskip(SKIP_4) | instid1(VALU_DEP_1)
	v_add3_u32 v114 /*v370*/, v114 /*v370*/, v232, v122
	s_set_vgpr_msb 5                        ;  msbs: dst=0 src0=1 src1=1 src2=0
	v_mul_i32_i24_e32 v122, v136 /*v392*/, v51 /*v307*/
	v_mul_i32_i24_e32 v232, v137 /*v393*/, v52 /*v308*/
	s_set_vgpr_msb 0x41                     ;  msbs: dst=1 src0=1 src1=0 src2=0
	v_add3_u32 v117 /*v373*/, v117 /*v373*/, v232, v122
	s_set_vgpr_msb 1                        ;  msbs: dst=0 src0=1 src1=0 src2=0
	v_lshrrev_b16 v122, 8, v236
	v_mul_i32_i24_e32 v232, v78 /*v334*/, v251
	s_set_vgpr_msb 0                        ;  msbs: dst=0 src0=0 src1=0 src2=0
	v_mul_i32_i24_e32 v236, v90, v250
	s_set_vgpr_msb 64                       ;  msbs: dst=1 src0=0 src1=0 src2=0
	v_bfe_i32 v78 /*v334*/, v147, 0, 8
	s_set_vgpr_msb 0                        ;  msbs: dst=0 src0=0 src1=0 src2=0
	v_and_b32_e32 v122, 15, v122
	v_add3_u32 v82, v82, v232, v130
	v_bfe_i32 v130, v148, 8, 8
	s_delay_alu instid0(VALU_DEP_3) | instskip(NEXT) | instid1(VALU_DEP_1)
	v_and_b32_e32 v148, 0xffff, v122
	v_mul_i32_i24_e32 v232, v148, v245
	v_mul_i32_i24_e32 v251, v148, v251
	s_set_vgpr_msb 4                        ;  msbs: dst=0 src0=0 src1=1 src2=0
	v_mul_i32_i24_e32 v122, v148, v38 /*v294*/
	v_mul_i32_i24_e32 v245, v148, v86 /*v342*/
	s_set_vgpr_msb 64                       ;  msbs: dst=1 src0=0 src1=0 src2=0
	v_and_b32_e32 v86 /*v342*/, 0xffff, v237
	s_set_vgpr_msb 0x44                     ;  msbs: dst=1 src0=0 src1=1 src2=0
	v_mad_i32_i24 v56 /*v312*/, v90, v56 /*v312*/, v232
	s_set_vgpr_msb 4                        ;  msbs: dst=0 src0=0 src1=1 src2=0
	v_mul_i32_i24_e32 v232, v148, v59 /*v315*/
	s_set_vgpr_msb 0x41                     ;  msbs: dst=1 src0=1 src1=0 src2=0
	v_add3_u32 v71 /*v327*/, v71 /*v327*/, v251, v236
	s_set_vgpr_msb 0                        ;  msbs: dst=0 src0=0 src1=0 src2=0
	v_and_b32_e32 v236, 15, v242
	v_mad_i32_i24 v243, v90, v243, v122
	s_set_vgpr_msb 4                        ;  msbs: dst=0 src0=0 src1=1 src2=0
	v_mul_i32_i24_e32 v122, v148, v83 /*v339*/
	s_set_vgpr_msb 0x44                     ;  msbs: dst=1 src0=0 src1=1 src2=0
	v_mad_i32_i24 v59 /*v315*/, v90, v60 /*v316*/, v232
	v_mad_i32_i24 v60 /*v316*/, v90, v87 /*v343*/, v245
	s_set_vgpr_msb 64                       ;  msbs: dst=1 src0=0 src1=0 src2=0
	v_and_b32_e32 v87 /*v343*/, 0xffff, v236
	v_bfe_i32 v38 /*v294*/, v147, 16, 8
	s_set_vgpr_msb 4                        ;  msbs: dst=0 src0=0 src1=1 src2=0
	v_mad_i32_i24 v250, v90, v84 /*v340*/, v122
	v_bfe_i32 v122, v107, 16, 8
	v_mul_i32_i24_e32 v245, v148, v107 /*v363*/
	v_mul_i32_i24_e32 v236, v130, v86 /*v342*/
	s_set_vgpr_msb 1                        ;  msbs: dst=0 src0=1 src1=0 src2=0
	v_mul_i32_i24_e32 v148, v135 /*v391*/, v148
	s_set_vgpr_msb 4                        ;  msbs: dst=0 src0=0 src1=1 src2=0
	v_mul_i32_i24_e32 v237, v146, v87 /*v343*/
	v_bfe_i32 v232, v107, 0, 8
	v_mad_i32_i24 v90, v90, v108 /*v364*/, v245
	s_set_vgpr_msb 0                        ;  msbs: dst=0 src0=0 src1=0 src2=0
	v_ashrrev_i32_e32 v245, 24, v107
	s_set_vgpr_msb 64                       ;  msbs: dst=1 src0=0 src1=0 src2=0
	v_bfe_i32 v83 /*v339*/, v110, 8, 8
	s_set_vgpr_msb 0                        ;  msbs: dst=0 src0=0 src1=0 src2=0
	v_add3_u32 v148, v148, v236, v237
	s_set_vgpr_msb 1                        ;  msbs: dst=0 src0=1 src1=0 src2=0
	v_mul_i32_i24_e32 v236, v38 /*v294*/, v211
	s_set_vgpr_msb 0                        ;  msbs: dst=0 src0=0 src1=0 src2=0
	v_mul_i32_i24_e32 v237, v122, v229
	s_set_vgpr_msb 64                       ;  msbs: dst=1 src0=0 src1=0 src2=0
	v_ashrrev_i32_e32 v84 /*v340*/, 24, v110
	v_bfe_i32 v135 /*v391*/, v128, 16, 8
	s_set_vgpr_msb 0                        ;  msbs: dst=0 src0=0 src1=0 src2=0
	v_ashrrev_i32_e32 v242, 24, v141
	v_bfe_i32 v251, v145, 0, 8
	s_set_vgpr_msb 64                       ;  msbs: dst=1 src0=0 src1=0 src2=0
	v_add3_u32 v107 /*v363*/, v235, v236, v237
	s_set_vgpr_msb 1                        ;  msbs: dst=0 src0=1 src1=0 src2=0
	v_mul_i32_i24_e32 v235, v78 /*v334*/, v203
	s_set_vgpr_msb 0                        ;  msbs: dst=0 src0=0 src1=0 src2=0
	v_mul_i32_i24_e32 v236, v232, v230
	s_set_vgpr_msb 0x45                     ;  msbs: dst=1 src0=1 src1=1 src2=0
	v_mul_i32_i24_e32 v67 /*v323*/, v67 /*v323*/, v86 /*v342*/
	v_mul_i32_i24_e32 v65 /*v321*/, v65 /*v321*/, v86 /*v342*/
	s_set_vgpr_msb 0                        ;  msbs: dst=0 src0=0 src1=0 src2=0
	v_bfe_i32 v237, v141, 0, 8
	s_set_vgpr_msb 0x41                     ;  msbs: dst=1 src0=1 src1=0 src2=0
	v_add3_u32 v108 /*v364*/, v120 /*v376*/, v235, v236
	s_set_vgpr_msb 1                        ;  msbs: dst=0 src0=1 src1=0 src2=0
	v_mul_i32_i24_e32 v235, v79 /*v335*/, v200
	s_set_vgpr_msb 0                        ;  msbs: dst=0 src0=0 src1=0 src2=0
	v_mul_i32_i24_e32 v236, v245, v225
	s_set_vgpr_msb 0x41                     ;  msbs: dst=1 src0=1 src1=0 src2=0
	s_delay_alu instid0(VALU_DEP_1) | instskip(SKIP_4) | instid1(VALU_DEP_1)
	v_add3_u32 v120 /*v376*/, v126 /*v382*/, v235, v236
	s_set_vgpr_msb 5                        ;  msbs: dst=0 src0=1 src1=1 src2=0
	v_mul_i32_i24_e32 v235, v83 /*v339*/, v110 /*v366*/
	v_mul_i32_i24_e32 v236, v84 /*v340*/, v111 /*v367*/
	s_set_vgpr_msb 0                        ;  msbs: dst=0 src0=0 src1=0 src2=0
	v_add3_u32 v246, v246, v236, v235
	s_set_vgpr_msb 5                        ;  msbs: dst=0 src0=1 src1=1 src2=0
	v_mul_i32_i24_e32 v235, v83 /*v339*/, v21 /*v277*/
	v_mul_i32_i24_e32 v236, v84 /*v340*/, v33 /*v289*/
	s_set_vgpr_msb 0x41                     ;  msbs: dst=1 src0=1 src1=0 src2=0
	s_delay_alu instid0(VALU_DEP_1)
	v_add3_u32 v126 /*v382*/, v130 /*v386*/, v236, v235
	s_set_vgpr_msb 5                        ;  msbs: dst=0 src0=1 src1=1 src2=0
	v_mul_i32_i24_e32 v235, v83 /*v339*/, v51 /*v307*/
	v_mul_i32_i24_e32 v236, v84 /*v340*/, v52 /*v308*/
	s_set_vgpr_msb 0x45                     ;  msbs: dst=1 src0=1 src1=1 src2=0
	v_mul_i32_i24_e32 v83 /*v339*/, v83 /*v339*/, v86 /*v342*/
	s_set_vgpr_msb 0x41                     ;  msbs: dst=1 src0=1 src1=0 src2=0
	s_delay_alu instid0(VALU_DEP_2)
	v_add3_u32 v130 /*v386*/, v132 /*v388*/, v236, v235
	s_set_vgpr_msb 5                        ;  msbs: dst=0 src0=1 src1=1 src2=0
	v_mul_i32_i24_e32 v235, v40 /*v296*/, v30 /*v286*/
	v_mul_i32_i24_e32 v236, v42 /*v298*/, v31 /*v287*/
	s_set_vgpr_msb 64                       ;  msbs: dst=1 src0=0 src1=0 src2=0
	v_bfe_i32 v132 /*v388*/, v128, 0, 8
	s_set_vgpr_msb 1                        ;  msbs: dst=0 src0=1 src1=0 src2=0
	v_mul_i32_i24_e32 v128, v8 /*v264*/, v80
	s_set_vgpr_msb 0x41                     ;  msbs: dst=1 src0=1 src1=0 src2=0
	v_ashrrev_i32_e32 v8 /*v264*/, 24, v145
	v_add3_u32 v112 /*v368*/, v112 /*v368*/, v235, v236
	s_set_vgpr_msb 5                        ;  msbs: dst=0 src0=1 src1=1 src2=0
	v_mul_i32_i24_e32 v235, v42 /*v298*/, v55 /*v311*/
	s_set_vgpr_msb 1                        ;  msbs: dst=0 src0=1 src1=0 src2=0
	v_add3_u32 v89, v113 /*v369*/, v89, v128
	s_set_vgpr_msb 5                        ;  msbs: dst=0 src0=1 src1=1 src2=0
	v_mul_i32_i24_e32 v128, v40 /*v296*/, v53 /*v309*/
	s_set_vgpr_msb 1                        ;  msbs: dst=0 src0=1 src1=0 src2=0
	v_mul_i32_i24_e32 v236, v50 /*v306*/, v80
	s_set_vgpr_msb 64                       ;  msbs: dst=1 src0=0 src1=0 src2=0
	v_and_b32_e32 v113 /*v369*/, 15, v135
	s_set_vgpr_msb 0x45                     ;  msbs: dst=1 src0=1 src1=1 src2=0
	v_mul_i32_i24_e32 v84 /*v340*/, v84 /*v340*/, v22 /*v278*/
	s_set_vgpr_msb 1                        ;  msbs: dst=0 src0=1 src1=0 src2=0
	v_add3_u32 v128, v118 /*v374*/, v128, v235
	s_set_vgpr_msb 5                        ;  msbs: dst=0 src0=1 src1=1 src2=0
	v_mul_i32_i24_e32 v235, v49 /*v305*/, v6 /*v262*/
	s_set_vgpr_msb 64                       ;  msbs: dst=1 src0=0 src1=0 src2=0
	v_bfe_u32 v118 /*v374*/, v135, 16, 4
	s_set_vgpr_msb 0x41                     ;  msbs: dst=1 src0=1 src1=0 src2=0
	s_delay_alu instid0(VALU_DEP_2) | instskip(SKIP_4) | instid1(VALU_DEP_1)
	v_add3_u32 v49 /*v305*/, v122 /*v378*/, v235, v236
	s_set_vgpr_msb 5                        ;  msbs: dst=0 src0=1 src1=1 src2=0
	v_mul_i32_i24_e32 v235, v129 /*v385*/, v30 /*v286*/
	v_mul_i32_i24_e32 v236, v138 /*v394*/, v31 /*v287*/
	s_set_vgpr_msb 0x41                     ;  msbs: dst=1 src0=1 src1=0 src2=0
	v_add3_u32 v50 /*v306*/, v125 /*v381*/, v235, v236
	s_set_vgpr_msb 5                        ;  msbs: dst=0 src0=1 src1=1 src2=0
	v_mul_i32_i24_e32 v235, v132 /*v388*/, v30 /*v286*/
	v_mul_i32_i24_e32 v236, v135 /*v391*/, v31 /*v287*/
	s_set_vgpr_msb 0x41                     ;  msbs: dst=1 src0=1 src1=0 src2=0
	s_delay_alu instid0(VALU_DEP_1)
	v_add3_u32 v122 /*v378*/, v128 /*v384*/, v235, v236
	s_set_vgpr_msb 5                        ;  msbs: dst=0 src0=1 src1=1 src2=0
	v_mul_i32_i24_e32 v235, v129 /*v385*/, v53 /*v309*/
	v_mul_i32_i24_e32 v236, v138 /*v394*/, v55 /*v311*/
	s_set_vgpr_msb 64                       ;  msbs: dst=1 src0=0 src1=0 src2=0
	v_bfe_u32 v128 /*v384*/, v135, 4, 4
	s_set_vgpr_msb 0x41                     ;  msbs: dst=1 src0=1 src1=0 src2=0
	s_delay_alu instid0(VALU_DEP_2) | instskip(SKIP_4) | instid1(VALU_DEP_1)
	v_add3_u32 v125 /*v381*/, v131 /*v387*/, v235, v236
	s_set_vgpr_msb 5                        ;  msbs: dst=0 src0=1 src1=1 src2=0
	v_mul_i32_i24_e32 v235, v132 /*v388*/, v53 /*v309*/
	v_mul_i32_i24_e32 v236, v135 /*v391*/, v55 /*v311*/
	s_set_vgpr_msb 0x41                     ;  msbs: dst=1 src0=1 src1=0 src2=0
	v_add3_u32 v72 /*v328*/, v72 /*v328*/, v235, v236
	s_set_vgpr_msb 5                        ;  msbs: dst=0 src0=1 src1=1 src2=0
	v_mul_i32_i24_e32 v235, v40 /*v296*/, v113 /*v369*/
	v_mul_i32_i24_e32 v236, v42 /*v298*/, v118 /*v374*/
	s_set_vgpr_msb 0x41                     ;  msbs: dst=1 src0=1 src1=0 src2=0
	s_delay_alu instid0(VALU_DEP_1)
	v_add3_u32 v115 /*v371*/, v115 /*v371*/, v235, v236
	s_set_vgpr_msb 4                        ;  msbs: dst=0 src0=0 src1=1 src2=0
	v_mul_i32_i24_e32 v235, v91, v39 /*v295*/
	s_set_vgpr_msb 5                        ;  msbs: dst=0 src0=1 src1=1 src2=0
	v_mul_i32_i24_e32 v236, v91 /*v347*/, v111 /*v367*/
	s_set_vgpr_msb 0                        ;  msbs: dst=0 src0=0 src1=0 src2=0
	s_delay_alu instid0(VALU_DEP_2) | instskip(SKIP_4) | instid1(VALU_DEP_2)
	v_add3_u32 v144, v243, v235, v144
	s_set_vgpr_msb 4                        ;  msbs: dst=0 src0=0 src1=1 src2=0
	v_mul_i32_i24_e32 v235, v130, v110 /*v366*/
	v_bfe_u32 v243, v143, 16, 4
	s_set_vgpr_msb 64                       ;  msbs: dst=1 src0=0 src1=0 src2=0
	v_add3_u32 v39 /*v295*/, v244, v236, v235
	s_set_vgpr_msb 4                        ;  msbs: dst=0 src0=0 src1=1 src2=0
	v_mul_i32_i24_e32 v235, v130, v21 /*v277*/
	s_set_vgpr_msb 5                        ;  msbs: dst=0 src0=1 src1=1 src2=0
	v_mul_i32_i24_e32 v236, v91 /*v347*/, v33 /*v289*/
	s_set_vgpr_msb 4                        ;  msbs: dst=0 src0=0 src1=1 src2=0
	v_mul_i32_i24_e32 v130, v130, v51 /*v307*/
	s_set_vgpr_msb 0                        ;  msbs: dst=0 src0=0 src1=0 src2=0
	v_and_b32_e32 v244, 15, v143
	s_set_vgpr_msb 0x41                     ;  msbs: dst=1 src0=1 src1=0 src2=0
	v_add3_u32 v100 /*v356*/, v100 /*v356*/, v236, v235
	s_set_vgpr_msb 5                        ;  msbs: dst=0 src0=1 src1=1 src2=0
	v_mul_i32_i24_e32 v236, v91 /*v347*/, v52 /*v308*/
	s_set_vgpr_msb 0                        ;  msbs: dst=0 src0=0 src1=0 src2=0
	v_bfe_i32 v235, v141, 8, 8
	s_set_vgpr_msb 0x41                     ;  msbs: dst=1 src0=1 src1=0 src2=0
	s_delay_alu instid0(VALU_DEP_2)
	v_add3_u32 v91 /*v347*/, v94 /*v350*/, v236, v130
	s_set_vgpr_msb 64                       ;  msbs: dst=1 src0=0 src1=0 src2=0
	v_bfe_i32 v94 /*v350*/, v108, 0, 8
	s_set_vgpr_msb 4                        ;  msbs: dst=0 src0=0 src1=1 src2=0
	v_bfe_i32 v108, v108, 16, 8
	v_mul_i32_i24_e32 v130, v91, v85 /*v341*/
	s_delay_alu instid0(VALU_DEP_2) | instskip(SKIP_1) | instid1(VALU_DEP_2)
	v_mul_i32_i24_e32 v236, v108, v118 /*v374*/
	s_set_vgpr_msb 0                        ;  msbs: dst=0 src0=0 src1=0 src2=0
	v_add3_u32 v92, v250, v130, v92
	s_set_vgpr_msb 5                        ;  msbs: dst=0 src0=1 src1=1 src2=0
	v_mul_i32_i24_e32 v130, v94 /*v350*/, v113 /*v369*/
	s_set_vgpr_msb 4                        ;  msbs: dst=0 src0=0 src1=1 src2=0
	v_mul_i32_i24_e32 v250, v81, v63 /*v319*/
	s_set_vgpr_msb 64                       ;  msbs: dst=1 src0=0 src1=0 src2=0
	v_bfe_i32 v63 /*v319*/, v112, 16, 8
	s_set_vgpr_msb 0x41                     ;  msbs: dst=1 src0=1 src1=0 src2=0
	v_add3_u32 v85 /*v341*/, v104 /*v360*/, v130, v236
	s_set_vgpr_msb 5                        ;  msbs: dst=0 src0=1 src1=1 src2=0
	v_mul_i32_i24_e32 v130, v94 /*v350*/, v30 /*v286*/
	s_set_vgpr_msb 4                        ;  msbs: dst=0 src0=0 src1=1 src2=0
	v_mul_i32_i24_e32 v236, v108, v31 /*v287*/
	s_set_vgpr_msb 0x41                     ;  msbs: dst=1 src0=1 src1=0 src2=0
	s_delay_alu instid0(VALU_DEP_1)
	v_add3_u32 v104 /*v360*/, v119 /*v375*/, v130, v236
	s_set_vgpr_msb 5                        ;  msbs: dst=0 src0=1 src1=1 src2=0
	v_mul_i32_i24_e32 v130, v94 /*v350*/, v53 /*v309*/
	s_set_vgpr_msb 4                        ;  msbs: dst=0 src0=0 src1=1 src2=0
	v_mul_i32_i24_e32 v236, v108, v55 /*v311*/
	s_set_vgpr_msb 0x41                     ;  msbs: dst=1 src0=1 src1=0 src2=0
	s_delay_alu instid0(VALU_DEP_1)
	v_add3_u32 v119 /*v375*/, v124 /*v380*/, v130, v236
	s_set_vgpr_msb 4                        ;  msbs: dst=0 src0=0 src1=1 src2=0
	v_mul_i32_i24_e32 v130, v91, v57 /*v313*/
	v_mul_i32_i24_e32 v236, v81, v58 /*v314*/
	s_set_vgpr_msb 0                        ;  msbs: dst=0 src0=0 src1=0 src2=0
	v_mul_i32_i24_e32 v81, v81, v80
	s_set_vgpr_msb 1                        ;  msbs: dst=0 src0=1 src1=0 src2=0
	v_mul_i32_i24_e32 v80, v82 /*v338*/, v80
	s_set_vgpr_msb 64                       ;  msbs: dst=1 src0=0 src1=0 src2=0
	v_bfe_i32 v82 /*v338*/, v110, 16, 8
	s_set_vgpr_msb 0x41                     ;  msbs: dst=1 src0=1 src1=0 src2=0
	v_add3_u32 v56 /*v312*/, v56 /*v312*/, v130, v236
	s_set_vgpr_msb 5                        ;  msbs: dst=0 src0=1 src1=1 src2=0
	v_mul_i32_i24_e32 v130, v129 /*v385*/, v113 /*v369*/
	v_mul_i32_i24_e32 v236, v138 /*v394*/, v118 /*v374*/
	s_set_vgpr_msb 0x55                     ;  msbs: dst=1 src0=1 src1=1 src2=1
	v_add3_u32 v56 /*v312*/, v56 /*v312*/, v66 /*v322*/, v65 /*v321*/
	s_set_vgpr_msb 0x41                     ;  msbs: dst=1 src0=1 src1=0 src2=0
	s_delay_alu instid0(VALU_DEP_2)
	v_add3_u32 v57 /*v313*/, v77 /*v333*/, v130, v236
	s_set_vgpr_msb 4                        ;  msbs: dst=0 src0=0 src1=1 src2=0
	v_mul_i32_i24_e32 v130, v91, v62 /*v318*/
	s_set_vgpr_msb 64                       ;  msbs: dst=1 src0=0 src1=0 src2=0
	v_bfe_i32 v62 /*v318*/, v112, 0, 8
	s_set_vgpr_msb 4                        ;  msbs: dst=0 src0=0 src1=1 src2=0
	v_mul_i32_i24_e32 v112, v91, v89 /*v345*/
	v_bfe_u32 v236, v143, 4, 4
	s_set_vgpr_msb 0x41                     ;  msbs: dst=1 src0=1 src1=0 src2=0
	v_add3_u32 v58 /*v314*/, v59 /*v315*/, v130, v250
	s_set_vgpr_msb 5                        ;  msbs: dst=0 src0=1 src1=1 src2=0
	v_mul_i32_i24_e32 v130, v132 /*v388*/, v113 /*v369*/
	v_mul_i32_i24_e32 v250, v135 /*v391*/, v118 /*v374*/
	s_set_vgpr_msb 1                        ;  msbs: dst=0 src0=1 src1=0 src2=0
	v_add3_u32 v96, v60 /*v316*/, v112, v96
	s_set_vgpr_msb 5                        ;  msbs: dst=0 src0=1 src1=1 src2=0
	v_mul_i32_i24_e32 v112, v62 /*v318*/, v113 /*v369*/
	s_set_vgpr_msb 0x55                     ;  msbs: dst=1 src0=1 src1=1 src2=1
	v_add3_u32 v58 /*v314*/, v58 /*v314*/, v68 /*v324*/, v67 /*v323*/
	s_set_vgpr_msb 0x41                     ;  msbs: dst=1 src0=1 src1=0 src2=0
	v_add3_u32 v59 /*v315*/, v116 /*v372*/, v130, v250
	s_set_vgpr_msb 5                        ;  msbs: dst=0 src0=1 src1=1 src2=0
	v_mul_i32_i24_e32 v130, v63 /*v319*/, v118 /*v374*/
	s_set_vgpr_msb 64                       ;  msbs: dst=1 src0=0 src1=0 src2=0
	v_bfe_i32 v116 /*v372*/, v126, 0, 8
	s_set_vgpr_msb 0                        ;  msbs: dst=0 src0=0 src1=0 src2=0
	v_bfe_i32 v250, v141, 16, 8
	v_bfe_i32 v141, v140, 0, 8
	s_set_vgpr_msb 0x41                     ;  msbs: dst=1 src0=1 src1=0 src2=0
	v_add3_u32 v60 /*v316*/, v123 /*v379*/, v112, v130
	s_set_vgpr_msb 5                        ;  msbs: dst=0 src0=1 src1=1 src2=0
	v_mul_i32_i24_e32 v112, v62 /*v318*/, v30 /*v286*/
	v_mul_i32_i24_e32 v130, v63 /*v319*/, v31 /*v287*/
	s_set_vgpr_msb 64                       ;  msbs: dst=1 src0=0 src1=0 src2=0
	v_and_b32_e32 v123 /*v379*/, 0xffff, v88
	s_set_vgpr_msb 0x45                     ;  msbs: dst=1 src0=1 src1=1 src2=0
	v_mul_i32_i24_e32 v65 /*v321*/, v116 /*v372*/, v128 /*v384*/
	s_set_vgpr_msb 0x41                     ;  msbs: dst=1 src0=1 src1=0 src2=0
	v_add3_u32 v77 /*v333*/, v114 /*v370*/, v112, v130
	s_set_vgpr_msb 5                        ;  msbs: dst=0 src0=1 src1=1 src2=0
	v_mul_i32_i24_e32 v112, v62 /*v318*/, v53 /*v309*/
	v_mul_i32_i24_e32 v130, v63 /*v319*/, v55 /*v311*/
	s_set_vgpr_msb 4                        ;  msbs: dst=0 src0=0 src1=1 src2=0
	v_mul_i32_i24_e32 v88, v149, v123 /*v379*/
	s_set_vgpr_msb 0x41                     ;  msbs: dst=1 src0=1 src1=0 src2=0
	v_lshrrev_b32_e32 v114 /*v370*/, 28, v139
	v_add3_u32 v89 /*v345*/, v117 /*v373*/, v112, v130
	s_set_vgpr_msb 4                        ;  msbs: dst=0 src0=0 src1=1 src2=0
	v_mul_i32_i24_e32 v112, v91, v109 /*v365*/
	s_set_vgpr_msb 64                       ;  msbs: dst=1 src0=0 src1=0 src2=0
	v_bfe_i32 v117 /*v373*/, v147, 8, 8
	v_bfe_u32 v109 /*v365*/, v139, 4, 4
	s_set_vgpr_msb 0                        ;  msbs: dst=0 src0=0 src1=0 src2=0
	v_bfe_i32 v130, v140, 16, 8
	v_add3_u32 v98, v90, v112, v98
	s_set_vgpr_msb 4                        ;  msbs: dst=0 src0=0 src1=1 src2=0
	v_mul_i32_i24_e32 v90, v91, v6 /*v262*/
	s_set_vgpr_msb 5                        ;  msbs: dst=0 src0=1 src1=1 src2=0
	v_mul_i32_i24_e32 v91, v81 /*v337*/, v6 /*v262*/
	v_lshrrev_b16 v112, 8, v19 /*v275*/
	s_set_vgpr_msb 0                        ;  msbs: dst=0 src0=0 src1=0 src2=0
	v_ashrrev_i32_e32 v147, 24, v126
	s_set_vgpr_msb 64                       ;  msbs: dst=1 src0=0 src1=0 src2=0
	v_bfe_i32 v6 /*v262*/, v124, 0, 8
	s_set_vgpr_msb 1                        ;  msbs: dst=0 src0=1 src1=0 src2=0
	v_add3_u32 v81, v71 /*v327*/, v90, v81
	s_set_vgpr_msb 0                        ;  msbs: dst=0 src0=0 src1=0 src2=0
	v_add3_u32 v80, v82, v91, v80
	v_and_b32_e32 v91, 15, v112
	v_bfe_i32 v82, v110, 0, 8
	s_set_vgpr_msb 64                       ;  msbs: dst=1 src0=0 src1=0 src2=0
	v_ashrrev_i32_e32 v81 /*v337*/, 24, v124
	v_bfe_u32 v19 /*v275*/, v143, 12, 4
	s_set_vgpr_msb 0x45                     ;  msbs: dst=1 src0=1 src1=1 src2=0
	v_mul_i32_i24_e32 v67 /*v323*/, v6 /*v262*/, v128 /*v384*/
	s_set_vgpr_msb 0                        ;  msbs: dst=0 src0=0 src1=0 src2=0
	v_and_b32_e32 v110, 0xffff, v91
	s_set_vgpr_msb 0x44                     ;  msbs: dst=1 src0=0 src1=1 src2=0
	v_mul_i32_i24_e32 v66 /*v322*/, v147, v139 /*v395*/
	s_set_vgpr_msb 0x45                     ;  msbs: dst=1 src0=1 src1=1 src2=0
	v_mul_i32_i24_e32 v68 /*v324*/, v81 /*v337*/, v139 /*v395*/
	s_set_vgpr_msb 20                       ;  msbs: dst=0 src0=0 src1=1 src2=1
	v_add3_u32 v98, v98, v84 /*v340*/, v83 /*v339*/
	s_set_vgpr_msb 64                       ;  msbs: dst=1 src0=0 src1=0 src2=0
	v_bfe_u32 v83 /*v339*/, v132, 12, 4
	s_set_vgpr_msb 1                        ;  msbs: dst=0 src0=1 src1=0 src2=0
	v_mul_i32_i24_e32 v90, v117 /*v373*/, v110
	s_set_vgpr_msb 0x55                     ;  msbs: dst=1 src0=1 src1=1 src2=1
	v_add3_u32 v57 /*v313*/, v57 /*v313*/, v66 /*v322*/, v65 /*v321*/
	v_add3_u32 v59 /*v315*/, v59 /*v315*/, v68 /*v324*/, v67 /*v323*/
	s_set_vgpr_msb 64                       ;  msbs: dst=1 src0=0 src1=0 src2=0
	v_bfe_i32 v67 /*v323*/, v104, 0, 8
	v_ashrrev_i32_e32 v68 /*v324*/, 24, v104
	s_set_vgpr_msb 0                        ;  msbs: dst=0 src0=0 src1=0 src2=0
	v_add3_u32 v148, v148, v88, v90
	s_set_vgpr_msb 4                        ;  msbs: dst=0 src0=0 src1=1 src2=0
	v_mul_i32_i24_e32 v88, v82, v113 /*v369*/
	s_set_vgpr_msb 5                        ;  msbs: dst=0 src0=1 src1=1 src2=0
	v_mul_i32_i24_e32 v90, v82 /*v338*/, v118 /*v374*/
	s_set_vgpr_msb 64                       ;  msbs: dst=1 src0=0 src1=0 src2=0
	v_and_b32_e32 v65 /*v321*/, 15, v132
	v_bfe_u32 v66 /*v322*/, v132, 16, 4
	v_bfe_u32 v84 /*v340*/, v132, 20, 4
	s_set_vgpr_msb 0                        ;  msbs: dst=0 src0=0 src1=0 src2=0
	v_bfe_i32 v112, v140, 8, 8
	s_set_vgpr_msb 64                       ;  msbs: dst=1 src0=0 src1=0 src2=0
	v_add3_u32 v71 /*v327*/, v246, v88, v90
	s_set_vgpr_msb 4                        ;  msbs: dst=0 src0=0 src1=1 src2=0
	v_mul_i32_i24_e32 v88, v82, v30 /*v286*/
	s_set_vgpr_msb 5                        ;  msbs: dst=0 src0=1 src1=1 src2=0
	v_mul_i32_i24_e32 v90, v82 /*v338*/, v31 /*v287*/
	s_set_vgpr_msb 0                        ;  msbs: dst=0 src0=0 src1=0 src2=0
	v_lshrrev_b32_e32 v246, 28, v143
	s_set_vgpr_msb 0x41                     ;  msbs: dst=1 src0=1 src1=0 src2=0
	s_delay_alu instid0(VALU_DEP_2)
	v_add3_u32 v124 /*v380*/, v126 /*v382*/, v88, v90
	s_set_vgpr_msb 4                        ;  msbs: dst=0 src0=0 src1=1 src2=0
	v_mul_i32_i24_e32 v88, v82, v53 /*v309*/
	s_set_vgpr_msb 5                        ;  msbs: dst=0 src0=1 src1=1 src2=0
	v_mul_i32_i24_e32 v90, v82 /*v338*/, v55 /*v311*/
	s_set_vgpr_msb 4                        ;  msbs: dst=0 src0=0 src1=1 src2=0
	v_mul_i32_i24_e32 v82, v82, v24 /*v280*/
	s_set_vgpr_msb 0x41                     ;  msbs: dst=1 src0=1 src1=0 src2=0
	s_delay_alu instid0(VALU_DEP_2) | instskip(SKIP_4) | instid1(VALU_DEP_1)
	v_add3_u32 v126 /*v382*/, v130 /*v386*/, v88, v90
	s_set_vgpr_msb 5                        ;  msbs: dst=0 src0=1 src1=1 src2=0
	v_mul_i32_i24_e32 v88, v44 /*v300*/, v34 /*v290*/
	v_mul_i32_i24_e32 v90, v47 /*v303*/, v36 /*v292*/
	s_set_vgpr_msb 0x41                     ;  msbs: dst=1 src0=1 src1=0 src2=0
	v_add3_u32 v112 /*v368*/, v112 /*v368*/, v90, v88
	s_set_vgpr_msb 5                        ;  msbs: dst=0 src0=1 src1=1 src2=0
	v_mul_i32_i24_e32 v88, v9 /*v265*/, v30 /*v286*/
	v_mul_i32_i24_e32 v90, v10 /*v266*/, v21 /*v277*/
	s_set_vgpr_msb 64                       ;  msbs: dst=1 src0=0 src1=0 src2=0
	v_bfe_u32 v21 /*v277*/, v143, 20, 4
	s_set_vgpr_msb 0                        ;  msbs: dst=0 src0=0 src1=0 src2=0
	v_bfe_i32 v143, v145, 8, 8
	s_set_vgpr_msb 64                       ;  msbs: dst=1 src0=0 src1=0 src2=0
	v_add3_u32 v130 /*v386*/, v89, v90, v88
	s_set_vgpr_msb 5                        ;  msbs: dst=0 src0=1 src1=1 src2=0
	v_mul_i32_i24_e32 v88, v44 /*v300*/, v109 /*v365*/
	v_mul_i32_i24_e32 v89, v47 /*v303*/, v114 /*v370*/
	ds_load_2addr_b32 v[90:91], v3 /*v259*/ offset1:3
	s_set_vgpr_msb 0x45                     ;  msbs: dst=1 src0=1 src1=1 src2=0
	v_mul_i32_i24_e32 v3 /*v259*/, v103 /*v359*/, v55 /*v311*/
	s_set_vgpr_msb 64                       ;  msbs: dst=1 src0=0 src1=0 src2=0
	v_add3_u32 v131 /*v387*/, v128, v89, v88
	s_set_vgpr_msb 5                        ;  msbs: dst=0 src0=1 src1=1 src2=0
	v_mul_i32_i24_e32 v88, v9 /*v265*/, v53 /*v309*/
	v_mul_i32_i24_e32 v89, v10 /*v266*/, v51 /*v307*/
	s_set_vgpr_msb 0                        ;  msbs: dst=0 src0=0 src1=0 src2=0
	v_ashrrev_i32_e32 v128, 24, v140
	v_bfe_u32 v140, v139, 12, 4
	v_bfe_u32 v139, v139, 20, 4
	s_set_vgpr_msb 0x41                     ;  msbs: dst=1 src0=1 src1=0 src2=0
	v_add3_u32 v51 /*v307*/, v49 /*v305*/, v89, v88
	s_set_vgpr_msb 5                        ;  msbs: dst=0 src0=1 src1=1 src2=0
	v_mul_i32_i24_e32 v88, v116 /*v372*/, v34 /*v290*/
	s_set_vgpr_msb 4                        ;  msbs: dst=0 src0=0 src1=1 src2=0
	v_mul_i32_i24_e32 v89, v147, v36 /*v292*/
	s_set_vgpr_msb 64                       ;  msbs: dst=1 src0=0 src1=0 src2=0
	v_bfe_i32 v49 /*v305*/, v145, 16, 8
	s_set_vgpr_msb 0x41                     ;  msbs: dst=1 src0=1 src1=0 src2=0
	s_delay_alu instid0(VALU_DEP_2)
	v_add3_u32 v50 /*v306*/, v50 /*v306*/, v89, v88
	s_set_vgpr_msb 5                        ;  msbs: dst=0 src0=1 src1=1 src2=0
	v_mul_i32_i24_e32 v88, v6 /*v262*/, v34 /*v290*/
	v_mul_i32_i24_e32 v89, v81 /*v337*/, v36 /*v292*/
	s_wait_dscnt 0x0
	s_set_vgpr_msb 64                       ;  msbs: dst=1 src0=0 src1=0 src2=0
	v_bfe_i32 v165 /*v421*/, v90, 0, 8
	v_bfe_i32 v166 /*v422*/, v90, 8, 8
	;; [unrolled: 1-line block ×3, first 2 shown]
	v_ashrrev_i32_e32 v170 /*v426*/, 24, v90
	s_set_vgpr_msb 0x41                     ;  msbs: dst=1 src0=1 src1=0 src2=0
	v_add3_u32 v122 /*v378*/, v122 /*v378*/, v89, v88
	s_set_vgpr_msb 5                        ;  msbs: dst=0 src0=1 src1=1 src2=0
	v_mul_i32_i24_e32 v88, v116 /*v372*/, v109 /*v365*/
	s_set_vgpr_msb 4                        ;  msbs: dst=0 src0=0 src1=1 src2=0
	v_mul_i32_i24_e32 v89, v147, v114 /*v370*/
	v_mul_i32_i24_e32 v147, v147, v23 /*v279*/
	s_set_vgpr_msb 0x41                     ;  msbs: dst=1 src0=1 src1=0 src2=0
	s_delay_alu instid0(VALU_DEP_2)
	v_add3_u32 v125 /*v381*/, v125 /*v381*/, v89, v88
	s_set_vgpr_msb 5                        ;  msbs: dst=0 src0=1 src1=1 src2=0
	v_mul_i32_i24_e32 v88, v6 /*v262*/, v109 /*v365*/
	v_mul_i32_i24_e32 v89, v81 /*v337*/, v114 /*v370*/
	s_set_vgpr_msb 0x45                     ;  msbs: dst=1 src0=1 src1=1 src2=0
	v_mul_i32_i24_e32 v6 /*v262*/, v6 /*v262*/, v25 /*v281*/
	v_mul_i32_i24_e32 v81 /*v337*/, v81 /*v337*/, v23 /*v279*/
	s_set_vgpr_msb 0x41                     ;  msbs: dst=1 src0=1 src1=0 src2=0
	v_add3_u32 v72 /*v328*/, v72 /*v328*/, v89, v88
	s_set_vgpr_msb 5                        ;  msbs: dst=0 src0=1 src1=1 src2=0
	v_mul_i32_i24_e32 v88, v44 /*v300*/, v128 /*v384*/
	v_mul_i32_i24_e32 v89, v47 /*v303*/, v139 /*v395*/
	s_set_vgpr_msb 0x45                     ;  msbs: dst=1 src0=1 src1=1 src2=0
	v_mul_i32_i24_e32 v44 /*v300*/, v44 /*v300*/, v25 /*v281*/
	v_mul_i32_i24_e32 v47 /*v303*/, v47 /*v303*/, v23 /*v279*/
	s_set_vgpr_msb 0x41                     ;  msbs: dst=1 src0=1 src1=0 src2=0
	v_add3_u32 v115 /*v371*/, v115 /*v371*/, v89, v88
	s_set_vgpr_msb 5                        ;  msbs: dst=0 src0=1 src1=1 src2=0
	v_mul_i32_i24_e32 v88, v43 /*v299*/, v22 /*v278*/
	v_mul_i32_i24_e32 v89, v41 /*v297*/, v86 /*v342*/
	s_set_vgpr_msb 64                       ;  msbs: dst=1 src0=0 src1=0 src2=0
	v_ashrrev_i32_e32 v41 /*v297*/, 24, v102
	s_set_vgpr_msb 0x45                     ;  msbs: dst=1 src0=1 src1=1 src2=0
	v_mul_i32_i24_e32 v43 /*v299*/, v133 /*v389*/, v86 /*v342*/
	s_set_vgpr_msb 0                        ;  msbs: dst=0 src0=0 src1=0 src2=0
	v_add3_u32 v144, v144, v88, v89
	s_set_vgpr_msb 5                        ;  msbs: dst=0 src0=1 src1=1 src2=0
	v_mul_i32_i24_e32 v88, v99 /*v355*/, v113 /*v369*/
	v_mul_i32_i24_e32 v89, v103 /*v359*/, v118 /*v374*/
	s_set_vgpr_msb 1                        ;  msbs: dst=0 src0=1 src1=0 src2=0
	s_delay_alu instid0(VALU_DEP_1)
	v_add3_u32 v145, v39 /*v295*/, v88, v89
	s_set_vgpr_msb 5                        ;  msbs: dst=0 src0=1 src1=1 src2=0
	v_mul_i32_i24_e32 v88, v99 /*v355*/, v30 /*v286*/
	v_mul_i32_i24_e32 v89, v103 /*v359*/, v31 /*v287*/
	s_set_vgpr_msb 64                       ;  msbs: dst=1 src0=0 src1=0 src2=0
	v_bfe_i32 v39 /*v295*/, v102, 0, 8
	s_set_vgpr_msb 0x45                     ;  msbs: dst=1 src0=1 src1=1 src2=0
	v_mul_i32_i24_e32 v103 /*v359*/, v10 /*v266*/, v110 /*v366*/
	s_set_vgpr_msb 0x41                     ;  msbs: dst=1 src0=1 src1=0 src2=0
	v_add3_u32 v30 /*v286*/, v100 /*v356*/, v88, v89
	s_set_vgpr_msb 1                        ;  msbs: dst=0 src0=1 src1=0 src2=0
	ds_load_2addr_b32 v[88:89], v2 /*v258*/ offset1:3
	s_set_vgpr_msb 0x45                     ;  msbs: dst=1 src0=1 src1=1 src2=0
	v_mul_i32_i24_e32 v2 /*v258*/, v99 /*v355*/, v53 /*v309*/
	v_mul_i32_i24_e32 v99 /*v355*/, v137 /*v393*/, v22 /*v278*/
	;; [unrolled: 1-line block ×4, first 2 shown]
	s_set_vgpr_msb 64                       ;  msbs: dst=1 src0=0 src1=0 src2=0
	v_bfe_i32 v137 /*v393*/, v116, 8, 8
	s_set_vgpr_msb 0x55                     ;  msbs: dst=1 src0=1 src1=1 src2=1
	v_add3_u32 v2 /*v258*/, v91 /*v347*/, v2 /*v258*/, v3 /*v259*/
	v_mul_i32_i24_e32 v3 /*v259*/, v134 /*v390*/, v22 /*v278*/
	s_set_vgpr_msb 20                       ;  msbs: dst=0 src0=0 src1=1 src2=1
	v_add3_u32 v96, v96, v99 /*v355*/, v100 /*v356*/
	s_set_vgpr_msb 0x45                     ;  msbs: dst=1 src0=1 src1=1 src2=0
	v_mul_i32_i24_e32 v99 /*v355*/, v67 /*v323*/, v128 /*v384*/
	v_mul_i32_i24_e32 v100 /*v356*/, v68 /*v324*/, v139 /*v395*/
	s_set_vgpr_msb 64                       ;  msbs: dst=1 src0=0 src1=0 src2=0
	v_bfe_u32 v91 /*v347*/, v132, 24, 4
	s_set_vgpr_msb 20                       ;  msbs: dst=0 src0=0 src1=1 src2=1
	v_add3_u32 v92, v92, v3 /*v259*/, v43 /*v299*/
	s_set_vgpr_msb 0x55                     ;  msbs: dst=1 src0=1 src1=1 src2=1
	v_mul_i32_i24_e32 v3 /*v259*/, v39 /*v295*/, v128 /*v384*/
	v_mul_i32_i24_e32 v43 /*v299*/, v41 /*v297*/, v139 /*v395*/
	v_add3_u32 v60 /*v316*/, v60 /*v316*/, v100 /*v356*/, v99 /*v355*/
	v_mul_i32_i24_e32 v99 /*v355*/, v67 /*v323*/, v34 /*v290*/
	v_mul_i32_i24_e32 v100 /*v356*/, v68 /*v324*/, v36 /*v292*/
	s_set_vgpr_msb 64                       ;  msbs: dst=1 src0=0 src1=0 src2=0
	v_bfe_i32 v134 /*v390*/, v114, 8, 8
	s_set_vgpr_msb 0x55                     ;  msbs: dst=1 src0=1 src1=1 src2=1
	v_add3_u32 v3 /*v259*/, v85 /*v341*/, v43 /*v299*/, v3 /*v259*/
	v_mul_i32_i24_e32 v43 /*v299*/, v39 /*v295*/, v34 /*v290*/
	v_mul_i32_i24_e32 v85 /*v341*/, v41 /*v297*/, v114 /*v370*/
	v_add3_u32 v77 /*v333*/, v77 /*v333*/, v100 /*v356*/, v99 /*v355*/
	v_mul_i32_i24_e32 v99 /*v355*/, v67 /*v323*/, v109 /*v365*/
	v_mul_i32_i24_e32 v100 /*v356*/, v68 /*v324*/, v114 /*v370*/
	v_add3_u32 v43 /*v299*/, v104 /*v360*/, v53 /*v309*/, v43 /*v299*/
	v_mul_i32_i24_e32 v53 /*v309*/, v39 /*v295*/, v109 /*v365*/
	v_mul_i32_i24_e32 v39 /*v295*/, v39 /*v295*/, v25 /*v281*/
	v_mul_i32_i24_e32 v41 /*v297*/, v41 /*v297*/, v23 /*v279*/
	v_add3_u32 v89 /*v345*/, v89 /*v345*/, v100 /*v356*/, v99 /*v355*/
	s_set_vgpr_msb 64                       ;  msbs: dst=1 src0=0 src1=0 src2=0
	v_bfe_u32 v99 /*v355*/, v132, 4, 4
	s_set_vgpr_msb 0x55                     ;  msbs: dst=1 src0=1 src1=1 src2=1
	v_add3_u32 v53 /*v309*/, v119 /*v375*/, v85 /*v341*/, v53 /*v309*/
	s_set_vgpr_msb 64                       ;  msbs: dst=1 src0=0 src1=0 src2=0
	v_bfe_u32 v85 /*v341*/, v132, 8, 4
	v_lshrrev_b32_e32 v100 /*v356*/, 28, v132
	s_set_vgpr_msb 5                        ;  msbs: dst=0 src0=1 src1=1 src2=0
	v_mul_i32_i24_e32 v132, v9 /*v265*/, v113 /*v369*/
	s_set_vgpr_msb 64                       ;  msbs: dst=1 src0=0 src1=0 src2=0
	v_bfe_i32 v113 /*v369*/, v126, 8, 8
	s_set_vgpr_msb 0                        ;  msbs: dst=0 src0=0 src1=0 src2=0
	v_bfe_i32 v126, v126, 16, 8
	s_set_vgpr_msb 64                       ;  msbs: dst=1 src0=0 src1=0 src2=0
	v_bfe_i32 v119 /*v375*/, v124, 8, 8
	s_set_vgpr_msb 0                        ;  msbs: dst=0 src0=0 src1=0 src2=0
	v_bfe_i32 v124, v124, 16, 8
	s_set_vgpr_msb 0x44                     ;  msbs: dst=1 src0=0 src1=1 src2=0
	v_add3_u32 v103 /*v359*/, v80, v103 /*v359*/, v132
	s_set_vgpr_msb 5                        ;  msbs: dst=0 src0=1 src1=1 src2=0
	v_lshrrev_b16 v132, 8, v28 /*v284*/
	v_mul_i32_i24_e32 v80, v9 /*v265*/, v24 /*v280*/
	s_set_vgpr_msb 64                       ;  msbs: dst=1 src0=0 src1=0 src2=0
	v_bfe_i32 v9 /*v265*/, v107, 8, 8
	s_set_vgpr_msb 5                        ;  msbs: dst=0 src0=1 src1=1 src2=0
	v_mul_i32_i24_e32 v107, v10 /*v266*/, v86 /*v342*/
	s_set_vgpr_msb 64                       ;  msbs: dst=1 src0=0 src1=0 src2=0
	v_bfe_i32 v10 /*v266*/, v100, 0, 8
	s_set_vgpr_msb 0                        ;  msbs: dst=0 src0=0 src1=0 src2=0
	v_and_b32_e32 v132, 0xffff, v132
	s_set_vgpr_msb 64                       ;  msbs: dst=1 src0=0 src1=0 src2=0
	v_ashrrev_i32_e32 v28 /*v284*/, 24, v100
	s_set_vgpr_msb 0x45                     ;  msbs: dst=1 src0=1 src1=1 src2=0
	v_mul_i32_i24_e32 v67 /*v323*/, v67 /*v323*/, v25 /*v281*/
	s_set_vgpr_msb 0                        ;  msbs: dst=0 src0=0 src1=0 src2=0
	v_add3_u32 v107, v81, v107, v80
	s_set_vgpr_msb 64                       ;  msbs: dst=1 src0=0 src1=0 src2=0
	v_bfe_i32 v136 /*v392*/, v101, 16, 8
	s_set_vgpr_msb 1                        ;  msbs: dst=0 src0=1 src1=0 src2=0
	v_mul_i32_i24_e32 v80, v9 /*v265*/, v132
	s_set_vgpr_msb 5                        ;  msbs: dst=0 src0=1 src1=1 src2=0
	v_mul_i32_i24_e32 v81, v28 /*v284*/, v139 /*v395*/
	s_wait_dscnt 0x0
	s_set_vgpr_msb 64                       ;  msbs: dst=1 src0=0 src1=0 src2=0
	v_bfe_i32 v161 /*v417*/, v88, 0, 8
	v_bfe_i32 v162 /*v418*/, v88, 8, 8
	;; [unrolled: 1-line block ×3, first 2 shown]
	s_set_vgpr_msb 16                       ;  msbs: dst=0 src0=0 src1=0 src2=1
	v_add3_u32 v148, v148, v80, v120 /*v376*/
	s_set_vgpr_msb 5                        ;  msbs: dst=0 src0=1 src1=1 src2=0
	v_mul_i32_i24_e32 v80, v10 /*v266*/, v128 /*v384*/
	s_set_vgpr_msb 64                       ;  msbs: dst=1 src0=0 src1=0 src2=0
	v_bfe_u32 v120 /*v376*/, v135, 12, 4
	s_set_vgpr_msb 0                        ;  msbs: dst=0 src0=0 src1=0 src2=0
	v_bfe_u32 v135, v135, 20, 4
	s_set_vgpr_msb 64                       ;  msbs: dst=1 src0=0 src1=0 src2=0
	v_ashrrev_i32_e32 v168 /*v424*/, 24, v88
	v_bfe_u32 v104 /*v360*/, v133, 8, 4
	s_set_vgpr_msb 0x41                     ;  msbs: dst=1 src0=1 src1=0 src2=0
	v_add3_u32 v71 /*v327*/, v71 /*v327*/, v81, v80
	s_set_vgpr_msb 5                        ;  msbs: dst=0 src0=1 src1=1 src2=0
	v_mul_i32_i24_e32 v80, v10 /*v266*/, v34 /*v290*/
	v_mul_i32_i24_e32 v81, v28 /*v284*/, v36 /*v292*/
	s_set_vgpr_msb 0x41                     ;  msbs: dst=1 src0=1 src1=0 src2=0
	s_delay_alu instid0(VALU_DEP_1)
	v_add3_u32 v86 /*v342*/, v124 /*v380*/, v81, v80
	s_set_vgpr_msb 5                        ;  msbs: dst=0 src0=1 src1=1 src2=0
	v_mul_i32_i24_e32 v80, v10 /*v266*/, v109 /*v365*/
	v_mul_i32_i24_e32 v81, v28 /*v284*/, v114 /*v370*/
	s_set_vgpr_msb 0x45                     ;  msbs: dst=1 src0=1 src1=1 src2=0
	v_mul_i32_i24_e32 v10 /*v266*/, v10 /*v266*/, v25 /*v281*/
	s_set_vgpr_msb 64                       ;  msbs: dst=1 src0=0 src1=0 src2=0
	v_and_b32_e32 v124 /*v380*/, 15, v133
	s_set_vgpr_msb 0x45                     ;  msbs: dst=1 src0=1 src1=1 src2=0
	v_mul_i32_i24_e32 v68 /*v324*/, v68 /*v324*/, v23 /*v279*/
	s_set_vgpr_msb 0x41                     ;  msbs: dst=1 src0=1 src1=0 src2=0
	v_add3_u32 v110 /*v366*/, v126 /*v382*/, v81, v80
	s_set_vgpr_msb 5                        ;  msbs: dst=0 src0=1 src1=1 src2=0
	v_mul_i32_i24_e32 v80, v45 /*v301*/, v35 /*v291*/
	v_mul_i32_i24_e32 v81, v46 /*v302*/, v29 /*v285*/
	s_set_vgpr_msb 64                       ;  msbs: dst=1 src0=0 src1=0 src2=0
	v_bfe_i32 v126 /*v382*/, v131, 8, 8
	s_set_vgpr_msb 0x41                     ;  msbs: dst=1 src0=1 src1=0 src2=0
	s_delay_alu instid0(VALU_DEP_2)
	v_add3_u32 v112 /*v368*/, v112 /*v368*/, v80, v81
	s_set_vgpr_msb 5                        ;  msbs: dst=0 src0=1 src1=1 src2=0
	v_mul_i32_i24_e32 v80, v11 /*v267*/, v31 /*v287*/
	s_set_vgpr_msb 4                        ;  msbs: dst=0 src0=0 src1=1 src2=0
	v_mul_i32_i24_e32 v81, v86, v33 /*v289*/
	s_set_vgpr_msb 0x41                     ;  msbs: dst=1 src0=1 src1=0 src2=0
	s_delay_alu instid0(VALU_DEP_1)
	v_add3_u32 v31 /*v287*/, v130 /*v386*/, v80, v81
	s_set_vgpr_msb 1                        ;  msbs: dst=0 src0=1 src1=0 src2=0
	v_mul_i32_i24_e32 v80, v45 /*v301*/, v140
	v_mul_i32_i24_e32 v81, v46 /*v302*/, v139
	s_set_vgpr_msb 64                       ;  msbs: dst=1 src0=0 src1=0 src2=0
	v_bfe_i32 v130 /*v386*/, v129, 8, 8
	s_set_vgpr_msb 0x41                     ;  msbs: dst=1 src0=1 src1=0 src2=0
	s_delay_alu instid0(VALU_DEP_2)
	v_add3_u32 v33 /*v289*/, v131 /*v387*/, v80, v81
	s_set_vgpr_msb 5                        ;  msbs: dst=0 src0=1 src1=1 src2=0
	v_mul_i32_i24_e32 v80, v11 /*v267*/, v55 /*v311*/
	s_set_vgpr_msb 4                        ;  msbs: dst=0 src0=0 src1=1 src2=0
	v_mul_i32_i24_e32 v81, v86, v52 /*v308*/
	s_set_vgpr_msb 64                       ;  msbs: dst=1 src0=0 src1=0 src2=0
	v_bfe_i32 v131 /*v387*/, v104, 8, 8
	s_set_vgpr_msb 0                        ;  msbs: dst=0 src0=0 src1=0 src2=0
	v_bfe_i32 v104, v104, 16, 8
	s_set_vgpr_msb 0x41                     ;  msbs: dst=1 src0=1 src1=0 src2=0
	v_add3_u32 v51 /*v307*/, v51 /*v307*/, v80, v81
	s_set_vgpr_msb 5                        ;  msbs: dst=0 src0=1 src1=1 src2=0
	v_mul_i32_i24_e32 v80, v113 /*v369*/, v35 /*v291*/
	s_set_vgpr_msb 4                        ;  msbs: dst=0 src0=0 src1=1 src2=0
	v_mul_i32_i24_e32 v81, v126, v29 /*v285*/
	s_set_vgpr_msb 0x41                     ;  msbs: dst=1 src0=1 src1=0 src2=0
	s_delay_alu instid0(VALU_DEP_1)
	v_add3_u32 v50 /*v306*/, v50 /*v306*/, v80, v81
	s_set_vgpr_msb 5                        ;  msbs: dst=0 src0=1 src1=1 src2=0
	v_mul_i32_i24_e32 v80, v119 /*v375*/, v35 /*v291*/
	s_set_vgpr_msb 4                        ;  msbs: dst=0 src0=0 src1=1 src2=0
	v_mul_i32_i24_e32 v81, v124, v29 /*v285*/
	s_set_vgpr_msb 0x41                     ;  msbs: dst=1 src0=1 src1=0 src2=0
	s_delay_alu instid0(VALU_DEP_1)
	v_add3_u32 v52 /*v308*/, v122 /*v378*/, v80, v81
	s_set_vgpr_msb 1                        ;  msbs: dst=0 src0=1 src1=0 src2=0
	v_mul_i32_i24_e32 v80, v113 /*v369*/, v140
	s_set_vgpr_msb 0                        ;  msbs: dst=0 src0=0 src1=0 src2=0
	v_mul_i32_i24_e32 v81, v126, v139
	s_set_vgpr_msb 64                       ;  msbs: dst=1 src0=0 src1=0 src2=0
	v_bfe_u32 v122 /*v378*/, v133, 24, 4
	s_set_vgpr_msb 0x41                     ;  msbs: dst=1 src0=1 src1=0 src2=0
	s_delay_alu instid0(VALU_DEP_2)
	v_add3_u32 v55 /*v311*/, v125 /*v381*/, v80, v81
	s_set_vgpr_msb 1                        ;  msbs: dst=0 src0=1 src1=0 src2=0
	v_mul_i32_i24_e32 v80, v119 /*v375*/, v140
	s_set_vgpr_msb 0                        ;  msbs: dst=0 src0=0 src1=0 src2=0
	v_mul_i32_i24_e32 v81, v124, v139
	s_set_vgpr_msb 64                       ;  msbs: dst=1 src0=0 src1=0 src2=0
	v_bfe_u32 v125 /*v381*/, v133, 12, 4
	s_set_vgpr_msb 0x41                     ;  msbs: dst=1 src0=1 src1=0 src2=0
	s_delay_alu instid0(VALU_DEP_2)
	v_add3_u32 v72 /*v328*/, v72 /*v328*/, v80, v81
	s_set_vgpr_msb 5                        ;  msbs: dst=0 src0=1 src1=1 src2=0
	v_mul_i32_i24_e32 v80, v45 /*v301*/, v120 /*v376*/
	s_set_vgpr_msb 1                        ;  msbs: dst=0 src0=1 src1=0 src2=0
	v_mul_i32_i24_e32 v81, v46 /*v302*/, v135
	s_set_vgpr_msb 0x41                     ;  msbs: dst=1 src0=1 src1=0 src2=0
	s_delay_alu instid0(VALU_DEP_1)
	v_add3_u32 v115 /*v371*/, v115 /*v371*/, v80, v81
	s_set_vgpr_msb 5                        ;  msbs: dst=0 src0=1 src1=1 src2=0
	v_mul_i32_i24_e32 v80, v40 /*v296*/, v24 /*v280*/
	v_mul_i32_i24_e32 v81, v42 /*v298*/, v26 /*v282*/
	s_set_vgpr_msb 64                       ;  msbs: dst=1 src0=0 src1=0 src2=0
	v_bfe_u32 v40 /*v296*/, v133, 16, 4
	v_bfe_u32 v42 /*v298*/, v133, 4, 4
	s_set_vgpr_msb 0                        ;  msbs: dst=0 src0=0 src1=0 src2=0
	v_add3_u32 v144, v144, v80, v81
	s_set_vgpr_msb 5                        ;  msbs: dst=0 src0=1 src1=1 src2=0
	v_mul_i32_i24_e32 v80, v101 /*v357*/, v128 /*v384*/
	v_mul_i32_i24_e32 v81, v97 /*v353*/, v139 /*v395*/
	s_set_vgpr_msb 20                       ;  msbs: dst=0 src0=0 src1=1 src2=1
	v_add3_u32 v144, v144, v47 /*v303*/, v44 /*v300*/
	s_set_vgpr_msb 0x44                     ;  msbs: dst=1 src0=0 src1=1 src2=0
	v_mul_i32_i24_e32 v44 /*v300*/, v146, v120 /*v376*/
	s_set_vgpr_msb 0                        ;  msbs: dst=0 src0=0 src1=0 src2=0
	v_add3_u32 v145, v145, v81, v80
	s_set_vgpr_msb 5                        ;  msbs: dst=0 src0=1 src1=1 src2=0
	v_mul_i32_i24_e32 v80, v101 /*v357*/, v34 /*v290*/
	v_mul_i32_i24_e32 v81, v97 /*v353*/, v36 /*v292*/
	s_set_vgpr_msb 0x45                     ;  msbs: dst=1 src0=1 src1=1 src2=0
	v_mul_i32_i24_e32 v34 /*v290*/, v12 /*v268*/, v34 /*v290*/
	s_set_vgpr_msb 0x41                     ;  msbs: dst=1 src0=1 src1=0 src2=0
	v_mul_i32_i24_e32 v47 /*v303*/, v105 /*v361*/, v135
	v_add3_u32 v30 /*v286*/, v30 /*v286*/, v81, v80
	s_set_vgpr_msb 5                        ;  msbs: dst=0 src0=1 src1=1 src2=0
	v_mul_i32_i24_e32 v80, v101 /*v357*/, v109 /*v365*/
	v_mul_i32_i24_e32 v81, v97 /*v353*/, v114 /*v370*/
	s_set_vgpr_msb 64                       ;  msbs: dst=1 src0=0 src1=0 src2=0
	v_bfe_i32 v101 /*v357*/, v102, 8, 8
	s_set_vgpr_msb 20                       ;  msbs: dst=0 src0=0 src1=1 src2=1
	v_bfe_i32 v102, v102, 16, 8
	v_add3_u32 v145, v145, v44 /*v300*/, v47 /*v303*/
	s_set_vgpr_msb 0x45                     ;  msbs: dst=1 src0=1 src1=1 src2=0
	v_mul_i32_i24_e32 v47 /*v303*/, v105 /*v361*/, v29 /*v285*/
	s_set_vgpr_msb 0x41                     ;  msbs: dst=1 src0=1 src1=0 src2=0
	v_add3_u32 v97 /*v353*/, v2 /*v258*/, v81, v80
	s_set_vgpr_msb 5                        ;  msbs: dst=0 src0=1 src1=1 src2=0
	v_mul_i32_i24_e32 v80, v94 /*v350*/, v24 /*v280*/
	s_set_vgpr_msb 4                        ;  msbs: dst=0 src0=0 src1=1 src2=0
	v_mul_i32_i24_e32 v81, v108, v26 /*v282*/
	s_set_vgpr_msb 64                       ;  msbs: dst=1 src0=0 src1=0 src2=0
	v_lshrrev_b32_e32 v94 /*v350*/, 28, v133
	v_ashrrev_i32_e32 v44 /*v300*/, 24, v117
	s_set_vgpr_msb 0                        ;  msbs: dst=0 src0=0 src1=0 src2=0
	v_bfe_u32 v133, v133, 20, 4
	v_add3_u32 v92, v92, v80, v81
	s_set_vgpr_msb 5                        ;  msbs: dst=0 src0=1 src1=1 src2=0
	v_mul_i32_i24_e32 v80, v101 /*v357*/, v120 /*v376*/
	s_set_vgpr_msb 0                        ;  msbs: dst=0 src0=0 src1=0 src2=0
	v_mul_i32_i24_e32 v81, v102, v135
	s_set_vgpr_msb 20                       ;  msbs: dst=0 src0=0 src1=1 src2=1
	v_add3_u32 v92, v92, v41 /*v297*/, v39 /*v295*/
	s_set_vgpr_msb 1                        ;  msbs: dst=0 src0=1 src1=0 src2=0
	s_delay_alu instid0(VALU_DEP_2)
	v_add3_u32 v108, v3 /*v259*/, v80, v81
	s_set_vgpr_msb 5                        ;  msbs: dst=0 src0=1 src1=1 src2=0
	v_mul_i32_i24_e32 v80, v101 /*v357*/, v35 /*v291*/
	s_set_vgpr_msb 4                        ;  msbs: dst=0 src0=0 src1=1 src2=0
	v_mul_i32_i24_e32 v81, v102, v29 /*v285*/
	s_set_vgpr_msb 0x45                     ;  msbs: dst=1 src0=1 src1=1 src2=0
	ds_load_2addr_b32 v[2:3] /*v[258:259]*/, v4 /*v260*/ offset1:3
	v_mul_i32_i24_e32 v4 /*v260*/, v11 /*v267*/, v26 /*v282*/
	v_mul_i32_i24_e32 v11 /*v267*/, v11 /*v267*/, v118 /*v374*/
	s_set_vgpr_msb 0x41                     ;  msbs: dst=1 src0=1 src1=0 src2=0
	v_lshrrev_b32_e32 v118 /*v374*/, 16, v87
	v_add3_u32 v43 /*v299*/, v43 /*v299*/, v80, v81
	s_set_vgpr_msb 1                        ;  msbs: dst=0 src0=1 src1=0 src2=0
	v_mul_i32_i24_e32 v80, v101 /*v357*/, v140
	s_set_vgpr_msb 0                        ;  msbs: dst=0 src0=0 src1=0 src2=0
	v_mul_i32_i24_e32 v81, v102, v139
	s_set_vgpr_msb 4                        ;  msbs: dst=0 src0=0 src1=1 src2=0
	v_mul_i32_i24_e32 v102, v102, v27 /*v283*/
	s_set_vgpr_msb 0x41                     ;  msbs: dst=1 src0=1 src1=0 src2=0
	s_delay_alu instid0(VALU_DEP_2)
	v_add3_u32 v53 /*v309*/, v53 /*v309*/, v80, v81
	s_set_vgpr_msb 5                        ;  msbs: dst=0 src0=1 src1=1 src2=0
	v_mul_i32_i24_e32 v80, v129 /*v385*/, v24 /*v280*/
	v_mul_i32_i24_e32 v81, v138 /*v394*/, v26 /*v282*/
	s_set_vgpr_msb 64                       ;  msbs: dst=1 src0=0 src1=0 src2=0
	v_ashrrev_i32_e32 v129 /*v385*/, 24, v131
	s_set_vgpr_msb 0x45                     ;  msbs: dst=1 src0=1 src1=1 src2=0
	v_mul_i32_i24_e32 v28 /*v284*/, v28 /*v284*/, v23 /*v279*/
	s_set_vgpr_msb 64                       ;  msbs: dst=1 src0=0 src1=0 src2=0
	v_mul_i32_i24_e32 v138 /*v394*/, v205, v239
	s_set_vgpr_msb 0x41                     ;  msbs: dst=1 src0=1 src1=0 src2=0
	v_add3_u32 v56 /*v312*/, v56 /*v312*/, v80, v81
	s_set_vgpr_msb 5                        ;  msbs: dst=0 src0=1 src1=1 src2=0
	v_mul_i32_i24_e32 v80, v113 /*v369*/, v120 /*v376*/
	s_set_vgpr_msb 0                        ;  msbs: dst=0 src0=0 src1=0 src2=0
	v_mul_i32_i24_e32 v81, v126, v135
	s_set_vgpr_msb 4                        ;  msbs: dst=0 src0=0 src1=1 src2=0
	v_mul_i32_i24_e32 v126, v126, v27 /*v283*/
	s_wait_dscnt 0x0
	s_set_vgpr_msb 0x41                     ;  msbs: dst=1 src0=1 src1=0 src2=0
	v_bfe_i32 v163 /*v419*/, v2 /*v258*/, 0, 8
	v_bfe_i32 v164 /*v420*/, v2 /*v258*/, 8, 8
	;; [unrolled: 1-line block ×3, first 2 shown]
	v_add3_u32 v57 /*v313*/, v57 /*v313*/, v80, v81
	s_set_vgpr_msb 5                        ;  msbs: dst=0 src0=1 src1=1 src2=0
	v_mul_i32_i24_e32 v80, v132 /*v388*/, v24 /*v280*/
	v_mul_i32_i24_e32 v81, v135 /*v391*/, v26 /*v282*/
	s_set_vgpr_msb 0x44                     ;  msbs: dst=1 src0=0 src1=1 src2=0
	v_bfe_i32 v132 /*v388*/, v129, 0, 8
	v_bfe_i32 v135 /*v391*/, v116, 0, 8
	v_ashrrev_i32_e32 v172 /*v428*/, 24, v2 /*v258*/
	s_set_vgpr_msb 0x41                     ;  msbs: dst=1 src0=1 src1=0 src2=0
	v_add3_u32 v58 /*v314*/, v58 /*v314*/, v80, v81
	s_set_vgpr_msb 5                        ;  msbs: dst=0 src0=1 src1=1 src2=0
	v_mul_i32_i24_e32 v80, v119 /*v375*/, v120 /*v376*/
	s_set_vgpr_msb 0                        ;  msbs: dst=0 src0=0 src1=0 src2=0
	v_mul_i32_i24_e32 v81, v124, v135
	s_set_vgpr_msb 4                        ;  msbs: dst=0 src0=0 src1=1 src2=0
	v_mul_i32_i24_e32 v124, v124, v27 /*v283*/
	s_set_vgpr_msb 0x55                     ;  msbs: dst=1 src0=1 src1=1 src2=1
	v_add3_u32 v6 /*v262*/, v58 /*v314*/, v81 /*v337*/, v6 /*v262*/
	s_set_vgpr_msb 0x41                     ;  msbs: dst=1 src0=1 src1=0 src2=0
	v_add3_u32 v59 /*v315*/, v59 /*v315*/, v80, v81
	s_set_vgpr_msb 5                        ;  msbs: dst=0 src0=1 src1=1 src2=0
	v_mul_i32_i24_e32 v80, v62 /*v318*/, v24 /*v280*/
	v_mul_i32_i24_e32 v81, v63 /*v319*/, v26 /*v282*/
	s_set_vgpr_msb 0x45                     ;  msbs: dst=1 src0=1 src1=1 src2=0
	v_mul_i32_i24_e32 v24 /*v280*/, v82 /*v338*/, v26 /*v282*/
	s_set_vgpr_msb 64                       ;  msbs: dst=1 src0=0 src1=0 src2=0
	v_dual_ashrrev_i32 v63 /*v319*/, 24, v129 :: v_dual_lshrrev_b32 v82 /*v338*/, 16, v83
	s_set_vgpr_msb 0                        ;  msbs: dst=0 src0=0 src1=0 src2=0
	v_bfe_i32 v129, v129, 16, 8
	v_add3_u32 v96, v96, v80, v81
	s_set_vgpr_msb 5                        ;  msbs: dst=0 src0=1 src1=1 src2=0
	v_mul_i32_i24_e32 v80, v131 /*v387*/, v120 /*v376*/
	s_set_vgpr_msb 0                        ;  msbs: dst=0 src0=0 src1=0 src2=0
	v_mul_i32_i24_e32 v81, v104, v135
	s_set_vgpr_msb 20                       ;  msbs: dst=0 src0=0 src1=1 src2=1
	v_add3_u32 v96, v96, v68 /*v324*/, v67 /*v323*/
	s_set_vgpr_msb 0x41                     ;  msbs: dst=1 src0=1 src1=0 src2=0
	s_delay_alu instid0(VALU_DEP_2)
	v_add3_u32 v60 /*v316*/, v60 /*v316*/, v80, v81
	s_set_vgpr_msb 5                        ;  msbs: dst=0 src0=1 src1=1 src2=0
	v_mul_i32_i24_e32 v80, v131 /*v387*/, v35 /*v291*/
	s_set_vgpr_msb 4                        ;  msbs: dst=0 src0=0 src1=1 src2=0
	v_mul_i32_i24_e32 v81, v104, v29 /*v285*/
	s_set_vgpr_msb 0x41                     ;  msbs: dst=1 src0=1 src1=0 src2=0
	s_delay_alu instid0(VALU_DEP_1)
	v_add3_u32 v62 /*v318*/, v77 /*v333*/, v80, v81
	s_set_vgpr_msb 1                        ;  msbs: dst=0 src0=1 src1=0 src2=0
	v_mul_i32_i24_e32 v80, v131 /*v387*/, v140
	s_set_vgpr_msb 0                        ;  msbs: dst=0 src0=0 src1=0 src2=0
	v_mul_i32_i24_e32 v81, v104, v139
	s_set_vgpr_msb 64                       ;  msbs: dst=1 src0=0 src1=0 src2=0
	v_bfe_i32 v77 /*v333*/, v131, 0, 8
	s_set_vgpr_msb 4                        ;  msbs: dst=0 src0=0 src1=1 src2=0
	v_bfe_i32 v131, v131, 16, 8
	v_mul_i32_i24_e32 v104, v104, v27 /*v283*/
	s_set_vgpr_msb 0x41                     ;  msbs: dst=1 src0=1 src1=0 src2=0
	v_add3_u32 v26 /*v282*/, v89 /*v345*/, v80, v81
	s_set_vgpr_msb 0                        ;  msbs: dst=0 src0=0 src1=0 src2=0
	v_cvt_f32_f16_e32 v81, v83
	v_cvt_f32_f16_e32 v80, v84
	s_set_vgpr_msb 64                       ;  msbs: dst=1 src0=0 src1=0 src2=0
	v_lshrrev_b32_e32 v89 /*v345*/, 16, v84
	s_set_vgpr_msb 16                       ;  msbs: dst=0 src0=0 src1=0 src2=1
	v_add3_u32 v84, v98, v82, v24 /*v280*/
	v_cvt_f32_f16_e32 v83, v85
	s_set_vgpr_msb 64                       ;  msbs: dst=1 src0=0 src1=0 src2=0
	v_lshrrev_b32_e32 v24 /*v280*/, 16, v85
	s_set_vgpr_msb 4                        ;  msbs: dst=0 src0=0 src1=1 src2=0
	v_mul_i32_i24_e32 v85, v86, v22 /*v278*/
	v_mul_i32_i24_e32 v86, v86, v111 /*v367*/
	v_bfe_i32 v98, v100, 8, 8
	v_bfe_i32 v100, v100, 16, 8
	v_cvt_f32_f16_e32 v82, v87
	s_set_vgpr_msb 5                        ;  msbs: dst=0 src0=1 src1=1 src2=0
	v_add3_u32 v87, v108 /*v364*/, v107 /*v363*/, v148
	v_add3_u32 v86, v103 /*v359*/, v11 /*v267*/, v86
	s_set_vgpr_msb 4                        ;  msbs: dst=0 src0=0 src1=1 src2=0
	v_mul_i32_i24_e32 v148, v98, v120 /*v376*/
	s_set_vgpr_msb 64                       ;  msbs: dst=1 src0=0 src1=0 src2=0
	v_mul_i32_i24_e32 v11 /*v267*/, v100, v135
	s_set_vgpr_msb 0x45                     ;  msbs: dst=1 src0=1 src1=1 src2=0
	v_mul_i32_i24_e32 v107 /*v363*/, v13 /*v269*/, v35 /*v291*/
	s_set_vgpr_msb 0x41                     ;  msbs: dst=1 src0=1 src1=0 src2=0
	v_mul_i32_i24_e32 v103 /*v359*/, v1 /*v257*/, v240
	v_mul_i32_i24_e32 v108 /*v364*/, v13 /*v269*/, v140
	s_set_vgpr_msb 0x54                     ;  msbs: dst=1 src0=0 src1=1 src2=1
	v_add3_u32 v10 /*v266*/, v84, v28 /*v284*/, v10 /*v266*/
	s_set_vgpr_msb 17                       ;  msbs: dst=0 src0=1 src1=0 src2=1
	v_add3_u32 v148, v71 /*v327*/, v148, v11 /*v267*/
	s_set_vgpr_msb 0x44                     ;  msbs: dst=1 src0=0 src1=1 src2=0
	v_mul_i32_i24_e32 v11 /*v267*/, v98, v35 /*v291*/
	v_mul_i32_i24_e32 v71 /*v327*/, v100, v29 /*v285*/
	s_set_vgpr_msb 0x55                     ;  msbs: dst=1 src0=1 src1=1 src2=1
	v_add3_u32 v31 /*v287*/, v31 /*v287*/, v34 /*v290*/, v107 /*v363*/
	v_mul_i32_i24_e32 v34 /*v290*/, v0 /*v256*/, v85 /*v341*/
	v_mul_i32_i24_e32 v107 /*v363*/, v1 /*v257*/, v91 /*v347*/
	s_set_vgpr_msb 0x44                     ;  msbs: dst=1 src0=0 src1=1 src2=0
	v_mul_i32_i24_e32 v35 /*v291*/, v146, v35 /*v291*/
	s_set_vgpr_msb 0x55                     ;  msbs: dst=1 src0=1 src1=1 src2=1
	v_add3_u32 v11 /*v267*/, v86 /*v342*/, v11 /*v267*/, v71 /*v327*/
	s_set_vgpr_msb 64                       ;  msbs: dst=1 src0=0 src1=0 src2=0
	v_mul_i32_i24_e32 v71 /*v327*/, v98, v140
	v_mul_i32_i24_e32 v86 /*v342*/, v100, v139
	s_set_vgpr_msb 0x55                     ;  msbs: dst=1 src0=1 src1=1 src2=1
	v_add3_u32 v33 /*v289*/, v33 /*v289*/, v107 /*v363*/, v34 /*v290*/
	v_mul_i32_i24_e32 v107 /*v363*/, v12 /*v268*/, v109 /*v365*/
	s_set_vgpr_msb 0                        ;  msbs: dst=0 src0=0 src1=0 src2=0
	v_mul_i32_i24_e32 v140, v146, v140
	s_set_vgpr_msb 1                        ;  msbs: dst=0 src0=1 src1=0 src2=0
	v_mul_i32_i24_e32 v146, v105 /*v361*/, v139
	s_set_vgpr_msb 0x55                     ;  msbs: dst=1 src0=1 src1=1 src2=1
	v_add3_u32 v71 /*v327*/, v110 /*v366*/, v71 /*v327*/, v86 /*v342*/
	v_mul_i32_i24_e32 v86 /*v342*/, v0 /*v256*/, v37 /*v293*/
	s_set_vgpr_msb 64                       ;  msbs: dst=1 src0=0 src1=0 src2=0
	v_bfe_u32 v34 /*v290*/, v94, 24, 4
	s_set_vgpr_msb 0x55                     ;  msbs: dst=1 src0=1 src1=1 src2=1
	v_add3_u32 v51 /*v307*/, v51 /*v307*/, v107 /*v363*/, v108 /*v364*/
	v_mul_i32_i24_e32 v107 /*v363*/, v126 /*v382*/, v37 /*v293*/
	s_set_vgpr_msb 0x41                     ;  msbs: dst=1 src0=1 src1=0 src2=0
	v_mul_i32_i24_e32 v108 /*v364*/, v129 /*v385*/, v240
	s_set_vgpr_msb 0x55                     ;  msbs: dst=1 src0=1 src1=1 src2=1
	v_add3_u32 v86 /*v342*/, v112 /*v368*/, v103 /*v359*/, v86 /*v342*/
	s_set_vgpr_msb 64                       ;  msbs: dst=1 src0=0 src1=0 src2=0
	v_bfe_u32 v103 /*v359*/, v94, 8, 4
	s_set_vgpr_msb 1                        ;  msbs: dst=0 src0=1 src1=0 src2=0
	v_add3_u32 v140, v97 /*v353*/, v140, v146
	s_set_vgpr_msb 0                        ;  msbs: dst=0 src0=0 src1=0 src2=0
	v_bfe_i32 v146, v109, 8, 8
	s_set_vgpr_msb 64                       ;  msbs: dst=1 src0=0 src1=0 src2=0
	v_ashrrev_i32_e32 v97 /*v353*/, 24, v109
	s_set_vgpr_msb 0x55                     ;  msbs: dst=1 src0=1 src1=1 src2=1
	v_add3_u32 v50 /*v306*/, v50 /*v306*/, v108 /*v364*/, v107 /*v363*/
	v_mul_i32_i24_e32 v107 /*v363*/, v130 /*v386*/, v37 /*v293*/
	s_set_vgpr_msb 0x41                     ;  msbs: dst=1 src0=1 src1=0 src2=0
	v_mul_i32_i24_e32 v108 /*v364*/, v63 /*v319*/, v240
	s_set_vgpr_msb 0x44                     ;  msbs: dst=1 src0=0 src1=1 src2=0
	v_mul_i32_i24_e32 v39 /*v295*/, v146, v103 /*v359*/
	s_set_vgpr_msb 0x45                     ;  msbs: dst=1 src0=1 src1=1 src2=0
	v_mul_i32_i24_e32 v41 /*v297*/, v97 /*v353*/, v34 /*v290*/
	s_set_vgpr_msb 5                        ;  msbs: dst=0 src0=1 src1=1 src2=0
	v_mul_i32_i24_e32 v84, v12 /*v268*/, v25 /*v281*/
	s_set_vgpr_msb 0x55                     ;  msbs: dst=1 src0=1 src1=1 src2=1
	v_mul_i32_i24_e32 v12 /*v268*/, v12 /*v268*/, v128 /*v384*/
	v_add3_u32 v52 /*v308*/, v52 /*v308*/, v108 /*v364*/, v107 /*v363*/
	v_mul_i32_i24_e32 v107 /*v363*/, v126 /*v382*/, v85 /*v341*/
	v_mul_i32_i24_e32 v108 /*v364*/, v129 /*v385*/, v91 /*v347*/
	s_set_vgpr_msb 20                       ;  msbs: dst=0 src0=0 src1=1 src2=1
	v_add3_u32 v108, v108, v41 /*v297*/, v39 /*v295*/
	s_set_vgpr_msb 0x44                     ;  msbs: dst=1 src0=0 src1=1 src2=0
	v_mul_i32_i24_e32 v39 /*v295*/, v146, v37 /*v293*/
	s_set_vgpr_msb 0x41                     ;  msbs: dst=1 src0=1 src1=0 src2=0
	v_mul_i32_i24_e32 v41 /*v297*/, v97 /*v353*/, v240
	s_set_vgpr_msb 4                        ;  msbs: dst=0 src0=0 src1=1 src2=0
	v_add3_u32 v85, v107, v4 /*v260*/, v85
	s_set_vgpr_msb 0x55                     ;  msbs: dst=1 src0=1 src1=1 src2=1
	v_add3_u32 v55 /*v311*/, v55 /*v311*/, v108 /*v364*/, v107 /*v363*/
	v_mul_i32_i24_e32 v107 /*v363*/, v130 /*v386*/, v85 /*v341*/
	v_mul_i32_i24_e32 v108 /*v364*/, v63 /*v319*/, v91 /*v347*/
	v_add3_u32 v39 /*v295*/, v43 /*v299*/, v41 /*v297*/, v39 /*v295*/
	s_set_vgpr_msb 0x44                     ;  msbs: dst=1 src0=0 src1=1 src2=0
	v_mul_i32_i24_e32 v41 /*v297*/, v146, v85 /*v341*/
	s_set_vgpr_msb 0x55                     ;  msbs: dst=1 src0=1 src1=1 src2=1
	v_mul_i32_i24_e32 v43 /*v299*/, v97 /*v353*/, v91 /*v347*/
	v_mul_i32_i24_e32 v58 /*v314*/, v130 /*v386*/, v103 /*v359*/
	v_add3_u32 v72 /*v328*/, v72 /*v328*/, v108 /*v364*/, v107 /*v363*/
	v_mul_i32_i24_e32 v107 /*v363*/, v0 /*v256*/, v103 /*v359*/
	v_mul_i32_i24_e32 v108 /*v364*/, v1 /*v257*/, v34 /*v290*/
	v_add3_u32 v41 /*v297*/, v53 /*v309*/, v43 /*v299*/, v41 /*v297*/
	v_mul_i32_i24_e32 v53 /*v309*/, v116 /*v372*/, v25 /*v281*/
	v_mul_i32_i24_e32 v25 /*v281*/, v13 /*v269*/, v120 /*v376*/
	;; [unrolled: 1-line block ×3, first 2 shown]
	v_add3_u32 v107 /*v363*/, v115 /*v371*/, v108 /*v364*/, v107 /*v363*/
	s_set_vgpr_msb 0x54                     ;  msbs: dst=1 src0=0 src1=1 src2=1
	v_bfe_i32 v115 /*v371*/, v123, 8, 8
	v_bfe_i32 v28 /*v284*/, v123, 0, 8
	v_add3_u32 v12 /*v268*/, v86, v12 /*v268*/, v25 /*v281*/
	s_set_vgpr_msb 5                        ;  msbs: dst=0 src0=1 src1=1 src2=0
	v_mul_i32_i24_e32 v86, v13 /*v269*/, v87 /*v343*/
	s_set_vgpr_msb 0                        ;  msbs: dst=0 src0=0 src1=0 src2=0
	v_ashrrev_i32_e32 v123, 24, v123
	s_set_vgpr_msb 0x55                     ;  msbs: dst=1 src0=1 src1=1 src2=1
	v_add3_u32 v58 /*v314*/, v59 /*v315*/, v81 /*v337*/, v58 /*v314*/
	s_set_vgpr_msb 64                       ;  msbs: dst=1 src0=0 src1=0 src2=0
	v_dual_ashrrev_i32 v81 /*v337*/, 24, v113 :: v_dual_ashrrev_i32 v120 /*v376*/, 24, v111
	v_add3_u32 v13 /*v269*/, v85, v84, v86
	s_set_vgpr_msb 5                        ;  msbs: dst=0 src0=1 src1=1 src2=0
	v_mul_i32_i24_e32 v84, v115 /*v371*/, v75 /*v331*/
	s_set_vgpr_msb 64                       ;  msbs: dst=1 src0=0 src1=0 src2=0
	v_bfe_i32 v25 /*v281*/, v111, 8, 8
	s_set_vgpr_msb 4                        ;  msbs: dst=0 src0=0 src1=1 src2=0
	v_mul_i32_i24_e32 v85, v123, v5 /*v261*/
	s_set_vgpr_msb 64                       ;  msbs: dst=1 src0=0 src1=0 src2=0
	v_bfe_i32 v59 /*v315*/, v113, 8, 8
	s_set_vgpr_msb 0x45                     ;  msbs: dst=1 src0=1 src1=1 src2=0
	v_mul_i32_i24_e32 v68 /*v324*/, v81 /*v337*/, v34 /*v290*/
	s_set_vgpr_msb 5                        ;  msbs: dst=0 src0=1 src1=1 src2=0
	v_mad_i32_i24 v84, v28 /*v284*/, v7 /*v263*/, v84
	v_mul_i32_i24_e32 v86, v45 /*v301*/, v87 /*v343*/
	s_set_vgpr_msb 64                       ;  msbs: dst=1 src0=0 src1=0 src2=0
	v_bfe_i32 v128 /*v384*/, v114, 0, 8
	s_set_vgpr_msb 0x55                     ;  msbs: dst=1 src0=1 src1=1 src2=1
	v_mul_i32_i24_e32 v67 /*v323*/, v59 /*v315*/, v103 /*v359*/
	v_add3_u32 v30 /*v286*/, v30 /*v286*/, v35 /*v291*/, v47 /*v303*/
	s_set_vgpr_msb 64                       ;  msbs: dst=1 src0=0 src1=0 src2=0
	v_add3_u32 v133 /*v389*/, v87, v85, v84
	s_set_vgpr_msb 5                        ;  msbs: dst=0 src0=1 src1=1 src2=0
	v_mul_i32_i24_e32 v84, v25 /*v281*/, v103 /*v359*/
	v_mul_i32_i24_e32 v85, v120 /*v376*/, v34 /*v290*/
	s_set_vgpr_msb 0x55                     ;  msbs: dst=1 src0=1 src1=1 src2=1
	v_add3_u32 v60 /*v316*/, v60 /*v316*/, v68 /*v324*/, v67 /*v323*/
	v_mul_i32_i24_e32 v67 /*v323*/, v59 /*v315*/, v37 /*v293*/
	s_set_vgpr_msb 0x41                     ;  msbs: dst=1 src0=1 src1=0 src2=0
	v_mul_i32_i24_e32 v68 /*v324*/, v81 /*v337*/, v240
	s_set_vgpr_msb 64                       ;  msbs: dst=1 src0=0 src1=0 src2=0
	v_bfe_i32 v45 /*v301*/, v113, 0, 8
	s_set_vgpr_msb 0                        ;  msbs: dst=0 src0=0 src1=0 src2=0
	v_add3_u32 v148, v148, v85, v84
	s_set_vgpr_msb 5                        ;  msbs: dst=0 src0=1 src1=1 src2=0
	v_mul_i32_i24_e32 v84, v25 /*v281*/, v37 /*v293*/
	s_set_vgpr_msb 1                        ;  msbs: dst=0 src0=1 src1=0 src2=0
	v_mul_i32_i24_e32 v85, v120 /*v376*/, v240
	s_set_vgpr_msb 0x55                     ;  msbs: dst=1 src0=1 src1=1 src2=1
	v_add3_u32 v62 /*v318*/, v62 /*v318*/, v68 /*v324*/, v67 /*v323*/
	v_mul_i32_i24_e32 v67 /*v323*/, v59 /*v315*/, v85 /*v341*/
	v_mul_i32_i24_e32 v68 /*v324*/, v81 /*v337*/, v91 /*v347*/
	s_set_vgpr_msb 0                        ;  msbs: dst=0 src0=0 src1=0 src2=0
	v_bfe_i32 v113, v113, 16, 8
	s_set_vgpr_msb 0x41                     ;  msbs: dst=1 src0=1 src1=0 src2=0
	v_add3_u32 v11 /*v267*/, v11 /*v267*/, v85, v84
	s_set_vgpr_msb 5                        ;  msbs: dst=0 src0=1 src1=1 src2=0
	v_mul_i32_i24_e32 v84, v25 /*v281*/, v85 /*v341*/
	v_mul_i32_i24_e32 v85, v120 /*v376*/, v91 /*v347*/
	s_set_vgpr_msb 0x55                     ;  msbs: dst=1 src0=1 src1=1 src2=1
	v_add3_u32 v26 /*v282*/, v26 /*v282*/, v68 /*v324*/, v67 /*v323*/
	s_set_vgpr_msb 64                       ;  msbs: dst=1 src0=0 src1=0 src2=0
	v_ashrrev_i32_e32 v67 /*v323*/, 24, v121
	s_set_vgpr_msb 17                       ;  msbs: dst=0 src0=1 src1=0 src2=1
	v_add3_u32 v147, v56 /*v312*/, v147, v53 /*v309*/
	s_set_vgpr_msb 0x45                     ;  msbs: dst=1 src0=1 src1=1 src2=0
	v_mul_i32_i24_e32 v53 /*v309*/, v126 /*v382*/, v103 /*v359*/
	s_set_vgpr_msb 0x41                     ;  msbs: dst=1 src0=1 src1=0 src2=0
	v_add3_u32 v71 /*v327*/, v71 /*v327*/, v85, v84
	s_set_vgpr_msb 0                        ;  msbs: dst=0 src0=0 src1=0 src2=0
	v_mul_i32_i24_e32 v84, v150, v253
	v_mul_i32_i24_e32 v85, v238, v241
	s_set_vgpr_msb 0x45                     ;  msbs: dst=1 src0=1 src1=1 src2=0
	v_mul_i32_i24_e32 v56 /*v312*/, v129 /*v385*/, v34 /*v290*/
	s_set_vgpr_msb 5                        ;  msbs: dst=0 src0=1 src1=1 src2=0
	v_mul_i32_i24_e32 v87, v98 /*v354*/, v91 /*v347*/
	s_set_vgpr_msb 4                        ;  msbs: dst=0 src0=0 src1=1 src2=0
	v_mul_i32_i24_e32 v100, v100, v27 /*v283*/
	v_mul_i32_i24_e32 v98, v98, v87 /*v343*/
	s_set_vgpr_msb 0x41                     ;  msbs: dst=1 src0=1 src1=0 src2=0
	v_add3_u32 v86 /*v342*/, v86 /*v342*/, v84, v85
	s_set_vgpr_msb 4                        ;  msbs: dst=0 src0=0 src1=1 src2=0
	v_mul_i32_i24_e32 v84, v249, v29 /*v285*/
	v_mul_i32_i24_e32 v85, v247, v36 /*v292*/
	s_set_vgpr_msb 64                       ;  msbs: dst=1 src0=0 src1=0 src2=0
	v_bfe_u32 v36 /*v292*/, v94, 16, 4
	s_set_vgpr_msb 0x55                     ;  msbs: dst=1 src0=1 src1=1 src2=1
	v_add3_u32 v53 /*v309*/, v57 /*v313*/, v56 /*v312*/, v53 /*v309*/
	s_set_vgpr_msb 0                        ;  msbs: dst=0 src0=0 src1=0 src2=0
	v_bfe_i32 v111, v111, 16, 8
	s_set_vgpr_msb 64                       ;  msbs: dst=1 src0=0 src1=0 src2=0
	v_bfe_i32 v22 /*v278*/, v127, 0, 8
	s_set_vgpr_msb 0x41                     ;  msbs: dst=1 src0=1 src1=0 src2=0
	v_add3_u32 v29 /*v285*/, v31 /*v287*/, v84, v85
	s_set_vgpr_msb 4                        ;  msbs: dst=0 src0=0 src1=1 src2=0
	v_mul_i32_i24_e32 v84, v150, v65 /*v321*/
	v_mul_i32_i24_e32 v85, v238, v66 /*v322*/
	s_set_vgpr_msb 0                        ;  msbs: dst=0 src0=0 src1=0 src2=0
	v_ashrrev_i32_e32 v107, 24, v127
	s_set_vgpr_msb 64                       ;  msbs: dst=1 src0=0 src1=0 src2=0
	v_bfe_i32 v4 /*v260*/, v125, 0, 8
	v_ashrrev_i32_e32 v108 /*v364*/, 24, v125
	s_set_vgpr_msb 0x45                     ;  msbs: dst=1 src0=1 src1=1 src2=0
	v_mul_i32_i24_e32 v0 /*v256*/, v0 /*v256*/, v123 /*v379*/
	s_set_vgpr_msb 0x41                     ;  msbs: dst=1 src0=1 src1=0 src2=0
	v_add3_u32 v31 /*v287*/, v33 /*v289*/, v84, v85
	s_set_vgpr_msb 0                        ;  msbs: dst=0 src0=0 src1=0 src2=0
	v_mul_i32_i24_e32 v84, v249, v139
	s_set_vgpr_msb 4                        ;  msbs: dst=0 src0=0 src1=1 src2=0
	v_mul_i32_i24_e32 v85, v247, v114 /*v370*/
	s_set_vgpr_msb 64                       ;  msbs: dst=1 src0=0 src1=0 src2=0
	v_dual_ashrrev_i32 v56 /*v312*/, 24, v119 :: v_dual_bitop2_b32 v33 /*v289*/, 15, v94 bitop3:0x40
	v_bfe_i32 v109 /*v365*/, v127, 8, 8
	s_set_vgpr_msb 0                        ;  msbs: dst=0 src0=0 src1=0 src2=0
	v_bfe_i32 v127, v127, 16, 8
	s_set_vgpr_msb 1                        ;  msbs: dst=0 src0=1 src1=0 src2=0
	v_add3_u32 v139, v51 /*v307*/, v84, v85
	v_mul_i32_i24_e32 v84, v77 /*v333*/, v253
	s_set_vgpr_msb 0                        ;  msbs: dst=0 src0=0 src1=0 src2=0
	v_mul_i32_i24_e32 v85, v131, v241
	s_set_vgpr_msb 64                       ;  msbs: dst=1 src0=0 src1=0 src2=0
	v_bfe_i32 v110 /*v366*/, v125, 8, 8
	s_set_vgpr_msb 0                        ;  msbs: dst=0 src0=0 src1=0 src2=0
	v_bfe_i32 v125, v125, 16, 8
	s_set_vgpr_msb 64                       ;  msbs: dst=1 src0=0 src1=0 src2=0
	v_bfe_i32 v114 /*v370*/, v105, 8, 8
	v_bfe_i32 v111 /*v367*/, v117, 8, 8
	s_set_vgpr_msb 0x41                     ;  msbs: dst=1 src0=1 src1=0 src2=0
	v_add3_u32 v50 /*v306*/, v50 /*v306*/, v84, v85
	s_set_vgpr_msb 1                        ;  msbs: dst=0 src0=1 src1=0 src2=0
	v_mul_i32_i24_e32 v84, v132 /*v388*/, v253
	s_set_vgpr_msb 0                        ;  msbs: dst=0 src0=0 src1=0 src2=0
	v_mul_i32_i24_e32 v85, v129, v241
	s_set_vgpr_msb 64                       ;  msbs: dst=1 src0=0 src1=0 src2=0
	v_bfe_i32 v35 /*v291*/, v115, 8, 8
	v_ashrrev_i32_e32 v47 /*v303*/, 24, v115
	s_set_vgpr_msb 1                        ;  msbs: dst=0 src0=1 src1=0 src2=0
	v_mul_i32_i24_e32 v90, v77 /*v333*/, v199
	s_set_vgpr_msb 64                       ;  msbs: dst=1 src0=0 src1=0 src2=0
	v_bfe_i32 v112 /*v368*/, v117, 0, 8
	s_set_vgpr_msb 0x41                     ;  msbs: dst=1 src0=1 src1=0 src2=0
	v_add3_u32 v51 /*v307*/, v52 /*v308*/, v84, v85
	s_set_vgpr_msb 5                        ;  msbs: dst=0 src0=1 src1=1 src2=0
	v_mul_i32_i24_e32 v84, v77 /*v333*/, v65 /*v321*/
	s_set_vgpr_msb 4                        ;  msbs: dst=0 src0=0 src1=1 src2=0
	v_mul_i32_i24_e32 v85, v131, v66 /*v322*/
	v_bfe_i32 v117, v117, 16, 8
	s_set_vgpr_msb 64                       ;  msbs: dst=1 src0=0 src1=0 src2=0
	v_bfe_i32 v68 /*v324*/, v115, 0, 8
	s_set_vgpr_msb 0                        ;  msbs: dst=0 src0=0 src1=0 src2=0
	v_bfe_i32 v115, v115, 16, 8
	s_set_vgpr_msb 0x41                     ;  msbs: dst=1 src0=1 src1=0 src2=0
	v_mul_i32_i24_e32 v190 /*v446*/, v112 /*v368*/, v230
	v_add3_u32 v52 /*v308*/, v55 /*v311*/, v84, v85
	s_set_vgpr_msb 5                        ;  msbs: dst=0 src0=1 src1=1 src2=0
	v_mul_i32_i24_e32 v84, v132 /*v388*/, v65 /*v321*/
	s_set_vgpr_msb 4                        ;  msbs: dst=0 src0=0 src1=1 src2=0
	v_mul_i32_i24_e32 v85, v129, v66 /*v322*/
	s_set_vgpr_msb 0x41                     ;  msbs: dst=1 src0=1 src1=0 src2=0
	v_mul_i32_i24_e32 v191 /*v447*/, v68 /*v324*/, v230
	s_set_vgpr_msb 64                       ;  msbs: dst=1 src0=0 src1=0 src2=0
	v_bfe_i32 v43 /*v299*/, v119, 0, 8
	v_bfe_i32 v57 /*v313*/, v121, 0, 8
	;; [unrolled: 1-line block ×3, first 2 shown]
	s_set_vgpr_msb 0x41                     ;  msbs: dst=1 src0=1 src1=0 src2=0
	v_add3_u32 v55 /*v311*/, v72 /*v328*/, v84, v85
	s_set_vgpr_msb 4                        ;  msbs: dst=0 src0=0 src1=1 src2=0
	v_mul_i32_i24_e32 v84, v150, v33 /*v289*/
	v_mul_i32_i24_e32 v85, v238, v36 /*v292*/
	v_bfe_i32 v119, v119, 16, 8
	s_set_vgpr_msb 64                       ;  msbs: dst=1 src0=0 src1=0 src2=0
	v_bfe_i32 v105 /*v361*/, v121, 8, 8
	s_set_vgpr_msb 0                        ;  msbs: dst=0 src0=0 src1=0 src2=0
	v_bfe_i32 v121, v121, 16, 8
	s_set_vgpr_msb 64                       ;  msbs: dst=1 src0=0 src1=0 src2=0
	v_mul_i32_i24_e32 v193 /*v449*/, v117, v229
	s_set_vgpr_msb 0x41                     ;  msbs: dst=1 src0=1 src1=0 src2=0
	v_add3_u32 v72 /*v328*/, v107 /*v363*/, v84, v85
	s_set_vgpr_msb 5                        ;  msbs: dst=0 src0=1 src1=1 src2=0
	v_mul_i32_i24_e32 v84, v46 /*v302*/, v27 /*v283*/
	s_set_vgpr_msb 4                        ;  msbs: dst=0 src0=0 src1=1 src2=0
	v_mul_i32_i24_e32 v85, v149, v103 /*v359*/
	s_set_vgpr_msb 0x45                     ;  msbs: dst=1 src0=1 src1=1 src2=0
	v_mul_i32_i24_e32 v46 /*v302*/, v101 /*v357*/, v87 /*v343*/
	v_mul_i32_i24_e32 v107 /*v363*/, v131 /*v387*/, v87 /*v343*/
	;; [unrolled: 1-line block ×3, first 2 shown]
	s_set_vgpr_msb 0                        ;  msbs: dst=0 src0=0 src1=0 src2=0
	v_add3_u32 v114, v144, v86, v84
	s_set_vgpr_msb 5                        ;  msbs: dst=0 src0=1 src1=1 src2=0
	v_mul_i32_i24_e32 v84, v98 /*v354*/, v34 /*v290*/
	s_set_vgpr_msb 4                        ;  msbs: dst=0 src0=0 src1=1 src2=0
	v_mul_i32_i24_e32 v86, v149, v37 /*v293*/
	v_add3_u32 v92, v92, v46 /*v302*/, v102
	v_add3_u32 v96, v96, v107 /*v363*/, v104
	s_set_vgpr_msb 5                        ;  msbs: dst=0 src0=1 src1=1 src2=0
	v_mul_i32_i24_e32 v104, v45 /*v301*/, v33 /*v289*/
	s_set_vgpr_msb 0                        ;  msbs: dst=0 src0=0 src1=0 src2=0
	v_add3_u32 v116, v145, v84, v85
	s_set_vgpr_msb 1                        ;  msbs: dst=0 src0=1 src1=0 src2=0
	v_mul_i32_i24_e32 v84, v98 /*v354*/, v240
	s_set_vgpr_msb 0x44                     ;  msbs: dst=1 src0=0 src1=1 src2=0
	v_mul_i32_i24_e32 v107 /*v363*/, v113, v36 /*v292*/
	s_set_vgpr_msb 0x45                     ;  msbs: dst=1 src0=1 src1=1 src2=0
	v_mul_i32_i24_e32 v98 /*v354*/, v113 /*v369*/, v87 /*v343*/
	s_set_vgpr_msb 4                        ;  msbs: dst=0 src0=0 src1=1 src2=0
	v_mul_i32_i24_e32 v144, v249, v27 /*v283*/
	s_set_vgpr_msb 64                       ;  msbs: dst=1 src0=0 src1=0 src2=0
	v_ashrrev_i32_e32 v131 /*v387*/, 24, v101
	s_set_vgpr_msb 1                        ;  msbs: dst=0 src0=1 src1=0 src2=0
	v_add3_u32 v145, v30 /*v286*/, v84, v86
	s_set_vgpr_msb 64                       ;  msbs: dst=1 src0=0 src1=0 src2=0
	v_bfe_i32 v30 /*v286*/, v109, 0, 8
	s_set_vgpr_msb 0                        ;  msbs: dst=0 src0=0 src1=0 src2=0
	v_bfe_i32 v109, v109, 16, 8
	s_set_vgpr_msb 17                       ;  msbs: dst=0 src0=1 src1=0 src2=1
	v_add3_u32 v104, v60 /*v316*/, v104, v107 /*v363*/
	s_set_vgpr_msb 0x41                     ;  msbs: dst=1 src0=1 src1=0 src2=0
	v_mul_i32_i24_e32 v60 /*v316*/, v45 /*v301*/, v253
	s_set_vgpr_msb 64                       ;  msbs: dst=1 src0=0 src1=0 src2=0
	v_mul_i32_i24_e32 v107 /*v363*/, v113, v241
	s_set_vgpr_msb 5                        ;  msbs: dst=0 src0=1 src1=1 src2=0
	v_mul_i32_i24_e32 v102, v30 /*v286*/, v33 /*v289*/
	s_set_vgpr_msb 0x44                     ;  msbs: dst=1 src0=0 src1=1 src2=0
	v_mul_i32_i24_e32 v46 /*v302*/, v109, v36 /*v292*/
	s_set_vgpr_msb 4                        ;  msbs: dst=0 src0=0 src1=1 src2=0
	v_add3_u32 v126, v147, v98 /*v354*/, v126
	s_set_vgpr_msb 5                        ;  msbs: dst=0 src0=1 src1=1 src2=0
	v_mul_i32_i24_e32 v147, v77 /*v333*/, v33 /*v289*/
	s_set_vgpr_msb 0x44                     ;  msbs: dst=1 src0=0 src1=1 src2=0
	v_mul_i32_i24_e32 v98 /*v354*/, v131, v36 /*v292*/
	s_set_vgpr_msb 0x55                     ;  msbs: dst=1 src0=1 src1=1 src2=1
	v_add3_u32 v60 /*v316*/, v62 /*v318*/, v60 /*v316*/, v107 /*v363*/
	s_set_vgpr_msb 16                       ;  msbs: dst=0 src0=0 src1=0 src2=1
	v_add3_u32 v102, v108, v102, v46 /*v302*/
	s_set_vgpr_msb 1                        ;  msbs: dst=0 src0=1 src1=0 src2=0
	v_mul_i32_i24_e32 v108, v30 /*v286*/, v253
	s_set_vgpr_msb 64                       ;  msbs: dst=1 src0=0 src1=0 src2=0
	v_mul_i32_i24_e32 v46 /*v302*/, v109, v241
	s_set_vgpr_msb 0x45                     ;  msbs: dst=1 src0=1 src1=1 src2=0
	v_mul_i32_i24_e32 v62 /*v318*/, v45 /*v301*/, v65 /*v321*/
	s_set_vgpr_msb 0x44                     ;  msbs: dst=1 src0=0 src1=1 src2=0
	v_mul_i32_i24_e32 v107 /*v363*/, v113, v66 /*v322*/
	s_set_vgpr_msb 4                        ;  msbs: dst=0 src0=0 src1=1 src2=0
	v_mul_i32_i24_e32 v86, v149, v85 /*v341*/
	v_mul_i32_i24_e32 v149, v247, v23 /*v279*/
	s_set_vgpr_msb 17                       ;  msbs: dst=0 src0=1 src1=0 src2=1
	v_add3_u32 v108, v39 /*v295*/, v108, v46 /*v302*/
	s_set_vgpr_msb 0x45                     ;  msbs: dst=1 src0=1 src1=1 src2=0
	v_mul_i32_i24_e32 v39 /*v295*/, v30 /*v286*/, v65 /*v321*/
	s_set_vgpr_msb 0x44                     ;  msbs: dst=1 src0=0 src1=1 src2=0
	v_mul_i32_i24_e32 v46 /*v302*/, v109, v66 /*v322*/
	v_bfe_u32 v23 /*v279*/, v94, 4, 4
	s_set_vgpr_msb 17                       ;  msbs: dst=0 src0=1 src1=0 src2=1
	v_add3_u32 v147, v53 /*v309*/, v147, v98 /*v354*/
	s_set_vgpr_msb 64                       ;  msbs: dst=1 src0=0 src1=0 src2=0
	v_ashrrev_i32_e32 v53 /*v309*/, 24, v103
	s_set_vgpr_msb 0x55                     ;  msbs: dst=1 src0=1 src1=1 src2=1
	v_add3_u32 v26 /*v282*/, v26 /*v282*/, v62 /*v318*/, v107 /*v363*/
	v_add3_u32 v39 /*v295*/, v41 /*v297*/, v39 /*v295*/, v46 /*v302*/
	s_set_vgpr_msb 64                       ;  msbs: dst=1 src0=0 src1=0 src2=0
	v_lshrrev_b32_e32 v41 /*v297*/, 28, v94
	v_bfe_i32 v62 /*v318*/, v101, 0, 8
	v_bfe_u32 v27 /*v283*/, v94, 12, 4
	v_bfe_u32 v87 /*v343*/, v94, 20, 4
	s_set_vgpr_msb 1                        ;  msbs: dst=0 src0=1 src1=0 src2=0
	v_add3_u32 v94, v10 /*v266*/, v98, v100
	s_set_vgpr_msb 64                       ;  msbs: dst=1 src0=0 src1=0 src2=0
	v_bfe_i32 v10 /*v266*/, v101, 8, 8
	s_set_vgpr_msb 0                        ;  msbs: dst=0 src0=0 src1=0 src2=0
	v_mul_i32_i24_e32 v98, v249, v135
	s_set_vgpr_msb 4                        ;  msbs: dst=0 src0=0 src1=1 src2=0
	v_mul_i32_i24_e32 v100, v247, v139 /*v395*/
	s_set_vgpr_msb 5                        ;  msbs: dst=0 src0=1 src1=1 src2=0
	v_mul_i32_i24_e32 v101, v155 /*v411*/, v121 /*v377*/
	s_set_vgpr_msb 64                       ;  msbs: dst=1 src0=0 src1=0 src2=0
	v_bfe_i32 v46 /*v302*/, v103, 0, 8
	v_bfe_i32 v107 /*v363*/, v103, 8, 8
	;; [unrolled: 1-line block ×3, first 2 shown]
	s_set_vgpr_msb 1                        ;  msbs: dst=0 src0=1 src1=0 src2=0
	v_add3_u32 v98, v12 /*v268*/, v98, v100
	v_add3_u32 v100, v13 /*v269*/, v144, v149
	s_set_vgpr_msb 5                        ;  msbs: dst=0 src0=1 src1=1 src2=0
	v_add3_u32 v144, v133 /*v389*/, v127 /*v383*/, v101
	s_set_vgpr_msb 4                        ;  msbs: dst=0 src0=0 src1=1 src2=0
	v_mul_i32_i24_e32 v101, v106, v33 /*v289*/
	v_mul_i32_i24_e32 v103, v111, v36 /*v292*/
	;; [unrolled: 1-line block ×3, first 2 shown]
	s_set_vgpr_msb 0x44                     ;  msbs: dst=1 src0=0 src1=1 src2=0
	v_mul_i32_i24_e32 v37 /*v293*/, v233, v37 /*v293*/
	v_mul_i32_i24_e32 v85 /*v341*/, v233, v85 /*v341*/
	s_set_vgpr_msb 5                        ;  msbs: dst=0 src0=1 src1=1 src2=0
	v_add3_u32 v124, v6 /*v262*/, v101 /*v357*/, v124
	s_set_vgpr_msb 0                        ;  msbs: dst=0 src0=0 src1=0 src2=0
	v_add3_u32 v101, v148, v101, v103
	v_mul_i32_i24_e32 v103, v106, v253
	v_mul_i32_i24_e32 v148, v111, v241
	s_set_vgpr_msb 0x45                     ;  msbs: dst=1 src0=1 src1=1 src2=0
	v_mul_i32_i24_e32 v6 /*v262*/, v132 /*v388*/, v33 /*v289*/
	s_set_vgpr_msb 0x44                     ;  msbs: dst=1 src0=0 src1=1 src2=0
	v_mul_i32_i24_e32 v101 /*v357*/, v129, v36 /*v292*/
	s_set_vgpr_msb 0                        ;  msbs: dst=0 src0=0 src1=0 src2=0
	v_add3_u32 v140, v140, v87, v86
	v_bfe_i32 v249, v89, 8, 8
	s_set_vgpr_msb 1                        ;  msbs: dst=0 src0=1 src1=0 src2=0
	v_add3_u32 v103, v11 /*v267*/, v103, v148
	s_set_vgpr_msb 4                        ;  msbs: dst=0 src0=0 src1=1 src2=0
	v_mul_i32_i24_e32 v148, v106, v65 /*v321*/
	s_set_vgpr_msb 64                       ;  msbs: dst=1 src0=0 src1=0 src2=0
	v_mul_i32_i24_e32 v11 /*v267*/, v155, v197
	s_set_vgpr_msb 0x55                     ;  msbs: dst=1 src0=1 src1=1 src2=1
	v_add3_u32 v6 /*v262*/, v58 /*v314*/, v6 /*v262*/, v101 /*v357*/
	s_set_vgpr_msb 64                       ;  msbs: dst=1 src0=0 src1=0 src2=0
	v_ashrrev_i32_e32 v58 /*v314*/, 24, v105
	v_ashrrev_i32_e32 v12 /*v268*/, 24, v89
	s_set_vgpr_msb 1                        ;  msbs: dst=0 src0=1 src1=0 src2=0
	v_add3_u32 v149, v71 /*v327*/, v148, v149
	s_set_vgpr_msb 0                        ;  msbs: dst=0 src0=0 src1=0 src2=0
	v_mul_i32_i24_e32 v148, v154, v198
	s_set_vgpr_msb 64                       ;  msbs: dst=1 src0=0 src1=0 src2=0
	v_bfe_i32 v127 /*v383*/, v89, 0, 8
	v_bfe_i32 v13 /*v269*/, v91, 8, 8
	v_ashrrev_i32_e32 v71 /*v327*/, 24, v91
	v_bfe_i32 v98 /*v354*/, v105, 0, 8
	s_set_vgpr_msb 0x45                     ;  msbs: dst=1 src0=1 src1=1 src2=0
	v_add3_u32 v11 /*v267*/, v86 /*v342*/, v11 /*v267*/, v148
	s_set_vgpr_msb 0                        ;  msbs: dst=0 src0=0 src1=0 src2=0
	v_mul_i32_i24_e32 v148, v234, v253
	s_set_vgpr_msb 64                       ;  msbs: dst=1 src0=0 src1=0 src2=0
	v_mul_i32_i24_e32 v101 /*v357*/, v234, v199
	s_set_vgpr_msb 1                        ;  msbs: dst=0 src0=1 src1=0 src2=0
	v_mul_i32_i24_e32 v88, v30 /*v286*/, v199
	s_set_vgpr_msb 0x44                     ;  msbs: dst=1 src0=0 src1=1 src2=0
	v_ashrrev_i32_e32 v86 /*v342*/, 24, v3 /*v259*/
	v_bfe_i32 v119 /*v375*/, v105, 16, 8
	s_set_vgpr_msb 0x45                     ;  msbs: dst=1 src0=1 src1=1 src2=0
	v_add3_u32 v29 /*v285*/, v29 /*v285*/, v37 /*v293*/, v148
	s_set_vgpr_msb 4                        ;  msbs: dst=0 src0=0 src1=1 src2=0
	v_mul_i32_i24_e32 v148, v154, v99 /*v355*/
	s_set_vgpr_msb 0x44                     ;  msbs: dst=1 src0=0 src1=1 src2=0
	v_mul_i32_i24_e32 v37 /*v293*/, v155, v100 /*v356*/
	s_set_vgpr_msb 0                        ;  msbs: dst=0 src0=0 src1=0 src2=0
	v_mul_i32_i24_e32 v105, v204, v231
	s_set_vgpr_msb 64                       ;  msbs: dst=1 src0=0 src1=0 src2=0
	v_bfe_i32 v133 /*v389*/, v99, 0, 8
	s_set_vgpr_msb 0                        ;  msbs: dst=0 src0=0 src1=0 src2=0
	v_bfe_u32 v135, v95, 8, 4
	v_bfe_u32 v247, v95, 24, 4
	s_set_vgpr_msb 0x45                     ;  msbs: dst=1 src0=1 src1=1 src2=0
	v_add3_u32 v31 /*v287*/, v31 /*v287*/, v37 /*v293*/, v148
	s_set_vgpr_msb 4                        ;  msbs: dst=0 src0=0 src1=1 src2=0
	v_mul_i32_i24_e32 v148, v234, v65 /*v321*/
	s_set_vgpr_msb 64                       ;  msbs: dst=1 src0=0 src1=0 src2=0
	v_bfe_u32 v139 /*v395*/, v95, 12, 4
	v_mul_i32_i24_e32 v37 /*v293*/, v202, v203
	s_set_vgpr_msb 0x41                     ;  msbs: dst=1 src0=1 src1=0 src2=0
	v_mul_i32_i24_e32 v189 /*v445*/, v127 /*v383*/, v230
	s_set_vgpr_msb 1                        ;  msbs: dst=0 src0=1 src1=0 src2=0
	v_cvt_f32_f16_e64 v85, v14 /*v270*/
	s_set_vgpr_msb 4                        ;  msbs: dst=0 src0=0 src1=1 src2=0
	v_add3_u32 v139, v139, v85 /*v341*/, v148
	s_set_vgpr_msb 1                        ;  msbs: dst=0 src0=1 src1=0 src2=0
	v_mul_i32_i24_e32 v148, v22 /*v278*/, v198
	s_set_vgpr_msb 64                       ;  msbs: dst=1 src0=0 src1=0 src2=0
	v_mul_i32_i24_e32 v85 /*v341*/, v107, v197
	s_set_vgpr_msb 0x44                     ;  msbs: dst=1 src0=0 src1=1 src2=0
	v_lshrrev_b32_e32 v14 /*v270*/, 16, v14 /*v270*/
	s_set_vgpr_msb 1                        ;  msbs: dst=0 src0=1 src1=0 src2=0
	v_cvt_f32_f16_e64 v84, v16 /*v272*/
	s_set_vgpr_msb 0x44                     ;  msbs: dst=1 src0=0 src1=1 src2=0
	v_lshrrev_b32_e32 v16 /*v272*/, 16, v16 /*v272*/
	s_set_vgpr_msb 1                        ;  msbs: dst=0 src0=1 src1=0 src2=0
	v_cvt_f32_f16_e64 v87, v17 /*v273*/
	s_set_vgpr_msb 0x45                     ;  msbs: dst=1 src0=1 src1=1 src2=0
	v_add3_u32 v50 /*v306*/, v50 /*v306*/, v85 /*v341*/, v148
	s_set_vgpr_msb 1                        ;  msbs: dst=0 src0=1 src1=0 src2=0
	v_mul_i32_i24_e32 v148, v4 /*v260*/, v198
	s_set_vgpr_msb 0x41                     ;  msbs: dst=1 src0=1 src1=0 src2=0
	v_mul_i32_i24_e32 v85 /*v341*/, v108 /*v364*/, v197
	s_set_vgpr_msb 1                        ;  msbs: dst=0 src0=1 src1=0 src2=0
	v_cvt_f32_f16_e64 v86, v20 /*v276*/
	s_set_vgpr_msb 0x44                     ;  msbs: dst=1 src0=0 src1=1 src2=0
	v_dual_lshrrev_b32 v17 /*v273*/, 16, v17 /*v273*/ :: v_dual_lshrrev_b32 v20 /*v276*/, 16, v20 /*v276*/
	s_set_vgpr_msb 0x41                     ;  msbs: dst=1 src0=1 src1=0 src2=0
	v_mul_i32_i24_e32 v77 /*v333*/, v49 /*v305*/, v133
	s_set_vgpr_msb 0x45                     ;  msbs: dst=1 src0=1 src1=1 src2=0
	v_add3_u32 v51 /*v307*/, v51 /*v307*/, v85 /*v341*/, v148
	s_set_vgpr_msb 5                        ;  msbs: dst=0 src0=1 src1=1 src2=0
	v_mul_i32_i24_e32 v148, v22 /*v278*/, v99 /*v355*/
	s_set_vgpr_msb 0x44                     ;  msbs: dst=1 src0=0 src1=1 src2=0
	v_mul_i32_i24_e32 v85 /*v341*/, v107, v100 /*v356*/
	s_set_vgpr_msb 64                       ;  msbs: dst=1 src0=0 src1=0 src2=0
	v_mul_i32_i24_e32 v194 /*v450*/, v115, v229
	s_set_vgpr_msb 0                        ;  msbs: dst=0 src0=0 src1=0 src2=0
	v_cvt_f32_i32_e32 v144, v144
	s_set_vgpr_msb 0x45                     ;  msbs: dst=1 src0=1 src1=1 src2=0
	v_add3_u32 v52 /*v308*/, v52 /*v308*/, v85 /*v341*/, v148
	s_set_vgpr_msb 5                        ;  msbs: dst=0 src0=1 src1=1 src2=0
	v_mul_i32_i24_e32 v148, v4 /*v260*/, v99 /*v355*/
	s_set_vgpr_msb 0x45                     ;  msbs: dst=1 src0=1 src1=1 src2=0
	v_mul_i32_i24_e32 v85 /*v341*/, v108 /*v364*/, v100 /*v356*/
	s_delay_alu instid0(VALU_DEP_1)
	v_add3_u32 v55 /*v311*/, v55 /*v311*/, v85 /*v341*/, v148
	s_set_vgpr_msb 4                        ;  msbs: dst=0 src0=0 src1=1 src2=0
	v_mul_i32_i24_e32 v148, v154, v23 /*v279*/
	s_set_vgpr_msb 0x44                     ;  msbs: dst=1 src0=0 src1=1 src2=0
	v_mul_i32_i24_e32 v85 /*v341*/, v155, v41 /*v297*/
	s_set_vgpr_msb 0x45                     ;  msbs: dst=1 src0=1 src1=1 src2=0
	s_delay_alu instid0(VALU_DEP_1)
	v_add3_u32 v72 /*v328*/, v72 /*v328*/, v85 /*v341*/, v148
	s_set_vgpr_msb 1                        ;  msbs: dst=0 src0=1 src1=0 src2=0
	v_mul_i32_i24_e32 v148, v1 /*v257*/, v239
	s_set_vgpr_msb 64                       ;  msbs: dst=1 src0=0 src1=0 src2=0
	v_bfe_u32 v1 /*v257*/, v95, 16, 4
	s_set_vgpr_msb 0x41                     ;  msbs: dst=1 src0=1 src1=0 src2=0
	v_bfe_i32 v85 /*v341*/, v3 /*v259*/, 8, 8
	s_set_vgpr_msb 16                       ;  msbs: dst=0 src0=0 src1=0 src2=1
	v_add3_u32 v114, v114, v148, v0 /*v256*/
	s_set_vgpr_msb 5                        ;  msbs: dst=0 src0=1 src1=1 src2=0
	v_mul_i32_i24_e32 v148, v102 /*v358*/, v33 /*v289*/
	s_set_vgpr_msb 0x45                     ;  msbs: dst=1 src0=1 src1=1 src2=0
	v_mul_i32_i24_e32 v0 /*v256*/, v106 /*v362*/, v36 /*v292*/
	s_set_vgpr_msb 16                       ;  msbs: dst=0 src0=0 src1=0 src2=1
	s_delay_alu instid0(VALU_DEP_1)
	v_add3_u32 v116, v116, v148, v0 /*v256*/
	s_set_vgpr_msb 1                        ;  msbs: dst=0 src0=1 src1=0 src2=0
	v_mul_i32_i24_e32 v148, v102 /*v358*/, v253
	v_mul_i32_i24_e32 v253, v106 /*v362*/, v241
	s_set_vgpr_msb 64                       ;  msbs: dst=1 src0=0 src1=0 src2=0
	v_and_b32_e32 v0 /*v256*/, 15, v95
	s_set_vgpr_msb 0                        ;  msbs: dst=0 src0=0 src1=0 src2=0
	s_delay_alu instid0(VALU_DEP_2)
	v_add3_u32 v253, v145, v148, v253
	s_set_vgpr_msb 5                        ;  msbs: dst=0 src0=1 src1=1 src2=0
	v_mul_i32_i24_e32 v145, v102 /*v358*/, v65 /*v321*/
	s_set_vgpr_msb 64                       ;  msbs: dst=1 src0=0 src1=0 src2=0
	v_bfe_i32 v65 /*v321*/, v89, 16, 8
	s_set_vgpr_msb 5                        ;  msbs: dst=0 src0=1 src1=1 src2=0
	v_mul_i32_i24_e32 v89, v106 /*v362*/, v66 /*v322*/
	s_set_vgpr_msb 64                       ;  msbs: dst=1 src0=0 src1=0 src2=0
	v_bfe_i32 v102 /*v358*/, v91, 16, 8
	s_set_vgpr_msb 0                        ;  msbs: dst=0 src0=0 src1=0 src2=0
	v_mul_i32_i24_e32 v148, v227, v225
	s_set_vgpr_msb 0x41                     ;  msbs: dst=1 src0=1 src1=0 src2=0
	v_mul_i32_i24_e32 v192 /*v448*/, v65 /*v321*/, v229
	s_set_vgpr_msb 0                        ;  msbs: dst=0 src0=0 src1=0 src2=0
	v_add3_u32 v89, v140, v145, v89
	v_bfe_i32 v140, v91, 0, 8
	s_set_vgpr_msb 1                        ;  msbs: dst=0 src0=1 src1=0 src2=0
	v_mul_i32_i24_e32 v91, v97 /*v353*/, v239
	s_set_vgpr_msb 4                        ;  msbs: dst=0 src0=0 src1=1 src2=0
	v_mul_i32_i24_e32 v145, v146, v123 /*v379*/
	s_set_vgpr_msb 5                        ;  msbs: dst=0 src0=1 src1=1 src2=0
	v_mul_i32_i24_e32 v146, v126 /*v382*/, v123 /*v379*/
	s_set_vgpr_msb 64                       ;  msbs: dst=1 src0=0 src1=0 src2=0
	v_mul_i32_i24_e32 v97 /*v353*/, v217, v200
	s_set_vgpr_msb 0x41                     ;  msbs: dst=1 src0=1 src1=0 src2=0
	v_bfe_i32 v126 /*v382*/, v3 /*v259*/, 0, 8
	v_bfe_i32 v3 /*v259*/, v3 /*v259*/, 16, 8
	s_set_vgpr_msb 0                        ;  msbs: dst=0 src0=0 src1=0 src2=0
	v_add3_u32 v91, v92, v91, v145
	s_set_vgpr_msb 5                        ;  msbs: dst=0 src0=1 src1=1 src2=0
	v_mul_i32_i24_e32 v92, v46 /*v302*/, v23 /*v279*/
	v_mul_i32_i24_e32 v145, v53 /*v309*/, v41 /*v297*/
	s_set_vgpr_msb 0x41                     ;  msbs: dst=1 src0=1 src1=0 src2=0
	v_mul_i32_i24_e32 v148 /*v404*/, v126 /*v382*/, v230
	v_mul_i32_i24_e32 v195 /*v451*/, v102 /*v358*/, v229
	;; [unrolled: 1-line block ×3, first 2 shown]
	s_set_vgpr_msb 0                        ;  msbs: dst=0 src0=0 src1=0 src2=0
	v_add3_u32 v92, v102, v145, v92
	s_set_vgpr_msb 1                        ;  msbs: dst=0 src0=1 src1=0 src2=0
	v_mul_i32_i24_e32 v102, v46 /*v302*/, v198
	v_mul_i32_i24_e32 v145, v53 /*v309*/, v197
	s_set_vgpr_msb 0                        ;  msbs: dst=0 src0=0 src1=0 src2=0
	s_delay_alu instid0(VALU_DEP_1) | instskip(SKIP_4) | instid1(VALU_DEP_1)
	v_add3_u32 v102, v108, v145, v102
	s_set_vgpr_msb 5                        ;  msbs: dst=0 src0=1 src1=1 src2=0
	v_mul_i32_i24_e32 v108, v46 /*v302*/, v99 /*v355*/
	v_mul_i32_i24_e32 v145, v53 /*v309*/, v100 /*v356*/
	s_set_vgpr_msb 1                        ;  msbs: dst=0 src0=1 src1=0 src2=0
	v_add3_u32 v108, v39 /*v295*/, v145, v108
	v_mul_i32_i24_e32 v145, v129 /*v385*/, v239
	s_set_vgpr_msb 64                       ;  msbs: dst=1 src0=0 src1=0 src2=0
	v_ashrrev_i32_e32 v129 /*v385*/, 24, v97
	v_mul_i32_i24_e32 v39 /*v295*/, v216, v211
	s_set_vgpr_msb 0                        ;  msbs: dst=0 src0=0 src1=0 src2=0
	v_add3_u32 v126, v126, v145, v146
	s_set_vgpr_msb 5                        ;  msbs: dst=0 src0=1 src1=1 src2=0
	v_mul_i32_i24_e32 v145, v22 /*v278*/, v23 /*v279*/
	s_set_vgpr_msb 4                        ;  msbs: dst=0 src0=0 src1=1 src2=0
	v_mul_i32_i24_e32 v146, v107, v41 /*v297*/
	s_set_vgpr_msb 0                        ;  msbs: dst=0 src0=0 src1=0 src2=0
	v_mul_i32_i24_e32 v107, v107, v200
	s_set_vgpr_msb 64                       ;  msbs: dst=1 src0=0 src1=0 src2=0
	s_delay_alu instid0(VALU_DEP_2)
	v_add3_u32 v106 /*v362*/, v147, v146, v145
	s_set_vgpr_msb 1                        ;  msbs: dst=0 src0=1 src1=0 src2=0
	v_mul_i32_i24_e32 v145, v63 /*v319*/, v239
	s_set_vgpr_msb 5                        ;  msbs: dst=0 src0=1 src1=1 src2=0
	v_mul_i32_i24_e32 v146, v130 /*v386*/, v123 /*v379*/
	s_set_vgpr_msb 64                       ;  msbs: dst=1 src0=0 src1=0 src2=0
	v_ashrrev_i32_e32 v130 /*v386*/, 24, v93
	v_bfe_i32 v63 /*v319*/, v97, 0, 8
	s_set_vgpr_msb 1                        ;  msbs: dst=0 src0=1 src1=0 src2=0
	v_mul_i32_i24_e32 v97, v119 /*v375*/, v153
	s_set_vgpr_msb 0                        ;  msbs: dst=0 src0=0 src1=0 src2=0
	v_mul_i32_i24_e32 v147, v228, v229
	v_add3_u32 v124, v124, v145, v146
	s_set_vgpr_msb 5                        ;  msbs: dst=0 src0=1 src1=1 src2=0
	v_mul_i32_i24_e32 v145, v4 /*v260*/, v23 /*v279*/
	v_mul_i32_i24_e32 v146, v108 /*v364*/, v41 /*v297*/
	s_set_vgpr_msb 0x41                     ;  msbs: dst=1 src0=1 src1=0 src2=0
	s_delay_alu instid0(VALU_DEP_1)
	v_add3_u32 v6 /*v262*/, v6 /*v262*/, v146, v145
	s_set_vgpr_msb 1                        ;  msbs: dst=0 src0=1 src1=0 src2=0
	v_mul_i32_i24_e32 v145, v81 /*v337*/, v239
	s_set_vgpr_msb 5                        ;  msbs: dst=0 src0=1 src1=1 src2=0
	v_mul_i32_i24_e32 v146, v59 /*v315*/, v123 /*v379*/
	s_set_vgpr_msb 64                       ;  msbs: dst=1 src0=0 src1=0 src2=0
	v_bfe_u32 v81 /*v337*/, v95, 4, 4
	s_set_vgpr_msb 0                        ;  msbs: dst=0 src0=0 src1=0 src2=0
	s_delay_alu instid0(VALU_DEP_2) | instskip(SKIP_4) | instid1(VALU_DEP_1)
	v_add3_u32 v96, v96, v145, v146
	s_set_vgpr_msb 5                        ;  msbs: dst=0 src0=1 src1=1 src2=0
	v_mul_i32_i24_e32 v145, v98 /*v354*/, v23 /*v279*/
	v_mul_i32_i24_e32 v146, v58 /*v314*/, v41 /*v297*/
	s_set_vgpr_msb 0                        ;  msbs: dst=0 src0=0 src1=0 src2=0
	v_add3_u32 v104, v104, v146, v145
	s_set_vgpr_msb 1                        ;  msbs: dst=0 src0=1 src1=0 src2=0
	v_mul_i32_i24_e32 v145, v98 /*v354*/, v198
	v_mul_i32_i24_e32 v146, v58 /*v314*/, v197
	s_set_vgpr_msb 0x41                     ;  msbs: dst=1 src0=1 src1=0 src2=0
	s_delay_alu instid0(VALU_DEP_1)
	v_add3_u32 v59 /*v315*/, v60 /*v316*/, v146, v145
	s_set_vgpr_msb 5                        ;  msbs: dst=0 src0=1 src1=1 src2=0
	v_mul_i32_i24_e32 v145, v98 /*v354*/, v99 /*v355*/
	v_mul_i32_i24_e32 v146, v58 /*v314*/, v100 /*v356*/
	s_set_vgpr_msb 64                       ;  msbs: dst=1 src0=0 src1=0 src2=0
	v_mul_i32_i24_e32 v60 /*v316*/, v224, v230
	s_set_vgpr_msb 0x41                     ;  msbs: dst=1 src0=1 src1=0 src2=0
	s_delay_alu instid0(VALU_DEP_2)
	v_add3_u32 v26 /*v282*/, v26 /*v282*/, v146, v145
	s_set_vgpr_msb 1                        ;  msbs: dst=0 src0=1 src1=0 src2=0
	v_mul_i32_i24_e32 v145, v120 /*v376*/, v239
	s_set_vgpr_msb 5                        ;  msbs: dst=0 src0=1 src1=1 src2=0
	v_mul_i32_i24_e32 v146, v25 /*v281*/, v123 /*v379*/
	s_set_vgpr_msb 64                       ;  msbs: dst=1 src0=0 src1=0 src2=0
	v_bfe_i32 v25 /*v281*/, v93, 0, 8
	s_set_vgpr_msb 4                        ;  msbs: dst=0 src0=0 src1=1 src2=0
	v_mul_i32_i24_e32 v93, v233, v123 /*v379*/
	s_set_vgpr_msb 64                       ;  msbs: dst=1 src0=0 src1=0 src2=0
	v_lshrrev_b32_e32 v120 /*v376*/, 28, v95
	s_set_vgpr_msb 0                        ;  msbs: dst=0 src0=0 src1=0 src2=0
	v_mul_i32_i24_e32 v95, v113, v231
	v_add3_u32 v239, v94, v145, v146
	s_set_vgpr_msb 4                        ;  msbs: dst=0 src0=0 src1=1 src2=0
	v_mul_i32_i24_e32 v94, v234, v33 /*v289*/
	v_mul_i32_i24_e32 v145, v233, v103 /*v359*/
	s_set_vgpr_msb 16                       ;  msbs: dst=0 src0=0 src1=0 src2=1
	v_add3_u32 v233, v100, v93, v101 /*v357*/
	s_set_vgpr_msb 5                        ;  msbs: dst=0 src0=1 src1=1 src2=0
	v_mul_i32_i24_e32 v93, v62 /*v318*/, v23 /*v279*/
	s_set_vgpr_msb 0                        ;  msbs: dst=0 src0=0 src1=0 src2=0
	v_mul_i32_i24_e32 v100, v106, v199
	s_set_vgpr_msb 64                       ;  msbs: dst=1 src0=0 src1=0 src2=0
	v_ashrrev_i32_e32 v103 /*v359*/, 24, v99
	s_set_vgpr_msb 0                        ;  msbs: dst=0 src0=0 src1=0 src2=0
	v_add3_u32 v234, v98, v145, v94
	s_set_vgpr_msb 5                        ;  msbs: dst=0 src0=1 src1=1 src2=0
	v_mul_i32_i24_e32 v94, v131 /*v387*/, v41 /*v297*/
	v_mul_i32_i24_e32 v98, v114 /*v370*/, v83 /*v339*/
	;; [unrolled: 1-line block ×5, first 2 shown]
	s_set_vgpr_msb 64                       ;  msbs: dst=1 src0=0 src1=0 src2=0
	v_add3_u32 v33 /*v289*/, v101, v94, v93
	s_set_vgpr_msb 1                        ;  msbs: dst=0 src0=1 src1=0 src2=0
	v_mul_i32_i24_e32 v93, v62 /*v318*/, v198
	v_mul_i32_i24_e32 v94, v131 /*v387*/, v197
	s_set_vgpr_msb 0                        ;  msbs: dst=0 src0=0 src1=0 src2=0
	v_mul_i32_i24_e32 v101, v111, v231
	s_set_vgpr_msb 1                        ;  msbs: dst=0 src0=1 src1=0 src2=0
	v_add3_u32 v111, v26 /*v282*/, v98, v99
	s_set_vgpr_msb 0                        ;  msbs: dst=0 src0=0 src1=0 src2=0
	v_cvt_f32_f16_e64 v98, v209
	v_cvt_f32_f16_e64 v99, v212
	s_set_vgpr_msb 64                       ;  msbs: dst=1 src0=0 src1=0 src2=0
	v_add3_u32 v101 /*v357*/, v103, v94, v93
	s_set_vgpr_msb 5                        ;  msbs: dst=0 src0=1 src1=1 src2=0
	v_mul_i32_i24_e32 v93, v62 /*v318*/, v99 /*v355*/
	v_mul_i32_i24_e32 v94, v131 /*v387*/, v100 /*v356*/
	s_set_vgpr_msb 4                        ;  msbs: dst=0 src0=0 src1=1 src2=0
	v_mul_i32_i24_e32 v103, v204, v36 /*v292*/
	s_set_vgpr_msb 0x44                     ;  msbs: dst=1 src0=0 src1=1 src2=0
	v_mul_i32_i24_e32 v26 /*v282*/, v201, v27 /*v283*/
	s_set_vgpr_msb 0x45                     ;  msbs: dst=1 src0=1 src1=1 src2=0
	v_mul_i32_i24_e32 v36 /*v292*/, v8 /*v264*/, v94 /*v350*/
	s_set_vgpr_msb 64                       ;  msbs: dst=1 src0=0 src1=0 src2=0
	v_add3_u32 v123 /*v379*/, v149, v94, v93
	s_set_vgpr_msb 0                        ;  msbs: dst=0 src0=0 src1=0 src2=0
	v_mul_i32_i24_e32 v93, v254, v152
	v_mul_i32_i24_e32 v94, v255, v153
	s_set_vgpr_msb 5                        ;  msbs: dst=0 src0=1 src1=1 src2=0
	v_mul_i32_i24_e32 v149, v54 /*v310*/, v5 /*v261*/
	s_set_vgpr_msb 0x41                     ;  msbs: dst=1 src0=1 src1=0 src2=0
	s_delay_alu instid0(VALU_DEP_2) | instskip(SKIP_4) | instid1(VALU_DEP_1)
	v_add3_u32 v11 /*v267*/, v11 /*v267*/, v93, v94
	s_set_vgpr_msb 0                        ;  msbs: dst=0 src0=0 src1=0 src2=0
	v_mul_i32_i24_e32 v93, v205, v240
	v_mul_i32_i24_e32 v94, v204, v241
	s_set_vgpr_msb 1                        ;  msbs: dst=0 src0=1 src1=0 src2=0
	v_add3_u32 v240, v29 /*v285*/, v94, v93
	s_set_vgpr_msb 4                        ;  msbs: dst=0 src0=0 src1=1 src2=0
	v_mul_i32_i24_e32 v93, v254, v83 /*v339*/
	v_mul_i32_i24_e32 v94, v255, v84 /*v340*/
	s_set_vgpr_msb 1                        ;  msbs: dst=0 src0=1 src1=0 src2=0
	s_delay_alu instid0(VALU_DEP_1)
	v_add3_u32 v241, v31 /*v287*/, v93, v94
	s_set_vgpr_msb 4                        ;  msbs: dst=0 src0=0 src1=1 src2=0
	v_mul_i32_i24_e32 v93, v205, v91 /*v347*/
	v_mul_i32_i24_e32 v94, v204, v66 /*v322*/
	s_set_vgpr_msb 0                        ;  msbs: dst=0 src0=0 src1=0 src2=0
	v_add3_u32 v204, v239, v100, v101
	v_cvt_f32_f16_e64 v100, v207
	v_cvt_f32_f16_e64 v101, v210
	v_mul_i32_i24_e32 v239, v251, v236
	v_add3_u32 v139, v139, v94, v93
	s_set_vgpr_msb 1                        ;  msbs: dst=0 src0=1 src1=0 src2=0
	v_mul_i32_i24_e32 v93, v109 /*v365*/, v152
	s_set_vgpr_msb 0                        ;  msbs: dst=0 src0=0 src1=0 src2=0
	v_mul_i32_i24_e32 v94, v127, v153
	s_set_vgpr_msb 0x44                     ;  msbs: dst=1 src0=0 src1=1 src2=0
	v_mul_i32_i24_e32 v66 /*v322*/, v228, v40 /*v296*/
	s_set_vgpr_msb 0x41                     ;  msbs: dst=1 src0=1 src1=0 src2=0
	s_delay_alu instid0(VALU_DEP_2)
	v_add3_u32 v29 /*v285*/, v50 /*v306*/, v93, v94
	s_set_vgpr_msb 1                        ;  msbs: dst=0 src0=1 src1=0 src2=0
	v_mul_i32_i24_e32 v93, v110 /*v366*/, v152
	s_set_vgpr_msb 0                        ;  msbs: dst=0 src0=0 src1=0 src2=0
	v_mul_i32_i24_e32 v94, v125, v153
	s_set_vgpr_msb 0x41                     ;  msbs: dst=1 src0=1 src1=0 src2=0
	s_delay_alu instid0(VALU_DEP_1)
	v_add3_u32 v31 /*v287*/, v51 /*v307*/, v93, v94
	s_set_vgpr_msb 5                        ;  msbs: dst=0 src0=1 src1=1 src2=0
	v_mul_i32_i24_e32 v93, v109 /*v365*/, v83 /*v339*/
	s_set_vgpr_msb 4                        ;  msbs: dst=0 src0=0 src1=1 src2=0
	v_mul_i32_i24_e32 v94, v127, v84 /*v340*/
	s_set_vgpr_msb 0x41                     ;  msbs: dst=1 src0=1 src1=0 src2=0
	s_delay_alu instid0(VALU_DEP_1)
	v_add3_u32 v50 /*v306*/, v52 /*v308*/, v93, v94
	s_set_vgpr_msb 5                        ;  msbs: dst=0 src0=1 src1=1 src2=0
	v_mul_i32_i24_e32 v93, v110 /*v366*/, v83 /*v339*/
	s_set_vgpr_msb 4                        ;  msbs: dst=0 src0=0 src1=1 src2=0
	v_mul_i32_i24_e32 v94, v125, v84 /*v340*/
	s_set_vgpr_msb 0x41                     ;  msbs: dst=1 src0=1 src1=0 src2=0
	s_delay_alu instid0(VALU_DEP_1)
	v_add3_u32 v51 /*v307*/, v55 /*v311*/, v93, v94
	s_set_vgpr_msb 4                        ;  msbs: dst=0 src0=0 src1=1 src2=0
	v_mul_i32_i24_e32 v93, v254, v27 /*v283*/
	v_mul_i32_i24_e32 v94, v255, v87 /*v343*/
	s_set_vgpr_msb 0x45                     ;  msbs: dst=1 src0=1 src1=1 src2=0
	v_mul_i32_i24_e32 v55 /*v311*/, v49 /*v305*/, v21 /*v277*/
	s_set_vgpr_msb 0x41                     ;  msbs: dst=1 src0=1 src1=0 src2=0
	s_delay_alu instid0(VALU_DEP_2)
	v_add3_u32 v52 /*v308*/, v72 /*v328*/, v93, v94
	s_set_vgpr_msb 0                        ;  msbs: dst=0 src0=0 src1=0 src2=0
	v_mul_i32_i24_e32 v93, v150, v199
	v_mul_i32_i24_e32 v94, v238, v231
	s_set_vgpr_msb 0x44                     ;  msbs: dst=1 src0=0 src1=1 src2=0
	v_mul_i32_i24_e32 v72 /*v328*/, v143, v125 /*v381*/
	s_set_vgpr_msb 5                        ;  msbs: dst=0 src0=1 src1=1 src2=0
	v_mul_i32_i24_e32 v150, v48 /*v304*/, v73 /*v329*/
	s_set_vgpr_msb 0                        ;  msbs: dst=0 src0=0 src1=0 src2=0
	v_add3_u32 v114, v114, v93, v94
	s_set_vgpr_msb 5                        ;  msbs: dst=0 src0=1 src1=1 src2=0
	v_mul_i32_i24_e32 v93, v78 /*v334*/, v23 /*v279*/
	v_mul_i32_i24_e32 v94, v79 /*v335*/, v41 /*v297*/
	s_set_vgpr_msb 0                        ;  msbs: dst=0 src0=0 src1=0 src2=0
	s_delay_alu instid0(VALU_DEP_1) | instskip(SKIP_4) | instid1(VALU_DEP_1)
	v_add3_u32 v116, v116, v94, v93
	s_set_vgpr_msb 1                        ;  msbs: dst=0 src0=1 src1=0 src2=0
	v_mul_i32_i24_e32 v93, v78 /*v334*/, v198
	v_mul_i32_i24_e32 v94, v79 /*v335*/, v197
	s_set_vgpr_msb 0                        ;  msbs: dst=0 src0=0 src1=0 src2=0
	v_add3_u32 v238, v253, v94, v93
	s_set_vgpr_msb 5                        ;  msbs: dst=0 src0=1 src1=1 src2=0
	v_mul_i32_i24_e32 v93, v78 /*v334*/, v99 /*v355*/
	v_mul_i32_i24_e32 v94, v79 /*v335*/, v100 /*v356*/
	s_set_vgpr_msb 0x45                     ;  msbs: dst=1 src0=1 src1=1 src2=0
	v_mul_i32_i24_e32 v78 /*v334*/, v105 /*v361*/, v19 /*v275*/
	s_set_vgpr_msb 0                        ;  msbs: dst=0 src0=0 src1=0 src2=0
	s_delay_alu instid0(VALU_DEP_2)
	v_add3_u32 v253, v89, v94, v93
	v_mul_i32_i24_e32 v89, v109, v231
	s_set_vgpr_msb 1                        ;  msbs: dst=0 src0=1 src1=0 src2=0
	v_mul_i32_i24_e32 v94, v45 /*v301*/, v199
	s_set_vgpr_msb 0                        ;  msbs: dst=0 src0=0 src1=0 src2=0
	v_mul_i32_i24_e32 v93, v129, v231
	v_add3_u32 v109, v91, v88, v89
	s_set_vgpr_msb 5                        ;  msbs: dst=0 src0=1 src1=1 src2=0
	v_mul_i32_i24_e32 v88, v107 /*v363*/, v27 /*v283*/
	v_mul_i32_i24_e32 v89, v113 /*v369*/, v87 /*v343*/
	s_set_vgpr_msb 0                        ;  msbs: dst=0 src0=0 src1=0 src2=0
	v_add3_u32 v113, v96, v94, v95
	s_set_vgpr_msb 1                        ;  msbs: dst=0 src0=1 src1=0 src2=0
	v_mul_i32_i24_e32 v96, v114 /*v370*/, v152
	s_set_vgpr_msb 5                        ;  msbs: dst=0 src0=1 src1=1 src2=0
	v_mul_i32_i24_e32 v94, v114 /*v370*/, v27 /*v283*/
	v_mul_i32_i24_e32 v95, v119 /*v375*/, v87 /*v343*/
	s_set_vgpr_msb 64                       ;  msbs: dst=1 src0=0 src1=0 src2=0
	v_add3_u32 v2 /*v258*/, v92, v88, v89
	s_set_vgpr_msb 1                        ;  msbs: dst=0 src0=1 src1=0 src2=0
	v_mul_i32_i24_e32 v88, v107 /*v363*/, v152
	v_mul_i32_i24_e32 v89, v113 /*v369*/, v153
	v_add3_u32 v106, v59 /*v315*/, v96, v97
	s_set_vgpr_msb 0                        ;  msbs: dst=0 src0=0 src1=0 src2=0
	v_cvt_f32_f16_e64 v97, v213
	s_set_vgpr_msb 1                        ;  msbs: dst=0 src0=1 src1=0 src2=0
	v_mul_i32_i24_e32 v92, v132 /*v388*/, v199
	s_set_vgpr_msb 0                        ;  msbs: dst=0 src0=0 src1=0 src2=0
	v_add3_u32 v104, v104, v94, v95
	s_set_vgpr_msb 64                       ;  msbs: dst=1 src0=0 src1=0 src2=0
	v_add3_u32 v30 /*v286*/, v102, v88, v89
	s_set_vgpr_msb 4                        ;  msbs: dst=0 src0=0 src1=1 src2=0
	v_mul_i32_i24_e32 v102, v205, v34 /*v290*/
	v_cvt_f32_f16_e64 v94, v214
	v_mul_i32_i24_e32 v199, v202, v99 /*v355*/
	s_set_vgpr_msb 0                        ;  msbs: dst=0 src0=0 src1=0 src2=0
	v_add3_u32 v124, v124, v92, v93
	s_set_vgpr_msb 5                        ;  msbs: dst=0 src0=1 src1=1 src2=0
	v_mul_i32_i24_e32 v92, v110 /*v366*/, v27 /*v283*/
	s_set_vgpr_msb 0                        ;  msbs: dst=0 src0=0 src1=0 src2=0
	v_add3_u32 v205, v234, v103, v102
	v_cvt_f32_f16_e64 v103, v151
	v_cvt_f32_f16_e64 v102, v206
	s_set_vgpr_msb 16                       ;  msbs: dst=0 src0=0 src1=0 src2=1
	v_add3_u32 v206, v233, v105, v138 /*v394*/
	s_set_vgpr_msb 5                        ;  msbs: dst=0 src0=1 src1=1 src2=0
	v_mul_i32_i24_e32 v105, v10 /*v266*/, v27 /*v283*/
	v_mul_i32_i24_e32 v151, v136 /*v392*/, v87 /*v343*/
	s_set_vgpr_msb 4                        ;  msbs: dst=0 src0=0 src1=1 src2=0
	v_mul_i32_i24_e32 v93, v125, v87 /*v343*/
	v_cvt_f32_f16_e64 v96, v215
	s_set_vgpr_msb 5                        ;  msbs: dst=0 src0=1 src1=1 src2=0
	v_mul_i32_i24_e32 v88, v107 /*v363*/, v83 /*v339*/
	v_mul_i32_i24_e32 v89, v113 /*v369*/, v84 /*v340*/
	s_set_vgpr_msb 1                        ;  msbs: dst=0 src0=1 src1=0 src2=0
	v_add3_u32 v207, v33 /*v289*/, v105, v151
	v_mul_i32_i24_e32 v105, v10 /*v266*/, v152
	v_mul_i32_i24_e32 v151, v136 /*v392*/, v153
	v_add3_u32 v129, v6 /*v262*/, v92, v93
	s_set_vgpr_msb 0                        ;  msbs: dst=0 src0=0 src1=0 src2=0
	v_cvt_f32_f16_e64 v92, v219
	s_set_vgpr_msb 64                       ;  msbs: dst=1 src0=0 src1=0 src2=0
	v_lshrrev_b32_e32 v132 /*v388*/, 16, v219
	s_set_vgpr_msb 0                        ;  msbs: dst=0 src0=0 src1=0 src2=0
	v_cvt_f32_f16_e64 v95, v218
	s_set_vgpr_msb 1                        ;  msbs: dst=0 src0=1 src1=0 src2=0
	v_add3_u32 v209, v101 /*v357*/, v105, v151
	s_set_vgpr_msb 5                        ;  msbs: dst=0 src0=1 src1=1 src2=0
	v_mul_i32_i24_e32 v105, v10 /*v266*/, v83 /*v339*/
	v_mul_i32_i24_e32 v151, v136 /*v392*/, v84 /*v340*/
	s_set_vgpr_msb 0                        ;  msbs: dst=0 src0=0 src1=0 src2=0
	v_add3_u32 v108, v108, v88, v89
	v_cvt_f32_f16_e64 v88, v223
	v_cvt_f32_f16_e64 v93, v220
	v_mul_i32_i24_e32 v91, v131, v231
	s_set_vgpr_msb 1                        ;  msbs: dst=0 src0=1 src1=0 src2=0
	v_add3_u32 v210, v123 /*v379*/, v105, v151
	s_set_vgpr_msb 0                        ;  msbs: dst=0 src0=0 src1=0 src2=0
	v_mul_i32_i24_e32 v105, v235, v208
	v_mul_i32_i24_e32 v151, v242, v252
	;; [unrolled: 1-line block ×3, first 2 shown]
	v_add3_u32 v126, v126, v90, v91
	s_set_vgpr_msb 5                        ;  msbs: dst=0 src0=1 src1=1 src2=0
	v_mul_i32_i24_e32 v90, v109 /*v365*/, v27 /*v283*/
	s_set_vgpr_msb 4                        ;  msbs: dst=0 src0=0 src1=1 src2=0
	v_mul_i32_i24_e32 v91, v127, v87 /*v343*/
	s_set_vgpr_msb 1                        ;  msbs: dst=0 src0=1 src1=0 src2=0
	v_add3_u32 v212, v11 /*v267*/, v151, v105
	s_set_vgpr_msb 0                        ;  msbs: dst=0 src0=0 src1=0 src2=0
	v_mul_i32_i24_e32 v105, v201, v152
	v_mul_i32_i24_e32 v151, v202, v198
	s_set_vgpr_msb 4                        ;  msbs: dst=0 src0=0 src1=1 src2=0
	v_mul_i32_i24_e32 v198, v235, v104 /*v360*/
	s_set_vgpr_msb 1                        ;  msbs: dst=0 src0=1 src1=0 src2=0
	v_add3_u32 v131, v106 /*v362*/, v90, v91
	s_set_vgpr_msb 0                        ;  msbs: dst=0 src0=0 src1=0 src2=0
	v_cvt_f32_f16_e64 v89, v226
	v_cvt_f32_f16_e64 v90, v221
	v_add3_u32 v213, v240, v151, v105
	s_set_vgpr_msb 4                        ;  msbs: dst=0 src0=0 src1=1 src2=0
	v_mul_i32_i24_e32 v105, v242, v122 /*v378*/
	v_mul_i32_i24_e32 v151, v201, v83 /*v339*/
	v_cvt_f32_f16_e64 v91, v222
	s_set_vgpr_msb 0                        ;  msbs: dst=0 src0=0 src1=0 src2=0
	v_mul_i32_i24_e32 v221, v237, v244
	v_mul_i32_i24_e32 v222, v250, v243
	v_add3_u32 v214, v241, v105, v198
	s_set_vgpr_msb 1                        ;  msbs: dst=0 src0=1 src1=0 src2=0
	v_mul_i32_i24_e32 v105, v111 /*v367*/, v208
	v_mul_i32_i24_e32 v198, v44 /*v300*/, v252
	s_set_vgpr_msb 0                        ;  msbs: dst=0 src0=0 src1=0 src2=0
	v_add3_u32 v139, v139, v199, v151
	s_set_vgpr_msb 1                        ;  msbs: dst=0 src0=1 src1=0 src2=0
	v_mul_i32_i24_e32 v151, v35 /*v291*/, v208
	v_mul_i32_i24_e32 v199, v47 /*v303*/, v252
	s_set_vgpr_msb 0                        ;  msbs: dst=0 src0=0 src1=0 src2=0
	v_mul_i32_i24_e32 v226, v217, v197
	s_set_vgpr_msb 1                        ;  msbs: dst=0 src0=1 src1=0 src2=0
	v_add3_u32 v215, v29 /*v285*/, v198, v105
	s_set_vgpr_msb 5                        ;  msbs: dst=0 src0=1 src1=1 src2=0
	v_mul_i32_i24_e32 v105, v111 /*v367*/, v104 /*v360*/
	v_mul_i32_i24_e32 v198, v44 /*v300*/, v122 /*v378*/
	s_set_vgpr_msb 1                        ;  msbs: dst=0 src0=1 src1=0 src2=0
	v_add3_u32 v218, v31 /*v287*/, v199, v151
	s_set_vgpr_msb 5                        ;  msbs: dst=0 src0=1 src1=1 src2=0
	v_mul_i32_i24_e32 v151, v35 /*v291*/, v104 /*v360*/
	v_mul_i32_i24_e32 v199, v47 /*v303*/, v122 /*v378*/
	s_set_vgpr_msb 4                        ;  msbs: dst=0 src0=0 src1=1 src2=0
	v_mul_i32_i24_e32 v202, v202, v23 /*v279*/
	s_set_vgpr_msb 1                        ;  msbs: dst=0 src0=1 src1=0 src2=0
	v_add3_u32 v219, v50 /*v306*/, v198, v105
	s_set_vgpr_msb 0                        ;  msbs: dst=0 src0=0 src1=0 src2=0
	v_mul_i32_i24_e32 v105, v235, v135
	v_mul_i32_i24_e32 v198, v242, v247
	s_set_vgpr_msb 1                        ;  msbs: dst=0 src0=1 src1=0 src2=0
	v_add3_u32 v220, v51 /*v307*/, v199, v151
	s_set_vgpr_msb 0                        ;  msbs: dst=0 src0=0 src1=0 src2=0
	v_mul_i32_i24_e32 v151, v154, v203
	v_mul_i32_i24_e32 v154, v155, v200
	s_set_vgpr_msb 5                        ;  msbs: dst=0 src0=1 src1=1 src2=0
	v_mul_i32_i24_e32 v155, v38 /*v294*/, v87 /*v343*/
	s_set_vgpr_msb 1                        ;  msbs: dst=0 src0=1 src1=0 src2=0
	v_add3_u32 v223, v52 /*v308*/, v198, v105
	s_set_vgpr_msb 5                        ;  msbs: dst=0 src0=1 src1=1 src2=0
	v_mul_i32_i24_e32 v105, v117 /*v373*/, v27 /*v283*/
	s_set_vgpr_msb 0                        ;  msbs: dst=0 src0=0 src1=0 src2=0
	v_mul_i32_i24_e32 v201, v201, v110
	v_add3_u32 v114, v114, v154, v151
	s_set_vgpr_msb 1                        ;  msbs: dst=0 src0=1 src1=0 src2=0
	v_mul_i32_i24_e32 v151, v38 /*v294*/, v153
	s_set_vgpr_msb 5                        ;  msbs: dst=0 src0=1 src1=1 src2=0
	v_mul_i32_i24_e32 v153, v38 /*v294*/, v84 /*v340*/
	s_set_vgpr_msb 0                        ;  msbs: dst=0 src0=0 src1=0 src2=0
	v_add3_u32 v116, v116, v105, v155
	s_set_vgpr_msb 1                        ;  msbs: dst=0 src0=1 src1=0 src2=0
	v_mul_i32_i24_e32 v105, v117 /*v373*/, v152
	s_set_vgpr_msb 5                        ;  msbs: dst=0 src0=1 src1=1 src2=0
	v_mul_i32_i24_e32 v152, v117 /*v373*/, v83 /*v339*/
	s_set_vgpr_msb 0                        ;  msbs: dst=0 src0=0 src1=0 src2=0
	v_mul_i32_i24_e32 v154, v249, v135
	s_set_vgpr_msb 0x50                     ;  msbs: dst=1 src0=0 src1=0 src2=1
	v_add3_u32 v26 /*v282*/, v205, v202, v26 /*v282*/
	s_set_vgpr_msb 1                        ;  msbs: dst=0 src0=1 src1=0 src2=0
	v_mul_i32_i24_e32 v202, v85 /*v341*/, v208
	s_set_vgpr_msb 0                        ;  msbs: dst=0 src0=0 src1=0 src2=0
	v_add3_u32 v238, v238, v105, v151
	s_set_vgpr_msb 1                        ;  msbs: dst=0 src0=1 src1=0 src2=0
	v_mul_i32_i24_e32 v105, v46 /*v302*/, v203
	v_mul_i32_i24_e32 v151, v53 /*v309*/, v200
	s_set_vgpr_msb 0                        ;  msbs: dst=0 src0=0 src1=0 src2=0
	v_add3_u32 v241, v253, v152, v153
	s_set_vgpr_msb 1                        ;  msbs: dst=0 src0=1 src1=0 src2=0
	v_mul_i32_i24_e32 v152, v12 /*v268*/, v247
	s_set_vgpr_msb 0                        ;  msbs: dst=0 src0=0 src1=0 src2=0
	v_mul_i32_i24_e32 v153, v249, v208
	s_set_vgpr_msb 64                       ;  msbs: dst=1 src0=0 src1=0 src2=0
	v_add3_u32 v38 /*v294*/, v212, v221, v222
	s_set_vgpr_msb 0                        ;  msbs: dst=0 src0=0 src1=0 src2=0
	v_add3_u32 v109, v109, v151, v105
	s_set_vgpr_msb 1                        ;  msbs: dst=0 src0=1 src1=0 src2=0
	v_mul_i32_i24_e32 v105, v12 /*v268*/, v252
	v_add3_u32 v253, v2 /*v258*/, v152, v154
	s_set_vgpr_msb 4                        ;  msbs: dst=0 src0=0 src1=1 src2=0
	v_mul_i32_i24_e32 v151, v249, v104 /*v360*/
	s_set_vgpr_msb 5                        ;  msbs: dst=0 src0=1 src1=1 src2=0
	v_mul_i32_i24_e32 v152, v12 /*v268*/, v122 /*v378*/
	s_set_vgpr_msb 0                        ;  msbs: dst=0 src0=0 src1=0 src2=0
	v_add3_u32 v221, v213, v231, v226
	s_set_vgpr_msb 0x41                     ;  msbs: dst=1 src0=1 src1=0 src2=0
	v_add3_u32 v2 /*v258*/, v30 /*v286*/, v105, v153
	s_set_vgpr_msb 1                        ;  msbs: dst=0 src0=1 src1=0 src2=0
	v_mul_i32_i24_e32 v105, v22 /*v278*/, v203
	v_mul_i32_i24_e32 v153, v13 /*v269*/, v135
	s_set_vgpr_msb 0                        ;  msbs: dst=0 src0=0 src1=0 src2=0
	v_add3_u32 v108, v108, v152, v151
	s_set_vgpr_msb 1                        ;  msbs: dst=0 src0=1 src1=0 src2=0
	v_mul_i32_i24_e32 v151, v111 /*v367*/, v135
	v_mul_i32_i24_e32 v152, v44 /*v300*/, v247
	s_set_vgpr_msb 0                        ;  msbs: dst=0 src0=0 src1=0 src2=0
	v_add3_u32 v126, v126, v107, v105
	s_set_vgpr_msb 1                        ;  msbs: dst=0 src0=1 src1=0 src2=0
	v_mul_i32_i24_e32 v105, v4 /*v260*/, v203
	v_mul_i32_i24_e32 v107, v108 /*v364*/, v200
	s_set_vgpr_msb 0x44                     ;  msbs: dst=1 src0=0 src1=1 src2=0
	v_add3_u32 v30 /*v286*/, v206, v37 /*v293*/, v201
	s_set_vgpr_msb 0                        ;  msbs: dst=0 src0=0 src1=0 src2=0
	v_add3_u32 v131, v131, v152, v151
	s_set_vgpr_msb 1                        ;  msbs: dst=0 src0=1 src1=0 src2=0
	v_mul_i32_i24_e32 v151, v35 /*v291*/, v135
	v_mul_i32_i24_e32 v152, v47 /*v303*/, v247
	s_set_vgpr_msb 0                        ;  msbs: dst=0 src0=0 src1=0 src2=0
	v_add3_u32 v124, v124, v107, v105
	s_set_vgpr_msb 1                        ;  msbs: dst=0 src0=1 src1=0 src2=0
	v_mul_i32_i24_e32 v105, v98 /*v354*/, v203
	v_mul_i32_i24_e32 v107, v58 /*v314*/, v200
	;; [unrolled: 1-line block ×3, first 2 shown]
	s_set_vgpr_msb 0                        ;  msbs: dst=0 src0=0 src1=0 src2=0
	v_add3_u32 v129, v129, v152, v151
	s_set_vgpr_msb 1                        ;  msbs: dst=0 src0=1 src1=0 src2=0
	v_mul_i32_i24_e32 v152, v13 /*v269*/, v208
	v_mul_i32_i24_e32 v151, v71 /*v327*/, v247
	s_set_vgpr_msb 0                        ;  msbs: dst=0 src0=0 src1=0 src2=0
	v_add3_u32 v113, v113, v107, v105
	s_set_vgpr_msb 1                        ;  msbs: dst=0 src0=1 src1=0 src2=0
	v_mul_i32_i24_e32 v105, v71 /*v327*/, v252
	s_set_vgpr_msb 5                        ;  msbs: dst=0 src0=1 src1=1 src2=0
	v_mul_i32_i24_e32 v107, v13 /*v269*/, v104 /*v360*/
	s_set_vgpr_msb 1                        ;  msbs: dst=0 src0=1 src1=0 src2=0
	v_mul_i32_i24_e32 v201, v86 /*v342*/, v252
	s_set_vgpr_msb 64                       ;  msbs: dst=1 src0=0 src1=0 src2=0
	v_add3_u32 v4 /*v260*/, v104, v151, v153
	s_set_vgpr_msb 5                        ;  msbs: dst=0 src0=1 src1=1 src2=0
	v_mul_i32_i24_e32 v104, v71 /*v327*/, v122 /*v378*/
	s_set_vgpr_msb 64                       ;  msbs: dst=1 src0=0 src1=0 src2=0
	v_add3_u32 v6 /*v262*/, v106, v105, v152
	s_set_vgpr_msb 1                        ;  msbs: dst=0 src0=1 src1=0 src2=0
	v_mul_i32_i24_e32 v106, v62 /*v318*/, v203
	s_set_vgpr_msb 4                        ;  msbs: dst=0 src0=0 src1=1 src2=0
	v_mul_i32_i24_e32 v203, v250, v40 /*v296*/
	s_set_vgpr_msb 0x44                     ;  msbs: dst=1 src0=0 src1=1 src2=0
	v_mul_i32_i24_e32 v11 /*v267*/, v217, v100 /*v356*/
	s_set_vgpr_msb 0                        ;  msbs: dst=0 src0=0 src1=0 src2=0
	v_add3_u32 v111, v111, v104, v107
	s_set_vgpr_msb 4                        ;  msbs: dst=0 src0=0 src1=1 src2=0
	v_mul_i32_i24_e32 v107, v237, v124 /*v380*/
	s_set_vgpr_msb 64                       ;  msbs: dst=1 src0=0 src1=0 src2=0
	v_add3_u32 v27 /*v283*/, v204, v200, v106
	s_set_vgpr_msb 1                        ;  msbs: dst=0 src0=1 src1=0 src2=0
	v_mul_i32_i24_e32 v106, v85 /*v341*/, v135
	v_mul_i32_i24_e32 v200, v86 /*v342*/, v247
	s_set_vgpr_msb 5                        ;  msbs: dst=0 src0=1 src1=1 src2=0
	v_mul_i32_i24_e32 v204, v85 /*v341*/, v104 /*v360*/
	s_set_vgpr_msb 0                        ;  msbs: dst=0 src0=0 src1=0 src2=0
	v_add3_u32 v226, v214, v107, v203
	v_mul_i32_i24_e32 v107, v117, v243
	s_set_vgpr_msb 0x44                     ;  msbs: dst=1 src0=0 src1=1 src2=0
	v_mul_i32_i24_e32 v22 /*v278*/, v216, v84 /*v340*/
	s_set_vgpr_msb 64                       ;  msbs: dst=1 src0=0 src1=0 src2=0
	v_add3_u32 v31 /*v287*/, v207, v200, v106
	s_set_vgpr_msb 5                        ;  msbs: dst=0 src0=1 src1=1 src2=0
	v_mul_i32_i24_e32 v106, v86 /*v342*/, v122 /*v378*/
	s_set_vgpr_msb 64                       ;  msbs: dst=1 src0=0 src1=0 src2=0
	v_add3_u32 v34 /*v290*/, v209, v201, v202
	s_set_vgpr_msb 1                        ;  msbs: dst=0 src0=1 src1=0 src2=0
	v_mul_i32_i24_e32 v200, v68 /*v324*/, v244
	s_set_vgpr_msb 0                        ;  msbs: dst=0 src0=0 src1=0 src2=0
	v_mul_i32_i24_e32 v201, v115, v243
	s_set_vgpr_msb 5                        ;  msbs: dst=0 src0=1 src1=1 src2=0
	v_mul_i32_i24_e32 v202, v112 /*v368*/, v124 /*v380*/
	s_set_vgpr_msb 64                       ;  msbs: dst=1 src0=0 src1=0 src2=0
	v_add3_u32 v37 /*v293*/, v210, v106, v204
	s_set_vgpr_msb 1                        ;  msbs: dst=0 src0=1 src1=0 src2=0
	v_mul_i32_i24_e32 v106, v112 /*v368*/, v244
	s_set_vgpr_msb 0                        ;  msbs: dst=0 src0=0 src1=0 src2=0
	v_mul_i32_i24_e32 v234, v248, v208
	s_set_vgpr_msb 20                       ;  msbs: dst=0 src0=0 src1=1 src2=1
	v_add3_u32 v139, v139, v22 /*v278*/, v11 /*v267*/
	s_set_vgpr_msb 64                       ;  msbs: dst=1 src0=0 src1=0 src2=0
	v_add3_u32 v11 /*v267*/, v218, v200, v201
	s_set_vgpr_msb 4                        ;  msbs: dst=0 src0=0 src1=1 src2=0
	v_mul_i32_i24_e32 v200, v115, v40 /*v296*/
	s_set_vgpr_msb 0                        ;  msbs: dst=0 src0=0 src1=0 src2=0
	v_add3_u32 v231, v215, v106, v107
	s_set_vgpr_msb 4                        ;  msbs: dst=0 src0=0 src1=1 src2=0
	v_mul_i32_i24_e32 v106, v117, v40 /*v296*/
	s_set_vgpr_msb 5                        ;  msbs: dst=0 src0=1 src1=1 src2=0
	v_mul_i32_i24_e32 v107, v68 /*v324*/, v124 /*v380*/
	s_set_vgpr_msb 4                        ;  msbs: dst=0 src0=0 src1=1 src2=0
	v_mul_i32_i24_e32 v201, v250, v1 /*v257*/
	s_set_vgpr_msb 1                        ;  msbs: dst=0 src0=1 src1=0 src2=0
	v_mul_i32_i24_e32 v208, v9 /*v265*/, v208
	s_set_vgpr_msb 0                        ;  msbs: dst=0 src0=0 src1=0 src2=0
	v_mul_i32_i24_e32 v209, v245, v252
	s_set_vgpr_msb 64                       ;  msbs: dst=1 src0=0 src1=0 src2=0
	v_add3_u32 v22 /*v278*/, v219, v202, v106
	s_set_vgpr_msb 4                        ;  msbs: dst=0 src0=0 src1=1 src2=0
	v_mul_i32_i24_e32 v106, v237, v0 /*v256*/
	s_set_vgpr_msb 5                        ;  msbs: dst=0 src0=1 src1=1 src2=0
	v_mul_i32_i24_e32 v210, v9 /*v265*/, v104 /*v360*/
	s_set_vgpr_msb 4                        ;  msbs: dst=0 src0=0 src1=1 src2=0
	v_mul_i32_i24_e32 v212, v245, v122 /*v378*/
	s_set_vgpr_msb 64                       ;  msbs: dst=1 src0=0 src1=0 src2=0
	v_add3_u32 v45 /*v301*/, v220, v107, v200
	s_set_vgpr_msb 0                        ;  msbs: dst=0 src0=0 src1=0 src2=0
	v_mul_i32_i24_e32 v107, v255, v211
	v_add3_u32 v255, v223, v106, v201
	v_mul_i32_i24_e32 v201, v254, v110
	v_add3_u32 v238, v238, v209, v208
	s_set_vgpr_msb 1                        ;  msbs: dst=0 src0=1 src1=0 src2=0
	v_mul_i32_i24_e32 v208, v113 /*v369*/, v211
	s_set_vgpr_msb 5                        ;  msbs: dst=0 src0=1 src1=1 src2=0
	v_mul_i32_i24_e32 v209, v127 /*v383*/, v0 /*v256*/
	s_set_vgpr_msb 0                        ;  msbs: dst=0 src0=0 src1=0 src2=0
	v_add3_u32 v241, v241, v212, v210
	s_set_vgpr_msb 5                        ;  msbs: dst=0 src0=1 src1=1 src2=0
	v_mul_i32_i24_e32 v210, v65 /*v321*/, v1 /*v257*/
	s_set_vgpr_msb 1                        ;  msbs: dst=0 src0=1 src1=0 src2=0
	v_mul_i32_i24_e32 v213, v107 /*v363*/, v110
	s_set_vgpr_msb 0                        ;  msbs: dst=0 src0=0 src1=0 src2=0
	v_add3_u32 v114, v114, v201, v107
	s_set_vgpr_msb 1                        ;  msbs: dst=0 src0=1 src1=0 src2=0
	v_cvt_f32_f16_e64 v107, v24 /*v280*/
	v_mul_i32_i24_e32 v212, v127 /*v383*/, v244
	s_set_vgpr_msb 64                       ;  msbs: dst=1 src0=0 src1=0 src2=0
	v_add3_u32 v50 /*v306*/, v253, v209, v210
	v_add3_u32 v24 /*v280*/, v109, v213, v208
	s_set_vgpr_msb 1                        ;  msbs: dst=0 src0=1 src1=0 src2=0
	v_mul_i32_i24_e32 v109, v65 /*v321*/, v243
	s_set_vgpr_msb 5                        ;  msbs: dst=0 src0=1 src1=1 src2=0
	v_mul_i32_i24_e32 v208, v127 /*v383*/, v124 /*v380*/
	v_mul_i32_i24_e32 v209, v65 /*v321*/, v40 /*v296*/
	s_set_vgpr_msb 1                        ;  msbs: dst=0 src0=1 src1=0 src2=0
	v_mul_i32_i24_e32 v240, v8 /*v264*/, v246
	s_set_vgpr_msb 4                        ;  msbs: dst=0 src0=0 src1=1 src2=0
	v_mul_i32_i24_e32 v217, v217, v41 /*v297*/
	s_set_vgpr_msb 1                        ;  msbs: dst=0 src0=1 src1=0 src2=0
	v_add3_u32 v253, v2 /*v258*/, v212, v109
	s_set_vgpr_msb 0                        ;  msbs: dst=0 src0=0 src1=0 src2=0
	v_mul_i32_i24_e32 v109, v127, v211
	v_add3_u32 v127, v108, v208, v209
	s_set_vgpr_msb 5                        ;  msbs: dst=0 src0=1 src1=1 src2=0
	v_mul_i32_i24_e32 v108, v112 /*v368*/, v0 /*v256*/
	s_set_vgpr_msb 4                        ;  msbs: dst=0 src0=0 src1=1 src2=0
	v_mul_i32_i24_e32 v208, v117, v1 /*v257*/
	s_set_vgpr_msb 1                        ;  msbs: dst=0 src0=1 src1=0 src2=0
	v_mul_i32_i24_e32 v209, v109 /*v365*/, v110
	s_set_vgpr_msb 4                        ;  msbs: dst=0 src0=0 src1=1 src2=0
	v_mul_i32_i24_e32 v216, v216, v87 /*v343*/
	s_set_vgpr_msb 0                        ;  msbs: dst=0 src0=0 src1=0 src2=0
	v_mul_i32_i24_e32 v233, v224, v244
	s_set_vgpr_msb 64                       ;  msbs: dst=1 src0=0 src1=0 src2=0
	v_mul_i32_i24_e32 v46 /*v302*/, v228, v243
	s_set_vgpr_msb 0x41                     ;  msbs: dst=1 src0=1 src1=0 src2=0
	v_add3_u32 v91 /*v347*/, v38 /*v294*/, v240, v239
	s_set_vgpr_msb 0                        ;  msbs: dst=0 src0=0 src1=0 src2=0
	v_add3_u32 v126, v126, v209, v109
	v_mul_i32_i24_e32 v109, v125, v211
	v_add3_u32 v125, v131, v108, v208
	s_set_vgpr_msb 5                        ;  msbs: dst=0 src0=1 src1=1 src2=0
	v_mul_i32_i24_e32 v108, v68 /*v324*/, v0 /*v256*/
	s_set_vgpr_msb 4                        ;  msbs: dst=0 src0=0 src1=1 src2=0
	v_mul_i32_i24_e32 v131, v115, v1 /*v257*/
	s_set_vgpr_msb 1                        ;  msbs: dst=0 src0=1 src1=0 src2=0
	v_mul_i32_i24_e32 v208, v110 /*v366*/, v110
	v_mul_i32_i24_e32 v209, v114 /*v370*/, v110
	s_set_vgpr_msb 0x41                     ;  msbs: dst=1 src0=1 src1=0 src2=0
	v_add3_u32 v26 /*v282*/, v26 /*v282*/, v216, v217
	s_set_vgpr_msb 1                        ;  msbs: dst=0 src0=1 src1=0 src2=0
	v_mul_i32_i24_e32 v217, v3 /*v259*/, v243
	s_set_vgpr_msb 0                        ;  msbs: dst=0 src0=0 src1=0 src2=0
	v_add3_u32 v129, v129, v108, v131
	v_add3_u32 v124, v124, v208, v109
	s_set_vgpr_msb 1                        ;  msbs: dst=0 src0=1 src1=0 src2=0
	v_mul_i32_i24_e32 v109, v119 /*v375*/, v211
	s_set_vgpr_msb 4                        ;  msbs: dst=0 src0=0 src1=1 src2=0
	v_mul_i32_i24_e32 v208, v140, v0 /*v256*/
	s_set_vgpr_msb 5                        ;  msbs: dst=0 src0=1 src1=1 src2=0
	v_mul_i32_i24_e32 v108, v102 /*v358*/, v1 /*v257*/
	s_set_vgpr_msb 0                        ;  msbs: dst=0 src0=0 src1=0 src2=0
	v_mul_i32_i24_e32 v131, v140, v244
	v_mul_i32_i24_e32 v240, v122, v243
	v_add3_u32 v113, v113, v209, v109
	s_set_vgpr_msb 1                        ;  msbs: dst=0 src0=1 src1=0 src2=0
	v_mul_i32_i24_e32 v109, v102 /*v358*/, v243
	s_set_vgpr_msb 4                        ;  msbs: dst=0 src0=0 src1=1 src2=0
	v_mul_i32_i24_e32 v209, v140, v124 /*v380*/
	s_set_vgpr_msb 0x41                     ;  msbs: dst=1 src0=1 src1=0 src2=0
	v_add3_u32 v53 /*v309*/, v4 /*v260*/, v208, v108
	s_set_vgpr_msb 5                        ;  msbs: dst=0 src0=1 src1=1 src2=0
	v_mul_i32_i24_e32 v108, v102 /*v358*/, v40 /*v296*/
	s_set_vgpr_msb 1                        ;  msbs: dst=0 src0=1 src1=0 src2=0
	v_mul_i32_i24_e32 v243, v44 /*v300*/, v225
	s_set_vgpr_msb 64                       ;  msbs: dst=1 src0=0 src1=0 src2=0
	v_mul_i32_i24_e32 v117 /*v373*/, v237, v230
	s_set_vgpr_msb 0                        ;  msbs: dst=0 src0=0 src1=0 src2=0
	v_mul_i32_i24_e32 v140, v140, v230
	s_set_vgpr_msb 1                        ;  msbs: dst=0 src0=1 src1=0 src2=0
	v_mul_i32_i24_e32 v230, v111 /*v367*/, v132
	v_cvt_f32_f16_e64 v104, v89 /*v345*/
	s_set_vgpr_msb 0x44                     ;  msbs: dst=1 src0=0 src1=1 src2=0
	v_mul_i32_i24_e32 v33 /*v289*/, v251, v42 /*v298*/
	s_set_vgpr_msb 64                       ;  msbs: dst=1 src0=0 src1=0 src2=0
	v_add3_u32 v2 /*v258*/, v111, v209, v108
	s_set_vgpr_msb 1                        ;  msbs: dst=0 src0=1 src1=0 src2=0
	v_mul_i32_i24_e32 v111, v136 /*v392*/, v211
	v_mul_i32_i24_e32 v110, v10 /*v266*/, v110
	v_mul_i32_i24_e32 v216, v126 /*v382*/, v244
	s_set_vgpr_msb 64                       ;  msbs: dst=1 src0=0 src1=0 src2=0
	v_add3_u32 v89 /*v345*/, v221, v234, v233
	s_set_vgpr_msb 0                        ;  msbs: dst=0 src0=0 src1=0 src2=0
	v_mul_i32_i24_e32 v234, v232, v244
	s_set_vgpr_msb 1                        ;  msbs: dst=0 src0=1 src1=0 src2=0
	v_mul_i32_i24_e32 v244, v47 /*v303*/, v225
	s_set_vgpr_msb 64                       ;  msbs: dst=1 src0=0 src1=0 src2=0
	v_add3_u32 v196 /*v452*/, v126, v243, v230
	s_set_vgpr_msb 1                        ;  msbs: dst=0 src0=1 src1=0 src2=0
	v_mul_i32_i24_e32 v126, v35 /*v291*/, v132
	s_set_vgpr_msb 64                       ;  msbs: dst=1 src0=0 src1=0 src2=0
	v_mul_i32_i24_e32 v51 /*v307*/, v227, v252
	s_set_vgpr_msb 1                        ;  msbs: dst=0 src0=1 src1=0 src2=0
	v_mul_i32_i24_e32 v254, v43 /*v299*/, v236
	v_mul_i32_i24_e32 v252, v56 /*v312*/, v246
	v_add3_u32 v131, v6 /*v262*/, v131, v109
	v_cvt_f32_f16_e64 v109, v14 /*v270*/
	s_set_vgpr_msb 0x41                     ;  msbs: dst=1 src0=1 src1=0 src2=0
	v_add3_u32 v14 /*v270*/, v27 /*v283*/, v110, v111
	s_set_vgpr_msb 5                        ;  msbs: dst=0 src0=1 src1=1 src2=0
	v_mul_i32_i24_e32 v110, v126 /*v382*/, v0 /*v256*/
	v_mul_i32_i24_e32 v111, v3 /*v259*/, v1 /*v257*/
	s_set_vgpr_msb 0x55                     ;  msbs: dst=1 src0=1 src1=1 src2=1
	v_add3_u32 v27 /*v283*/, v30 /*v286*/, v39 /*v295*/, v97 /*v353*/
	s_set_vgpr_msb 0x54                     ;  msbs: dst=1 src0=0 src1=1 src2=1
	v_add3_u32 v97 /*v353*/, v226, v36 /*v292*/, v33 /*v289*/
	s_set_vgpr_msb 0                        ;  msbs: dst=0 src0=0 src1=0 src2=0
	v_mul_i32_i24_e32 v226, v242, v225
	s_set_vgpr_msb 1                        ;  msbs: dst=0 src0=1 src1=0 src2=0
	v_mul_i32_i24_e32 v242, v12 /*v268*/, v225
	s_set_vgpr_msb 0x41                     ;  msbs: dst=1 src0=1 src1=0 src2=0
	v_mul_i32_i24_e32 v12 /*v268*/, v71 /*v327*/, v225
	s_set_vgpr_msb 64                       ;  msbs: dst=1 src0=0 src1=0 src2=0
	v_add3_u32 v197 /*v453*/, v124, v244, v126
	s_set_vgpr_msb 1                        ;  msbs: dst=0 src0=1 src1=0 src2=0
	v_mul_i32_i24_e32 v124, v13 /*v269*/, v132
	v_mul_i32_i24_e32 v106, v9 /*v265*/, v135
	s_set_vgpr_msb 0                        ;  msbs: dst=0 src0=0 src1=0 src2=0
	v_mul_i32_i24_e32 v203, v245, v247
	s_set_vgpr_msb 1                        ;  msbs: dst=0 src0=1 src1=0 src2=0
	v_mul_i32_i24_e32 v245, v57 /*v313*/, v236
	s_set_vgpr_msb 0x41                     ;  msbs: dst=1 src0=1 src1=0 src2=0
	v_mul_i32_i24_e32 v9 /*v265*/, v67 /*v323*/, v246
	s_set_vgpr_msb 0x45                     ;  msbs: dst=1 src0=1 src1=1 src2=0
	v_mul_i32_i24_e32 v4 /*v260*/, v43 /*v299*/, v42 /*v298*/
	v_mul_i32_i24_e32 v6 /*v262*/, v56 /*v312*/, v94 /*v350*/
	s_set_vgpr_msb 5                        ;  msbs: dst=0 src0=1 src1=1 src2=0
	v_mul_i32_i24_e32 v218, v126 /*v382*/, v124 /*v380*/
	s_set_vgpr_msb 0x41                     ;  msbs: dst=1 src0=1 src1=0 src2=0
	v_add3_u32 v41 /*v297*/, v31 /*v287*/, v110, v111
	s_set_vgpr_msb 5                        ;  msbs: dst=0 src0=1 src1=1 src2=0
	v_mul_i32_i24_e32 v110, v3 /*v259*/, v40 /*v296*/
	s_set_vgpr_msb 0x41                     ;  msbs: dst=1 src0=1 src1=0 src2=0
	v_add3_u32 v106 /*v362*/, v11 /*v267*/, v252, v254
	v_mul_i32_i24_e32 v11 /*v267*/, v86 /*v342*/, v225
	s_set_vgpr_msb 0x44                     ;  msbs: dst=1 src0=0 src1=1 src2=0
	v_add3_u32 v198 /*v454*/, v113, v12 /*v268*/, v124
	s_set_vgpr_msb 1                        ;  msbs: dst=0 src0=1 src1=0 src2=0
	v_mul_i32_i24_e32 v113, v85 /*v341*/, v132
	s_set_vgpr_msb 0x44                     ;  msbs: dst=1 src0=0 src1=1 src2=0
	v_mul_i32_i24_e32 v52 /*v308*/, v143, v19 /*v275*/
	v_mul_i32_i24_e32 v23 /*v279*/, v224, v124 /*v380*/
	v_mul_i32_i24_e32 v29 /*v285*/, v248, v104 /*v360*/
	s_set_vgpr_msb 1                        ;  msbs: dst=0 src0=1 src1=0 src2=0
	v_cvt_f32_f16_e64 v108, v16 /*v272*/
	s_set_vgpr_msb 0x45                     ;  msbs: dst=1 src0=1 src1=1 src2=0
	v_mul_i32_i24_e32 v10 /*v266*/, v57 /*v313*/, v42 /*v298*/
	v_mul_i32_i24_e32 v16 /*v272*/, v67 /*v323*/, v94 /*v350*/
	;; [unrolled: 1-line block ×3, first 2 shown]
	s_set_vgpr_msb 0x41                     ;  msbs: dst=1 src0=1 src1=0 src2=0
	v_add3_u32 v87 /*v343*/, v37 /*v293*/, v218, v110
	s_set_vgpr_msb 64                       ;  msbs: dst=1 src0=0 src1=0 src2=0
	v_mul_i32_i24_e32 v104 /*v360*/, v119, v133
	s_set_vgpr_msb 5                        ;  msbs: dst=0 src0=1 src1=1 src2=0
	v_cvt_f32_f16_e64 v110, v20 /*v276*/
	v_mul_i32_i24_e32 v254, v63 /*v319*/, v42 /*v298*/
	s_set_vgpr_msb 0x45                     ;  msbs: dst=1 src0=1 src1=1 src2=0
	v_mul_i32_i24_e32 v20 /*v276*/, v129 /*v385*/, v94 /*v350*/
	s_set_vgpr_msb 0x44                     ;  msbs: dst=1 src0=0 src1=1 src2=0
	v_add3_u32 v107 /*v363*/, v231, v9 /*v265*/, v245
	s_set_vgpr_msb 0x55                     ;  msbs: dst=1 src0=1 src1=1 src2=1
	v_add3_u32 v109 /*v365*/, v45 /*v301*/, v6 /*v262*/, v4 /*v260*/
	s_set_vgpr_msb 0                        ;  msbs: dst=0 src0=0 src1=0 src2=0
	v_mul_i32_i24_e32 v231, v249, v132
	s_set_vgpr_msb 0x45                     ;  msbs: dst=1 src0=1 src1=1 src2=0
	v_add3_u32 v150 /*v406*/, v14 /*v270*/, v11 /*v267*/, v113
	s_set_vgpr_msb 0                        ;  msbs: dst=0 src0=0 src1=0 src2=0
	v_mul_i32_i24_e32 v113, v248, v132
	s_set_vgpr_msb 5                        ;  msbs: dst=0 src0=1 src1=1 src2=0
	v_mul_i32_i24_e32 v151, v48 /*v304*/, v21 /*v277*/
	s_set_vgpr_msb 4                        ;  msbs: dst=0 src0=0 src1=1 src2=0
	v_mul_i32_i24_e32 v153, v130, v90 /*v346*/
	s_set_vgpr_msb 1                        ;  msbs: dst=0 src0=1 src1=0 src2=0
	v_cvt_f32_f16_e64 v105, v82 /*v338*/
	s_set_vgpr_msb 0x44                     ;  msbs: dst=1 src0=0 src1=1 src2=0
	v_mul_i32_i24_e32 v59 /*v315*/, v227, v122 /*v378*/
	s_set_vgpr_msb 1                        ;  msbs: dst=0 src0=1 src1=0 src2=0
	v_mul_i32_i24_e32 v200, v48 /*v304*/, v133
	s_set_vgpr_msb 4                        ;  msbs: dst=0 src0=0 src1=1 src2=0
	v_mul_i32_i24_e32 v201, v130, v92 /*v348*/
	s_set_vgpr_msb 0                        ;  msbs: dst=0 src0=0 src1=0 src2=0
	v_add3_u32 v116, v116, v203, v106
	s_set_vgpr_msb 0x44                     ;  msbs: dst=1 src0=0 src1=1 src2=0
	v_mul_i32_i24_e32 v82 /*v338*/, v121, v21 /*v277*/
	s_set_vgpr_msb 20                       ;  msbs: dst=0 src0=0 src1=1 src2=1
	v_add3_u32 v139, v139, v29 /*v285*/, v23 /*v279*/
	s_set_vgpr_msb 1                        ;  msbs: dst=0 src0=1 src1=0 src2=0
	v_cvt_f32_f16_e64 v111, v17 /*v273*/
	s_set_vgpr_msb 4                        ;  msbs: dst=0 src0=0 src1=1 src2=0
	v_mul_i32_i24_e32 v233, v232, v0 /*v256*/
	v_mul_i32_i24_e32 v232, v232, v124 /*v380*/
	;; [unrolled: 1-line block ×4, first 2 shown]
	s_set_vgpr_msb 0x41                     ;  msbs: dst=1 src0=1 src1=0 src2=0
	v_mul_i32_i24_e32 v17 /*v273*/, v63 /*v319*/, v236
	s_set_vgpr_msb 1                        ;  msbs: dst=0 src0=1 src1=0 src2=0
	v_mul_i32_i24_e32 v252, v129 /*v385*/, v246
	s_set_vgpr_msb 0x44                     ;  msbs: dst=1 src0=0 src1=1 src2=0
	v_mul_i32_i24_e32 v0 /*v256*/, v224, v0 /*v256*/
	v_mul_i32_i24_e32 v23 /*v279*/, v251, v81 /*v337*/
	s_set_vgpr_msb 0x45                     ;  msbs: dst=1 src0=1 src1=1 src2=0
	v_mul_i32_i24_e32 v9 /*v265*/, v8 /*v264*/, v120 /*v376*/
	s_set_vgpr_msb 0x41                     ;  msbs: dst=1 src0=1 src1=0 src2=0
	v_mul_i32_i24_e32 v29 /*v285*/, v25 /*v281*/, v236
	v_mul_i32_i24_e32 v30 /*v286*/, v130 /*v386*/, v246
	s_set_vgpr_msb 0x55                     ;  msbs: dst=1 src0=1 src1=1 src2=1
	v_add3_u32 v114 /*v370*/, v22 /*v278*/, v16 /*v272*/, v10 /*v266*/
	s_set_vgpr_msb 0                        ;  msbs: dst=0 src0=0 src1=0 src2=0
	v_mul_i32_i24_e32 v224, v235, v132
	v_add3_u32 v225, v238, v234, v240
	s_set_vgpr_msb 0x41                     ;  msbs: dst=1 src0=1 src1=0 src2=0
	v_add3_u32 v188 /*v444*/, v24 /*v280*/, v242, v231
	s_set_vgpr_msb 0x45                     ;  msbs: dst=1 src0=1 src1=1 src2=0
	v_mul_i32_i24_e32 v47 /*v303*/, v103 /*v359*/, v120 /*v376*/
	s_set_vgpr_msb 0x41                     ;  msbs: dst=1 src0=1 src1=0 src2=0
	v_mul_i32_i24_e32 v68 /*v324*/, v103 /*v359*/, v246
	s_set_vgpr_msb 64                       ;  msbs: dst=1 src0=0 src1=0 src2=0
	v_mul_i32_i24_e32 v112 /*v368*/, v250, v229
	s_set_vgpr_msb 0                        ;  msbs: dst=0 src0=0 src1=0 src2=0
	v_mul_i32_i24_e32 v227, v227, v247
	s_set_vgpr_msb 5                        ;  msbs: dst=0 src0=1 src1=1 src2=0
	v_mul_i32_i24_e32 v117, v103 /*v359*/, v94 /*v350*/
	s_set_vgpr_msb 4                        ;  msbs: dst=0 src0=0 src1=1 src2=0
	v_mul_i32_i24_e32 v229, v228, v1 /*v257*/
	s_set_vgpr_msb 5                        ;  msbs: dst=0 src0=1 src1=1 src2=0
	v_mul_i32_i24_e32 v231, v49 /*v305*/, v142 /*v398*/
	s_set_vgpr_msb 1                        ;  msbs: dst=0 src0=1 src1=0 src2=0
	v_mul_i32_i24_e32 v234, v28 /*v284*/, v236
	s_set_vgpr_msb 5                        ;  msbs: dst=0 src0=1 src1=1 src2=0
	v_mul_i32_i24_e32 v238, v28 /*v284*/, v42 /*v298*/
	v_add3_u32 v247, v2 /*v258*/, v20 /*v276*/, v254
	v_mul_i32_i24_e32 v243, v28 /*v284*/, v81 /*v337*/
	v_mul_i32_i24_e32 v249, v158 /*v414*/, v142 /*v398*/
	s_set_vgpr_msb 0x44                     ;  msbs: dst=1 src0=0 src1=1 src2=0
	v_mul_i32_i24_e32 v1 /*v257*/, v121, v142 /*v398*/
	v_mul_i32_i24_e32 v2 /*v258*/, v119, v142 /*v398*/
	s_set_vgpr_msb 0x51                     ;  msbs: dst=1 src0=1 src1=0 src2=1
	v_add3_u32 v28 /*v284*/, v27 /*v283*/, v113, v60 /*v316*/
	s_set_vgpr_msb 0x45                     ;  msbs: dst=1 src0=1 src1=1 src2=0
	v_mul_i32_i24_e32 v4 /*v260*/, v156 /*v412*/, v142 /*v398*/
	v_mul_i32_i24_e32 v12 /*v268*/, v160 /*v416*/, v142 /*v398*/
	;; [unrolled: 1-line block ×4, first 2 shown]
	s_set_vgpr_msb 0x41                     ;  msbs: dst=1 src0=1 src1=0 src2=0
	v_mul_i32_i24_e32 v27 /*v283*/, v32 /*v288*/, v133
	s_set_vgpr_msb 0x55                     ;  msbs: dst=1 src0=1 src1=1 src2=1
	v_mul_i32_i24_e32 v32 /*v288*/, v32 /*v288*/, v142 /*v398*/
	v_add3_u32 v123 /*v379*/, v89 /*v345*/, v46 /*v302*/, v51 /*v307*/
	v_add3_u32 v126 /*v382*/, v91 /*v347*/, v52 /*v308*/, v55 /*v311*/
	v_mul_i32_i24_e32 v48 /*v304*/, v48 /*v304*/, v142 /*v398*/
	s_set_vgpr_msb 0x41                     ;  msbs: dst=1 src0=1 src1=0 src2=0
	v_mul_i32_i24_e32 v55 /*v311*/, v95 /*v351*/, v130
	s_set_vgpr_msb 0x55                     ;  msbs: dst=1 src0=1 src1=1 src2=1
	v_add3_u32 v131 /*v387*/, v97 /*v353*/, v72 /*v328*/, v77 /*v333*/
	v_mul_i32_i24_e32 v85 /*v341*/, v95 /*v351*/, v167 /*v423*/
	v_mul_i32_i24_e32 v89 /*v345*/, v95 /*v351*/, v140 /*v396*/
	v_mul_i32_i24_e32 v97 /*v353*/, v95 /*v351*/, v141 /*v397*/
	v_mul_i32_i24_e32 v103 /*v359*/, v169 /*v425*/, v95 /*v351*/
	v_add3_u32 v142 /*v398*/, v109 /*v365*/, v101 /*v357*/, v104 /*v360*/
	v_mul_i32_i24_e32 v109 /*v365*/, v171 /*v427*/, v95 /*v351*/
	v_mul_i32_i24_e32 v127 /*v383*/, v95 /*v351*/, v96 /*v352*/
	s_set_vgpr_msb 0x44                     ;  msbs: dst=1 src0=0 src1=1 src2=0
	v_mul_i32_i24_e32 v95 /*v351*/, v130, v93 /*v349*/
	s_set_vgpr_msb 4                        ;  msbs: dst=0 src0=0 src1=1 src2=0
	v_dual_lshrrev_b32 v130, 16, v146 /*v402*/ :: v_dual_lshrrev_b32 v132, 16, v145 /*v401*/
	s_set_vgpr_msb 1                        ;  msbs: dst=0 src0=1 src1=0 src2=0
	v_mul_i32_i24_e32 v198, v15 /*v271*/, v236
	s_set_vgpr_msb 5                        ;  msbs: dst=0 src0=1 src1=1 src2=0
	v_mul_i32_i24_e32 v207, v18 /*v274*/, v125 /*v381*/
	v_mul_i32_i24_e32 v202, v54 /*v310*/, v94 /*v350*/
	s_set_vgpr_msb 0x45                     ;  msbs: dst=1 src0=1 src1=1 src2=0
	v_mul_i32_i24_e32 v83 /*v339*/, v116 /*v372*/, v19 /*v275*/
	s_set_vgpr_msb 0x44                     ;  msbs: dst=1 src0=0 src1=1 src2=0
	v_mul_i32_i24_e32 v84 /*v340*/, v119, v21 /*v277*/
	s_set_vgpr_msb 0x45                     ;  msbs: dst=1 src0=1 src1=1 src2=0
	v_mul_i32_i24_e32 v98 /*v354*/, v105 /*v361*/, v125 /*v381*/
	s_set_vgpr_msb 0x41                     ;  msbs: dst=1 src0=1 src1=0 src2=0
	v_add3_u32 v58 /*v314*/, v34 /*v290*/, v216, v217
	s_set_vgpr_msb 64                       ;  msbs: dst=1 src0=0 src1=0 src2=0
	v_mul_i32_i24_e32 v99 /*v355*/, v121, v133
	s_set_vgpr_msb 0                        ;  msbs: dst=0 src0=0 src1=0 src2=0
	v_mul_i32_i24_e32 v135, v248, v135
	s_set_vgpr_msb 0x45                     ;  msbs: dst=1 src0=1 src1=1 src2=0
	v_mul_i32_i24_e32 v31 /*v287*/, v25 /*v281*/, v42 /*v298*/
	v_mul_i32_i24_e32 v16 /*v272*/, v130 /*v386*/, v94 /*v350*/
	;; [unrolled: 1-line block ×3, first 2 shown]
	s_set_vgpr_msb 0                        ;  msbs: dst=0 src0=0 src1=0 src2=0
	v_add3_u32 v114, v114, v226, v224
	s_set_vgpr_msb 0x45                     ;  msbs: dst=1 src0=1 src1=1 src2=0
	v_mul_i32_i24_e32 v36 /*v292*/, v130 /*v386*/, v120 /*v376*/
	v_mul_i32_i24_e32 v37 /*v293*/, v43 /*v299*/, v81 /*v337*/
	s_set_vgpr_msb 0                        ;  msbs: dst=0 src0=0 src1=0 src2=0
	v_add3_u32 v224, v116, v233, v239
	s_set_vgpr_msb 5                        ;  msbs: dst=0 src0=1 src1=1 src2=0
	v_mul_i32_i24_e32 v116, v56 /*v312*/, v120 /*v376*/
	s_set_vgpr_msb 0x45                     ;  msbs: dst=1 src0=1 src1=1 src2=0
	v_mul_i32_i24_e32 v38 /*v294*/, v57 /*v313*/, v81 /*v337*/
	v_mul_i32_i24_e32 v39 /*v295*/, v67 /*v323*/, v120 /*v376*/
	;; [unrolled: 1-line block ×3, first 2 shown]
	s_set_vgpr_msb 0                        ;  msbs: dst=0 src0=0 src1=0 src2=0
	v_add3_u32 v226, v241, v232, v122
	s_set_vgpr_msb 5                        ;  msbs: dst=0 src0=1 src1=1 src2=0
	v_mul_i32_i24_e32 v122, v129 /*v385*/, v120 /*v376*/
	s_set_vgpr_msb 0x45                     ;  msbs: dst=1 src0=1 src1=1 src2=0
	v_mul_i32_i24_e32 v45 /*v301*/, v133 /*v389*/, v81 /*v337*/
	s_set_vgpr_msb 0x41                     ;  msbs: dst=1 src0=1 src1=0 src2=0
	v_mul_i32_i24_e32 v71 /*v327*/, v133 /*v389*/, v236
	s_set_vgpr_msb 5                        ;  msbs: dst=0 src0=1 src1=1 src2=0
	v_mul_i32_i24_e32 v115, v133 /*v389*/, v42 /*v298*/
	v_mul_i32_i24_e32 v232, v143 /*v399*/, v125 /*v381*/
	s_set_vgpr_msb 16                       ;  msbs: dst=0 src0=0 src1=0 src2=1
	v_add3_u32 v242, v131, v252, v17 /*v273*/
	s_set_vgpr_msb 5                        ;  msbs: dst=0 src0=1 src1=1 src2=0
	v_mul_i32_i24_e32 v241, v157 /*v413*/, v125 /*v381*/
	s_set_vgpr_msb 0x54                     ;  msbs: dst=1 src0=0 src1=1 src2=1
	v_add3_u32 v33 /*v289*/, v255, v9 /*v265*/, v23 /*v279*/
	v_add3_u32 v30 /*v286*/, v253, v30 /*v286*/, v29 /*v285*/
	s_set_vgpr_msb 4                        ;  msbs: dst=0 src0=0 src1=1 src2=0
	v_mul_i32_i24_e32 v251, v251, v7 /*v263*/
	s_set_vgpr_msb 5                        ;  msbs: dst=0 src0=1 src1=1 src2=0
	v_mul_i32_i24_e32 v252, v25 /*v281*/, v7 /*v263*/
	v_mul_i32_i24_e32 v253, v57 /*v313*/, v7 /*v263*/
	;; [unrolled: 1-line block ×5, first 2 shown]
	s_set_vgpr_msb 0x45                     ;  msbs: dst=1 src0=1 src1=1 src2=0
	v_mul_i32_i24_e32 v29 /*v285*/, v159 /*v415*/, v125 /*v381*/
	v_mul_i32_i24_e32 v7 /*v263*/, v8 /*v264*/, v5 /*v261*/
	;; [unrolled: 1-line block ×4, first 2 shown]
	s_set_vgpr_msb 0x54                     ;  msbs: dst=1 src0=0 src1=1 src2=1
	v_add3_u32 v125 /*v381*/, v139, v66 /*v322*/, v59 /*v315*/
	s_set_vgpr_msb 64                       ;  msbs: dst=1 src0=0 src1=0 src2=0
	v_mul_i32_i24_e32 v59 /*v315*/, v134, v128
	s_set_vgpr_msb 0x44                     ;  msbs: dst=1 src0=0 src1=1 src2=0
	v_mul_i32_i24_e32 v91 /*v347*/, v134, v168 /*v424*/
	s_set_vgpr_msb 0x55                     ;  msbs: dst=1 src0=1 src1=1 src2=1
	v_add3_u32 v136 /*v392*/, v107 /*v363*/, v78 /*v334*/, v82 /*v338*/
	s_set_vgpr_msb 0x44                     ;  msbs: dst=1 src0=0 src1=1 src2=0
	v_mul_i32_i24_e32 v102 /*v358*/, v134, v154 /*v410*/
	s_set_vgpr_msb 0x41                     ;  msbs: dst=1 src0=1 src1=0 src2=0
	v_mul_i32_i24_e32 v107 /*v363*/, v170 /*v426*/, v134
	v_mul_i32_i24_e32 v111 /*v367*/, v172 /*v428*/, v134
	s_set_vgpr_msb 0x44                     ;  msbs: dst=1 src0=0 src1=1 src2=0
	v_mul_i32_i24_e32 v130 /*v386*/, v134, v155 /*v411*/
	s_set_vgpr_msb 0                        ;  msbs: dst=0 src0=0 src1=0 src2=0
	v_cvt_f32_f16_e64 v131, v130
	v_cvt_f32_f16_e64 v130, v132
	;; [unrolled: 1-line block ×3, first 2 shown]
	v_lshrrev_b32_e32 v136, 16, v136
	v_mul_i32_i24_e32 v236, v123, v246
	s_set_vgpr_msb 4                        ;  msbs: dst=0 src0=0 src1=1 src2=0
	v_mul_i32_i24_e32 v240, v123, v94 /*v350*/
	s_set_vgpr_msb 0x44                     ;  msbs: dst=1 src0=0 src1=1 src2=0
	v_mul_i32_i24_e32 v94 /*v350*/, v134, v144 /*v400*/
	s_set_vgpr_msb 0                        ;  msbs: dst=0 src0=0 src1=0 src2=0
	v_lshrrev_b32_e32 v134, 16, v137
	s_set_vgpr_msb 4                        ;  msbs: dst=0 src0=0 src1=1 src2=0
	v_mul_i32_i24_e32 v155, v141, v61 /*v317*/
	v_mul_i32_i24_e32 v197, v112, v64 /*v320*/
	s_set_vgpr_msb 5                        ;  msbs: dst=0 src0=1 src1=1 src2=0
	v_mul_i32_i24_e32 v199, v18 /*v274*/, v19 /*v275*/
	s_set_vgpr_msb 1                        ;  msbs: dst=0 src0=1 src1=0 src2=0
	v_mul_i32_i24_e32 v152, v54 /*v310*/, v246
	s_set_vgpr_msb 0                        ;  msbs: dst=0 src0=0 src1=0 src2=0
	v_mul_i32_i24_e32 v154, v128, v142
	s_set_vgpr_msb 4                        ;  msbs: dst=0 src0=0 src1=1 src2=0
	v_mul_i32_i24_e32 v204, v141, v69 /*v325*/
	v_mul_i32_i24_e32 v205, v112, v70 /*v326*/
	s_set_vgpr_msb 5                        ;  msbs: dst=0 src0=1 src1=1 src2=0
	v_mul_i32_i24_e32 v206, v15 /*v271*/, v42 /*v298*/
	s_set_vgpr_msb 0                        ;  msbs: dst=0 src0=0 src1=0 src2=0
	v_mul_i32_i24_e32 v203, v128, v138
	s_set_vgpr_msb 5                        ;  msbs: dst=0 src0=1 src1=1 src2=0
	v_mul_i32_i24_e32 v212, v61 /*v317*/, v128 /*v384*/
	v_mul_i32_i24_e32 v213, v64 /*v320*/, v134 /*v390*/
	;; [unrolled: 1-line block ×5, first 2 shown]
	s_set_vgpr_msb 4                        ;  msbs: dst=0 src0=0 src1=1 src2=0
	v_mul_i32_i24_e32 v209, v142, v144 /*v400*/
	s_set_vgpr_msb 5                        ;  msbs: dst=0 src0=1 src1=1 src2=0
	v_mul_i32_i24_e32 v210, v90 /*v346*/, v141 /*v397*/
	v_mul_i32_i24_e32 v220, v69 /*v325*/, v128 /*v384*/
	;; [unrolled: 1-line block ×6, first 2 shown]
	s_set_vgpr_msb 4                        ;  msbs: dst=0 src0=0 src1=1 src2=0
	v_mul_i32_i24_e32 v218, v138, v144 /*v400*/
	s_set_vgpr_msb 5                        ;  msbs: dst=0 src0=1 src1=1 src2=0
	v_mul_i32_i24_e32 v217, v92 /*v348*/, v141 /*v397*/
	s_set_vgpr_msb 4                        ;  msbs: dst=0 src0=0 src1=1 src2=0
	v_mul_i32_i24_e32 v219, v138, v154 /*v410*/
	v_mul_i32_i24_e32 v228, v143, v139 /*v395*/
	s_set_vgpr_msb 5                        ;  msbs: dst=0 src0=1 src1=1 src2=0
	v_mul_i32_i24_e32 v230, v143 /*v399*/, v19 /*v275*/
	v_mul_i32_i24_e32 v233, v156 /*v412*/, v21 /*v277*/
	s_set_vgpr_msb 1                        ;  msbs: dst=0 src0=1 src1=0 src2=0
	v_mul_i32_i24_e32 v235, v156 /*v412*/, v133
	s_set_vgpr_msb 5                        ;  msbs: dst=0 src0=1 src1=1 src2=0
	v_mul_i32_i24_e32 v237, v157 /*v413*/, v19 /*v275*/
	v_mul_i32_i24_e32 v239, v158 /*v414*/, v21 /*v277*/
	s_set_vgpr_msb 1                        ;  msbs: dst=0 src0=1 src1=0 src2=0
	v_mul_i32_i24_e32 v244, v158 /*v414*/, v133
	s_set_vgpr_msb 4                        ;  msbs: dst=0 src0=0 src1=1 src2=0
	v_mul_i32_i24_e32 v245, v123, v120 /*v376*/
	s_set_vgpr_msb 5                        ;  msbs: dst=0 src0=1 src1=1 src2=0
	v_mul_i32_i24_e32 v246, v157 /*v413*/, v139 /*v395*/
	v_mul_i32_i24_e32 v250, v105 /*v361*/, v139 /*v395*/
	s_set_vgpr_msb 0x51                     ;  msbs: dst=1 src0=1 src1=0 src2=1
	v_add3_u32 v20 /*v276*/, v26 /*v282*/, v135, v0 /*v256*/
	s_set_vgpr_msb 0x45                     ;  msbs: dst=1 src0=1 src1=1 src2=0
	v_mul_i32_i24_e32 v0 /*v256*/, v116 /*v372*/, v139 /*v395*/
	v_mul_i32_i24_e32 v3 /*v259*/, v143 /*v399*/, v139 /*v395*/
	;; [unrolled: 1-line block ×8, first 2 shown]
	s_set_vgpr_msb 0x54                     ;  msbs: dst=1 src0=0 src1=1 src2=1
	v_add3_u32 v62 /*v318*/, v127, v16 /*v272*/, v31 /*v287*/
	s_set_vgpr_msb 64                       ;  msbs: dst=1 src0=0 src1=0 src2=0
	v_mul_i32_i24_e32 v13 /*v269*/, v141, v120
	s_set_vgpr_msb 0x55                     ;  msbs: dst=1 src0=1 src1=1 src2=1
	v_mul_i32_i24_e32 v15 /*v271*/, v15 /*v271*/, v81 /*v337*/
	v_mul_i32_i24_e32 v18 /*v274*/, v18 /*v274*/, v139 /*v395*/
	;; [unrolled: 1-line block ×4, first 2 shown]
	v_add3_u32 v79 /*v335*/, v50 /*v306*/, v36 /*v292*/, v34 /*v290*/
	v_mul_i32_i24_e32 v23 /*v279*/, v64 /*v320*/, v162 /*v418*/
	v_mul_i32_i24_e32 v26 /*v282*/, v69 /*v325*/, v161 /*v417*/
	v_mul_i32_i24_e32 v25 /*v281*/, v115 /*v371*/, v139 /*v395*/
	v_mul_i32_i24_e32 v31 /*v287*/, v70 /*v326*/, v162 /*v418*/
	s_set_vgpr_msb 0x50                     ;  msbs: dst=1 src0=0 src1=0 src2=1
	v_add3_u32 v100 /*v356*/, v129, v116, v37 /*v293*/
	s_set_vgpr_msb 0x54                     ;  msbs: dst=1 src0=0 src1=1 src2=1
	v_add3_u32 v108 /*v364*/, v125, v39 /*v295*/, v38 /*v294*/
	v_mul_i32_i24_e32 v36 /*v292*/, v120, v128 /*v384*/
	v_mul_i32_i24_e32 v37 /*v293*/, v118, v134 /*v390*/
	s_set_vgpr_msb 0x51                     ;  msbs: dst=1 src0=1 src1=0 src2=1
	v_add3_u32 v110 /*v366*/, v53 /*v309*/, v122, v44 /*v300*/
	s_set_vgpr_msb 0x44                     ;  msbs: dst=1 src0=0 src1=1 src2=0
	v_mul_i32_i24_e32 v38 /*v294*/, v120, v135 /*v391*/
	s_set_vgpr_msb 0x55                     ;  msbs: dst=1 src0=1 src1=1 src2=1
	v_add3_u32 v113 /*v369*/, v41 /*v297*/, v47 /*v303*/, v45 /*v301*/
	v_add3_u32 v115 /*v371*/, v58 /*v314*/, v68 /*v324*/, v71 /*v327*/
	s_set_vgpr_msb 0x41                     ;  msbs: dst=1 src0=1 src1=0 src2=0
	v_add3_u32 v122 /*v378*/, v87 /*v343*/, v117, v115
	s_set_vgpr_msb 0x45                     ;  msbs: dst=1 src0=1 src1=1 src2=0
	v_mul_i32_i24_e32 v50 /*v306*/, v163 /*v419*/, v61 /*v317*/
	v_mul_i32_i24_e32 v53 /*v309*/, v164 /*v420*/, v64 /*v320*/
	;; [unrolled: 1-line block ×19, first 2 shown]
	s_set_vgpr_msb 0x44                     ;  msbs: dst=1 src0=0 src1=1 src2=0
	v_mul_i32_i24_e32 v70 /*v326*/, v120, v76 /*v332*/
	s_set_vgpr_msb 0x45                     ;  msbs: dst=1 src0=1 src1=1 src2=0
	v_mul_i32_i24_e32 v76 /*v332*/, v92 /*v348*/, v167 /*v423*/
	s_set_vgpr_msb 0x44                     ;  msbs: dst=1 src0=0 src1=1 src2=0
	v_mul_i32_i24_e32 v77 /*v333*/, v118, v74 /*v330*/
	v_mul_i32_i24_e32 v81 /*v337*/, v138, v168 /*v424*/
	s_set_vgpr_msb 0x45                     ;  msbs: dst=1 src0=1 src1=1 src2=0
	v_mul_i32_i24_e32 v74 /*v330*/, v105 /*v361*/, v75 /*v331*/
	s_set_vgpr_msb 0x44                     ;  msbs: dst=1 src0=0 src1=1 src2=0
	v_mul_i32_i24_e32 v86 /*v342*/, v121, v73 /*v329*/
	v_mul_i32_i24_e32 v87 /*v343*/, v119, v73 /*v329*/
	s_set_vgpr_msb 0x55                     ;  msbs: dst=1 src0=1 src1=1 src2=1
	v_add3_u32 v138 /*v394*/, v106 /*v362*/, v83 /*v339*/, v84 /*v340*/
	v_add3_u32 v139 /*v395*/, v114 /*v370*/, v98 /*v354*/, v99 /*v355*/
	s_set_vgpr_msb 0x54                     ;  msbs: dst=1 src0=0 src1=1 src2=1
	v_add3_u32 v143 /*v399*/, v114, v117 /*v373*/, v112 /*v368*/
	s_set_vgpr_msb 0x45                     ;  msbs: dst=1 src0=1 src1=1 src2=0
	v_mul_i32_i24_e32 v112 /*v368*/, v169 /*v425*/, v90 /*v346*/
	s_set_vgpr_msb 0x44                     ;  msbs: dst=1 src0=0 src1=1 src2=0
	v_mul_i32_i24_e32 v82 /*v338*/, v141, v80 /*v336*/
	s_set_vgpr_msb 0x45                     ;  msbs: dst=1 src0=1 src1=1 src2=0
	v_mul_i32_i24_e32 v83 /*v339*/, v165 /*v421*/, v80 /*v336*/
	v_mul_i32_i24_e32 v84 /*v340*/, v80 /*v336*/, v163 /*v419*/
	;; [unrolled: 1-line block ×6, first 2 shown]
	s_set_vgpr_msb 0x44                     ;  msbs: dst=1 src0=0 src1=1 src2=0
	v_mul_i32_i24_e32 v104 /*v360*/, v112, v88 /*v344*/
	s_set_vgpr_msb 0x45                     ;  msbs: dst=1 src0=1 src1=1 src2=0
	v_mul_i32_i24_e32 v105 /*v361*/, v166 /*v422*/, v88 /*v344*/
	v_mul_i32_i24_e32 v106 /*v362*/, v164 /*v420*/, v88 /*v344*/
	;; [unrolled: 1-line block ×14, first 2 shown]
	s_set_vgpr_msb 0x44                     ;  msbs: dst=1 src0=0 src1=1 src2=0
	v_mul_i32_i24_e32 v133 /*v389*/, v138, v155 /*v411*/
	s_set_vgpr_msb 0x41                     ;  msbs: dst=1 src0=1 src1=0 src2=0
	v_mul_i32_i24_e32 v140 /*v396*/, v170 /*v426*/, v138
	v_mul_i32_i24_e32 v141 /*v397*/, v172 /*v428*/, v138
	s_set_vgpr_msb 0x44                     ;  msbs: dst=1 src0=0 src1=1 src2=0
	v_mul_i32_i24_e32 v117 /*v373*/, v128, v121 /*v377*/
	s_set_vgpr_msb 0x55                     ;  msbs: dst=1 src0=1 src1=1 src2=1
	v_mul_i32_i24_e32 v120 /*v376*/, v144 /*v400*/, v121 /*v377*/
	v_add3_u32 v144 /*v400*/, v188 /*v444*/, v189 /*v445*/, v192 /*v448*/
	s_set_vgpr_msb 1                        ;  msbs: dst=0 src0=1 src1=0 src2=0
	v_cvt_f32_f16_e64 v129, v146 /*v402*/
	v_cvt_f32_f16_e64 v128, v145 /*v401*/
	s_set_vgpr_msb 0x55                     ;  msbs: dst=1 src0=1 src1=1 src2=1
	v_add3_u32 v145 /*v401*/, v196 /*v452*/, v190 /*v446*/, v193 /*v449*/
	s_set_vgpr_msb 0                        ;  msbs: dst=0 src0=0 src1=0 src2=0
	v_cvt_f32_f16_e64 v135, v134
	v_cvt_f32_f16_e64 v134, v136
	s_set_vgpr_msb 0x55                     ;  msbs: dst=1 src0=1 src1=1 src2=1
	v_add3_u32 v146 /*v402*/, v197 /*v453*/, v191 /*v447*/, v194 /*v450*/
	s_set_vgpr_msb 1                        ;  msbs: dst=0 src0=1 src1=0 src2=0
	v_cvt_f32_f16_e64 v136, v147 /*v403*/
	s_set_vgpr_msb 4                        ;  msbs: dst=0 src0=0 src1=1 src2=0
	v_dual_lshrrev_b32 v138, 16, v153 /*v409*/ :: v_dual_lshrrev_b32 v141, 16, v147 /*v403*/
	s_set_vgpr_msb 0x51                     ;  msbs: dst=1 src0=1 src1=0 src2=1
	v_add3_u32 v147 /*v403*/, v198 /*v454*/, v140, v195 /*v451*/
	s_set_vgpr_msb 0x55                     ;  msbs: dst=1 src0=1 src1=1 src2=1
	v_add3_u32 v148 /*v404*/, v150 /*v406*/, v148 /*v404*/, v149 /*v405*/
	s_set_vgpr_msb 1                        ;  msbs: dst=0 src0=1 src1=0 src2=0
	v_add3_u32 v147, v28 /*v284*/, v147, v148
	s_set_vgpr_msb 0                        ;  msbs: dst=0 src0=0 src1=0 src2=0
	v_add3_u32 v225, v225, v236, v234
	v_add3_u32 v226, v226, v240, v238
	s_set_vgpr_msb 4                        ;  msbs: dst=0 src0=0 src1=1 src2=0
	v_mul_i32_i24_e32 v211, v142, v154 /*v410*/
	s_set_vgpr_msb 0x41                     ;  msbs: dst=1 src0=1 src1=0 src2=0
	v_mul_i32_i24_e32 v40 /*v296*/, v160 /*v416*/, v133
	s_set_vgpr_msb 64                       ;  msbs: dst=1 src0=0 src1=0 src2=0
	v_mul_i32_i24_e32 v16 /*v272*/, v112, v118
	s_set_vgpr_msb 0x44                     ;  msbs: dst=1 src0=0 src1=1 src2=0
	v_mul_i32_i24_e32 v34 /*v290*/, v120, v161 /*v417*/
	v_mul_i32_i24_e32 v35 /*v291*/, v118, v162 /*v418*/
	;; [unrolled: 1-line block ×3, first 2 shown]
	s_set_vgpr_msb 0x45                     ;  msbs: dst=1 src0=1 src1=1 src2=0
	v_mul_i32_i24_e32 v44 /*v300*/, v159 /*v415*/, v75 /*v331*/
	s_set_vgpr_msb 0x44                     ;  msbs: dst=1 src0=0 src1=1 src2=0
	v_mul_i32_i24_e32 v46 /*v302*/, v143, v75 /*v331*/
	s_set_vgpr_msb 0x45                     ;  msbs: dst=1 src0=1 src1=1 src2=0
	v_mul_i32_i24_e32 v57 /*v313*/, v157 /*v413*/, v75 /*v331*/
	v_mul_i32_i24_e32 v75 /*v331*/, v116 /*v372*/, v75 /*v331*/
	s_set_vgpr_msb 1                        ;  msbs: dst=0 src0=1 src1=0 src2=0
	v_add3_u32 v227, v20 /*v276*/, v229, v227
	v_add3_u32 v148, v33 /*v289*/, v228, v231
	s_set_vgpr_msb 0                        ;  msbs: dst=0 src0=0 src1=0 src2=0
	v_add3_u32 v228, v242, v230, v233
	v_add3_u32 v229, v247, v232, v235
	s_set_vgpr_msb 1                        ;  msbs: dst=0 src0=1 src1=0 src2=0
	v_add3_u32 v230, v30 /*v286*/, v237, v239
	v_add3_u32 v231, v62 /*v318*/, v241, v244
	s_set_vgpr_msb 0                        ;  msbs: dst=0 src0=0 src1=0 src2=0
	v_add3_u32 v224, v224, v245, v243
	s_set_vgpr_msb 1                        ;  msbs: dst=0 src0=1 src1=0 src2=0
	v_add3_u32 v232, v79 /*v335*/, v246, v249
	s_set_vgpr_msb 17                       ;  msbs: dst=0 src0=1 src1=0 src2=1
	v_add3_u32 v233, v108 /*v364*/, v250, v1 /*v257*/
	s_set_vgpr_msb 1                        ;  msbs: dst=0 src0=1 src1=0 src2=0
	v_add3_u32 v155, v126 /*v382*/, v155, v197
	v_add3_u32 v197, v123 /*v379*/, v198, v199
	;; [unrolled: 1-line block ×8, first 2 shown]
	s_set_vgpr_msb 5                        ;  msbs: dst=0 src0=1 src1=1 src2=0
	v_add3_u32 v212, v143 /*v399*/, v7 /*v263*/, v251
	v_add3_u32 v213, v144 /*v400*/, v8 /*v264*/, v252
	;; [unrolled: 1-line block ×5, first 2 shown]
	s_set_vgpr_msb 0                        ;  msbs: dst=0 src0=0 src1=0 src2=0
	v_add3_u32 v145, v147, v145, v146
	s_set_vgpr_msb 5                        ;  msbs: dst=0 src0=1 src1=1 src2=0
	v_add3_u32 v146, v147 /*v403*/, v5 /*v261*/, v248
	s_set_vgpr_msb 20                       ;  msbs: dst=0 src0=0 src1=1 src2=1
	v_add3_u32 v221, v225, v19 /*v275*/, v22 /*v278*/
	v_add3_u32 v223, v226, v24 /*v280*/, v27 /*v283*/
	s_set_vgpr_msb 0x44                     ;  msbs: dst=1 src0=0 src1=1 src2=0
	v_mul_i32_i24_e32 v41 /*v297*/, v120, v163 /*v419*/
	s_set_vgpr_msb 0x41                     ;  msbs: dst=1 src0=1 src1=0 src2=0
	v_mul_i32_i24_e32 v42 /*v298*/, v164 /*v420*/, v118
	v_mul_i32_i24_e32 v43 /*v299*/, v165 /*v421*/, v120
	;; [unrolled: 1-line block ×3, first 2 shown]
	s_set_vgpr_msb 0x44                     ;  msbs: dst=1 src0=0 src1=1 src2=0
	v_mul_i32_i24_e32 v68 /*v324*/, v142, v168 /*v424*/
	s_set_vgpr_msb 1                        ;  msbs: dst=0 src0=1 src1=0 src2=0
	v_cvt_f32_f16_e64 v114, v132 /*v388*/
	s_set_vgpr_msb 0x44                     ;  msbs: dst=1 src0=0 src1=1 src2=0
	v_mul_i32_i24_e32 v132 /*v388*/, v142, v155 /*v411*/
	s_set_vgpr_msb 21                       ;  msbs: dst=0 src0=1 src1=1 src2=1
	v_add3_u32 v234, v100 /*v356*/, v0 /*v256*/, v2 /*v258*/
	v_add3_u32 v235, v110 /*v366*/, v3 /*v259*/, v4 /*v260*/
	v_add3_u32 v236, v113 /*v369*/, v6 /*v262*/, v12 /*v268*/
	v_add3_u32 v237, v115 /*v371*/, v14 /*v270*/, v17 /*v273*/
	v_add3_u32 v238, v122 /*v378*/, v29 /*v285*/, v40 /*v296*/
	s_set_vgpr_msb 20                       ;  msbs: dst=0 src0=0 src1=1 src2=1
	v_add3_u32 v147, v148, v13 /*v269*/, v16 /*v272*/
	v_add3_u32 v148, v227, v15 /*v271*/, v18 /*v274*/
	;; [unrolled: 1-line block ×7, first 2 shown]
	s_set_vgpr_msb 0                        ;  msbs: dst=0 src0=0 src1=0 src2=0
	v_add3_u32 v151, v197, v151, v152
	v_add3_u32 v152, v155, v153, v154
	;; [unrolled: 1-line block ×8, first 2 shown]
	s_set_vgpr_msb 20                       ;  msbs: dst=0 src0=0 src1=1 src2=1
	v_add3_u32 v200, v220, v44 /*v300*/, v47 /*v303*/
	v_add3_u32 v201, v212, v46 /*v302*/, v51 /*v307*/
	;; [unrolled: 1-line block ×8, first 2 shown]
	s_set_vgpr_msb 1                        ;  msbs: dst=0 src0=1 src1=0 src2=0
	v_cvt_f32_f16_e64 v106, v118 /*v374*/
	s_set_vgpr_msb 0x41                     ;  msbs: dst=1 src0=1 src1=0 src2=0
	v_mul_i32_i24_e32 v114 /*v370*/, v170 /*v426*/, v142
	v_mul_i32_i24_e32 v137 /*v393*/, v172 /*v428*/, v142
	s_set_vgpr_msb 0x45                     ;  msbs: dst=1 src0=1 src1=1 src2=0
	v_mul_i32_i24_e32 v118 /*v374*/, v121 /*v377*/, v170 /*v426*/
	v_mul_i32_i24_e32 v116 /*v372*/, v121 /*v377*/, v172 /*v428*/
	v_mul_i32_i24_e32 v119 /*v375*/, v168 /*v424*/, v121 /*v377*/
	v_mul_i32_i24_e32 v121 /*v377*/, v154 /*v410*/, v121 /*v377*/
	s_set_vgpr_msb 20                       ;  msbs: dst=0 src0=0 src1=1 src2=1
	v_add3_u32 v227, v234, v36 /*v292*/, v37 /*v293*/
	v_add3_u32 v231, v236, v41 /*v297*/, v42 /*v298*/
	;; [unrolled: 1-line block ×7, first 2 shown]
	s_set_vgpr_msb 0                        ;  msbs: dst=0 src0=0 src1=0 src2=0
	v_add3_u32 v145, v145, v150, v149
	s_set_vgpr_msb 20                       ;  msbs: dst=0 src0=0 src1=1 src2=1
	v_add3_u32 v203, v147, v55 /*v311*/, v59 /*v315*/
	v_add3_u32 v204, v148, v48 /*v304*/, v54 /*v310*/
	;; [unrolled: 1-line block ×7, first 2 shown]
	v_cvt_f32_i32_e32 v147, v152
	v_cvt_f32_i32_e32 v146, v151
	;; [unrolled: 1-line block ×7, first 2 shown]
	v_add3_u32 v155, v201, v82 /*v338*/, v104 /*v360*/
	v_add3_u32 v197, v202, v83 /*v339*/, v105 /*v361*/
	;; [unrolled: 1-line block ×8, first 2 shown]
	s_set_vgpr_msb 1                        ;  msbs: dst=0 src0=1 src1=0 src2=0
	v_cvt_f32_f16_e64 v125, v184 /*v440*/
	v_cvt_f32_f16_e64 v124, v185 /*v441*/
	;; [unrolled: 1-line block ×5, first 2 shown]
	s_set_vgpr_msb 4                        ;  msbs: dst=0 src0=0 src1=1 src2=0
	v_lshrrev_b32_e32 v142, 16, v152 /*v408*/
	s_set_vgpr_msb 0x44                     ;  msbs: dst=1 src0=0 src1=1 src2=0
	v_lshrrev_b32_e32 v151 /*v407*/, 16, v151 /*v407*/
	s_set_vgpr_msb 20                       ;  msbs: dst=0 src0=0 src1=1 src2=1
	v_add3_u32 v214, v227, v97 /*v353*/, v102 /*v358*/
	v_add3_u32 v215, v232, v103 /*v359*/, v107 /*v363*/
	;; [unrolled: 1-line block ×7, first 2 shown]
	v_cvt_f32_i32_e32 v153, v199
	v_add3_u32 v224, v208, v127 /*v383*/, v130 /*v386*/
	v_cvt_f32_i32_e32 v154, v145
	v_cvt_f32_i32_e32 v202, v213
	;; [unrolled: 1-line block ×4, first 2 shown]
	s_set_vgpr_msb 0                        ;  msbs: dst=0 src0=0 src1=0 src2=0
	v_pk_fma_f32 v[80:81], v[80:81], v[146:147], v[104:105]
	v_pk_fma_f32 v[82:83], v[82:83], v[148:149], v[106:107]
	;; [unrolled: 1-line block ×3, first 2 shown]
	s_set_vgpr_msb 20                       ;  msbs: dst=0 src0=0 src1=1 src2=1
	v_add3_u32 v145, v155, v95 /*v351*/, v117 /*v373*/
	v_add3_u32 v146, v197, v96 /*v352*/, v118 /*v374*/
	;; [unrolled: 1-line block ×6, first 2 shown]
	v_cvt_f32_i32_e32 v210, v201
	v_cvt_f32_i32_e32 v212, v222
	s_set_vgpr_msb 1                        ;  msbs: dst=0 src0=1 src1=0 src2=0
	v_cvt_f32_f16_e64 v117, v173 /*v429*/
	v_cvt_f32_f16_e64 v116, v174 /*v430*/
	;; [unrolled: 1-line block ×11, first 2 shown]
	s_set_vgpr_msb 0                        ;  msbs: dst=0 src0=0 src1=0 src2=0
	v_cvt_f32_f16_e64 v133, v137
	s_set_vgpr_msb 1                        ;  msbs: dst=0 src0=1 src1=0 src2=0
	v_cvt_f32_f16_e64 v137, v153 /*v409*/
	s_set_vgpr_msb 0                        ;  msbs: dst=0 src0=0 src1=0 src2=0
	v_cvt_f32_f16_e64 v139, v138
	v_cvt_f32_f16_e64 v138, v141
	s_set_vgpr_msb 1                        ;  msbs: dst=0 src0=1 src1=0 src2=0
	v_cvt_f32_f16_e64 v141, v152 /*v408*/
	s_set_vgpr_msb 0                        ;  msbs: dst=0 src0=0 src1=0 src2=0
	v_cvt_f32_f16_e64 v143, v142
	s_set_vgpr_msb 1                        ;  msbs: dst=0 src0=1 src1=0 src2=0
	v_cvt_f32_f16_e64 v142, v151 /*v407*/
	s_set_vgpr_msb 0                        ;  msbs: dst=0 src0=0 src1=0 src2=0
	v_cvt_f32_i32_e32 v199, v203
	v_cvt_f32_i32_e32 v200, v204
	;; [unrolled: 1-line block ×10, first 2 shown]
	v_pk_fma_f32 v[86:87], v[86:87], v[152:153], v[110:111]
	v_cvt_f32_i32_e32 v214, v224
	v_cvt_f32_i32_e32 v155, v145
	v_pk_add_f32 v[34:35], v[34:35], v[80:81]
	v_pk_add_f32 v[32:33], v[32:33], v[82:83]
	v_cvt_f32_i32_e32 v198, v146
	v_cvt_f32_i32_e32 v201, v147
	v_pk_fma_f32 v[80:81], v[100:101], v[210:211], v[124:125]
	v_pk_fma_f32 v[82:83], v[102:103], v[212:213], v[126:127]
	v_cvt_f32_i32_e32 v145, v148
	v_pk_add_f32 v[12:13], v[12:13], v[84:85]
	v_cvt_f32_i32_e32 v85, v150
	v_cvt_f32_i32_e32 v84, v149
	v_pk_fma_f32 v[104:105], v[128:129], v[202:203], v[130:131]
	v_pk_fma_f32 v[106:107], v[132:133], v[204:205], v[134:135]
	;; [unrolled: 1-line block ×5, first 2 shown]
	v_pk_add_f32 v[10:11], v[10:11], v[86:87]
	v_pk_fma_f32 v[86:87], v[88:89], v[154:155], v[116:117]
	v_pk_fma_f32 v[88:89], v[96:97], v[198:199], v[120:121]
	;; [unrolled: 1-line block ×3, first 2 shown]
	v_pk_add_f32 v[26:27], v[26:27], v[80:81]
	v_pk_add_f32 v[22:23], v[22:23], v[82:83]
	v_pk_fma_f32 v[80:81], v[90:91], v[144:145], v[112:113]
	v_pk_fma_f32 v[82:83], v[92:93], v[84:85], v[114:115]
	v_pk_add_f32 v[14:15], v[14:15], v[104:105]
	v_pk_add_f32 v[4:5], v[4:5], v[106:107]
	;; [unrolled: 1-line block ×10, first 2 shown]
	s_cbranch_scc1 .LBB119_9
; %bb.10:                               ;   in Loop: Header=BB119_7 Depth=1
	s_and_b32 s12, s15, -4
	s_delay_alu instid0(SALU_CYCLE_1)
	s_cmp_eq_u32 s12, 4
	s_barrier_signal -1
	s_barrier_wait -1
	s_cbranch_scc1 .LBB119_6
; %bb.11:                               ;   in Loop: Header=BB119_7 Depth=1
	v_dual_add_nc_u32 v80, s10, v163 :: v_dual_add_nc_u32 v96, 4, v189
	v_dual_mov_b32 v98, v184 :: v_dual_mov_b32 v99, v183
	v_dual_mov_b32 v100, v182 :: v_dual_mov_b32 v101, v181
	s_delay_alu instid0(VALU_DEP_3) | instskip(SKIP_3) | instid1(VALU_DEP_4)
	v_dual_add_nc_u32 v86, v80, v157 :: v_dual_add_nc_u32 v81, v80, v162
	v_dual_add_nc_u32 v82, v80, v79 :: v_dual_add_nc_u32 v84, v80, v156
	;; [unrolled: 1-line block ×4, first 2 shown]
	v_mad_nc_i64_i32 v[80:81], v81, 36, v[54:55]
	s_delay_alu instid0(VALU_DEP_4)
	v_mad_nc_i64_i32 v[82:83], v82, 36, v[54:55]
	v_mad_nc_i64_i32 v[84:85], v84, 36, v[54:55]
	;; [unrolled: 1-line block ×7, first 2 shown]
	v_mad_nc_u64_u32 v[96:97], v96, 36, s[2:3]
	s_clause 0x8
	global_load_b32 v103, v[80:81], off offset:4
	global_load_b32 v104, v[82:83], off offset:4
	;; [unrolled: 1-line block ×8, first 2 shown]
	global_load_b32 v111, v[96:97], off
	s_wait_xcnt 0x0
	v_dual_mov_b32 v96, v187 :: v_dual_mov_b32 v97, v180
	v_mov_b32_e32 v102, v188
	s_mov_b32 s12, 12
	s_wait_loadcnt 0x8
	ds_store_b32 v178, v103
	s_wait_loadcnt 0x7
	ds_store_b32 v179, v104
	;; [unrolled: 2-line block ×9, first 2 shown]
	s_wait_dscnt 0x0
	s_barrier_signal -1
	s_barrier_wait -1
.LBB119_12:                             ;   Parent Loop BB119_7 Depth=1
                                        ; =>  This Inner Loop Header: Depth=2
	ds_load_2addr_b32 v[80:81], v97 offset0:1 offset1:2
	ds_load_2addr_b32 v[82:83], v97 offset0:5 offset1:6
	ds_load_2addr_b32 v[84:85], v97 offset1:3
	ds_load_2addr_b32 v[88:89], v97 offset0:4 offset1:7
	ds_load_2addr_b32 v[86:87], v96 offset1:32
	s_add_co_i32 s12, s12, 4
	s_delay_alu instid0(SALU_CYCLE_1)
	s_cmp_lt_u32 s12, 28
	s_wait_dscnt 0x4
	s_set_vgpr_msb 64                       ;  msbs: dst=1 src0=0 src1=0 src2=0
	v_bfe_i32 v18 /*v274*/, v80, 0, 8
	v_bfe_i32 v19 /*v275*/, v80, 8, 8
	s_wait_dscnt 0x2
	s_set_vgpr_msb 0                        ;  msbs: dst=0 src0=0 src1=0 src2=0
	v_bfe_i32 v238, v84, 0, 8
	s_set_vgpr_msb 64                       ;  msbs: dst=1 src0=0 src1=0 src2=0
	v_bfe_i32 v8 /*v264*/, v84, 8, 8
	v_bfe_i32 v9 /*v265*/, v84, 16, 8
	v_dual_ashrrev_i32 v10 /*v266*/, 24, v84 :: v_dual_ashrrev_i32 v35 /*v291*/, 24, v82
	s_set_vgpr_msb 0                        ;  msbs: dst=0 src0=0 src1=0 src2=0
	v_bfe_i32 v94, v85, 0, 8
	v_bfe_i32 v95, v85, 8, 8
	s_set_vgpr_msb 64                       ;  msbs: dst=1 src0=0 src1=0 src2=0
	v_bfe_i32 v24 /*v280*/, v85, 16, 8
	s_set_vgpr_msb 0                        ;  msbs: dst=0 src0=0 src1=0 src2=0
	v_ashrrev_i32_e32 v103, 24, v85
	ds_load_b32 v108, v98
	ds_load_2addr_b32 v[84:85], v102 offset1:1
	s_set_vgpr_msb 64                       ;  msbs: dst=1 src0=0 src1=0 src2=0
	v_bfe_i32 v20 /*v276*/, v80, 16, 8
	v_dual_ashrrev_i32 v37 /*v293*/, 24, v80 :: v_dual_ashrrev_i32 v31 /*v287*/, 24, v83
	v_bfe_i32 v21 /*v277*/, v82, 0, 8
	v_bfe_i32 v22 /*v278*/, v82, 8, 8
	;; [unrolled: 1-line block ×6, first 2 shown]
	s_set_vgpr_msb 0                        ;  msbs: dst=0 src0=0 src1=0 src2=0
	ds_load_2addr_b32 v[82:83], v102 offset0:2 offset1:3
	s_wait_dscnt 0x4
	s_set_vgpr_msb 64                       ;  msbs: dst=1 src0=0 src1=0 src2=0
	v_dual_ashrrev_i32 v38 /*v294*/, 24, v88 :: v_dual_ashrrev_i32 v33 /*v289*/, 24, v81
	v_bfe_i32 v25 /*v281*/, v81, 0, 8
	v_bfe_i32 v26 /*v282*/, v81, 8, 8
	;; [unrolled: 1-line block ×6, first 2 shown]
	s_set_vgpr_msb 0                        ;  msbs: dst=0 src0=0 src1=0 src2=0
	v_bfe_i32 v107, v89, 0, 8
	s_wait_dscnt 0x1
	v_lshrrev_b32_e32 v80, 4, v84
	v_bfe_i32 v105, v89, 8, 8
	v_bfe_i32 v106, v89, 16, 8
	v_dual_ashrrev_i32 v104, 24, v89 :: v_dual_lshrrev_b32 v111, 28, v84
	s_delay_alu instid0(VALU_DEP_4)
	v_lshrrev_b16 v80, 8, v80
	v_lshrrev_b32_e32 v109, 28, v85
	v_pk_mul_f16 v234, v86, v108
	s_set_vgpr_msb 64                       ;  msbs: dst=1 src0=0 src1=0 src2=0
	v_bfe_u32 v1 /*v257*/, v84, 8, 4
	s_set_vgpr_msb 0                        ;  msbs: dst=0 src0=0 src1=0 src2=0
	v_bfe_u32 v251, v84, 24, 4
	s_set_vgpr_msb 64                       ;  msbs: dst=1 src0=0 src1=0 src2=0
	v_and_b32_e32 v12 /*v268*/, 15, v80
	s_set_vgpr_msb 0                        ;  msbs: dst=0 src0=0 src1=0 src2=0
	v_and_b32_e32 v80, 0xf0f0f0f, v85
	s_set_vgpr_msb 64                       ;  msbs: dst=1 src0=0 src1=0 src2=0
	v_bfe_u32 v2 /*v258*/, v84, 16, 4
	s_wait_dscnt 0x0
	v_lshrrev_b32_e32 v5 /*v261*/, 28, v83
	s_set_vgpr_msb 0                        ;  msbs: dst=0 src0=0 src1=0 src2=0
	v_bfe_u32 v113, v85, 24, 4
	v_bfe_u32 v114, v82, 24, 4
	s_set_vgpr_msb 64                       ;  msbs: dst=1 src0=0 src1=0 src2=0
	v_lshrrev_b16 v40 /*v296*/, 8, v80
	s_set_vgpr_msb 0                        ;  msbs: dst=0 src0=0 src1=0 src2=0
	v_lshrrev_b32_e32 v80, 4, v85
	v_bfe_u32 v112, v83, 24, 4
	s_set_vgpr_msb 64                       ;  msbs: dst=1 src0=0 src1=0 src2=0
	v_bfe_u32 v3 /*v259*/, v83, 4, 4
	v_bfe_u32 v4 /*v260*/, v83, 12, 4
	s_set_vgpr_msb 0                        ;  msbs: dst=0 src0=0 src1=0 src2=0
	v_lshrrev_b32_e32 v110, 28, v82
	v_lshrrev_b16 v80, 8, v80
	v_bfe_u32 v250, v83, 20, 4
	s_set_vgpr_msb 0x44                     ;  msbs: dst=1 src0=0 src1=1 src2=0
	v_mul_i32_i24_e32 v44 /*v300*/, v107, v3 /*v259*/
	v_mul_i32_i24_e32 v47 /*v303*/, v105, v4 /*v260*/
	s_set_vgpr_msb 0                        ;  msbs: dst=0 src0=0 src1=0 src2=0
	v_add_nc_u32_e32 v98, 4, v98
	s_set_vgpr_msb 64                       ;  msbs: dst=1 src0=0 src1=0 src2=0
	v_and_b32_e32 v39 /*v295*/, 15, v80
	s_set_vgpr_msb 0                        ;  msbs: dst=0 src0=0 src1=0 src2=0
	v_and_b32_e32 v80, 0xf0f0f0f, v82
	s_set_vgpr_msb 64                       ;  msbs: dst=1 src0=0 src1=0 src2=0
	v_mul_i32_i24_e32 v46 /*v302*/, v106, v250
	s_set_vgpr_msb 0                        ;  msbs: dst=0 src0=0 src1=0 src2=0
	v_and_b32_e32 v253, 15, v84
	s_set_vgpr_msb 64                       ;  msbs: dst=1 src0=0 src1=0 src2=0
	v_lshrrev_b16 v36 /*v292*/, 8, v80
	s_set_vgpr_msb 0                        ;  msbs: dst=0 src0=0 src1=0 src2=0
	v_lshrrev_b32_e32 v80, 4, v82
	s_delay_alu instid0(VALU_DEP_1) | instskip(SKIP_1) | instid1(VALU_DEP_1)
	v_lshrrev_b16 v80, 8, v80
	s_set_vgpr_msb 64                       ;  msbs: dst=1 src0=0 src1=0 src2=0
	v_and_b32_e32 v34 /*v290*/, 15, v80
	s_set_vgpr_msb 0                        ;  msbs: dst=0 src0=0 src1=0 src2=0
	v_and_b32_e32 v80, 0xf0f0f0f, v83
	s_set_vgpr_msb 64                       ;  msbs: dst=1 src0=0 src1=0 src2=0
	s_delay_alu instid0(VALU_DEP_1)
	v_lshrrev_b16 v32 /*v288*/, 8, v80
	s_set_vgpr_msb 0                        ;  msbs: dst=0 src0=0 src1=0 src2=0
	v_add_nc_u32_e32 v80, 0x1080, v102
	ds_load_b32 v115, v99
	ds_load_2addr_b32 v[80:81], v80 offset1:1
	v_add_nc_u32_e32 v99, 4, v99
	s_wait_dscnt 0x1
	v_pk_mul_f16 v191, v86, v115
	s_wait_dscnt 0x0
	v_dual_lshrrev_b32 v123, 28, v80 :: v_dual_bitop2_b32 v118, 15, v80 bitop3:0x40
	v_bfe_u32 v119, v80, 8, 4
	v_bfe_u32 v116, v80, 16, 4
	;; [unrolled: 1-line block ×3, first 2 shown]
	s_delay_alu instid0(VALU_DEP_4)
	v_mul_i32_i24_e32 v88, v118, v238
	v_bfe_u32 v120, v80, 4, 4
	v_bfe_u32 v122, v80, 12, 4
	s_set_vgpr_msb 4                        ;  msbs: dst=0 src0=0 src1=1 src2=0
	v_mul_i32_i24_e32 v89, v116, v9 /*v265*/
	v_mul_i32_i24_e32 v90, v117, v10 /*v266*/
	v_mad_i32_i24 v88, v119, v8 /*v264*/, v88
	v_bfe_u32 v121, v80, 20, 4
	v_mul_i32_i24_e32 v80, v123, v38 /*v294*/
	s_set_vgpr_msb 0                        ;  msbs: dst=0 src0=0 src1=0 src2=0
	v_dual_lshrrev_b32 v130, 28, v81 :: v_dual_bitop2_b32 v124, 15, v81 bitop3:0x40
	v_add3_u32 v88, v88, v89, v90
	s_set_vgpr_msb 4                        ;  msbs: dst=0 src0=0 src1=1 src2=0
	v_mul_i32_i24_e32 v89, v120, v15 /*v271*/
	v_mul_i32_i24_e32 v90, v122, v16 /*v272*/
	v_mul_i32_i24_e32 v91, v121, v17 /*v273*/
	v_bfe_u32 v125, v81, 8, 4
	v_bfe_u32 v126, v81, 16, 4
	;; [unrolled: 1-line block ×3, first 2 shown]
	s_set_vgpr_msb 0                        ;  msbs: dst=0 src0=0 src1=0 src2=0
	v_add3_u32 v88, v88, v90, v89
	v_bfe_u32 v128, v81, 4, 4
	s_set_vgpr_msb 1                        ;  msbs: dst=0 src0=1 src1=0 src2=0
	v_mul_i32_i24_e32 v89, v19 /*v275*/, v125
	v_mul_i32_i24_e32 v90, v20 /*v276*/, v126
	s_set_vgpr_msb 0                        ;  msbs: dst=0 src0=0 src1=0 src2=0
	v_bfe_u32 v129, v81, 12, 4
	v_add3_u32 v80, v88, v91, v80
	s_set_vgpr_msb 1                        ;  msbs: dst=0 src0=1 src1=0 src2=0
	v_mul_i32_i24_e32 v88, v18 /*v274*/, v124
	v_mul_i32_i24_e32 v91, v37 /*v293*/, v127
	s_set_vgpr_msb 0                        ;  msbs: dst=0 src0=0 src1=0 src2=0
	v_bfe_u32 v131, v81, 20, 4
	s_delay_alu instid0(VALU_DEP_3) | instskip(SKIP_2) | instid1(VALU_DEP_3)
	v_add3_u32 v80, v80, v89, v88
	s_set_vgpr_msb 1                        ;  msbs: dst=0 src0=1 src1=0 src2=0
	v_mul_i32_i24_e32 v89, v21 /*v277*/, v128
	v_mul_i32_i24_e32 v92, v23 /*v279*/, v131
	s_set_vgpr_msb 0                        ;  msbs: dst=0 src0=0 src1=0 src2=0
	v_add3_u32 v88, v80, v90, v91
	v_add_nc_u32_e32 v80, 0x1088, v102
	s_set_vgpr_msb 1                        ;  msbs: dst=0 src0=1 src1=0 src2=0
	v_mul_i32_i24_e32 v90, v22 /*v278*/, v129
	v_mul_i32_i24_e32 v91, v35 /*v291*/, v130
	s_set_vgpr_msb 0                        ;  msbs: dst=0 src0=0 src1=0 src2=0
	ds_load_2addr_b32 v[80:81], v80 offset1:1
	v_add3_u32 v88, v88, v89, v90
	s_delay_alu instid0(VALU_DEP_1)
	v_add3_u32 v88, v88, v92, v91
	s_wait_dscnt 0x0
	v_bfe_u32 v132, v80, 8, 4
	v_dual_lshrrev_b32 v138, 28, v80 :: v_dual_bitop2_b32 v133, 15, v80 bitop3:0x40
	v_bfe_u32 v134, v80, 24, 4
	v_bfe_u32 v135, v80, 16, 4
	s_set_vgpr_msb 1                        ;  msbs: dst=0 src0=1 src1=0 src2=0
	v_mul_i32_i24_e32 v144, v26 /*v282*/, v132
	v_mul_i32_i24_e32 v93, v25 /*v281*/, v133
	s_set_vgpr_msb 0                        ;  msbs: dst=0 src0=0 src1=0 src2=0
	v_bfe_u32 v136, v80, 4, 4
	s_set_vgpr_msb 1                        ;  msbs: dst=0 src0=1 src1=0 src2=0
	v_mul_i32_i24_e32 v145, v33 /*v289*/, v134
	v_mul_i32_i24_e32 v146, v30 /*v286*/, v135
	s_set_vgpr_msb 0                        ;  msbs: dst=0 src0=0 src1=0 src2=0
	v_bfe_u32 v137, v80, 12, 4
	v_add3_u32 v88, v88, v144, v93
	s_set_vgpr_msb 1                        ;  msbs: dst=0 src0=1 src1=0 src2=0
	v_mul_i32_i24_e32 v148, v27 /*v283*/, v136
	s_set_vgpr_msb 0                        ;  msbs: dst=0 src0=0 src1=0 src2=0
	v_bfe_u32 v139, v80, 20, 4
	s_set_vgpr_msb 1                        ;  msbs: dst=0 src0=1 src1=0 src2=0
	v_mul_i32_i24_e32 v80, v31 /*v287*/, v138
	v_mul_i32_i24_e32 v147, v28 /*v284*/, v137
	s_set_vgpr_msb 0                        ;  msbs: dst=0 src0=0 src1=0 src2=0
	v_add3_u32 v88, v88, v146, v145
	v_bfe_u32 v140, v81, 8, 4
	s_set_vgpr_msb 1                        ;  msbs: dst=0 src0=1 src1=0 src2=0
	v_mul_i32_i24_e32 v149, v29 /*v285*/, v139
	v_and_b32_e32 v141, 15, v81
	s_set_vgpr_msb 0                        ;  msbs: dst=0 src0=0 src1=0 src2=0
	v_bfe_u32 v143, v81, 24, 4
	v_add3_u32 v88, v88, v148, v147
	v_mul_i32_i24_e32 v151, v95, v140
	v_bfe_u32 v142, v81, 16, 4
	v_mul_i32_i24_e32 v150, v94, v141
	s_delay_alu instid0(VALU_DEP_4) | instskip(SKIP_1) | instid1(VALU_DEP_3)
	v_add3_u32 v80, v88, v149, v80
	s_set_vgpr_msb 1                        ;  msbs: dst=0 src0=1 src1=0 src2=0
	v_mul_i32_i24_e32 v190, v24 /*v280*/, v142
	s_set_vgpr_msb 0                        ;  msbs: dst=0 src0=0 src1=0 src2=0
	s_delay_alu instid0(VALU_DEP_2)
	v_add3_u32 v192, v80, v151, v150
	v_add_nc_u32_e32 v80, 0x2100, v102
	ds_load_b32 v144, v100
	ds_load_2addr_b32 v[92:93], v80 offset1:1
	v_add_nc_u32_e32 v80, 0x2108, v102
	v_add_nc_u32_e32 v100, 4, v100
	ds_load_2addr_b32 v[240:241], v80 offset1:1
	v_add_nc_u32_e32 v80, 0x3180, v102
	ds_load_b32 v205, v101
	ds_load_2addr_b32 v[242:243], v80 offset1:1
	v_add_nc_u32_e32 v80, 0x3188, v102
	v_dual_add_nc_u32 v101, 4, v101 :: v_dual_add_nc_u32 v102, 16, v102
	s_set_vgpr_msb 64                       ;  msbs: dst=1 src0=0 src1=0 src2=0
	ds_load_2addr_b32 v[74:75] /*v[330:331]*/, v80 offset1:1
	s_wait_dscnt 0x5
	v_pk_mul_f16 v92 /*v348*/, v86, v144
	s_wait_dscnt 0x4
	s_set_vgpr_msb 0                        ;  msbs: dst=0 src0=0 src1=0 src2=0
	v_dual_lshrrev_b32 v155, 28, v93 :: v_dual_bitop2_b32 v149, 15, v93 bitop3:0x40
	v_bfe_u32 v150, v93, 8, 4
	v_bfe_u32 v151, v93, 16, 4
	;; [unrolled: 1-line block ×7, first 2 shown]
	v_lshrrev_b32_e32 v148, 28, v92
	s_wait_dscnt 0x2
	s_set_vgpr_msb 64                       ;  msbs: dst=1 src0=0 src1=0 src2=0
	v_pk_mul_f16 v116 /*v372*/, v86, v205
	s_set_vgpr_msb 0                        ;  msbs: dst=0 src0=0 src1=0 src2=0
	v_add_nc_u32_e32 v86, 0x404, v97
	s_wait_dscnt 0x1
	v_dual_lshrrev_b32 v216, 28, v243 :: v_dual_bitop2_b32 v210, 15, v243 bitop3:0x40
	v_bfe_u32 v211, v243, 8, 4
	v_bfe_u32 v212, v243, 16, 4
	ds_load_2addr_b32 v[90:91], v86 offset1:1
	v_add_nc_u32_e32 v80, 0x400, v97
	v_add_nc_u32_e32 v86, 0x414, v97
	s_wait_dscnt 0x1
	s_set_vgpr_msb 1                        ;  msbs: dst=0 src0=1 src1=0 src2=0
	v_bfe_u32 v218, v74 /*v330*/, 8, 4
	s_set_vgpr_msb 4                        ;  msbs: dst=0 src0=0 src1=1 src2=0
	v_dual_lshrrev_b32 v224, 28, v74 /*v330*/ :: v_dual_bitop2_b32 v219, 15, v74 /*v330*/ bitop3:0x40
	ds_load_2addr_b32 v[88:89], v80 offset0:4 offset1:7
	ds_load_2addr_b32 v[230:231], v86 offset1:1
	ds_load_2addr_b32 v[232:233], v80 offset1:3
	s_set_vgpr_msb 1                        ;  msbs: dst=0 src0=1 src1=0 src2=0
	v_bfe_u32 v220, v74 /*v330*/, 24, 4
	v_bfe_u32 v221, v74 /*v330*/, 16, 4
	;; [unrolled: 1-line block ×5, first 2 shown]
	s_set_vgpr_msb 0                        ;  msbs: dst=0 src0=0 src1=0 src2=0
	v_bfe_u32 v213, v243, 24, 4
	v_bfe_u32 v214, v243, 4, 4
	;; [unrolled: 1-line block ×7, first 2 shown]
	s_wait_dscnt 0x3
	s_set_vgpr_msb 64                       ;  msbs: dst=1 src0=0 src1=0 src2=0
	v_bfe_i32 v66 /*v322*/, v90, 0, 8
	v_bfe_i32 v67 /*v323*/, v90, 8, 8
	v_bfe_i32 v68 /*v324*/, v90, 16, 8
	v_ashrrev_i32_e32 v69 /*v325*/, 24, v90
	v_bfe_i32 v58 /*v314*/, v91, 0, 8
	v_bfe_i32 v59 /*v315*/, v91, 8, 8
	s_wait_dscnt 0x2
	s_set_vgpr_msb 0                        ;  msbs: dst=0 src0=0 src1=0 src2=0
	v_ashrrev_i32_e32 v249, 24, v89
	s_set_vgpr_msb 64                       ;  msbs: dst=1 src0=0 src1=0 src2=0
	v_bfe_i32 v70 /*v326*/, v88, 0, 8
	v_bfe_i32 v71 /*v327*/, v88, 8, 8
	v_bfe_i32 v72 /*v328*/, v88, 16, 8
	s_wait_dscnt 0x0
	v_dual_ashrrev_i32 v73 /*v329*/, 24, v88 :: v_dual_ashrrev_i32 v42 /*v298*/, 24, v233
	s_set_vgpr_msb 0                        ;  msbs: dst=0 src0=0 src1=0 src2=0
	v_mul_i32_i24_e32 v88, v253, v238
	s_set_vgpr_msb 64                       ;  msbs: dst=1 src0=0 src1=0 src2=0
	v_bfe_i32 v62 /*v318*/, v230, 0, 8
	v_bfe_i32 v63 /*v319*/, v230, 8, 8
	;; [unrolled: 1-line block ×3, first 2 shown]
	v_ashrrev_i32_e32 v65 /*v321*/, 24, v230
	v_bfe_i32 v60 /*v316*/, v91, 16, 8
	v_ashrrev_i32_e32 v61 /*v317*/, 24, v91
	s_set_vgpr_msb 0                        ;  msbs: dst=0 src0=0 src1=0 src2=0
	v_bfe_i32 v246, v89, 0, 8
	v_bfe_i32 v247, v89, 8, 8
	;; [unrolled: 1-line block ×3, first 2 shown]
	v_pk_mul_f16 v90, v108, v87
	s_set_vgpr_msb 5                        ;  msbs: dst=0 src0=1 src1=1 src2=0
	v_mul_i32_i24_e32 v89, v2 /*v258*/, v9 /*v265*/
	s_set_vgpr_msb 4                        ;  msbs: dst=0 src0=0 src1=1 src2=0
	v_mul_i32_i24_e32 v91, v251, v10 /*v266*/
	s_set_vgpr_msb 5                        ;  msbs: dst=0 src0=1 src1=1 src2=0
	v_mad_i32_i24 v88, v1 /*v257*/, v8 /*v264*/, v88
	s_set_vgpr_msb 1                        ;  msbs: dst=0 src0=1 src1=0 src2=0
	v_mul_i32_i24_e32 v230, v71 /*v327*/, v122
	s_set_vgpr_msb 0                        ;  msbs: dst=0 src0=0 src1=0 src2=0
	v_bfe_i32 v86, v232, 0, 8
	s_set_vgpr_msb 64                       ;  msbs: dst=1 src0=0 src1=0 src2=0
	v_bfe_i32 v117 /*v373*/, v232, 8, 8
	v_bfe_i32 v118 /*v374*/, v232, 16, 8
	v_dual_ashrrev_i32 v119 /*v375*/, 24, v232 :: v_dual_ashrrev_i32 v56 /*v312*/, 24, v231
	v_bfe_i32 v53 /*v309*/, v231, 0, 8
	v_bfe_i32 v54 /*v310*/, v231, 8, 8
	;; [unrolled: 1-line block ×3, first 2 shown]
	v_add3_u32 v74 /*v330*/, v88, v89, v91
	s_set_vgpr_msb 0                        ;  msbs: dst=0 src0=0 src1=0 src2=0
	v_cvt_f32_f16_e32 v89, v90
	v_lshrrev_b32_e32 v90, 16, v90
	s_set_vgpr_msb 1                        ;  msbs: dst=0 src0=1 src1=0 src2=0
	v_mul_i32_i24_e32 v231, v72 /*v328*/, v121
	v_mul_i32_i24_e32 v232, v73 /*v329*/, v123
	v_mad_i32_i24 v230, v70 /*v326*/, v120, v230
	s_set_vgpr_msb 0                        ;  msbs: dst=0 src0=0 src1=0 src2=0
	v_cvt_f32_f16_e64 v88, v234
	v_cvt_f32_f16_e32 v91, v90
	v_lshrrev_b32_e32 v90, 16, v234
	s_set_vgpr_msb 1                        ;  msbs: dst=0 src0=1 src1=0 src2=0
	v_mul_i32_i24_e32 v234, v67 /*v323*/, v125
	v_mul_i32_i24_e32 v236, v69 /*v325*/, v127
	s_set_vgpr_msb 0                        ;  msbs: dst=0 src0=0 src1=0 src2=0
	v_add3_u32 v230, v230, v231, v232
	v_bfe_i32 v80, v233, 0, 8
	v_bfe_i32 v93, v233, 8, 8
	s_set_vgpr_msb 64                       ;  msbs: dst=1 src0=0 src1=0 src2=0
	v_bfe_i32 v41 /*v297*/, v233, 16, 8
	s_set_vgpr_msb 1                        ;  msbs: dst=0 src0=1 src1=0 src2=0
	v_mul_i32_i24_e32 v233, v66 /*v322*/, v124
	v_mul_i32_i24_e32 v235, v68 /*v324*/, v126
	s_set_vgpr_msb 0                        ;  msbs: dst=0 src0=0 src1=0 src2=0
	v_add3_u32 v230, v230, v236, v234
	s_set_vgpr_msb 1                        ;  msbs: dst=0 src0=1 src1=0 src2=0
	v_mul_i32_i24_e32 v237, v62 /*v318*/, v128
	s_set_vgpr_msb 0x41                     ;  msbs: dst=1 src0=1 src1=0 src2=0
	v_mul_i32_i24_e32 v7 /*v263*/, v65 /*v321*/, v130
	s_set_vgpr_msb 1                        ;  msbs: dst=0 src0=1 src1=0 src2=0
	v_mul_i32_i24_e32 v243, v63 /*v319*/, v129
	s_set_vgpr_msb 0x41                     ;  msbs: dst=1 src0=1 src1=0 src2=0
	v_mul_i32_i24_e32 v6 /*v262*/, v64 /*v320*/, v131
	s_set_vgpr_msb 0                        ;  msbs: dst=0 src0=0 src1=0 src2=0
	v_add3_u32 v230, v230, v233, v235
	s_set_vgpr_msb 0x41                     ;  msbs: dst=1 src0=1 src1=0 src2=0
	v_mul_i32_i24_e32 v121 /*v377*/, v59 /*v315*/, v132
	v_mul_i32_i24_e32 v123 /*v379*/, v61 /*v317*/, v134
	;; [unrolled: 1-line block ×4, first 2 shown]
	s_set_vgpr_msb 4                        ;  msbs: dst=0 src0=0 src1=1 src2=0
	v_add3_u32 v230, v230, v7 /*v263*/, v237
	s_set_vgpr_msb 0x41                     ;  msbs: dst=1 src0=1 src1=0 src2=0
	v_mul_i32_i24_e32 v124 /*v380*/, v53 /*v309*/, v136
	v_mul_i32_i24_e32 v127 /*v383*/, v56 /*v312*/, v138
	;; [unrolled: 1-line block ×4, first 2 shown]
	s_set_vgpr_msb 16                       ;  msbs: dst=0 src0=0 src1=0 src2=1
	v_add3_u32 v230, v230, v243, v6 /*v262*/
	s_set_vgpr_msb 64                       ;  msbs: dst=1 src0=0 src1=0 src2=0
	v_mul_i32_i24_e32 v129 /*v385*/, v93, v140
	s_set_vgpr_msb 0x41                     ;  msbs: dst=1 src0=1 src1=0 src2=0
	v_mul_i32_i24_e32 v131 /*v387*/, v42 /*v298*/, v143
	s_set_vgpr_msb 64                       ;  msbs: dst=1 src0=0 src1=0 src2=0
	v_mul_i32_i24_e32 v128 /*v384*/, v80, v141
	s_set_vgpr_msb 0x41                     ;  msbs: dst=1 src0=1 src1=0 src2=0
	v_mul_i32_i24_e32 v130 /*v386*/, v41 /*v297*/, v142
	s_set_vgpr_msb 20                       ;  msbs: dst=0 src0=0 src1=1 src2=1
	v_add3_u32 v230, v230, v123 /*v379*/, v121 /*v377*/
	s_set_vgpr_msb 1                        ;  msbs: dst=0 src0=1 src1=0 src2=0
	v_mul_i32_i24_e32 v231, v72 /*v328*/, v146
	v_mul_i32_i24_e32 v232, v73 /*v329*/, v148
	;; [unrolled: 1-line block ×4, first 2 shown]
	s_set_vgpr_msb 20                       ;  msbs: dst=0 src0=0 src1=1 src2=1
	v_add3_u32 v230, v230, v120 /*v376*/, v122 /*v378*/
	s_set_vgpr_msb 1                        ;  msbs: dst=0 src0=1 src1=0 src2=0
	v_mul_i32_i24_e32 v233, v66 /*v322*/, v149
	v_mul_i32_i24_e32 v235, v68 /*v324*/, v151
	;; [unrolled: 1-line block ×3, first 2 shown]
	s_set_vgpr_msb 0x41                     ;  msbs: dst=1 src0=1 src1=0 src2=0
	v_mul_i32_i24_e32 v121 /*v377*/, v65 /*v321*/, v155
	s_set_vgpr_msb 20                       ;  msbs: dst=0 src0=0 src1=1 src2=1
	v_add3_u32 v230, v230, v127 /*v383*/, v124 /*v380*/
	v_bfe_u32 v195, v240, 24, 4
	s_set_vgpr_msb 1                        ;  msbs: dst=0 src0=1 src1=0 src2=0
	v_mul_i32_i24_e32 v243, v63 /*v319*/, v154
	s_set_vgpr_msb 0x41                     ;  msbs: dst=1 src0=1 src1=0 src2=0
	v_mul_i32_i24_e32 v120 /*v376*/, v64 /*v320*/, v189
	s_set_vgpr_msb 0                        ;  msbs: dst=0 src0=0 src1=0 src2=0
	v_dual_lshrrev_b32 v199, 28, v240 :: v_dual_bitop2_b32 v194, 15, v240 bitop3:0x40
	s_set_vgpr_msb 20                       ;  msbs: dst=0 src0=0 src1=1 src2=1
	v_add3_u32 v230, v230, v125 /*v381*/, v126 /*v382*/
	v_bfe_u32 v196, v240, 16, 4
	s_set_vgpr_msb 0x41                     ;  msbs: dst=1 src0=1 src1=0 src2=0
	v_mul_i32_i24_e32 v123 /*v379*/, v59 /*v315*/, v193
	v_mul_i32_i24_e32 v125 /*v381*/, v61 /*v317*/, v195
	s_set_vgpr_msb 20                       ;  msbs: dst=0 src0=0 src1=1 src2=1
	v_bfe_u32 v197, v240, 4, 4
	v_add3_u32 v230, v230, v131 /*v387*/, v129 /*v385*/
	s_set_vgpr_msb 0x41                     ;  msbs: dst=1 src0=1 src1=0 src2=0
	v_mul_i32_i24_e32 v122 /*v378*/, v58 /*v314*/, v194
	v_mul_i32_i24_e32 v124 /*v380*/, v60 /*v316*/, v196
	s_set_vgpr_msb 0                        ;  msbs: dst=0 src0=0 src1=0 src2=0
	v_bfe_u32 v198, v240, 12, 4
	v_bfe_u32 v200, v240, 20, 4
	s_set_vgpr_msb 0x54                     ;  msbs: dst=1 src0=0 src1=1 src2=1
	v_add3_u32 v7 /*v263*/, v230, v128 /*v384*/, v130 /*v386*/
	s_set_vgpr_msb 1                        ;  msbs: dst=0 src0=1 src1=0 src2=0
	v_mul_i32_i24_e32 v230, v71 /*v327*/, v147
	s_set_vgpr_msb 0x41                     ;  msbs: dst=1 src0=1 src1=0 src2=0
	v_mul_i32_i24_e32 v126 /*v382*/, v53 /*v309*/, v197
	v_mul_i32_i24_e32 v129 /*v385*/, v56 /*v312*/, v199
	s_set_vgpr_msb 0                        ;  msbs: dst=0 src0=0 src1=0 src2=0
	v_bfe_u32 v201, v241, 8, 4
	v_bfe_u32 v204, v241, 24, 4
	s_set_vgpr_msb 1                        ;  msbs: dst=0 src0=1 src1=0 src2=0
	v_mad_i32_i24 v230, v70 /*v326*/, v145, v230
	s_set_vgpr_msb 0x41                     ;  msbs: dst=1 src0=1 src1=0 src2=0
	v_mul_i32_i24_e32 v127 /*v383*/, v54 /*v310*/, v198
	v_mul_i32_i24_e32 v128 /*v384*/, v55 /*v311*/, v200
	s_set_vgpr_msb 0                        ;  msbs: dst=0 src0=0 src1=0 src2=0
	v_dual_lshrrev_b32 v209, 28, v242 :: v_dual_bitop2_b32 v202, 15, v241 bitop3:0x40
	v_add3_u32 v230, v230, v231, v232
	v_bfe_u32 v203, v241, 16, 4
	s_set_vgpr_msb 64                       ;  msbs: dst=1 src0=0 src1=0 src2=0
	v_mul_i32_i24_e32 v131 /*v387*/, v93, v201
	s_set_vgpr_msb 0x41                     ;  msbs: dst=1 src0=1 src1=0 src2=0
	v_mul_i32_i24_e32 v133 /*v389*/, v42 /*v298*/, v204
	s_set_vgpr_msb 0                        ;  msbs: dst=0 src0=0 src1=0 src2=0
	v_and_b32_e32 v232, 15, v92
	v_add3_u32 v230, v230, v236, v234
	s_set_vgpr_msb 64                       ;  msbs: dst=1 src0=0 src1=0 src2=0
	v_mul_i32_i24_e32 v130 /*v386*/, v80, v202
	s_set_vgpr_msb 0x41                     ;  msbs: dst=1 src0=1 src1=0 src2=0
	v_mul_i32_i24_e32 v132 /*v388*/, v41 /*v297*/, v203
	s_set_vgpr_msb 0                        ;  msbs: dst=0 src0=0 src1=0 src2=0
	v_bfe_u32 v231, v92, 24, 4
	v_bfe_u32 v234, v92, 16, 4
	v_add3_u32 v230, v230, v233, v235
	v_bfe_u32 v233, v92, 8, 4
	v_bfe_u32 v235, v241, 4, 4
	;; [unrolled: 1-line block ×3, first 2 shown]
	s_set_vgpr_msb 4                        ;  msbs: dst=0 src0=0 src1=1 src2=0
	v_mul_i32_i24_e32 v92, v234, v9 /*v265*/
	v_add3_u32 v230, v230, v121 /*v377*/, v237
	s_set_vgpr_msb 64                       ;  msbs: dst=1 src0=0 src1=0 src2=0
	v_mul_i32_i24_e32 v121 /*v377*/, v232, v238
	s_set_vgpr_msb 0                        ;  msbs: dst=0 src0=0 src1=0 src2=0
	v_lshrrev_b32_e32 v237, 28, v241
	s_set_vgpr_msb 4                        ;  msbs: dst=0 src0=0 src1=1 src2=0
	v_mul_i32_i24_e32 v239, v145, v15 /*v271*/
	v_mul_i32_i24_e32 v244, v147, v16 /*v272*/
	s_set_vgpr_msb 16                       ;  msbs: dst=0 src0=0 src1=0 src2=1
	v_add3_u32 v230, v230, v243, v120 /*v376*/
	s_set_vgpr_msb 0x54                     ;  msbs: dst=1 src0=0 src1=1 src2=1
	v_mad_i32_i24 v121 /*v377*/, v233, v8 /*v264*/, v121 /*v377*/
	s_set_vgpr_msb 4                        ;  msbs: dst=0 src0=0 src1=1 src2=0
	v_mul_i32_i24_e32 v245, v146, v17 /*v273*/
	s_set_vgpr_msb 0x44                     ;  msbs: dst=1 src0=0 src1=1 src2=0
	v_mul_i32_i24_e32 v11 /*v267*/, v148, v38 /*v294*/
	s_set_vgpr_msb 0x41                     ;  msbs: dst=1 src0=1 src1=0 src2=0
	v_mul_i32_i24_e32 v13 /*v269*/, v18 /*v274*/, v149
	s_set_vgpr_msb 20                       ;  msbs: dst=0 src0=0 src1=1 src2=1
	v_add3_u32 v230, v230, v125 /*v381*/, v123 /*v379*/
	s_set_vgpr_msb 0x41                     ;  msbs: dst=1 src0=1 src1=0 src2=0
	v_mul_i32_i24_e32 v14 /*v270*/, v19 /*v275*/, v150
	v_mul_i32_i24_e32 v76 /*v332*/, v20 /*v276*/, v151
	v_mul_i32_i24_e32 v77 /*v333*/, v37 /*v293*/, v152
	v_mul_i32_i24_e32 v78 /*v334*/, v21 /*v277*/, v153
	s_set_vgpr_msb 20                       ;  msbs: dst=0 src0=0 src1=1 src2=1
	v_add3_u32 v230, v230, v122 /*v378*/, v124 /*v380*/
	s_set_vgpr_msb 0x41                     ;  msbs: dst=1 src0=1 src1=0 src2=0
	v_mul_i32_i24_e32 v79 /*v335*/, v22 /*v278*/, v154
	v_mul_i32_i24_e32 v80 /*v336*/, v35 /*v291*/, v155
	v_mul_i32_i24_e32 v81 /*v337*/, v23 /*v279*/, v189
	;; [unrolled: 7-line block ×3, first 2 shown]
	v_mul_i32_i24_e32 v86 /*v342*/, v28 /*v284*/, v198
	s_set_vgpr_msb 20                       ;  msbs: dst=0 src0=0 src1=1 src2=1
	v_add3_u32 v230, v230, v127 /*v383*/, v128 /*v384*/
	s_set_vgpr_msb 0x41                     ;  msbs: dst=1 src0=1 src1=0 src2=0
	v_mul_i32_i24_e32 v87 /*v343*/, v27 /*v283*/, v197
	s_set_vgpr_msb 1                        ;  msbs: dst=0 src0=1 src1=0 src2=0
	v_mul_i32_i24_e32 v240, v31 /*v287*/, v199
	s_set_vgpr_msb 0x41                     ;  msbs: dst=1 src0=1 src1=0 src2=0
	v_mul_i32_i24_e32 v88 /*v344*/, v29 /*v285*/, v200
	s_set_vgpr_msb 64                       ;  msbs: dst=1 src0=0 src1=0 src2=0
	v_mul_i32_i24_e32 v89 /*v345*/, v94, v202
	s_set_vgpr_msb 20                       ;  msbs: dst=0 src0=0 src1=1 src2=1
	v_add3_u32 v230, v230, v133 /*v389*/, v131 /*v387*/
	s_set_vgpr_msb 64                       ;  msbs: dst=1 src0=0 src1=0 src2=0
	v_mul_i32_i24_e32 v90 /*v346*/, v95, v201
	s_set_vgpr_msb 0x41                     ;  msbs: dst=1 src0=1 src1=0 src2=0
	v_mul_i32_i24_e32 v91 /*v347*/, v24 /*v280*/, v203
	s_set_vgpr_msb 64                       ;  msbs: dst=1 src0=0 src1=0 src2=0
	v_pk_mul_f16 v120 /*v376*/, v144, v87
	s_set_vgpr_msb 20                       ;  msbs: dst=0 src0=0 src1=1 src2=1
	v_and_b32_e32 v227, 15, v75 /*v331*/
	v_add3_u32 v243, v230, v130 /*v386*/, v132 /*v388*/
	v_bfe_u32 v230, v241, 20, 4
	v_mul_i32_i24_e32 v241, v231, v10 /*v266*/
	v_bfe_u32 v208, v242, 12, 4
	v_bfe_u32 v207, v242, 20, 4
	;; [unrolled: 1-line block ×3, first 2 shown]
	s_set_vgpr_msb 64                       ;  msbs: dst=1 src0=0 src1=0 src2=0
	v_pk_mul_f16 v6 /*v262*/, v115, v87
	s_set_vgpr_msb 1                        ;  msbs: dst=0 src0=1 src1=0 src2=0
	v_add3_u32 v92, v121 /*v377*/, v92, v241
	s_set_vgpr_msb 0                        ;  msbs: dst=0 src0=0 src1=0 src2=0
	v_mul_i32_i24_e32 v241, v105, v236
	s_set_vgpr_msb 0x44                     ;  msbs: dst=1 src0=0 src1=1 src2=0
	v_mul_i32_i24_e32 v94 /*v350*/, v208, v16 /*v272*/
	v_mul_i32_i24_e32 v93 /*v349*/, v206, v15 /*v271*/
	;; [unrolled: 1-line block ×3, first 2 shown]
	s_set_vgpr_msb 0                        ;  msbs: dst=0 src0=0 src1=0 src2=0
	v_add3_u32 v92, v92, v244, v239
	v_mul_i32_i24_e32 v239, v107, v235
	s_set_vgpr_msb 1                        ;  msbs: dst=0 src0=1 src1=0 src2=0
	v_mul_i32_i24_e32 v244, v117 /*v373*/, v233
	s_set_vgpr_msb 0x44                     ;  msbs: dst=1 src0=0 src1=1 src2=0
	v_mul_i32_i24_e32 v96 /*v352*/, v209, v38 /*v294*/
	s_set_vgpr_msb 0x41                     ;  msbs: dst=1 src0=1 src1=0 src2=0
	v_mul_i32_i24_e32 v97 /*v353*/, v18 /*v274*/, v210
	s_set_vgpr_msb 16                       ;  msbs: dst=0 src0=0 src1=0 src2=1
	v_add3_u32 v92, v92, v245, v11 /*v267*/
	s_set_vgpr_msb 1                        ;  msbs: dst=0 src0=1 src1=0 src2=0
	v_mul_i32_i24_e32 v245, v118 /*v374*/, v234
	s_set_vgpr_msb 64                       ;  msbs: dst=1 src0=0 src1=0 src2=0
	v_mul_i32_i24_e32 v11 /*v267*/, v106, v230
	s_set_vgpr_msb 0x41                     ;  msbs: dst=1 src0=1 src1=0 src2=0
	v_mul_i32_i24_e32 v98 /*v354*/, v19 /*v275*/, v211
	v_mul_i32_i24_e32 v99 /*v355*/, v20 /*v276*/, v212
	s_set_vgpr_msb 20                       ;  msbs: dst=0 src0=0 src1=1 src2=1
	v_add3_u32 v92, v92, v14 /*v270*/, v13 /*v269*/
	s_set_vgpr_msb 0x41                     ;  msbs: dst=1 src0=1 src1=0 src2=0
	v_mul_i32_i24_e32 v13 /*v269*/, v119 /*v375*/, v231
	s_set_vgpr_msb 64                       ;  msbs: dst=1 src0=0 src1=0 src2=0
	v_mul_i32_i24_e32 v14 /*v270*/, v104, v237
	s_set_vgpr_msb 0x41                     ;  msbs: dst=1 src0=1 src1=0 src2=0
	v_mul_i32_i24_e32 v100 /*v356*/, v37 /*v293*/, v213
	v_mul_i32_i24_e32 v101 /*v357*/, v21 /*v277*/, v214
	s_set_vgpr_msb 20                       ;  msbs: dst=0 src0=0 src1=1 src2=1
	v_add3_u32 v92, v92, v76 /*v332*/, v77 /*v333*/
	s_set_vgpr_msb 64                       ;  msbs: dst=1 src0=0 src1=0 src2=0
	v_mul_i32_i24_e32 v76 /*v332*/, v246, v235
	v_mul_i32_i24_e32 v77 /*v333*/, v247, v236
	s_set_vgpr_msb 0x41                     ;  msbs: dst=1 src0=1 src1=0 src2=0
	v_mul_i32_i24_e32 v102 /*v358*/, v22 /*v278*/, v215
	v_mul_i32_i24_e32 v103 /*v359*/, v35 /*v291*/, v216
	s_set_vgpr_msb 20                       ;  msbs: dst=0 src0=0 src1=1 src2=1
	v_add3_u32 v92, v92, v78 /*v334*/, v79 /*v335*/
	s_set_vgpr_msb 64                       ;  msbs: dst=1 src0=0 src1=0 src2=0
	v_mul_i32_i24_e32 v78 /*v334*/, v103, v204
	;; [unrolled: 8-line block ×3, first 2 shown]
	s_set_vgpr_msb 0x41                     ;  msbs: dst=1 src0=1 src1=0 src2=0
	v_mul_i32_i24_e32 v106 /*v362*/, v26 /*v282*/, v218
	v_mul_i32_i24_e32 v81 /*v337*/, v53 /*v309*/, v222
	;; [unrolled: 1-line block ×3, first 2 shown]
	s_set_vgpr_msb 20                       ;  msbs: dst=0 src0=0 src1=1 src2=1
	v_add3_u32 v92, v92, v83 /*v339*/, v82 /*v338*/
	v_add3_u32 v243, v243, v80 /*v336*/, v76 /*v332*/
	s_set_vgpr_msb 0x41                     ;  msbs: dst=1 src0=1 src1=0 src2=0
	v_mul_i32_i24_e32 v80 /*v336*/, v61 /*v317*/, v220
	v_mul_i32_i24_e32 v108 /*v364*/, v30 /*v286*/, v221
	s_set_vgpr_msb 1                        ;  msbs: dst=0 src0=1 src1=0 src2=0
	v_bfe_u32 v226, v75 /*v331*/, 8, 4
	s_set_vgpr_msb 20                       ;  msbs: dst=0 src0=0 src1=1 src2=1
	v_add3_u32 v92, v92, v85 /*v341*/, v84 /*v340*/
	v_add3_u32 v243, v243, v77 /*v333*/, v79 /*v335*/
	s_set_vgpr_msb 0x41                     ;  msbs: dst=1 src0=1 src1=0 src2=0
	v_mul_i32_i24_e32 v79 /*v335*/, v60 /*v316*/, v221
	v_mul_i32_i24_e32 v84 /*v340*/, v56 /*v312*/, v224
	s_set_vgpr_msb 1                        ;  msbs: dst=0 src0=1 src1=0 src2=0
	v_bfe_u32 v229, v75 /*v331*/, 24, 4
	s_set_vgpr_msb 20                       ;  msbs: dst=0 src0=0 src1=1 src2=1
	v_add3_u32 v92, v92, v87 /*v343*/, v86 /*v342*/
	s_set_vgpr_msb 0x41                     ;  msbs: dst=1 src0=1 src1=0 src2=0
	v_mul_i32_i24_e32 v82 /*v338*/, v54 /*v310*/, v223
	v_mul_i32_i24_e32 v83 /*v339*/, v55 /*v311*/, v225
	;; [unrolled: 1-line block ×4, first 2 shown]
	s_set_vgpr_msb 4                        ;  msbs: dst=0 src0=0 src1=1 src2=0
	v_add3_u32 v92, v92, v88 /*v344*/, v240
	s_set_vgpr_msb 0                        ;  msbs: dst=0 src0=0 src1=0 src2=0
	v_mul_i32_i24_e32 v240, v86, v232
	s_set_vgpr_msb 1                        ;  msbs: dst=0 src0=1 src1=0 src2=0
	v_bfe_u32 v228, v75 /*v331*/, 16, 4
	s_set_vgpr_msb 64                       ;  msbs: dst=1 src0=0 src1=0 src2=0
	v_mul_i32_i24_e32 v86 /*v342*/, v93, v226
	s_set_vgpr_msb 0x41                     ;  msbs: dst=1 src0=1 src1=0 src2=0
	v_mul_i32_i24_e32 v88 /*v344*/, v42 /*v298*/, v229
	s_set_vgpr_msb 20                       ;  msbs: dst=0 src0=0 src1=1 src2=1
	v_add3_u32 v92, v92, v90 /*v346*/, v89 /*v345*/
	s_set_vgpr_msb 0                        ;  msbs: dst=0 src0=0 src1=0 src2=0
	v_add3_u32 v240, v243, v240, v244
	s_set_vgpr_msb 4                        ;  msbs: dst=0 src0=0 src1=1 src2=0
	v_lshrrev_b32_e32 v243, 16, v120 /*v376*/
	s_set_vgpr_msb 0x41                     ;  msbs: dst=1 src0=1 src1=0 src2=0
	v_mul_i32_i24_e32 v111 /*v367*/, v31 /*v287*/, v224
	v_mul_i32_i24_e32 v112 /*v368*/, v29 /*v285*/, v225
	s_set_vgpr_msb 20                       ;  msbs: dst=0 src0=0 src1=1 src2=1
	v_add3_u32 v92, v92, v91 /*v347*/, v78 /*v334*/
	s_set_vgpr_msb 0x41                     ;  msbs: dst=1 src0=1 src1=0 src2=0
	v_mul_i32_i24_e32 v78 /*v334*/, v59 /*v315*/, v218
	s_set_vgpr_msb 64                       ;  msbs: dst=1 src0=0 src1=0 src2=0
	v_mul_i32_i24_e32 v85 /*v341*/, v80, v227
	s_set_vgpr_msb 0x41                     ;  msbs: dst=1 src0=1 src1=0 src2=0
	v_mul_i32_i24_e32 v87 /*v343*/, v41 /*v297*/, v228
	s_set_vgpr_msb 64                       ;  msbs: dst=1 src0=0 src1=0 src2=0
	v_mul_i32_i24_e32 v113 /*v369*/, v94, v227
	s_set_vgpr_msb 0                        ;  msbs: dst=0 src0=0 src1=0 src2=0
	v_add3_u32 v92, v92, v239, v241
	s_set_vgpr_msb 16                       ;  msbs: dst=0 src0=0 src1=0 src2=1
	v_add3_u32 v239, v240, v245, v13 /*v269*/
	v_cvt_f32_f16_e64 v245, v243
	s_set_vgpr_msb 4                        ;  msbs: dst=0 src0=0 src1=1 src2=0
	v_lshrrev_b32_e32 v243, 16, v92 /*v348*/
	s_set_vgpr_msb 1                        ;  msbs: dst=0 src0=1 src1=0 src2=0
	v_cvt_f32_f16_e64 v241, v120 /*v376*/
	s_set_vgpr_msb 20                       ;  msbs: dst=0 src0=0 src1=1 src2=1
	v_add3_u32 v92, v92, v11 /*v267*/, v14 /*v270*/
	s_set_vgpr_msb 1                        ;  msbs: dst=0 src0=1 src1=0 src2=0
	v_cvt_f32_f16_e64 v240, v92 /*v348*/
	s_set_vgpr_msb 64                       ;  msbs: dst=1 src0=0 src1=0 src2=0
	v_cvt_f32_i32_e32 v77 /*v333*/, v239
	s_set_vgpr_msb 0                        ;  msbs: dst=0 src0=0 src1=0 src2=0
	v_cvt_f32_f16_e64 v244, v243
	s_set_vgpr_msb 1                        ;  msbs: dst=0 src0=1 src1=0 src2=0
	v_mul_i32_i24_e32 v239, v72 /*v328*/, v207
	s_set_vgpr_msb 64                       ;  msbs: dst=1 src0=0 src1=0 src2=0
	v_cvt_f32_i32_e32 v76 /*v332*/, v92
	s_set_vgpr_msb 1                        ;  msbs: dst=0 src0=1 src1=0 src2=0
	v_mul_i32_i24_e32 v92, v71 /*v327*/, v208
	v_mul_i32_i24_e32 v243, v67 /*v323*/, v211
	s_set_vgpr_msb 0x41                     ;  msbs: dst=1 src0=1 src1=0 src2=0
	v_mul_i32_i24_e32 v11 /*v267*/, v62 /*v318*/, v214
	v_mul_i32_i24_e32 v13 /*v269*/, v63 /*v319*/, v215
	s_set_vgpr_msb 4                        ;  msbs: dst=0 src0=0 src1=1 src2=0
	v_pk_fma_f32 v[240:241], v[240:241], v[76:77] /*v[332:333]*/, v[244:245]
	s_set_vgpr_msb 1                        ;  msbs: dst=0 src0=1 src1=0 src2=0
	v_mad_i32_i24 v92, v70 /*v326*/, v206, v92
	v_mul_i32_i24_e32 v245, v69 /*v325*/, v213
	v_mul_i32_i24_e32 v244, v68 /*v324*/, v212
	s_set_vgpr_msb 0x41                     ;  msbs: dst=1 src0=1 src1=0 src2=0
	v_mul_i32_i24_e32 v76 /*v332*/, v65 /*v321*/, v216
	s_set_vgpr_msb 0                        ;  msbs: dst=0 src0=0 src1=0 src2=0
	v_pk_add_f32 v[34:35], v[34:35], v[240:241]
	s_set_vgpr_msb 1                        ;  msbs: dst=0 src0=1 src1=0 src2=0
	v_mul_i32_i24_e32 v240, v73 /*v329*/, v209
	v_mul_i32_i24_e32 v241, v66 /*v322*/, v210
	s_set_vgpr_msb 0x41                     ;  msbs: dst=1 src0=1 src1=0 src2=0
	v_mul_i32_i24_e32 v14 /*v270*/, v64 /*v320*/, v217
	v_mul_i32_i24_e32 v77 /*v333*/, v58 /*v314*/, v219
	s_set_vgpr_msb 64                       ;  msbs: dst=1 src0=0 src1=0 src2=0
	v_mul_i32_i24_e32 v114 /*v370*/, v95, v226
	s_set_vgpr_msb 0                        ;  msbs: dst=0 src0=0 src1=0 src2=0
	v_add3_u32 v92, v92, v239, v240
	v_and_b32_e32 v240, 15, v242
	v_bfe_u32 v239, v242, 24, 4
	s_set_vgpr_msb 0x41                     ;  msbs: dst=1 src0=1 src1=0 src2=0
	v_mul_i32_i24_e32 v115 /*v371*/, v24 /*v280*/, v228
	s_set_vgpr_msb 64                       ;  msbs: dst=1 src0=0 src1=0 src2=0
	v_mul_i32_i24_e32 v43 /*v299*/, v86, v253
	s_set_vgpr_msb 0                        ;  msbs: dst=0 src0=0 src1=0 src2=0
	v_add3_u32 v92, v92, v245, v243
	s_set_vgpr_msb 1                        ;  msbs: dst=0 src0=1 src1=0 src2=0
	v_bfe_u32 v243, v75 /*v331*/, 4, 4
	s_set_vgpr_msb 0x44                     ;  msbs: dst=1 src0=0 src1=1 src2=0
	v_mul_i32_i24_e32 v10 /*v266*/, v239, v10 /*v266*/
	s_set_vgpr_msb 4                        ;  msbs: dst=0 src0=0 src1=1 src2=0
	v_lshrrev_b32_e32 v245, 28, v75 /*v331*/
	s_set_vgpr_msb 0                        ;  msbs: dst=0 src0=0 src1=0 src2=0
	v_mul_i32_i24_e32 v252, v86, v118
	v_add3_u32 v92, v92, v241, v244
	v_bfe_u32 v241, v242, 8, 4
	v_bfe_u32 v242, v242, 16, 4
	s_set_vgpr_msb 1                        ;  msbs: dst=0 src0=1 src1=0 src2=0
	v_bfe_u32 v244, v75 /*v331*/, 12, 4
	s_set_vgpr_msb 0                        ;  msbs: dst=0 src0=0 src1=0 src2=0
	v_mul_i32_i24_e32 v86, v86, v240
	s_set_vgpr_msb 20                       ;  msbs: dst=0 src0=0 src1=1 src2=1
	v_add3_u32 v92, v92, v76 /*v332*/, v11 /*v267*/
	s_set_vgpr_msb 64                       ;  msbs: dst=1 src0=0 src1=0 src2=0
	v_pk_mul_f16 v11 /*v267*/, v205, v87
	s_set_vgpr_msb 0                        ;  msbs: dst=0 src0=0 src1=0 src2=0
	v_mul_i32_i24_e32 v87, v240, v238
	s_set_vgpr_msb 0x44                     ;  msbs: dst=1 src0=0 src1=1 src2=0
	v_mul_i32_i24_e32 v9 /*v265*/, v242, v9 /*v265*/
	s_set_vgpr_msb 1                        ;  msbs: dst=0 src0=1 src1=0 src2=0
	v_bfe_u32 v238, v75 /*v331*/, 20, 4
	s_set_vgpr_msb 20                       ;  msbs: dst=0 src0=0 src1=1 src2=1
	v_add3_u32 v92, v92, v13 /*v269*/, v14 /*v270*/
	s_set_vgpr_msb 0x41                     ;  msbs: dst=1 src0=1 src1=0 src2=0
	v_mul_i32_i24_e32 v13 /*v269*/, v118 /*v374*/, v242
	s_set_vgpr_msb 4                        ;  msbs: dst=0 src0=0 src1=1 src2=0
	v_mad_i32_i24 v87, v241, v8 /*v264*/, v87
	s_set_vgpr_msb 64                       ;  msbs: dst=1 src0=0 src1=0 src2=0
	v_mul_i32_i24_e32 v8 /*v264*/, v107, v243
	v_mul_i32_i24_e32 v14 /*v270*/, v106, v238
	s_set_vgpr_msb 20                       ;  msbs: dst=0 src0=0 src1=1 src2=1
	v_add3_u32 v92, v92, v80 /*v336*/, v78 /*v334*/
	s_set_vgpr_msb 64                       ;  msbs: dst=1 src0=0 src1=0 src2=0
	v_mul_i32_i24_e32 v78 /*v334*/, v247, v244
	s_set_vgpr_msb 20                       ;  msbs: dst=0 src0=0 src1=1 src2=1
	v_add3_u32 v87, v87, v9 /*v265*/, v10 /*v266*/
	s_set_vgpr_msb 64                       ;  msbs: dst=1 src0=0 src1=0 src2=0
	v_mul_i32_i24_e32 v80 /*v336*/, v248, v238
	v_mul_i32_i24_e32 v9 /*v265*/, v105, v244
	s_set_vgpr_msb 20                       ;  msbs: dst=0 src0=0 src1=1 src2=1
	v_add3_u32 v92, v92, v77 /*v333*/, v79 /*v335*/
	s_set_vgpr_msb 64                       ;  msbs: dst=1 src0=0 src1=0 src2=0
	v_mul_i32_i24_e32 v77 /*v333*/, v246, v243
	s_set_vgpr_msb 20                       ;  msbs: dst=0 src0=0 src1=1 src2=1
	v_add3_u32 v87, v87, v94 /*v350*/, v93 /*v349*/
	s_set_vgpr_msb 64                       ;  msbs: dst=1 src0=0 src1=0 src2=0
	v_mul_i32_i24_e32 v79 /*v335*/, v103, v229
	s_set_vgpr_msb 0x41                     ;  msbs: dst=1 src0=1 src1=0 src2=0
	v_mul_i32_i24_e32 v10 /*v266*/, v117 /*v373*/, v241
	s_set_vgpr_msb 20                       ;  msbs: dst=0 src0=0 src1=1 src2=1
	v_add3_u32 v92, v92, v84 /*v340*/, v81 /*v337*/
	s_set_vgpr_msb 64                       ;  msbs: dst=1 src0=0 src1=0 src2=0
	v_mul_i32_i24_e32 v81 /*v337*/, v249, v245
	s_set_vgpr_msb 20                       ;  msbs: dst=0 src0=0 src1=1 src2=1
	v_add3_u32 v87, v87, v95 /*v351*/, v96 /*v352*/
	s_set_vgpr_msb 0x41                     ;  msbs: dst=1 src0=1 src1=0 src2=0
	v_mul_i32_i24_e32 v75 /*v331*/, v119 /*v375*/, v239
	s_set_vgpr_msb 64                       ;  msbs: dst=1 src0=0 src1=0 src2=0
	v_mul_i32_i24_e32 v76 /*v332*/, v104, v245
	s_set_vgpr_msb 20                       ;  msbs: dst=0 src0=0 src1=1 src2=1
	v_add3_u32 v92, v92, v82 /*v338*/, v83 /*v339*/
	s_set_vgpr_msb 0x41                     ;  msbs: dst=1 src0=1 src1=0 src2=0
	v_mul_i32_i24_e32 v37 /*v293*/, v37 /*v293*/, v113
	s_set_vgpr_msb 20                       ;  msbs: dst=0 src0=0 src1=1 src2=1
	v_add3_u32 v87, v87, v98 /*v354*/, v97 /*v353*/
	s_set_vgpr_msb 0x41                     ;  msbs: dst=1 src0=1 src1=0 src2=0
	v_mul_i32_i24_e32 v33 /*v289*/, v33 /*v289*/, v114
	s_set_vgpr_msb 0x44                     ;  msbs: dst=1 src0=0 src1=1 src2=0
	v_mul_i32_i24_e32 v51 /*v307*/, v246, v3 /*v259*/
	s_set_vgpr_msb 20                       ;  msbs: dst=0 src0=0 src1=1 src2=1
	v_add3_u32 v92, v92, v88 /*v344*/, v86 /*v342*/
	s_set_vgpr_msb 0x44                     ;  msbs: dst=1 src0=0 src1=1 src2=0
	v_mul_i32_i24_e32 v52 /*v308*/, v247, v4 /*v260*/
	s_set_vgpr_msb 20                       ;  msbs: dst=0 src0=0 src1=1 src2=1
	v_add3_u32 v87, v87, v99 /*v355*/, v100 /*v356*/
	s_set_vgpr_msb 0x45                     ;  msbs: dst=1 src0=1 src1=1 src2=0
	v_mul_i32_i24_e32 v45 /*v301*/, v117 /*v373*/, v1 /*v257*/
	v_mul_i32_i24_e32 v48 /*v304*/, v118 /*v374*/, v2 /*v258*/
	s_set_vgpr_msb 20                       ;  msbs: dst=0 src0=0 src1=1 src2=1
	v_add3_u32 v92, v92, v85 /*v341*/, v87 /*v343*/
	s_set_vgpr_msb 0x41                     ;  msbs: dst=1 src0=1 src1=0 src2=0
	v_mul_i32_i24_e32 v50 /*v306*/, v119 /*v375*/, v251
	s_set_vgpr_msb 20                       ;  msbs: dst=0 src0=0 src1=1 src2=1
	v_add3_u32 v87, v87, v101 /*v357*/, v102 /*v358*/
	v_cvt_f32_f16_e32 v90, v90
	s_set_vgpr_msb 0x41                     ;  msbs: dst=1 src0=1 src1=0 src2=0
	v_mul_i32_i24_e32 v0 /*v256*/, v119 /*v375*/, v117
	s_set_vgpr_msb 20                       ;  msbs: dst=0 src0=0 src1=1 src2=1
	v_add3_u32 v92, v92, v81 /*v337*/, v77 /*v333*/
	s_set_vgpr_msb 1                        ;  msbs: dst=0 src0=1 src1=0 src2=0
	v_mul_i32_i24_e32 v254, v117 /*v373*/, v119
	s_set_vgpr_msb 20                       ;  msbs: dst=0 src0=0 src1=1 src2=1
	v_add3_u32 v87, v87, v104 /*v360*/, v103 /*v359*/
	s_set_vgpr_msb 1                        ;  msbs: dst=0 src0=1 src1=0 src2=0
	v_mul_i32_i24_e32 v255, v118 /*v374*/, v116
	s_set_vgpr_msb 20                       ;  msbs: dst=0 src0=0 src1=1 src2=1
	v_add3_u32 v92, v92, v78 /*v334*/, v80 /*v336*/
	v_add3_u32 v87, v87, v106 /*v362*/, v105 /*v361*/
	s_set_vgpr_msb 16                       ;  msbs: dst=0 src0=0 src1=0 src2=1
	s_delay_alu instid0(VALU_DEP_2) | instskip(SKIP_1) | instid1(VALU_DEP_2)
	v_add3_u32 v86, v92, v86, v10 /*v266*/
	s_set_vgpr_msb 20                       ;  msbs: dst=0 src0=0 src1=1 src2=1
	v_add3_u32 v87, v87, v108 /*v364*/, v107 /*v363*/
	s_set_vgpr_msb 0x54                     ;  msbs: dst=1 src0=0 src1=1 src2=1
	s_delay_alu instid0(VALU_DEP_2) | instskip(SKIP_4) | instid1(VALU_DEP_1)
	v_add3_u32 v10 /*v266*/, v86, v13 /*v269*/, v75 /*v331*/
	s_set_vgpr_msb 1                        ;  msbs: dst=0 src0=1 src1=0 src2=0
	v_cvt_f32_f16_e64 v86, v116 /*v372*/
	s_set_vgpr_msb 20                       ;  msbs: dst=0 src0=0 src1=1 src2=1
	v_add3_u32 v87, v87, v110 /*v366*/, v109 /*v365*/
	v_add3_u32 v87, v87, v112 /*v368*/, v111 /*v367*/
	s_delay_alu instid0(VALU_DEP_1) | instskip(NEXT) | instid1(VALU_DEP_1)
	v_add3_u32 v87, v87, v114 /*v370*/, v113 /*v369*/
	v_add3_u32 v87, v87, v115 /*v371*/, v79 /*v335*/
	s_delay_alu instid0(VALU_DEP_1) | instskip(SKIP_3) | instid1(VALU_DEP_2)
	v_add3_u32 v87, v87, v8 /*v264*/, v9 /*v265*/
	s_set_vgpr_msb 0x44                     ;  msbs: dst=1 src0=0 src1=1 src2=0
	v_lshrrev_b32_e32 v8 /*v264*/, 16, v11 /*v267*/
	s_set_vgpr_msb 20                       ;  msbs: dst=0 src0=0 src1=1 src2=1
	v_add3_u32 v92, v87, v14 /*v270*/, v76 /*v332*/
	s_set_vgpr_msb 0x41                     ;  msbs: dst=1 src0=1 src1=0 src2=0
	s_delay_alu instid0(VALU_DEP_2)
	v_cvt_f32_f16_e64 v9 /*v265*/, v8 /*v264*/
	s_set_vgpr_msb 0x44                     ;  msbs: dst=1 src0=0 src1=1 src2=0
	v_lshrrev_b32_e32 v8 /*v264*/, 16, v116 /*v372*/
	s_set_vgpr_msb 1                        ;  msbs: dst=0 src0=1 src1=0 src2=0
	v_cvt_f32_f16_e64 v87, v11 /*v267*/
	s_set_vgpr_msb 0x41                     ;  msbs: dst=1 src0=1 src1=0 src2=0
	v_cvt_f32_i32_e32 v11 /*v267*/, v10 /*v266*/
	s_set_vgpr_msb 64                       ;  msbs: dst=1 src0=0 src1=0 src2=0
	v_cvt_f32_i32_e32 v10 /*v266*/, v92
	v_bfe_u32 v14 /*v270*/, v84, 20, 4
	s_set_vgpr_msb 0x41                     ;  msbs: dst=1 src0=1 src1=0 src2=0
	v_cvt_f32_f16_e64 v8 /*v264*/, v8 /*v264*/
	s_set_vgpr_msb 20                       ;  msbs: dst=0 src0=0 src1=1 src2=1
	s_delay_alu instid0(VALU_DEP_1) | instskip(SKIP_1) | instid1(VALU_DEP_1)
	v_pk_fma_f32 v[86:87], v[86:87], v[10:11] /*v[266:267]*/, v[8:9] /*v[264:265]*/
	s_set_vgpr_msb 0                        ;  msbs: dst=0 src0=0 src1=0 src2=0
	v_pk_add_f32 v[32:33], v[32:33], v[86:87]
	v_add_nc_u32_e32 v87, 0x804, v97
	v_add_nc_u32_e32 v86, 0x800, v97
	s_set_vgpr_msb 64                       ;  msbs: dst=1 src0=0 src1=0 src2=0
	ds_load_2addr_b32 v[78:79] /*v[334:335]*/, v87 offset1:1
	s_set_vgpr_msb 0                        ;  msbs: dst=0 src0=0 src1=0 src2=0
	v_add_nc_u32_e32 v87, 0x814, v97
	s_set_vgpr_msb 64                       ;  msbs: dst=1 src0=0 src1=0 src2=0
	ds_load_2addr_b32 v[76:77] /*v[332:333]*/, v86 offset0:4 offset1:7
	ds_load_2addr_b32 v[80:81] /*v[336:337]*/, v87 offset1:1
	ds_load_2addr_b32 v[82:83] /*v[338:339]*/, v86 offset1:3
	s_set_vgpr_msb 0                        ;  msbs: dst=0 src0=0 src1=0 src2=0
	ds_load_2addr_b32 v[86:87], v96 offset0:64 offset1:96
	s_wait_dscnt 0x4
	s_set_vgpr_msb 0x41                     ;  msbs: dst=1 src0=1 src1=0 src2=0
	v_bfe_i32 v89 /*v345*/, v78 /*v334*/, 8, 8
	v_bfe_i32 v90 /*v346*/, v79 /*v335*/, 8, 8
	s_wait_dscnt 0x3
	v_bfe_i32 v8 /*v264*/, v77 /*v333*/, 0, 8
	v_bfe_i32 v9 /*v265*/, v77 /*v333*/, 8, 8
	;; [unrolled: 1-line block ×3, first 2 shown]
	s_wait_dscnt 0x1
	s_set_vgpr_msb 0x44                     ;  msbs: dst=1 src0=0 src1=1 src2=0
	v_lshrrev_b16 v13 /*v269*/, 8, v82 /*v338*/
	v_ashrrev_i32_e32 v11 /*v267*/, 24, v77 /*v333*/
	s_set_vgpr_msb 4                        ;  msbs: dst=0 src0=0 src1=1 src2=0
	v_lshrrev_b16 v92, 8, v76 /*v332*/
	s_set_vgpr_msb 0x44                     ;  msbs: dst=1 src0=0 src1=1 src2=0
	v_ashrrev_i32_e32 v75 /*v331*/, 24, v82 /*v338*/
	s_set_vgpr_msb 0x41                     ;  msbs: dst=1 src0=1 src1=0 src2=0
	v_bfe_i32 v84 /*v340*/, v82 /*v338*/, 16, 8
	v_bfe_i32 v77 /*v333*/, v13 /*v269*/, 0, 8
	s_set_vgpr_msb 0x44                     ;  msbs: dst=1 src0=0 src1=1 src2=0
	v_and_b32_e32 v13 /*v269*/, 0xffff, v12 /*v268*/
	v_bfe_u32 v12 /*v268*/, v84, 4, 4
	s_set_vgpr_msb 0                        ;  msbs: dst=0 src0=0 src1=0 src2=0
	v_bfe_i32 v92, v92, 0, 8
	s_set_vgpr_msb 0x41                     ;  msbs: dst=1 src0=1 src1=0 src2=0
	v_bfe_i32 v91 /*v347*/, v83 /*v339*/, 16, 8
	v_bfe_i32 v92 /*v348*/, v83 /*v339*/, 8, 8
	;; [unrolled: 1-line block ×3, first 2 shown]
	s_set_vgpr_msb 5                        ;  msbs: dst=0 src0=1 src1=1 src2=0
	v_mul_i32_i24_e32 v84, v12 /*v268*/, v15 /*v271*/
	s_set_vgpr_msb 0x45                     ;  msbs: dst=1 src0=1 src1=1 src2=0
	v_mul_i32_i24_e32 v15 /*v271*/, v13 /*v269*/, v16 /*v272*/
	v_mul_i32_i24_e32 v16 /*v272*/, v14 /*v270*/, v17 /*v273*/
	s_set_vgpr_msb 0x44                     ;  msbs: dst=1 src0=0 src1=1 src2=0
	v_mul_i32_i24_e32 v17 /*v273*/, v111, v38 /*v294*/
	s_set_vgpr_msb 0x45                     ;  msbs: dst=1 src0=1 src1=1 src2=0
	v_mul_i32_i24_e32 v38 /*v294*/, v13 /*v269*/, v71 /*v327*/
	v_mul_i32_i24_e32 v71 /*v327*/, v14 /*v270*/, v72 /*v328*/
	s_set_vgpr_msb 5                        ;  msbs: dst=0 src0=1 src1=1 src2=0
	v_add3_u32 v84, v74 /*v330*/, v15 /*v271*/, v84
	s_set_vgpr_msb 0x44                     ;  msbs: dst=1 src0=0 src1=1 src2=0
	v_and_b32_e32 v15 /*v271*/, 0xffff, v40 /*v296*/
	v_mul_i32_i24_e32 v72 /*v328*/, v111, v73 /*v329*/
	s_set_vgpr_msb 0x55                     ;  msbs: dst=1 src0=1 src1=1 src2=1
	v_mad_i32_i24 v38 /*v294*/, v12 /*v268*/, v70 /*v326*/, v38 /*v294*/
	v_ashrrev_i32_e32 v70 /*v326*/, 24, v76 /*v332*/
	s_set_vgpr_msb 20                       ;  msbs: dst=0 src0=0 src1=1 src2=1
	v_add3_u32 v84, v84, v16 /*v272*/, v17 /*v273*/
	s_set_vgpr_msb 64                       ;  msbs: dst=1 src0=0 src1=0 src2=0
	v_and_b32_e32 v17 /*v273*/, 15, v85
	v_bfe_u32 v16 /*v272*/, v85, 16, 4
	s_set_vgpr_msb 0x55                     ;  msbs: dst=1 src0=1 src1=1 src2=1
	v_mul_i32_i24_e32 v19 /*v275*/, v19 /*v275*/, v15 /*v271*/
	v_add3_u32 v38 /*v294*/, v38 /*v294*/, v71 /*v327*/, v72 /*v328*/
	s_set_vgpr_msb 0x44                     ;  msbs: dst=1 src0=0 src1=1 src2=0
	v_mul_i32_i24_e32 v57 /*v313*/, v249, v5 /*v261*/
	s_set_vgpr_msb 0x45                     ;  msbs: dst=1 src0=1 src1=1 src2=0
	v_mul_i32_i24_e32 v18 /*v274*/, v18 /*v274*/, v17 /*v273*/
	v_mul_i32_i24_e32 v20 /*v276*/, v20 /*v276*/, v16 /*v272*/
	;; [unrolled: 1-line block ×5, first 2 shown]
	s_set_vgpr_msb 20                       ;  msbs: dst=0 src0=0 src1=1 src2=1
	v_add3_u32 v84, v84, v19 /*v275*/, v18 /*v274*/
	s_set_vgpr_msb 0x44                     ;  msbs: dst=1 src0=0 src1=1 src2=0
	v_and_b32_e32 v18 /*v274*/, 0xffff, v39 /*v295*/
	s_set_vgpr_msb 0x41                     ;  msbs: dst=1 src0=1 src1=0 src2=0
	v_mul_i32_i24_e32 v68 /*v324*/, v69 /*v325*/, v113
	s_set_vgpr_msb 0x44                     ;  msbs: dst=1 src0=0 src1=1 src2=0
	v_bfe_u32 v19 /*v275*/, v85, 20, 4
	v_mul_i32_i24_e32 v49 /*v305*/, v104, v5 /*v261*/
	s_set_vgpr_msb 20                       ;  msbs: dst=0 src0=0 src1=1 src2=1
	v_add3_u32 v84, v84, v20 /*v276*/, v37 /*v293*/
	s_set_vgpr_msb 64                       ;  msbs: dst=1 src0=0 src1=0 src2=0
	v_bfe_u32 v20 /*v276*/, v85, 4, 4
	s_set_vgpr_msb 0x55                     ;  msbs: dst=1 src0=1 src1=1 src2=1
	v_add3_u32 v38 /*v294*/, v38 /*v294*/, v68 /*v324*/, v66 /*v322*/
	v_mul_i32_i24_e32 v39 /*v295*/, v63 /*v319*/, v18 /*v274*/
	s_set_vgpr_msb 0x41                     ;  msbs: dst=1 src0=1 src1=0 src2=0
	v_mul_i32_i24_e32 v63 /*v319*/, v65 /*v321*/, v109
	v_bfe_i32 v71 /*v327*/, v76 /*v332*/, 0, 8
	s_set_vgpr_msb 5                        ;  msbs: dst=0 src0=1 src1=1 src2=0
	v_mul_i32_i24_e32 v85, v21 /*v277*/, v20 /*v276*/
	s_set_vgpr_msb 0x45                     ;  msbs: dst=1 src0=1 src1=1 src2=0
	v_mul_i32_i24_e32 v21 /*v277*/, v22 /*v278*/, v18 /*v274*/
	v_mul_i32_i24_e32 v22 /*v278*/, v23 /*v279*/, v19 /*v275*/
	s_set_vgpr_msb 0x41                     ;  msbs: dst=1 src0=1 src1=0 src2=0
	v_mul_i32_i24_e32 v23 /*v279*/, v35 /*v291*/, v109
	s_set_vgpr_msb 0x55                     ;  msbs: dst=1 src0=1 src1=1 src2=1
	v_add3_u32 v38 /*v294*/, v38 /*v294*/, v40 /*v296*/, v67 /*v323*/
	v_mul_i32_i24_e32 v35 /*v291*/, v62 /*v318*/, v20 /*v276*/
	s_set_vgpr_msb 16                       ;  msbs: dst=0 src0=0 src1=0 src2=1
	v_add3_u32 v84, v84, v85, v21 /*v277*/
	s_set_vgpr_msb 0x55                     ;  msbs: dst=1 src0=1 src1=1 src2=1
	v_and_b32_e32 v21 /*v277*/, 0xffff, v36 /*v292*/
	v_mul_i32_i24_e32 v62 /*v318*/, v64 /*v320*/, v19 /*v275*/
	v_bfe_i32 v72 /*v328*/, v76 /*v332*/, 16, 8
	v_add3_u32 v35 /*v291*/, v38 /*v294*/, v63 /*v319*/, v35 /*v291*/
	s_set_vgpr_msb 20                       ;  msbs: dst=0 src0=0 src1=1 src2=1
	v_add3_u32 v84, v84, v22 /*v278*/, v23 /*v279*/
	s_set_vgpr_msb 64                       ;  msbs: dst=1 src0=0 src1=0 src2=0
	v_and_b32_e32 v23 /*v279*/, 15, v82
	v_bfe_u32 v22 /*v278*/, v82, 16, 4
	s_set_vgpr_msb 0x55                     ;  msbs: dst=1 src0=1 src1=1 src2=1
	v_mul_i32_i24_e32 v26 /*v282*/, v26 /*v282*/, v21 /*v277*/
	v_add3_u32 v35 /*v291*/, v35 /*v291*/, v39 /*v295*/, v62 /*v318*/
	v_ashrrev_i32_e32 v69 /*v325*/, 24, v78 /*v334*/
	v_mul_i32_i24_e32 v25 /*v281*/, v25 /*v281*/, v23 /*v279*/
	v_mul_i32_i24_e32 v30 /*v286*/, v30 /*v286*/, v22 /*v278*/
	v_mul_i32_i24_e32 v36 /*v292*/, v58 /*v314*/, v23 /*v279*/
	v_mul_i32_i24_e32 v58 /*v314*/, v59 /*v315*/, v21 /*v277*/
	v_mul_i32_i24_e32 v59 /*v315*/, v60 /*v316*/, v22 /*v278*/
	s_set_vgpr_msb 0x41                     ;  msbs: dst=1 src0=1 src1=0 src2=0
	v_mul_i32_i24_e32 v60 /*v316*/, v61 /*v317*/, v114
	s_set_vgpr_msb 20                       ;  msbs: dst=0 src0=0 src1=1 src2=1
	v_add3_u32 v84, v84, v26 /*v282*/, v25 /*v281*/
	s_set_vgpr_msb 0x44                     ;  msbs: dst=1 src0=0 src1=1 src2=0
	v_and_b32_e32 v25 /*v281*/, 0xffff, v34 /*v290*/
	v_bfe_u32 v26 /*v282*/, v82, 20, 4
	s_set_vgpr_msb 0x55                     ;  msbs: dst=1 src0=1 src1=1 src2=1
	v_bfe_i32 v76 /*v332*/, v78 /*v334*/, 16, 8
	v_add3_u32 v35 /*v291*/, v35 /*v291*/, v60 /*v316*/, v58 /*v314*/
	s_set_vgpr_msb 20                       ;  msbs: dst=0 src0=0 src1=1 src2=1
	v_add3_u32 v84, v84, v30 /*v286*/, v33 /*v289*/
	s_set_vgpr_msb 64                       ;  msbs: dst=1 src0=0 src1=0 src2=0
	v_bfe_u32 v30 /*v286*/, v82, 4, 4
	s_set_vgpr_msb 0x55                     ;  msbs: dst=1 src0=1 src1=1 src2=1
	v_mul_i32_i24_e32 v33 /*v289*/, v54 /*v310*/, v25 /*v281*/
	v_mul_i32_i24_e32 v34 /*v290*/, v55 /*v311*/, v26 /*v282*/
	v_add3_u32 v35 /*v291*/, v35 /*v291*/, v36 /*v292*/, v59 /*v315*/
	v_bfe_i32 v78 /*v334*/, v78 /*v334*/, 0, 8
	s_set_vgpr_msb 5                        ;  msbs: dst=0 src0=1 src1=1 src2=0
	v_mul_i32_i24_e32 v82, v27 /*v283*/, v30 /*v286*/
	s_set_vgpr_msb 0x45                     ;  msbs: dst=1 src0=1 src1=1 src2=0
	v_mul_i32_i24_e32 v27 /*v283*/, v28 /*v284*/, v25 /*v281*/
	v_mul_i32_i24_e32 v28 /*v284*/, v29 /*v285*/, v26 /*v282*/
	s_set_vgpr_msb 0x41                     ;  msbs: dst=1 src0=1 src1=0 src2=0
	v_mul_i32_i24_e32 v29 /*v285*/, v31 /*v287*/, v110
	s_set_vgpr_msb 0x45                     ;  msbs: dst=1 src0=1 src1=1 src2=0
	v_mul_i32_i24_e32 v31 /*v287*/, v53 /*v309*/, v30 /*v286*/
	s_set_vgpr_msb 0x41                     ;  msbs: dst=1 src0=1 src1=0 src2=0
	v_mul_i32_i24_e32 v53 /*v309*/, v56 /*v312*/, v110
	s_set_vgpr_msb 16                       ;  msbs: dst=0 src0=0 src1=0 src2=1
	v_add3_u32 v82, v84, v82, v27 /*v283*/
	s_set_vgpr_msb 0x44                     ;  msbs: dst=1 src0=0 src1=1 src2=0
	v_dual_ashrrev_i32 v64 /*v320*/, 24, v80 /*v336*/ :: v_dual_ashrrev_i32 v61 /*v317*/, 24, v79 /*v335*/
	s_set_vgpr_msb 0x55                     ;  msbs: dst=1 src0=1 src1=1 src2=1
	v_bfe_i32 v65 /*v321*/, v80 /*v336*/, 16, 8
	v_add3_u32 v31 /*v287*/, v35 /*v291*/, v53 /*v309*/, v31 /*v287*/
	s_set_vgpr_msb 0x41                     ;  msbs: dst=1 src0=1 src1=0 src2=0
	v_mul_i32_i24_e32 v35 /*v291*/, v42 /*v298*/, v112
	s_set_vgpr_msb 20                       ;  msbs: dst=0 src0=0 src1=1 src2=1
	v_add3_u32 v82, v82, v28 /*v284*/, v29 /*v285*/
	s_set_vgpr_msb 64                       ;  msbs: dst=1 src0=0 src1=0 src2=0
	v_mul_i32_i24_e32 v42 /*v298*/, v248, v250
	s_set_vgpr_msb 0x55                     ;  msbs: dst=1 src0=1 src1=1 src2=1
	v_mul_i32_i24_e32 v73 /*v329*/, v72 /*v328*/, v14 /*v270*/
	v_add3_u32 v34 /*v290*/, v31 /*v287*/, v33 /*v289*/, v34 /*v290*/
	v_and_b32_e32 v31 /*v287*/, 0xffff, v32 /*v288*/
	s_set_vgpr_msb 64                       ;  msbs: dst=1 src0=0 src1=0 src2=0
	v_and_b32_e32 v33 /*v289*/, 15, v83
	v_bfe_u32 v32 /*v288*/, v83, 16, 4
	s_set_vgpr_msb 0x41                     ;  msbs: dst=1 src0=1 src1=0 src2=0
	v_mul_i32_i24_e32 v74 /*v330*/, v70 /*v326*/, v111
	s_set_vgpr_msb 0x45                     ;  msbs: dst=1 src0=1 src1=1 src2=0
	v_mul_i32_i24_e32 v37 /*v293*/, v78 /*v334*/, v17 /*v273*/
	s_set_vgpr_msb 4                        ;  msbs: dst=0 src0=0 src1=1 src2=0
	v_mul_i32_i24_e32 v93, v93, v31 /*v287*/
	v_mul_i32_i24_e32 v83, v94, v33 /*v289*/
	;; [unrolled: 1-line block ×3, first 2 shown]
	s_set_vgpr_msb 5                        ;  msbs: dst=0 src0=1 src1=1 src2=0
	v_mul_i32_i24_e32 v95, v24 /*v280*/, v32 /*v288*/
	s_set_vgpr_msb 4                        ;  msbs: dst=0 src0=0 src1=1 src2=0
	v_mul_i32_i24_e32 v80, v80, v33 /*v289*/
	s_set_vgpr_msb 0x45                     ;  msbs: dst=1 src0=1 src1=1 src2=0
	v_mul_i32_i24_e32 v24 /*v280*/, v41 /*v297*/, v32 /*v288*/
	s_set_vgpr_msb 5                        ;  msbs: dst=0 src0=1 src1=1 src2=0
	v_add3_u32 v93, v34 /*v290*/, v35 /*v291*/, v93
	s_set_vgpr_msb 64                       ;  msbs: dst=1 src0=0 src1=0 src2=0
	v_mul_i32_i24_e32 v41 /*v297*/, v103, v112
	s_set_vgpr_msb 0                        ;  msbs: dst=0 src0=0 src1=0 src2=0
	v_add3_u32 v82, v82, v94, v83
	s_set_vgpr_msb 0x45                     ;  msbs: dst=1 src0=1 src1=1 src2=0
	v_mul_i32_i24_e32 v40 /*v296*/, v89 /*v345*/, v15 /*v271*/
	v_mul_i32_i24_e32 v66 /*v322*/, v76 /*v332*/, v16 /*v272*/
	s_set_vgpr_msb 16                       ;  msbs: dst=0 src0=0 src1=0 src2=1
	v_add3_u32 v80, v93, v80, v24 /*v280*/
	s_set_vgpr_msb 0x41                     ;  msbs: dst=1 src0=1 src1=0 src2=0
	v_mul_i32_i24_e32 v67 /*v323*/, v69 /*v325*/, v113
	s_set_vgpr_msb 16                       ;  msbs: dst=0 src0=0 src1=0 src2=1
	v_add3_u32 v82, v82, v95, v41 /*v297*/
	s_set_vgpr_msb 0x41                     ;  msbs: dst=1 src0=1 src1=0 src2=0
	v_bfe_i32 v68 /*v324*/, v80 /*v336*/, 8, 8
	v_bfe_i32 v80 /*v336*/, v80 /*v336*/, 0, 8
	s_set_vgpr_msb 20                       ;  msbs: dst=0 src0=0 src1=1 src2=1
	v_add3_u32 v80, v80, v57 /*v313*/, v51 /*v307*/
	s_set_vgpr_msb 0x45                     ;  msbs: dst=1 src0=1 src1=1 src2=0
	v_mul_i32_i24_e32 v39 /*v295*/, v65 /*v321*/, v19 /*v275*/
	s_set_vgpr_msb 20                       ;  msbs: dst=0 src0=0 src1=1 src2=1
	v_add3_u32 v82, v82, v44 /*v300*/, v47 /*v303*/
	s_set_vgpr_msb 0x41                     ;  msbs: dst=1 src0=1 src1=0 src2=0
	v_mul_i32_i24_e32 v62 /*v318*/, v64 /*v320*/, v109
	v_bfe_i32 v63 /*v319*/, v79 /*v335*/, 16, 8
	s_set_vgpr_msb 20                       ;  msbs: dst=0 src0=0 src1=1 src2=1
	v_add3_u32 v80, v80, v52 /*v308*/, v42 /*v298*/
	s_set_vgpr_msb 0x41                     ;  msbs: dst=1 src0=1 src1=0 src2=0
	v_bfe_i32 v79 /*v335*/, v79 /*v335*/, 0, 8
	s_set_vgpr_msb 20                       ;  msbs: dst=0 src0=0 src1=1 src2=1
	v_add3_u32 v82, v82, v46 /*v302*/, v49 /*v305*/
	s_set_vgpr_msb 0x44                     ;  msbs: dst=1 src0=0 src1=1 src2=0
	v_dual_ashrrev_i32 v54 /*v310*/, 24, v81 /*v337*/ :: v_dual_ashrrev_i32 v53 /*v309*/, 24, v83 /*v339*/
	s_set_vgpr_msb 20                       ;  msbs: dst=0 src0=0 src1=1 src2=1
	v_add3_u32 v80, v80, v43 /*v299*/, v45 /*v301*/
	s_set_vgpr_msb 0x41                     ;  msbs: dst=1 src0=1 src1=0 src2=0
	v_bfe_i32 v55 /*v311*/, v81 /*v337*/, 16, 8
	s_set_vgpr_msb 0                        ;  msbs: dst=0 src0=0 src1=0 src2=0
	v_cvt_f32_i32_e32 v82, v82
	s_set_vgpr_msb 5                        ;  msbs: dst=0 src0=1 src1=1 src2=0
	v_mul_i32_i24_e32 v85, v80 /*v336*/, v20 /*v276*/
	s_set_vgpr_msb 0x45                     ;  msbs: dst=1 src0=1 src1=1 src2=0
	v_mul_i32_i24_e32 v38 /*v294*/, v68 /*v324*/, v18 /*v274*/
	s_set_vgpr_msb 20                       ;  msbs: dst=0 src0=0 src1=1 src2=1
	v_add3_u32 v80, v80, v48 /*v304*/, v50 /*v306*/
	s_set_vgpr_msb 0x45                     ;  msbs: dst=1 src0=1 src1=1 src2=0
	v_mul_i32_i24_e32 v36 /*v292*/, v79 /*v335*/, v23 /*v279*/
	v_mul_i32_i24_e32 v58 /*v314*/, v90 /*v346*/, v21 /*v277*/
	v_mul_i32_i24_e32 v59 /*v315*/, v63 /*v319*/, v22 /*v278*/
	s_set_vgpr_msb 0x41                     ;  msbs: dst=1 src0=1 src1=0 src2=0
	v_mul_i32_i24_e32 v60 /*v316*/, v61 /*v317*/, v114
	s_set_vgpr_msb 0                        ;  msbs: dst=0 src0=0 src1=0 src2=0
	v_cvt_f32_i32_e32 v83, v80
	s_set_vgpr_msb 0x45                     ;  msbs: dst=1 src0=1 src1=1 src2=0
	v_bfe_i32 v56 /*v312*/, v81 /*v337*/, 8, 8
	v_bfe_i32 v81 /*v337*/, v81 /*v337*/, 0, 8
	v_mul_i32_i24_e32 v28 /*v284*/, v55 /*v311*/, v26 /*v282*/
	s_set_vgpr_msb 0x41                     ;  msbs: dst=1 src0=1 src1=0 src2=0
	v_mul_i32_i24_e32 v29 /*v285*/, v54 /*v310*/, v110
	v_bfe_i32 v83 /*v339*/, v83 /*v339*/, 0, 8
	s_set_vgpr_msb 0                        ;  msbs: dst=0 src0=0 src1=0 src2=0
	v_pk_fma_f32 v[82:83], v[88:89], v[82:83], v[90:91]
	s_set_vgpr_msb 21                       ;  msbs: dst=0 src0=1 src1=1 src2=1
	v_mad_i32_i24 v93, v71 /*v327*/, v12 /*v268*/, v37 /*v293*/
	s_set_vgpr_msb 20                       ;  msbs: dst=0 src0=0 src1=1 src2=1
	v_mad_i32_i24 v94, v92, v13 /*v269*/, v40 /*v296*/
	s_set_vgpr_msb 21                       ;  msbs: dst=0 src0=1 src1=1 src2=1
	v_add3_u32 v95, v74 /*v330*/, v67 /*v323*/, v62 /*v318*/
	s_set_vgpr_msb 0x55                     ;  msbs: dst=1 src0=1 src1=1 src2=1
	v_add3_u32 v24 /*v280*/, v73 /*v329*/, v66 /*v322*/, v39 /*v295*/
	v_mul_i32_i24_e32 v87 /*v343*/, v2 /*v258*/, v84 /*v340*/
	s_set_vgpr_msb 0x44                     ;  msbs: dst=1 src0=0 src1=1 src2=0
	v_mul_i32_i24_e32 v88 /*v344*/, v251, v75 /*v331*/
	s_set_vgpr_msb 5                        ;  msbs: dst=0 src0=1 src1=1 src2=0
	v_mul_i32_i24_e32 v84, v81 /*v337*/, v30 /*v286*/
	s_set_vgpr_msb 0x45                     ;  msbs: dst=1 src0=1 src1=1 src2=0
	v_mul_i32_i24_e32 v27 /*v283*/, v56 /*v312*/, v25 /*v281*/
	s_set_vgpr_msb 0                        ;  msbs: dst=0 src0=0 src1=0 src2=0
	v_pk_add_f32 v[36:37], v[36:37], v[82:83]
	s_set_vgpr_msb 5                        ;  msbs: dst=0 src0=1 src1=1 src2=0
	v_mul_i32_i24_e32 v80, v83 /*v339*/, v33 /*v289*/
	v_mul_i32_i24_e32 v82, v92 /*v348*/, v31 /*v287*/
	;; [unrolled: 1-line block ×3, first 2 shown]
	s_set_vgpr_msb 1                        ;  msbs: dst=0 src0=1 src1=0 src2=0
	v_mul_i32_i24_e32 v88, v53 /*v309*/, v112
	s_set_vgpr_msb 20                       ;  msbs: dst=0 src0=0 src1=1 src2=1
	v_add3_u32 v94, v94, v38 /*v294*/, v58 /*v314*/
	s_set_vgpr_msb 16                       ;  msbs: dst=0 src0=0 src1=0 src2=1
	v_add3_u32 v85, v93, v85, v36 /*v292*/
	s_set_vgpr_msb 21                       ;  msbs: dst=0 src0=1 src1=1 src2=1
	v_add3_u32 v93, v24 /*v280*/, v59 /*v315*/, v28 /*v284*/
	s_set_vgpr_msb 20                       ;  msbs: dst=0 src0=0 src1=1 src2=1
	v_add3_u32 v95, v95, v60 /*v316*/, v29 /*v285*/
	s_set_vgpr_msb 0x44                     ;  msbs: dst=1 src0=0 src1=1 src2=0
	v_mul_i32_i24_e32 v85 /*v341*/, v253, v82 /*v338*/
	s_set_vgpr_msb 0x45                     ;  msbs: dst=1 src0=1 src1=1 src2=0
	v_mul_i32_i24_e32 v86 /*v342*/, v1 /*v257*/, v77 /*v333*/
	s_set_vgpr_msb 4                        ;  msbs: dst=0 src0=0 src1=1 src2=0
	v_add3_u32 v82, v94, v27 /*v283*/, v82
	s_set_vgpr_msb 0                        ;  msbs: dst=0 src0=0 src1=0 src2=0
	v_add3_u32 v80, v85, v84, v80
	s_set_vgpr_msb 16                       ;  msbs: dst=0 src0=0 src1=0 src2=1
	v_add3_u32 v84, v95, v88, v88 /*v344*/
	v_add3_u32 v83, v93, v83, v87 /*v343*/
	s_set_vgpr_msb 5                        ;  msbs: dst=0 src0=1 src1=1 src2=0
	v_mul_i32_i24_e32 v89, v9 /*v265*/, v4 /*v260*/
	v_mul_i32_i24_e32 v91, v11 /*v267*/, v5 /*v261*/
	s_set_vgpr_msb 1                        ;  msbs: dst=0 src0=1 src1=0 src2=0
	v_mul_i32_i24_e32 v90, v10 /*v266*/, v250
	s_set_vgpr_msb 4                        ;  msbs: dst=0 src0=0 src1=1 src2=0
	v_add3_u32 v82, v82, v86 /*v342*/, v84
	v_add3_u32 v80, v80, v85 /*v341*/, v83
	s_set_vgpr_msb 1                        ;  msbs: dst=0 src0=1 src1=0 src2=0
	v_mul_i32_i24_e32 v83, v70 /*v326*/, v123
	v_mul_i32_i24_e32 v85, v89 /*v345*/, v125
	;; [unrolled: 1-line block ×4, first 2 shown]
	s_set_vgpr_msb 0                        ;  msbs: dst=0 src0=0 src1=0 src2=0
	v_add3_u32 v80, v80, v82, v91
	s_set_vgpr_msb 5                        ;  msbs: dst=0 src0=1 src1=1 src2=0
	v_mad_i32_i24 v82, v8 /*v264*/, v3 /*v259*/, v89
	s_set_vgpr_msb 1                        ;  msbs: dst=0 src0=1 src1=0 src2=0
	v_mul_i32_i24_e32 v89, v69 /*v325*/, v127
	v_mul_i32_i24_e32 v91, v80 /*v336*/, v128
	;; [unrolled: 1-line block ×4, first 2 shown]
	s_set_vgpr_msb 0                        ;  msbs: dst=0 src0=0 src1=0 src2=0
	v_add3_u32 v80, v80, v82, v90
	s_wait_dscnt 0x0
	v_pk_mul_f16 v82, v108, v86
	s_set_vgpr_msb 1                        ;  msbs: dst=0 src0=1 src1=0 src2=0
	v_mul_i32_i24_e32 v94, v65 /*v321*/, v131
	s_set_vgpr_msb 0x41                     ;  msbs: dst=1 src0=1 src1=0 src2=0
	v_mul_i32_i24_e32 v35 /*v291*/, v90 /*v346*/, v132
	v_mul_i32_i24_e32 v37 /*v293*/, v61 /*v317*/, v134
	s_set_vgpr_msb 0                        ;  msbs: dst=0 src0=0 src1=0 src2=0
	v_cvt_f32_i32_e32 v80, v80
	s_set_vgpr_msb 0x41                     ;  msbs: dst=1 src0=1 src1=0 src2=0
	v_mul_i32_i24_e32 v34 /*v290*/, v79 /*v335*/, v133
	v_mul_i32_i24_e32 v36 /*v292*/, v63 /*v319*/, v135
	;; [unrolled: 1-line block ×4, first 2 shown]
	s_set_vgpr_msb 0                        ;  msbs: dst=0 src0=0 src1=0 src2=0
	v_fma_mix_f32 v90, v82, v80, v82 op_sel:[0,0,1] op_sel_hi:[1,0,1]
	v_mul_i32_i24_e32 v80, v92, v122
	s_set_vgpr_msb 1                        ;  msbs: dst=0 src0=1 src1=0 src2=0
	v_mul_i32_i24_e32 v82, v72 /*v328*/, v121
	s_set_vgpr_msb 0x41                     ;  msbs: dst=1 src0=1 src1=0 src2=0
	v_mul_i32_i24_e32 v39 /*v295*/, v56 /*v312*/, v137
	v_mul_i32_i24_e32 v40 /*v296*/, v55 /*v311*/, v139
	;; [unrolled: 1-line block ×3, first 2 shown]
	s_set_vgpr_msb 1                        ;  msbs: dst=0 src0=1 src1=0 src2=0
	v_mad_i32_i24 v80, v71 /*v327*/, v120, v80
	s_set_vgpr_msb 0x41                     ;  msbs: dst=1 src0=1 src1=0 src2=0
	v_mul_i32_i24_e32 v45 /*v301*/, v53 /*v309*/, v143
	v_mul_i32_i24_e32 v42 /*v298*/, v83 /*v339*/, v141
	;; [unrolled: 1-line block ×4, first 2 shown]
	s_set_vgpr_msb 0                        ;  msbs: dst=0 src0=0 src1=0 src2=0
	v_add3_u32 v80, v80, v82, v83
	s_set_vgpr_msb 0x41                     ;  msbs: dst=1 src0=1 src1=0 src2=0
	v_mul_i32_i24_e32 v46 /*v302*/, v56 /*v312*/, v198
	v_mul_i32_i24_e32 v47 /*v303*/, v55 /*v311*/, v200
	;; [unrolled: 1-line block ×4, first 2 shown]
	s_set_vgpr_msb 0                        ;  msbs: dst=0 src0=0 src1=0 src2=0
	v_add3_u32 v80, v80, v89, v85
	v_mul_i32_i24_e32 v89, v92, v147
	s_set_vgpr_msb 0x41                     ;  msbs: dst=1 src0=1 src1=0 src2=0
	v_mul_i32_i24_e32 v49 /*v305*/, v83 /*v339*/, v202
	v_mul_i32_i24_e32 v51 /*v307*/, v91 /*v347*/, v203
	;; [unrolled: 1-line block ×3, first 2 shown]
	s_set_vgpr_msb 0                        ;  msbs: dst=0 src0=0 src1=0 src2=0
	v_add3_u32 v80, v80, v84, v88
	s_set_vgpr_msb 1                        ;  msbs: dst=0 src0=1 src1=0 src2=0
	v_mad_i32_i24 v89, v71 /*v327*/, v145, v89
	s_set_vgpr_msb 0x41                     ;  msbs: dst=1 src0=1 src1=0 src2=0
	v_mul_i32_i24_e32 v60 /*v316*/, v11 /*v267*/, v237
	v_mul_i32_i24_e32 v58 /*v314*/, v9 /*v265*/, v236
	v_mul_i32_i24_e32 v59 /*v315*/, v10 /*v266*/, v230
	s_set_vgpr_msb 0                        ;  msbs: dst=0 src0=0 src1=0 src2=0
	v_add3_u32 v80, v80, v95, v91
	s_set_vgpr_msb 1                        ;  msbs: dst=0 src0=1 src1=0 src2=0
	v_mul_i32_i24_e32 v91, v72 /*v328*/, v146
	v_mul_i32_i24_e32 v95, v89 /*v345*/, v150
	;; [unrolled: 1-line block ×4, first 2 shown]
	s_set_vgpr_msb 0                        ;  msbs: dst=0 src0=0 src1=0 src2=0
	v_add3_u32 v80, v80, v93, v94
	s_set_vgpr_msb 1                        ;  msbs: dst=0 src0=1 src1=0 src2=0
	v_mul_i32_i24_e32 v93, v70 /*v326*/, v148
	v_mul_i32_i24_e32 v94, v78 /*v334*/, v149
	;; [unrolled: 1-line block ×3, first 2 shown]
	s_set_vgpr_msb 0x41                     ;  msbs: dst=1 src0=1 src1=0 src2=0
	v_mul_i32_i24_e32 v29 /*v285*/, v75 /*v331*/, v117
	s_set_vgpr_msb 20                       ;  msbs: dst=0 src0=0 src1=1 src2=1
	v_add3_u32 v80, v80, v37 /*v293*/, v35 /*v291*/
	s_set_vgpr_msb 0                        ;  msbs: dst=0 src0=0 src1=0 src2=0
	v_add3_u32 v89, v89, v91, v93
	s_set_vgpr_msb 0x41                     ;  msbs: dst=1 src0=1 src1=0 src2=0
	v_mul_i32_i24_e32 v35 /*v291*/, v76 /*v332*/, v151
	v_mul_i32_i24_e32 v37 /*v293*/, v80 /*v336*/, v153
	s_set_vgpr_msb 0                        ;  msbs: dst=0 src0=0 src1=0 src2=0
	v_mul_i32_i24_e32 v91, v92, v208
	s_set_vgpr_msb 20                       ;  msbs: dst=0 src0=0 src1=1 src2=1
	v_add3_u32 v80, v80, v34 /*v290*/, v36 /*v292*/
	s_set_vgpr_msb 0x41                     ;  msbs: dst=1 src0=1 src1=0 src2=0
	v_mul_i32_i24_e32 v36 /*v292*/, v69 /*v325*/, v152
	s_set_vgpr_msb 1                        ;  msbs: dst=0 src0=1 src1=0 src2=0
	v_mul_i32_i24_e32 v92, v72 /*v328*/, v207
	v_mul_i32_i24_e32 v93, v70 /*v326*/, v209
	v_mad_i32_i24 v91, v71 /*v327*/, v206, v91
	s_set_vgpr_msb 20                       ;  msbs: dst=0 src0=0 src1=1 src2=1
	v_add3_u32 v80, v80, v41 /*v297*/, v38 /*v294*/
	s_set_vgpr_msb 4                        ;  msbs: dst=0 src0=0 src1=1 src2=0
	v_add3_u32 v89, v89, v36 /*v292*/, v95
	s_set_vgpr_msb 0x41                     ;  msbs: dst=1 src0=1 src1=0 src2=0
	v_mul_i32_i24_e32 v38 /*v294*/, v68 /*v324*/, v154
	s_set_vgpr_msb 1                        ;  msbs: dst=0 src0=1 src1=0 src2=0
	v_mul_i32_i24_e32 v95, v89 /*v345*/, v211
	s_set_vgpr_msb 0x41                     ;  msbs: dst=1 src0=1 src1=0 src2=0
	v_mul_i32_i24_e32 v36 /*v292*/, v69 /*v325*/, v213
	s_set_vgpr_msb 20                       ;  msbs: dst=0 src0=0 src1=1 src2=1
	v_add3_u32 v80, v80, v39 /*v295*/, v40 /*v296*/
	s_set_vgpr_msb 0x41                     ;  msbs: dst=1 src0=1 src1=0 src2=0
	v_mul_i32_i24_e32 v40 /*v296*/, v64 /*v320*/, v155
	s_set_vgpr_msb 16                       ;  msbs: dst=0 src0=0 src1=0 src2=1
	v_add3_u32 v89, v89, v94, v35 /*v291*/
	s_set_vgpr_msb 0x41                     ;  msbs: dst=1 src0=1 src1=0 src2=0
	v_mul_i32_i24_e32 v39 /*v295*/, v65 /*v321*/, v189
	s_set_vgpr_msb 0                        ;  msbs: dst=0 src0=0 src1=0 src2=0
	v_add3_u32 v91, v91, v92, v93
	s_set_vgpr_msb 20                       ;  msbs: dst=0 src0=0 src1=1 src2=1
	v_add3_u32 v80, v80, v45 /*v301*/, v43 /*v299*/
	s_set_vgpr_msb 0x41                     ;  msbs: dst=1 src0=1 src1=0 src2=0
	v_mul_i32_i24_e32 v41 /*v297*/, v79 /*v335*/, v194
	s_set_vgpr_msb 20                       ;  msbs: dst=0 src0=0 src1=1 src2=1
	v_add3_u32 v89, v89, v40 /*v296*/, v37 /*v293*/
	s_set_vgpr_msb 0x41                     ;  msbs: dst=1 src0=1 src1=0 src2=0
	v_mul_i32_i24_e32 v43 /*v299*/, v63 /*v319*/, v196
	s_set_vgpr_msb 1                        ;  msbs: dst=0 src0=1 src1=0 src2=0
	v_mul_i32_i24_e32 v94, v78 /*v334*/, v210
	s_set_vgpr_msb 0x54                     ;  msbs: dst=1 src0=0 src1=1 src2=1
	v_add3_u32 v34 /*v290*/, v80, v42 /*v298*/, v44 /*v300*/
	s_set_vgpr_msb 0x41                     ;  msbs: dst=1 src0=1 src1=0 src2=0
	v_mul_i32_i24_e32 v42 /*v298*/, v90 /*v346*/, v193
	v_mul_i32_i24_e32 v44 /*v300*/, v61 /*v317*/, v195
	s_set_vgpr_msb 20                       ;  msbs: dst=0 src0=0 src1=1 src2=1
	v_add3_u32 v89, v89, v38 /*v294*/, v39 /*v295*/
	s_set_vgpr_msb 0x41                     ;  msbs: dst=1 src0=1 src1=0 src2=0
	v_mul_i32_i24_e32 v35 /*v291*/, v76 /*v332*/, v212
	s_set_vgpr_msb 4                        ;  msbs: dst=0 src0=0 src1=1 src2=0
	v_add3_u32 v91, v91, v36 /*v292*/, v95
	s_set_vgpr_msb 0x41                     ;  msbs: dst=1 src0=1 src1=0 src2=0
	v_mul_i32_i24_e32 v45 /*v301*/, v81 /*v337*/, v197
	v_mul_i32_i24_e32 v37 /*v293*/, v80 /*v336*/, v214
	s_set_vgpr_msb 20                       ;  msbs: dst=0 src0=0 src1=1 src2=1
	v_add3_u32 v89, v89, v44 /*v300*/, v42 /*v298*/
	s_set_vgpr_msb 0x41                     ;  msbs: dst=1 src0=1 src1=0 src2=0
	v_mul_i32_i24_e32 v40 /*v296*/, v64 /*v320*/, v216
	s_set_vgpr_msb 16                       ;  msbs: dst=0 src0=0 src1=0 src2=1
	v_add3_u32 v91, v91, v94, v35 /*v291*/
	s_set_vgpr_msb 0x41                     ;  msbs: dst=1 src0=1 src1=0 src2=0
	v_mul_i32_i24_e32 v38 /*v294*/, v68 /*v324*/, v215
	v_mul_i32_i24_e32 v39 /*v295*/, v65 /*v321*/, v217
	s_set_vgpr_msb 20                       ;  msbs: dst=0 src0=0 src1=1 src2=1
	v_add3_u32 v89, v89, v41 /*v297*/, v43 /*v299*/
	s_set_vgpr_msb 0x41                     ;  msbs: dst=1 src0=1 src1=0 src2=0
	v_mul_i32_i24_e32 v42 /*v298*/, v90 /*v346*/, v218
	s_set_vgpr_msb 20                       ;  msbs: dst=0 src0=0 src1=1 src2=1
	v_add3_u32 v91, v91, v40 /*v296*/, v37 /*v293*/
	s_set_vgpr_msb 0x41                     ;  msbs: dst=1 src0=1 src1=0 src2=0
	v_mul_i32_i24_e32 v44 /*v300*/, v61 /*v317*/, v220
	v_mul_i32_i24_e32 v41 /*v297*/, v79 /*v335*/, v219
	s_set_vgpr_msb 20                       ;  msbs: dst=0 src0=0 src1=1 src2=1
	v_add3_u32 v89, v89, v48 /*v304*/, v45 /*v301*/
	s_set_vgpr_msb 0x41                     ;  msbs: dst=1 src0=1 src1=0 src2=0
	v_mul_i32_i24_e32 v43 /*v299*/, v63 /*v319*/, v221
	s_set_vgpr_msb 20                       ;  msbs: dst=0 src0=0 src1=1 src2=1
	v_add3_u32 v91, v91, v38 /*v294*/, v39 /*v295*/
	s_set_vgpr_msb 0                        ;  msbs: dst=0 src0=0 src1=0 src2=0
	v_pk_mul_f16 v80, v115, v86
	s_set_vgpr_msb 0x41                     ;  msbs: dst=1 src0=1 src1=0 src2=0
	v_mul_i32_i24_e32 v45 /*v301*/, v81 /*v337*/, v222
	s_set_vgpr_msb 20                       ;  msbs: dst=0 src0=0 src1=1 src2=1
	v_add3_u32 v89, v89, v46 /*v302*/, v47 /*v303*/
	s_set_vgpr_msb 0x41                     ;  msbs: dst=1 src0=1 src1=0 src2=0
	v_mul_i32_i24_e32 v48 /*v304*/, v54 /*v310*/, v224
	s_set_vgpr_msb 20                       ;  msbs: dst=0 src0=0 src1=1 src2=1
	v_add3_u32 v91, v91, v44 /*v300*/, v42 /*v298*/
	v_cvt_f32_f16_e32 v82, v80
	s_set_vgpr_msb 0                        ;  msbs: dst=0 src0=0 src1=0 src2=0
	v_lshrrev_b32_e32 v80, 16, v80
	s_set_vgpr_msb 20                       ;  msbs: dst=0 src0=0 src1=1 src2=1
	v_add3_u32 v89, v89, v52 /*v308*/, v50 /*v306*/
	s_set_vgpr_msb 0x41                     ;  msbs: dst=1 src0=1 src1=0 src2=0
	v_mul_i32_i24_e32 v46 /*v302*/, v56 /*v312*/, v223
	s_set_vgpr_msb 20                       ;  msbs: dst=0 src0=0 src1=1 src2=1
	v_add3_u32 v91, v91, v41 /*v297*/, v43 /*v299*/
	s_set_vgpr_msb 0x41                     ;  msbs: dst=1 src0=1 src1=0 src2=0
	v_mul_i32_i24_e32 v47 /*v303*/, v55 /*v311*/, v225
	s_set_vgpr_msb 20                       ;  msbs: dst=0 src0=0 src1=1 src2=1
	v_cvt_f32_f16_e32 v84, v80
	v_add3_u32 v89, v89, v49 /*v305*/, v51 /*v307*/
	s_set_vgpr_msb 1                        ;  msbs: dst=0 src0=1 src1=0 src2=0
	v_mul_i32_i24_e32 v80, v82 /*v338*/, v232
	s_set_vgpr_msb 20                       ;  msbs: dst=0 src0=0 src1=1 src2=1
	v_add3_u32 v91, v91, v48 /*v304*/, v45 /*v301*/
	s_set_vgpr_msb 0x41                     ;  msbs: dst=1 src0=1 src1=0 src2=0
	v_mul_i32_i24_e32 v50 /*v306*/, v92 /*v348*/, v226
	v_mul_i32_i24_e32 v52 /*v308*/, v53 /*v309*/, v229
	s_set_vgpr_msb 20                       ;  msbs: dst=0 src0=0 src1=1 src2=1
	v_add3_u32 v89, v89, v60 /*v316*/, v57 /*v313*/
	s_set_vgpr_msb 0x41                     ;  msbs: dst=1 src0=1 src1=0 src2=0
	v_mul_i32_i24_e32 v49 /*v305*/, v83 /*v339*/, v227
	s_set_vgpr_msb 20                       ;  msbs: dst=0 src0=0 src1=1 src2=1
	v_add3_u32 v91, v91, v46 /*v302*/, v47 /*v303*/
	s_set_vgpr_msb 0x41                     ;  msbs: dst=1 src0=1 src1=0 src2=0
	v_mul_i32_i24_e32 v51 /*v307*/, v91 /*v347*/, v228
	v_mul_i32_i24_e32 v53 /*v309*/, v8 /*v264*/, v243
	s_set_vgpr_msb 20                       ;  msbs: dst=0 src0=0 src1=1 src2=1
	v_add3_u32 v89, v89, v58 /*v314*/, v59 /*v315*/
	s_set_vgpr_msb 0x41                     ;  msbs: dst=1 src0=1 src1=0 src2=0
	v_mul_i32_i24_e32 v56 /*v312*/, v11 /*v267*/, v245
	s_set_vgpr_msb 20                       ;  msbs: dst=0 src0=0 src1=1 src2=1
	v_add3_u32 v91, v91, v52 /*v308*/, v50 /*v306*/
	s_set_vgpr_msb 0x41                     ;  msbs: dst=1 src0=1 src1=0 src2=0
	v_mul_i32_i24_e32 v54 /*v310*/, v9 /*v265*/, v244
	v_mul_i32_i24_e32 v55 /*v311*/, v10 /*v266*/, v238
	s_set_vgpr_msb 0                        ;  msbs: dst=0 src0=0 src1=0 src2=0
	v_add3_u32 v80, v89, v80, v83
	v_pk_mul_f16 v83, v144, v86
	s_set_vgpr_msb 20                       ;  msbs: dst=0 src0=0 src1=1 src2=1
	v_add3_u32 v91, v91, v49 /*v305*/, v51 /*v307*/
	s_set_vgpr_msb 1                        ;  msbs: dst=0 src0=1 src1=0 src2=0
	v_mul_i32_i24_e32 v89, v75 /*v331*/, v239
	s_set_vgpr_msb 0x41                     ;  msbs: dst=1 src0=1 src1=0 src2=0
	v_mul_i32_i24_e32 v27 /*v283*/, v77 /*v333*/, v119
	s_set_vgpr_msb 0                        ;  msbs: dst=0 src0=0 src1=0 src2=0
	v_add3_u32 v80, v80, v85, v88
	s_set_vgpr_msb 1                        ;  msbs: dst=0 src0=1 src1=0 src2=0
	v_mul_i32_i24_e32 v85, v84 /*v340*/, v242
	s_set_vgpr_msb 20                       ;  msbs: dst=0 src0=0 src1=1 src2=1
	v_add3_u32 v91, v91, v56 /*v312*/, v53 /*v309*/
	s_set_vgpr_msb 0x41                     ;  msbs: dst=1 src0=1 src1=0 src2=0
	v_mul_i32_i24_e32 v24 /*v280*/, v82 /*v338*/, v118
	v_mul_i32_i24_e32 v28 /*v284*/, v84 /*v340*/, v116
	s_set_vgpr_msb 0                        ;  msbs: dst=0 src0=0 src1=0 src2=0
	v_cvt_f32_i32_e32 v80, v80
	v_mul_i32_i24_e32 v103, v103, v143
	s_set_vgpr_msb 20                       ;  msbs: dst=0 src0=0 src1=1 src2=1
	v_add3_u32 v91, v91, v54 /*v310*/, v55 /*v311*/
	s_set_vgpr_msb 0                        ;  msbs: dst=0 src0=0 src1=0 src2=0
	v_fma_mix_f32 v88, v83, v80, v83 op_sel:[0,0,1] op_sel_hi:[1,0,1]
	s_set_vgpr_msb 1                        ;  msbs: dst=0 src0=1 src1=0 src2=0
	v_mul_i32_i24_e32 v80, v82 /*v338*/, v240
	v_mul_i32_i24_e32 v83, v77 /*v333*/, v241
	s_set_vgpr_msb 0                        ;  msbs: dst=0 src0=0 src1=0 src2=0
	v_add3_u32 v103, v192, v190, v103
	s_delay_alu instid0(VALU_DEP_2) | instskip(SKIP_1) | instid1(VALU_DEP_2)
	v_add3_u32 v80, v91, v80, v83
	v_pk_mul_f16 v83, v205, v86
	v_add3_u32 v80, v80, v85, v89
	s_delay_alu instid0(VALU_DEP_1) | instskip(NEXT) | instid1(VALU_DEP_1)
	v_cvt_f32_i32_e32 v80, v80
	v_fma_mix_f32 v86, v83, v80, v83 op_sel:[0,0,1] op_sel_hi:[1,0,1]
	v_add_nc_u32_e32 v80, 0xc04, v97
	ds_load_2addr_b32 v[92:93], v80 offset1:1
	v_add_nc_u32_e32 v80, 0xc14, v97
	ds_load_2addr_b32 v[94:95], v80 offset1:1
	v_add_nc_u32_e32 v80, 0xc00, v97
	s_set_vgpr_msb 64                       ;  msbs: dst=1 src0=0 src1=0 src2=0
	ds_load_2addr_b32 v[40:41] /*v[296:297]*/, v80 offset1:3
	ds_load_2addr_b32 v[38:39] /*v[294:295]*/, v80 offset0:4 offset1:7
	s_wait_dscnt 0x3
	v_bfe_i32 v47 /*v303*/, v92, 0, 8
	v_bfe_i32 v48 /*v304*/, v92, 8, 8
	;; [unrolled: 1-line block ×3, first 2 shown]
	s_set_vgpr_msb 0                        ;  msbs: dst=0 src0=0 src1=0 src2=0
	v_ashrrev_i32_e32 v92, 24, v92
	s_set_vgpr_msb 64                       ;  msbs: dst=1 src0=0 src1=0 src2=0
	v_bfe_i32 v53 /*v309*/, v93, 0, 8
	s_set_vgpr_msb 0x45                     ;  msbs: dst=1 src0=1 src1=1 src2=0
	v_mul_i32_i24_e32 v42 /*v298*/, v47 /*v303*/, v17 /*v273*/
	s_wait_dscnt 0x2
	s_set_vgpr_msb 64                       ;  msbs: dst=1 src0=0 src1=0 src2=0
	v_bfe_i32 v50 /*v306*/, v94, 0, 8
	v_bfe_i32 v51 /*v307*/, v94, 8, 8
	;; [unrolled: 1-line block ×3, first 2 shown]
	s_set_vgpr_msb 0                        ;  msbs: dst=0 src0=0 src1=0 src2=0
	v_ashrrev_i32_e32 v94, 24, v94
	s_set_vgpr_msb 0x45                     ;  msbs: dst=1 src0=1 src1=1 src2=0
	v_mul_i32_i24_e32 v43 /*v299*/, v48 /*v304*/, v15 /*v271*/
	s_wait_dscnt 0x1
	v_bfe_i32 v59 /*v315*/, v41 /*v297*/, 0, 8
	s_wait_dscnt 0x0
	v_bfe_i32 v44 /*v300*/, v38 /*v294*/, 8, 8
	s_set_vgpr_msb 1                        ;  msbs: dst=0 src0=1 src1=0 src2=0
	v_bfe_i32 v80, v38 /*v294*/, 0, 8
	s_set_vgpr_msb 0x41                     ;  msbs: dst=1 src0=1 src1=0 src2=0
	v_bfe_i32 v45 /*v301*/, v38 /*v294*/, 16, 8
	s_set_vgpr_msb 0x44                     ;  msbs: dst=1 src0=0 src1=1 src2=0
	v_dual_ashrrev_i32 v46 /*v302*/, 24, v38 /*v294*/ :: v_dual_ashrrev_i32 v62 /*v318*/, 24, v41 /*v297*/
	s_set_vgpr_msb 0x41                     ;  msbs: dst=1 src0=1 src1=0 src2=0
	v_bfe_i32 v35 /*v291*/, v39 /*v295*/, 0, 8
	v_bfe_i32 v36 /*v292*/, v39 /*v295*/, 8, 8
	;; [unrolled: 1-line block ×3, first 2 shown]
	s_set_vgpr_msb 0x45                     ;  msbs: dst=1 src0=1 src1=1 src2=0
	v_dual_ashrrev_i32 v38 /*v294*/, 24, v39 /*v295*/ :: v_dual_ashrrev_i32 v65 /*v321*/, 24, v40 /*v296*/
	v_mul_i32_i24_e32 v39 /*v295*/, v13 /*v269*/, v44 /*v300*/
	v_bfe_i32 v60 /*v316*/, v41 /*v297*/, 8, 8
	v_bfe_i32 v61 /*v317*/, v41 /*v297*/, 16, 8
	;; [unrolled: 1-line block ×5, first 2 shown]
	v_mul_i32_i24_e32 v40 /*v296*/, v14 /*v270*/, v45 /*v301*/
	s_set_vgpr_msb 0x44                     ;  msbs: dst=1 src0=0 src1=1 src2=0
	v_mul_i32_i24_e32 v41 /*v297*/, v111, v46 /*v302*/
	s_set_vgpr_msb 0x51                     ;  msbs: dst=1 src0=1 src1=0 src2=1
	v_mad_i32_i24 v39 /*v295*/, v12 /*v268*/, v80, v39 /*v295*/
	s_set_vgpr_msb 64                       ;  msbs: dst=1 src0=0 src1=0 src2=0
	v_mul_i32_i24_e32 v68 /*v324*/, v92, v113
	s_set_vgpr_msb 0x45                     ;  msbs: dst=1 src0=1 src1=1 src2=0
	v_mul_i32_i24_e32 v67 /*v323*/, v49 /*v305*/, v16 /*v272*/
	v_mul_i32_i24_e32 v69 /*v325*/, v50 /*v306*/, v20 /*v276*/
	s_set_vgpr_msb 64                       ;  msbs: dst=1 src0=0 src1=0 src2=0
	v_mul_i32_i24_e32 v72 /*v328*/, v94, v109
	s_set_vgpr_msb 0x55                     ;  msbs: dst=1 src0=1 src1=1 src2=1
	v_add3_u32 v39 /*v295*/, v39 /*v295*/, v40 /*v296*/, v41 /*v297*/
	s_set_vgpr_msb 64                       ;  msbs: dst=1 src0=0 src1=0 src2=0
	v_bfe_i32 v54 /*v310*/, v93, 8, 8
	v_bfe_i32 v55 /*v311*/, v93, 16, 8
	s_set_vgpr_msb 0                        ;  msbs: dst=0 src0=0 src1=0 src2=0
	v_ashrrev_i32_e32 v93, 24, v93
	s_set_vgpr_msb 0x55                     ;  msbs: dst=1 src0=1 src1=1 src2=1
	v_mul_i32_i24_e32 v70 /*v326*/, v51 /*v307*/, v18 /*v274*/
	v_add3_u32 v39 /*v295*/, v39 /*v295*/, v68 /*v324*/, v43 /*v299*/
	v_mul_i32_i24_e32 v71 /*v327*/, v52 /*v308*/, v19 /*v275*/
	s_set_vgpr_msb 64                       ;  msbs: dst=1 src0=0 src1=0 src2=0
	v_bfe_i32 v56 /*v312*/, v95, 0, 8
	v_bfe_i32 v57 /*v313*/, v95, 8, 8
	v_bfe_i32 v58 /*v314*/, v95, 16, 8
	s_set_vgpr_msb 0x55                     ;  msbs: dst=1 src0=1 src1=1 src2=1
	v_add3_u32 v39 /*v295*/, v39 /*v295*/, v42 /*v298*/, v67 /*v323*/
	s_set_vgpr_msb 0                        ;  msbs: dst=0 src0=0 src1=0 src2=0
	v_ashrrev_i32_e32 v95, 24, v95
	s_set_vgpr_msb 0x45                     ;  msbs: dst=1 src0=1 src1=1 src2=0
	v_mul_i32_i24_e32 v74 /*v330*/, v54 /*v310*/, v21 /*v277*/
	s_set_vgpr_msb 64                       ;  msbs: dst=1 src0=0 src1=0 src2=0
	v_mul_i32_i24_e32 v76 /*v332*/, v93, v114
	s_set_vgpr_msb 0x55                     ;  msbs: dst=1 src0=1 src1=1 src2=1
	v_mul_i32_i24_e32 v73 /*v329*/, v53 /*v309*/, v23 /*v279*/
	v_add3_u32 v39 /*v295*/, v39 /*v295*/, v72 /*v328*/, v69 /*v325*/
	v_mul_i32_i24_e32 v75 /*v331*/, v55 /*v311*/, v22 /*v278*/
	v_mul_i32_i24_e32 v77 /*v333*/, v56 /*v312*/, v30 /*v286*/
	s_set_vgpr_msb 64                       ;  msbs: dst=1 src0=0 src1=0 src2=0
	v_mul_i32_i24_e32 v80 /*v336*/, v95, v110
	s_set_vgpr_msb 0x55                     ;  msbs: dst=1 src0=1 src1=1 src2=1
	v_mul_i32_i24_e32 v78 /*v334*/, v57 /*v313*/, v25 /*v281*/
	v_add3_u32 v39 /*v295*/, v39 /*v295*/, v70 /*v326*/, v71 /*v327*/
	v_mul_i32_i24_e32 v79 /*v335*/, v58 /*v314*/, v26 /*v282*/
	v_mul_i32_i24_e32 v82 /*v338*/, v60 /*v316*/, v31 /*v287*/
	s_set_vgpr_msb 0x41                     ;  msbs: dst=1 src0=1 src1=0 src2=0
	v_mul_i32_i24_e32 v84 /*v340*/, v62 /*v318*/, v112
	s_set_vgpr_msb 0x55                     ;  msbs: dst=1 src0=1 src1=1 src2=1
	v_mul_i32_i24_e32 v81 /*v337*/, v59 /*v315*/, v33 /*v289*/
	v_add3_u32 v39 /*v295*/, v39 /*v295*/, v76 /*v332*/, v74 /*v330*/
	v_mul_i32_i24_e32 v83 /*v339*/, v61 /*v317*/, v32 /*v288*/
	v_mul_i32_i24_e32 v85 /*v341*/, v35 /*v291*/, v3 /*v259*/
	;; [unrolled: 1-line block ×4, first 2 shown]
	v_add3_u32 v39 /*v295*/, v39 /*v295*/, v73 /*v329*/, v75 /*v331*/
	s_set_vgpr_msb 0x41                     ;  msbs: dst=1 src0=1 src1=0 src2=0
	v_mul_i32_i24_e32 v87 /*v343*/, v37 /*v293*/, v250
	s_set_vgpr_msb 4                        ;  msbs: dst=0 src0=0 src1=1 src2=0
	v_mul_i32_i24_e32 v83, v253, v64 /*v320*/
	s_set_vgpr_msb 5                        ;  msbs: dst=0 src0=1 src1=1 src2=0
	v_mul_i32_i24_e32 v85, v1 /*v257*/, v63 /*v319*/
	v_mul_i32_i24_e32 v89, v2 /*v258*/, v66 /*v322*/
	s_set_vgpr_msb 0x55                     ;  msbs: dst=1 src0=1 src1=1 src2=1
	v_add3_u32 v39 /*v295*/, v39 /*v295*/, v80 /*v336*/, v77 /*v333*/
	s_set_vgpr_msb 4                        ;  msbs: dst=0 src0=0 src1=1 src2=0
	v_mul_i32_i24_e32 v91, v251, v65 /*v321*/
	s_set_vgpr_msb 64                       ;  msbs: dst=1 src0=0 src1=0 src2=0
	v_mul_i32_i24_e32 v67 /*v323*/, v92, v127
	s_set_vgpr_msb 0x41                     ;  msbs: dst=1 src0=1 src1=0 src2=0
	v_mul_i32_i24_e32 v43 /*v299*/, v49 /*v305*/, v126
	v_mul_i32_i24_e32 v68 /*v324*/, v50 /*v306*/, v128
	s_set_vgpr_msb 0x55                     ;  msbs: dst=1 src0=1 src1=1 src2=1
	v_add3_u32 v39 /*v295*/, v39 /*v295*/, v78 /*v334*/, v79 /*v335*/
	s_set_vgpr_msb 64                       ;  msbs: dst=1 src0=0 src1=0 src2=0
	v_mul_i32_i24_e32 v71 /*v327*/, v94, v130
	s_set_vgpr_msb 0x41                     ;  msbs: dst=1 src0=1 src1=0 src2=0
	v_mul_i32_i24_e32 v69 /*v325*/, v51 /*v307*/, v129
	v_mul_i32_i24_e32 v70 /*v326*/, v52 /*v308*/, v131
	v_mul_i32_i24_e32 v73 /*v329*/, v54 /*v310*/, v132
	s_set_vgpr_msb 0x55                     ;  msbs: dst=1 src0=1 src1=1 src2=1
	v_add3_u32 v39 /*v295*/, v39 /*v295*/, v84 /*v340*/, v82 /*v338*/
	s_set_vgpr_msb 64                       ;  msbs: dst=1 src0=0 src1=0 src2=0
	v_mul_i32_i24_e32 v75 /*v331*/, v93, v134
	s_set_vgpr_msb 0x41                     ;  msbs: dst=1 src0=1 src1=0 src2=0
	v_mul_i32_i24_e32 v72 /*v328*/, v53 /*v309*/, v133
	v_mul_i32_i24_e32 v74 /*v330*/, v55 /*v311*/, v135
	v_mul_i32_i24_e32 v76 /*v332*/, v56 /*v312*/, v136
	s_set_vgpr_msb 0x55                     ;  msbs: dst=1 src0=1 src1=1 src2=1
	v_add3_u32 v39 /*v295*/, v39 /*v295*/, v81 /*v337*/, v83 /*v339*/
	s_set_vgpr_msb 64                       ;  msbs: dst=1 src0=0 src1=0 src2=0
	v_mul_i32_i24_e32 v79 /*v335*/, v95, v138
	s_set_vgpr_msb 0x41                     ;  msbs: dst=1 src0=1 src1=0 src2=0
	v_mul_i32_i24_e32 v77 /*v333*/, v57 /*v313*/, v137
	v_mul_i32_i24_e32 v78 /*v334*/, v58 /*v314*/, v139
	v_mul_i32_i24_e32 v81 /*v337*/, v60 /*v316*/, v140
	s_set_vgpr_msb 0x55                     ;  msbs: dst=1 src0=1 src1=1 src2=1
	v_add3_u32 v39 /*v295*/, v39 /*v295*/, v88 /*v344*/, v85 /*v341*/
	s_set_vgpr_msb 0x41                     ;  msbs: dst=1 src0=1 src1=0 src2=0
	v_mul_i32_i24_e32 v83 /*v339*/, v62 /*v318*/, v143
	v_mul_i32_i24_e32 v80 /*v336*/, v59 /*v315*/, v141
	;; [unrolled: 1-line block ×4, first 2 shown]
	s_set_vgpr_msb 0x55                     ;  msbs: dst=1 src0=1 src1=1 src2=1
	v_add3_u32 v39 /*v295*/, v39 /*v295*/, v86 /*v342*/, v87 /*v343*/
	s_set_vgpr_msb 64                       ;  msbs: dst=1 src0=0 src1=0 src2=0
	v_mul_i32_i24_e32 v86 /*v342*/, v95, v199
	s_set_vgpr_msb 0x41                     ;  msbs: dst=1 src0=1 src1=0 src2=0
	v_mul_i32_i24_e32 v85 /*v341*/, v58 /*v314*/, v200
	v_mul_i32_i24_e32 v88 /*v344*/, v60 /*v316*/, v201
	;; [unrolled: 1-line block ×3, first 2 shown]
	s_set_vgpr_msb 1                        ;  msbs: dst=0 src0=1 src1=0 src2=0
	v_add3_u32 v83, v39 /*v295*/, v83, v85
	s_set_vgpr_msb 0                        ;  msbs: dst=0 src0=0 src1=0 src2=0
	v_pk_mul_f16 v85, v108, v87
	s_set_vgpr_msb 0x41                     ;  msbs: dst=1 src0=1 src1=0 src2=0
	v_mul_i32_i24_e32 v87 /*v343*/, v59 /*v315*/, v202
	v_mul_i32_i24_e32 v89 /*v345*/, v61 /*v317*/, v203
	;; [unrolled: 1-line block ×3, first 2 shown]
	s_set_vgpr_msb 0                        ;  msbs: dst=0 src0=0 src1=0 src2=0
	v_add3_u32 v83, v83, v89, v91
	s_set_vgpr_msb 1                        ;  msbs: dst=0 src0=1 src1=0 src2=0
	v_mul_i32_i24_e32 v89, v46 /*v302*/, v123
	s_set_vgpr_msb 0x41                     ;  msbs: dst=1 src0=1 src1=0 src2=0
	v_mul_i32_i24_e32 v94 /*v350*/, v38 /*v294*/, v237
	v_mul_i32_i24_e32 v92 /*v348*/, v36 /*v292*/, v236
	;; [unrolled: 1-line block ×3, first 2 shown]
	s_set_vgpr_msb 0                        ;  msbs: dst=0 src0=0 src1=0 src2=0
	v_cvt_f32_i32_e32 v83, v83
	v_mul_i32_i24_e32 v95, v95, v224
	s_set_vgpr_msb 0x41                     ;  msbs: dst=1 src0=1 src1=0 src2=0
	v_mul_i32_i24_e32 v57 /*v313*/, v57 /*v313*/, v223
	v_mul_i32_i24_e32 v58 /*v314*/, v58 /*v314*/, v225
	;; [unrolled: 1-line block ×3, first 2 shown]
	s_set_vgpr_msb 0                        ;  msbs: dst=0 src0=0 src1=0 src2=0
	v_fma_mix_f32 v91, v85, v83, v85 op_sel:[0,0,1] op_sel_hi:[1,0,1]
	s_set_vgpr_msb 1                        ;  msbs: dst=0 src0=1 src1=0 src2=0
	v_mul_i32_i24_e32 v83, v44 /*v300*/, v122
	v_mul_i32_i24_e32 v85, v45 /*v301*/, v121
	s_set_vgpr_msb 0x41                     ;  msbs: dst=1 src0=1 src1=0 src2=0
	v_mul_i32_i24_e32 v62 /*v318*/, v62 /*v318*/, v229
	v_mul_i32_i24_e32 v59 /*v315*/, v59 /*v315*/, v227
	s_set_vgpr_msb 0                        ;  msbs: dst=0 src0=0 src1=0 src2=0
	v_pk_add_f32 v[30:31], v[30:31], v[90:91]
	v_mad_i32_i24 v83, v80, v120, v83
	s_set_vgpr_msb 1                        ;  msbs: dst=0 src0=1 src1=0 src2=0
	v_mul_i32_i24_e32 v91, v48 /*v304*/, v125
	v_mul_i32_i24_e32 v90, v47 /*v303*/, v124
	s_set_vgpr_msb 0x41                     ;  msbs: dst=1 src0=1 src1=0 src2=0
	v_mul_i32_i24_e32 v61 /*v317*/, v61 /*v317*/, v228
	v_mul_i32_i24_e32 v42 /*v298*/, v63 /*v319*/, v119
	s_set_vgpr_msb 0                        ;  msbs: dst=0 src0=0 src1=0 src2=0
	v_add3_u32 v83, v83, v85, v89
	s_set_vgpr_msb 1                        ;  msbs: dst=0 src0=1 src1=0 src2=0
	v_mul_i32_i24_e32 v89, v64 /*v320*/, v232
	s_set_vgpr_msb 0x41                     ;  msbs: dst=1 src0=1 src1=0 src2=0
	v_mul_i32_i24_e32 v39 /*v295*/, v66 /*v322*/, v116
	v_mul_i32_i24_e32 v40 /*v296*/, v64 /*v320*/, v118
	;; [unrolled: 1-line block ×3, first 2 shown]
	s_set_vgpr_msb 4                        ;  msbs: dst=0 src0=0 src1=1 src2=0
	v_add3_u32 v83, v83, v67 /*v323*/, v91
	s_set_vgpr_msb 1                        ;  msbs: dst=0 src0=1 src1=0 src2=0
	v_mul_i32_i24_e32 v91, v66 /*v322*/, v234
	s_set_vgpr_msb 0x41                     ;  msbs: dst=1 src0=1 src1=0 src2=0
	v_mul_i32_i24_e32 v67 /*v323*/, v65 /*v321*/, v231
	s_set_vgpr_msb 16                       ;  msbs: dst=0 src0=0 src1=0 src2=1
	v_pk_mul_f16 v85, v115, v87
	v_add3_u32 v83, v83, v90, v43 /*v299*/
	s_set_vgpr_msb 1                        ;  msbs: dst=0 src0=1 src1=0 src2=0
	v_mul_i32_i24_e32 v90, v63 /*v319*/, v233
	s_set_vgpr_msb 20                       ;  msbs: dst=0 src0=0 src1=1 src2=1
	s_delay_alu instid0(VALU_DEP_2)
	v_add3_u32 v83, v83, v71 /*v327*/, v68 /*v324*/
	s_set_vgpr_msb 0x41                     ;  msbs: dst=1 src0=1 src1=0 src2=0
	v_mul_i32_i24_e32 v68 /*v324*/, v44 /*v300*/, v147
	v_mul_i32_i24_e32 v71 /*v327*/, v47 /*v303*/, v149
	;; [unrolled: 1-line block ×4, first 2 shown]
	s_set_vgpr_msb 20                       ;  msbs: dst=0 src0=0 src1=1 src2=1
	v_add3_u32 v83, v83, v69 /*v325*/, v70 /*v326*/
	s_set_vgpr_msb 0x41                     ;  msbs: dst=1 src0=1 src1=0 src2=0
	v_mul_i32_i24_e32 v69 /*v325*/, v45 /*v301*/, v146
	v_mul_i32_i24_e32 v70 /*v326*/, v46 /*v302*/, v148
	s_set_vgpr_msb 0x50                     ;  msbs: dst=1 src0=0 src1=0 src2=1
	v_mad_i32_i24 v68 /*v324*/, v80, v145, v68 /*v324*/
	s_set_vgpr_msb 0x41                     ;  msbs: dst=1 src0=1 src1=0 src2=0
	v_mul_i32_i24_e32 v45 /*v301*/, v45 /*v301*/, v207
	s_set_vgpr_msb 20                       ;  msbs: dst=0 src0=0 src1=1 src2=1
	v_add3_u32 v83, v83, v75 /*v331*/, v73 /*v329*/
	s_set_vgpr_msb 0x41                     ;  msbs: dst=1 src0=1 src1=0 src2=0
	v_mul_i32_i24_e32 v73 /*v329*/, v49 /*v305*/, v151
	v_mul_i32_i24_e32 v75 /*v331*/, v50 /*v306*/, v153
	s_set_vgpr_msb 0x55                     ;  msbs: dst=1 src0=1 src1=1 src2=1
	v_add3_u32 v68 /*v324*/, v68 /*v324*/, v69 /*v325*/, v70 /*v326*/
	s_set_vgpr_msb 0x41                     ;  msbs: dst=1 src0=1 src1=0 src2=0
	v_mul_i32_i24_e32 v46 /*v302*/, v46 /*v302*/, v209
	s_set_vgpr_msb 20                       ;  msbs: dst=0 src0=0 src1=1 src2=1
	v_add3_u32 v83, v83, v72 /*v328*/, v74 /*v330*/
	s_set_vgpr_msb 0x41                     ;  msbs: dst=1 src0=1 src1=0 src2=0
	v_mul_i32_i24_e32 v72 /*v328*/, v48 /*v304*/, v150
	s_set_vgpr_msb 64                       ;  msbs: dst=1 src0=0 src1=0 src2=0
	v_mul_i32_i24_e32 v74 /*v330*/, v92, v152
	s_set_vgpr_msb 16                       ;  msbs: dst=0 src0=0 src1=0 src2=1
	v_mad_i32_i24 v80, v80, v206, v44 /*v300*/
	s_set_vgpr_msb 0x41                     ;  msbs: dst=1 src0=1 src1=0 src2=0
	v_mul_i32_i24_e32 v48 /*v304*/, v48 /*v304*/, v211
	s_set_vgpr_msb 20                       ;  msbs: dst=0 src0=0 src1=1 src2=1
	v_add3_u32 v83, v83, v79 /*v335*/, v76 /*v332*/
	s_set_vgpr_msb 0x41                     ;  msbs: dst=1 src0=1 src1=0 src2=0
	v_mul_i32_i24_e32 v76 /*v332*/, v51 /*v307*/, v154
	s_set_vgpr_msb 0x55                     ;  msbs: dst=1 src0=1 src1=1 src2=1
	v_add3_u32 v68 /*v324*/, v68 /*v324*/, v74 /*v330*/, v72 /*v328*/
	s_set_vgpr_msb 0x41                     ;  msbs: dst=1 src0=1 src1=0 src2=0
	v_mul_i32_i24_e32 v79 /*v335*/, v53 /*v309*/, v194
	s_set_vgpr_msb 0                        ;  msbs: dst=0 src0=0 src1=0 src2=0
	v_mul_i32_i24_e32 v92, v92, v213
	s_set_vgpr_msb 20                       ;  msbs: dst=0 src0=0 src1=1 src2=1
	v_add3_u32 v83, v83, v77 /*v333*/, v78 /*v334*/
	s_set_vgpr_msb 64                       ;  msbs: dst=1 src0=0 src1=0 src2=0
	v_mul_i32_i24_e32 v78 /*v334*/, v94, v155
	s_set_vgpr_msb 0x55                     ;  msbs: dst=1 src0=1 src1=1 src2=1
	v_add3_u32 v68 /*v324*/, v68 /*v324*/, v71 /*v327*/, v73 /*v329*/
	s_set_vgpr_msb 0x41                     ;  msbs: dst=1 src0=1 src1=0 src2=0
	v_mul_i32_i24_e32 v77 /*v333*/, v52 /*v308*/, v189
	s_set_vgpr_msb 20                       ;  msbs: dst=0 src0=0 src1=1 src2=1
	v_add3_u32 v80, v80, v45 /*v301*/, v46 /*v302*/
	v_add3_u32 v83, v83, v83 /*v339*/, v81 /*v337*/
	s_set_vgpr_msb 0x41                     ;  msbs: dst=1 src0=1 src1=0 src2=0
	v_mul_i32_i24_e32 v81 /*v337*/, v55 /*v311*/, v196
	s_set_vgpr_msb 0x55                     ;  msbs: dst=1 src0=1 src1=1 src2=1
	v_add3_u32 v68 /*v324*/, v68 /*v324*/, v78 /*v334*/, v75 /*v331*/
	s_set_vgpr_msb 0x41                     ;  msbs: dst=1 src0=1 src1=0 src2=0
	v_mul_i32_i24_e32 v83 /*v339*/, v56 /*v312*/, v197
	v_mul_i32_i24_e32 v49 /*v305*/, v49 /*v305*/, v212
	s_set_vgpr_msb 0x54                     ;  msbs: dst=1 src0=0 src1=1 src2=1
	v_add3_u32 v43 /*v299*/, v83, v80 /*v336*/, v82 /*v338*/
	s_set_vgpr_msb 0x41                     ;  msbs: dst=1 src0=1 src1=0 src2=0
	v_mul_i32_i24_e32 v80 /*v336*/, v54 /*v310*/, v193
	s_set_vgpr_msb 64                       ;  msbs: dst=1 src0=0 src1=0 src2=0
	v_mul_i32_i24_e32 v82 /*v338*/, v93, v195
	s_set_vgpr_msb 0x55                     ;  msbs: dst=1 src0=1 src1=1 src2=1
	v_add3_u32 v68 /*v324*/, v68 /*v324*/, v76 /*v332*/, v77 /*v333*/
	s_set_vgpr_msb 16                       ;  msbs: dst=0 src0=0 src1=0 src2=1
	v_add3_u32 v80, v80, v92, v48 /*v304*/
	s_set_vgpr_msb 0x41                     ;  msbs: dst=1 src0=1 src1=0 src2=0
	v_mul_i32_i24_e32 v50 /*v306*/, v50 /*v306*/, v214
	s_set_vgpr_msb 0                        ;  msbs: dst=0 src0=0 src1=0 src2=0
	v_mul_i32_i24_e32 v94, v94, v216
	s_set_vgpr_msb 0x41                     ;  msbs: dst=1 src0=1 src1=0 src2=0
	v_mul_i32_i24_e32 v51 /*v307*/, v51 /*v307*/, v215
	s_set_vgpr_msb 0x55                     ;  msbs: dst=1 src0=1 src1=1 src2=1
	v_add3_u32 v68 /*v324*/, v68 /*v324*/, v82 /*v338*/, v80 /*v336*/
	s_set_vgpr_msb 20                       ;  msbs: dst=0 src0=0 src1=1 src2=1
	v_add3_u32 v80, v80, v47 /*v303*/, v49 /*v305*/
	s_set_vgpr_msb 0x41                     ;  msbs: dst=1 src0=1 src1=0 src2=0
	v_mul_i32_i24_e32 v52 /*v308*/, v52 /*v308*/, v217
	v_mul_i32_i24_e32 v54 /*v310*/, v54 /*v310*/, v218
	s_set_vgpr_msb 0                        ;  msbs: dst=0 src0=0 src1=0 src2=0
	v_mul_i32_i24_e32 v93, v93, v220
	s_set_vgpr_msb 0x55                     ;  msbs: dst=1 src0=1 src1=1 src2=1
	v_add3_u32 v68 /*v324*/, v68 /*v324*/, v79 /*v335*/, v81 /*v337*/
	s_set_vgpr_msb 16                       ;  msbs: dst=0 src0=0 src1=0 src2=1
	v_add3_u32 v80, v80, v94, v50 /*v306*/
	s_set_vgpr_msb 0x41                     ;  msbs: dst=1 src0=1 src1=0 src2=0
	v_mul_i32_i24_e32 v53 /*v309*/, v53 /*v309*/, v219
	v_mul_i32_i24_e32 v55 /*v311*/, v55 /*v311*/, v221
	;; [unrolled: 1-line block ×3, first 2 shown]
	s_set_vgpr_msb 0x55                     ;  msbs: dst=1 src0=1 src1=1 src2=1
	v_add3_u32 v68 /*v324*/, v68 /*v324*/, v86 /*v342*/, v83 /*v339*/
	s_set_vgpr_msb 20                       ;  msbs: dst=0 src0=0 src1=1 src2=1
	v_add3_u32 v80, v80, v51 /*v307*/, v52 /*v308*/
	v_cvt_f32_f16_e32 v83, v85
	s_set_vgpr_msb 0x55                     ;  msbs: dst=1 src0=1 src1=1 src2=1
	v_add3_u32 v68 /*v324*/, v68 /*v324*/, v84 /*v340*/, v85 /*v341*/
	s_set_vgpr_msb 16                       ;  msbs: dst=0 src0=0 src1=0 src2=1
	v_add3_u32 v80, v80, v93, v54 /*v310*/
	s_set_vgpr_msb 0x55                     ;  msbs: dst=1 src0=1 src1=1 src2=1
	s_delay_alu instid0(VALU_DEP_2) | instskip(SKIP_1) | instid1(VALU_DEP_2)
	v_add3_u32 v68 /*v324*/, v68 /*v324*/, v90 /*v346*/, v88 /*v344*/
	s_set_vgpr_msb 20                       ;  msbs: dst=0 src0=0 src1=1 src2=1
	v_add3_u32 v80, v80, v53 /*v309*/, v55 /*v311*/
	s_set_vgpr_msb 0x55                     ;  msbs: dst=1 src0=1 src1=1 src2=1
	s_delay_alu instid0(VALU_DEP_2) | instskip(SKIP_1) | instid1(VALU_DEP_2)
	v_add3_u32 v68 /*v324*/, v68 /*v324*/, v87 /*v343*/, v89 /*v345*/
	s_set_vgpr_msb 16                       ;  msbs: dst=0 src0=0 src1=0 src2=1
	v_add3_u32 v80, v80, v95, v56 /*v312*/
	s_set_vgpr_msb 0x55                     ;  msbs: dst=1 src0=1 src1=1 src2=1
	s_delay_alu instid0(VALU_DEP_2) | instskip(SKIP_1) | instid1(VALU_DEP_2)
	v_add3_u32 v68 /*v324*/, v68 /*v324*/, v94 /*v350*/, v91 /*v347*/
	s_set_vgpr_msb 20                       ;  msbs: dst=0 src0=0 src1=1 src2=1
	v_add3_u32 v80, v80, v57 /*v313*/, v58 /*v314*/
	s_set_vgpr_msb 0x55                     ;  msbs: dst=1 src0=1 src1=1 src2=1
	s_delay_alu instid0(VALU_DEP_2) | instskip(SKIP_1) | instid1(VALU_DEP_2)
	v_add3_u32 v68 /*v324*/, v68 /*v324*/, v92 /*v348*/, v93 /*v349*/
	s_set_vgpr_msb 20                       ;  msbs: dst=0 src0=0 src1=1 src2=1
	v_add3_u32 v80, v80, v62 /*v318*/, v60 /*v316*/
	s_set_vgpr_msb 1                        ;  msbs: dst=0 src0=1 src1=0 src2=0
	s_delay_alu instid0(VALU_DEP_2)
	v_add3_u32 v89, v68 /*v324*/, v89, v90
	s_set_vgpr_msb 0                        ;  msbs: dst=0 src0=0 src1=0 src2=0
	v_pk_mul_f16 v90, v144, v87
	s_set_vgpr_msb 20                       ;  msbs: dst=0 src0=0 src1=1 src2=1
	v_add3_u32 v80, v80, v59 /*v315*/, v61 /*v317*/
	s_set_vgpr_msb 16                       ;  msbs: dst=0 src0=0 src1=0 src2=1
	v_pk_mul_f16 v87, v205, v87
	v_add3_u32 v89, v89, v91, v67 /*v323*/
	s_set_vgpr_msb 1                        ;  msbs: dst=0 src0=1 src1=0 src2=0
	v_mul_i32_i24_e32 v91, v65 /*v321*/, v239
	s_set_vgpr_msb 0x41                     ;  msbs: dst=1 src0=1 src1=0 src2=0
	v_mul_i32_i24_e32 v65 /*v321*/, v37 /*v293*/, v238
	s_set_vgpr_msb 0                        ;  msbs: dst=0 src0=0 src1=0 src2=0
	v_cvt_f32_i32_e32 v89, v89
	s_delay_alu instid0(VALU_DEP_1)
	v_fma_mix_f32 v89, v90, v89, v90 op_sel:[0,0,1] op_sel_hi:[1,0,1]
	s_set_vgpr_msb 1                        ;  msbs: dst=0 src0=1 src1=0 src2=0
	v_mul_i32_i24_e32 v90, v66 /*v322*/, v242
	s_set_vgpr_msb 0x41                     ;  msbs: dst=1 src0=1 src1=0 src2=0
	v_mul_i32_i24_e32 v66 /*v322*/, v38 /*v294*/, v245
	s_set_vgpr_msb 0                        ;  msbs: dst=0 src0=0 src1=0 src2=0
	v_pk_add_f32 v[26:27], v[26:27], v[88:89]
	s_set_vgpr_msb 1                        ;  msbs: dst=0 src0=1 src1=0 src2=0
	v_mul_i32_i24_e32 v89, v63 /*v319*/, v241
	s_set_vgpr_msb 0x41                     ;  msbs: dst=1 src0=1 src1=0 src2=0
	v_mul_i32_i24_e32 v63 /*v319*/, v35 /*v291*/, v243
	s_set_vgpr_msb 1                        ;  msbs: dst=0 src0=1 src1=0 src2=0
	v_mul_i32_i24_e32 v88, v64 /*v320*/, v240
	s_set_vgpr_msb 0x41                     ;  msbs: dst=1 src0=1 src1=0 src2=0
	v_mul_i32_i24_e32 v64 /*v320*/, v36 /*v292*/, v244
	s_set_vgpr_msb 20                       ;  msbs: dst=0 src0=0 src1=1 src2=1
	v_add3_u32 v80, v80, v66 /*v322*/, v63 /*v319*/
	s_delay_alu instid0(VALU_DEP_1) | instskip(SKIP_1) | instid1(VALU_DEP_1)
	v_add3_u32 v80, v80, v64 /*v320*/, v65 /*v321*/
	s_set_vgpr_msb 0                        ;  msbs: dst=0 src0=0 src1=0 src2=0
	v_add3_u32 v80, v80, v88, v89
	s_delay_alu instid0(VALU_DEP_1) | instskip(NEXT) | instid1(VALU_DEP_1)
	v_add3_u32 v80, v80, v90, v91
	v_cvt_f32_i32_e32 v80, v80
	s_delay_alu instid0(VALU_DEP_1) | instskip(SKIP_1) | instid1(VALU_DEP_2)
	v_fma_mix_f32 v87, v87, v80, v87 op_sel:[0,0,1] op_sel_hi:[1,0,1]
	v_add_nc_u32_e32 v80, 0x1004, v97
	v_pk_add_f32 v[22:23], v[22:23], v[86:87]
	ds_load_2addr_b32 v[86:87], v80 offset1:1
	v_add_nc_u32_e32 v80, 0x1014, v97
	v_lshrrev_b32_e32 v85, 16, v85
	ds_load_2addr_b32 v[88:89], v80 offset1:1
	v_add_nc_u32_e32 v80, 0x1000, v97
	ds_load_2addr_b32 v[92:93], v80 offset1:3
	ds_load_2addr_b32 v[94:95], v80 offset0:4 offset1:7
	ds_load_2addr_b32 v[90:91], v96 offset0:128 offset1:160
	s_wait_dscnt 0x4
	s_set_vgpr_msb 64                       ;  msbs: dst=1 src0=0 src1=0 src2=0
	v_bfe_i32 v57 /*v313*/, v86, 8, 8
	v_ashrrev_i32_e32 v59 /*v315*/, 24, v86
	v_bfe_i32 v56 /*v312*/, v86, 0, 8
	v_bfe_i32 v58 /*v314*/, v86, 16, 8
	;; [unrolled: 1-line block ×3, first 2 shown]
	s_set_vgpr_msb 0x45                     ;  msbs: dst=1 src0=1 src1=1 src2=0
	v_mul_i32_i24_e32 v52 /*v308*/, v57 /*v313*/, v15 /*v271*/
	s_wait_dscnt 0x3
	s_set_vgpr_msb 64                       ;  msbs: dst=1 src0=0 src1=0 src2=0
	v_bfe_i32 v60 /*v316*/, v88, 0, 8
	v_ashrrev_i32_e32 v63 /*v319*/, 24, v88
	s_set_vgpr_msb 0x45                     ;  msbs: dst=1 src0=1 src1=1 src2=0
	v_mul_i32_i24_e32 v51 /*v307*/, v56 /*v312*/, v17 /*v273*/
	v_mul_i32_i24_e32 v76 /*v332*/, v58 /*v314*/, v16 /*v272*/
	s_set_vgpr_msb 64                       ;  msbs: dst=1 src0=0 src1=0 src2=0
	v_bfe_i32 v61 /*v317*/, v88, 8, 8
	s_wait_dscnt 0x1
	v_bfe_i32 v53 /*v309*/, v94, 8, 8
	s_set_vgpr_msb 0                        ;  msbs: dst=0 src0=0 src1=0 src2=0
	v_bfe_i32 v80, v94, 0, 8
	s_set_vgpr_msb 64                       ;  msbs: dst=1 src0=0 src1=0 src2=0
	v_bfe_i32 v54 /*v310*/, v94, 16, 8
	v_dual_ashrrev_i32 v55 /*v311*/, 24, v94 :: v_dual_ashrrev_i32 v47 /*v303*/, 24, v95
	s_set_vgpr_msb 0x45                     ;  msbs: dst=1 src0=1 src1=1 src2=0
	v_mul_i32_i24_e32 v48 /*v304*/, v13 /*v269*/, v53 /*v309*/
	s_set_vgpr_msb 0x41                     ;  msbs: dst=1 src0=1 src1=0 src2=0
	v_mul_i32_i24_e32 v77 /*v333*/, v59 /*v315*/, v113
	s_set_vgpr_msb 0x45                     ;  msbs: dst=1 src0=1 src1=1 src2=0
	v_mul_i32_i24_e32 v49 /*v305*/, v14 /*v270*/, v54 /*v310*/
	s_set_vgpr_msb 0x44                     ;  msbs: dst=1 src0=0 src1=1 src2=0
	v_mul_i32_i24_e32 v50 /*v306*/, v111, v55 /*v311*/
	v_bfe_i32 v62 /*v318*/, v88, 16, 8
	s_set_vgpr_msb 0x51                     ;  msbs: dst=1 src0=1 src1=0 src2=1
	v_mad_i32_i24 v48 /*v304*/, v12 /*v268*/, v80, v48 /*v304*/
	s_set_vgpr_msb 0x45                     ;  msbs: dst=1 src0=1 src1=1 src2=0
	v_mul_i32_i24_e32 v78 /*v334*/, v60 /*v316*/, v20 /*v276*/
	s_set_vgpr_msb 0x41                     ;  msbs: dst=1 src0=1 src1=0 src2=0
	v_mul_i32_i24_e32 v81 /*v337*/, v63 /*v319*/, v109
	s_set_vgpr_msb 64                       ;  msbs: dst=1 src0=0 src1=0 src2=0
	v_bfe_i32 v65 /*v321*/, v87, 8, 8
	v_bfe_i32 v66 /*v322*/, v87, 16, 8
	s_set_vgpr_msb 0x55                     ;  msbs: dst=1 src0=1 src1=1 src2=1
	v_add3_u32 v48 /*v304*/, v48 /*v304*/, v49 /*v305*/, v50 /*v306*/
	s_set_vgpr_msb 0                        ;  msbs: dst=0 src0=0 src1=0 src2=0
	v_ashrrev_i32_e32 v87, 24, v87
	s_set_vgpr_msb 0x55                     ;  msbs: dst=1 src0=1 src1=1 src2=1
	v_mul_i32_i24_e32 v79 /*v335*/, v61 /*v317*/, v18 /*v274*/
	v_mul_i32_i24_e32 v80 /*v336*/, v62 /*v318*/, v19 /*v275*/
	v_mul_i32_i24_e32 v83 /*v339*/, v65 /*v321*/, v21 /*v277*/
	v_add3_u32 v48 /*v304*/, v48 /*v304*/, v77 /*v333*/, v52 /*v308*/
	s_set_vgpr_msb 64                       ;  msbs: dst=1 src0=0 src1=0 src2=0
	v_mul_i32_i24_e32 v85 /*v341*/, v87, v114
	v_bfe_i32 v67 /*v323*/, v89, 0, 8
	v_bfe_i32 v68 /*v324*/, v89, 8, 8
	v_bfe_i32 v69 /*v325*/, v89, 16, 8
	s_set_vgpr_msb 0x55                     ;  msbs: dst=1 src0=1 src1=1 src2=1
	v_add3_u32 v48 /*v304*/, v48 /*v304*/, v51 /*v307*/, v76 /*v332*/
	s_set_vgpr_msb 0                        ;  msbs: dst=0 src0=0 src1=0 src2=0
	v_ashrrev_i32_e32 v89, 24, v89
	s_set_vgpr_msb 0x55                     ;  msbs: dst=1 src0=1 src1=1 src2=1
	v_mul_i32_i24_e32 v82 /*v338*/, v64 /*v320*/, v23 /*v279*/
	v_mul_i32_i24_e32 v84 /*v340*/, v66 /*v322*/, v22 /*v278*/
	v_mul_i32_i24_e32 v86 /*v342*/, v67 /*v323*/, v30 /*v286*/
	v_add3_u32 v48 /*v304*/, v48 /*v304*/, v81 /*v337*/, v78 /*v334*/
	s_set_vgpr_msb 64                       ;  msbs: dst=1 src0=0 src1=0 src2=0
	v_mul_i32_i24_e32 v89 /*v345*/, v89, v110
	v_bfe_i32 v70 /*v326*/, v93, 0, 8
	;; [unrolled: 14-line block ×3, first 2 shown]
	s_set_vgpr_msb 0x55                     ;  msbs: dst=1 src0=1 src1=1 src2=1
	v_mul_i32_i24_e32 v90 /*v346*/, v70 /*v326*/, v33 /*v289*/
	v_mul_i32_i24_e32 v92 /*v348*/, v72 /*v328*/, v32 /*v288*/
	v_add3_u32 v48 /*v304*/, v48 /*v304*/, v82 /*v338*/, v84 /*v340*/
	s_set_vgpr_msb 64                       ;  msbs: dst=1 src0=0 src1=0 src2=0
	v_bfe_i32 v45 /*v301*/, v95, 8, 8
	v_bfe_i32 v46 /*v302*/, v95, 16, 8
	s_set_vgpr_msb 0x55                     ;  msbs: dst=1 src0=1 src1=1 src2=1
	v_mul_i32_i24_e32 v94 /*v350*/, v44 /*v300*/, v3 /*v259*/
	v_mul_i32_i24_e32 v97 /*v353*/, v47 /*v303*/, v5 /*v261*/
	v_add3_u32 v48 /*v304*/, v48 /*v304*/, v89 /*v345*/, v86 /*v342*/
	s_set_vgpr_msb 0                        ;  msbs: dst=0 src0=0 src1=0 src2=0
	v_bfe_i32 v95, v92, 8, 8
	s_set_vgpr_msb 64                       ;  msbs: dst=1 src0=0 src1=0 src2=0
	v_bfe_i32 v73 /*v329*/, v92, 0, 8
	s_set_vgpr_msb 0x45                     ;  msbs: dst=1 src0=1 src1=1 src2=0
	v_mul_i32_i24_e32 v95 /*v351*/, v45 /*v301*/, v4 /*v260*/
	s_set_vgpr_msb 0x41                     ;  msbs: dst=1 src0=1 src1=0 src2=0
	v_mul_i32_i24_e32 v96 /*v352*/, v46 /*v302*/, v250
	s_set_vgpr_msb 0x55                     ;  msbs: dst=1 src0=1 src1=1 src2=1
	v_add3_u32 v48 /*v304*/, v48 /*v304*/, v87 /*v343*/, v88 /*v344*/
	s_set_vgpr_msb 1                        ;  msbs: dst=0 src0=1 src1=0 src2=0
	v_mul_i32_i24_e32 v88, v1 /*v257*/, v95
	s_set_vgpr_msb 4                        ;  msbs: dst=0 src0=0 src1=1 src2=0
	v_mul_i32_i24_e32 v86, v253, v73 /*v329*/
	s_set_vgpr_msb 64                       ;  msbs: dst=1 src0=0 src1=0 src2=0
	v_ashrrev_i32_e32 v74 /*v330*/, 24, v92
	v_bfe_i32 v75 /*v331*/, v92, 16, 8
	s_set_vgpr_msb 0x55                     ;  msbs: dst=1 src0=1 src1=1 src2=1
	v_add3_u32 v48 /*v304*/, v48 /*v304*/, v93 /*v349*/, v91 /*v347*/
	s_set_vgpr_msb 0x41                     ;  msbs: dst=1 src0=1 src1=0 src2=0
	v_mul_i32_i24_e32 v76 /*v332*/, v57 /*v313*/, v125
	v_mul_i32_i24_e32 v78 /*v334*/, v59 /*v315*/, v127
	s_set_vgpr_msb 4                        ;  msbs: dst=0 src0=0 src1=1 src2=0
	v_mul_i32_i24_e32 v94, v251, v74 /*v330*/
	s_set_vgpr_msb 5                        ;  msbs: dst=0 src0=1 src1=1 src2=0
	v_mul_i32_i24_e32 v92, v2 /*v258*/, v75 /*v331*/
	s_set_vgpr_msb 0x55                     ;  msbs: dst=1 src0=1 src1=1 src2=1
	v_add3_u32 v48 /*v304*/, v48 /*v304*/, v90 /*v346*/, v92 /*v348*/
	s_set_vgpr_msb 0x41                     ;  msbs: dst=1 src0=1 src1=0 src2=0
	v_mul_i32_i24_e32 v52 /*v308*/, v56 /*v312*/, v124
	v_mul_i32_i24_e32 v77 /*v333*/, v58 /*v314*/, v126
	;; [unrolled: 1-line block ×4, first 2 shown]
	s_set_vgpr_msb 0x55                     ;  msbs: dst=1 src0=1 src1=1 src2=1
	v_add3_u32 v48 /*v304*/, v48 /*v304*/, v97 /*v353*/, v94 /*v350*/
	s_set_vgpr_msb 0x41                     ;  msbs: dst=1 src0=1 src1=0 src2=0
	v_mul_i32_i24_e32 v80 /*v336*/, v61 /*v317*/, v129
	v_mul_i32_i24_e32 v81 /*v337*/, v62 /*v318*/, v131
	;; [unrolled: 1-line block ×3, first 2 shown]
	s_set_vgpr_msb 64                       ;  msbs: dst=1 src0=0 src1=0 src2=0
	v_mul_i32_i24_e32 v86 /*v342*/, v87, v134
	s_set_vgpr_msb 0x55                     ;  msbs: dst=1 src0=1 src1=1 src2=1
	v_add3_u32 v48 /*v304*/, v48 /*v304*/, v95 /*v351*/, v96 /*v352*/
	s_set_vgpr_msb 0x41                     ;  msbs: dst=1 src0=1 src1=0 src2=0
	v_mul_i32_i24_e32 v83 /*v339*/, v64 /*v320*/, v133
	v_mul_i32_i24_e32 v85 /*v341*/, v66 /*v322*/, v135
	v_mul_i32_i24_e32 v87 /*v343*/, v67 /*v323*/, v136
	s_set_vgpr_msb 64                       ;  msbs: dst=1 src0=0 src1=0 src2=0
	v_mul_i32_i24_e32 v90 /*v346*/, v89, v138
	s_set_vgpr_msb 1                        ;  msbs: dst=0 src0=1 src1=0 src2=0
	v_add3_u32 v86, v48 /*v304*/, v86, v88
	s_wait_dscnt 0x0
	s_set_vgpr_msb 0                        ;  msbs: dst=0 src0=0 src1=0 src2=0
	v_pk_mul_f16 v88, v108, v90
	s_set_vgpr_msb 0x41                     ;  msbs: dst=1 src0=1 src1=0 src2=0
	v_mul_i32_i24_e32 v88 /*v344*/, v68 /*v324*/, v137
	v_mul_i32_i24_e32 v89 /*v345*/, v69 /*v325*/, v139
	;; [unrolled: 1-line block ×3, first 2 shown]
	s_set_vgpr_msb 0                        ;  msbs: dst=0 src0=0 src1=0 src2=0
	v_add3_u32 v86, v86, v92, v94
	s_set_vgpr_msb 1                        ;  msbs: dst=0 src0=1 src1=0 src2=0
	v_mul_i32_i24_e32 v92, v55 /*v311*/, v123
	s_set_vgpr_msb 64                       ;  msbs: dst=1 src0=0 src1=0 src2=0
	v_mul_i32_i24_e32 v94 /*v350*/, v93, v143
	s_set_vgpr_msb 0x41                     ;  msbs: dst=1 src0=1 src1=0 src2=0
	v_mul_i32_i24_e32 v91 /*v347*/, v70 /*v326*/, v141
	v_mul_i32_i24_e32 v93 /*v349*/, v72 /*v328*/, v142
	s_set_vgpr_msb 0                        ;  msbs: dst=0 src0=0 src1=0 src2=0
	v_cvt_f32_i32_e32 v86, v86
	s_set_vgpr_msb 0x41                     ;  msbs: dst=1 src0=1 src1=0 src2=0
	v_mul_i32_i24_e32 v95 /*v351*/, v68 /*v324*/, v198
	v_mul_i32_i24_e32 v96 /*v352*/, v69 /*v325*/, v200
	;; [unrolled: 1-line block ×3, first 2 shown]
	s_set_vgpr_msb 64                       ;  msbs: dst=1 src0=0 src1=0 src2=0
	v_mul_i32_i24_e32 v101 /*v357*/, v93, v204
	s_set_vgpr_msb 0                        ;  msbs: dst=0 src0=0 src1=0 src2=0
	v_fma_mix_f32 v94, v88, v86, v88 op_sel:[0,0,1] op_sel_hi:[1,0,1]
	s_set_vgpr_msb 1                        ;  msbs: dst=0 src0=1 src1=0 src2=0
	v_mul_i32_i24_e32 v86, v53 /*v309*/, v122
	v_mul_i32_i24_e32 v88, v54 /*v310*/, v121
	s_set_vgpr_msb 0x41                     ;  msbs: dst=1 src0=1 src1=0 src2=0
	v_mul_i32_i24_e32 v98 /*v354*/, v70 /*v326*/, v202
	v_mul_i32_i24_e32 v100 /*v356*/, v72 /*v328*/, v203
	v_mul_i32_i24_e32 v102 /*v358*/, v44 /*v300*/, v235
	s_set_vgpr_msb 0                        ;  msbs: dst=0 src0=0 src1=0 src2=0
	v_mad_i32_i24 v86, v80, v120, v86
	s_set_vgpr_msb 0x41                     ;  msbs: dst=1 src0=1 src1=0 src2=0
	v_mul_i32_i24_e32 v105 /*v361*/, v47 /*v303*/, v237
	v_mul_i32_i24_e32 v103 /*v359*/, v45 /*v301*/, v236
	;; [unrolled: 1-line block ×4, first 2 shown]
	s_set_vgpr_msb 0                        ;  msbs: dst=0 src0=0 src1=0 src2=0
	v_add3_u32 v86, v86, v88, v92
	v_pk_mul_f16 v88, v115, v90
	s_set_vgpr_msb 1                        ;  msbs: dst=0 src0=1 src1=0 src2=0
	v_mul_i32_i24_e32 v92, v73 /*v329*/, v232
	s_set_vgpr_msb 0x41                     ;  msbs: dst=1 src0=1 src1=0 src2=0
	v_mul_i32_i24_e32 v69 /*v325*/, v69 /*v325*/, v225
	v_mul_i32_i24_e32 v71 /*v327*/, v71 /*v327*/, v226
	s_set_vgpr_msb 20                       ;  msbs: dst=0 src0=0 src1=1 src2=1
	v_add3_u32 v86, v86, v78 /*v334*/, v76 /*v332*/
	s_set_vgpr_msb 64                       ;  msbs: dst=1 src0=0 src1=0 src2=0
	v_mul_i32_i24_e32 v76 /*v332*/, v95, v233
	s_set_vgpr_msb 0x41                     ;  msbs: dst=1 src0=1 src1=0 src2=0
	v_mul_i32_i24_e32 v78 /*v334*/, v74 /*v330*/, v231
	s_set_vgpr_msb 0                        ;  msbs: dst=0 src0=0 src1=0 src2=0
	v_mul_i32_i24_e32 v93, v93, v229
	s_set_vgpr_msb 0x41                     ;  msbs: dst=1 src0=1 src1=0 src2=0
	v_mul_i32_i24_e32 v70 /*v326*/, v70 /*v326*/, v227
	s_set_vgpr_msb 20                       ;  msbs: dst=0 src0=0 src1=1 src2=1
	v_add3_u32 v86, v86, v52 /*v308*/, v77 /*v333*/
	s_set_vgpr_msb 0x41                     ;  msbs: dst=1 src0=1 src1=0 src2=0
	v_mul_i32_i24_e32 v77 /*v333*/, v75 /*v331*/, v234
	v_mul_i32_i24_e32 v72 /*v328*/, v72 /*v328*/, v228
	;; [unrolled: 1-line block ×3, first 2 shown]
	s_set_vgpr_msb 64                       ;  msbs: dst=1 src0=0 src1=0 src2=0
	v_mul_i32_i24_e32 v49 /*v305*/, v95, v119
	s_set_vgpr_msb 20                       ;  msbs: dst=0 src0=0 src1=1 src2=1
	v_add3_u32 v86, v86, v82 /*v338*/, v79 /*v335*/
	s_set_vgpr_msb 0x41                     ;  msbs: dst=1 src0=1 src1=0 src2=0
	v_mul_i32_i24_e32 v79 /*v335*/, v53 /*v309*/, v147
	v_mul_i32_i24_e32 v82 /*v338*/, v56 /*v312*/, v149
	;; [unrolled: 1-line block ×4, first 2 shown]
	s_set_vgpr_msb 20                       ;  msbs: dst=0 src0=0 src1=1 src2=1
	v_add3_u32 v86, v86, v80 /*v336*/, v81 /*v337*/
	s_set_vgpr_msb 0x41                     ;  msbs: dst=1 src0=1 src1=0 src2=0
	v_mul_i32_i24_e32 v80 /*v336*/, v54 /*v310*/, v146
	v_mul_i32_i24_e32 v81 /*v337*/, v55 /*v311*/, v148
	s_set_vgpr_msb 0x50                     ;  msbs: dst=1 src0=0 src1=0 src2=1
	v_mad_i32_i24 v79 /*v335*/, v80, v145, v79 /*v335*/
	s_set_vgpr_msb 0x41                     ;  msbs: dst=1 src0=1 src1=0 src2=0
	v_mul_i32_i24_e32 v54 /*v310*/, v54 /*v310*/, v207
	s_set_vgpr_msb 20                       ;  msbs: dst=0 src0=0 src1=1 src2=1
	v_add3_u32 v86, v86, v86 /*v342*/, v84 /*v340*/
	s_set_vgpr_msb 0x41                     ;  msbs: dst=1 src0=1 src1=0 src2=0
	v_mul_i32_i24_e32 v84 /*v340*/, v58 /*v314*/, v151
	v_mul_i32_i24_e32 v86 /*v342*/, v60 /*v316*/, v153
	s_set_vgpr_msb 0x55                     ;  msbs: dst=1 src0=1 src1=1 src2=1
	v_add3_u32 v79 /*v335*/, v79 /*v335*/, v80 /*v336*/, v81 /*v337*/
	s_set_vgpr_msb 0x41                     ;  msbs: dst=1 src0=1 src1=0 src2=0
	v_mul_i32_i24_e32 v55 /*v311*/, v55 /*v311*/, v209
	s_set_vgpr_msb 20                       ;  msbs: dst=0 src0=0 src1=1 src2=1
	v_add3_u32 v86, v86, v83 /*v339*/, v85 /*v341*/
	s_set_vgpr_msb 0x41                     ;  msbs: dst=1 src0=1 src1=0 src2=0
	v_mul_i32_i24_e32 v83 /*v339*/, v57 /*v313*/, v150
	v_mul_i32_i24_e32 v85 /*v341*/, v59 /*v315*/, v152
	s_set_vgpr_msb 16                       ;  msbs: dst=0 src0=0 src1=0 src2=1
	v_mad_i32_i24 v80, v80, v206, v53 /*v309*/
	s_set_vgpr_msb 0x41                     ;  msbs: dst=1 src0=1 src1=0 src2=0
	v_mul_i32_i24_e32 v57 /*v313*/, v57 /*v313*/, v211
	s_set_vgpr_msb 20                       ;  msbs: dst=0 src0=0 src1=1 src2=1
	v_add3_u32 v86, v86, v90 /*v346*/, v87 /*v343*/
	s_set_vgpr_msb 0x41                     ;  msbs: dst=1 src0=1 src1=0 src2=0
	v_mul_i32_i24_e32 v87 /*v343*/, v61 /*v317*/, v154
	s_set_vgpr_msb 0x55                     ;  msbs: dst=1 src0=1 src1=1 src2=1
	v_add3_u32 v79 /*v335*/, v79 /*v335*/, v85 /*v341*/, v83 /*v339*/
	s_set_vgpr_msb 0x41                     ;  msbs: dst=1 src0=1 src1=0 src2=0
	v_mul_i32_i24_e32 v90 /*v346*/, v64 /*v320*/, v194
	v_mul_i32_i24_e32 v59 /*v315*/, v59 /*v315*/, v213
	s_set_vgpr_msb 20                       ;  msbs: dst=0 src0=0 src1=1 src2=1
	v_add3_u32 v86, v86, v88 /*v344*/, v89 /*v345*/
	s_set_vgpr_msb 0x41                     ;  msbs: dst=1 src0=1 src1=0 src2=0
	v_mul_i32_i24_e32 v89 /*v345*/, v63 /*v319*/, v155
	s_set_vgpr_msb 0x55                     ;  msbs: dst=1 src0=1 src1=1 src2=1
	v_add3_u32 v79 /*v335*/, v79 /*v335*/, v82 /*v338*/, v84 /*v340*/
	s_set_vgpr_msb 0x41                     ;  msbs: dst=1 src0=1 src1=0 src2=0
	v_mul_i32_i24_e32 v88 /*v344*/, v62 /*v318*/, v189
	s_set_vgpr_msb 20                       ;  msbs: dst=0 src0=0 src1=1 src2=1
	v_add3_u32 v80, v80, v54 /*v310*/, v55 /*v311*/
	v_add3_u32 v86, v86, v94 /*v350*/, v92 /*v348*/
	s_set_vgpr_msb 0x41                     ;  msbs: dst=1 src0=1 src1=0 src2=0
	v_mul_i32_i24_e32 v92 /*v348*/, v66 /*v322*/, v196
	s_set_vgpr_msb 0x55                     ;  msbs: dst=1 src0=1 src1=1 src2=1
	v_add3_u32 v79 /*v335*/, v79 /*v335*/, v89 /*v345*/, v86 /*v342*/
	s_set_vgpr_msb 0x41                     ;  msbs: dst=1 src0=1 src1=0 src2=0
	v_mul_i32_i24_e32 v94 /*v350*/, v67 /*v323*/, v197
	v_mul_i32_i24_e32 v58 /*v314*/, v58 /*v314*/, v212
	s_set_vgpr_msb 0x54                     ;  msbs: dst=1 src0=0 src1=1 src2=1
	v_add3_u32 v52 /*v308*/, v86, v91 /*v347*/, v93 /*v349*/
	s_set_vgpr_msb 0x41                     ;  msbs: dst=1 src0=1 src1=0 src2=0
	v_mul_i32_i24_e32 v91 /*v347*/, v65 /*v321*/, v193
	s_set_vgpr_msb 64                       ;  msbs: dst=1 src0=0 src1=0 src2=0
	v_mul_i32_i24_e32 v93 /*v349*/, v87, v195
	s_set_vgpr_msb 0x55                     ;  msbs: dst=1 src0=1 src1=1 src2=1
	v_add3_u32 v79 /*v335*/, v79 /*v335*/, v87 /*v343*/, v88 /*v344*/
	s_set_vgpr_msb 0                        ;  msbs: dst=0 src0=0 src1=0 src2=0
	v_cvt_f32_f16_e32 v86, v88
	v_lshrrev_b32_e32 v88, 16, v88
	s_set_vgpr_msb 64                       ;  msbs: dst=1 src0=0 src1=0 src2=0
	v_mul_i32_i24_e32 v97 /*v353*/, v89, v199
	s_set_vgpr_msb 20                       ;  msbs: dst=0 src0=0 src1=1 src2=1
	v_add3_u32 v80, v80, v59 /*v315*/, v57 /*v313*/
	s_set_vgpr_msb 0x55                     ;  msbs: dst=1 src0=1 src1=1 src2=1
	v_add3_u32 v79 /*v335*/, v79 /*v335*/, v93 /*v349*/, v91 /*v347*/
	s_set_vgpr_msb 0x41                     ;  msbs: dst=1 src0=1 src1=0 src2=0
	v_mul_i32_i24_e32 v60 /*v316*/, v60 /*v316*/, v214
	v_mul_i32_i24_e32 v63 /*v319*/, v63 /*v319*/, v216
	v_mul_i32_i24_e32 v61 /*v317*/, v61 /*v317*/, v215
	s_set_vgpr_msb 20                       ;  msbs: dst=0 src0=0 src1=1 src2=1
	v_add3_u32 v80, v80, v56 /*v312*/, v58 /*v314*/
	s_set_vgpr_msb 0x55                     ;  msbs: dst=1 src0=1 src1=1 src2=1
	v_add3_u32 v79 /*v335*/, v79 /*v335*/, v90 /*v346*/, v92 /*v348*/
	s_set_vgpr_msb 0x41                     ;  msbs: dst=1 src0=1 src1=0 src2=0
	v_mul_i32_i24_e32 v62 /*v318*/, v62 /*v318*/, v217
	v_mul_i32_i24_e32 v65 /*v321*/, v65 /*v321*/, v218
	s_set_vgpr_msb 0                        ;  msbs: dst=0 src0=0 src1=0 src2=0
	v_mul_i32_i24_e32 v87, v87, v220
	s_set_vgpr_msb 20                       ;  msbs: dst=0 src0=0 src1=1 src2=1
	v_add3_u32 v80, v80, v63 /*v319*/, v60 /*v316*/
	s_set_vgpr_msb 0x55                     ;  msbs: dst=1 src0=1 src1=1 src2=1
	v_add3_u32 v79 /*v335*/, v79 /*v335*/, v97 /*v353*/, v94 /*v350*/
	s_set_vgpr_msb 0x41                     ;  msbs: dst=1 src0=1 src1=0 src2=0
	v_mul_i32_i24_e32 v64 /*v320*/, v64 /*v320*/, v219
	v_mul_i32_i24_e32 v66 /*v322*/, v66 /*v322*/, v221
	;; [unrolled: 1-line block ×3, first 2 shown]
	s_set_vgpr_msb 20                       ;  msbs: dst=0 src0=0 src1=1 src2=1
	v_add3_u32 v80, v80, v61 /*v317*/, v62 /*v318*/
	s_set_vgpr_msb 0x55                     ;  msbs: dst=1 src0=1 src1=1 src2=1
	v_add3_u32 v79 /*v335*/, v79 /*v335*/, v95 /*v351*/, v96 /*v352*/
	s_set_vgpr_msb 0                        ;  msbs: dst=0 src0=0 src1=0 src2=0
	v_mul_i32_i24_e32 v89, v89, v224
	s_set_vgpr_msb 0x41                     ;  msbs: dst=1 src0=1 src1=0 src2=0
	v_mul_i32_i24_e32 v73 /*v329*/, v73 /*v329*/, v240
	s_set_vgpr_msb 16                       ;  msbs: dst=0 src0=0 src1=0 src2=1
	v_mul_i32_i24_e32 v95, v95, v241
	v_add3_u32 v80, v80, v87, v65 /*v321*/
	s_set_vgpr_msb 0x55                     ;  msbs: dst=1 src0=1 src1=1 src2=1
	v_add3_u32 v79 /*v335*/, v79 /*v335*/, v101 /*v357*/, v99 /*v355*/
	s_set_vgpr_msb 0x41                     ;  msbs: dst=1 src0=1 src1=0 src2=0
	v_mul_i32_i24_e32 v50 /*v306*/, v75 /*v331*/, v116
	v_mul_i32_i24_e32 v51 /*v307*/, v74 /*v330*/, v117
	;; [unrolled: 1-line block ×3, first 2 shown]
	s_set_vgpr_msb 20                       ;  msbs: dst=0 src0=0 src1=1 src2=1
	v_add3_u32 v80, v80, v64 /*v320*/, v66 /*v322*/
	s_set_vgpr_msb 0x55                     ;  msbs: dst=1 src0=1 src1=1 src2=1
	v_add3_u32 v79 /*v335*/, v79 /*v335*/, v98 /*v354*/, v100 /*v356*/
	s_set_vgpr_msb 0x41                     ;  msbs: dst=1 src0=1 src1=0 src2=0
	v_mul_i32_i24_e32 v74 /*v330*/, v74 /*v330*/, v239
	s_set_vgpr_msb 16                       ;  msbs: dst=0 src0=0 src1=0 src2=1
	v_pk_mul_f16 v87, v205, v90
	v_cvt_f32_f16_e32 v85, v85
	v_add3_u32 v80, v80, v89, v67 /*v323*/
	s_set_vgpr_msb 0x55                     ;  msbs: dst=1 src0=1 src1=1 src2=1
	v_add3_u32 v79 /*v335*/, v79 /*v335*/, v105 /*v361*/, v102 /*v358*/
	s_set_vgpr_msb 20                       ;  msbs: dst=0 src0=0 src1=1 src2=1
	v_cvt_f32_f16_e32 v88, v88
	v_add3_u32 v80, v80, v68 /*v324*/, v69 /*v325*/
	s_set_vgpr_msb 0x55                     ;  msbs: dst=1 src0=1 src1=1 src2=1
	v_add3_u32 v79 /*v335*/, v79 /*v335*/, v103 /*v359*/, v104 /*v360*/
	s_set_vgpr_msb 16                       ;  msbs: dst=0 src0=0 src1=0 src2=1
	s_delay_alu instid0(VALU_DEP_2) | instskip(SKIP_1) | instid1(VALU_DEP_2)
	v_add3_u32 v80, v80, v93, v71 /*v327*/
	s_set_vgpr_msb 17                       ;  msbs: dst=0 src0=1 src1=0 src2=1
	v_add3_u32 v92, v79 /*v335*/, v92, v76 /*v332*/
	s_set_vgpr_msb 64                       ;  msbs: dst=1 src0=0 src1=0 src2=0
	v_pk_mul_f16 v76 /*v332*/, v144, v90
	s_set_vgpr_msb 0x41                     ;  msbs: dst=1 src0=1 src1=0 src2=0
	v_mul_i32_i24_e32 v79 /*v335*/, v47 /*v303*/, v245
	s_set_vgpr_msb 20                       ;  msbs: dst=0 src0=0 src1=1 src2=1
	v_add3_u32 v80, v80, v70 /*v326*/, v72 /*v328*/
	v_add3_u32 v92, v92, v77 /*v333*/, v78 /*v334*/
	s_set_vgpr_msb 0x41                     ;  msbs: dst=1 src0=1 src1=0 src2=0
	v_mul_i32_i24_e32 v77 /*v333*/, v45 /*v301*/, v244
	v_mul_i32_i24_e32 v78 /*v334*/, v46 /*v302*/, v238
	s_set_vgpr_msb 0                        ;  msbs: dst=0 src0=0 src1=0 src2=0
	v_cvt_f32_i32_e32 v92, v92
	s_set_vgpr_msb 17                       ;  msbs: dst=0 src0=1 src1=0 src2=1
	s_delay_alu instid0(VALU_DEP_1) | instskip(SKIP_3) | instid1(VALU_DEP_1)
	v_fma_mix_f32 v92, v76 /*v332*/, v92, v76 /*v332*/ op_sel:[0,0,1] op_sel_hi:[1,0,1]
	s_set_vgpr_msb 0x41                     ;  msbs: dst=1 src0=1 src1=0 src2=0
	v_mul_i32_i24_e32 v76 /*v332*/, v44 /*v300*/, v243
	s_set_vgpr_msb 20                       ;  msbs: dst=0 src0=0 src1=1 src2=1
	v_add3_u32 v80, v80, v79 /*v335*/, v76 /*v332*/
	s_delay_alu instid0(VALU_DEP_1) | instskip(SKIP_1) | instid1(VALU_DEP_1)
	v_add3_u32 v80, v80, v77 /*v333*/, v78 /*v334*/
	s_set_vgpr_msb 4                        ;  msbs: dst=0 src0=0 src1=1 src2=0
	v_add3_u32 v80, v80, v73 /*v329*/, v95
	s_set_vgpr_msb 20                       ;  msbs: dst=0 src0=0 src1=1 src2=1
	s_delay_alu instid0(VALU_DEP_1) | instskip(NEXT) | instid1(VALU_DEP_1)
	v_add3_u32 v80, v80, v75 /*v331*/, v74 /*v330*/
	v_cvt_f32_i32_e32 v80, v80
	s_set_vgpr_msb 0                        ;  msbs: dst=0 src0=0 src1=0 src2=0
	s_delay_alu instid0(VALU_DEP_1)
	v_fma_mix_f32 v90, v87, v80, v87 op_sel:[0,0,1] op_sel_hi:[1,0,1]
	v_add_nc_u32_e32 v80, 0x1404, v97
	s_set_vgpr_msb 64                       ;  msbs: dst=1 src0=0 src1=0 src2=0
	ds_load_2addr_b32 v[54:55] /*v[310:311]*/, v80 offset1:1
	s_set_vgpr_msb 0                        ;  msbs: dst=0 src0=0 src1=0 src2=0
	v_add_nc_u32_e32 v80, 0x1414, v97
	s_set_vgpr_msb 64                       ;  msbs: dst=1 src0=0 src1=0 src2=0
	ds_load_2addr_b32 v[56:57] /*v[312:313]*/, v80 offset1:1
	s_set_vgpr_msb 0                        ;  msbs: dst=0 src0=0 src1=0 src2=0
	v_add_nc_u32_e32 v80, 0x1400, v97
	s_set_vgpr_msb 64                       ;  msbs: dst=1 src0=0 src1=0 src2=0
	ds_load_2addr_b32 v[58:59] /*v[314:315]*/, v80 offset1:3
	ds_load_2addr_b32 v[60:61] /*v[316:317]*/, v80 offset0:4 offset1:7
	s_wait_dscnt 0x3
	s_set_vgpr_msb 0x41                     ;  msbs: dst=1 src0=1 src1=0 src2=0
	v_bfe_i32 v64 /*v320*/, v54 /*v310*/, 0, 8
	v_bfe_i32 v65 /*v321*/, v54 /*v310*/, 8, 8
	;; [unrolled: 1-line block ×3, first 2 shown]
	s_set_vgpr_msb 0x44                     ;  msbs: dst=1 src0=0 src1=1 src2=0
	v_ashrrev_i32_e32 v67 /*v323*/, 24, v54 /*v310*/
	s_set_vgpr_msb 0x41                     ;  msbs: dst=1 src0=1 src1=0 src2=0
	v_bfe_i32 v72 /*v328*/, v55 /*v311*/, 0, 8
	v_bfe_i32 v73 /*v329*/, v55 /*v311*/, 8, 8
	s_wait_dscnt 0x2
	v_bfe_i32 v76 /*v332*/, v57 /*v313*/, 0, 8
	v_bfe_i32 v77 /*v333*/, v57 /*v313*/, 8, 8
	v_bfe_i32 v78 /*v334*/, v57 /*v313*/, 16, 8
	s_set_vgpr_msb 0x44                     ;  msbs: dst=1 src0=0 src1=1 src2=0
	v_ashrrev_i32_e32 v79 /*v335*/, 24, v57 /*v313*/
	s_set_vgpr_msb 0x41                     ;  msbs: dst=1 src0=1 src1=0 src2=0
	v_bfe_i32 v68 /*v324*/, v56 /*v312*/, 0, 8
	v_bfe_i32 v69 /*v325*/, v56 /*v312*/, 8, 8
	s_wait_dscnt 0x0
	v_bfe_i32 v62 /*v318*/, v60 /*v316*/, 8, 8
	s_set_vgpr_msb 1                        ;  msbs: dst=0 src0=1 src1=0 src2=0
	v_bfe_i32 v80, v60 /*v316*/, 0, 8
	s_set_vgpr_msb 0x41                     ;  msbs: dst=1 src0=1 src1=0 src2=0
	v_bfe_i32 v63 /*v319*/, v60 /*v316*/, 16, 8
	s_set_vgpr_msb 0x44                     ;  msbs: dst=1 src0=0 src1=1 src2=0
	v_ashrrev_i32_e32 v60 /*v316*/, 24, v60 /*v316*/
	s_set_vgpr_msb 0x45                     ;  msbs: dst=1 src0=1 src1=1 src2=0
	v_bfe_i32 v70 /*v326*/, v56 /*v312*/, 16, 8
	v_mul_i32_i24_e32 v57 /*v313*/, v13 /*v269*/, v62 /*v318*/
	v_dual_ashrrev_i32 v71 /*v327*/, 24, v56 /*v312*/ :: v_dual_ashrrev_i32 v75 /*v331*/, 24, v55 /*v311*/
	v_bfe_i32 v74 /*v330*/, v55 /*v311*/, 16, 8
	v_bfe_i32 v80 /*v336*/, v59 /*v315*/, 0, 8
	;; [unrolled: 1-line block ×4, first 2 shown]
	v_ashrrev_i32_e32 v83 /*v339*/, 24, v59 /*v315*/
	v_bfe_i32 v53 /*v309*/, v61 /*v317*/, 0, 8
	v_bfe_i32 v54 /*v310*/, v61 /*v317*/, 8, 8
	;; [unrolled: 1-line block ×3, first 2 shown]
	v_dual_ashrrev_i32 v56 /*v312*/, 24, v61 /*v317*/ :: v_dual_ashrrev_i32 v85 /*v341*/, 24, v58 /*v314*/
	v_bfe_i32 v61 /*v317*/, v58 /*v314*/, 8, 8
	v_bfe_i32 v84 /*v340*/, v58 /*v314*/, 0, 8
	v_bfe_i32 v86 /*v342*/, v58 /*v314*/, 16, 8
	v_mul_i32_i24_e32 v58 /*v314*/, v14 /*v270*/, v63 /*v319*/
	s_set_vgpr_msb 0x44                     ;  msbs: dst=1 src0=0 src1=1 src2=0
	v_mul_i32_i24_e32 v59 /*v315*/, v111, v60 /*v316*/
	s_set_vgpr_msb 0x51                     ;  msbs: dst=1 src0=1 src1=0 src2=1
	v_mad_i32_i24 v57 /*v313*/, v12 /*v268*/, v80, v57 /*v313*/
	s_set_vgpr_msb 0x45                     ;  msbs: dst=1 src0=1 src1=1 src2=0
	v_mul_i32_i24_e32 v88 /*v344*/, v65 /*v321*/, v15 /*v271*/
	s_set_vgpr_msb 0x41                     ;  msbs: dst=1 src0=1 src1=0 src2=0
	v_mul_i32_i24_e32 v90 /*v346*/, v67 /*v323*/, v113
	s_set_vgpr_msb 0x55                     ;  msbs: dst=1 src0=1 src1=1 src2=1
	v_mul_i32_i24_e32 v87 /*v343*/, v64 /*v320*/, v17 /*v273*/
	v_mul_i32_i24_e32 v89 /*v345*/, v66 /*v322*/, v16 /*v272*/
	v_add3_u32 v57 /*v313*/, v57 /*v313*/, v58 /*v314*/, v59 /*v315*/
	v_mul_i32_i24_e32 v91 /*v347*/, v68 /*v324*/, v20 /*v276*/
	s_set_vgpr_msb 0x41                     ;  msbs: dst=1 src0=1 src1=0 src2=0
	v_mul_i32_i24_e32 v94 /*v350*/, v71 /*v327*/, v109
	s_set_vgpr_msb 0x55                     ;  msbs: dst=1 src0=1 src1=1 src2=1
	v_mul_i32_i24_e32 v92 /*v348*/, v69 /*v325*/, v18 /*v274*/
	v_mul_i32_i24_e32 v93 /*v349*/, v70 /*v326*/, v19 /*v275*/
	v_add3_u32 v57 /*v313*/, v57 /*v313*/, v90 /*v346*/, v88 /*v344*/
	;; [unrolled: 7-line block ×5, first 2 shown]
	v_mul_i32_i24_e32 v107 /*v363*/, v53 /*v309*/, v3 /*v259*/
	v_mul_i32_i24_e32 v110 /*v366*/, v56 /*v312*/, v5 /*v261*/
	;; [unrolled: 1-line block ×3, first 2 shown]
	s_set_vgpr_msb 0x41                     ;  msbs: dst=1 src0=1 src1=0 src2=0
	v_mul_i32_i24_e32 v109 /*v365*/, v55 /*v311*/, v250
	s_set_vgpr_msb 0x55                     ;  msbs: dst=1 src0=1 src1=1 src2=1
	v_add3_u32 v57 /*v313*/, v57 /*v313*/, v98 /*v354*/, v96 /*v352*/
	s_set_vgpr_msb 4                        ;  msbs: dst=0 src0=0 src1=1 src2=0
	v_mul_i32_i24_e32 v87, v253, v84 /*v340*/
	s_set_vgpr_msb 5                        ;  msbs: dst=0 src0=1 src1=1 src2=0
	v_mul_i32_i24_e32 v89, v1 /*v257*/, v61 /*v317*/
	v_mul_i32_i24_e32 v93, v2 /*v258*/, v86 /*v342*/
	s_set_vgpr_msb 4                        ;  msbs: dst=0 src0=0 src1=1 src2=0
	v_mul_i32_i24_e32 v95, v251, v85 /*v341*/
	s_set_vgpr_msb 0x55                     ;  msbs: dst=1 src0=1 src1=1 src2=1
	v_add3_u32 v57 /*v313*/, v57 /*v313*/, v95 /*v351*/, v97 /*v353*/
	s_set_vgpr_msb 0x41                     ;  msbs: dst=1 src0=1 src1=0 src2=0
	v_mul_i32_i24_e32 v87 /*v343*/, v65 /*v321*/, v125
	v_mul_i32_i24_e32 v89 /*v345*/, v67 /*v323*/, v127
	v_mul_i32_i24_e32 v59 /*v315*/, v64 /*v320*/, v124
	v_mul_i32_i24_e32 v88 /*v344*/, v66 /*v322*/, v126
	s_set_vgpr_msb 0x55                     ;  msbs: dst=1 src0=1 src1=1 src2=1
	v_add3_u32 v57 /*v313*/, v57 /*v313*/, v102 /*v358*/, v99 /*v355*/
	s_set_vgpr_msb 0x41                     ;  msbs: dst=1 src0=1 src1=0 src2=0
	v_mul_i32_i24_e32 v90 /*v346*/, v68 /*v324*/, v128
	v_mul_i32_i24_e32 v93 /*v349*/, v71 /*v327*/, v130
	v_mul_i32_i24_e32 v91 /*v347*/, v69 /*v325*/, v129
	v_mul_i32_i24_e32 v92 /*v348*/, v70 /*v326*/, v131
	;; [unrolled: 7-line block ×7, first 2 shown]
	s_set_vgpr_msb 1                        ;  msbs: dst=0 src0=1 src1=0 src2=0
	v_add3_u32 v87, v57 /*v313*/, v87, v89
	s_set_vgpr_msb 0                        ;  msbs: dst=0 src0=0 src1=0 src2=0
	v_pk_mul_f16 v89, v108, v91
	s_set_vgpr_msb 0x41                     ;  msbs: dst=1 src0=1 src1=0 src2=0
	v_mul_i32_i24_e32 v116 /*v372*/, v56 /*v312*/, v237
	v_mul_i32_i24_e32 v114 /*v370*/, v54 /*v310*/, v236
	;; [unrolled: 1-line block ×3, first 2 shown]
	s_set_vgpr_msb 0                        ;  msbs: dst=0 src0=0 src1=0 src2=0
	v_add3_u32 v87, v87, v93, v95
	s_set_vgpr_msb 1                        ;  msbs: dst=0 src0=1 src1=0 src2=0
	v_mul_i32_i24_e32 v93, v60 /*v316*/, v123
	s_set_vgpr_msb 0x41                     ;  msbs: dst=1 src0=1 src1=0 src2=0
	v_mul_i32_i24_e32 v79 /*v335*/, v79 /*v335*/, v224
	v_mul_i32_i24_e32 v77 /*v333*/, v77 /*v333*/, v223
	;; [unrolled: 1-line block ×3, first 2 shown]
	s_set_vgpr_msb 0                        ;  msbs: dst=0 src0=0 src1=0 src2=0
	v_cvt_f32_i32_e32 v87, v87
	s_set_vgpr_msb 0x41                     ;  msbs: dst=1 src0=1 src1=0 src2=0
	v_mul_i32_i24_e32 v81 /*v337*/, v81 /*v337*/, v226
	v_mul_i32_i24_e32 v83 /*v339*/, v83 /*v339*/, v229
	;; [unrolled: 1-line block ×4, first 2 shown]
	s_set_vgpr_msb 0                        ;  msbs: dst=0 src0=0 src1=0 src2=0
	v_fma_mix_f32 v95, v89, v87, v89 op_sel:[0,0,1] op_sel_hi:[1,0,1]
	s_set_vgpr_msb 1                        ;  msbs: dst=0 src0=1 src1=0 src2=0
	v_mul_i32_i24_e32 v87, v62 /*v318*/, v122
	v_mul_i32_i24_e32 v89, v63 /*v319*/, v121
	s_set_vgpr_msb 0x41                     ;  msbs: dst=1 src0=1 src1=0 src2=0
	v_mul_i32_i24_e32 v57 /*v313*/, v85 /*v341*/, v117
	v_mul_i32_i24_e32 v58 /*v314*/, v61 /*v317*/, v119
	s_set_vgpr_msb 0                        ;  msbs: dst=0 src0=0 src1=0 src2=0
	v_pk_add_f32 v[16:17], v[16:17], v[94:95]
	v_mad_i32_i24 v87, v80, v120, v87
	s_set_vgpr_msb 1                        ;  msbs: dst=0 src0=1 src1=0 src2=0
	v_mul_i32_i24_e32 v95, v84 /*v340*/, v118
	v_mul_i32_i24_e32 v94, v86 /*v342*/, v116
	s_set_vgpr_msb 0                        ;  msbs: dst=0 src0=0 src1=0 src2=0
	v_add3_u32 v87, v87, v89, v93
	s_set_vgpr_msb 1                        ;  msbs: dst=0 src0=1 src1=0 src2=0
	v_mul_i32_i24_e32 v93, v84 /*v340*/, v232
	s_set_vgpr_msb 0                        ;  msbs: dst=0 src0=0 src1=0 src2=0
	v_pk_mul_f16 v89, v115, v91
	s_set_vgpr_msb 20                       ;  msbs: dst=0 src0=0 src1=1 src2=1
	v_add3_u32 v87, v87, v89 /*v345*/, v87 /*v343*/
	s_set_vgpr_msb 0x41                     ;  msbs: dst=1 src0=1 src1=0 src2=0
	v_mul_i32_i24_e32 v87 /*v343*/, v61 /*v317*/, v233
	v_mul_i32_i24_e32 v89 /*v345*/, v85 /*v341*/, v231
	s_set_vgpr_msb 20                       ;  msbs: dst=0 src0=0 src1=1 src2=1
	v_add3_u32 v87, v87, v59 /*v315*/, v88 /*v344*/
	s_set_vgpr_msb 0x41                     ;  msbs: dst=1 src0=1 src1=0 src2=0
	v_mul_i32_i24_e32 v88 /*v344*/, v86 /*v342*/, v234
	s_set_vgpr_msb 20                       ;  msbs: dst=0 src0=0 src1=1 src2=1
	s_delay_alu instid0(VALU_DEP_2)
	v_add3_u32 v87, v87, v93 /*v349*/, v90 /*v346*/
	s_set_vgpr_msb 0x41                     ;  msbs: dst=1 src0=1 src1=0 src2=0
	v_mul_i32_i24_e32 v90 /*v346*/, v62 /*v318*/, v147
	v_mul_i32_i24_e32 v93 /*v349*/, v64 /*v320*/, v149
	;; [unrolled: 1-line block ×4, first 2 shown]
	s_set_vgpr_msb 20                       ;  msbs: dst=0 src0=0 src1=1 src2=1
	v_add3_u32 v87, v87, v91 /*v347*/, v92 /*v348*/
	s_set_vgpr_msb 0x41                     ;  msbs: dst=1 src0=1 src1=0 src2=0
	v_mul_i32_i24_e32 v91 /*v347*/, v63 /*v319*/, v146
	v_mul_i32_i24_e32 v92 /*v348*/, v60 /*v316*/, v148
	s_set_vgpr_msb 0x50                     ;  msbs: dst=1 src0=0 src1=0 src2=1
	v_mad_i32_i24 v90 /*v346*/, v80, v145, v90 /*v346*/
	s_set_vgpr_msb 0x41                     ;  msbs: dst=1 src0=1 src1=0 src2=0
	v_mul_i32_i24_e32 v63 /*v319*/, v63 /*v319*/, v207
	s_set_vgpr_msb 20                       ;  msbs: dst=0 src0=0 src1=1 src2=1
	v_add3_u32 v87, v87, v97 /*v353*/, v95 /*v351*/
	s_set_vgpr_msb 0x41                     ;  msbs: dst=1 src0=1 src1=0 src2=0
	v_mul_i32_i24_e32 v95 /*v351*/, v66 /*v322*/, v151
	v_mul_i32_i24_e32 v97 /*v353*/, v68 /*v324*/, v153
	s_set_vgpr_msb 0x55                     ;  msbs: dst=1 src0=1 src1=1 src2=1
	v_add3_u32 v90 /*v346*/, v90 /*v346*/, v91 /*v347*/, v92 /*v348*/
	s_set_vgpr_msb 0x41                     ;  msbs: dst=1 src0=1 src1=0 src2=0
	v_mul_i32_i24_e32 v60 /*v316*/, v60 /*v316*/, v209
	s_set_vgpr_msb 20                       ;  msbs: dst=0 src0=0 src1=1 src2=1
	v_add3_u32 v87, v87, v94 /*v350*/, v96 /*v352*/
	s_set_vgpr_msb 0x41                     ;  msbs: dst=1 src0=1 src1=0 src2=0
	v_mul_i32_i24_e32 v94 /*v350*/, v65 /*v321*/, v150
	v_mul_i32_i24_e32 v96 /*v352*/, v67 /*v323*/, v152
	s_set_vgpr_msb 16                       ;  msbs: dst=0 src0=0 src1=0 src2=1
	v_mad_i32_i24 v80, v80, v206, v62 /*v318*/
	s_set_vgpr_msb 0x41                     ;  msbs: dst=1 src0=1 src1=0 src2=0
	v_mul_i32_i24_e32 v65 /*v321*/, v65 /*v321*/, v211
	s_set_vgpr_msb 20                       ;  msbs: dst=0 src0=0 src1=1 src2=1
	v_add3_u32 v87, v87, v101 /*v357*/, v98 /*v354*/
	s_set_vgpr_msb 0x41                     ;  msbs: dst=1 src0=1 src1=0 src2=0
	v_mul_i32_i24_e32 v98 /*v354*/, v69 /*v325*/, v154
	s_set_vgpr_msb 0x55                     ;  msbs: dst=1 src0=1 src1=1 src2=1
	v_add3_u32 v90 /*v346*/, v90 /*v346*/, v96 /*v352*/, v94 /*v350*/
	s_set_vgpr_msb 0x41                     ;  msbs: dst=1 src0=1 src1=0 src2=0
	v_mul_i32_i24_e32 v101 /*v357*/, v72 /*v328*/, v194
	v_mul_i32_i24_e32 v67 /*v323*/, v67 /*v323*/, v213
	s_set_vgpr_msb 20                       ;  msbs: dst=0 src0=0 src1=1 src2=1
	v_add3_u32 v87, v87, v99 /*v355*/, v100 /*v356*/
	s_set_vgpr_msb 0x41                     ;  msbs: dst=1 src0=1 src1=0 src2=0
	v_mul_i32_i24_e32 v100 /*v356*/, v71 /*v327*/, v155
	s_set_vgpr_msb 0x55                     ;  msbs: dst=1 src0=1 src1=1 src2=1
	v_add3_u32 v90 /*v346*/, v90 /*v346*/, v93 /*v349*/, v95 /*v351*/
	s_set_vgpr_msb 0x41                     ;  msbs: dst=1 src0=1 src1=0 src2=0
	v_mul_i32_i24_e32 v99 /*v355*/, v70 /*v326*/, v189
	s_set_vgpr_msb 20                       ;  msbs: dst=0 src0=0 src1=1 src2=1
	v_add3_u32 v80, v80, v63 /*v319*/, v60 /*v316*/
	v_add3_u32 v87, v87, v105 /*v361*/, v103 /*v359*/
	s_set_vgpr_msb 0x41                     ;  msbs: dst=1 src0=1 src1=0 src2=0
	v_mul_i32_i24_e32 v103 /*v359*/, v74 /*v330*/, v196
	s_set_vgpr_msb 0x55                     ;  msbs: dst=1 src0=1 src1=1 src2=1
	v_add3_u32 v90 /*v346*/, v90 /*v346*/, v100 /*v356*/, v97 /*v353*/
	s_set_vgpr_msb 0x41                     ;  msbs: dst=1 src0=1 src1=0 src2=0
	v_mul_i32_i24_e32 v105 /*v361*/, v76 /*v332*/, v197
	v_mul_i32_i24_e32 v66 /*v322*/, v66 /*v322*/, v212
	s_set_vgpr_msb 0x54                     ;  msbs: dst=1 src0=0 src1=1 src2=1
	v_add3_u32 v59 /*v315*/, v87, v102 /*v358*/, v104 /*v360*/
	s_set_vgpr_msb 0x41                     ;  msbs: dst=1 src0=1 src1=0 src2=0
	v_mul_i32_i24_e32 v102 /*v358*/, v73 /*v329*/, v193
	v_mul_i32_i24_e32 v104 /*v360*/, v75 /*v331*/, v195
	s_set_vgpr_msb 0x55                     ;  msbs: dst=1 src0=1 src1=1 src2=1
	v_add3_u32 v90 /*v346*/, v90 /*v346*/, v98 /*v354*/, v99 /*v355*/
	s_set_vgpr_msb 20                       ;  msbs: dst=0 src0=0 src1=1 src2=1
	v_add3_u32 v80, v80, v67 /*v323*/, v65 /*v321*/
	s_set_vgpr_msb 0x41                     ;  msbs: dst=1 src0=1 src1=0 src2=0
	v_mul_i32_i24_e32 v68 /*v324*/, v68 /*v324*/, v214
	v_mul_i32_i24_e32 v71 /*v327*/, v71 /*v327*/, v216
	v_mul_i32_i24_e32 v69 /*v325*/, v69 /*v325*/, v215
	s_set_vgpr_msb 0x55                     ;  msbs: dst=1 src0=1 src1=1 src2=1
	v_add3_u32 v90 /*v346*/, v90 /*v346*/, v104 /*v360*/, v102 /*v358*/
	s_set_vgpr_msb 20                       ;  msbs: dst=0 src0=0 src1=1 src2=1
	v_add3_u32 v80, v80, v64 /*v320*/, v66 /*v322*/
	s_set_vgpr_msb 0x41                     ;  msbs: dst=1 src0=1 src1=0 src2=0
	v_mul_i32_i24_e32 v70 /*v326*/, v70 /*v326*/, v217
	;; [unrolled: 8-line block ×3, first 2 shown]
	v_mul_i32_i24_e32 v74 /*v330*/, v74 /*v330*/, v221
	v_mul_i32_i24_e32 v76 /*v332*/, v76 /*v332*/, v222
	s_set_vgpr_msb 0x55                     ;  msbs: dst=1 src0=1 src1=1 src2=1
	v_add3_u32 v90 /*v346*/, v90 /*v346*/, v108 /*v364*/, v105 /*v361*/
	s_set_vgpr_msb 20                       ;  msbs: dst=0 src0=0 src1=1 src2=1
	v_add3_u32 v80, v80, v69 /*v325*/, v70 /*v326*/
	v_cvt_f32_f16_e32 v87, v89
	s_set_vgpr_msb 0                        ;  msbs: dst=0 src0=0 src1=0 src2=0
	v_lshrrev_b32_e32 v89, 16, v89
	s_set_vgpr_msb 0x55                     ;  msbs: dst=1 src0=1 src1=1 src2=1
	v_add3_u32 v90 /*v346*/, v90 /*v346*/, v106 /*v362*/, v107 /*v363*/
	s_set_vgpr_msb 20                       ;  msbs: dst=0 src0=0 src1=1 src2=1
	v_add3_u32 v80, v80, v75 /*v331*/, v73 /*v329*/
	s_set_vgpr_msb 0x55                     ;  msbs: dst=1 src0=1 src1=1 src2=1
	s_delay_alu instid0(VALU_DEP_2) | instskip(SKIP_1) | instid1(VALU_DEP_2)
	v_add3_u32 v90 /*v346*/, v90 /*v346*/, v112 /*v368*/, v110 /*v366*/
	s_set_vgpr_msb 20                       ;  msbs: dst=0 src0=0 src1=1 src2=1
	v_add3_u32 v80, v80, v72 /*v328*/, v74 /*v330*/
	s_set_vgpr_msb 0x55                     ;  msbs: dst=1 src0=1 src1=1 src2=1
	s_delay_alu instid0(VALU_DEP_2) | instskip(SKIP_1) | instid1(VALU_DEP_2)
	;; [unrolled: 5-line block ×4, first 2 shown]
	v_add3_u32 v90 /*v346*/, v90 /*v346*/, v114 /*v370*/, v115 /*v371*/
	s_set_vgpr_msb 20                       ;  msbs: dst=0 src0=0 src1=1 src2=1
	v_add3_u32 v80, v80, v83 /*v339*/, v81 /*v337*/
	s_set_vgpr_msb 17                       ;  msbs: dst=0 src0=1 src1=0 src2=1
	s_delay_alu instid0(VALU_DEP_2)
	v_add3_u32 v93, v90 /*v346*/, v93, v87 /*v343*/
	s_set_vgpr_msb 64                       ;  msbs: dst=1 src0=0 src1=0 src2=0
	v_pk_mul_f16 v87 /*v343*/, v144, v91
	s_set_vgpr_msb 20                       ;  msbs: dst=0 src0=0 src1=1 src2=1
	v_add3_u32 v80, v80, v80 /*v336*/, v82 /*v338*/
	s_set_vgpr_msb 0                        ;  msbs: dst=0 src0=0 src1=0 src2=0
	v_pk_mul_f16 v91, v205, v91
	s_set_vgpr_msb 20                       ;  msbs: dst=0 src0=0 src1=1 src2=1
	v_add3_u32 v93, v93, v88 /*v344*/, v89 /*v345*/
	s_set_vgpr_msb 0x41                     ;  msbs: dst=1 src0=1 src1=0 src2=0
	v_mul_i32_i24_e32 v88 /*v344*/, v56 /*v312*/, v245
	s_set_vgpr_msb 0                        ;  msbs: dst=0 src0=0 src1=0 src2=0
	s_delay_alu instid0(VALU_DEP_2) | instskip(SKIP_1) | instid1(VALU_DEP_1)
	v_cvt_f32_i32_e32 v93, v93
	s_set_vgpr_msb 17                       ;  msbs: dst=0 src0=1 src1=0 src2=1
	v_fma_mix_f32 v93, v87 /*v343*/, v93, v87 /*v343*/ op_sel:[0,0,1] op_sel_hi:[1,0,1]
	s_set_vgpr_msb 0x41                     ;  msbs: dst=1 src0=1 src1=0 src2=0
	v_mul_i32_i24_e32 v87 /*v343*/, v55 /*v311*/, v238
	s_set_vgpr_msb 0                        ;  msbs: dst=0 src0=0 src1=0 src2=0
	s_delay_alu instid0(VALU_DEP_2)
	v_pk_add_f32 v[12:13], v[12:13], v[92:93]
	s_set_vgpr_msb 1                        ;  msbs: dst=0 src0=1 src1=0 src2=0
	v_mul_i32_i24_e32 v92, v84 /*v340*/, v240
	s_set_vgpr_msb 0x41                     ;  msbs: dst=1 src0=1 src1=0 src2=0
	v_mul_i32_i24_e32 v84 /*v340*/, v85 /*v341*/, v239
	v_mul_i32_i24_e32 v85 /*v341*/, v53 /*v309*/, v243
	s_set_vgpr_msb 1                        ;  msbs: dst=0 src0=1 src1=0 src2=0
	v_mul_i32_i24_e32 v93, v61 /*v317*/, v241
	s_set_vgpr_msb 0x41                     ;  msbs: dst=1 src0=1 src1=0 src2=0
	v_mul_i32_i24_e32 v61 /*v317*/, v86 /*v342*/, v242
	v_mul_i32_i24_e32 v86 /*v342*/, v54 /*v310*/, v244
	s_set_vgpr_msb 20                       ;  msbs: dst=0 src0=0 src1=1 src2=1
	v_add3_u32 v80, v80, v88 /*v344*/, v85 /*v341*/
	s_delay_alu instid0(VALU_DEP_1) | instskip(SKIP_1) | instid1(VALU_DEP_1)
	v_add3_u32 v80, v80, v86 /*v342*/, v87 /*v343*/
	s_set_vgpr_msb 0                        ;  msbs: dst=0 src0=0 src1=0 src2=0
	v_add3_u32 v80, v80, v92, v93
	s_set_vgpr_msb 20                       ;  msbs: dst=0 src0=0 src1=1 src2=1
	s_delay_alu instid0(VALU_DEP_1) | instskip(NEXT) | instid1(VALU_DEP_1)
	v_add3_u32 v80, v80, v61 /*v317*/, v84 /*v340*/
	v_cvt_f32_i32_e32 v80, v80
	s_set_vgpr_msb 0                        ;  msbs: dst=0 src0=0 src1=0 src2=0
	s_delay_alu instid0(VALU_DEP_1) | instskip(SKIP_1) | instid1(VALU_DEP_2)
	v_fma_mix_f32 v91, v91, v80, v91 op_sel:[0,0,1] op_sel_hi:[1,0,1]
	v_add_nc_u32_e32 v80, 0x1800, v97
	v_pk_add_f32 v[10:11], v[10:11], v[90:91]
	v_add_nc_u32_e32 v90, 0x1804, v97
	s_set_vgpr_msb 64                       ;  msbs: dst=1 src0=0 src1=0 src2=0
	ds_load_2addr_b32 v[62:63] /*v[318:319]*/, v80 offset0:4 offset1:7
	ds_load_2addr_b32 v[64:65] /*v[320:321]*/, v90 offset1:1
	s_set_vgpr_msb 0                        ;  msbs: dst=0 src0=0 src1=0 src2=0
	v_add_nc_u32_e32 v90, 0x1814, v97
	s_set_vgpr_msb 64                       ;  msbs: dst=1 src0=0 src1=0 src2=0
	ds_load_2addr_b32 v[66:67] /*v[322:323]*/, v90 offset1:1
	ds_load_2addr_b32 v[68:69] /*v[324:325]*/, v80 offset1:3
	s_set_vgpr_msb 0                        ;  msbs: dst=0 src0=0 src1=0 src2=0
	ds_load_2addr_b32 v[90:91], v96 offset0:192 offset1:224
	v_add_nc_u32_e32 v96, 4, v96
	s_wait_dscnt 0x4
	s_set_vgpr_msb 0x41                     ;  msbs: dst=1 src0=1 src1=0 src2=0
	v_bfe_i32 v70 /*v326*/, v62 /*v318*/, 8, 8
	v_bfe_i32 v71 /*v327*/, v62 /*v318*/, 16, 8
	s_set_vgpr_msb 0x44                     ;  msbs: dst=1 src0=0 src1=1 src2=0
	v_ashrrev_i32_e32 v72 /*v328*/, 24, v62 /*v318*/
	s_set_vgpr_msb 0x45                     ;  msbs: dst=1 src0=1 src1=1 src2=0
	v_bfe_i32 v88 /*v344*/, v63 /*v319*/, 0, 8
	s_wait_dscnt 0x3
	v_bfe_i32 v73 /*v329*/, v64 /*v320*/, 0, 8
	v_mul_i32_i24_e32 v93 /*v349*/, v13 /*v269*/, v70 /*v326*/
	v_bfe_i32 v74 /*v330*/, v64 /*v320*/, 8, 8
	v_bfe_i32 v75 /*v331*/, v64 /*v320*/, 16, 8
	v_ashrrev_i32_e32 v64 /*v320*/, 24, v64 /*v320*/
	s_wait_dscnt 0x1
	v_bfe_i32 v61 /*v317*/, v68 /*v324*/, 0, 8
	v_bfe_i32 v60 /*v316*/, v68 /*v324*/, 8, 8
	s_set_vgpr_msb 1                        ;  msbs: dst=0 src0=1 src1=0 src2=0
	v_bfe_i32 v93, v68 /*v324*/, 16, 8
	s_set_vgpr_msb 4                        ;  msbs: dst=0 src0=0 src1=1 src2=0
	v_ashrrev_i32_e32 v92, 24, v68 /*v324*/
	s_set_vgpr_msb 0x45                     ;  msbs: dst=1 src0=1 src1=1 src2=0
	v_bfe_i32 v68 /*v324*/, v62 /*v318*/, 0, 8
	v_mul_i32_i24_e32 v94 /*v350*/, v14 /*v270*/, v71 /*v327*/
	s_set_vgpr_msb 0x44                     ;  msbs: dst=1 src0=0 src1=1 src2=0
	v_mul_i32_i24_e32 v95 /*v351*/, v111, v72 /*v328*/
	s_set_vgpr_msb 0x45                     ;  msbs: dst=1 src0=1 src1=1 src2=0
	v_mul_i32_i24_e32 v97 /*v353*/, v74 /*v330*/, v15 /*v271*/
	s_set_vgpr_msb 0x41                     ;  msbs: dst=1 src0=1 src1=0 src2=0
	v_mul_i32_i24_e32 v99 /*v355*/, v64 /*v320*/, v113
	s_set_vgpr_msb 0x55                     ;  msbs: dst=1 src0=1 src1=1 src2=1
	v_mad_i32_i24 v93 /*v349*/, v12 /*v268*/, v68 /*v324*/, v93 /*v349*/
	v_bfe_i32 v76 /*v332*/, v66 /*v322*/, 0, 8
	v_bfe_i32 v77 /*v333*/, v66 /*v322*/, 8, 8
	;; [unrolled: 1-line block ×3, first 2 shown]
	v_ashrrev_i32_e32 v66 /*v322*/, 24, v66 /*v322*/
	v_add3_u32 v93 /*v349*/, v93 /*v349*/, v94 /*v350*/, v95 /*v351*/
	v_mul_i32_i24_e32 v96 /*v352*/, v73 /*v329*/, v17 /*v273*/
	v_mul_i32_i24_e32 v98 /*v354*/, v75 /*v331*/, v16 /*v272*/
	v_bfe_i32 v79 /*v335*/, v65 /*v321*/, 0, 8
	v_bfe_i32 v80 /*v336*/, v65 /*v321*/, 8, 8
	v_add3_u32 v93 /*v349*/, v93 /*v349*/, v99 /*v355*/, v97 /*v353*/
	v_bfe_i32 v81 /*v337*/, v65 /*v321*/, 16, 8
	v_ashrrev_i32_e32 v65 /*v321*/, 24, v65 /*v321*/
	v_mul_i32_i24_e32 v100 /*v356*/, v76 /*v332*/, v20 /*v276*/
	s_set_vgpr_msb 0x41                     ;  msbs: dst=1 src0=1 src1=0 src2=0
	v_mul_i32_i24_e32 v103 /*v359*/, v66 /*v322*/, v109
	s_set_vgpr_msb 0x55                     ;  msbs: dst=1 src0=1 src1=1 src2=1
	v_add3_u32 v93 /*v349*/, v93 /*v349*/, v96 /*v352*/, v98 /*v354*/
	v_mul_i32_i24_e32 v101 /*v357*/, v77 /*v333*/, v18 /*v274*/
	v_mul_i32_i24_e32 v102 /*v358*/, v78 /*v334*/, v19 /*v275*/
	;; [unrolled: 1-line block ×3, first 2 shown]
	s_set_vgpr_msb 0x41                     ;  msbs: dst=1 src0=1 src1=0 src2=0
	v_mul_i32_i24_e32 v107 /*v363*/, v65 /*v321*/, v114
	s_set_vgpr_msb 0x55                     ;  msbs: dst=1 src0=1 src1=1 src2=1
	v_add3_u32 v93 /*v349*/, v93 /*v349*/, v103 /*v359*/, v100 /*v356*/
	v_bfe_i32 v82 /*v338*/, v67 /*v323*/, 0, 8
	v_bfe_i32 v83 /*v339*/, v67 /*v323*/, 8, 8
	;; [unrolled: 1-line block ×3, first 2 shown]
	v_ashrrev_i32_e32 v67 /*v323*/, 24, v67 /*v323*/
	v_add3_u32 v93 /*v349*/, v93 /*v349*/, v101 /*v357*/, v102 /*v358*/
	v_mul_i32_i24_e32 v104 /*v360*/, v79 /*v335*/, v23 /*v279*/
	v_mul_i32_i24_e32 v106 /*v362*/, v81 /*v337*/, v22 /*v278*/
	v_bfe_i32 v85 /*v341*/, v69 /*v325*/, 0, 8
	v_bfe_i32 v86 /*v342*/, v69 /*v325*/, 8, 8
	v_add3_u32 v93 /*v349*/, v93 /*v349*/, v107 /*v363*/, v105 /*v361*/
	v_bfe_i32 v87 /*v343*/, v69 /*v325*/, 16, 8
	v_ashrrev_i32_e32 v69 /*v325*/, 24, v69 /*v325*/
	v_mul_i32_i24_e32 v108 /*v364*/, v82 /*v338*/, v30 /*v286*/
	s_set_vgpr_msb 0x41                     ;  msbs: dst=1 src0=1 src1=0 src2=0
	v_mul_i32_i24_e32 v111 /*v367*/, v67 /*v323*/, v110
	s_set_vgpr_msb 0x55                     ;  msbs: dst=1 src0=1 src1=1 src2=1
	v_add3_u32 v93 /*v349*/, v93 /*v349*/, v104 /*v360*/, v106 /*v362*/
	v_mul_i32_i24_e32 v109 /*v365*/, v83 /*v339*/, v25 /*v281*/
	v_mul_i32_i24_e32 v110 /*v366*/, v84 /*v340*/, v26 /*v282*/
	;; [unrolled: 1-line block ×3, first 2 shown]
	s_set_vgpr_msb 0x41                     ;  msbs: dst=1 src0=1 src1=0 src2=0
	v_mul_i32_i24_e32 v115 /*v371*/, v69 /*v325*/, v112
	s_set_vgpr_msb 0x55                     ;  msbs: dst=1 src0=1 src1=1 src2=1
	v_add3_u32 v93 /*v349*/, v93 /*v349*/, v111 /*v367*/, v108 /*v364*/
	v_bfe_i32 v89 /*v345*/, v63 /*v319*/, 8, 8
	v_bfe_i32 v62 /*v318*/, v63 /*v319*/, 16, 8
	v_ashrrev_i32_e32 v63 /*v319*/, 24, v63 /*v319*/
	v_mul_i32_i24_e32 v112 /*v368*/, v85 /*v341*/, v33 /*v289*/
	v_add3_u32 v93 /*v349*/, v93 /*v349*/, v109 /*v365*/, v110 /*v366*/
	v_mul_i32_i24_e32 v114 /*v370*/, v87 /*v343*/, v32 /*v288*/
	v_mul_i32_i24_e32 v116 /*v372*/, v88 /*v344*/, v3 /*v259*/
	;; [unrolled: 1-line block ×4, first 2 shown]
	v_add3_u32 v93 /*v349*/, v93 /*v349*/, v115 /*v371*/, v113 /*v369*/
	s_set_vgpr_msb 0x41                     ;  msbs: dst=1 src0=1 src1=0 src2=0
	v_mul_i32_i24_e32 v118 /*v374*/, v62 /*v318*/, v250
	s_set_vgpr_msb 4                        ;  msbs: dst=0 src0=0 src1=1 src2=0
	v_mul_i32_i24_e32 v80, v253, v61 /*v317*/
	s_set_vgpr_msb 0x45                     ;  msbs: dst=1 src0=1 src1=1 src2=0
	v_mul_i32_i24_e32 v90 /*v346*/, v1 /*v257*/, v60 /*v316*/
	s_set_vgpr_msb 0x41                     ;  msbs: dst=1 src0=1 src1=0 src2=0
	v_mul_i32_i24_e32 v91 /*v347*/, v2 /*v258*/, v93
	s_set_vgpr_msb 0x55                     ;  msbs: dst=1 src0=1 src1=1 src2=1
	v_add3_u32 v93 /*v349*/, v93 /*v349*/, v112 /*v368*/, v114 /*v370*/
	s_set_vgpr_msb 64                       ;  msbs: dst=1 src0=0 src1=0 src2=0
	v_mul_i32_i24_e32 v92 /*v348*/, v251, v92
	s_set_vgpr_msb 0x41                     ;  msbs: dst=1 src0=1 src1=0 src2=0
	v_mul_i32_i24_e32 v94 /*v350*/, v74 /*v330*/, v125
	v_mul_i32_i24_e32 v96 /*v352*/, v64 /*v320*/, v127
	;; [unrolled: 1-line block ×3, first 2 shown]
	s_set_vgpr_msb 0x55                     ;  msbs: dst=1 src0=1 src1=1 src2=1
	v_add3_u32 v93 /*v349*/, v93 /*v349*/, v119 /*v375*/, v116 /*v372*/
	s_set_vgpr_msb 0x41                     ;  msbs: dst=1 src0=1 src1=0 src2=0
	v_mul_i32_i24_e32 v97 /*v353*/, v76 /*v332*/, v128
	v_mul_i32_i24_e32 v100 /*v356*/, v66 /*v322*/, v130
	;; [unrolled: 1-line block ×4, first 2 shown]
	s_set_vgpr_msb 0x55                     ;  msbs: dst=1 src0=1 src1=1 src2=1
	v_add3_u32 v93 /*v349*/, v93 /*v349*/, v117 /*v373*/, v118 /*v374*/
	s_set_vgpr_msb 0x41                     ;  msbs: dst=1 src0=1 src1=0 src2=0
	v_mul_i32_i24_e32 v102 /*v358*/, v80 /*v336*/, v132
	v_mul_i32_i24_e32 v104 /*v360*/, v65 /*v321*/, v134
	;; [unrolled: 1-line block ×4, first 2 shown]
	s_set_vgpr_msb 17                       ;  msbs: dst=0 src0=1 src1=0 src2=1
	v_add3_u32 v80, v93 /*v349*/, v80, v90 /*v346*/
	s_wait_dscnt 0x0
	s_set_vgpr_msb 64                       ;  msbs: dst=1 src0=0 src1=0 src2=0
	v_pk_mul_f16 v90 /*v346*/, v108, v90
	s_set_vgpr_msb 0x41                     ;  msbs: dst=1 src0=1 src1=0 src2=0
	v_mul_i32_i24_e32 v93 /*v349*/, v73 /*v329*/, v124
	v_mul_i32_i24_e32 v105 /*v361*/, v82 /*v338*/, v136
	;; [unrolled: 1-line block ×3, first 2 shown]
	s_set_vgpr_msb 20                       ;  msbs: dst=0 src0=0 src1=1 src2=1
	v_add3_u32 v80, v80, v91 /*v347*/, v92 /*v348*/
	s_set_vgpr_msb 0x41                     ;  msbs: dst=1 src0=1 src1=0 src2=0
	v_mul_i32_i24_e32 v91 /*v347*/, v71 /*v327*/, v121
	v_mul_i32_i24_e32 v92 /*v348*/, v72 /*v328*/, v123
	;; [unrolled: 1-line block ×4, first 2 shown]
	s_set_vgpr_msb 0                        ;  msbs: dst=0 src0=0 src1=0 src2=0
	v_cvt_f32_i32_e32 v80, v80
	s_set_vgpr_msb 0x41                     ;  msbs: dst=1 src0=1 src1=0 src2=0
	v_mul_i32_i24_e32 v110 /*v366*/, v86 /*v342*/, v140
	v_mul_i32_i24_e32 v112 /*v368*/, v69 /*v325*/, v143
	;; [unrolled: 1-line block ×4, first 2 shown]
	s_set_vgpr_msb 17                       ;  msbs: dst=0 src0=1 src1=0 src2=1
	v_fma_mix_f32 v80, v90 /*v346*/, v80, v90 /*v346*/ op_sel:[0,0,1] op_sel_hi:[1,0,1]
	s_set_vgpr_msb 0x51                     ;  msbs: dst=1 src0=1 src1=0 src2=1
	v_mul_i32_i24_e32 v90 /*v346*/, v70 /*v326*/, v122
	v_mul_i32_i24_e32 v114 /*v370*/, v69 /*v325*/, v204
	;; [unrolled: 1-line block ×5, first 2 shown]
	v_mad_i32_i24 v90 /*v346*/, v68 /*v324*/, v120, v90 /*v346*/
	s_set_vgpr_msb 0                        ;  msbs: dst=0 src0=0 src1=0 src2=0
	v_pk_mul_f16 v108, v108, v91
	s_set_vgpr_msb 0x41                     ;  msbs: dst=1 src0=1 src1=0 src2=0
	v_mul_i32_i24_e32 v115 /*v371*/, v88 /*v344*/, v235
	v_mul_i32_i24_e32 v116 /*v372*/, v89 /*v345*/, v236
	s_set_vgpr_msb 0x55                     ;  msbs: dst=1 src0=1 src1=1 src2=1
	v_add3_u32 v90 /*v346*/, v90 /*v346*/, v91 /*v347*/, v92 /*v348*/
	s_set_vgpr_msb 0x41                     ;  msbs: dst=1 src0=1 src1=0 src2=0
	v_mul_i32_i24_e32 v92 /*v348*/, v70 /*v326*/, v147
	v_mul_i32_i24_e32 v70 /*v326*/, v70 /*v326*/, v208
	s_set_vgpr_msb 64                       ;  msbs: dst=1 src0=0 src1=0 src2=0
	v_pk_mul_f16 v91 /*v347*/, v115, v90
	s_set_vgpr_msb 0x55                     ;  msbs: dst=1 src0=1 src1=1 src2=1
	v_add3_u32 v90 /*v346*/, v90 /*v346*/, v96 /*v352*/, v94 /*v350*/
	s_set_vgpr_msb 0x51                     ;  msbs: dst=1 src0=1 src1=0 src2=1
	v_mul_i32_i24_e32 v94 /*v350*/, v72 /*v328*/, v148
	v_mad_i32_i24 v92 /*v348*/, v68 /*v324*/, v145, v92 /*v348*/
	v_mul_i32_i24_e32 v72 /*v328*/, v72 /*v328*/, v209
	v_mad_i32_i24 v68 /*v324*/, v68 /*v324*/, v206, v70 /*v326*/
	s_set_vgpr_msb 0x55                     ;  msbs: dst=1 src0=1 src1=1 src2=1
	v_add3_u32 v90 /*v346*/, v90 /*v346*/, v93 /*v349*/, v95 /*v351*/
	s_set_vgpr_msb 0x41                     ;  msbs: dst=1 src0=1 src1=0 src2=0
	v_mul_i32_i24_e32 v93 /*v349*/, v71 /*v327*/, v146
	v_mul_i32_i24_e32 v71 /*v327*/, v71 /*v327*/, v207
	;; [unrolled: 1-line block ×4, first 2 shown]
	s_set_vgpr_msb 0x55                     ;  msbs: dst=1 src0=1 src1=1 src2=1
	v_add3_u32 v90 /*v346*/, v90 /*v346*/, v100 /*v356*/, v97 /*v353*/
	s_set_vgpr_msb 0x41                     ;  msbs: dst=1 src0=1 src1=0 src2=0
	v_mul_i32_i24_e32 v95 /*v351*/, v73 /*v329*/, v149
	s_set_vgpr_msb 0x55                     ;  msbs: dst=1 src0=1 src1=1 src2=1
	v_add3_u32 v68 /*v324*/, v68 /*v324*/, v71 /*v327*/, v72 /*v328*/
	s_set_vgpr_msb 0x41                     ;  msbs: dst=1 src0=1 src1=0 src2=0
	v_mul_i32_i24_e32 v97 /*v353*/, v75 /*v331*/, v151
	v_mul_i32_i24_e32 v73 /*v329*/, v73 /*v329*/, v210
	s_set_vgpr_msb 0x55                     ;  msbs: dst=1 src0=1 src1=1 src2=1
	v_add3_u32 v90 /*v346*/, v90 /*v346*/, v98 /*v354*/, v99 /*v355*/
	s_set_vgpr_msb 0x41                     ;  msbs: dst=1 src0=1 src1=0 src2=0
	v_mul_i32_i24_e32 v98 /*v354*/, v64 /*v320*/, v152
	v_mul_i32_i24_e32 v64 /*v320*/, v64 /*v320*/, v213
	;; [unrolled: 1-line block ×4, first 2 shown]
	s_set_vgpr_msb 0x55                     ;  msbs: dst=1 src0=1 src1=1 src2=1
	v_add3_u32 v90 /*v346*/, v90 /*v346*/, v104 /*v360*/, v102 /*v358*/
	s_set_vgpr_msb 0x41                     ;  msbs: dst=1 src0=1 src1=0 src2=0
	v_mul_i32_i24_e32 v102 /*v358*/, v66 /*v322*/, v155
	s_set_vgpr_msb 0x55                     ;  msbs: dst=1 src0=1 src1=1 src2=1
	v_add3_u32 v64 /*v320*/, v68 /*v324*/, v64 /*v320*/, v74 /*v330*/
	s_set_vgpr_msb 0x41                     ;  msbs: dst=1 src0=1 src1=0 src2=0
	v_mul_i32_i24_e32 v76 /*v332*/, v76 /*v332*/, v214
	v_mul_i32_i24_e32 v66 /*v322*/, v66 /*v322*/, v216
	s_set_vgpr_msb 0x55                     ;  msbs: dst=1 src0=1 src1=1 src2=1
	v_add3_u32 v90 /*v346*/, v90 /*v346*/, v101 /*v357*/, v103 /*v359*/
	s_set_vgpr_msb 0x41                     ;  msbs: dst=1 src0=1 src1=0 src2=0
	v_mul_i32_i24_e32 v100 /*v356*/, v77 /*v333*/, v154
	s_set_vgpr_msb 0x55                     ;  msbs: dst=1 src0=1 src1=1 src2=1
	v_add3_u32 v64 /*v320*/, v64 /*v320*/, v73 /*v329*/, v75 /*v331*/
	s_set_vgpr_msb 0x41                     ;  msbs: dst=1 src0=1 src1=0 src2=0
	v_mul_i32_i24_e32 v101 /*v357*/, v78 /*v334*/, v189
	v_mul_i32_i24_e32 v77 /*v333*/, v77 /*v333*/, v215
	;; [unrolled: 9-line block ×3, first 2 shown]
	s_set_vgpr_msb 0x55                     ;  msbs: dst=1 src0=1 src1=1 src2=1
	v_add3_u32 v90 /*v346*/, v90 /*v346*/, v106 /*v362*/, v107 /*v363*/
	s_set_vgpr_msb 0x41                     ;  msbs: dst=1 src0=1 src1=0 src2=0
	v_mul_i32_i24_e32 v106 /*v362*/, v65 /*v321*/, v195
	v_mul_i32_i24_e32 v65 /*v321*/, v65 /*v321*/, v220
	s_set_vgpr_msb 0x55                     ;  msbs: dst=1 src0=1 src1=1 src2=1
	v_add3_u32 v64 /*v320*/, v64 /*v320*/, v77 /*v333*/, v78 /*v334*/
	s_set_vgpr_msb 0x41                     ;  msbs: dst=1 src0=1 src1=0 src2=0
	v_mul_i32_i24_e32 v103 /*v359*/, v79 /*v335*/, v194
	v_mul_i32_i24_e32 v105 /*v361*/, v81 /*v337*/, v196
	v_mul_i32_i24_e32 v79 /*v335*/, v79 /*v335*/, v219
	v_mul_i32_i24_e32 v81 /*v337*/, v81 /*v337*/, v221
	s_set_vgpr_msb 0x55                     ;  msbs: dst=1 src0=1 src1=1 src2=1
	v_add3_u32 v64 /*v320*/, v64 /*v320*/, v65 /*v321*/, v80 /*v336*/
	v_add3_u32 v90 /*v346*/, v90 /*v346*/, v112 /*v368*/, v110 /*v366*/
	s_set_vgpr_msb 0x41                     ;  msbs: dst=1 src0=1 src1=0 src2=0
	v_mul_i32_i24_e32 v107 /*v363*/, v82 /*v338*/, v197
	v_mul_i32_i24_e32 v110 /*v366*/, v67 /*v323*/, v199
	v_mul_i32_i24_e32 v82 /*v338*/, v82 /*v338*/, v222
	v_mul_i32_i24_e32 v67 /*v323*/, v67 /*v323*/, v224
	s_set_vgpr_msb 0x55                     ;  msbs: dst=1 src0=1 src1=1 src2=1
	v_add3_u32 v64 /*v320*/, v64 /*v320*/, v79 /*v335*/, v81 /*v337*/
	;; [unrolled: 8-line block ×3, first 2 shown]
	s_set_vgpr_msb 0x41                     ;  msbs: dst=1 src0=1 src1=0 src2=0
	v_mul_i32_i24_e32 v112 /*v368*/, v86 /*v342*/, v201
	v_mul_i32_i24_e32 v86 /*v342*/, v86 /*v342*/, v226
	;; [unrolled: 1-line block ×3, first 2 shown]
	s_set_vgpr_msb 0x55                     ;  msbs: dst=1 src0=1 src1=1 src2=1
	v_add3_u32 v92 /*v348*/, v92 /*v348*/, v93 /*v349*/, v94 /*v350*/
	v_add3_u32 v64 /*v320*/, v64 /*v320*/, v83 /*v339*/, v84 /*v340*/
	s_set_vgpr_msb 0x41                     ;  msbs: dst=1 src0=1 src1=0 src2=0
	v_mul_i32_i24_e32 v85 /*v341*/, v85 /*v341*/, v227
	v_mul_i32_i24_e32 v94 /*v350*/, v88 /*v344*/, v243
	v_add_nc_u32_e32 v66 /*v322*/, 0x1c14, v97
	s_set_vgpr_msb 0x55                     ;  msbs: dst=1 src0=1 src1=1 src2=1
	v_add3_u32 v92 /*v348*/, v92 /*v348*/, v98 /*v354*/, v96 /*v352*/
	v_add3_u32 v64 /*v320*/, v64 /*v320*/, v69 /*v325*/, v86 /*v342*/
	s_set_vgpr_msb 0x41                     ;  msbs: dst=1 src0=1 src1=0 src2=0
	v_mul_i32_i24_e32 v96 /*v352*/, v63 /*v319*/, v245
	v_add_nc_u32_e32 v70 /*v326*/, 0x1c00, v97
	ds_load_2addr_b32 v[66:67] /*v[322:323]*/, v66 /*v322*/ offset1:1
	s_set_vgpr_msb 0x55                     ;  msbs: dst=1 src0=1 src1=1 src2=1
	v_add3_u32 v92 /*v348*/, v92 /*v348*/, v95 /*v351*/, v97 /*v353*/
	v_add3_u32 v64 /*v320*/, v64 /*v320*/, v85 /*v341*/, v87 /*v343*/
	s_set_vgpr_msb 64                       ;  msbs: dst=1 src0=0 src1=0 src2=0
	v_pk_mul_f16 v93 /*v349*/, v144, v90
	s_set_vgpr_msb 0x41                     ;  msbs: dst=1 src0=1 src1=0 src2=0
	v_mul_i32_i24_e32 v95 /*v351*/, v89 /*v345*/, v244
	s_set_vgpr_msb 0                        ;  msbs: dst=0 src0=0 src1=0 src2=0
	v_pk_mul_f16 v90, v205, v90
	s_set_vgpr_msb 0x55                     ;  msbs: dst=1 src0=1 src1=1 src2=1
	v_add3_u32 v92 /*v348*/, v92 /*v348*/, v102 /*v358*/, v99 /*v355*/
	v_add3_u32 v72 /*v328*/, v64 /*v320*/, v96 /*v352*/, v94 /*v350*/
	s_set_vgpr_msb 64                       ;  msbs: dst=1 src0=0 src1=0 src2=0
	v_add_nc_u32_e32 v64 /*v320*/, 0x1c04, v97
	s_set_vgpr_msb 0                        ;  msbs: dst=0 src0=0 src1=0 src2=0
	v_add_nc_u32_e32 v97, 32, v97
	s_set_vgpr_msb 0x55                     ;  msbs: dst=1 src0=1 src1=1 src2=1
	v_add3_u32 v92 /*v348*/, v92 /*v348*/, v100 /*v356*/, v101 /*v357*/
	ds_load_2addr_b32 v[64:65] /*v[320:321]*/, v64 /*v320*/ offset1:1
	ds_load_2addr_b32 v[68:69] /*v[324:325]*/, v70 /*v326*/ offset1:3
	ds_load_2addr_b32 v[70:71] /*v[326:327]*/, v70 /*v326*/ offset0:4 offset1:7
	v_add3_u32 v92 /*v348*/, v92 /*v348*/, v106 /*v362*/, v104 /*v360*/
	s_wait_dscnt 0x3
	v_bfe_i32 v79 /*v335*/, v66 /*v322*/, 0, 8
	v_bfe_i32 v80 /*v336*/, v66 /*v322*/, 8, 8
	;; [unrolled: 1-line block ×3, first 2 shown]
	v_ashrrev_i32_e32 v66 /*v322*/, 24, v66 /*v322*/
	v_bfe_i32 v85 /*v341*/, v67 /*v323*/, 0, 8
	v_mul_i32_i24_e32 v20 /*v276*/, v79 /*v335*/, v20 /*v276*/
	v_mul_i32_i24_e32 v18 /*v274*/, v80 /*v336*/, v18 /*v274*/
	;; [unrolled: 1-line block ×3, first 2 shown]
	s_set_vgpr_msb 1                        ;  msbs: dst=0 src0=1 src1=0 src2=0
	v_mul_i32_i24_e32 v109, v66 /*v322*/, v109
	s_set_vgpr_msb 0x41                     ;  msbs: dst=1 src0=1 src1=0 src2=0
	v_bfe_i32 v86 /*v342*/, v67 /*v323*/, 8, 8
	v_bfe_i32 v87 /*v343*/, v67 /*v323*/, 16, 8
	s_set_vgpr_msb 0x45                     ;  msbs: dst=1 src0=1 src1=1 src2=0
	v_ashrrev_i32_e32 v67 /*v323*/, 24, v67 /*v323*/
	v_mul_i32_i24_e32 v30 /*v286*/, v85 /*v341*/, v30 /*v286*/
	s_wait_dscnt 0x2
	v_bfe_i32 v76 /*v332*/, v64 /*v320*/, 0, 8
	s_wait_dscnt 0x0
	v_bfe_i32 v74 /*v330*/, v70 /*v326*/, 8, 8
	v_bfe_i32 v73 /*v329*/, v70 /*v326*/, 0, 8
	v_bfe_i32 v75 /*v331*/, v70 /*v326*/, 16, 8
	v_ashrrev_i32_e32 v70 /*v326*/, 24, v70 /*v326*/
	v_bfe_i32 v77 /*v333*/, v64 /*v320*/, 8, 8
	v_mul_i32_i24_e32 v13 /*v269*/, v13 /*v269*/, v74 /*v330*/
	v_bfe_i32 v78 /*v334*/, v64 /*v320*/, 16, 8
	v_ashrrev_i32_e32 v64 /*v320*/, 24, v64 /*v320*/
	v_mul_i32_i24_e32 v14 /*v270*/, v14 /*v270*/, v75 /*v331*/
	s_set_vgpr_msb 4                        ;  msbs: dst=0 src0=0 src1=1 src2=0
	v_mul_i32_i24_e32 v111, v111, v70 /*v326*/
	s_set_vgpr_msb 0x55                     ;  msbs: dst=1 src0=1 src1=1 src2=1
	v_mad_i32_i24 v12 /*v268*/, v12 /*v268*/, v73 /*v329*/, v13 /*v269*/
	v_mul_i32_i24_e32 v15 /*v271*/, v77 /*v333*/, v15 /*v271*/
	s_set_vgpr_msb 1                        ;  msbs: dst=0 src0=1 src1=0 src2=0
	v_mul_i32_i24_e32 v113, v64 /*v320*/, v113
	s_set_vgpr_msb 0x45                     ;  msbs: dst=1 src0=1 src1=1 src2=0
	v_mul_i32_i24_e32 v17 /*v273*/, v76 /*v332*/, v17 /*v273*/
	v_mul_i32_i24_e32 v16 /*v272*/, v78 /*v334*/, v16 /*v272*/
	s_set_vgpr_msb 5                        ;  msbs: dst=0 src0=1 src1=1 src2=0
	v_add3_u32 v111, v12 /*v268*/, v14 /*v270*/, v111
	s_set_vgpr_msb 0x41                     ;  msbs: dst=1 src0=1 src1=0 src2=0
	v_bfe_i32 v82 /*v338*/, v65 /*v321*/, 0, 8
	v_bfe_i32 v83 /*v339*/, v65 /*v321*/, 8, 8
	;; [unrolled: 1-line block ×3, first 2 shown]
	s_set_vgpr_msb 0x44                     ;  msbs: dst=1 src0=0 src1=1 src2=0
	v_ashrrev_i32_e32 v65 /*v321*/, 24, v65 /*v321*/
	s_set_vgpr_msb 16                       ;  msbs: dst=0 src0=0 src1=0 src2=1
	v_add3_u32 v111, v111, v113, v15 /*v271*/
	s_set_vgpr_msb 0x45                     ;  msbs: dst=1 src0=1 src1=1 src2=0
	v_mul_i32_i24_e32 v23 /*v279*/, v82 /*v338*/, v23 /*v279*/
	v_mul_i32_i24_e32 v21 /*v277*/, v83 /*v339*/, v21 /*v277*/
	;; [unrolled: 1-line block ×3, first 2 shown]
	s_set_vgpr_msb 1                        ;  msbs: dst=0 src0=1 src1=0 src2=0
	v_mul_i32_i24_e32 v114, v65 /*v321*/, v114
	s_set_vgpr_msb 20                       ;  msbs: dst=0 src0=0 src1=1 src2=1
	v_add3_u32 v111, v111, v17 /*v273*/, v16 /*v272*/
	s_set_vgpr_msb 1                        ;  msbs: dst=0 src0=1 src1=0 src2=0
	v_mul_i32_i24_e32 v110, v67 /*v323*/, v110
	s_set_vgpr_msb 0x41                     ;  msbs: dst=1 src0=1 src1=0 src2=0
	v_bfe_i32 v94 /*v350*/, v69 /*v325*/, 0, 8
	v_bfe_i32 v96 /*v352*/, v69 /*v325*/, 8, 8
	;; [unrolled: 1-line block ×3, first 2 shown]
	s_set_vgpr_msb 16                       ;  msbs: dst=0 src0=0 src1=0 src2=1
	v_add3_u32 v109, v111, v109, v20 /*v276*/
	s_set_vgpr_msb 0x45                     ;  msbs: dst=1 src0=1 src1=1 src2=0
	v_ashrrev_i32_e32 v69 /*v325*/, 24, v69 /*v325*/
	v_mul_i32_i24_e32 v25 /*v281*/, v86 /*v342*/, v25 /*v281*/
	v_mul_i32_i24_e32 v26 /*v282*/, v87 /*v343*/, v26 /*v282*/
	v_bfe_i32 v98 /*v354*/, v71 /*v327*/, 0, 8
	s_set_vgpr_msb 20                       ;  msbs: dst=0 src0=0 src1=1 src2=1
	v_add3_u32 v109, v109, v18 /*v274*/, v19 /*v275*/
	s_set_vgpr_msb 0x41                     ;  msbs: dst=1 src0=1 src1=0 src2=0
	v_bfe_i32 v99 /*v355*/, v71 /*v327*/, 8, 8
	v_bfe_i32 v100 /*v356*/, v71 /*v327*/, 16, 8
	s_set_vgpr_msb 0x45                     ;  msbs: dst=1 src0=1 src1=1 src2=0
	v_ashrrev_i32_e32 v71 /*v327*/, 24, v71 /*v327*/
	v_mul_i32_i24_e32 v31 /*v287*/, v96 /*v352*/, v31 /*v287*/
	s_set_vgpr_msb 16                       ;  msbs: dst=0 src0=0 src1=0 src2=1
	v_add3_u32 v109, v109, v114, v21 /*v277*/
	s_set_vgpr_msb 1                        ;  msbs: dst=0 src0=1 src1=0 src2=0
	v_mul_i32_i24_e32 v112, v69 /*v325*/, v112
	s_set_vgpr_msb 0x45                     ;  msbs: dst=1 src0=1 src1=1 src2=0
	v_mul_i32_i24_e32 v33 /*v289*/, v94 /*v350*/, v33 /*v289*/
	v_mul_i32_i24_e32 v32 /*v288*/, v97 /*v353*/, v32 /*v288*/
	v_mul_i32_i24_e32 v3 /*v259*/, v98 /*v354*/, v3 /*v259*/
	s_set_vgpr_msb 20                       ;  msbs: dst=0 src0=0 src1=1 src2=1
	v_add3_u32 v109, v109, v23 /*v279*/, v22 /*v278*/
	s_set_vgpr_msb 0x45                     ;  msbs: dst=1 src0=1 src1=1 src2=0
	v_mul_i32_i24_e32 v5 /*v261*/, v71 /*v327*/, v5 /*v261*/
	v_mul_i32_i24_e32 v4 /*v260*/, v99 /*v355*/, v4 /*v260*/
	s_set_vgpr_msb 1                        ;  msbs: dst=0 src0=1 src1=0 src2=0
	v_bfe_i32 v111, v68 /*v324*/, 0, 8
	v_bfe_i32 v113, v68 /*v324*/, 8, 8
	s_set_vgpr_msb 16                       ;  msbs: dst=0 src0=0 src1=0 src2=1
	v_add3_u32 v109, v109, v110, v30 /*v286*/
	v_bfe_u32 v110, v81, 4, 4
	v_lshrrev_b32_e32 v114, 28, v81
	s_set_vgpr_msb 1                        ;  msbs: dst=0 src0=1 src1=0 src2=0
	v_mul_i32_i24_e32 v250, v100 /*v356*/, v250
	s_set_vgpr_msb 0x44                     ;  msbs: dst=1 src0=0 src1=1 src2=0
	v_ashrrev_i32_e32 v12 /*v268*/, 24, v68 /*v324*/
	s_set_vgpr_msb 20                       ;  msbs: dst=0 src0=0 src1=1 src2=1
	v_add3_u32 v109, v109, v25 /*v281*/, v26 /*v282*/
	s_set_vgpr_msb 0                        ;  msbs: dst=0 src0=0 src1=0 src2=0
	v_mul_i32_i24_e32 v107, v107, v110
	v_mul_i32_i24_e32 v104, v104, v114
	s_set_vgpr_msb 0x55                     ;  msbs: dst=1 src0=1 src1=1 src2=1
	v_add3_u32 v92 /*v348*/, v92 /*v348*/, v103 /*v359*/, v105 /*v361*/
	s_set_vgpr_msb 4                        ;  msbs: dst=0 src0=0 src1=1 src2=0
	v_mul_i32_i24_e32 v251, v251, v12 /*v268*/
	s_set_vgpr_msb 16                       ;  msbs: dst=0 src0=0 src1=0 src2=1
	v_add3_u32 v109, v109, v112, v31 /*v287*/
	v_bfe_u32 v112, v81, 12, 4
	s_set_vgpr_msb 0x41                     ;  msbs: dst=1 src0=1 src1=0 src2=0
	v_mul_i32_i24_e32 v117 /*v373*/, v63 /*v319*/, v237
	s_set_vgpr_msb 0x55                     ;  msbs: dst=1 src0=1 src1=1 src2=1
	v_add3_u32 v92 /*v348*/, v92 /*v348*/, v110 /*v366*/, v107 /*v363*/
	s_set_vgpr_msb 20                       ;  msbs: dst=0 src0=0 src1=1 src2=1
	v_add3_u32 v109, v109, v33 /*v289*/, v32 /*v288*/
	s_set_vgpr_msb 0                        ;  msbs: dst=0 src0=0 src1=0 src2=0
	v_mul_i32_i24_e32 v105, v105, v112
	s_set_vgpr_msb 0x55                     ;  msbs: dst=1 src0=1 src1=1 src2=1
	v_add3_u32 v92 /*v348*/, v92 /*v348*/, v108 /*v364*/, v109 /*v365*/
	s_set_vgpr_msb 20                       ;  msbs: dst=0 src0=0 src1=1 src2=1
	v_add3_u32 v109, v109, v5 /*v261*/, v3 /*v259*/
	s_set_vgpr_msb 64                       ;  msbs: dst=1 src0=0 src1=0 src2=0
	v_bfe_u32 v3 /*v259*/, v81, 20, 4
	s_set_vgpr_msb 0x41                     ;  msbs: dst=1 src0=1 src1=0 src2=0
	v_bfe_i32 v5 /*v261*/, v68 /*v324*/, 16, 8
	s_set_vgpr_msb 0                        ;  msbs: dst=0 src0=0 src1=0 src2=0
	v_mul_i32_i24_e32 v81, v253, v111
	s_set_vgpr_msb 1                        ;  msbs: dst=0 src0=1 src1=0 src2=0
	v_mul_i32_i24_e32 v253, v1 /*v257*/, v113
	s_set_vgpr_msb 4                        ;  msbs: dst=0 src0=0 src1=1 src2=0
	v_add3_u32 v109, v109, v4 /*v260*/, v250
	v_mul_i32_i24_e32 v106, v106, v3 /*v259*/
	s_set_vgpr_msb 0                        ;  msbs: dst=0 src0=0 src1=0 src2=0
	v_add3_u32 v103, v103, v107, v105
	s_set_vgpr_msb 0x45                     ;  msbs: dst=1 src0=1 src1=1 src2=0
	v_mul_i32_i24_e32 v1 /*v257*/, v2 /*v258*/, v5 /*v261*/
	s_set_vgpr_msb 0                        ;  msbs: dst=0 src0=0 src1=0 src2=0
	v_cvt_f32_f16_e32 v105, v108
	v_add3_u32 v81, v109, v81, v253
	s_set_vgpr_msb 0x55                     ;  msbs: dst=1 src0=1 src1=1 src2=1
	v_add3_u32 v92 /*v348*/, v92 /*v348*/, v114 /*v370*/, v112 /*v368*/
	s_set_vgpr_msb 0                        ;  msbs: dst=0 src0=0 src1=0 src2=0
	v_add3_u32 v103, v103, v106, v104
	v_lshrrev_b32_e32 v106, 16, v108
	v_cvt_f32_f16_e64 v104, v191
	s_set_vgpr_msb 4                        ;  msbs: dst=0 src0=0 src1=1 src2=0
	v_add3_u32 v81, v81, v1 /*v257*/, v251
	s_set_vgpr_msb 0x55                     ;  msbs: dst=1 src0=1 src1=1 src2=1
	v_add3_u32 v92 /*v348*/, v92 /*v348*/, v111 /*v367*/, v113 /*v369*/
	s_set_vgpr_msb 0                        ;  msbs: dst=0 src0=0 src1=0 src2=0
	v_cvt_f32_i32_e32 v108, v103
	v_cvt_f32_f16_e32 v107, v106
	v_lshrrev_b32_e32 v106, 16, v191
	v_cvt_f32_i32_e32 v109, v81
	v_mul_i32_i24_e32 v81, v246, v110
	v_mul_i32_i24_e32 v103, v247, v112
	v_cvt_f32_f16_e32 v89, v89
	v_cvt_f32_f16_e32 v106, v106
	s_set_vgpr_msb 0x55                     ;  msbs: dst=1 src0=1 src1=1 src2=1
	v_add3_u32 v92 /*v348*/, v92 /*v348*/, v117 /*v373*/, v115 /*v371*/
	s_set_vgpr_msb 0                        ;  msbs: dst=0 src0=0 src1=0 src2=0
	s_delay_alu instid0(VALU_DEP_2)
	v_pk_fma_f32 v[104:105], v[104:105], v[108:109], v[106:107]
	v_mul_i32_i24_e32 v107, v249, v114
	s_set_vgpr_msb 4                        ;  msbs: dst=0 src0=0 src1=1 src2=0
	v_mul_i32_i24_e32 v106, v248, v3 /*v259*/
	s_set_vgpr_msb 1                        ;  msbs: dst=0 src0=1 src1=0 src2=0
	v_mul_i32_i24_e32 v109, v38 /*v294*/, v114
	s_set_vgpr_msb 5                        ;  msbs: dst=0 src0=1 src1=1 src2=0
	v_mul_i32_i24_e32 v108, v37 /*v293*/, v3 /*v259*/
	s_set_vgpr_msb 0                        ;  msbs: dst=0 src0=0 src1=0 src2=0
	v_pk_add_f32 v[6:7], v[6:7], v[104:105]
	s_set_vgpr_msb 1                        ;  msbs: dst=0 src0=1 src1=0 src2=0
	v_add3_u32 v81, v7 /*v263*/, v107, v81
	v_mul_i32_i24_e32 v107, v36 /*v292*/, v112
	v_mul_i32_i24_e32 v105, v83 /*v339*/, v132
	;; [unrolled: 1-line block ×3, first 2 shown]
	s_set_vgpr_msb 0                        ;  msbs: dst=0 src0=0 src1=0 src2=0
	v_add3_u32 v81, v81, v103, v106
	s_set_vgpr_msb 1                        ;  msbs: dst=0 src0=1 src1=0 src2=0
	v_mul_i32_i24_e32 v106, v11 /*v267*/, v114
	s_set_vgpr_msb 5                        ;  msbs: dst=0 src0=1 src1=1 src2=0
	v_mul_i32_i24_e32 v103, v10 /*v266*/, v3 /*v259*/
	s_set_vgpr_msb 0                        ;  msbs: dst=0 src0=0 src1=0 src2=0
	v_add3_u32 v81, v81, v252, v254
	s_set_vgpr_msb 16                       ;  msbs: dst=0 src0=0 src1=0 src2=1
	s_delay_alu instid0(VALU_DEP_1) | instskip(NEXT) | instid1(VALU_DEP_1)
	v_add3_u32 v81, v81, v255, v0 /*v256*/
	v_cvt_f32_i32_e32 v81, v81
	s_set_vgpr_msb 17                       ;  msbs: dst=0 src0=1 src1=0 src2=1
	s_delay_alu instid0(VALU_DEP_1) | instskip(SKIP_1) | instid1(VALU_DEP_1)
	v_fma_mix_f32 v81, v6 /*v262*/, v81, v6 /*v262*/ op_sel:[0,0,1] op_sel_hi:[1,0,1]
	s_set_vgpr_msb 0                        ;  msbs: dst=0 src0=0 src1=0 src2=0
	v_pk_add_f32 v[8:9], v[8:9], v[80:81]
	s_set_vgpr_msb 1                        ;  msbs: dst=0 src0=1 src1=0 src2=0
	v_mul_i32_i24_e32 v80, v8 /*v264*/, v110
	v_mul_i32_i24_e32 v81, v9 /*v265*/, v112
	s_delay_alu instid0(VALU_DEP_2) | instskip(SKIP_2) | instid1(VALU_DEP_2)
	v_add3_u32 v80, v34 /*v290*/, v106, v80
	v_mul_i32_i24_e32 v106, v35 /*v291*/, v110
	s_set_vgpr_msb 0                        ;  msbs: dst=0 src0=0 src1=0 src2=0
	v_add3_u32 v80, v80, v81, v103
	s_set_vgpr_msb 1                        ;  msbs: dst=0 src0=1 src1=0 src2=0
	s_delay_alu instid0(VALU_DEP_2)
	v_add3_u32 v106, v43 /*v299*/, v109, v106
	v_mul_i32_i24_e32 v103, v56 /*v312*/, v114
	v_mul_i32_i24_e32 v109, v86 /*v342*/, v137
	s_set_vgpr_msb 20                       ;  msbs: dst=0 src0=0 src1=1 src2=1
	v_add3_u32 v80, v80, v24 /*v280*/, v27 /*v283*/
	s_set_vgpr_msb 0                        ;  msbs: dst=0 src0=0 src1=0 src2=0
	v_add3_u32 v81, v106, v107, v108
	s_set_vgpr_msb 1                        ;  msbs: dst=0 src0=1 src1=0 src2=0
	v_mul_i32_i24_e32 v107, v65 /*v321*/, v134
	v_mul_i32_i24_e32 v106, v84 /*v340*/, v135
	;; [unrolled: 1-line block ×3, first 2 shown]
	s_set_vgpr_msb 20                       ;  msbs: dst=0 src0=0 src1=1 src2=1
	v_add3_u32 v80, v80, v28 /*v284*/, v29 /*v285*/
	v_add3_u32 v81, v81, v40 /*v296*/, v42 /*v298*/
	s_delay_alu instid0(VALU_DEP_2) | instskip(NEXT) | instid1(VALU_DEP_2)
	v_cvt_f32_i32_e32 v80, v80
	v_add3_u32 v81, v81, v39 /*v295*/, v41 /*v297*/
	s_delay_alu instid0(VALU_DEP_1) | instskip(SKIP_1) | instid1(VALU_DEP_1)
	v_cvt_f32_i32_e32 v81, v81
	s_set_vgpr_msb 0                        ;  msbs: dst=0 src0=0 src1=0 src2=0
	v_pk_fma_f32 v[80:81], v[82:83], v[80:81], v[84:85]
	s_set_vgpr_msb 1                        ;  msbs: dst=0 src0=1 src1=0 src2=0
	v_mul_i32_i24_e32 v83, v47 /*v303*/, v114
	s_set_vgpr_msb 5                        ;  msbs: dst=0 src0=1 src1=1 src2=0
	v_mul_i32_i24_e32 v82, v46 /*v302*/, v3 /*v259*/
	s_set_vgpr_msb 1                        ;  msbs: dst=0 src0=1 src1=0 src2=0
	v_mul_i32_i24_e32 v84, v54 /*v310*/, v112
	s_set_vgpr_msb 5                        ;  msbs: dst=0 src0=1 src1=1 src2=0
	v_mul_i32_i24_e32 v85, v55 /*v311*/, v3 /*v259*/
	s_set_vgpr_msb 0                        ;  msbs: dst=0 src0=0 src1=0 src2=0
	v_pk_add_f32 v[28:29], v[28:29], v[80:81]
	s_set_vgpr_msb 1                        ;  msbs: dst=0 src0=1 src1=0 src2=0
	v_mul_i32_i24_e32 v80, v44 /*v300*/, v110
	v_mul_i32_i24_e32 v81, v45 /*v301*/, v112
	s_delay_alu instid0(VALU_DEP_2) | instskip(SKIP_2) | instid1(VALU_DEP_2)
	v_add3_u32 v80, v52 /*v308*/, v83, v80
	v_mul_i32_i24_e32 v83, v53 /*v309*/, v110
	s_set_vgpr_msb 0                        ;  msbs: dst=0 src0=0 src1=0 src2=0
	v_add3_u32 v80, v80, v81, v82
	s_set_vgpr_msb 1                        ;  msbs: dst=0 src0=1 src1=0 src2=0
	s_delay_alu instid0(VALU_DEP_2)
	v_add3_u32 v83, v59 /*v315*/, v103, v83
	v_mul_i32_i24_e32 v82, v63 /*v319*/, v114
	v_mul_i32_i24_e32 v103, v66 /*v322*/, v130
	v_mul_i32_i24_e32 v114, v71 /*v327*/, v114
	s_set_vgpr_msb 20                       ;  msbs: dst=0 src0=0 src1=1 src2=1
	v_add3_u32 v80, v80, v48 /*v304*/, v49 /*v305*/
	s_set_vgpr_msb 0                        ;  msbs: dst=0 src0=0 src1=0 src2=0
	v_add3_u32 v81, v83, v84, v85
	s_set_vgpr_msb 1                        ;  msbs: dst=0 src0=1 src1=0 src2=0
	v_mul_i32_i24_e32 v83, v75 /*v331*/, v121
	v_mul_i32_i24_e32 v84, v70 /*v326*/, v123
	;; [unrolled: 1-line block ×3, first 2 shown]
	s_set_vgpr_msb 20                       ;  msbs: dst=0 src0=0 src1=1 src2=1
	v_add3_u32 v80, v80, v50 /*v306*/, v51 /*v307*/
	s_set_vgpr_msb 16                       ;  msbs: dst=0 src0=0 src1=0 src2=1
	v_add3_u32 v81, v81, v95, v58 /*v314*/
	s_set_vgpr_msb 1                        ;  msbs: dst=0 src0=1 src1=0 src2=0
	v_mul_i32_i24_e32 v95, v81 /*v337*/, v131
	v_mul_i32_i24_e32 v121, v87 /*v343*/, v139
	;; [unrolled: 1-line block ×3, first 2 shown]
	s_set_vgpr_msb 16                       ;  msbs: dst=0 src0=0 src1=0 src2=1
	v_cvt_f32_i32_e32 v80, v80
	v_add3_u32 v81, v81, v94, v57 /*v313*/
	s_set_vgpr_msb 1                        ;  msbs: dst=0 src0=1 src1=0 src2=0
	v_mul_i32_i24_e32 v94, v80 /*v336*/, v129
	v_mul_i32_i24_e32 v123, v94 /*v350*/, v141
	s_set_vgpr_msb 0                        ;  msbs: dst=0 src0=0 src1=0 src2=0
	v_cvt_f32_i32_e32 v81, v81
	s_delay_alu instid0(VALU_DEP_1)
	v_pk_fma_f32 v[80:81], v[86:87], v[80:81], v[88:89]
	s_set_vgpr_msb 1                        ;  msbs: dst=0 src0=1 src1=0 src2=0
	v_mul_i32_i24_e32 v86, v77 /*v333*/, v125
	v_mul_i32_i24_e32 v88, v64 /*v320*/, v127
	;; [unrolled: 1-line block ×4, first 2 shown]
	s_set_vgpr_msb 0                        ;  msbs: dst=0 src0=0 src1=0 src2=0
	v_pk_add_f32 v[14:15], v[14:15], v[80:81]
	s_set_vgpr_msb 1                        ;  msbs: dst=0 src0=1 src1=0 src2=0
	v_mul_i32_i24_e32 v80, v88 /*v344*/, v110
	v_mul_i32_i24_e32 v126, v69 /*v325*/, v143
	;; [unrolled: 1-line block ×5, first 2 shown]
	v_add3_u32 v80, v90 /*v346*/, v82, v80
	v_mul_i32_i24_e32 v82, v74 /*v330*/, v122
	v_mul_i32_i24_e32 v122, v67 /*v323*/, v138
	;; [unrolled: 1-line block ×3, first 2 shown]
	s_delay_alu instid0(VALU_DEP_3) | instskip(SKIP_1) | instid1(VALU_DEP_1)
	v_mad_i32_i24 v82, v73 /*v329*/, v120, v82
	s_set_vgpr_msb 0                        ;  msbs: dst=0 src0=0 src1=0 src2=0
	v_add3_u32 v82, v82, v83, v84
	v_pk_mul_f16 v83, v115, v91
	s_set_vgpr_msb 1                        ;  msbs: dst=0 src0=1 src1=0 src2=0
	v_mul_i32_i24_e32 v84, v61 /*v317*/, v118
	v_mul_i32_i24_e32 v115, v69 /*v325*/, v204
	s_set_vgpr_msb 0                        ;  msbs: dst=0 src0=0 src1=0 src2=0
	v_add3_u32 v82, v82, v88, v86
	s_set_vgpr_msb 1                        ;  msbs: dst=0 src0=1 src1=0 src2=0
	v_mul_i32_i24_e32 v86, v60 /*v316*/, v119
	v_mul_i32_i24_e32 v88, v5 /*v261*/, v116
	s_set_vgpr_msb 0                        ;  msbs: dst=0 src0=0 src1=0 src2=0
	v_add3_u32 v82, v82, v85, v87
	v_mul_i32_i24_e32 v85, v111, v118
	v_mul_i32_i24_e32 v87, v113, v119
	s_set_vgpr_msb 1                        ;  msbs: dst=0 src0=1 src1=0 src2=0
	v_mul_i32_i24_e32 v118, v71 /*v327*/, v237
	s_set_vgpr_msb 0                        ;  msbs: dst=0 src0=0 src1=0 src2=0
	v_add3_u32 v82, v82, v103, v89
	s_set_vgpr_msb 5                        ;  msbs: dst=0 src0=1 src1=1 src2=0
	v_mul_i32_i24_e32 v103, v100 /*v356*/, v3 /*v259*/
	s_set_vgpr_msb 0                        ;  msbs: dst=0 src0=0 src1=0 src2=0
	v_mul_i32_i24_e32 v89, v93, v116
	s_set_vgpr_msb 1                        ;  msbs: dst=0 src0=1 src1=0 src2=0
	v_mul_i32_i24_e32 v116, v98 /*v354*/, v235
	s_set_vgpr_msb 0                        ;  msbs: dst=0 src0=0 src1=0 src2=0
	v_add3_u32 v82, v82, v94, v95
	s_set_vgpr_msb 1                        ;  msbs: dst=0 src0=1 src1=0 src2=0
	v_mul_i32_i24_e32 v94, v12 /*v268*/, v117
	s_set_vgpr_msb 0                        ;  msbs: dst=0 src0=0 src1=0 src2=0
	s_delay_alu instid0(VALU_DEP_2)
	v_add3_u32 v82, v82, v107, v105
	s_set_vgpr_msb 1                        ;  msbs: dst=0 src0=1 src1=0 src2=0
	v_mul_i32_i24_e32 v105, v65 /*v321*/, v195
	v_mul_i32_i24_e32 v107, v86 /*v342*/, v198
	s_set_vgpr_msb 0                        ;  msbs: dst=0 src0=0 src1=0 src2=0
	v_add3_u32 v82, v82, v104, v106
	s_set_vgpr_msb 5                        ;  msbs: dst=0 src0=1 src1=1 src2=0
	v_mul_i32_i24_e32 v104, v62 /*v318*/, v3 /*v259*/
	s_set_vgpr_msb 1                        ;  msbs: dst=0 src0=1 src1=0 src2=0
	v_mul_i32_i24_e32 v106, v85 /*v341*/, v197
	s_set_vgpr_msb 0                        ;  msbs: dst=0 src0=0 src1=0 src2=0
	v_add3_u32 v82, v82, v122, v108
	v_add3_u32 v80, v80, v81, v104
	s_set_vgpr_msb 1                        ;  msbs: dst=0 src0=1 src1=0 src2=0
	v_mul_i32_i24_e32 v104, v84 /*v340*/, v196
	v_mul_i32_i24_e32 v108, v87 /*v343*/, v200
	s_set_vgpr_msb 0                        ;  msbs: dst=0 src0=0 src1=0 src2=0
	v_add3_u32 v82, v82, v109, v121
	v_add3_u32 v80, v80, v84, v86
	s_set_vgpr_msb 1                        ;  msbs: dst=0 src0=1 src1=0 src2=0
	v_mul_i32_i24_e32 v86, v64 /*v320*/, v152
	v_mul_i32_i24_e32 v109, v67 /*v323*/, v199
	s_set_vgpr_msb 0                        ;  msbs: dst=0 src0=0 src1=0 src2=0
	v_add3_u32 v82, v82, v126, v124
	s_delay_alu instid0(VALU_DEP_1) | instskip(NEXT) | instid1(VALU_DEP_1)
	v_add3_u32 v82, v82, v123, v125
	v_add3_u32 v82, v82, v114, v110
	s_set_vgpr_msb 1                        ;  msbs: dst=0 src0=1 src1=0 src2=0
	v_mul_i32_i24_e32 v110, v94 /*v350*/, v202
	v_mul_i32_i24_e32 v114, v97 /*v353*/, v203
	s_set_vgpr_msb 0                        ;  msbs: dst=0 src0=0 src1=0 src2=0
	v_add3_u32 v81, v82, v112, v103
	v_lshrrev_b32_e32 v82, 16, v83
	s_set_vgpr_msb 1                        ;  msbs: dst=0 src0=1 src1=0 src2=0
	v_mul_i32_i24_e32 v103, v83 /*v339*/, v193
	v_mul_i32_i24_e32 v112, v96 /*v352*/, v201
	s_set_vgpr_msb 0                        ;  msbs: dst=0 src0=0 src1=0 src2=0
	v_add3_u32 v81, v81, v85, v87
	s_set_vgpr_msb 1                        ;  msbs: dst=0 src0=1 src1=0 src2=0
	v_mul_i32_i24_e32 v87, v79 /*v335*/, v153
	s_set_vgpr_msb 0                        ;  msbs: dst=0 src0=0 src1=0 src2=0
	s_delay_alu instid0(VALU_DEP_2)
	v_add3_u32 v85, v81, v88, v94
	v_cvt_f32_f16_e32 v81, v83
	v_cvt_f32_f16_e32 v83, v82
	s_set_vgpr_msb 4                        ;  msbs: dst=0 src0=0 src1=1 src2=0
	v_lshrrev_b32_e32 v82, 16, v91 /*v347*/
	s_set_vgpr_msb 0                        ;  msbs: dst=0 src0=0 src1=0 src2=0
	v_mul_i32_i24_e32 v95, v92, v117
	v_cvt_f32_i32_e32 v85, v85
	s_set_vgpr_msb 1                        ;  msbs: dst=0 src0=1 src1=0 src2=0
	v_mul_i32_i24_e32 v94, v66 /*v322*/, v155
	v_mul_i32_i24_e32 v88, v80 /*v336*/, v154
	s_set_vgpr_msb 0                        ;  msbs: dst=0 src0=0 src1=0 src2=0
	v_cvt_f32_f16_e32 v82, v82
	v_add3_u32 v84, v80, v89, v95
	s_set_vgpr_msb 1                        ;  msbs: dst=0 src0=1 src1=0 src2=0
	v_cvt_f32_f16_e64 v80, v91 /*v347*/
	v_mul_i32_i24_e32 v89, v81 /*v337*/, v189
	v_mul_i32_i24_e32 v95, v82 /*v338*/, v194
	;; [unrolled: 1-line block ×3, first 2 shown]
	s_set_vgpr_msb 0                        ;  msbs: dst=0 src0=0 src1=0 src2=0
	v_cvt_f32_i32_e32 v84, v84
	s_delay_alu instid0(VALU_DEP_1)
	v_pk_fma_f32 v[80:81], v[80:81], v[84:85], v[82:83]
	s_set_vgpr_msb 1                        ;  msbs: dst=0 src0=1 src1=0 src2=0
	v_mul_i32_i24_e32 v82, v70 /*v326*/, v148
	v_mul_i32_i24_e32 v84, v77 /*v333*/, v150
	;; [unrolled: 1-line block ×4, first 2 shown]
	s_set_vgpr_msb 0                        ;  msbs: dst=0 src0=0 src1=0 src2=0
	v_pk_add_f32 v[4:5], v[4:5], v[80:81]
	s_set_vgpr_msb 1                        ;  msbs: dst=0 src0=1 src1=0 src2=0
	v_mul_i32_i24_e32 v80, v74 /*v330*/, v147
	v_mul_i32_i24_e32 v81, v75 /*v331*/, v146
	s_delay_alu instid0(VALU_DEP_2) | instskip(SKIP_1) | instid1(VALU_DEP_1)
	v_mad_i32_i24 v80, v73 /*v329*/, v145, v80
	s_set_vgpr_msb 0                        ;  msbs: dst=0 src0=0 src1=0 src2=0
	v_add3_u32 v80, v80, v81, v82
	s_set_vgpr_msb 1                        ;  msbs: dst=0 src0=1 src1=0 src2=0
	v_mul_i32_i24_e32 v81, v61 /*v317*/, v232
	s_set_vgpr_msb 0                        ;  msbs: dst=0 src0=0 src1=0 src2=0
	v_pk_mul_f16 v82, v144, v91
	v_add3_u32 v80, v80, v86, v84
	s_set_vgpr_msb 1                        ;  msbs: dst=0 src0=1 src1=0 src2=0
	v_mul_i32_i24_e32 v84, v60 /*v316*/, v233
	v_mul_i32_i24_e32 v86, v5 /*v261*/, v234
	s_set_vgpr_msb 0                        ;  msbs: dst=0 src0=0 src1=0 src2=0
	v_add3_u32 v80, v80, v83, v85
	v_mul_i32_i24_e32 v83, v111, v232
	v_mul_i32_i24_e32 v85, v113, v233
	s_delay_alu instid0(VALU_DEP_3)
	v_add3_u32 v80, v80, v94, v87
	s_set_vgpr_msb 1                        ;  msbs: dst=0 src0=1 src1=0 src2=0
	v_mul_i32_i24_e32 v94, v100 /*v356*/, v230
	s_set_vgpr_msb 0                        ;  msbs: dst=0 src0=0 src1=0 src2=0
	v_mul_i32_i24_e32 v87, v93, v234
	v_add3_u32 v80, v80, v88, v89
	v_mul_i32_i24_e32 v89, v92, v231
	s_set_vgpr_msb 1                        ;  msbs: dst=0 src0=1 src1=0 src2=0
	v_mul_i32_i24_e32 v88, v12 /*v268*/, v231
	s_set_vgpr_msb 0                        ;  msbs: dst=0 src0=0 src1=0 src2=0
	v_add3_u32 v80, v80, v105, v103
	s_set_vgpr_msb 1                        ;  msbs: dst=0 src0=1 src1=0 src2=0
	v_mul_i32_i24_e32 v103, v83 /*v339*/, v218
	v_mul_i32_i24_e32 v105, v65 /*v321*/, v220
	s_set_vgpr_msb 0                        ;  msbs: dst=0 src0=0 src1=0 src2=0
	v_add3_u32 v80, v80, v95, v104
	s_set_vgpr_msb 1                        ;  msbs: dst=0 src0=1 src1=0 src2=0
	v_mul_i32_i24_e32 v95, v62 /*v318*/, v230
	v_mul_i32_i24_e32 v104, v84 /*v340*/, v221
	s_set_vgpr_msb 0                        ;  msbs: dst=0 src0=0 src1=0 src2=0
	v_add3_u32 v80, v80, v109, v106
	s_set_vgpr_msb 5                        ;  msbs: dst=0 src0=1 src1=1 src2=0
	v_add3_u32 v95, v92 /*v348*/, v116 /*v372*/, v95
	s_set_vgpr_msb 1                        ;  msbs: dst=0 src0=1 src1=0 src2=0
	v_mul_i32_i24_e32 v106, v85 /*v341*/, v222
	v_mul_i32_i24_e32 v109, v67 /*v323*/, v224
	s_set_vgpr_msb 0                        ;  msbs: dst=0 src0=0 src1=0 src2=0
	v_add3_u32 v80, v80, v107, v108
	v_add3_u32 v81, v95, v81, v84
	s_set_vgpr_msb 1                        ;  msbs: dst=0 src0=1 src1=0 src2=0
	v_mul_i32_i24_e32 v95, v82 /*v338*/, v219
	v_mul_i32_i24_e32 v107, v86 /*v342*/, v223
	;; [unrolled: 1-line block ×3, first 2 shown]
	s_set_vgpr_msb 0                        ;  msbs: dst=0 src0=0 src1=0 src2=0
	v_add3_u32 v80, v80, v115, v112
	v_add3_u32 v84, v81, v87, v89
	v_cvt_f32_f16_e32 v81, v82
	v_lshrrev_b32_e32 v82, 16, v82
	s_set_vgpr_msb 1                        ;  msbs: dst=0 src0=1 src1=0 src2=0
	v_mul_i32_i24_e32 v87, v79 /*v335*/, v214
	s_set_vgpr_msb 0                        ;  msbs: dst=0 src0=0 src1=0 src2=0
	v_add3_u32 v80, v80, v110, v114
	v_cvt_f32_i32_e32 v84, v84
	s_set_vgpr_msb 1                        ;  msbs: dst=0 src0=1 src1=0 src2=0
	v_mul_i32_i24_e32 v89, v81 /*v337*/, v217
	v_mul_i32_i24_e32 v112, v96 /*v352*/, v226
	;; [unrolled: 1-line block ×3, first 2 shown]
	s_set_vgpr_msb 0                        ;  msbs: dst=0 src0=0 src1=0 src2=0
	v_add3_u32 v80, v80, v118, v116
	s_set_vgpr_msb 1                        ;  msbs: dst=0 src0=1 src1=0 src2=0
	v_mul_i32_i24_e32 v110, v94 /*v350*/, v227
	v_mul_i32_i24_e32 v114, v97 /*v353*/, v228
	;; [unrolled: 1-line block ×4, first 2 shown]
	s_set_vgpr_msb 0                        ;  msbs: dst=0 src0=0 src1=0 src2=0
	v_add3_u32 v80, v80, v117, v94
	s_set_vgpr_msb 1                        ;  msbs: dst=0 src0=1 src1=0 src2=0
	v_mul_i32_i24_e32 v94, v66 /*v322*/, v216
	v_mul_i32_i24_e32 v117, v99 /*v355*/, v244
	s_set_vgpr_msb 0                        ;  msbs: dst=0 src0=0 src1=0 src2=0
	v_add3_u32 v80, v80, v83, v85
	v_cvt_f32_f16_e32 v83, v82
	s_set_vgpr_msb 4                        ;  msbs: dst=0 src0=0 src1=1 src2=0
	v_lshrrev_b32_e32 v82, 16, v93 /*v349*/
	s_set_vgpr_msb 0                        ;  msbs: dst=0 src0=0 src1=0 src2=0
	v_add3_u32 v85, v80, v86, v88
	s_set_vgpr_msb 1                        ;  msbs: dst=0 src0=1 src1=0 src2=0
	v_cvt_f32_f16_e64 v80, v93 /*v349*/
	s_set_vgpr_msb 0                        ;  msbs: dst=0 src0=0 src1=0 src2=0
	v_cvt_f32_f16_e32 v82, v82
	s_set_vgpr_msb 1                        ;  msbs: dst=0 src0=1 src1=0 src2=0
	v_mul_i32_i24_e32 v86, v64 /*v320*/, v213
	v_mul_i32_i24_e32 v88, v80 /*v336*/, v215
	s_set_vgpr_msb 0                        ;  msbs: dst=0 src0=0 src1=0 src2=0
	v_cvt_f32_i32_e32 v85, v85
	s_delay_alu instid0(VALU_DEP_1)
	v_pk_fma_f32 v[80:81], v[80:81], v[84:85], v[82:83]
	s_set_vgpr_msb 1                        ;  msbs: dst=0 src0=1 src1=0 src2=0
	v_mul_i32_i24_e32 v82, v70 /*v326*/, v209
	v_mul_i32_i24_e32 v84, v77 /*v333*/, v211
	;; [unrolled: 1-line block ×4, first 2 shown]
	s_set_vgpr_msb 0                        ;  msbs: dst=0 src0=0 src1=0 src2=0
	v_pk_add_f32 v[2:3], v[2:3], v[80:81]
	s_set_vgpr_msb 1                        ;  msbs: dst=0 src0=1 src1=0 src2=0
	v_mul_i32_i24_e32 v80, v74 /*v330*/, v208
	v_mul_i32_i24_e32 v81, v75 /*v331*/, v207
	s_delay_alu instid0(VALU_DEP_2) | instskip(SKIP_1) | instid1(VALU_DEP_1)
	v_mad_i32_i24 v80, v73 /*v329*/, v206, v80
	s_set_vgpr_msb 0                        ;  msbs: dst=0 src0=0 src1=0 src2=0
	v_add3_u32 v80, v80, v81, v82
	v_pk_mul_f16 v82, v205, v91
	s_set_vgpr_msb 1                        ;  msbs: dst=0 src0=1 src1=0 src2=0
	v_mul_i32_i24_e32 v81, v61 /*v317*/, v240
	v_mul_i32_i24_e32 v91, v100 /*v356*/, v238
	s_set_vgpr_msb 0                        ;  msbs: dst=0 src0=0 src1=0 src2=0
	v_add3_u32 v80, v80, v86, v84
	s_set_vgpr_msb 1                        ;  msbs: dst=0 src0=1 src1=0 src2=0
	v_mul_i32_i24_e32 v84, v60 /*v316*/, v241
	v_mul_i32_i24_e32 v86, v5 /*v261*/, v242
	s_set_vgpr_msb 0                        ;  msbs: dst=0 src0=0 src1=0 src2=0
	v_add3_u32 v80, v80, v83, v85
	v_mul_i32_i24_e32 v83, v111, v240
	v_mul_i32_i24_e32 v85, v113, v241
	s_delay_alu instid0(VALU_DEP_3) | instskip(SKIP_1) | instid1(VALU_DEP_2)
	v_add3_u32 v80, v80, v94, v87
	v_mul_i32_i24_e32 v87, v93, v242
	v_add3_u32 v80, v80, v88, v89
	v_mul_i32_i24_e32 v89, v92, v239
	s_set_vgpr_msb 1                        ;  msbs: dst=0 src0=1 src1=0 src2=0
	v_mul_i32_i24_e32 v92, v62 /*v318*/, v238
	v_mul_i32_i24_e32 v88, v12 /*v268*/, v239
	s_set_vgpr_msb 0                        ;  msbs: dst=0 src0=0 src1=0 src2=0
	v_add3_u32 v80, v80, v105, v103
	s_set_vgpr_msb 5                        ;  msbs: dst=0 src0=1 src1=1 src2=0
	v_add3_u32 v92, v72 /*v328*/, v95 /*v351*/, v92
	s_set_vgpr_msb 0                        ;  msbs: dst=0 src0=0 src1=0 src2=0
	s_delay_alu instid0(VALU_DEP_2) | instskip(NEXT) | instid1(VALU_DEP_2)
	v_add3_u32 v80, v80, v95, v104
	v_add3_u32 v81, v92, v81, v84
	s_delay_alu instid0(VALU_DEP_2) | instskip(NEXT) | instid1(VALU_DEP_2)
	v_add3_u32 v80, v80, v109, v106
	v_add3_u32 v84, v81, v87, v89
	v_cvt_f32_f16_e32 v81, v82
	v_lshrrev_b32_e32 v82, 16, v82
	s_delay_alu instid0(VALU_DEP_4) | instskip(NEXT) | instid1(VALU_DEP_4)
	v_add3_u32 v80, v80, v107, v108
	v_cvt_f32_i32_e32 v84, v84
	s_delay_alu instid0(VALU_DEP_2) | instskip(NEXT) | instid1(VALU_DEP_1)
	v_add3_u32 v80, v80, v115, v112
	v_add3_u32 v80, v80, v110, v114
	s_delay_alu instid0(VALU_DEP_1) | instskip(NEXT) | instid1(VALU_DEP_1)
	v_add3_u32 v80, v80, v118, v116
	v_add3_u32 v80, v80, v117, v91
	s_delay_alu instid0(VALU_DEP_1) | instskip(SKIP_2) | instid1(VALU_DEP_3)
	v_add3_u32 v80, v80, v83, v85
	v_cvt_f32_f16_e32 v83, v82
	v_lshrrev_b32_e32 v82, 16, v90
	v_add3_u32 v85, v80, v86, v88
	v_cvt_f32_f16_e32 v80, v90
	s_delay_alu instid0(VALU_DEP_3) | instskip(NEXT) | instid1(VALU_DEP_3)
	v_cvt_f32_f16_e32 v82, v82
	v_cvt_f32_i32_e32 v85, v85
	s_delay_alu instid0(VALU_DEP_1) | instskip(NEXT) | instid1(VALU_DEP_1)
	v_pk_fma_f32 v[80:81], v[80:81], v[84:85], v[82:83]
	v_pk_add_f32 v[0:1], v[0:1], v[80:81]
	s_cbranch_scc1 .LBB119_12
; %bb.13:                               ;   in Loop: Header=BB119_7 Depth=1
	s_barrier_signal -1
	s_barrier_wait -1
	s_branch .LBB119_6
.LBB119_14:
	v_dual_mov_b32 v18, v19 :: v_dual_mov_b32 v20, v25
	s_mov_b32 s0, exec_lo
	s_wait_xcnt 0x0
	v_cmpx_gt_u32_e64 s4, v39
	s_cbranch_execz .LBB119_3
.LBB119_15:
	v_mul_lo_u32 v24, v39, s6
	v_add_nc_u32_e32 v19, s14, v20
	s_delay_alu instid0(VALU_DEP_1)
	v_cmp_gt_u32_e32 vcc_lo, s6, v19
	s_and_saveexec_b32 s0, vcc_lo
	s_cbranch_execz .LBB119_17
; %bb.16:
	s_delay_alu instid0(VALU_DEP_3)
	v_add_nc_u32_e32 v20, v19, v24
	s_wait_kmcnt 0x0
	global_store_b32 v20, v36, s[8:9] scale_offset
.LBB119_17:
	s_wait_xcnt 0x0
	s_or_b32 exec_lo, exec_lo, s0
	v_add_nc_u32_e32 v20, 32, v19
	s_delay_alu instid0(VALU_DEP_1)
	v_cmp_gt_u32_e64 s0, s6, v20
	s_and_saveexec_b32 s1, s0
	s_cbranch_execz .LBB119_19
; %bb.18:
	v_add_nc_u32_e32 v21, v20, v24
	s_wait_kmcnt 0x0
	global_store_b32 v21, v6, s[8:9] scale_offset
.LBB119_19:
	s_wait_xcnt 0x0
	s_or_b32 exec_lo, exec_lo, s1
	v_add_nc_u32_e32 v6, 64, v19
	s_delay_alu instid0(VALU_DEP_1)
	v_cmp_gt_u32_e64 s1, s6, v6
	s_and_saveexec_b32 s2, s1
	s_cbranch_execz .LBB119_21
; %bb.20:
	v_add_nc_u32_e32 v21, v6, v24
	s_wait_kmcnt 0x0
	global_store_b32 v21, v34, s[8:9] scale_offset
.LBB119_21:
	;; [unrolled: 12-line block ×3, first 2 shown]
	s_wait_xcnt 0x0
	s_or_b32 exec_lo, exec_lo, s3
	v_add3_u32 v24, v18, s7, 8
	s_delay_alu instid0(VALU_DEP_1)
	v_cmp_gt_u32_e64 s3, s4, v24
	s_and_b32 exec_lo, exec_lo, s3
	s_cbranch_execz .LBB119_3
; %bb.24:
	v_mul_lo_u32 v24, v24, s6
	s_and_saveexec_b32 s3, vcc_lo
	s_cbranch_execnz .LBB119_64
; %bb.25:
	s_or_b32 exec_lo, exec_lo, s3
	s_and_saveexec_b32 s3, s0
	s_cbranch_execnz .LBB119_65
.LBB119_26:
	s_or_b32 exec_lo, exec_lo, s3
	s_and_saveexec_b32 s3, s1
	s_cbranch_execnz .LBB119_66
.LBB119_27:
	s_or_b32 exec_lo, exec_lo, s3
	s_and_saveexec_b32 s3, s2
	s_cbranch_execz .LBB119_29
.LBB119_28:
	v_add_nc_u32_e32 v9, v24, v21
	s_wait_kmcnt 0x0
	global_store_b32 v9, v33, s[8:9] scale_offset
.LBB119_29:
	s_wait_xcnt 0x0
	s_or_b32 exec_lo, exec_lo, s3
	v_add3_u32 v9, v18, s7, 16
	s_delay_alu instid0(VALU_DEP_1)
	v_cmp_gt_u32_e64 s3, s4, v9
	s_and_b32 exec_lo, exec_lo, s3
	s_cbranch_execz .LBB119_3
; %bb.30:
	v_mul_lo_u32 v9, v9, s6
	s_and_saveexec_b32 s3, vcc_lo
	s_cbranch_execnz .LBB119_67
; %bb.31:
	s_or_b32 exec_lo, exec_lo, s3
	s_and_saveexec_b32 s3, s0
	s_cbranch_execnz .LBB119_68
.LBB119_32:
	s_or_b32 exec_lo, exec_lo, s3
	s_and_saveexec_b32 s3, s1
	s_cbranch_execnz .LBB119_69
.LBB119_33:
	s_or_b32 exec_lo, exec_lo, s3
	s_and_saveexec_b32 s3, s2
	s_cbranch_execz .LBB119_35
.LBB119_34:
	v_add_nc_u32_e32 v9, v9, v21
	s_wait_kmcnt 0x0
	global_store_b32 v9, v22, s[8:9] scale_offset
.LBB119_35:
	s_wait_xcnt 0x0
	s_or_b32 exec_lo, exec_lo, s3
	v_add3_u32 v9, v18, s7, 24
	s_delay_alu instid0(VALU_DEP_1)
	v_cmp_gt_u32_e64 s3, s4, v9
	s_and_b32 exec_lo, exec_lo, s3
	s_cbranch_execz .LBB119_3
; %bb.36:
	v_mul_lo_u32 v9, v9, s6
	s_and_saveexec_b32 s3, vcc_lo
	s_cbranch_execnz .LBB119_70
; %bb.37:
	s_or_b32 exec_lo, exec_lo, s3
	s_and_saveexec_b32 s3, s0
	s_cbranch_execnz .LBB119_71
.LBB119_38:
	s_or_b32 exec_lo, exec_lo, s3
	s_and_saveexec_b32 s3, s1
	s_cbranch_execnz .LBB119_72
.LBB119_39:
	s_or_b32 exec_lo, exec_lo, s3
	s_and_saveexec_b32 s3, s2
	s_cbranch_execz .LBB119_41
.LBB119_40:
	v_add_nc_u32_e32 v9, v9, v21
	s_wait_kmcnt 0x0
	global_store_b32 v9, v23, s[8:9] scale_offset
.LBB119_41:
	s_wait_xcnt 0x0
	s_or_b32 exec_lo, exec_lo, s3
	v_add3_u32 v9, v18, s7, 32
	s_delay_alu instid0(VALU_DEP_1)
	v_cmp_gt_u32_e64 s3, s4, v9
	s_and_b32 exec_lo, exec_lo, s3
	s_cbranch_execz .LBB119_3
; %bb.42:
	v_mul_lo_u32 v9, v9, s6
	s_and_saveexec_b32 s3, vcc_lo
	s_cbranch_execnz .LBB119_73
; %bb.43:
	s_or_b32 exec_lo, exec_lo, s3
	s_and_saveexec_b32 s3, s0
	s_cbranch_execnz .LBB119_74
.LBB119_44:
	s_or_b32 exec_lo, exec_lo, s3
	s_and_saveexec_b32 s3, s1
	s_cbranch_execnz .LBB119_75
.LBB119_45:
	s_or_b32 exec_lo, exec_lo, s3
	s_and_saveexec_b32 s3, s2
	s_cbranch_execz .LBB119_47
.LBB119_46:
	v_add_nc_u32_e32 v9, v9, v21
	s_wait_kmcnt 0x0
	global_store_b32 v9, v10, s[8:9] scale_offset
.LBB119_47:
	s_wait_xcnt 0x0
	s_or_b32 exec_lo, exec_lo, s3
	v_add3_u32 v9, v18, s7, 40
	s_delay_alu instid0(VALU_DEP_1)
	v_cmp_gt_u32_e64 s3, s4, v9
	s_and_b32 exec_lo, exec_lo, s3
	s_cbranch_execz .LBB119_3
; %bb.48:
	v_mul_lo_u32 v9, v9, s6
	s_and_saveexec_b32 s3, vcc_lo
	s_cbranch_execnz .LBB119_76
; %bb.49:
	s_or_b32 exec_lo, exec_lo, s3
	s_and_saveexec_b32 s3, s0
	s_cbranch_execnz .LBB119_77
.LBB119_50:
	s_or_b32 exec_lo, exec_lo, s3
	s_and_saveexec_b32 s3, s1
	s_cbranch_execnz .LBB119_78
.LBB119_51:
	s_or_b32 exec_lo, exec_lo, s3
	s_and_saveexec_b32 s3, s2
	s_cbranch_execz .LBB119_53
.LBB119_52:
	v_add_nc_u32_e32 v9, v9, v21
	s_wait_kmcnt 0x0
	global_store_b32 v9, v11, s[8:9] scale_offset
.LBB119_53:
	s_wait_xcnt 0x0
	s_or_b32 exec_lo, exec_lo, s3
	v_add3_u32 v9, v18, s7, 48
	s_delay_alu instid0(VALU_DEP_1)
	v_cmp_gt_u32_e64 s3, s4, v9
	s_and_b32 exec_lo, exec_lo, s3
	s_cbranch_execz .LBB119_3
; %bb.54:
	v_mul_lo_u32 v9, v9, s6
	s_and_saveexec_b32 s3, vcc_lo
	s_cbranch_execnz .LBB119_79
; %bb.55:
	s_or_b32 exec_lo, exec_lo, s3
	s_and_saveexec_b32 s3, s0
	s_cbranch_execnz .LBB119_80
.LBB119_56:
	s_or_b32 exec_lo, exec_lo, s3
	s_and_saveexec_b32 s3, s1
	s_cbranch_execnz .LBB119_81
.LBB119_57:
	s_or_b32 exec_lo, exec_lo, s3
	s_and_saveexec_b32 s3, s2
	s_cbranch_execz .LBB119_59
.LBB119_58:
	v_add_nc_u32_e32 v2, v9, v21
	s_wait_kmcnt 0x0
	global_store_b32 v2, v0, s[8:9] scale_offset
.LBB119_59:
	s_wait_xcnt 0x0
	s_or_b32 exec_lo, exec_lo, s3
	v_add3_u32 v0, v18, s7, 56
	s_delay_alu instid0(VALU_DEP_1)
	v_cmp_gt_u32_e64 s3, s4, v0
	s_and_b32 exec_lo, exec_lo, s3
	s_cbranch_execz .LBB119_3
; %bb.60:
	v_mul_lo_u32 v0, v0, s6
	s_and_saveexec_b32 s3, vcc_lo
	s_cbranch_execnz .LBB119_82
; %bb.61:
	s_or_b32 exec_lo, exec_lo, s3
	s_and_saveexec_b32 s3, s0
	s_cbranch_execnz .LBB119_83
.LBB119_62:
	s_or_b32 exec_lo, exec_lo, s3
	s_and_saveexec_b32 s0, s1
	s_cbranch_execnz .LBB119_84
.LBB119_63:
	s_or_b32 exec_lo, exec_lo, s0
	s_delay_alu instid0(SALU_CYCLE_1)
	s_and_b32 exec_lo, exec_lo, s2
	s_cbranch_execz .LBB119_3
	s_branch .LBB119_85
.LBB119_64:
	s_delay_alu instid0(VALU_DEP_1)
	v_add_nc_u32_e32 v25, v24, v19
	s_wait_kmcnt 0x0
	global_store_b32 v25, v37, s[8:9] scale_offset
	s_wait_xcnt 0x0
	s_or_b32 exec_lo, exec_lo, s3
	s_and_saveexec_b32 s3, s0
	s_cbranch_execz .LBB119_26
.LBB119_65:
	s_delay_alu instid0(VALU_DEP_1)
	v_add_nc_u32_e32 v25, v24, v20
	s_wait_kmcnt 0x0
	global_store_b32 v25, v9, s[8:9] scale_offset
	s_wait_xcnt 0x0
	s_or_b32 exec_lo, exec_lo, s3
	s_and_saveexec_b32 s3, s1
	s_cbranch_execz .LBB119_27
.LBB119_66:
	s_delay_alu instid0(VALU_DEP_1)
	v_add_nc_u32_e32 v9, v24, v6
	s_wait_kmcnt 0x0
	global_store_b32 v9, v35, s[8:9] scale_offset
	s_wait_xcnt 0x0
	s_or_b32 exec_lo, exec_lo, s3
	s_and_saveexec_b32 s3, s2
	s_cbranch_execnz .LBB119_28
	s_branch .LBB119_29
.LBB119_67:
	s_delay_alu instid0(VALU_DEP_1)
	v_add_nc_u32_e32 v24, v9, v19
	s_wait_kmcnt 0x0
	global_store_b32 v24, v30, s[8:9] scale_offset
	s_wait_xcnt 0x0
	s_or_b32 exec_lo, exec_lo, s3
	s_and_saveexec_b32 s3, s0
	s_cbranch_execz .LBB119_32
.LBB119_68:
	s_delay_alu instid0(VALU_DEP_1)
	v_add_nc_u32_e32 v24, v9, v20
	s_wait_kmcnt 0x0
	global_store_b32 v24, v28, s[8:9] scale_offset
	s_wait_xcnt 0x0
	s_or_b32 exec_lo, exec_lo, s3
	s_and_saveexec_b32 s3, s1
	s_cbranch_execz .LBB119_33
.LBB119_69:
	s_delay_alu instid0(VALU_DEP_1)
	v_add_nc_u32_e32 v24, v9, v6
	s_wait_kmcnt 0x0
	global_store_b32 v24, v26, s[8:9] scale_offset
	s_wait_xcnt 0x0
	s_or_b32 exec_lo, exec_lo, s3
	s_and_saveexec_b32 s3, s2
	s_cbranch_execnz .LBB119_34
	s_branch .LBB119_35
.LBB119_70:
	s_delay_alu instid0(VALU_DEP_1)
	v_add_nc_u32_e32 v22, v9, v19
	s_wait_kmcnt 0x0
	global_store_b32 v22, v31, s[8:9] scale_offset
	s_wait_xcnt 0x0
	s_or_b32 exec_lo, exec_lo, s3
	s_and_saveexec_b32 s3, s0
	s_cbranch_execz .LBB119_38
.LBB119_71:
	s_delay_alu instid0(VALU_DEP_1)
	v_add_nc_u32_e32 v22, v9, v20
	s_wait_kmcnt 0x0
	global_store_b32 v22, v29, s[8:9] scale_offset
	s_wait_xcnt 0x0
	s_or_b32 exec_lo, exec_lo, s3
	s_and_saveexec_b32 s3, s1
	s_cbranch_execz .LBB119_39
.LBB119_72:
	s_delay_alu instid0(VALU_DEP_1)
	v_add_nc_u32_e32 v22, v9, v6
	s_wait_kmcnt 0x0
	global_store_b32 v22, v27, s[8:9] scale_offset
	s_wait_xcnt 0x0
	s_or_b32 exec_lo, exec_lo, s3
	s_and_saveexec_b32 s3, s2
	s_cbranch_execnz .LBB119_40
	s_branch .LBB119_41
.LBB119_73:
	s_delay_alu instid0(VALU_DEP_1)
	v_add_nc_u32_e32 v22, v9, v19
	s_wait_kmcnt 0x0
	global_store_b32 v22, v16, s[8:9] scale_offset
	s_wait_xcnt 0x0
	s_or_b32 exec_lo, exec_lo, s3
	s_and_saveexec_b32 s3, s0
	s_cbranch_execz .LBB119_44
.LBB119_74:
	s_delay_alu instid0(VALU_DEP_1)
	v_add_nc_u32_e32 v16, v9, v20
	s_wait_kmcnt 0x0
	global_store_b32 v16, v14, s[8:9] scale_offset
	s_wait_xcnt 0x0
	s_or_b32 exec_lo, exec_lo, s3
	s_and_saveexec_b32 s3, s1
	s_cbranch_execz .LBB119_45
.LBB119_75:
	s_delay_alu instid0(VALU_DEP_1)
	v_add_nc_u32_e32 v14, v9, v6
	s_wait_kmcnt 0x0
	global_store_b32 v14, v12, s[8:9] scale_offset
	s_wait_xcnt 0x0
	s_or_b32 exec_lo, exec_lo, s3
	s_and_saveexec_b32 s3, s2
	s_cbranch_execnz .LBB119_46
	s_branch .LBB119_47
.LBB119_76:
	s_delay_alu instid0(VALU_DEP_1)
	v_add_nc_u32_e32 v10, v9, v19
	s_wait_kmcnt 0x0
	global_store_b32 v10, v17, s[8:9] scale_offset
	s_wait_xcnt 0x0
	s_or_b32 exec_lo, exec_lo, s3
	s_and_saveexec_b32 s3, s0
	s_cbranch_execz .LBB119_50
.LBB119_77:
	s_delay_alu instid0(VALU_DEP_1)
	v_add_nc_u32_e32 v10, v9, v20
	s_wait_kmcnt 0x0
	global_store_b32 v10, v15, s[8:9] scale_offset
	s_wait_xcnt 0x0
	s_or_b32 exec_lo, exec_lo, s3
	s_and_saveexec_b32 s3, s1
	s_cbranch_execz .LBB119_51
.LBB119_78:
	s_delay_alu instid0(VALU_DEP_1)
	v_add_nc_u32_e32 v10, v9, v6
	s_wait_kmcnt 0x0
	global_store_b32 v10, v13, s[8:9] scale_offset
	s_wait_xcnt 0x0
	s_or_b32 exec_lo, exec_lo, s3
	s_and_saveexec_b32 s3, s2
	s_cbranch_execnz .LBB119_52
	s_branch .LBB119_53
.LBB119_79:
	s_delay_alu instid0(VALU_DEP_1)
	v_add_nc_u32_e32 v10, v9, v19
	s_wait_kmcnt 0x0
	global_store_b32 v10, v8, s[8:9] scale_offset
	s_wait_xcnt 0x0
	s_or_b32 exec_lo, exec_lo, s3
	s_and_saveexec_b32 s3, s0
	s_cbranch_execz .LBB119_56
.LBB119_80:
	s_delay_alu instid0(VALU_DEP_1)
	v_add_nc_u32_e32 v8, v9, v20
	s_wait_kmcnt 0x0
	global_store_b32 v8, v4, s[8:9] scale_offset
	s_wait_xcnt 0x0
	s_or_b32 exec_lo, exec_lo, s3
	s_and_saveexec_b32 s3, s1
	s_cbranch_execz .LBB119_57
.LBB119_81:
	s_delay_alu instid0(VALU_DEP_1)
	v_add_nc_u32_e32 v4, v9, v6
	s_wait_kmcnt 0x0
	global_store_b32 v4, v2, s[8:9] scale_offset
	s_wait_xcnt 0x0
	s_or_b32 exec_lo, exec_lo, s3
	s_and_saveexec_b32 s3, s2
	s_cbranch_execnz .LBB119_58
	s_branch .LBB119_59
.LBB119_82:
	s_delay_alu instid0(VALU_DEP_1)
	v_add_nc_u32_e32 v2, v0, v19
	s_wait_kmcnt 0x0
	global_store_b32 v2, v7, s[8:9] scale_offset
	s_wait_xcnt 0x0
	s_or_b32 exec_lo, exec_lo, s3
	s_and_saveexec_b32 s3, s0
	s_cbranch_execz .LBB119_62
.LBB119_83:
	s_delay_alu instid0(VALU_DEP_1)
	v_add_nc_u32_e32 v2, v0, v20
	s_wait_kmcnt 0x0
	global_store_b32 v2, v5, s[8:9] scale_offset
	s_wait_xcnt 0x0
	s_or_b32 exec_lo, exec_lo, s3
	s_and_saveexec_b32 s0, s1
	s_cbranch_execz .LBB119_63
.LBB119_84:
	s_delay_alu instid0(VALU_DEP_1) | instskip(SKIP_4) | instid1(SALU_CYCLE_1)
	v_add_nc_u32_e32 v2, v0, v6
	s_wait_kmcnt 0x0
	global_store_b32 v2, v3, s[8:9] scale_offset
	s_wait_xcnt 0x0
	s_or_b32 exec_lo, exec_lo, s0
	s_and_b32 exec_lo, exec_lo, s2
	s_cbranch_execz .LBB119_3
.LBB119_85:
	v_add_nc_u32_e32 v0, v0, v21
	s_wait_kmcnt 0x0
	global_store_b32 v0, v1, s[8:9] scale_offset
	s_sendmsg sendmsg(MSG_DEALLOC_VGPRS)
	s_endpgm
	.section	.rodata,"a",@progbits
	.p2align	6, 0x0
	.amdhsa_kernel _ZL12mul_mat_q4_1IfLb0EEvPKvS1_PT_iiiii
		.amdhsa_group_segment_fixed_size 30336
		.amdhsa_private_segment_fixed_size 0
		.amdhsa_kernarg_size 44
		.amdhsa_user_sgpr_count 2
		.amdhsa_user_sgpr_dispatch_ptr 0
		.amdhsa_user_sgpr_queue_ptr 0
		.amdhsa_user_sgpr_kernarg_segment_ptr 1
		.amdhsa_user_sgpr_dispatch_id 0
		.amdhsa_user_sgpr_kernarg_preload_length 0
		.amdhsa_user_sgpr_kernarg_preload_offset 0
		.amdhsa_user_sgpr_private_segment_size 0
		.amdhsa_wavefront_size32 1
		.amdhsa_uses_dynamic_stack 0
		.amdhsa_enable_private_segment 0
		.amdhsa_system_sgpr_workgroup_id_x 1
		.amdhsa_system_sgpr_workgroup_id_y 1
		.amdhsa_system_sgpr_workgroup_id_z 0
		.amdhsa_system_sgpr_workgroup_info 0
		.amdhsa_system_vgpr_workitem_id 1
		.amdhsa_next_free_vgpr 455
		.amdhsa_next_free_sgpr 20
		.amdhsa_named_barrier_count 0
		.amdhsa_reserve_vcc 1
		.amdhsa_float_round_mode_32 0
		.amdhsa_float_round_mode_16_64 0
		.amdhsa_float_denorm_mode_32 3
		.amdhsa_float_denorm_mode_16_64 3
		.amdhsa_fp16_overflow 0
		.amdhsa_memory_ordered 1
		.amdhsa_forward_progress 1
		.amdhsa_inst_pref_size 255
		.amdhsa_round_robin_scheduling 0
		.amdhsa_exception_fp_ieee_invalid_op 0
		.amdhsa_exception_fp_denorm_src 0
		.amdhsa_exception_fp_ieee_div_zero 0
		.amdhsa_exception_fp_ieee_overflow 0
		.amdhsa_exception_fp_ieee_underflow 0
		.amdhsa_exception_fp_ieee_inexact 0
		.amdhsa_exception_int_div_zero 0
	.end_amdhsa_kernel
	.section	.text._ZL12mul_mat_q4_1IfLb0EEvPKvS1_PT_iiiii,"axG",@progbits,_ZL12mul_mat_q4_1IfLb0EEvPKvS1_PT_iiiii,comdat
.Lfunc_end119:
	.size	_ZL12mul_mat_q4_1IfLb0EEvPKvS1_PT_iiiii, .Lfunc_end119-_ZL12mul_mat_q4_1IfLb0EEvPKvS1_PT_iiiii
                                        ; -- End function
	.set _ZL12mul_mat_q4_1IfLb0EEvPKvS1_PT_iiiii.num_vgpr, 455
	.set _ZL12mul_mat_q4_1IfLb0EEvPKvS1_PT_iiiii.num_agpr, 0
	.set _ZL12mul_mat_q4_1IfLb0EEvPKvS1_PT_iiiii.numbered_sgpr, 20
	.set _ZL12mul_mat_q4_1IfLb0EEvPKvS1_PT_iiiii.num_named_barrier, 0
	.set _ZL12mul_mat_q4_1IfLb0EEvPKvS1_PT_iiiii.private_seg_size, 0
	.set _ZL12mul_mat_q4_1IfLb0EEvPKvS1_PT_iiiii.uses_vcc, 1
	.set _ZL12mul_mat_q4_1IfLb0EEvPKvS1_PT_iiiii.uses_flat_scratch, 0
	.set _ZL12mul_mat_q4_1IfLb0EEvPKvS1_PT_iiiii.has_dyn_sized_stack, 0
	.set _ZL12mul_mat_q4_1IfLb0EEvPKvS1_PT_iiiii.has_recursion, 0
	.set _ZL12mul_mat_q4_1IfLb0EEvPKvS1_PT_iiiii.has_indirect_call, 0
	.section	.AMDGPU.csdata,"",@progbits
; Kernel info:
; codeLenInByte = 41328
; TotalNumSgprs: 22
; NumVgprs: 455
; ScratchSize: 0
; MemoryBound: 0
; FloatMode: 240
; IeeeMode: 1
; LDSByteSize: 30336 bytes/workgroup (compile time only)
; SGPRBlocks: 0
; VGPRBlocks: 28
; NumSGPRsForWavesPerEU: 22
; NumVGPRsForWavesPerEU: 455
; NamedBarCnt: 0
; Occupancy: 2
; WaveLimiterHint : 0
; COMPUTE_PGM_RSRC2:SCRATCH_EN: 0
; COMPUTE_PGM_RSRC2:USER_SGPR: 2
; COMPUTE_PGM_RSRC2:TRAP_HANDLER: 0
; COMPUTE_PGM_RSRC2:TGID_X_EN: 1
; COMPUTE_PGM_RSRC2:TGID_Y_EN: 1
; COMPUTE_PGM_RSRC2:TGID_Z_EN: 0
; COMPUTE_PGM_RSRC2:TIDIG_COMP_CNT: 1
	.section	.text._ZL12mul_mat_q4_1IfLb1EEvPKvS1_PT_iiiii,"axG",@progbits,_ZL12mul_mat_q4_1IfLb1EEvPKvS1_PT_iiiii,comdat
	.globl	_ZL12mul_mat_q4_1IfLb1EEvPKvS1_PT_iiiii ; -- Begin function _ZL12mul_mat_q4_1IfLb1EEvPKvS1_PT_iiiii
	.p2align	8
	.type	_ZL12mul_mat_q4_1IfLb1EEvPKvS1_PT_iiiii,@function
_ZL12mul_mat_q4_1IfLb1EEvPKvS1_PT_iiiii: ; @_ZL12mul_mat_q4_1IfLb1EEvPKvS1_PT_iiiii
; %bb.0:
	s_clause 0x1
	s_load_b128 s[4:7], s[0:1], 0x18
	s_load_b32 s12, s[0:1], 0x28
	s_bfe_u32 s2, ttmp6, 0x4000c
	s_bfe_u32 s8, ttmp6, 0x40010
	s_add_co_i32 s2, s2, 1
	s_and_b32 s3, ttmp6, 15
	s_mul_i32 s2, ttmp9, s2
	s_add_co_i32 s8, s8, 1
	s_add_co_i32 s3, s3, s2
	s_mul_i32 s2, ttmp7, s8
	s_bfe_u32 s8, ttmp6, 0x40004
	s_getreg_b32 s9, hwreg(HW_REG_IB_STS2, 6, 4)
	s_add_co_i32 s8, s8, s2
	s_cmp_eq_u32 s9, 0
	v_bfe_u32 v11, v0, 10, 10
	s_cselect_b32 s8, ttmp7, s8
	v_and_b32_e32 v35, 0x3ff, v0
	s_cselect_b32 s2, ttmp9, s3
	s_lshl_b32 s13, s8, 6
	s_mov_b32 s3, 0
	s_wait_kmcnt 0x0
	s_cmp_gt_i32 s4, 31
	s_cbranch_scc1 .LBB120_4
; %bb.1:
	v_bfe_u32 v10, v0, 10, 10
	v_and_b32_e32 v12, 0x3ff, v0
	s_delay_alu instid0(VALU_DEP_2)
	v_add_nc_u32_e32 v41, s13, v10
	s_load_b64 s[8:9], s[0:1], 0x10
	s_and_not1_b32 vcc_lo, exec_lo, s3
	s_lshl_b32 s14, s2, 7
	s_cbranch_vccz .LBB120_5
; %bb.2:
	v_dual_mov_b32 v15, 0 :: v_dual_mov_b32 v14, 0
	v_mov_b64_e32 v[0:1], 0
	v_mov_b64_e32 v[30:31], 0
	;; [unrolled: 1-line block ×7, first 2 shown]
	v_dual_mov_b32 v23, 0 :: v_dual_mov_b32 v22, 0
	v_dual_mov_b32 v17, 0 :: v_dual_mov_b32 v16, 0
	;; [unrolled: 1-line block ×8, first 2 shown]
	s_wait_xcnt 0x0
	s_mov_b32 s0, exec_lo
	v_cmpx_gt_u32_e64 s6, v41
	s_cbranch_execnz .LBB120_15
.LBB120_3:
	s_sendmsg sendmsg(MSG_DEALLOC_VGPRS)
	s_endpgm
.LBB120_4:
                                        ; implicit-def: $vgpr10
                                        ; implicit-def: $vgpr12
                                        ; implicit-def: $vgpr41
	s_load_b64 s[8:9], s[0:1], 0x10
	s_lshl_b32 s14, s2, 7
.LBB120_5:
	s_delay_alu instid0(SALU_CYCLE_1) | instskip(SKIP_2) | instid1(SALU_CYCLE_1)
	s_not_b32 s15, s14
	v_dual_mov_b32 v13, 0 :: v_dual_lshlrev_b32 v1, 2, v35
	s_add_co_i32 s5, s5, s15
	v_dual_add_nc_u32 v24, 8, v11 :: v_dual_min_i32 v25, s5, v11
	s_delay_alu instid0(VALU_DEP_2) | instskip(NEXT) | instid1(VALU_DEP_2)
	v_dual_add_nc_u32 v41, s13, v11 :: v_dual_bitop2_b32 v12, 12, v1 bitop3:0x40
	v_dual_add_nc_u32 v27, 16, v11 :: v_dual_min_i32 v26, s5, v24
	s_ashr_i32 s10, s4, 31
	s_ashr_i32 s11, s7, 31
	s_lshr_b32 s10, s10, 27
	s_delay_alu instid0(VALU_DEP_1)
	v_dual_add_nc_u32 v6, 8, v41 :: v_dual_min_i32 v29, s5, v27
	v_dual_add_nc_u32 v8, 16, v41 :: v_dual_add_nc_u32 v14, 24, v41
	v_dual_add_nc_u32 v16, 32, v41 :: v_dual_add_nc_u32 v18, 40, v41
	s_lshr_b32 s11, s11, 27
	s_add_co_i32 s4, s4, s10
	v_bfe_u32 v43, v0, 3, 7
	s_ashr_i32 s15, s4, 5
	s_add_co_i32 s4, s7, s11
	s_add_co_i32 s7, s6, -1
	v_cvt_f64_u32_e32 v[4:5], v41
	v_cvt_f64_i32_e32 v[2:3], s7
	v_cvt_f64_u32_e32 v[6:7], v6
	v_cvt_f64_u32_e32 v[8:9], v8
	v_dual_add_nc_u32 v20, 48, v41 :: v_dual_add_nc_u32 v22, 56, v41
	v_cvt_f64_u32_e32 v[16:17], v16
	v_lshl_add_u32 v28, v11, 2, v43
	v_cvt_f64_u32_e32 v[14:15], v14
	v_cvt_f64_u32_e32 v[18:19], v18
	;; [unrolled: 1-line block ×4, first 2 shown]
	v_dual_add_nc_u32 v30, 24, v11 :: v_dual_min_i32 v31, s5, v28
	v_dual_add_nc_u32 v32, 32, v11 :: v_dual_add_nc_u32 v37, 40, v11
	s_delay_alu instid0(VALU_DEP_2) | instskip(NEXT) | instid1(VALU_DEP_2)
	v_dual_add_nc_u32 v38, 48, v11 :: v_dual_min_i32 v33, s5, v30
	v_dual_ashrrev_i32 v34, 31, v31 :: v_dual_min_i32 v36, s5, v32
	v_add_min_i32_e64 v74, v28, 32, s5
	s_delay_alu instid0(VALU_DEP_4) | instskip(SKIP_1) | instid1(VALU_DEP_4)
	v_min_i32_e32 v50, s5, v37
	v_add_min_i32_e64 v76, v28, 64, s5
	v_lshrrev_b32_e32 v34, 30, v34
	v_add_min_i32_e64 v28, 0x60, v28, s5
	v_dual_add_nc_u32 v40, 56, v11 :: v_dual_min_i32 v52, s5, v38
	v_bfe_u32 v10, v0, 2, 8
	s_delay_alu instid0(VALU_DEP_4) | instskip(NEXT) | instid1(VALU_DEP_4)
	v_dual_add_nc_u32 v39, v31, v34 :: v_dual_bitop2_b32 v34, 7, v0 bitop3:0x40
	v_dual_ashrrev_i32 v42, 31, v74 :: v_dual_ashrrev_i32 v48, 31, v28
	s_delay_alu instid0(VALU_DEP_3) | instskip(NEXT) | instid1(VALU_DEP_3)
	v_lshl_add_u32 v54, v11, 3, v10
	v_and_b32_e32 v39, -4, v39
	v_min_num_f64_e32 v[4:5], v[4:5], v[2:3]
	s_delay_alu instid0(VALU_DEP_4)
	v_lshrrev_b32_e32 v42, 30, v42
	v_dual_min_num_f64 v[8:9], v[8:9], v[2:3] :: v_dual_lshrrev_b32 v48, 30, v48
	v_min_num_f64_e32 v[6:7], v[6:7], v[2:3]
	v_min_num_f64_e32 v[16:17], v[16:17], v[2:3]
	;; [unrolled: 1-line block ×6, first 2 shown]
	v_dual_lshlrev_b32 v44, 2, v34 :: v_dual_ashrrev_i32 v46, 31, v76
	v_and_b32_e32 v23, 63, v54
	v_dual_add_nc_u32 v22, v74, v42 :: v_dual_bitop2_b32 v54, 3, v0 bitop3:0x40
	s_ashr_i32 s4, s4, 5
	s_delay_alu instid0(VALU_DEP_3)
	v_add3_u32 v39, v39, v44, 0x6200
	s_wait_xcnt 0x0
	s_load_b128 s[0:3], s[0:1], 0x0
	v_lshlrev_b32_e32 v56, 2, v54
	v_lshrrev_b32_e32 v46, 30, v46
	v_add_min_i32_e64 v62, 0x58, v11, s5
	v_add_min_i32_e64 v64, 0x60, v11, s5
	;; [unrolled: 1-line block ×4, first 2 shown]
	v_add_nc_u32_e32 v42, v76, v46
	v_dual_add_nc_u32 v46, v28, v48 :: v_dual_bitop2_b32 v48, s13, v23 bitop3:0x54
	v_add_min_i32_e64 v70, 0x78, v11, s5
	v_mad_u32 v45, 0x84, v25, v1
	v_mad_u32 v47, 0x84, v26, v1
	s_delay_alu instid0(VALU_DEP_4)
	v_and_b32_e32 v46, -4, v46
	v_min_i32_e32 v48, s7, v48
	v_and_b32_e32 v42, -4, v42
	v_and_b32_e32 v22, -4, v22
	v_cvt_i32_f64_e32 v4, v[4:5]
	v_lshlrev_b32_e32 v5, 5, v31
	v_mad_u32 v57, v48, s4, v54
	v_min_i32_e32 v54, s5, v40
	v_cvt_i32_f64_e32 v6, v[6:7]
	v_cvt_i32_f64_e32 v7, v[8:9]
	;; [unrolled: 1-line block ×3, first 2 shown]
	v_add_nc_u32_e32 v16, 0x60, v35
	v_add3_u32 v42, v42, v44, 0x6200
	v_dual_add_nc_u32 v61, v39, v5 :: v_dual_lshlrev_b32 v5, 5, v28
	v_cvt_i32_f64_e32 v2, v[2:3]
	v_lshlrev_b32_e32 v3, 5, v35
	v_and_b32_e32 v16, 0x1fc, v16
	v_cvt_i32_f64_e32 v8, v[14:15]
	v_cvt_i32_f64_e32 v14, v[18:19]
	v_dual_add_nc_u32 v17, 64, v35 :: v_dual_add_nc_u32 v18, 32, v35
	s_delay_alu instid0(VALU_DEP_4) | instskip(SKIP_2) | instid1(VALU_DEP_4)
	v_add_nc_u32_e32 v16, v3, v16
	v_cvt_i32_f64_e32 v15, v[20:21]
	v_and_b32_e32 v20, 0xfc, v0
	v_and_b32_e32 v17, 0x1fc, v17
	;; [unrolled: 1-line block ×3, first 2 shown]
	v_add3_u32 v22, v22, v44, 0x6200
	v_add3_u32 v44, v46, v44, 0x6200
	s_delay_alu instid0(VALU_DEP_4) | instskip(NEXT) | instid1(VALU_DEP_4)
	v_dual_lshlrev_b32 v21, 5, v74 :: v_dual_add_nc_u32 v17, v3, v17
	v_dual_add_nc_u32 v19, v3, v19 :: v_dual_add_nc_u32 v3, v3, v20
	s_delay_alu instid0(VALU_DEP_2) | instskip(SKIP_2) | instid1(VALU_DEP_3)
	v_dual_lshlrev_b32 v20, 5, v76 :: v_dual_add_nc_u32 v63, v22, v21
	v_add_min_i32_e64 v21, v11, 64, s5
	v_dual_add_nc_u32 v67, v44, v5 :: v_dual_bitop2_b32 v22, 31, v0 bitop3:0x40
	v_add_nc_u32_e32 v65, v42, v20
	v_add_min_i32_e64 v20, 0x48, v11, s5
	v_add_min_i32_e64 v5, 0x50, v11, s5
	v_mad_u32 v49, 0x84, v29, v1
	v_mad_u32 v51, 0x84, v33, v1
	;; [unrolled: 1-line block ×14, first 2 shown]
	v_dual_mov_b32 v1, v13 :: v_dual_bitop2_b32 v0, 28, v1 bitop3:0x40
	v_lshl_or_b32 v23, v23, 4, v56
	v_lshl_or_b32 v22, v22, 2, 0x4200
	v_mul_lo_u32 v160, s4, v4
	v_mul_lo_u32 v161, s4, v6
	v_lshlrev_b32_e32 v4, 7, v24
	v_mul_lo_u32 v162, s4, v7
	v_dual_lshlrev_b32 v6, 7, v27 :: v_dual_lshlrev_b32 v7, 7, v30
	v_mul_lo_u32 v163, s4, v8
	v_mul_lo_u32 v164, s4, v9
	v_dual_lshlrev_b32 v8, 7, v32 :: v_dual_lshlrev_b32 v9, 7, v37
	v_mul_lo_u32 v165, s4, v14
	v_lshlrev_b32_e32 v14, 7, v38
	v_mul_lo_u32 v167, s4, v2
	v_lshlrev_b32_e32 v2, 7, v40
	s_wait_kmcnt 0x0
	v_add_nc_u64_e32 v[38:39], s[2:3], v[0:1]
	v_dual_lshlrev_b32 v0, 7, v11 :: v_dual_add_nc_u32 v172, v22, v8
	v_mul_lo_u32 v166, s4, v15
	v_mul_lo_u32 v40, v25, s15
	v_mul_lo_u32 v42, v26, s15
	v_mul_lo_u32 v44, v29, s15
	v_mul_lo_u32 v46, v33, s15
	v_mul_lo_u32 v48, v36, s15
	v_mul_lo_u32 v50, v50, s15
	v_mul_lo_u32 v52, v52, s15
	v_mul_lo_u32 v54, v54, s15
	v_mul_lo_u32 v56, v21, s15
	v_mul_lo_u32 v58, v20, s15
	v_mul_lo_u32 v60, v5, s15
	v_mul_lo_u32 v62, v62, s15
	v_mul_lo_u32 v64, v64, s15
	v_mul_lo_u32 v66, v66, s15
	v_mul_lo_u32 v68, v68, s15
	v_mul_lo_u32 v70, v70, s15
	v_mul_lo_u32 v72, v31, s15
	v_mul_lo_u32 v74, v74, s15
	v_mul_lo_u32 v76, v76, s15
	v_mul_lo_u32 v78, v28, s15
	s_mul_i32 s10, s15, s14
	v_add_nc_u32_e32 v159, 0x7280, v23
	v_dual_lshrrev_b32 v168, 3, v18 :: v_dual_add_nc_u32 v169, v22, v4
	v_dual_add_nc_u32 v170, v22, v6 :: v_dual_add_nc_u32 v171, v22, v7
	v_dual_add_nc_u32 v173, v22, v9 :: v_dual_add_nc_u32 v174, v22, v14
	;; [unrolled: 1-line block ×3, first 2 shown]
	v_add_nc_u32_e32 v177, 0x4200, v0
	v_add_nc_u32_e32 v178, 0x6e00, v16
	;; [unrolled: 1-line block ×9, first 2 shown]
	v_mov_b64_e32 v[36:37], 0
	v_mov_b64_e32 v[6:7], 0
	;; [unrolled: 1-line block ×16, first 2 shown]
	s_ashr_i32 s11, s10, 31
	v_mul_u32_u24_e32 v186, 0x84, v35
	v_lshl_add_u32 v187, v11, 4, 0x7280
	v_mad_u32_u24 v188, 0x84, v35, 64
	s_mul_u64 s[10:11], s[10:11], 20
	s_mov_b32 s5, 0
	s_add_nc_u64 s[0:1], s[0:1], s[10:11]
	s_add_co_i32 s7, s15, 3
	s_mov_b32 s4, s5
	s_branch .LBB120_7
.LBB120_6:                              ;   in Loop: Header=BB120_7 Depth=1
	s_add_co_i32 s4, s4, 8
	s_add_co_i32 s7, s7, -8
	s_cmp_ge_i32 s4, s15
	s_cbranch_scc1 .LBB120_14
.LBB120_7:                              ; =>This Loop Header: Depth=1
                                        ;     Child Loop BB120_9 Depth 2
                                        ;     Child Loop BB120_12 Depth 2
	s_mul_u64 s[10:11], s[4:5], 20
	s_cmp_gt_u32 s7, 3
	s_add_nc_u64 s[10:11], s[0:1], s[10:11]
	s_wait_xcnt 0x0
	v_mad_nc_u64_u32 v[80:81], v10, 20, s[10:11]
	s_delay_alu instid0(VALU_DEP_1) | instskip(NEXT) | instid1(VALU_DEP_1)
	v_mad_nc_i64_i32 v[82:83], v40, 20, v[80:81]
	v_add_nc_u64_e32 v[82:83], v[82:83], v[12:13]
	global_load_b32 v82, v[82:83], off offset:4
	s_wait_loadcnt 0x0
	ds_store_b32 v45, v82
	s_wait_xcnt 0x0
	v_mad_nc_i64_i32 v[82:83], v42, 20, v[80:81]
	s_delay_alu instid0(VALU_DEP_1)
	v_add_nc_u64_e32 v[82:83], v[82:83], v[12:13]
	global_load_b32 v82, v[82:83], off offset:4
	s_wait_loadcnt 0x0
	ds_store_b32 v47, v82
	s_wait_xcnt 0x0
	v_mad_nc_i64_i32 v[82:83], v44, 20, v[80:81]
	s_delay_alu instid0(VALU_DEP_1)
	;; [unrolled: 7-line block ×13, first 2 shown]
	v_add_nc_u64_e32 v[82:83], v[82:83], v[12:13]
	global_load_b32 v82, v[82:83], off offset:4
	s_wait_loadcnt 0x0
	ds_store_b32 v156, v82
	s_wait_xcnt 0x0
	v_mad_nc_i64_i32 v[82:83], v68, 20, v[80:81]
	v_mad_nc_i64_i32 v[80:81], v70, 20, v[80:81]
	s_delay_alu instid0(VALU_DEP_2) | instskip(NEXT) | instid1(VALU_DEP_2)
	v_add_nc_u64_e32 v[82:83], v[82:83], v[12:13]
	v_add_nc_u64_e32 v[80:81], v[80:81], v[12:13]
	s_clause 0x1
	global_load_b32 v82, v[82:83], off offset:4
	global_load_b32 v80, v[80:81], off offset:4
	s_wait_loadcnt 0x1
	ds_store_b32 v157, v82
	s_wait_loadcnt 0x0
	ds_store_b32 v158, v80
	s_wait_xcnt 0x0
	v_mad_nc_u64_u32 v[80:81], v34, 20, s[10:11]
	s_delay_alu instid0(VALU_DEP_1)
	v_mad_nc_i64_i32 v[82:83], v72, 20, v[80:81]
	global_load_b32 v82, v[82:83], off
	s_wait_loadcnt 0x0
	ds_store_b32 v61, v82
	s_wait_xcnt 0x0
	v_mad_nc_i64_i32 v[82:83], v74, 20, v[80:81]
	global_load_b32 v82, v[82:83], off
	s_wait_loadcnt 0x0
	ds_store_b32 v63, v82
	s_wait_xcnt 0x0
	v_mad_nc_i64_i32 v[82:83], v76, 20, v[80:81]
	v_mad_nc_i64_i32 v[80:81], v78, 20, v[80:81]
	s_clause 0x1
	global_load_b32 v82, v[82:83], off
	global_load_b32 v80, v[80:81], off
	s_wait_loadcnt 0x1
	ds_store_b32 v65, v82
	s_wait_loadcnt 0x0
	ds_store_b32 v67, v80
	s_cbranch_scc0 .LBB120_6
; %bb.8:                                ;   in Loop: Header=BB120_7 Depth=1
	s_wait_xcnt 0x1
	v_dual_add_nc_u32 v189, s4, v57 :: v_dual_add_nc_u32 v82, s4, v43
	v_dual_mov_b32 v193, v182 :: v_dual_mov_b32 v195, v178
	v_dual_mov_b32 v196, v186 :: v_dual_mov_b32 v190, v177
	s_wait_xcnt 0x0
	s_delay_alu instid0(VALU_DEP_3) | instskip(SKIP_3) | instid1(VALU_DEP_3)
	v_add_nc_u32_e32 v80, v82, v160
	s_mov_b32 s10, -4
	v_dual_mov_b32 v191, v187 :: v_dual_mov_b32 v192, v184
	v_mov_b32_e32 v194, v180
	v_mad_nc_i64_i32 v[80:81], v80, 36, v[38:39]
	global_load_b32 v80, v[80:81], off offset:4
	s_wait_loadcnt 0x0
	ds_store_b32 v176, v80
	s_wait_xcnt 0x0
	v_add_nc_u32_e32 v80, v82, v161
	s_delay_alu instid0(VALU_DEP_1)
	v_mad_nc_i64_i32 v[80:81], v80, 36, v[38:39]
	global_load_b32 v80, v[80:81], off offset:4
	s_wait_loadcnt 0x0
	ds_store_b32 v169, v80
	s_wait_xcnt 0x0
	v_add_nc_u32_e32 v80, v82, v162
	s_delay_alu instid0(VALU_DEP_1)
	;; [unrolled: 7-line block ×7, first 2 shown]
	v_mad_nc_i64_i32 v[80:81], v80, 36, v[38:39]
	global_load_b32 v80, v[80:81], off offset:4
	s_wait_loadcnt 0x0
	ds_store_b32 v175, v80
	s_wait_xcnt 0x0
	v_mad_nc_u64_u32 v[80:81], v189, 36, s[2:3]
	global_load_b32 v80, v[80:81], off
	s_wait_loadcnt 0x0
	ds_store_b32 v159, v80
	s_wait_dscnt 0x0
	s_barrier_signal -1
	s_barrier_wait -1
.LBB120_9:                              ;   Parent Loop BB120_7 Depth=1
                                        ; =>  This Inner Loop Header: Depth=2
	ds_load_2addr_b32 v[82:83], v190 offset1:3
	s_wait_xcnt 0x0
	ds_load_2addr_b32 v[80:81], v190 offset0:4 offset1:7
	ds_load_2addr_b32 v[86:87], v190 offset0:1 offset1:2
	;; [unrolled: 1-line block ×3, first 2 shown]
	ds_load_b32 v197, v192
	ds_load_b32 v198, v193
	;; [unrolled: 1-line block ×3, first 2 shown]
	ds_load_2addr_b32 v[88:89], v196 offset0:2 offset1:3
	ds_load_b32 v200, v195
	ds_load_2addr_b32 v[90:91], v191 offset1:32
	ds_load_2addr_b32 v[136:137], v191 offset0:128 offset1:160
	ds_load_2addr_b32 v[150:151], v191 offset0:64 offset1:96
	;; [unrolled: 1-line block ×3, first 2 shown]
	ds_load_2addr_b32 v[236:237], v196 offset1:1
	v_add_nc_u32_e32 v92, 0x2100, v196
	v_add_nc_u32_e32 v93, 0x2108, v196
	;; [unrolled: 1-line block ×21, first 2 shown]
	s_set_vgpr_msb 64                       ;  msbs: dst=1 src0=0 src1=0 src2=0
	v_add_nc_u32_e32 v2 /*v258*/, 0xc00, v190
	v_add_nc_u32_e32 v3 /*v259*/, 0x1800, v190
	;; [unrolled: 1-line block ×3, first 2 shown]
	s_set_vgpr_msb 0                        ;  msbs: dst=0 src0=0 src1=0 src2=0
	v_add_nc_u32_e32 v201, 0x1814, v190
	v_add_nc_u32_e32 v202, 0x1c04, v190
	;; [unrolled: 1-line block ×3, first 2 shown]
	ds_load_2addr_b32 v[242:243], v92 offset1:1
	ds_load_2addr_b32 v[142:143], v93 offset1:1
	;; [unrolled: 1-line block ×5, first 2 shown]
	ds_load_2addr_b32 v[144:145], v96 offset0:4 offset1:7
	ds_load_2addr_b32 v[138:139], v97 offset1:1
	ds_load_2addr_b32 v[132:133], v98 offset1:1
	ds_load_2addr_b32 v[120:121], v99 offset0:4 offset1:7
	ds_load_2addr_b32 v[118:119], v100 offset0:4 offset1:7
	ds_load_2addr_b32 v[130:131], v102 offset1:1
	ds_load_2addr_b32 v[128:129], v104 offset1:1
	;; [unrolled: 1-line block ×8, first 2 shown]
	s_set_vgpr_msb 1                        ;  msbs: dst=0 src0=1 src1=0 src2=0
	ds_load_2addr_b32 v[92:93], v2 /*v258*/ offset0:4 offset1:7
	ds_load_2addr_b32 v[96:97], v3 /*v259*/ offset0:4 offset1:7
	s_set_vgpr_msb 0                        ;  msbs: dst=0 src0=0 src1=0 src2=0
	ds_load_2addr_b32 v[148:149], v107 offset1:1
	ds_load_2addr_b32 v[146:147], v108 offset1:1
	;; [unrolled: 1-line block ×4, first 2 shown]
	ds_load_2addr_b32 v[122:123], v110 offset0:4 offset1:7
	ds_load_2addr_b32 v[106:107], v110 offset1:3
	s_set_vgpr_msb 1                        ;  msbs: dst=0 src0=1 src1=0 src2=0
	ds_load_2addr_b32 v[98:99], v4 /*v260*/ offset0:4 offset1:7
	s_set_vgpr_msb 0                        ;  msbs: dst=0 src0=0 src1=0 src2=0
	ds_load_2addr_b32 v[112:113], v112 offset1:1
	ds_load_2addr_b32 v[104:105], v201 offset1:1
	ds_load_2addr_b32 v[110:111], v202 offset1:1
	ds_load_2addr_b32 v[100:101], v203 offset1:1
	s_wait_dscnt 0x2a
	s_set_vgpr_msb 64                       ;  msbs: dst=1 src0=0 src1=0 src2=0
	v_bfe_i32 v9 /*v265*/, v86, 0, 8
	v_bfe_i32 v10 /*v266*/, v86, 8, 8
	;; [unrolled: 1-line block ×3, first 2 shown]
	s_wait_dscnt 0x29
	s_set_vgpr_msb 0                        ;  msbs: dst=0 src0=0 src1=0 src2=0
	v_dual_ashrrev_i32 v86, 24, v86 :: v_dual_ashrrev_i32 v247, 24, v84
	s_set_vgpr_msb 64                       ;  msbs: dst=1 src0=0 src1=0 src2=0
	v_bfe_i32 v12 /*v268*/, v84, 0, 8
	v_bfe_i32 v13 /*v269*/, v84, 8, 8
	s_set_vgpr_msb 0                        ;  msbs: dst=0 src0=0 src1=0 src2=0
	v_bfe_i32 v249, v84, 16, 8
	v_bfe_i32 v234, v87, 0, 8
	v_bfe_i32 v233, v87, 8, 8
	v_bfe_i32 v204, v87, 16, 8
	v_dual_ashrrev_i32 v205, 24, v87 :: v_dual_ashrrev_i32 v217, 24, v85
	v_bfe_i32 v201, v85, 8, 8
	v_bfe_i32 v202, v85, 0, 8
	;; [unrolled: 1-line block ×5, first 2 shown]
	v_ashrrev_i32_e32 v227, 24, v83
	v_bfe_i32 v228, v83, 16, 8
	s_set_vgpr_msb 64                       ;  msbs: dst=1 src0=0 src1=0 src2=0
	v_bfe_i32 v15 /*v271*/, v81, 0, 8
	v_bfe_i32 v18 /*v274*/, v81, 8, 8
	;; [unrolled: 1-line block ×3, first 2 shown]
	s_wait_dscnt 0x1f
	v_dual_ashrrev_i32 v54 /*v310*/, 24, v81 :: v_dual_bitop2_b32 v80 /*v336*/, 15, v236 bitop3:0x40
	s_set_vgpr_msb 0                        ;  msbs: dst=0 src0=0 src1=0 src2=0
	v_pk_mul_f16 v83, v199, v91
	v_pk_mul_f16 v84, v90, v199
	;; [unrolled: 1-line block ×4, first 2 shown]
	s_set_vgpr_msb 64                       ;  msbs: dst=1 src0=0 src1=0 src2=0
	v_pk_mul_f16 v14 /*v270*/, v199, v137
	v_pk_mul_f16 v16 /*v272*/, v199, v136
	;; [unrolled: 1-line block ×4, first 2 shown]
	s_set_vgpr_msb 0                        ;  msbs: dst=0 src0=0 src1=0 src2=0
	v_pk_mul_f16 v223, v90, v197
	v_pk_mul_f16 v214, v90, v198
	;; [unrolled: 1-line block ×12, first 2 shown]
	s_set_vgpr_msb 64                       ;  msbs: dst=1 src0=0 src1=0 src2=0
	v_pk_mul_f16 v145 /*v401*/, v198, v136
	s_set_vgpr_msb 0                        ;  msbs: dst=0 src0=0 src1=0 src2=0
	v_pk_mul_f16 v220, v197, v137
	s_set_vgpr_msb 64                       ;  msbs: dst=1 src0=0 src1=0 src2=0
	v_pk_mul_f16 v146 /*v402*/, v198, v137
	s_set_vgpr_msb 0                        ;  msbs: dst=0 src0=0 src1=0 src2=0
	v_pk_mul_f16 v215, v197, v152
	v_pk_mul_f16 v218, v197, v153
	;; [unrolled: 1-line block ×4, first 2 shown]
	s_set_vgpr_msb 64                       ;  msbs: dst=1 src0=0 src1=0 src2=0
	v_pk_mul_f16 v147 /*v403*/, v199, v152
	v_pk_mul_f16 v153 /*v409*/, v199, v153
	;; [unrolled: 1-line block ×4, first 2 shown]
	v_bfe_u32 v88 /*v344*/, v236, 8, 4
	v_bfe_u32 v93 /*v349*/, v236, 16, 4
	;; [unrolled: 1-line block ×3, first 2 shown]
	s_set_vgpr_msb 0                        ;  msbs: dst=0 src0=0 src1=0 src2=0
	v_lshrrev_b32_e32 v81, 28, v236
	v_bfe_u32 v90, v236, 4, 4
	v_bfe_u32 v91, v236, 20, 4
	s_set_vgpr_msb 64                       ;  msbs: dst=1 src0=0 src1=0 src2=0
	v_bfe_u32 v73 /*v329*/, v89, 20, 4
	s_set_vgpr_msb 0                        ;  msbs: dst=0 src0=0 src1=0 src2=0
	v_dual_lshrrev_b32 v236, 4, v236 :: v_dual_bitop2_b32 v230, 15, v89 bitop3:0x40
	v_bfe_u32 v229, v89, 16, 4
	s_wait_dscnt 0x1d
	v_dual_lshrrev_b32 v200, 28, v88 :: v_dual_bitop2_b32 v253, 15, v142 bitop3:0x40
	v_bfe_u32 v225, v89, 24, 4
	s_set_vgpr_msb 64                       ;  msbs: dst=1 src0=0 src1=0 src2=0
	v_dual_lshrrev_b32 v19 /*v275*/, 4, v88 :: v_dual_lshrrev_b32 v5 /*v261*/, 28, v89
	v_and_b32_e32 v28 /*v284*/, 0xf0f0f0f, v89
	v_bfe_u32 v7 /*v263*/, v89, 4, 4
	v_bfe_u32 v75 /*v331*/, v89, 12, 4
	s_set_vgpr_msb 0                        ;  msbs: dst=0 src0=0 src1=0 src2=0
	v_bfe_u32 v89, v242, 20, 4
	s_set_vgpr_msb 64                       ;  msbs: dst=1 src0=0 src1=0 src2=0
	v_dual_lshrrev_b32 v8 /*v264*/, 28, v242 :: v_dual_bitop2_b32 v61 /*v317*/, 15, v242 bitop3:0x40
	v_bfe_u32 v64 /*v320*/, v242, 8, 4
	s_set_vgpr_msb 0                        ;  msbs: dst=0 src0=0 src1=0 src2=0
	v_bfe_u32 v254, v242, 4, 4
	v_bfe_u32 v255, v242, 12, 4
	s_set_vgpr_msb 64                       ;  msbs: dst=1 src0=0 src1=0 src2=0
	v_bfe_u32 v37 /*v293*/, v142, 8, 4
	s_set_vgpr_msb 0                        ;  msbs: dst=0 src0=0 src1=0 src2=0
	v_bfe_u32 v240, v142, 24, 4
	v_bfe_u32 v241, v142, 16, 4
	;; [unrolled: 1-line block ×4, first 2 shown]
	v_lshrrev_b32_e32 v197, 28, v142
	v_bfe_u32 v153, v142, 20, 4
	s_wait_dscnt 0x19
	s_set_vgpr_msb 64                       ;  msbs: dst=1 src0=0 src1=0 src2=0
	v_bfe_i32 v38 /*v294*/, v144, 8, 8
	s_set_vgpr_msb 0                        ;  msbs: dst=0 src0=0 src1=0 src2=0
	v_bfe_u32 v142, v242, 24, 4
	s_set_vgpr_msb 64                       ;  msbs: dst=1 src0=0 src1=0 src2=0
	v_bfe_u32 v90 /*v346*/, v242, 16, 4
	s_wait_dscnt 0x18
	s_set_vgpr_msb 0                        ;  msbs: dst=0 src0=0 src1=0 src2=0
	v_bfe_u32 v242, v138, 12, 4
	v_bfe_i32 v232, v82, 0, 8
	s_set_vgpr_msb 64                       ;  msbs: dst=1 src0=0 src1=0 src2=0
	v_bfe_u32 v29 /*v285*/, v243, 20, 4
	v_dual_lshrrev_b32 v36 /*v292*/, 28, v243 :: v_dual_bitop2_b32 v30 /*v286*/, 15, v243 bitop3:0x40
	v_bfe_u32 v21 /*v277*/, v243, 8, 4
	v_bfe_u32 v31 /*v287*/, v243, 16, 4
	;; [unrolled: 1-line block ×5, first 2 shown]
	s_set_vgpr_msb 0                        ;  msbs: dst=0 src0=0 src1=0 src2=0
	v_bfe_i32 v243, v144, 0, 8
	s_set_vgpr_msb 64                       ;  msbs: dst=1 src0=0 src1=0 src2=0
	v_bfe_i32 v39 /*v295*/, v144, 16, 8
	s_set_vgpr_msb 0                        ;  msbs: dst=0 src0=0 src1=0 src2=0
	v_ashrrev_i32_e32 v144, 24, v144
	s_set_vgpr_msb 64                       ;  msbs: dst=1 src0=0 src1=0 src2=0
	v_bfe_i32 v40 /*v296*/, v244, 0, 8
	v_bfe_i32 v41 /*v297*/, v244, 8, 8
	;; [unrolled: 1-line block ×3, first 2 shown]
	v_dual_ashrrev_i32 v43 /*v299*/, 24, v244 :: v_dual_ashrrev_i32 v47 /*v303*/, 24, v154
	v_dual_ashrrev_i32 v1 /*v257*/, 24, v245 :: v_dual_lshrrev_b32 v50 /*v306*/, 28, v138
	s_set_vgpr_msb 0                        ;  msbs: dst=0 src0=0 src1=0 src2=0
	v_bfe_u32 v244, v138, 4, 4
	s_set_vgpr_msb 64                       ;  msbs: dst=1 src0=0 src1=0 src2=0
	v_bfe_u32 v49 /*v305*/, v138, 20, 4
	s_wait_dscnt 0x16
	v_dual_ashrrev_i32 v58 /*v314*/, 24, v120 :: v_dual_bitop2_b32 v69 /*v325*/, 15, v138 bitop3:0x40
	s_wait_dscnt 0x15
	v_bfe_i32 v59 /*v315*/, v118, 8, 8
	s_set_vgpr_msb 0x41                     ;  msbs: dst=1 src0=1 src1=0 src2=0
	v_mul_i32_i24_e32 v118 /*v374*/, v38 /*v294*/, v242
	s_set_vgpr_msb 0                        ;  msbs: dst=0 src0=0 src1=0 src2=0
	v_bfe_i32 v235, v82, 8, 8
	v_bfe_i32 v246, v82, 16, 8
	v_ashrrev_i32_e32 v82, 24, v82
	v_pk_mul_f16 v207, v199, v150
	v_bfe_i32 v150, v245, 0, 8
	s_set_vgpr_msb 64                       ;  msbs: dst=1 src0=0 src1=0 src2=0
	v_bfe_i32 v0 /*v256*/, v245, 8, 8
	s_set_vgpr_msb 0                        ;  msbs: dst=0 src0=0 src1=0 src2=0
	v_bfe_i32 v238, v245, 16, 8
	s_set_vgpr_msb 64                       ;  msbs: dst=1 src0=0 src1=0 src2=0
	v_bfe_u32 v70 /*v326*/, v138, 8, 4
	v_bfe_u32 v92 /*v348*/, v138, 16, 4
	s_set_vgpr_msb 0                        ;  msbs: dst=0 src0=0 src1=0 src2=0
	v_bfe_u32 v138, v138, 24, 4
	s_set_vgpr_msb 64                       ;  msbs: dst=1 src0=0 src1=0 src2=0
	v_dual_ashrrev_i32 v63 /*v319*/, 24, v118 :: v_dual_bitop2_b32 v53 /*v309*/, 15, v139 bitop3:0x40
	s_set_vgpr_msb 0                        ;  msbs: dst=0 src0=0 src1=0 src2=0
	v_bfe_i32 v245, v120, 8, 8
	s_set_vgpr_msb 64                       ;  msbs: dst=1 src0=0 src1=0 src2=0
	v_bfe_i32 v60 /*v316*/, v118, 0, 8
	v_bfe_i32 v62 /*v318*/, v118, 16, 8
	s_set_vgpr_msb 0x41                     ;  msbs: dst=1 src0=1 src1=0 src2=0
	v_mul_i32_i24_e32 v71 /*v327*/, v80 /*v336*/, v232
	s_wait_dscnt 0xe
	s_set_vgpr_msb 64                       ;  msbs: dst=1 src0=0 src1=0 src2=0
	v_bfe_u32 v78 /*v334*/, v134, 12, 4
	s_wait_dscnt 0xc
	v_bfe_i32 v83 /*v339*/, v92, 8, 8
	s_set_vgpr_msb 0x41                     ;  msbs: dst=1 src0=1 src1=0 src2=0
	v_mul_i32_i24_e32 v112 /*v368*/, v38 /*v294*/, v255
	s_set_vgpr_msb 0x45                     ;  msbs: dst=1 src0=1 src1=1 src2=0
	v_mul_i32_i24_e32 v119 /*v375*/, v39 /*v295*/, v49 /*v305*/
	s_set_vgpr_msb 0x44                     ;  msbs: dst=1 src0=0 src1=1 src2=0
	v_mul_i32_i24_e32 v120 /*v376*/, v144, v50 /*v306*/
	s_set_vgpr_msb 0x41                     ;  msbs: dst=1 src0=1 src1=0 src2=0
	v_mul_i32_i24_e32 v122 /*v378*/, v69 /*v325*/, v232
	v_mul_i32_i24_e32 v128 /*v384*/, v59 /*v315*/, v255
	s_set_vgpr_msb 0x50                     ;  msbs: dst=1 src0=0 src1=0 src2=1
	v_mad_i32_i24 v118 /*v374*/, v243, v244, v118 /*v374*/
	s_set_vgpr_msb 0                        ;  msbs: dst=0 src0=0 src1=0 src2=0
	v_bfe_i32 v250, v80, 0, 8
	v_bfe_i32 v251, v80, 8, 8
	s_set_vgpr_msb 64                       ;  msbs: dst=1 src0=0 src1=0 src2=0
	v_bfe_i32 v6 /*v262*/, v80, 16, 8
	s_set_vgpr_msb 0                        ;  msbs: dst=0 src0=0 src1=0 src2=0
	v_ashrrev_i32_e32 v80, 24, v80
	s_set_vgpr_msb 64                       ;  msbs: dst=1 src0=0 src1=0 src2=0
	v_bfe_i32 v56 /*v312*/, v120, 0, 8
	v_bfe_i32 v57 /*v313*/, v120, 16, 8
	s_set_vgpr_msb 0x41                     ;  msbs: dst=1 src0=1 src1=0 src2=0
	v_mul_i32_i24_e32 v72 /*v328*/, v93 /*v349*/, v246
	v_mul_i32_i24_e32 v77 /*v333*/, v121 /*v377*/, v82
	s_set_vgpr_msb 64                       ;  msbs: dst=1 src0=0 src1=0 src2=0
	v_bfe_u32 v79 /*v335*/, v134, 4, 4
	v_bfe_u32 v81 /*v337*/, v134, 20, 4
	s_wait_dscnt 0xa
	v_dual_lshrrev_b32 v82 /*v338*/, 28, v134 :: v_dual_ashrrev_i32 v91 /*v347*/, 24, v148
	v_bfe_i32 v84 /*v340*/, v92, 0, 8
	v_bfe_i32 v85 /*v341*/, v92, 16, 8
	s_set_vgpr_msb 0                        ;  msbs: dst=0 src0=0 src1=0 src2=0
	v_dual_ashrrev_i32 v92, 24, v92 :: v_dual_bitop2_b32 v120, 15, v134 bitop3:0x40
	s_set_vgpr_msb 0x41                     ;  msbs: dst=1 src0=1 src1=0 src2=0
	v_mul_i32_i24_e32 v113 /*v369*/, v61 /*v317*/, v232
	v_mul_i32_i24_e32 v114 /*v370*/, v39 /*v295*/, v89
	s_set_vgpr_msb 0x44                     ;  msbs: dst=1 src0=0 src1=1 src2=0
	v_mul_i32_i24_e32 v115 /*v371*/, v144, v8 /*v264*/
	s_set_vgpr_msb 0x41                     ;  msbs: dst=1 src0=1 src1=0 src2=0
	v_mul_i32_i24_e32 v123 /*v379*/, v92 /*v348*/, v246
	s_set_vgpr_msb 64                       ;  msbs: dst=1 src0=0 src1=0 src2=0
	v_mul_i32_i24_e32 v124 /*v380*/, v138, v82
	v_mul_i32_i24_e32 v125 /*v381*/, v245, v255
	s_set_vgpr_msb 0x51                     ;  msbs: dst=1 src0=1 src1=0 src2=1
	v_mul_i32_i24_e32 v129 /*v385*/, v62 /*v318*/, v89
	v_mad_i32_i24 v71 /*v327*/, v88 /*v344*/, v235, v71 /*v327*/
	s_set_vgpr_msb 0x45                     ;  msbs: dst=1 src0=1 src1=1 src2=0
	v_mul_i32_i24_e32 v130 /*v386*/, v63 /*v319*/, v8 /*v264*/
	s_set_vgpr_msb 0x50                     ;  msbs: dst=1 src0=0 src1=0 src2=1
	v_mul_i32_i24_e32 v131 /*v387*/, v245, v242
	v_mad_i32_i24 v112 /*v368*/, v243, v254, v112 /*v368*/
	s_set_vgpr_msb 0x55                     ;  msbs: dst=1 src0=1 src1=1 src2=1
	v_add3_u32 v118 /*v374*/, v118 /*v374*/, v119 /*v375*/, v120 /*v376*/
	v_mul_i32_i24_e32 v119 /*v375*/, v83 /*v339*/, v78 /*v334*/
	s_set_vgpr_msb 0x51                     ;  msbs: dst=1 src0=1 src1=0 src2=1
	v_mad_i32_i24 v122 /*v378*/, v70 /*v326*/, v235, v122 /*v378*/
	v_mad_i32_i24 v128 /*v384*/, v60 /*v316*/, v254, v128 /*v384*/
	s_set_vgpr_msb 64                       ;  msbs: dst=1 src0=0 src1=0 src2=0
	v_bfe_i32 v86 /*v342*/, v96, 8, 8
	s_set_vgpr_msb 0x41                     ;  msbs: dst=1 src0=1 src1=0 src2=0
	v_mul_i32_i24_e32 v116 /*v372*/, v90 /*v346*/, v246
	s_set_vgpr_msb 64                       ;  msbs: dst=1 src0=0 src1=0 src2=0
	v_mul_i32_i24_e32 v117 /*v373*/, v142, v82
	s_set_vgpr_msb 0x41                     ;  msbs: dst=1 src0=1 src1=0 src2=0
	v_mul_i32_i24_e32 v126 /*v382*/, v57 /*v313*/, v89
	s_set_vgpr_msb 0x55                     ;  msbs: dst=1 src0=1 src1=1 src2=1
	v_mul_i32_i24_e32 v127 /*v383*/, v58 /*v314*/, v8 /*v264*/
	v_mul_i32_i24_e32 v132 /*v388*/, v57 /*v313*/, v49 /*v305*/
	v_mul_i32_i24_e32 v133 /*v389*/, v58 /*v314*/, v50 /*v306*/
	v_add3_u32 v71 /*v327*/, v71 /*v327*/, v72 /*v328*/, v77 /*v333*/
	s_set_vgpr_msb 0x41                     ;  msbs: dst=1 src0=1 src1=0 src2=0
	v_mul_i32_i24_e32 v72 /*v328*/, v59 /*v315*/, v242
	s_set_vgpr_msb 0x55                     ;  msbs: dst=1 src0=1 src1=1 src2=1
	v_add3_u32 v112 /*v368*/, v112 /*v368*/, v114 /*v370*/, v115 /*v371*/
	v_mul_i32_i24_e32 v115 /*v371*/, v38 /*v294*/, v78 /*v334*/
	s_set_vgpr_msb 0x51                     ;  msbs: dst=1 src0=1 src1=0 src2=1
	v_mad_i32_i24 v113 /*v369*/, v64 /*v320*/, v235, v113 /*v369*/
	s_set_vgpr_msb 0x55                     ;  msbs: dst=1 src0=1 src1=1 src2=1
	v_mul_i32_i24_e32 v120 /*v376*/, v85 /*v341*/, v81 /*v337*/
	v_add3_u32 v122 /*v378*/, v122 /*v378*/, v123 /*v379*/, v124 /*v380*/
	s_set_vgpr_msb 0x44                     ;  msbs: dst=1 src0=0 src1=1 src2=0
	v_mul_i32_i24_e32 v123 /*v379*/, v92, v82 /*v338*/
	s_set_vgpr_msb 0x51                     ;  msbs: dst=1 src0=1 src1=0 src2=1
	v_mul_i32_i24_e32 v124 /*v380*/, v83 /*v339*/, v255
	v_mad_i32_i24 v125 /*v381*/, v56 /*v312*/, v254, v125 /*v381*/
	s_set_vgpr_msb 0x55                     ;  msbs: dst=1 src0=1 src1=1 src2=1
	v_add3_u32 v128 /*v384*/, v128 /*v384*/, v129 /*v385*/, v130 /*v386*/
	s_set_vgpr_msb 0x51                     ;  msbs: dst=1 src0=1 src1=0 src2=1
	v_mul_i32_i24_e32 v129 /*v385*/, v83 /*v339*/, v242
	v_mad_i32_i24 v131 /*v387*/, v56 /*v312*/, v244, v131 /*v387*/
	s_set_vgpr_msb 0x55                     ;  msbs: dst=1 src0=1 src1=1 src2=1
	v_mad_i32_i24 v119 /*v375*/, v84 /*v340*/, v79 /*v335*/, v119 /*v375*/
	s_set_vgpr_msb 64                       ;  msbs: dst=1 src0=0 src1=0 src2=0
	v_bfe_i32 v87 /*v343*/, v96, 0, 8
	v_bfe_i32 v89 /*v345*/, v96, 16, 8
	s_set_vgpr_msb 0                        ;  msbs: dst=0 src0=0 src1=0 src2=0
	v_ashrrev_i32_e32 v96, 24, v96
	s_set_vgpr_msb 0x55                     ;  msbs: dst=1 src0=1 src1=1 src2=1
	v_mul_i32_i24_e32 v77 /*v333*/, v62 /*v318*/, v49 /*v305*/
	v_mul_i32_i24_e32 v114 /*v370*/, v63 /*v319*/, v50 /*v306*/
	v_add3_u32 v113 /*v369*/, v113 /*v369*/, v116 /*v372*/, v117 /*v373*/
	v_mul_i32_i24_e32 v116 /*v372*/, v39 /*v295*/, v81 /*v337*/
	s_set_vgpr_msb 0x44                     ;  msbs: dst=1 src0=0 src1=1 src2=0
	v_mul_i32_i24_e32 v117 /*v373*/, v144, v82 /*v338*/
	s_set_vgpr_msb 0x55                     ;  msbs: dst=1 src0=1 src1=1 src2=1
	v_add3_u32 v125 /*v381*/, v125 /*v381*/, v126 /*v382*/, v127 /*v383*/
	s_set_vgpr_msb 0x41                     ;  msbs: dst=1 src0=1 src1=0 src2=0
	v_mul_i32_i24_e32 v126 /*v382*/, v85 /*v341*/, v89
	s_set_vgpr_msb 0x44                     ;  msbs: dst=1 src0=0 src1=1 src2=0
	v_mul_i32_i24_e32 v127 /*v383*/, v92, v8 /*v264*/
	s_set_vgpr_msb 0x55                     ;  msbs: dst=1 src0=1 src1=1 src2=1
	v_mul_i32_i24_e32 v130 /*v386*/, v85 /*v341*/, v49 /*v305*/
	v_add3_u32 v131 /*v387*/, v131 /*v387*/, v132 /*v388*/, v133 /*v389*/
	s_set_vgpr_msb 0x44                     ;  msbs: dst=1 src0=0 src1=1 src2=0
	v_mul_i32_i24_e32 v132 /*v388*/, v92, v50 /*v306*/
	v_mul_i32_i24_e32 v133 /*v389*/, v245, v78 /*v334*/
	s_set_vgpr_msb 0x51                     ;  msbs: dst=1 src0=1 src1=0 src2=1
	v_mad_i32_i24 v72 /*v328*/, v60 /*v316*/, v244, v72 /*v328*/
	s_set_vgpr_msb 0x54                     ;  msbs: dst=1 src0=0 src1=1 src2=1
	v_mad_i32_i24 v115 /*v371*/, v243, v79 /*v335*/, v115 /*v371*/
	s_set_vgpr_msb 0x55                     ;  msbs: dst=1 src0=1 src1=1 src2=1
	v_add3_u32 v119 /*v375*/, v119 /*v375*/, v120 /*v376*/, v123 /*v379*/
	v_mul_i32_i24_e32 v123 /*v379*/, v86 /*v342*/, v78 /*v334*/
	s_set_vgpr_msb 0x51                     ;  msbs: dst=1 src0=1 src1=0 src2=1
	v_mad_i32_i24 v124 /*v380*/, v84 /*v340*/, v254, v124 /*v380*/
	v_mad_i32_i24 v129 /*v385*/, v84 /*v340*/, v244, v129 /*v385*/
	s_set_vgpr_msb 64                       ;  msbs: dst=1 src0=0 src1=0 src2=0
	v_bfe_u32 v22 /*v278*/, v237, 24, 4
	s_wait_dscnt 0x4
	v_bfe_i32 v107 /*v363*/, v98, 8, 8
	v_bfe_i32 v108 /*v364*/, v98, 0, 8
	;; [unrolled: 1-line block ×3, first 2 shown]
	s_set_vgpr_msb 0                        ;  msbs: dst=0 src0=0 src1=0 src2=0
	v_ashrrev_i32_e32 v98, 24, v98
	s_set_vgpr_msb 0x55                     ;  msbs: dst=1 src0=1 src1=1 src2=1
	v_add3_u32 v72 /*v328*/, v72 /*v328*/, v77 /*v333*/, v114 /*v370*/
	v_mul_i32_i24_e32 v77 /*v333*/, v57 /*v313*/, v81 /*v337*/
	v_mul_i32_i24_e32 v114 /*v370*/, v58 /*v314*/, v82 /*v338*/
	v_add3_u32 v115 /*v371*/, v115 /*v371*/, v116 /*v372*/, v117 /*v373*/
	v_mul_i32_i24_e32 v116 /*v372*/, v59 /*v315*/, v78 /*v334*/
	v_add3_u32 v124 /*v380*/, v124 /*v380*/, v126 /*v382*/, v127 /*v383*/
	v_mul_i32_i24_e32 v126 /*v382*/, v89 /*v345*/, v81 /*v337*/
	s_set_vgpr_msb 0x44                     ;  msbs: dst=1 src0=0 src1=1 src2=0
	v_mul_i32_i24_e32 v127 /*v383*/, v96, v82 /*v338*/
	s_set_vgpr_msb 0x55                     ;  msbs: dst=1 src0=1 src1=1 src2=1
	v_add3_u32 v129 /*v385*/, v129 /*v385*/, v130 /*v386*/, v132 /*v388*/
	s_set_vgpr_msb 0x41                     ;  msbs: dst=1 src0=1 src1=0 src2=0
	v_mul_i32_i24_e32 v130 /*v386*/, v86 /*v342*/, v255
	s_set_vgpr_msb 0x55                     ;  msbs: dst=1 src0=1 src1=1 src2=1
	v_mad_i32_i24 v133 /*v389*/, v56 /*v312*/, v79 /*v335*/, v133 /*v389*/
	v_mad_i32_i24 v123 /*v379*/, v87 /*v343*/, v79 /*v335*/, v123 /*v379*/
	s_set_vgpr_msb 64                       ;  msbs: dst=1 src0=0 src1=0 src2=0
	v_dual_lshrrev_b32 v23 /*v279*/, 28, v237 :: v_dual_bitop2_b32 v24 /*v280*/, 15, v237 bitop3:0x40
	s_set_vgpr_msb 0                        ;  msbs: dst=0 src0=0 src1=0 src2=0
	v_bfe_u32 v239, v88, 24, 4
	s_set_vgpr_msb 64                       ;  msbs: dst=1 src0=0 src1=0 src2=0
	v_dual_ashrrev_i32 v94 /*v350*/, 24, v122 :: v_dual_ashrrev_i32 v98 /*v354*/, 24, v149
	v_dual_ashrrev_i32 v97 /*v353*/, 24, v146 :: v_dual_ashrrev_i32 v134 /*v390*/, 24, v108
	v_bfe_i32 v99 /*v355*/, v148, 0, 8
	s_set_vgpr_msb 0x45                     ;  msbs: dst=1 src0=1 src1=1 src2=0
	v_mul_i32_i24_e32 v117 /*v373*/, v62 /*v318*/, v81 /*v337*/
	v_mul_i32_i24_e32 v120 /*v376*/, v63 /*v319*/, v82 /*v338*/
	s_set_vgpr_msb 0x41                     ;  msbs: dst=1 src0=1 src1=0 src2=0
	v_mul_i32_i24_e32 v132 /*v388*/, v89 /*v345*/, v89
	s_set_vgpr_msb 0x55                     ;  msbs: dst=1 src0=1 src1=1 src2=1
	v_add3_u32 v77 /*v333*/, v133 /*v389*/, v77 /*v333*/, v114 /*v370*/
	s_set_vgpr_msb 0x44                     ;  msbs: dst=1 src0=0 src1=1 src2=0
	v_mul_i32_i24_e32 v114 /*v370*/, v96, v8 /*v264*/
	s_set_vgpr_msb 0x41                     ;  msbs: dst=1 src0=1 src1=0 src2=0
	v_mul_i32_i24_e32 v133 /*v389*/, v86 /*v342*/, v242
	s_set_vgpr_msb 0x55                     ;  msbs: dst=1 src0=1 src1=1 src2=1
	v_mad_i32_i24 v116 /*v372*/, v60 /*v316*/, v79 /*v335*/, v116 /*v372*/
	v_add3_u32 v123 /*v379*/, v123 /*v379*/, v126 /*v382*/, v127 /*v383*/
	v_mul_i32_i24_e32 v126 /*v382*/, v91 /*v347*/, v22 /*v278*/
	s_set_vgpr_msb 0x51                     ;  msbs: dst=1 src0=1 src1=0 src2=1
	v_mad_i32_i24 v130 /*v386*/, v87 /*v343*/, v254, v130 /*v386*/
	s_set_vgpr_msb 64                       ;  msbs: dst=1 src0=0 src1=0 src2=0
	v_bfe_u32 v25 /*v281*/, v237, 4, 4
	s_set_vgpr_msb 0                        ;  msbs: dst=0 src0=0 src1=0 src2=0
	v_dual_lshrrev_b32 v252, 4, v237 :: v_dual_bitop2_b32 v199, 15, v88 bitop3:0x40
	s_set_vgpr_msb 64                       ;  msbs: dst=1 src0=0 src1=0 src2=0
	v_bfe_u32 v26 /*v282*/, v237, 16, 4
	s_set_vgpr_msb 0                        ;  msbs: dst=0 src0=0 src1=0 src2=0
	v_bfe_u32 v118, v134, 8, 4
	s_set_vgpr_msb 64                       ;  msbs: dst=1 src0=0 src1=0 src2=0
	v_bfe_u32 v95 /*v351*/, v134, 16, 4
	s_set_vgpr_msb 0                        ;  msbs: dst=0 src0=0 src1=0 src2=0
	v_bfe_u32 v134, v134, 24, 4
	s_set_vgpr_msb 64                       ;  msbs: dst=1 src0=0 src1=0 src2=0
	v_bfe_i32 v100 /*v356*/, v122, 0, 8
	v_bfe_i32 v101 /*v357*/, v146, 0, 8
	;; [unrolled: 1-line block ×5, first 2 shown]
	s_set_vgpr_msb 0x55                     ;  msbs: dst=1 src0=1 src1=1 src2=1
	v_add3_u32 v116 /*v372*/, v116 /*v372*/, v117 /*v373*/, v120 /*v376*/
	v_mul_i32_i24_e32 v117 /*v373*/, v89 /*v345*/, v49 /*v305*/
	s_set_vgpr_msb 0x44                     ;  msbs: dst=1 src0=0 src1=1 src2=0
	v_mul_i32_i24_e32 v120 /*v376*/, v96, v50 /*v306*/
	s_set_vgpr_msb 0                        ;  msbs: dst=0 src0=0 src1=0 src2=0
	v_mul_i32_i24_e32 v232, v120, v232
	s_set_vgpr_msb 0x55                     ;  msbs: dst=1 src0=1 src1=1 src2=1
	v_mul_i32_i24_e32 v127 /*v383*/, v97 /*v353*/, v23 /*v279*/
	v_add3_u32 v114 /*v370*/, v130 /*v386*/, v132 /*v388*/, v114 /*v370*/
	s_set_vgpr_msb 0x41                     ;  msbs: dst=1 src0=1 src1=0 src2=0
	v_mul_i32_i24_e32 v130 /*v386*/, v98 /*v354*/, v239
	s_set_vgpr_msb 0x45                     ;  msbs: dst=1 src0=1 src1=1 src2=0
	v_mul_i32_i24_e32 v132 /*v388*/, v99 /*v355*/, v24 /*v280*/
	s_set_vgpr_msb 0x51                     ;  msbs: dst=1 src0=1 src1=0 src2=1
	v_mad_i32_i24 v133 /*v389*/, v87 /*v343*/, v244, v133 /*v389*/
	v_mad_i32_i24 v126 /*v382*/, v94 /*v350*/, v81, v126 /*v382*/
	s_set_vgpr_msb 64                       ;  msbs: dst=1 src0=0 src1=0 src2=0
	v_bfe_u32 v27 /*v283*/, v237, 20, 4
	s_set_vgpr_msb 0                        ;  msbs: dst=0 src0=0 src1=0 src2=0
	v_bfe_u32 v231, v88, 16, 4
	s_set_vgpr_msb 64                       ;  msbs: dst=1 src0=0 src1=0 src2=0
	v_bfe_i32 v104 /*v360*/, v122, 16, 8
	v_bfe_i32 v105 /*v361*/, v146, 16, 8
	;; [unrolled: 1-line block ×6, first 2 shown]
	s_set_vgpr_msb 1                        ;  msbs: dst=0 src0=1 src1=0 src2=0
	v_mul_i32_i24_e32 v246, v95 /*v351*/, v246
	s_set_vgpr_msb 0                        ;  msbs: dst=0 src0=0 src1=0 src2=0
	v_mul_i32_i24_e32 v82, v134, v82
	s_set_vgpr_msb 0x55                     ;  msbs: dst=1 src0=1 src1=1 src2=1
	v_add3_u32 v117 /*v373*/, v133 /*v389*/, v117 /*v373*/, v120 /*v376*/
	v_mul_i32_i24_e32 v120 /*v376*/, v101 /*v357*/, v25 /*v281*/
	s_set_vgpr_msb 0x41                     ;  msbs: dst=1 src0=1 src1=0 src2=0
	v_mul_i32_i24_e32 v133 /*v389*/, v102 /*v358*/, v199
	s_set_vgpr_msb 0                        ;  msbs: dst=0 src0=0 src1=0 src2=0
	v_mad_i32_i24 v232, v118, v235, v232
	s_set_vgpr_msb 5                        ;  msbs: dst=0 src0=1 src1=1 src2=0
	v_mul_i32_i24_e32 v235, v103 /*v359*/, v26 /*v282*/
	s_set_vgpr_msb 0x55                     ;  msbs: dst=1 src0=1 src1=1 src2=1
	v_add3_u32 v126 /*v382*/, v126 /*v382*/, v127 /*v383*/, v130 /*v386*/
	v_mul_i32_i24_e32 v127 /*v383*/, v96 /*v352*/, v93 /*v349*/
	s_set_vgpr_msb 0x51                     ;  msbs: dst=1 src0=1 src1=0 src2=1
	v_mad_i32_i24 v132 /*v388*/, v100 /*v356*/, v90, v132 /*v388*/
	s_set_vgpr_msb 0                        ;  msbs: dst=0 src0=0 src1=0 src2=0
	v_add3_u32 v82, v232, v246, v82
	s_set_vgpr_msb 5                        ;  msbs: dst=0 src0=1 src1=1 src2=0
	v_mul_i32_i24_e32 v232, v105 /*v361*/, v27 /*v283*/
	s_set_vgpr_msb 1                        ;  msbs: dst=0 src0=1 src1=0 src2=0
	v_mul_i32_i24_e32 v246, v106 /*v362*/, v231
	s_set_vgpr_msb 0x55                     ;  msbs: dst=1 src0=1 src1=1 src2=1
	v_mul_i32_i24_e32 v130 /*v386*/, v32 /*v288*/, v73 /*v329*/
	v_add3_u32 v120 /*v376*/, v132 /*v388*/, v120 /*v376*/, v133 /*v389*/
	v_mul_i32_i24_e32 v132 /*v388*/, v76 /*v332*/, v80 /*v336*/
	v_mul_i32_i24_e32 v133 /*v389*/, v107 /*v363*/, v78 /*v334*/
	s_set_vgpr_msb 1                        ;  msbs: dst=0 src0=1 src1=0 src2=0
	v_mad_i32_i24 v235, v104 /*v360*/, v91, v235
	s_set_vgpr_msb 0x55                     ;  msbs: dst=1 src0=1 src1=1 src2=1
	v_mad_i32_i24 v127 /*v383*/, v74 /*v330*/, v88 /*v344*/, v127 /*v383*/
	s_set_vgpr_msb 64                       ;  msbs: dst=1 src0=0 src1=0 src2=0
	v_bfe_u32 v51 /*v307*/, v139, 8, 4
	v_bfe_u32 v52 /*v308*/, v139, 24, 4
	s_set_vgpr_msb 0x55                     ;  msbs: dst=1 src0=1 src1=1 src2=1
	v_mad_i32_i24 v133 /*v389*/, v108 /*v364*/, v79 /*v335*/, v133 /*v389*/
	s_set_vgpr_msb 0                        ;  msbs: dst=0 src0=0 src1=0 src2=0
	v_add3_u32 v235, v235, v232, v246
	s_set_vgpr_msb 5                        ;  msbs: dst=0 src0=1 src1=1 src2=0
	v_mul_i32_i24_e32 v232, v109 /*v365*/, v81 /*v337*/
	s_set_vgpr_msb 4                        ;  msbs: dst=0 src0=0 src1=1 src2=0
	v_mul_i32_i24_e32 v246, v98, v82 /*v338*/
	s_set_vgpr_msb 0x55                     ;  msbs: dst=1 src0=1 src1=1 src2=1
	v_add3_u32 v127 /*v383*/, v130 /*v386*/, v132 /*v388*/, v127 /*v383*/
	s_set_vgpr_msb 0x41                     ;  msbs: dst=1 src0=1 src1=0 src2=0
	v_mul_i32_i24_e32 v130 /*v386*/, v107 /*v363*/, v255
	v_mul_i32_i24_e32 v132 /*v388*/, v109 /*v365*/, v89
	s_set_vgpr_msb 64                       ;  msbs: dst=1 src0=0 src1=0 src2=0
	v_bfe_i32 v65 /*v321*/, v130, 8, 8
	s_set_vgpr_msb 1                        ;  msbs: dst=0 src0=1 src1=0 src2=0
	v_add3_u32 v246, v133 /*v389*/, v232, v246
	s_set_vgpr_msb 4                        ;  msbs: dst=0 src0=0 src1=1 src2=0
	v_mul_i32_i24_e32 v232, v98, v8 /*v264*/
	s_set_vgpr_msb 0x51                     ;  msbs: dst=1 src0=1 src1=0 src2=1
	v_mul_i32_i24_e32 v133 /*v389*/, v107 /*v363*/, v242
	v_mad_i32_i24 v130 /*v386*/, v108 /*v364*/, v254, v130 /*v386*/
	v_dual_ashrrev_i32 v66 /*v322*/, 24, v130 :: v_dual_ashrrev_i32 v68 /*v324*/, 24, v128
	s_set_vgpr_msb 64                       ;  msbs: dst=1 src0=0 src1=0 src2=0
	v_bfe_i32 v67 /*v323*/, v128, 8, 8
	s_set_vgpr_msb 0x51                     ;  msbs: dst=1 src0=1 src1=0 src2=1
	v_mad_i32_i24 v133 /*v389*/, v108 /*v364*/, v244, v133 /*v389*/
	s_set_vgpr_msb 0x45                     ;  msbs: dst=1 src0=1 src1=1 src2=0
	v_add3_u32 v130 /*v386*/, v130 /*v386*/, v132 /*v388*/, v232
	s_set_vgpr_msb 5                        ;  msbs: dst=0 src0=1 src1=1 src2=0
	v_mul_i32_i24_e32 v232, v109 /*v365*/, v49 /*v305*/
	s_set_vgpr_msb 0x44                     ;  msbs: dst=1 src0=0 src1=1 src2=0
	v_mul_i32_i24_e32 v132 /*v388*/, v98, v50 /*v306*/
	s_set_vgpr_msb 0                        ;  msbs: dst=0 src0=0 src1=0 src2=0
	v_lshrrev_b16 v122, 8, v122
	s_set_vgpr_msb 64                       ;  msbs: dst=1 src0=0 src1=0 src2=0
	v_bfe_u32 v110 /*v366*/, v135, 8, 4
	v_bfe_u32 v111 /*v367*/, v135, 24, 4
	s_wait_dscnt 0x3
	v_bfe_i32 v136 /*v392*/, v112, 8, 8
	s_set_vgpr_msb 0x51                     ;  msbs: dst=1 src0=1 src1=0 src2=1
	v_add3_u32 v132 /*v388*/, v133 /*v389*/, v232, v132 /*v388*/
	s_set_vgpr_msb 5                        ;  msbs: dst=0 src0=1 src1=1 src2=0
	v_mul_i32_i24_e32 v232, v41 /*v297*/, v21 /*v277*/
	s_set_vgpr_msb 0x45                     ;  msbs: dst=1 src0=1 src1=1 src2=0
	v_mul_i32_i24_e32 v133 /*v389*/, v43 /*v299*/, v33 /*v289*/
	s_set_vgpr_msb 64                       ;  msbs: dst=1 src0=0 src1=0 src2=0
	v_bfe_i32 v135 /*v391*/, v122, 0, 8
	v_ashrrev_i32_e32 v137 /*v393*/, 24, v112
	v_bfe_i32 v138 /*v394*/, v130, 16, 8
	s_set_vgpr_msb 0                        ;  msbs: dst=0 src0=0 src1=0 src2=0
	v_and_b32_e32 v237, 0xf0f0f0f, v237
	s_set_vgpr_msb 0x45                     ;  msbs: dst=1 src0=1 src1=1 src2=0
	v_add3_u32 v112 /*v368*/, v112 /*v368*/, v133 /*v389*/, v232
	s_set_vgpr_msb 0                        ;  msbs: dst=0 src0=0 src1=0 src2=0
	v_mul_i32_i24_e32 v232, v254, v250
	s_set_vgpr_msb 64                       ;  msbs: dst=1 src0=0 src1=0 src2=0
	v_mul_i32_i24_e32 v133 /*v389*/, v255, v251
	s_set_vgpr_msb 1                        ;  msbs: dst=0 src0=1 src1=0 src2=0
	v_mul_i32_i24_e32 v122, v135 /*v391*/, v255
	v_lshrrev_b16 v237, 8, v237
	s_set_vgpr_msb 64                       ;  msbs: dst=1 src0=0 src1=0 src2=0
	v_bfe_i32 v44 /*v300*/, v154, 0, 8
	v_bfe_i32 v45 /*v301*/, v154, 8, 8
	s_set_vgpr_msb 0x45                     ;  msbs: dst=1 src0=1 src1=1 src2=0
	v_add3_u32 v113 /*v369*/, v113 /*v369*/, v133 /*v389*/, v232
	s_set_vgpr_msb 5                        ;  msbs: dst=0 src0=1 src1=1 src2=0
	v_mul_i32_i24_e32 v232, v41 /*v297*/, v51 /*v307*/
	s_set_vgpr_msb 0x45                     ;  msbs: dst=1 src0=1 src1=1 src2=0
	v_mul_i32_i24_e32 v133 /*v389*/, v43 /*v299*/, v52 /*v308*/
	s_set_vgpr_msb 1                        ;  msbs: dst=0 src0=1 src1=0 src2=0
	v_mad_i32_i24 v122, v100 /*v356*/, v254, v122
	s_set_vgpr_msb 5                        ;  msbs: dst=0 src0=1 src1=1 src2=0
	v_mul_i32_i24_e32 v254, v94 /*v350*/, v82 /*v338*/
	s_set_vgpr_msb 64                       ;  msbs: dst=1 src0=0 src1=0 src2=0
	v_bfe_i32 v46 /*v302*/, v154, 16, 8
	s_set_vgpr_msb 0                        ;  msbs: dst=0 src0=0 src1=0 src2=0
	v_bfe_i32 v154, v155, 0, 8
	s_set_vgpr_msb 0x45                     ;  msbs: dst=1 src0=1 src1=1 src2=0
	v_add3_u32 v118 /*v374*/, v118 /*v374*/, v133 /*v389*/, v232
	s_set_vgpr_msb 0                        ;  msbs: dst=0 src0=0 src1=0 src2=0
	v_mul_i32_i24_e32 v232, v244, v250
	s_set_vgpr_msb 64                       ;  msbs: dst=1 src0=0 src1=0 src2=0
	v_mul_i32_i24_e32 v133 /*v389*/, v242, v251
	s_set_vgpr_msb 1                        ;  msbs: dst=0 src0=1 src1=0 src2=0
	v_mul_i32_i24_e32 v242, v135 /*v391*/, v242
	s_set_vgpr_msb 0                        ;  msbs: dst=0 src0=0 src1=0 src2=0
	v_bfe_i32 v146, v146, 8, 8
	v_bfe_i32 v255, v155, 16, 8
	v_bfe_u32 v211, v88, 20, 4
	s_set_vgpr_msb 0x45                     ;  msbs: dst=1 src0=1 src1=1 src2=0
	v_add3_u32 v122 /*v378*/, v122 /*v378*/, v133 /*v389*/, v232
	s_set_vgpr_msb 5                        ;  msbs: dst=0 src0=1 src1=1 src2=0
	v_mul_i32_i24_e32 v232, v65 /*v321*/, v21 /*v277*/
	s_set_vgpr_msb 0x45                     ;  msbs: dst=1 src0=1 src1=1 src2=0
	v_mul_i32_i24_e32 v133 /*v389*/, v66 /*v322*/, v33 /*v289*/
	s_set_vgpr_msb 1                        ;  msbs: dst=0 src0=1 src1=0 src2=0
	v_mad_i32_i24 v242, v100 /*v356*/, v244, v242
	s_set_vgpr_msb 5                        ;  msbs: dst=0 src0=1 src1=1 src2=0
	v_mul_i32_i24_e32 v244, v135 /*v391*/, v78 /*v334*/
	s_set_vgpr_msb 0                        ;  msbs: dst=0 src0=0 src1=0 src2=0
	v_bfe_u32 v203, v88, 4, 4
	s_set_vgpr_msb 64                       ;  msbs: dst=1 src0=0 src1=0 src2=0
	v_bfe_u32 v55 /*v311*/, v139, 16, 4
	s_set_vgpr_msb 0x45                     ;  msbs: dst=1 src0=1 src1=1 src2=0
	v_add3_u32 v125 /*v381*/, v125 /*v381*/, v133 /*v389*/, v232
	s_set_vgpr_msb 5                        ;  msbs: dst=0 src0=1 src1=1 src2=0
	v_mul_i32_i24_e32 v232, v67 /*v323*/, v21 /*v277*/
	s_set_vgpr_msb 0x45                     ;  msbs: dst=1 src0=1 src1=1 src2=0
	v_mul_i32_i24_e32 v133 /*v389*/, v68 /*v324*/, v33 /*v289*/
	s_set_vgpr_msb 5                        ;  msbs: dst=0 src0=1 src1=1 src2=0
	v_mad_i32_i24 v244, v100 /*v356*/, v79 /*v335*/, v244
	s_set_vgpr_msb 0                        ;  msbs: dst=0 src0=0 src1=0 src2=0
	v_mul_i32_i24_e32 v144, v81, v144
	v_mul_i32_i24_e32 v92, v81, v92
	;; [unrolled: 1-line block ×3, first 2 shown]
	s_set_vgpr_msb 0x45                     ;  msbs: dst=1 src0=1 src1=1 src2=0
	v_add3_u32 v128 /*v384*/, v128 /*v384*/, v133 /*v389*/, v232
	s_set_vgpr_msb 5                        ;  msbs: dst=0 src0=1 src1=1 src2=0
	v_mul_i32_i24_e32 v232, v65 /*v321*/, v51 /*v307*/
	s_set_vgpr_msb 0x45                     ;  msbs: dst=1 src0=1 src1=1 src2=0
	v_mul_i32_i24_e32 v133 /*v389*/, v66 /*v322*/, v52 /*v308*/
	s_set_vgpr_msb 0                        ;  msbs: dst=0 src0=0 src1=0 src2=0
	v_mul_i32_i24_e32 v98, v81, v98
	v_and_b32_e32 v88, 0xf0f0f0f, v88
	v_bfe_i32 v149, v149, 8, 8
	s_set_vgpr_msb 64                       ;  msbs: dst=1 src0=0 src1=0 src2=0
	v_lshrrev_b32_e32 v139 /*v395*/, 28, v135
	s_set_vgpr_msb 0x45                     ;  msbs: dst=1 src0=1 src1=1 src2=0
	v_add3_u32 v131 /*v387*/, v131 /*v387*/, v133 /*v389*/, v232
	s_set_vgpr_msb 5                        ;  msbs: dst=0 src0=1 src1=1 src2=0
	v_mul_i32_i24_e32 v232, v67 /*v323*/, v51 /*v307*/
	s_set_vgpr_msb 0x45                     ;  msbs: dst=1 src0=1 src1=1 src2=0
	v_mul_i32_i24_e32 v133 /*v389*/, v68 /*v324*/, v52 /*v308*/
	s_set_vgpr_msb 0                        ;  msbs: dst=0 src0=0 src1=0 src2=0
	v_lshrrev_b16 v88, 8, v88
	v_bfe_u32 v208, v143, 8, 4
	s_set_vgpr_msb 64                       ;  msbs: dst=1 src0=0 src1=0 src2=0
	v_dual_ashrrev_i32 v144 /*v400*/, 24, v116 :: v_dual_ashrrev_i32 v154 /*v410*/, 24, v114
	s_set_vgpr_msb 0x45                     ;  msbs: dst=1 src0=1 src1=1 src2=0
	v_add3_u32 v72 /*v328*/, v72 /*v328*/, v133 /*v389*/, v232
	s_set_vgpr_msb 5                        ;  msbs: dst=0 src0=1 src1=1 src2=0
	v_mul_i32_i24_e32 v232, v41 /*v297*/, v110 /*v366*/
	s_set_vgpr_msb 0x45                     ;  msbs: dst=1 src0=1 src1=1 src2=0
	v_mul_i32_i24_e32 v133 /*v389*/, v43 /*v299*/, v111 /*v367*/
	s_set_vgpr_msb 64                       ;  msbs: dst=1 src0=0 src1=0 src2=0
	v_bfe_i32 v141 /*v397*/, v114, 16, 8
	v_bfe_i32 v140 /*v396*/, v116, 16, 8
	v_ashrrev_i32_e32 v155 /*v411*/, 24, v106
	s_wait_dscnt 0x1
	s_set_vgpr_msb 0                        ;  msbs: dst=0 src0=0 src1=0 src2=0
	v_bfe_i32 v106, v111, 0, 8
	s_set_vgpr_msb 0x45                     ;  msbs: dst=1 src0=1 src1=1 src2=0
	v_add3_u32 v115 /*v371*/, v115 /*v371*/, v133 /*v389*/, v232
	s_set_vgpr_msb 5                        ;  msbs: dst=0 src0=1 src1=1 src2=0
	v_mul_i32_i24_e32 v232, v104 /*v360*/, v81 /*v337*/
	s_set_vgpr_msb 64                       ;  msbs: dst=1 src0=0 src1=0 src2=0
	v_bfe_i32 v133 /*v389*/, v108, 8, 8
	v_bfe_i32 v157 /*v413*/, v93, 8, 8
	;; [unrolled: 1-line block ×3, first 2 shown]
	v_dual_lshrrev_b32 v186 /*v442*/, 16, v151 :: v_dual_lshrrev_b32 v187 /*v443*/, 16, v206
	s_set_vgpr_msb 0                        ;  msbs: dst=0 src0=0 src1=0 src2=0
	v_add3_u32 v244, v244, v232, v254
	s_set_vgpr_msb 1                        ;  msbs: dst=0 src0=1 src1=0 src2=0
	v_mul_i32_i24_e32 v232, v104 /*v360*/, v89
	s_set_vgpr_msb 5                        ;  msbs: dst=0 src0=1 src1=1 src2=0
	v_mul_i32_i24_e32 v254, v94 /*v350*/, v8 /*v264*/
	s_set_vgpr_msb 4                        ;  msbs: dst=0 src0=0 src1=1 src2=0
	v_mul_i32_i24_e32 v89, v89, v6 /*v262*/
	s_set_vgpr_msb 64                       ;  msbs: dst=1 src0=0 src1=0 src2=0
	v_bfe_i32 v159 /*v415*/, v99, 8, 8
	v_bfe_i32 v160 /*v416*/, v99, 16, 8
	v_dual_lshrrev_b32 v184 /*v440*/, 16, v210 :: v_dual_lshrrev_b32 v185 /*v441*/, 16, v207
	v_add3_u32 v100 /*v356*/, v122, v232, v254
	s_set_vgpr_msb 5                        ;  msbs: dst=0 src0=1 src1=1 src2=0
	v_mul_i32_i24_e32 v122, v104 /*v360*/, v49 /*v305*/
	v_mul_i32_i24_e32 v232, v94 /*v350*/, v50 /*v306*/
	s_set_vgpr_msb 0                        ;  msbs: dst=0 src0=0 src1=0 src2=0
	v_bfe_i32 v254, v155, 8, 8
	v_ashrrev_i32_e32 v155, 24, v155
	s_set_vgpr_msb 64                       ;  msbs: dst=1 src0=0 src1=0 src2=0
	v_dual_lshrrev_b32 v182 /*v438*/, 16, v212 :: v_dual_lshrrev_b32 v183 /*v439*/, 16, v209
	v_add3_u32 v94 /*v350*/, v242, v122, v232
	s_set_vgpr_msb 5                        ;  msbs: dst=0 src0=1 src1=1 src2=0
	v_mul_i32_i24_e32 v122, v133 /*v389*/, v110 /*v366*/
	v_mul_i32_i24_e32 v232, v134 /*v390*/, v111 /*v367*/
	s_set_vgpr_msb 0                        ;  msbs: dst=0 src0=0 src1=0 src2=0
	v_lshrrev_b16 v242, 8, v252
	v_bfe_u32 v252, v143, 24, 4
	s_set_vgpr_msb 64                       ;  msbs: dst=1 src0=0 src1=0 src2=0
	v_bfe_u32 v142 /*v398*/, v95, 20, 4
	v_bfe_i32 v143 /*v399*/, v97, 8, 8
	s_set_vgpr_msb 0x41                     ;  msbs: dst=1 src0=1 src1=0 src2=0
	v_add3_u32 v104 /*v360*/, v119 /*v375*/, v232, v122
	s_set_vgpr_msb 5                        ;  msbs: dst=0 src0=1 src1=1 src2=0
	v_mul_i32_i24_e32 v122, v133 /*v389*/, v21 /*v277*/
	v_mul_i32_i24_e32 v232, v134 /*v390*/, v33 /*v289*/
	s_set_vgpr_msb 64                       ;  msbs: dst=1 src0=0 src1=0 src2=0
	v_bfe_i32 v156 /*v412*/, v97, 16, 8
	v_dual_lshrrev_b32 v178 /*v434*/, 16, v218 :: v_dual_lshrrev_b32 v180 /*v436*/, 16, v213
	v_dual_lshrrev_b32 v179 /*v435*/, 16, v214 :: v_dual_lshrrev_b32 v181 /*v437*/, 16, v215
	s_set_vgpr_msb 0x41                     ;  msbs: dst=1 src0=1 src1=0 src2=0
	v_add3_u32 v119 /*v375*/, v124 /*v380*/, v232, v122
	s_set_vgpr_msb 5                        ;  msbs: dst=0 src0=1 src1=1 src2=0
	v_mul_i32_i24_e32 v122, v133 /*v389*/, v51 /*v307*/
	v_mul_i32_i24_e32 v232, v134 /*v390*/, v52 /*v308*/
	s_set_vgpr_msb 0x41                     ;  msbs: dst=1 src0=1 src1=0 src2=0
	v_dual_lshrrev_b32 v173 /*v429*/, 16, v226 :: v_dual_lshrrev_b32 v174 /*v430*/, 16, v223
	v_dual_lshrrev_b32 v175 /*v431*/, 16, v221 :: v_dual_lshrrev_b32 v176 /*v432*/, 16, v222
	s_delay_alu instid0(VALU_DEP_3)
	v_add3_u32 v124 /*v380*/, v129 /*v385*/, v232, v122
	s_set_vgpr_msb 5                        ;  msbs: dst=0 src0=1 src1=1 src2=0
	v_mul_i32_i24_e32 v122, v65 /*v321*/, v110 /*v366*/
	v_mul_i32_i24_e32 v232, v66 /*v322*/, v111 /*v367*/
	s_set_vgpr_msb 64                       ;  msbs: dst=1 src0=0 src1=0 src2=0
	v_bfe_i32 v129 /*v385*/, v130, 0, 8
	s_set_vgpr_msb 1                        ;  msbs: dst=0 src0=1 src1=0 src2=0
	v_mul_i32_i24_e32 v130, v79 /*v335*/, v250
	s_set_vgpr_msb 64                       ;  msbs: dst=1 src0=0 src1=0 src2=0
	v_ashrrev_i32_e32 v79 /*v335*/, 24, v147
	s_set_vgpr_msb 0x45                     ;  msbs: dst=1 src0=1 src1=1 src2=0
	v_mul_i32_i24_e32 v66 /*v322*/, v66 /*v322*/, v22 /*v278*/
	s_set_vgpr_msb 0x41                     ;  msbs: dst=1 src0=1 src1=0 src2=0
	v_add3_u32 v77 /*v333*/, v77 /*v333*/, v232, v122
	s_set_vgpr_msb 5                        ;  msbs: dst=0 src0=1 src1=1 src2=0
	v_mul_i32_i24_e32 v122, v67 /*v323*/, v110 /*v366*/
	v_mul_i32_i24_e32 v232, v68 /*v324*/, v111 /*v367*/
	s_set_vgpr_msb 0x45                     ;  msbs: dst=1 src0=1 src1=1 src2=0
	v_mul_i32_i24_e32 v68 /*v324*/, v68 /*v324*/, v22 /*v278*/
	s_set_vgpr_msb 0                        ;  msbs: dst=0 src0=0 src1=0 src2=0
	v_dual_add_nc_u32 v196, 16, v196 :: v_dual_add_nc_u32 v195, 4, v195
	v_dual_add_nc_u32 v194, 4, v194 :: v_dual_add_nc_u32 v193, 4, v193
	s_set_vgpr_msb 0x41                     ;  msbs: dst=1 src0=1 src1=0 src2=0
	v_add3_u32 v116 /*v372*/, v116 /*v372*/, v232, v122
	s_set_vgpr_msb 5                        ;  msbs: dst=0 src0=1 src1=1 src2=0
	v_mul_i32_i24_e32 v122, v136 /*v392*/, v110 /*v366*/
	v_mul_i32_i24_e32 v232, v137 /*v393*/, v111 /*v367*/
	s_set_vgpr_msb 0                        ;  msbs: dst=0 src0=0 src1=0 src2=0
	v_dual_add_nc_u32 v192, 4, v192 :: v_dual_add_nc_u32 v191, 4, v191
	v_add_nc_u32_e32 v190, 32, v190
	s_add_co_i32 s10, s10, 4
	s_set_vgpr_msb 0x41                     ;  msbs: dst=1 src0=1 src1=0 src2=0
	v_add3_u32 v123 /*v379*/, v123 /*v379*/, v232, v122
	s_set_vgpr_msb 5                        ;  msbs: dst=0 src0=1 src1=1 src2=0
	v_mul_i32_i24_e32 v122, v136 /*v392*/, v21 /*v277*/
	v_mul_i32_i24_e32 v232, v137 /*v393*/, v33 /*v289*/
	s_cmp_lt_u32 s10, 12
	s_set_vgpr_msb 0x41                     ;  msbs: dst=1 src0=1 src1=0 src2=0
	v_lshrrev_b32_e32 v177 /*v433*/, 16, v220
	s_delay_alu instid0(VALU_DEP_2) | instskip(SKIP_4) | instid1(VALU_DEP_1)
	v_add3_u32 v114 /*v370*/, v114 /*v370*/, v232, v122
	s_set_vgpr_msb 5                        ;  msbs: dst=0 src0=1 src1=1 src2=0
	v_mul_i32_i24_e32 v122, v136 /*v392*/, v51 /*v307*/
	v_mul_i32_i24_e32 v232, v137 /*v393*/, v52 /*v308*/
	s_set_vgpr_msb 0x41                     ;  msbs: dst=1 src0=1 src1=0 src2=0
	v_add3_u32 v117 /*v373*/, v117 /*v373*/, v232, v122
	s_set_vgpr_msb 1                        ;  msbs: dst=0 src0=1 src1=0 src2=0
	v_lshrrev_b16 v122, 8, v236
	v_mul_i32_i24_e32 v232, v78 /*v334*/, v251
	s_set_vgpr_msb 0                        ;  msbs: dst=0 src0=0 src1=0 src2=0
	v_mul_i32_i24_e32 v236, v90, v250
	s_set_vgpr_msb 64                       ;  msbs: dst=1 src0=0 src1=0 src2=0
	v_bfe_i32 v78 /*v334*/, v147, 0, 8
	s_set_vgpr_msb 0                        ;  msbs: dst=0 src0=0 src1=0 src2=0
	v_and_b32_e32 v122, 15, v122
	v_add3_u32 v82, v82, v232, v130
	v_bfe_i32 v130, v148, 8, 8
	s_delay_alu instid0(VALU_DEP_3) | instskip(NEXT) | instid1(VALU_DEP_1)
	v_and_b32_e32 v148, 0xffff, v122
	v_mul_i32_i24_e32 v232, v148, v245
	v_mul_i32_i24_e32 v251, v148, v251
	s_set_vgpr_msb 4                        ;  msbs: dst=0 src0=0 src1=1 src2=0
	v_mul_i32_i24_e32 v122, v148, v38 /*v294*/
	v_mul_i32_i24_e32 v245, v148, v86 /*v342*/
	s_set_vgpr_msb 64                       ;  msbs: dst=1 src0=0 src1=0 src2=0
	v_and_b32_e32 v86 /*v342*/, 0xffff, v237
	s_set_vgpr_msb 0x44                     ;  msbs: dst=1 src0=0 src1=1 src2=0
	v_mad_i32_i24 v56 /*v312*/, v90, v56 /*v312*/, v232
	s_set_vgpr_msb 4                        ;  msbs: dst=0 src0=0 src1=1 src2=0
	v_mul_i32_i24_e32 v232, v148, v59 /*v315*/
	s_set_vgpr_msb 0x41                     ;  msbs: dst=1 src0=1 src1=0 src2=0
	v_add3_u32 v71 /*v327*/, v71 /*v327*/, v251, v236
	s_set_vgpr_msb 0                        ;  msbs: dst=0 src0=0 src1=0 src2=0
	v_and_b32_e32 v236, 15, v242
	v_mad_i32_i24 v243, v90, v243, v122
	s_set_vgpr_msb 4                        ;  msbs: dst=0 src0=0 src1=1 src2=0
	v_mul_i32_i24_e32 v122, v148, v83 /*v339*/
	s_set_vgpr_msb 0x44                     ;  msbs: dst=1 src0=0 src1=1 src2=0
	v_mad_i32_i24 v59 /*v315*/, v90, v60 /*v316*/, v232
	v_mad_i32_i24 v60 /*v316*/, v90, v87 /*v343*/, v245
	s_set_vgpr_msb 64                       ;  msbs: dst=1 src0=0 src1=0 src2=0
	v_and_b32_e32 v87 /*v343*/, 0xffff, v236
	v_bfe_i32 v38 /*v294*/, v147, 16, 8
	s_set_vgpr_msb 4                        ;  msbs: dst=0 src0=0 src1=1 src2=0
	v_mad_i32_i24 v250, v90, v84 /*v340*/, v122
	v_bfe_i32 v122, v107, 16, 8
	v_mul_i32_i24_e32 v245, v148, v107 /*v363*/
	v_mul_i32_i24_e32 v236, v130, v86 /*v342*/
	s_set_vgpr_msb 1                        ;  msbs: dst=0 src0=1 src1=0 src2=0
	v_mul_i32_i24_e32 v148, v135 /*v391*/, v148
	s_set_vgpr_msb 4                        ;  msbs: dst=0 src0=0 src1=1 src2=0
	v_mul_i32_i24_e32 v237, v146, v87 /*v343*/
	v_bfe_i32 v232, v107, 0, 8
	v_mad_i32_i24 v90, v90, v108 /*v364*/, v245
	s_set_vgpr_msb 0                        ;  msbs: dst=0 src0=0 src1=0 src2=0
	v_ashrrev_i32_e32 v245, 24, v107
	s_set_vgpr_msb 64                       ;  msbs: dst=1 src0=0 src1=0 src2=0
	v_bfe_i32 v83 /*v339*/, v110, 8, 8
	s_set_vgpr_msb 0                        ;  msbs: dst=0 src0=0 src1=0 src2=0
	v_add3_u32 v148, v148, v236, v237
	s_set_vgpr_msb 1                        ;  msbs: dst=0 src0=1 src1=0 src2=0
	v_mul_i32_i24_e32 v236, v38 /*v294*/, v211
	s_set_vgpr_msb 0                        ;  msbs: dst=0 src0=0 src1=0 src2=0
	v_mul_i32_i24_e32 v237, v122, v229
	s_set_vgpr_msb 64                       ;  msbs: dst=1 src0=0 src1=0 src2=0
	v_ashrrev_i32_e32 v84 /*v340*/, 24, v110
	v_bfe_i32 v135 /*v391*/, v128, 16, 8
	s_set_vgpr_msb 0                        ;  msbs: dst=0 src0=0 src1=0 src2=0
	v_ashrrev_i32_e32 v242, 24, v141
	v_bfe_i32 v251, v145, 0, 8
	s_set_vgpr_msb 64                       ;  msbs: dst=1 src0=0 src1=0 src2=0
	v_add3_u32 v107 /*v363*/, v235, v236, v237
	s_set_vgpr_msb 1                        ;  msbs: dst=0 src0=1 src1=0 src2=0
	v_mul_i32_i24_e32 v235, v78 /*v334*/, v203
	s_set_vgpr_msb 0                        ;  msbs: dst=0 src0=0 src1=0 src2=0
	v_mul_i32_i24_e32 v236, v232, v230
	s_set_vgpr_msb 0x45                     ;  msbs: dst=1 src0=1 src1=1 src2=0
	v_mul_i32_i24_e32 v67 /*v323*/, v67 /*v323*/, v86 /*v342*/
	v_mul_i32_i24_e32 v65 /*v321*/, v65 /*v321*/, v86 /*v342*/
	s_set_vgpr_msb 0                        ;  msbs: dst=0 src0=0 src1=0 src2=0
	v_bfe_i32 v237, v141, 0, 8
	s_set_vgpr_msb 0x41                     ;  msbs: dst=1 src0=1 src1=0 src2=0
	v_add3_u32 v108 /*v364*/, v120 /*v376*/, v235, v236
	s_set_vgpr_msb 1                        ;  msbs: dst=0 src0=1 src1=0 src2=0
	v_mul_i32_i24_e32 v235, v79 /*v335*/, v200
	s_set_vgpr_msb 0                        ;  msbs: dst=0 src0=0 src1=0 src2=0
	v_mul_i32_i24_e32 v236, v245, v225
	s_set_vgpr_msb 0x41                     ;  msbs: dst=1 src0=1 src1=0 src2=0
	s_delay_alu instid0(VALU_DEP_1) | instskip(SKIP_4) | instid1(VALU_DEP_1)
	v_add3_u32 v120 /*v376*/, v126 /*v382*/, v235, v236
	s_set_vgpr_msb 5                        ;  msbs: dst=0 src0=1 src1=1 src2=0
	v_mul_i32_i24_e32 v235, v83 /*v339*/, v110 /*v366*/
	v_mul_i32_i24_e32 v236, v84 /*v340*/, v111 /*v367*/
	s_set_vgpr_msb 0                        ;  msbs: dst=0 src0=0 src1=0 src2=0
	v_add3_u32 v246, v246, v236, v235
	s_set_vgpr_msb 5                        ;  msbs: dst=0 src0=1 src1=1 src2=0
	v_mul_i32_i24_e32 v235, v83 /*v339*/, v21 /*v277*/
	v_mul_i32_i24_e32 v236, v84 /*v340*/, v33 /*v289*/
	s_set_vgpr_msb 0x41                     ;  msbs: dst=1 src0=1 src1=0 src2=0
	s_delay_alu instid0(VALU_DEP_1)
	v_add3_u32 v126 /*v382*/, v130 /*v386*/, v236, v235
	s_set_vgpr_msb 5                        ;  msbs: dst=0 src0=1 src1=1 src2=0
	v_mul_i32_i24_e32 v235, v83 /*v339*/, v51 /*v307*/
	v_mul_i32_i24_e32 v236, v84 /*v340*/, v52 /*v308*/
	s_set_vgpr_msb 0x45                     ;  msbs: dst=1 src0=1 src1=1 src2=0
	v_mul_i32_i24_e32 v83 /*v339*/, v83 /*v339*/, v86 /*v342*/
	s_set_vgpr_msb 0x41                     ;  msbs: dst=1 src0=1 src1=0 src2=0
	s_delay_alu instid0(VALU_DEP_2)
	v_add3_u32 v130 /*v386*/, v132 /*v388*/, v236, v235
	s_set_vgpr_msb 5                        ;  msbs: dst=0 src0=1 src1=1 src2=0
	v_mul_i32_i24_e32 v235, v40 /*v296*/, v30 /*v286*/
	v_mul_i32_i24_e32 v236, v42 /*v298*/, v31 /*v287*/
	s_set_vgpr_msb 64                       ;  msbs: dst=1 src0=0 src1=0 src2=0
	v_bfe_i32 v132 /*v388*/, v128, 0, 8
	s_set_vgpr_msb 1                        ;  msbs: dst=0 src0=1 src1=0 src2=0
	v_mul_i32_i24_e32 v128, v8 /*v264*/, v80
	s_set_vgpr_msb 0x41                     ;  msbs: dst=1 src0=1 src1=0 src2=0
	v_ashrrev_i32_e32 v8 /*v264*/, 24, v145
	v_add3_u32 v112 /*v368*/, v112 /*v368*/, v235, v236
	s_set_vgpr_msb 5                        ;  msbs: dst=0 src0=1 src1=1 src2=0
	v_mul_i32_i24_e32 v235, v42 /*v298*/, v55 /*v311*/
	s_set_vgpr_msb 1                        ;  msbs: dst=0 src0=1 src1=0 src2=0
	v_add3_u32 v89, v113 /*v369*/, v89, v128
	s_set_vgpr_msb 5                        ;  msbs: dst=0 src0=1 src1=1 src2=0
	v_mul_i32_i24_e32 v128, v40 /*v296*/, v53 /*v309*/
	s_set_vgpr_msb 1                        ;  msbs: dst=0 src0=1 src1=0 src2=0
	v_mul_i32_i24_e32 v236, v50 /*v306*/, v80
	s_set_vgpr_msb 64                       ;  msbs: dst=1 src0=0 src1=0 src2=0
	v_and_b32_e32 v113 /*v369*/, 15, v135
	s_set_vgpr_msb 0x45                     ;  msbs: dst=1 src0=1 src1=1 src2=0
	v_mul_i32_i24_e32 v84 /*v340*/, v84 /*v340*/, v22 /*v278*/
	s_set_vgpr_msb 1                        ;  msbs: dst=0 src0=1 src1=0 src2=0
	v_add3_u32 v128, v118 /*v374*/, v128, v235
	s_set_vgpr_msb 5                        ;  msbs: dst=0 src0=1 src1=1 src2=0
	v_mul_i32_i24_e32 v235, v49 /*v305*/, v6 /*v262*/
	s_set_vgpr_msb 64                       ;  msbs: dst=1 src0=0 src1=0 src2=0
	v_bfe_u32 v118 /*v374*/, v135, 16, 4
	s_set_vgpr_msb 0x41                     ;  msbs: dst=1 src0=1 src1=0 src2=0
	s_delay_alu instid0(VALU_DEP_2) | instskip(SKIP_4) | instid1(VALU_DEP_1)
	v_add3_u32 v49 /*v305*/, v122 /*v378*/, v235, v236
	s_set_vgpr_msb 5                        ;  msbs: dst=0 src0=1 src1=1 src2=0
	v_mul_i32_i24_e32 v235, v129 /*v385*/, v30 /*v286*/
	v_mul_i32_i24_e32 v236, v138 /*v394*/, v31 /*v287*/
	s_set_vgpr_msb 0x41                     ;  msbs: dst=1 src0=1 src1=0 src2=0
	v_add3_u32 v50 /*v306*/, v125 /*v381*/, v235, v236
	s_set_vgpr_msb 5                        ;  msbs: dst=0 src0=1 src1=1 src2=0
	v_mul_i32_i24_e32 v235, v132 /*v388*/, v30 /*v286*/
	v_mul_i32_i24_e32 v236, v135 /*v391*/, v31 /*v287*/
	s_set_vgpr_msb 0x41                     ;  msbs: dst=1 src0=1 src1=0 src2=0
	s_delay_alu instid0(VALU_DEP_1)
	v_add3_u32 v122 /*v378*/, v128 /*v384*/, v235, v236
	s_set_vgpr_msb 5                        ;  msbs: dst=0 src0=1 src1=1 src2=0
	v_mul_i32_i24_e32 v235, v129 /*v385*/, v53 /*v309*/
	v_mul_i32_i24_e32 v236, v138 /*v394*/, v55 /*v311*/
	s_set_vgpr_msb 64                       ;  msbs: dst=1 src0=0 src1=0 src2=0
	v_bfe_u32 v128 /*v384*/, v135, 4, 4
	s_set_vgpr_msb 0x41                     ;  msbs: dst=1 src0=1 src1=0 src2=0
	s_delay_alu instid0(VALU_DEP_2) | instskip(SKIP_4) | instid1(VALU_DEP_1)
	v_add3_u32 v125 /*v381*/, v131 /*v387*/, v235, v236
	s_set_vgpr_msb 5                        ;  msbs: dst=0 src0=1 src1=1 src2=0
	v_mul_i32_i24_e32 v235, v132 /*v388*/, v53 /*v309*/
	v_mul_i32_i24_e32 v236, v135 /*v391*/, v55 /*v311*/
	s_set_vgpr_msb 0x41                     ;  msbs: dst=1 src0=1 src1=0 src2=0
	v_add3_u32 v72 /*v328*/, v72 /*v328*/, v235, v236
	s_set_vgpr_msb 5                        ;  msbs: dst=0 src0=1 src1=1 src2=0
	v_mul_i32_i24_e32 v235, v40 /*v296*/, v113 /*v369*/
	v_mul_i32_i24_e32 v236, v42 /*v298*/, v118 /*v374*/
	s_set_vgpr_msb 0x41                     ;  msbs: dst=1 src0=1 src1=0 src2=0
	s_delay_alu instid0(VALU_DEP_1)
	v_add3_u32 v115 /*v371*/, v115 /*v371*/, v235, v236
	s_set_vgpr_msb 4                        ;  msbs: dst=0 src0=0 src1=1 src2=0
	v_mul_i32_i24_e32 v235, v91, v39 /*v295*/
	s_set_vgpr_msb 5                        ;  msbs: dst=0 src0=1 src1=1 src2=0
	v_mul_i32_i24_e32 v236, v91 /*v347*/, v111 /*v367*/
	s_set_vgpr_msb 0                        ;  msbs: dst=0 src0=0 src1=0 src2=0
	s_delay_alu instid0(VALU_DEP_2) | instskip(SKIP_4) | instid1(VALU_DEP_2)
	v_add3_u32 v144, v243, v235, v144
	s_set_vgpr_msb 4                        ;  msbs: dst=0 src0=0 src1=1 src2=0
	v_mul_i32_i24_e32 v235, v130, v110 /*v366*/
	v_bfe_u32 v243, v143, 16, 4
	s_set_vgpr_msb 64                       ;  msbs: dst=1 src0=0 src1=0 src2=0
	v_add3_u32 v39 /*v295*/, v244, v236, v235
	s_set_vgpr_msb 4                        ;  msbs: dst=0 src0=0 src1=1 src2=0
	v_mul_i32_i24_e32 v235, v130, v21 /*v277*/
	s_set_vgpr_msb 5                        ;  msbs: dst=0 src0=1 src1=1 src2=0
	v_mul_i32_i24_e32 v236, v91 /*v347*/, v33 /*v289*/
	s_set_vgpr_msb 4                        ;  msbs: dst=0 src0=0 src1=1 src2=0
	v_mul_i32_i24_e32 v130, v130, v51 /*v307*/
	s_set_vgpr_msb 0                        ;  msbs: dst=0 src0=0 src1=0 src2=0
	v_and_b32_e32 v244, 15, v143
	s_set_vgpr_msb 0x41                     ;  msbs: dst=1 src0=1 src1=0 src2=0
	v_add3_u32 v100 /*v356*/, v100 /*v356*/, v236, v235
	s_set_vgpr_msb 5                        ;  msbs: dst=0 src0=1 src1=1 src2=0
	v_mul_i32_i24_e32 v236, v91 /*v347*/, v52 /*v308*/
	s_set_vgpr_msb 0                        ;  msbs: dst=0 src0=0 src1=0 src2=0
	v_bfe_i32 v235, v141, 8, 8
	s_set_vgpr_msb 0x41                     ;  msbs: dst=1 src0=1 src1=0 src2=0
	s_delay_alu instid0(VALU_DEP_2)
	v_add3_u32 v91 /*v347*/, v94 /*v350*/, v236, v130
	s_set_vgpr_msb 64                       ;  msbs: dst=1 src0=0 src1=0 src2=0
	v_bfe_i32 v94 /*v350*/, v108, 0, 8
	s_set_vgpr_msb 4                        ;  msbs: dst=0 src0=0 src1=1 src2=0
	v_bfe_i32 v108, v108, 16, 8
	v_mul_i32_i24_e32 v130, v91, v85 /*v341*/
	s_delay_alu instid0(VALU_DEP_2) | instskip(SKIP_1) | instid1(VALU_DEP_2)
	v_mul_i32_i24_e32 v236, v108, v118 /*v374*/
	s_set_vgpr_msb 0                        ;  msbs: dst=0 src0=0 src1=0 src2=0
	v_add3_u32 v92, v250, v130, v92
	s_set_vgpr_msb 5                        ;  msbs: dst=0 src0=1 src1=1 src2=0
	v_mul_i32_i24_e32 v130, v94 /*v350*/, v113 /*v369*/
	s_set_vgpr_msb 4                        ;  msbs: dst=0 src0=0 src1=1 src2=0
	v_mul_i32_i24_e32 v250, v81, v63 /*v319*/
	s_set_vgpr_msb 64                       ;  msbs: dst=1 src0=0 src1=0 src2=0
	v_bfe_i32 v63 /*v319*/, v112, 16, 8
	s_set_vgpr_msb 0x41                     ;  msbs: dst=1 src0=1 src1=0 src2=0
	v_add3_u32 v85 /*v341*/, v104 /*v360*/, v130, v236
	s_set_vgpr_msb 5                        ;  msbs: dst=0 src0=1 src1=1 src2=0
	v_mul_i32_i24_e32 v130, v94 /*v350*/, v30 /*v286*/
	s_set_vgpr_msb 4                        ;  msbs: dst=0 src0=0 src1=1 src2=0
	v_mul_i32_i24_e32 v236, v108, v31 /*v287*/
	s_set_vgpr_msb 0x41                     ;  msbs: dst=1 src0=1 src1=0 src2=0
	s_delay_alu instid0(VALU_DEP_1)
	v_add3_u32 v104 /*v360*/, v119 /*v375*/, v130, v236
	s_set_vgpr_msb 5                        ;  msbs: dst=0 src0=1 src1=1 src2=0
	v_mul_i32_i24_e32 v130, v94 /*v350*/, v53 /*v309*/
	s_set_vgpr_msb 4                        ;  msbs: dst=0 src0=0 src1=1 src2=0
	v_mul_i32_i24_e32 v236, v108, v55 /*v311*/
	s_set_vgpr_msb 0x41                     ;  msbs: dst=1 src0=1 src1=0 src2=0
	s_delay_alu instid0(VALU_DEP_1)
	v_add3_u32 v119 /*v375*/, v124 /*v380*/, v130, v236
	s_set_vgpr_msb 4                        ;  msbs: dst=0 src0=0 src1=1 src2=0
	v_mul_i32_i24_e32 v130, v91, v57 /*v313*/
	v_mul_i32_i24_e32 v236, v81, v58 /*v314*/
	s_set_vgpr_msb 0                        ;  msbs: dst=0 src0=0 src1=0 src2=0
	v_mul_i32_i24_e32 v81, v81, v80
	s_set_vgpr_msb 1                        ;  msbs: dst=0 src0=1 src1=0 src2=0
	v_mul_i32_i24_e32 v80, v82 /*v338*/, v80
	s_set_vgpr_msb 64                       ;  msbs: dst=1 src0=0 src1=0 src2=0
	v_bfe_i32 v82 /*v338*/, v110, 16, 8
	s_set_vgpr_msb 0x41                     ;  msbs: dst=1 src0=1 src1=0 src2=0
	v_add3_u32 v56 /*v312*/, v56 /*v312*/, v130, v236
	s_set_vgpr_msb 5                        ;  msbs: dst=0 src0=1 src1=1 src2=0
	v_mul_i32_i24_e32 v130, v129 /*v385*/, v113 /*v369*/
	v_mul_i32_i24_e32 v236, v138 /*v394*/, v118 /*v374*/
	s_set_vgpr_msb 0x55                     ;  msbs: dst=1 src0=1 src1=1 src2=1
	v_add3_u32 v56 /*v312*/, v56 /*v312*/, v66 /*v322*/, v65 /*v321*/
	s_set_vgpr_msb 0x41                     ;  msbs: dst=1 src0=1 src1=0 src2=0
	s_delay_alu instid0(VALU_DEP_2)
	v_add3_u32 v57 /*v313*/, v77 /*v333*/, v130, v236
	s_set_vgpr_msb 4                        ;  msbs: dst=0 src0=0 src1=1 src2=0
	v_mul_i32_i24_e32 v130, v91, v62 /*v318*/
	s_set_vgpr_msb 64                       ;  msbs: dst=1 src0=0 src1=0 src2=0
	v_bfe_i32 v62 /*v318*/, v112, 0, 8
	s_set_vgpr_msb 4                        ;  msbs: dst=0 src0=0 src1=1 src2=0
	v_mul_i32_i24_e32 v112, v91, v89 /*v345*/
	v_bfe_u32 v236, v143, 4, 4
	s_set_vgpr_msb 0x41                     ;  msbs: dst=1 src0=1 src1=0 src2=0
	v_add3_u32 v58 /*v314*/, v59 /*v315*/, v130, v250
	s_set_vgpr_msb 5                        ;  msbs: dst=0 src0=1 src1=1 src2=0
	v_mul_i32_i24_e32 v130, v132 /*v388*/, v113 /*v369*/
	v_mul_i32_i24_e32 v250, v135 /*v391*/, v118 /*v374*/
	s_set_vgpr_msb 1                        ;  msbs: dst=0 src0=1 src1=0 src2=0
	v_add3_u32 v96, v60 /*v316*/, v112, v96
	s_set_vgpr_msb 5                        ;  msbs: dst=0 src0=1 src1=1 src2=0
	v_mul_i32_i24_e32 v112, v62 /*v318*/, v113 /*v369*/
	s_set_vgpr_msb 0x55                     ;  msbs: dst=1 src0=1 src1=1 src2=1
	v_add3_u32 v58 /*v314*/, v58 /*v314*/, v68 /*v324*/, v67 /*v323*/
	s_set_vgpr_msb 0x41                     ;  msbs: dst=1 src0=1 src1=0 src2=0
	v_add3_u32 v59 /*v315*/, v116 /*v372*/, v130, v250
	s_set_vgpr_msb 5                        ;  msbs: dst=0 src0=1 src1=1 src2=0
	v_mul_i32_i24_e32 v130, v63 /*v319*/, v118 /*v374*/
	s_set_vgpr_msb 64                       ;  msbs: dst=1 src0=0 src1=0 src2=0
	v_bfe_i32 v116 /*v372*/, v126, 0, 8
	s_set_vgpr_msb 0                        ;  msbs: dst=0 src0=0 src1=0 src2=0
	v_bfe_i32 v250, v141, 16, 8
	v_bfe_i32 v141, v140, 0, 8
	s_set_vgpr_msb 0x41                     ;  msbs: dst=1 src0=1 src1=0 src2=0
	v_add3_u32 v60 /*v316*/, v123 /*v379*/, v112, v130
	s_set_vgpr_msb 5                        ;  msbs: dst=0 src0=1 src1=1 src2=0
	v_mul_i32_i24_e32 v112, v62 /*v318*/, v30 /*v286*/
	v_mul_i32_i24_e32 v130, v63 /*v319*/, v31 /*v287*/
	s_set_vgpr_msb 64                       ;  msbs: dst=1 src0=0 src1=0 src2=0
	v_and_b32_e32 v123 /*v379*/, 0xffff, v88
	s_set_vgpr_msb 0x45                     ;  msbs: dst=1 src0=1 src1=1 src2=0
	v_mul_i32_i24_e32 v65 /*v321*/, v116 /*v372*/, v128 /*v384*/
	s_set_vgpr_msb 0x41                     ;  msbs: dst=1 src0=1 src1=0 src2=0
	v_add3_u32 v77 /*v333*/, v114 /*v370*/, v112, v130
	s_set_vgpr_msb 5                        ;  msbs: dst=0 src0=1 src1=1 src2=0
	v_mul_i32_i24_e32 v112, v62 /*v318*/, v53 /*v309*/
	v_mul_i32_i24_e32 v130, v63 /*v319*/, v55 /*v311*/
	s_set_vgpr_msb 4                        ;  msbs: dst=0 src0=0 src1=1 src2=0
	v_mul_i32_i24_e32 v88, v149, v123 /*v379*/
	s_set_vgpr_msb 0x41                     ;  msbs: dst=1 src0=1 src1=0 src2=0
	v_lshrrev_b32_e32 v114 /*v370*/, 28, v139
	v_add3_u32 v89 /*v345*/, v117 /*v373*/, v112, v130
	s_set_vgpr_msb 4                        ;  msbs: dst=0 src0=0 src1=1 src2=0
	v_mul_i32_i24_e32 v112, v91, v109 /*v365*/
	s_set_vgpr_msb 64                       ;  msbs: dst=1 src0=0 src1=0 src2=0
	v_bfe_i32 v117 /*v373*/, v147, 8, 8
	v_bfe_u32 v109 /*v365*/, v139, 4, 4
	s_set_vgpr_msb 0                        ;  msbs: dst=0 src0=0 src1=0 src2=0
	v_bfe_i32 v130, v140, 16, 8
	v_add3_u32 v98, v90, v112, v98
	s_set_vgpr_msb 4                        ;  msbs: dst=0 src0=0 src1=1 src2=0
	v_mul_i32_i24_e32 v90, v91, v6 /*v262*/
	s_set_vgpr_msb 5                        ;  msbs: dst=0 src0=1 src1=1 src2=0
	v_mul_i32_i24_e32 v91, v81 /*v337*/, v6 /*v262*/
	v_lshrrev_b16 v112, 8, v19 /*v275*/
	s_set_vgpr_msb 0                        ;  msbs: dst=0 src0=0 src1=0 src2=0
	v_ashrrev_i32_e32 v147, 24, v126
	s_set_vgpr_msb 64                       ;  msbs: dst=1 src0=0 src1=0 src2=0
	v_bfe_i32 v6 /*v262*/, v124, 0, 8
	s_set_vgpr_msb 1                        ;  msbs: dst=0 src0=1 src1=0 src2=0
	v_add3_u32 v81, v71 /*v327*/, v90, v81
	s_set_vgpr_msb 0                        ;  msbs: dst=0 src0=0 src1=0 src2=0
	v_add3_u32 v80, v82, v91, v80
	v_and_b32_e32 v91, 15, v112
	v_bfe_i32 v82, v110, 0, 8
	s_set_vgpr_msb 64                       ;  msbs: dst=1 src0=0 src1=0 src2=0
	v_ashrrev_i32_e32 v81 /*v337*/, 24, v124
	v_bfe_u32 v19 /*v275*/, v143, 12, 4
	s_set_vgpr_msb 0x45                     ;  msbs: dst=1 src0=1 src1=1 src2=0
	v_mul_i32_i24_e32 v67 /*v323*/, v6 /*v262*/, v128 /*v384*/
	s_set_vgpr_msb 0                        ;  msbs: dst=0 src0=0 src1=0 src2=0
	v_and_b32_e32 v110, 0xffff, v91
	s_set_vgpr_msb 0x44                     ;  msbs: dst=1 src0=0 src1=1 src2=0
	v_mul_i32_i24_e32 v66 /*v322*/, v147, v139 /*v395*/
	s_set_vgpr_msb 0x45                     ;  msbs: dst=1 src0=1 src1=1 src2=0
	v_mul_i32_i24_e32 v68 /*v324*/, v81 /*v337*/, v139 /*v395*/
	s_set_vgpr_msb 20                       ;  msbs: dst=0 src0=0 src1=1 src2=1
	v_add3_u32 v98, v98, v84 /*v340*/, v83 /*v339*/
	s_set_vgpr_msb 64                       ;  msbs: dst=1 src0=0 src1=0 src2=0
	v_bfe_u32 v83 /*v339*/, v132, 12, 4
	s_set_vgpr_msb 1                        ;  msbs: dst=0 src0=1 src1=0 src2=0
	v_mul_i32_i24_e32 v90, v117 /*v373*/, v110
	s_set_vgpr_msb 0x55                     ;  msbs: dst=1 src0=1 src1=1 src2=1
	v_add3_u32 v57 /*v313*/, v57 /*v313*/, v66 /*v322*/, v65 /*v321*/
	v_add3_u32 v59 /*v315*/, v59 /*v315*/, v68 /*v324*/, v67 /*v323*/
	s_set_vgpr_msb 64                       ;  msbs: dst=1 src0=0 src1=0 src2=0
	v_bfe_i32 v67 /*v323*/, v104, 0, 8
	v_ashrrev_i32_e32 v68 /*v324*/, 24, v104
	s_set_vgpr_msb 0                        ;  msbs: dst=0 src0=0 src1=0 src2=0
	v_add3_u32 v148, v148, v88, v90
	s_set_vgpr_msb 4                        ;  msbs: dst=0 src0=0 src1=1 src2=0
	v_mul_i32_i24_e32 v88, v82, v113 /*v369*/
	s_set_vgpr_msb 5                        ;  msbs: dst=0 src0=1 src1=1 src2=0
	v_mul_i32_i24_e32 v90, v82 /*v338*/, v118 /*v374*/
	s_set_vgpr_msb 64                       ;  msbs: dst=1 src0=0 src1=0 src2=0
	v_and_b32_e32 v65 /*v321*/, 15, v132
	v_bfe_u32 v66 /*v322*/, v132, 16, 4
	v_bfe_u32 v84 /*v340*/, v132, 20, 4
	s_set_vgpr_msb 0                        ;  msbs: dst=0 src0=0 src1=0 src2=0
	v_bfe_i32 v112, v140, 8, 8
	s_set_vgpr_msb 64                       ;  msbs: dst=1 src0=0 src1=0 src2=0
	v_add3_u32 v71 /*v327*/, v246, v88, v90
	s_set_vgpr_msb 4                        ;  msbs: dst=0 src0=0 src1=1 src2=0
	v_mul_i32_i24_e32 v88, v82, v30 /*v286*/
	s_set_vgpr_msb 5                        ;  msbs: dst=0 src0=1 src1=1 src2=0
	v_mul_i32_i24_e32 v90, v82 /*v338*/, v31 /*v287*/
	s_set_vgpr_msb 0                        ;  msbs: dst=0 src0=0 src1=0 src2=0
	v_lshrrev_b32_e32 v246, 28, v143
	s_set_vgpr_msb 0x41                     ;  msbs: dst=1 src0=1 src1=0 src2=0
	s_delay_alu instid0(VALU_DEP_2)
	v_add3_u32 v124 /*v380*/, v126 /*v382*/, v88, v90
	s_set_vgpr_msb 4                        ;  msbs: dst=0 src0=0 src1=1 src2=0
	v_mul_i32_i24_e32 v88, v82, v53 /*v309*/
	s_set_vgpr_msb 5                        ;  msbs: dst=0 src0=1 src1=1 src2=0
	v_mul_i32_i24_e32 v90, v82 /*v338*/, v55 /*v311*/
	s_set_vgpr_msb 4                        ;  msbs: dst=0 src0=0 src1=1 src2=0
	v_mul_i32_i24_e32 v82, v82, v24 /*v280*/
	s_set_vgpr_msb 0x41                     ;  msbs: dst=1 src0=1 src1=0 src2=0
	s_delay_alu instid0(VALU_DEP_2) | instskip(SKIP_4) | instid1(VALU_DEP_1)
	v_add3_u32 v126 /*v382*/, v130 /*v386*/, v88, v90
	s_set_vgpr_msb 5                        ;  msbs: dst=0 src0=1 src1=1 src2=0
	v_mul_i32_i24_e32 v88, v44 /*v300*/, v34 /*v290*/
	v_mul_i32_i24_e32 v90, v47 /*v303*/, v36 /*v292*/
	s_set_vgpr_msb 0x41                     ;  msbs: dst=1 src0=1 src1=0 src2=0
	v_add3_u32 v112 /*v368*/, v112 /*v368*/, v90, v88
	s_set_vgpr_msb 5                        ;  msbs: dst=0 src0=1 src1=1 src2=0
	v_mul_i32_i24_e32 v88, v9 /*v265*/, v30 /*v286*/
	v_mul_i32_i24_e32 v90, v10 /*v266*/, v21 /*v277*/
	s_set_vgpr_msb 64                       ;  msbs: dst=1 src0=0 src1=0 src2=0
	v_bfe_u32 v21 /*v277*/, v143, 20, 4
	s_set_vgpr_msb 0                        ;  msbs: dst=0 src0=0 src1=0 src2=0
	v_bfe_i32 v143, v145, 8, 8
	s_set_vgpr_msb 64                       ;  msbs: dst=1 src0=0 src1=0 src2=0
	v_add3_u32 v130 /*v386*/, v89, v90, v88
	s_set_vgpr_msb 5                        ;  msbs: dst=0 src0=1 src1=1 src2=0
	v_mul_i32_i24_e32 v88, v44 /*v300*/, v109 /*v365*/
	v_mul_i32_i24_e32 v89, v47 /*v303*/, v114 /*v370*/
	ds_load_2addr_b32 v[90:91], v3 /*v259*/ offset1:3
	s_set_vgpr_msb 0x45                     ;  msbs: dst=1 src0=1 src1=1 src2=0
	v_mul_i32_i24_e32 v3 /*v259*/, v103 /*v359*/, v55 /*v311*/
	s_set_vgpr_msb 64                       ;  msbs: dst=1 src0=0 src1=0 src2=0
	v_add3_u32 v131 /*v387*/, v128, v89, v88
	s_set_vgpr_msb 5                        ;  msbs: dst=0 src0=1 src1=1 src2=0
	v_mul_i32_i24_e32 v88, v9 /*v265*/, v53 /*v309*/
	v_mul_i32_i24_e32 v89, v10 /*v266*/, v51 /*v307*/
	s_set_vgpr_msb 0                        ;  msbs: dst=0 src0=0 src1=0 src2=0
	v_ashrrev_i32_e32 v128, 24, v140
	v_bfe_u32 v140, v139, 12, 4
	v_bfe_u32 v139, v139, 20, 4
	s_set_vgpr_msb 0x41                     ;  msbs: dst=1 src0=1 src1=0 src2=0
	v_add3_u32 v51 /*v307*/, v49 /*v305*/, v89, v88
	s_set_vgpr_msb 5                        ;  msbs: dst=0 src0=1 src1=1 src2=0
	v_mul_i32_i24_e32 v88, v116 /*v372*/, v34 /*v290*/
	s_set_vgpr_msb 4                        ;  msbs: dst=0 src0=0 src1=1 src2=0
	v_mul_i32_i24_e32 v89, v147, v36 /*v292*/
	s_set_vgpr_msb 64                       ;  msbs: dst=1 src0=0 src1=0 src2=0
	v_bfe_i32 v49 /*v305*/, v145, 16, 8
	s_set_vgpr_msb 0x41                     ;  msbs: dst=1 src0=1 src1=0 src2=0
	s_delay_alu instid0(VALU_DEP_2)
	v_add3_u32 v50 /*v306*/, v50 /*v306*/, v89, v88
	s_set_vgpr_msb 5                        ;  msbs: dst=0 src0=1 src1=1 src2=0
	v_mul_i32_i24_e32 v88, v6 /*v262*/, v34 /*v290*/
	v_mul_i32_i24_e32 v89, v81 /*v337*/, v36 /*v292*/
	s_wait_dscnt 0x0
	s_set_vgpr_msb 64                       ;  msbs: dst=1 src0=0 src1=0 src2=0
	v_bfe_i32 v165 /*v421*/, v90, 0, 8
	v_bfe_i32 v166 /*v422*/, v90, 8, 8
	;; [unrolled: 1-line block ×3, first 2 shown]
	v_ashrrev_i32_e32 v170 /*v426*/, 24, v90
	s_set_vgpr_msb 0x41                     ;  msbs: dst=1 src0=1 src1=0 src2=0
	v_add3_u32 v122 /*v378*/, v122 /*v378*/, v89, v88
	s_set_vgpr_msb 5                        ;  msbs: dst=0 src0=1 src1=1 src2=0
	v_mul_i32_i24_e32 v88, v116 /*v372*/, v109 /*v365*/
	s_set_vgpr_msb 4                        ;  msbs: dst=0 src0=0 src1=1 src2=0
	v_mul_i32_i24_e32 v89, v147, v114 /*v370*/
	v_mul_i32_i24_e32 v147, v147, v23 /*v279*/
	s_set_vgpr_msb 0x41                     ;  msbs: dst=1 src0=1 src1=0 src2=0
	s_delay_alu instid0(VALU_DEP_2)
	v_add3_u32 v125 /*v381*/, v125 /*v381*/, v89, v88
	s_set_vgpr_msb 5                        ;  msbs: dst=0 src0=1 src1=1 src2=0
	v_mul_i32_i24_e32 v88, v6 /*v262*/, v109 /*v365*/
	v_mul_i32_i24_e32 v89, v81 /*v337*/, v114 /*v370*/
	s_set_vgpr_msb 0x45                     ;  msbs: dst=1 src0=1 src1=1 src2=0
	v_mul_i32_i24_e32 v6 /*v262*/, v6 /*v262*/, v25 /*v281*/
	v_mul_i32_i24_e32 v81 /*v337*/, v81 /*v337*/, v23 /*v279*/
	s_set_vgpr_msb 0x41                     ;  msbs: dst=1 src0=1 src1=0 src2=0
	v_add3_u32 v72 /*v328*/, v72 /*v328*/, v89, v88
	s_set_vgpr_msb 5                        ;  msbs: dst=0 src0=1 src1=1 src2=0
	v_mul_i32_i24_e32 v88, v44 /*v300*/, v128 /*v384*/
	v_mul_i32_i24_e32 v89, v47 /*v303*/, v139 /*v395*/
	s_set_vgpr_msb 0x45                     ;  msbs: dst=1 src0=1 src1=1 src2=0
	v_mul_i32_i24_e32 v44 /*v300*/, v44 /*v300*/, v25 /*v281*/
	v_mul_i32_i24_e32 v47 /*v303*/, v47 /*v303*/, v23 /*v279*/
	s_set_vgpr_msb 0x41                     ;  msbs: dst=1 src0=1 src1=0 src2=0
	v_add3_u32 v115 /*v371*/, v115 /*v371*/, v89, v88
	s_set_vgpr_msb 5                        ;  msbs: dst=0 src0=1 src1=1 src2=0
	v_mul_i32_i24_e32 v88, v43 /*v299*/, v22 /*v278*/
	v_mul_i32_i24_e32 v89, v41 /*v297*/, v86 /*v342*/
	s_set_vgpr_msb 64                       ;  msbs: dst=1 src0=0 src1=0 src2=0
	v_ashrrev_i32_e32 v41 /*v297*/, 24, v102
	s_set_vgpr_msb 0x45                     ;  msbs: dst=1 src0=1 src1=1 src2=0
	v_mul_i32_i24_e32 v43 /*v299*/, v133 /*v389*/, v86 /*v342*/
	s_set_vgpr_msb 0                        ;  msbs: dst=0 src0=0 src1=0 src2=0
	v_add3_u32 v144, v144, v88, v89
	s_set_vgpr_msb 5                        ;  msbs: dst=0 src0=1 src1=1 src2=0
	v_mul_i32_i24_e32 v88, v99 /*v355*/, v113 /*v369*/
	v_mul_i32_i24_e32 v89, v103 /*v359*/, v118 /*v374*/
	s_set_vgpr_msb 1                        ;  msbs: dst=0 src0=1 src1=0 src2=0
	s_delay_alu instid0(VALU_DEP_1)
	v_add3_u32 v145, v39 /*v295*/, v88, v89
	s_set_vgpr_msb 5                        ;  msbs: dst=0 src0=1 src1=1 src2=0
	v_mul_i32_i24_e32 v88, v99 /*v355*/, v30 /*v286*/
	v_mul_i32_i24_e32 v89, v103 /*v359*/, v31 /*v287*/
	s_set_vgpr_msb 64                       ;  msbs: dst=1 src0=0 src1=0 src2=0
	v_bfe_i32 v39 /*v295*/, v102, 0, 8
	s_set_vgpr_msb 0x45                     ;  msbs: dst=1 src0=1 src1=1 src2=0
	v_mul_i32_i24_e32 v103 /*v359*/, v10 /*v266*/, v110 /*v366*/
	s_set_vgpr_msb 0x41                     ;  msbs: dst=1 src0=1 src1=0 src2=0
	v_add3_u32 v30 /*v286*/, v100 /*v356*/, v88, v89
	s_set_vgpr_msb 1                        ;  msbs: dst=0 src0=1 src1=0 src2=0
	ds_load_2addr_b32 v[88:89], v2 /*v258*/ offset1:3
	s_set_vgpr_msb 0x45                     ;  msbs: dst=1 src0=1 src1=1 src2=0
	v_mul_i32_i24_e32 v2 /*v258*/, v99 /*v355*/, v53 /*v309*/
	v_mul_i32_i24_e32 v99 /*v355*/, v137 /*v393*/, v22 /*v278*/
	;; [unrolled: 1-line block ×4, first 2 shown]
	s_set_vgpr_msb 64                       ;  msbs: dst=1 src0=0 src1=0 src2=0
	v_bfe_i32 v137 /*v393*/, v116, 8, 8
	s_set_vgpr_msb 0x55                     ;  msbs: dst=1 src0=1 src1=1 src2=1
	v_add3_u32 v2 /*v258*/, v91 /*v347*/, v2 /*v258*/, v3 /*v259*/
	v_mul_i32_i24_e32 v3 /*v259*/, v134 /*v390*/, v22 /*v278*/
	s_set_vgpr_msb 20                       ;  msbs: dst=0 src0=0 src1=1 src2=1
	v_add3_u32 v96, v96, v99 /*v355*/, v100 /*v356*/
	s_set_vgpr_msb 0x45                     ;  msbs: dst=1 src0=1 src1=1 src2=0
	v_mul_i32_i24_e32 v99 /*v355*/, v67 /*v323*/, v128 /*v384*/
	v_mul_i32_i24_e32 v100 /*v356*/, v68 /*v324*/, v139 /*v395*/
	s_set_vgpr_msb 64                       ;  msbs: dst=1 src0=0 src1=0 src2=0
	v_bfe_u32 v91 /*v347*/, v132, 24, 4
	s_set_vgpr_msb 20                       ;  msbs: dst=0 src0=0 src1=1 src2=1
	v_add3_u32 v92, v92, v3 /*v259*/, v43 /*v299*/
	s_set_vgpr_msb 0x55                     ;  msbs: dst=1 src0=1 src1=1 src2=1
	v_mul_i32_i24_e32 v3 /*v259*/, v39 /*v295*/, v128 /*v384*/
	v_mul_i32_i24_e32 v43 /*v299*/, v41 /*v297*/, v139 /*v395*/
	v_add3_u32 v60 /*v316*/, v60 /*v316*/, v100 /*v356*/, v99 /*v355*/
	v_mul_i32_i24_e32 v99 /*v355*/, v67 /*v323*/, v34 /*v290*/
	v_mul_i32_i24_e32 v100 /*v356*/, v68 /*v324*/, v36 /*v292*/
	s_set_vgpr_msb 64                       ;  msbs: dst=1 src0=0 src1=0 src2=0
	v_bfe_i32 v134 /*v390*/, v114, 8, 8
	s_set_vgpr_msb 0x55                     ;  msbs: dst=1 src0=1 src1=1 src2=1
	v_add3_u32 v3 /*v259*/, v85 /*v341*/, v43 /*v299*/, v3 /*v259*/
	v_mul_i32_i24_e32 v43 /*v299*/, v39 /*v295*/, v34 /*v290*/
	v_mul_i32_i24_e32 v85 /*v341*/, v41 /*v297*/, v114 /*v370*/
	v_add3_u32 v77 /*v333*/, v77 /*v333*/, v100 /*v356*/, v99 /*v355*/
	v_mul_i32_i24_e32 v99 /*v355*/, v67 /*v323*/, v109 /*v365*/
	v_mul_i32_i24_e32 v100 /*v356*/, v68 /*v324*/, v114 /*v370*/
	v_add3_u32 v43 /*v299*/, v104 /*v360*/, v53 /*v309*/, v43 /*v299*/
	v_mul_i32_i24_e32 v53 /*v309*/, v39 /*v295*/, v109 /*v365*/
	v_mul_i32_i24_e32 v39 /*v295*/, v39 /*v295*/, v25 /*v281*/
	v_mul_i32_i24_e32 v41 /*v297*/, v41 /*v297*/, v23 /*v279*/
	v_add3_u32 v89 /*v345*/, v89 /*v345*/, v100 /*v356*/, v99 /*v355*/
	s_set_vgpr_msb 64                       ;  msbs: dst=1 src0=0 src1=0 src2=0
	v_bfe_u32 v99 /*v355*/, v132, 4, 4
	s_set_vgpr_msb 0x55                     ;  msbs: dst=1 src0=1 src1=1 src2=1
	v_add3_u32 v53 /*v309*/, v119 /*v375*/, v85 /*v341*/, v53 /*v309*/
	s_set_vgpr_msb 64                       ;  msbs: dst=1 src0=0 src1=0 src2=0
	v_bfe_u32 v85 /*v341*/, v132, 8, 4
	v_lshrrev_b32_e32 v100 /*v356*/, 28, v132
	s_set_vgpr_msb 5                        ;  msbs: dst=0 src0=1 src1=1 src2=0
	v_mul_i32_i24_e32 v132, v9 /*v265*/, v113 /*v369*/
	s_set_vgpr_msb 64                       ;  msbs: dst=1 src0=0 src1=0 src2=0
	v_bfe_i32 v113 /*v369*/, v126, 8, 8
	s_set_vgpr_msb 0                        ;  msbs: dst=0 src0=0 src1=0 src2=0
	v_bfe_i32 v126, v126, 16, 8
	s_set_vgpr_msb 64                       ;  msbs: dst=1 src0=0 src1=0 src2=0
	v_bfe_i32 v119 /*v375*/, v124, 8, 8
	s_set_vgpr_msb 0                        ;  msbs: dst=0 src0=0 src1=0 src2=0
	v_bfe_i32 v124, v124, 16, 8
	s_set_vgpr_msb 0x44                     ;  msbs: dst=1 src0=0 src1=1 src2=0
	v_add3_u32 v103 /*v359*/, v80, v103 /*v359*/, v132
	s_set_vgpr_msb 5                        ;  msbs: dst=0 src0=1 src1=1 src2=0
	v_lshrrev_b16 v132, 8, v28 /*v284*/
	v_mul_i32_i24_e32 v80, v9 /*v265*/, v24 /*v280*/
	s_set_vgpr_msb 64                       ;  msbs: dst=1 src0=0 src1=0 src2=0
	v_bfe_i32 v9 /*v265*/, v107, 8, 8
	s_set_vgpr_msb 5                        ;  msbs: dst=0 src0=1 src1=1 src2=0
	v_mul_i32_i24_e32 v107, v10 /*v266*/, v86 /*v342*/
	s_set_vgpr_msb 64                       ;  msbs: dst=1 src0=0 src1=0 src2=0
	v_bfe_i32 v10 /*v266*/, v100, 0, 8
	s_set_vgpr_msb 0                        ;  msbs: dst=0 src0=0 src1=0 src2=0
	v_and_b32_e32 v132, 0xffff, v132
	s_set_vgpr_msb 64                       ;  msbs: dst=1 src0=0 src1=0 src2=0
	v_ashrrev_i32_e32 v28 /*v284*/, 24, v100
	s_set_vgpr_msb 0x45                     ;  msbs: dst=1 src0=1 src1=1 src2=0
	v_mul_i32_i24_e32 v67 /*v323*/, v67 /*v323*/, v25 /*v281*/
	s_set_vgpr_msb 0                        ;  msbs: dst=0 src0=0 src1=0 src2=0
	v_add3_u32 v107, v81, v107, v80
	s_set_vgpr_msb 64                       ;  msbs: dst=1 src0=0 src1=0 src2=0
	v_bfe_i32 v136 /*v392*/, v101, 16, 8
	s_set_vgpr_msb 1                        ;  msbs: dst=0 src0=1 src1=0 src2=0
	v_mul_i32_i24_e32 v80, v9 /*v265*/, v132
	s_set_vgpr_msb 5                        ;  msbs: dst=0 src0=1 src1=1 src2=0
	v_mul_i32_i24_e32 v81, v28 /*v284*/, v139 /*v395*/
	s_wait_dscnt 0x0
	s_set_vgpr_msb 64                       ;  msbs: dst=1 src0=0 src1=0 src2=0
	v_bfe_i32 v161 /*v417*/, v88, 0, 8
	v_bfe_i32 v162 /*v418*/, v88, 8, 8
	;; [unrolled: 1-line block ×3, first 2 shown]
	s_set_vgpr_msb 16                       ;  msbs: dst=0 src0=0 src1=0 src2=1
	v_add3_u32 v148, v148, v80, v120 /*v376*/
	s_set_vgpr_msb 5                        ;  msbs: dst=0 src0=1 src1=1 src2=0
	v_mul_i32_i24_e32 v80, v10 /*v266*/, v128 /*v384*/
	s_set_vgpr_msb 64                       ;  msbs: dst=1 src0=0 src1=0 src2=0
	v_bfe_u32 v120 /*v376*/, v135, 12, 4
	s_set_vgpr_msb 0                        ;  msbs: dst=0 src0=0 src1=0 src2=0
	v_bfe_u32 v135, v135, 20, 4
	s_set_vgpr_msb 64                       ;  msbs: dst=1 src0=0 src1=0 src2=0
	v_ashrrev_i32_e32 v168 /*v424*/, 24, v88
	v_bfe_u32 v104 /*v360*/, v133, 8, 4
	s_set_vgpr_msb 0x41                     ;  msbs: dst=1 src0=1 src1=0 src2=0
	v_add3_u32 v71 /*v327*/, v71 /*v327*/, v81, v80
	s_set_vgpr_msb 5                        ;  msbs: dst=0 src0=1 src1=1 src2=0
	v_mul_i32_i24_e32 v80, v10 /*v266*/, v34 /*v290*/
	v_mul_i32_i24_e32 v81, v28 /*v284*/, v36 /*v292*/
	s_set_vgpr_msb 0x41                     ;  msbs: dst=1 src0=1 src1=0 src2=0
	s_delay_alu instid0(VALU_DEP_1)
	v_add3_u32 v86 /*v342*/, v124 /*v380*/, v81, v80
	s_set_vgpr_msb 5                        ;  msbs: dst=0 src0=1 src1=1 src2=0
	v_mul_i32_i24_e32 v80, v10 /*v266*/, v109 /*v365*/
	v_mul_i32_i24_e32 v81, v28 /*v284*/, v114 /*v370*/
	s_set_vgpr_msb 0x45                     ;  msbs: dst=1 src0=1 src1=1 src2=0
	v_mul_i32_i24_e32 v10 /*v266*/, v10 /*v266*/, v25 /*v281*/
	s_set_vgpr_msb 64                       ;  msbs: dst=1 src0=0 src1=0 src2=0
	v_and_b32_e32 v124 /*v380*/, 15, v133
	s_set_vgpr_msb 0x45                     ;  msbs: dst=1 src0=1 src1=1 src2=0
	v_mul_i32_i24_e32 v68 /*v324*/, v68 /*v324*/, v23 /*v279*/
	s_set_vgpr_msb 0x41                     ;  msbs: dst=1 src0=1 src1=0 src2=0
	v_add3_u32 v110 /*v366*/, v126 /*v382*/, v81, v80
	s_set_vgpr_msb 5                        ;  msbs: dst=0 src0=1 src1=1 src2=0
	v_mul_i32_i24_e32 v80, v45 /*v301*/, v35 /*v291*/
	v_mul_i32_i24_e32 v81, v46 /*v302*/, v29 /*v285*/
	s_set_vgpr_msb 64                       ;  msbs: dst=1 src0=0 src1=0 src2=0
	v_bfe_i32 v126 /*v382*/, v131, 8, 8
	s_set_vgpr_msb 0x41                     ;  msbs: dst=1 src0=1 src1=0 src2=0
	s_delay_alu instid0(VALU_DEP_2)
	v_add3_u32 v112 /*v368*/, v112 /*v368*/, v80, v81
	s_set_vgpr_msb 5                        ;  msbs: dst=0 src0=1 src1=1 src2=0
	v_mul_i32_i24_e32 v80, v11 /*v267*/, v31 /*v287*/
	s_set_vgpr_msb 4                        ;  msbs: dst=0 src0=0 src1=1 src2=0
	v_mul_i32_i24_e32 v81, v86, v33 /*v289*/
	s_set_vgpr_msb 0x41                     ;  msbs: dst=1 src0=1 src1=0 src2=0
	s_delay_alu instid0(VALU_DEP_1)
	v_add3_u32 v31 /*v287*/, v130 /*v386*/, v80, v81
	s_set_vgpr_msb 1                        ;  msbs: dst=0 src0=1 src1=0 src2=0
	v_mul_i32_i24_e32 v80, v45 /*v301*/, v140
	v_mul_i32_i24_e32 v81, v46 /*v302*/, v139
	s_set_vgpr_msb 64                       ;  msbs: dst=1 src0=0 src1=0 src2=0
	v_bfe_i32 v130 /*v386*/, v129, 8, 8
	s_set_vgpr_msb 0x41                     ;  msbs: dst=1 src0=1 src1=0 src2=0
	s_delay_alu instid0(VALU_DEP_2)
	v_add3_u32 v33 /*v289*/, v131 /*v387*/, v80, v81
	s_set_vgpr_msb 5                        ;  msbs: dst=0 src0=1 src1=1 src2=0
	v_mul_i32_i24_e32 v80, v11 /*v267*/, v55 /*v311*/
	s_set_vgpr_msb 4                        ;  msbs: dst=0 src0=0 src1=1 src2=0
	v_mul_i32_i24_e32 v81, v86, v52 /*v308*/
	s_set_vgpr_msb 64                       ;  msbs: dst=1 src0=0 src1=0 src2=0
	v_bfe_i32 v131 /*v387*/, v104, 8, 8
	s_set_vgpr_msb 0                        ;  msbs: dst=0 src0=0 src1=0 src2=0
	v_bfe_i32 v104, v104, 16, 8
	s_set_vgpr_msb 0x41                     ;  msbs: dst=1 src0=1 src1=0 src2=0
	v_add3_u32 v51 /*v307*/, v51 /*v307*/, v80, v81
	s_set_vgpr_msb 5                        ;  msbs: dst=0 src0=1 src1=1 src2=0
	v_mul_i32_i24_e32 v80, v113 /*v369*/, v35 /*v291*/
	s_set_vgpr_msb 4                        ;  msbs: dst=0 src0=0 src1=1 src2=0
	v_mul_i32_i24_e32 v81, v126, v29 /*v285*/
	s_set_vgpr_msb 0x41                     ;  msbs: dst=1 src0=1 src1=0 src2=0
	s_delay_alu instid0(VALU_DEP_1)
	v_add3_u32 v50 /*v306*/, v50 /*v306*/, v80, v81
	s_set_vgpr_msb 5                        ;  msbs: dst=0 src0=1 src1=1 src2=0
	v_mul_i32_i24_e32 v80, v119 /*v375*/, v35 /*v291*/
	s_set_vgpr_msb 4                        ;  msbs: dst=0 src0=0 src1=1 src2=0
	v_mul_i32_i24_e32 v81, v124, v29 /*v285*/
	s_set_vgpr_msb 0x41                     ;  msbs: dst=1 src0=1 src1=0 src2=0
	s_delay_alu instid0(VALU_DEP_1)
	v_add3_u32 v52 /*v308*/, v122 /*v378*/, v80, v81
	s_set_vgpr_msb 1                        ;  msbs: dst=0 src0=1 src1=0 src2=0
	v_mul_i32_i24_e32 v80, v113 /*v369*/, v140
	s_set_vgpr_msb 0                        ;  msbs: dst=0 src0=0 src1=0 src2=0
	v_mul_i32_i24_e32 v81, v126, v139
	s_set_vgpr_msb 64                       ;  msbs: dst=1 src0=0 src1=0 src2=0
	v_bfe_u32 v122 /*v378*/, v133, 24, 4
	s_set_vgpr_msb 0x41                     ;  msbs: dst=1 src0=1 src1=0 src2=0
	s_delay_alu instid0(VALU_DEP_2)
	v_add3_u32 v55 /*v311*/, v125 /*v381*/, v80, v81
	s_set_vgpr_msb 1                        ;  msbs: dst=0 src0=1 src1=0 src2=0
	v_mul_i32_i24_e32 v80, v119 /*v375*/, v140
	s_set_vgpr_msb 0                        ;  msbs: dst=0 src0=0 src1=0 src2=0
	v_mul_i32_i24_e32 v81, v124, v139
	s_set_vgpr_msb 64                       ;  msbs: dst=1 src0=0 src1=0 src2=0
	v_bfe_u32 v125 /*v381*/, v133, 12, 4
	s_set_vgpr_msb 0x41                     ;  msbs: dst=1 src0=1 src1=0 src2=0
	s_delay_alu instid0(VALU_DEP_2)
	v_add3_u32 v72 /*v328*/, v72 /*v328*/, v80, v81
	s_set_vgpr_msb 5                        ;  msbs: dst=0 src0=1 src1=1 src2=0
	v_mul_i32_i24_e32 v80, v45 /*v301*/, v120 /*v376*/
	s_set_vgpr_msb 1                        ;  msbs: dst=0 src0=1 src1=0 src2=0
	v_mul_i32_i24_e32 v81, v46 /*v302*/, v135
	s_set_vgpr_msb 0x41                     ;  msbs: dst=1 src0=1 src1=0 src2=0
	s_delay_alu instid0(VALU_DEP_1)
	v_add3_u32 v115 /*v371*/, v115 /*v371*/, v80, v81
	s_set_vgpr_msb 5                        ;  msbs: dst=0 src0=1 src1=1 src2=0
	v_mul_i32_i24_e32 v80, v40 /*v296*/, v24 /*v280*/
	v_mul_i32_i24_e32 v81, v42 /*v298*/, v26 /*v282*/
	s_set_vgpr_msb 64                       ;  msbs: dst=1 src0=0 src1=0 src2=0
	v_bfe_u32 v40 /*v296*/, v133, 16, 4
	v_bfe_u32 v42 /*v298*/, v133, 4, 4
	s_set_vgpr_msb 0                        ;  msbs: dst=0 src0=0 src1=0 src2=0
	v_add3_u32 v144, v144, v80, v81
	s_set_vgpr_msb 5                        ;  msbs: dst=0 src0=1 src1=1 src2=0
	v_mul_i32_i24_e32 v80, v101 /*v357*/, v128 /*v384*/
	v_mul_i32_i24_e32 v81, v97 /*v353*/, v139 /*v395*/
	s_set_vgpr_msb 20                       ;  msbs: dst=0 src0=0 src1=1 src2=1
	v_add3_u32 v144, v144, v47 /*v303*/, v44 /*v300*/
	s_set_vgpr_msb 0x44                     ;  msbs: dst=1 src0=0 src1=1 src2=0
	v_mul_i32_i24_e32 v44 /*v300*/, v146, v120 /*v376*/
	s_set_vgpr_msb 0                        ;  msbs: dst=0 src0=0 src1=0 src2=0
	v_add3_u32 v145, v145, v81, v80
	s_set_vgpr_msb 5                        ;  msbs: dst=0 src0=1 src1=1 src2=0
	v_mul_i32_i24_e32 v80, v101 /*v357*/, v34 /*v290*/
	v_mul_i32_i24_e32 v81, v97 /*v353*/, v36 /*v292*/
	s_set_vgpr_msb 0x45                     ;  msbs: dst=1 src0=1 src1=1 src2=0
	v_mul_i32_i24_e32 v34 /*v290*/, v12 /*v268*/, v34 /*v290*/
	s_set_vgpr_msb 0x41                     ;  msbs: dst=1 src0=1 src1=0 src2=0
	v_mul_i32_i24_e32 v47 /*v303*/, v105 /*v361*/, v135
	v_add3_u32 v30 /*v286*/, v30 /*v286*/, v81, v80
	s_set_vgpr_msb 5                        ;  msbs: dst=0 src0=1 src1=1 src2=0
	v_mul_i32_i24_e32 v80, v101 /*v357*/, v109 /*v365*/
	v_mul_i32_i24_e32 v81, v97 /*v353*/, v114 /*v370*/
	s_set_vgpr_msb 64                       ;  msbs: dst=1 src0=0 src1=0 src2=0
	v_bfe_i32 v101 /*v357*/, v102, 8, 8
	s_set_vgpr_msb 20                       ;  msbs: dst=0 src0=0 src1=1 src2=1
	v_bfe_i32 v102, v102, 16, 8
	v_add3_u32 v145, v145, v44 /*v300*/, v47 /*v303*/
	s_set_vgpr_msb 0x45                     ;  msbs: dst=1 src0=1 src1=1 src2=0
	v_mul_i32_i24_e32 v47 /*v303*/, v105 /*v361*/, v29 /*v285*/
	s_set_vgpr_msb 0x41                     ;  msbs: dst=1 src0=1 src1=0 src2=0
	v_add3_u32 v97 /*v353*/, v2 /*v258*/, v81, v80
	s_set_vgpr_msb 5                        ;  msbs: dst=0 src0=1 src1=1 src2=0
	v_mul_i32_i24_e32 v80, v94 /*v350*/, v24 /*v280*/
	s_set_vgpr_msb 4                        ;  msbs: dst=0 src0=0 src1=1 src2=0
	v_mul_i32_i24_e32 v81, v108, v26 /*v282*/
	s_set_vgpr_msb 64                       ;  msbs: dst=1 src0=0 src1=0 src2=0
	v_lshrrev_b32_e32 v94 /*v350*/, 28, v133
	v_ashrrev_i32_e32 v44 /*v300*/, 24, v117
	s_set_vgpr_msb 0                        ;  msbs: dst=0 src0=0 src1=0 src2=0
	v_bfe_u32 v133, v133, 20, 4
	v_add3_u32 v92, v92, v80, v81
	s_set_vgpr_msb 5                        ;  msbs: dst=0 src0=1 src1=1 src2=0
	v_mul_i32_i24_e32 v80, v101 /*v357*/, v120 /*v376*/
	s_set_vgpr_msb 0                        ;  msbs: dst=0 src0=0 src1=0 src2=0
	v_mul_i32_i24_e32 v81, v102, v135
	s_set_vgpr_msb 20                       ;  msbs: dst=0 src0=0 src1=1 src2=1
	v_add3_u32 v92, v92, v41 /*v297*/, v39 /*v295*/
	s_set_vgpr_msb 1                        ;  msbs: dst=0 src0=1 src1=0 src2=0
	s_delay_alu instid0(VALU_DEP_2)
	v_add3_u32 v108, v3 /*v259*/, v80, v81
	s_set_vgpr_msb 5                        ;  msbs: dst=0 src0=1 src1=1 src2=0
	v_mul_i32_i24_e32 v80, v101 /*v357*/, v35 /*v291*/
	s_set_vgpr_msb 4                        ;  msbs: dst=0 src0=0 src1=1 src2=0
	v_mul_i32_i24_e32 v81, v102, v29 /*v285*/
	s_set_vgpr_msb 0x45                     ;  msbs: dst=1 src0=1 src1=1 src2=0
	ds_load_2addr_b32 v[2:3] /*v[258:259]*/, v4 /*v260*/ offset1:3
	v_mul_i32_i24_e32 v4 /*v260*/, v11 /*v267*/, v26 /*v282*/
	v_mul_i32_i24_e32 v11 /*v267*/, v11 /*v267*/, v118 /*v374*/
	s_set_vgpr_msb 0x41                     ;  msbs: dst=1 src0=1 src1=0 src2=0
	v_lshrrev_b32_e32 v118 /*v374*/, 16, v87
	v_add3_u32 v43 /*v299*/, v43 /*v299*/, v80, v81
	s_set_vgpr_msb 1                        ;  msbs: dst=0 src0=1 src1=0 src2=0
	v_mul_i32_i24_e32 v80, v101 /*v357*/, v140
	s_set_vgpr_msb 0                        ;  msbs: dst=0 src0=0 src1=0 src2=0
	v_mul_i32_i24_e32 v81, v102, v139
	s_set_vgpr_msb 4                        ;  msbs: dst=0 src0=0 src1=1 src2=0
	v_mul_i32_i24_e32 v102, v102, v27 /*v283*/
	s_set_vgpr_msb 0x41                     ;  msbs: dst=1 src0=1 src1=0 src2=0
	s_delay_alu instid0(VALU_DEP_2)
	v_add3_u32 v53 /*v309*/, v53 /*v309*/, v80, v81
	s_set_vgpr_msb 5                        ;  msbs: dst=0 src0=1 src1=1 src2=0
	v_mul_i32_i24_e32 v80, v129 /*v385*/, v24 /*v280*/
	v_mul_i32_i24_e32 v81, v138 /*v394*/, v26 /*v282*/
	s_set_vgpr_msb 64                       ;  msbs: dst=1 src0=0 src1=0 src2=0
	v_ashrrev_i32_e32 v129 /*v385*/, 24, v131
	s_set_vgpr_msb 0x45                     ;  msbs: dst=1 src0=1 src1=1 src2=0
	v_mul_i32_i24_e32 v28 /*v284*/, v28 /*v284*/, v23 /*v279*/
	s_set_vgpr_msb 64                       ;  msbs: dst=1 src0=0 src1=0 src2=0
	v_mul_i32_i24_e32 v138 /*v394*/, v205, v239
	s_set_vgpr_msb 0x41                     ;  msbs: dst=1 src0=1 src1=0 src2=0
	v_add3_u32 v56 /*v312*/, v56 /*v312*/, v80, v81
	s_set_vgpr_msb 5                        ;  msbs: dst=0 src0=1 src1=1 src2=0
	v_mul_i32_i24_e32 v80, v113 /*v369*/, v120 /*v376*/
	s_set_vgpr_msb 0                        ;  msbs: dst=0 src0=0 src1=0 src2=0
	v_mul_i32_i24_e32 v81, v126, v135
	s_set_vgpr_msb 4                        ;  msbs: dst=0 src0=0 src1=1 src2=0
	v_mul_i32_i24_e32 v126, v126, v27 /*v283*/
	s_wait_dscnt 0x0
	s_set_vgpr_msb 0x41                     ;  msbs: dst=1 src0=1 src1=0 src2=0
	v_bfe_i32 v163 /*v419*/, v2 /*v258*/, 0, 8
	v_bfe_i32 v164 /*v420*/, v2 /*v258*/, 8, 8
	;; [unrolled: 1-line block ×3, first 2 shown]
	v_add3_u32 v57 /*v313*/, v57 /*v313*/, v80, v81
	s_set_vgpr_msb 5                        ;  msbs: dst=0 src0=1 src1=1 src2=0
	v_mul_i32_i24_e32 v80, v132 /*v388*/, v24 /*v280*/
	v_mul_i32_i24_e32 v81, v135 /*v391*/, v26 /*v282*/
	s_set_vgpr_msb 0x44                     ;  msbs: dst=1 src0=0 src1=1 src2=0
	v_bfe_i32 v132 /*v388*/, v129, 0, 8
	v_bfe_i32 v135 /*v391*/, v116, 0, 8
	v_ashrrev_i32_e32 v172 /*v428*/, 24, v2 /*v258*/
	s_set_vgpr_msb 0x41                     ;  msbs: dst=1 src0=1 src1=0 src2=0
	v_add3_u32 v58 /*v314*/, v58 /*v314*/, v80, v81
	s_set_vgpr_msb 5                        ;  msbs: dst=0 src0=1 src1=1 src2=0
	v_mul_i32_i24_e32 v80, v119 /*v375*/, v120 /*v376*/
	s_set_vgpr_msb 0                        ;  msbs: dst=0 src0=0 src1=0 src2=0
	v_mul_i32_i24_e32 v81, v124, v135
	s_set_vgpr_msb 4                        ;  msbs: dst=0 src0=0 src1=1 src2=0
	v_mul_i32_i24_e32 v124, v124, v27 /*v283*/
	s_set_vgpr_msb 0x55                     ;  msbs: dst=1 src0=1 src1=1 src2=1
	v_add3_u32 v6 /*v262*/, v58 /*v314*/, v81 /*v337*/, v6 /*v262*/
	s_set_vgpr_msb 0x41                     ;  msbs: dst=1 src0=1 src1=0 src2=0
	v_add3_u32 v59 /*v315*/, v59 /*v315*/, v80, v81
	s_set_vgpr_msb 5                        ;  msbs: dst=0 src0=1 src1=1 src2=0
	v_mul_i32_i24_e32 v80, v62 /*v318*/, v24 /*v280*/
	v_mul_i32_i24_e32 v81, v63 /*v319*/, v26 /*v282*/
	s_set_vgpr_msb 0x45                     ;  msbs: dst=1 src0=1 src1=1 src2=0
	v_mul_i32_i24_e32 v24 /*v280*/, v82 /*v338*/, v26 /*v282*/
	s_set_vgpr_msb 64                       ;  msbs: dst=1 src0=0 src1=0 src2=0
	v_dual_ashrrev_i32 v63 /*v319*/, 24, v129 :: v_dual_lshrrev_b32 v82 /*v338*/, 16, v83
	s_set_vgpr_msb 0                        ;  msbs: dst=0 src0=0 src1=0 src2=0
	v_bfe_i32 v129, v129, 16, 8
	v_add3_u32 v96, v96, v80, v81
	s_set_vgpr_msb 5                        ;  msbs: dst=0 src0=1 src1=1 src2=0
	v_mul_i32_i24_e32 v80, v131 /*v387*/, v120 /*v376*/
	s_set_vgpr_msb 0                        ;  msbs: dst=0 src0=0 src1=0 src2=0
	v_mul_i32_i24_e32 v81, v104, v135
	s_set_vgpr_msb 20                       ;  msbs: dst=0 src0=0 src1=1 src2=1
	v_add3_u32 v96, v96, v68 /*v324*/, v67 /*v323*/
	s_set_vgpr_msb 0x41                     ;  msbs: dst=1 src0=1 src1=0 src2=0
	s_delay_alu instid0(VALU_DEP_2)
	v_add3_u32 v60 /*v316*/, v60 /*v316*/, v80, v81
	s_set_vgpr_msb 5                        ;  msbs: dst=0 src0=1 src1=1 src2=0
	v_mul_i32_i24_e32 v80, v131 /*v387*/, v35 /*v291*/
	s_set_vgpr_msb 4                        ;  msbs: dst=0 src0=0 src1=1 src2=0
	v_mul_i32_i24_e32 v81, v104, v29 /*v285*/
	s_set_vgpr_msb 0x41                     ;  msbs: dst=1 src0=1 src1=0 src2=0
	s_delay_alu instid0(VALU_DEP_1)
	v_add3_u32 v62 /*v318*/, v77 /*v333*/, v80, v81
	s_set_vgpr_msb 1                        ;  msbs: dst=0 src0=1 src1=0 src2=0
	v_mul_i32_i24_e32 v80, v131 /*v387*/, v140
	s_set_vgpr_msb 0                        ;  msbs: dst=0 src0=0 src1=0 src2=0
	v_mul_i32_i24_e32 v81, v104, v139
	s_set_vgpr_msb 64                       ;  msbs: dst=1 src0=0 src1=0 src2=0
	v_bfe_i32 v77 /*v333*/, v131, 0, 8
	s_set_vgpr_msb 4                        ;  msbs: dst=0 src0=0 src1=1 src2=0
	v_bfe_i32 v131, v131, 16, 8
	v_mul_i32_i24_e32 v104, v104, v27 /*v283*/
	s_set_vgpr_msb 0x41                     ;  msbs: dst=1 src0=1 src1=0 src2=0
	v_add3_u32 v26 /*v282*/, v89 /*v345*/, v80, v81
	s_set_vgpr_msb 0                        ;  msbs: dst=0 src0=0 src1=0 src2=0
	v_cvt_f32_f16_e32 v81, v83
	v_cvt_f32_f16_e32 v80, v84
	s_set_vgpr_msb 64                       ;  msbs: dst=1 src0=0 src1=0 src2=0
	v_lshrrev_b32_e32 v89 /*v345*/, 16, v84
	s_set_vgpr_msb 16                       ;  msbs: dst=0 src0=0 src1=0 src2=1
	v_add3_u32 v84, v98, v82, v24 /*v280*/
	v_cvt_f32_f16_e32 v83, v85
	s_set_vgpr_msb 64                       ;  msbs: dst=1 src0=0 src1=0 src2=0
	v_lshrrev_b32_e32 v24 /*v280*/, 16, v85
	s_set_vgpr_msb 4                        ;  msbs: dst=0 src0=0 src1=1 src2=0
	v_mul_i32_i24_e32 v85, v86, v22 /*v278*/
	v_mul_i32_i24_e32 v86, v86, v111 /*v367*/
	v_bfe_i32 v98, v100, 8, 8
	v_bfe_i32 v100, v100, 16, 8
	v_cvt_f32_f16_e32 v82, v87
	s_set_vgpr_msb 5                        ;  msbs: dst=0 src0=1 src1=1 src2=0
	v_add3_u32 v87, v108 /*v364*/, v107 /*v363*/, v148
	v_add3_u32 v86, v103 /*v359*/, v11 /*v267*/, v86
	s_set_vgpr_msb 4                        ;  msbs: dst=0 src0=0 src1=1 src2=0
	v_mul_i32_i24_e32 v148, v98, v120 /*v376*/
	s_set_vgpr_msb 64                       ;  msbs: dst=1 src0=0 src1=0 src2=0
	v_mul_i32_i24_e32 v11 /*v267*/, v100, v135
	s_set_vgpr_msb 0x45                     ;  msbs: dst=1 src0=1 src1=1 src2=0
	v_mul_i32_i24_e32 v107 /*v363*/, v13 /*v269*/, v35 /*v291*/
	s_set_vgpr_msb 0x41                     ;  msbs: dst=1 src0=1 src1=0 src2=0
	v_mul_i32_i24_e32 v103 /*v359*/, v1 /*v257*/, v240
	v_mul_i32_i24_e32 v108 /*v364*/, v13 /*v269*/, v140
	s_set_vgpr_msb 0x54                     ;  msbs: dst=1 src0=0 src1=1 src2=1
	v_add3_u32 v10 /*v266*/, v84, v28 /*v284*/, v10 /*v266*/
	s_set_vgpr_msb 17                       ;  msbs: dst=0 src0=1 src1=0 src2=1
	v_add3_u32 v148, v71 /*v327*/, v148, v11 /*v267*/
	s_set_vgpr_msb 0x44                     ;  msbs: dst=1 src0=0 src1=1 src2=0
	v_mul_i32_i24_e32 v11 /*v267*/, v98, v35 /*v291*/
	v_mul_i32_i24_e32 v71 /*v327*/, v100, v29 /*v285*/
	s_set_vgpr_msb 0x55                     ;  msbs: dst=1 src0=1 src1=1 src2=1
	v_add3_u32 v31 /*v287*/, v31 /*v287*/, v34 /*v290*/, v107 /*v363*/
	v_mul_i32_i24_e32 v34 /*v290*/, v0 /*v256*/, v85 /*v341*/
	v_mul_i32_i24_e32 v107 /*v363*/, v1 /*v257*/, v91 /*v347*/
	s_set_vgpr_msb 0x44                     ;  msbs: dst=1 src0=0 src1=1 src2=0
	v_mul_i32_i24_e32 v35 /*v291*/, v146, v35 /*v291*/
	s_set_vgpr_msb 0x55                     ;  msbs: dst=1 src0=1 src1=1 src2=1
	v_add3_u32 v11 /*v267*/, v86 /*v342*/, v11 /*v267*/, v71 /*v327*/
	s_set_vgpr_msb 64                       ;  msbs: dst=1 src0=0 src1=0 src2=0
	v_mul_i32_i24_e32 v71 /*v327*/, v98, v140
	v_mul_i32_i24_e32 v86 /*v342*/, v100, v139
	s_set_vgpr_msb 0x55                     ;  msbs: dst=1 src0=1 src1=1 src2=1
	v_add3_u32 v33 /*v289*/, v33 /*v289*/, v107 /*v363*/, v34 /*v290*/
	v_mul_i32_i24_e32 v107 /*v363*/, v12 /*v268*/, v109 /*v365*/
	s_set_vgpr_msb 0                        ;  msbs: dst=0 src0=0 src1=0 src2=0
	v_mul_i32_i24_e32 v140, v146, v140
	s_set_vgpr_msb 1                        ;  msbs: dst=0 src0=1 src1=0 src2=0
	v_mul_i32_i24_e32 v146, v105 /*v361*/, v139
	s_set_vgpr_msb 0x55                     ;  msbs: dst=1 src0=1 src1=1 src2=1
	v_add3_u32 v71 /*v327*/, v110 /*v366*/, v71 /*v327*/, v86 /*v342*/
	v_mul_i32_i24_e32 v86 /*v342*/, v0 /*v256*/, v37 /*v293*/
	s_set_vgpr_msb 64                       ;  msbs: dst=1 src0=0 src1=0 src2=0
	v_bfe_u32 v34 /*v290*/, v94, 24, 4
	s_set_vgpr_msb 0x55                     ;  msbs: dst=1 src0=1 src1=1 src2=1
	v_add3_u32 v51 /*v307*/, v51 /*v307*/, v107 /*v363*/, v108 /*v364*/
	v_mul_i32_i24_e32 v107 /*v363*/, v126 /*v382*/, v37 /*v293*/
	s_set_vgpr_msb 0x41                     ;  msbs: dst=1 src0=1 src1=0 src2=0
	v_mul_i32_i24_e32 v108 /*v364*/, v129 /*v385*/, v240
	s_set_vgpr_msb 0x55                     ;  msbs: dst=1 src0=1 src1=1 src2=1
	v_add3_u32 v86 /*v342*/, v112 /*v368*/, v103 /*v359*/, v86 /*v342*/
	s_set_vgpr_msb 64                       ;  msbs: dst=1 src0=0 src1=0 src2=0
	v_bfe_u32 v103 /*v359*/, v94, 8, 4
	s_set_vgpr_msb 1                        ;  msbs: dst=0 src0=1 src1=0 src2=0
	v_add3_u32 v140, v97 /*v353*/, v140, v146
	s_set_vgpr_msb 0                        ;  msbs: dst=0 src0=0 src1=0 src2=0
	v_bfe_i32 v146, v109, 8, 8
	s_set_vgpr_msb 64                       ;  msbs: dst=1 src0=0 src1=0 src2=0
	v_ashrrev_i32_e32 v97 /*v353*/, 24, v109
	s_set_vgpr_msb 0x55                     ;  msbs: dst=1 src0=1 src1=1 src2=1
	v_add3_u32 v50 /*v306*/, v50 /*v306*/, v108 /*v364*/, v107 /*v363*/
	v_mul_i32_i24_e32 v107 /*v363*/, v130 /*v386*/, v37 /*v293*/
	s_set_vgpr_msb 0x41                     ;  msbs: dst=1 src0=1 src1=0 src2=0
	v_mul_i32_i24_e32 v108 /*v364*/, v63 /*v319*/, v240
	s_set_vgpr_msb 0x44                     ;  msbs: dst=1 src0=0 src1=1 src2=0
	v_mul_i32_i24_e32 v39 /*v295*/, v146, v103 /*v359*/
	s_set_vgpr_msb 0x45                     ;  msbs: dst=1 src0=1 src1=1 src2=0
	v_mul_i32_i24_e32 v41 /*v297*/, v97 /*v353*/, v34 /*v290*/
	s_set_vgpr_msb 5                        ;  msbs: dst=0 src0=1 src1=1 src2=0
	v_mul_i32_i24_e32 v84, v12 /*v268*/, v25 /*v281*/
	s_set_vgpr_msb 0x55                     ;  msbs: dst=1 src0=1 src1=1 src2=1
	v_mul_i32_i24_e32 v12 /*v268*/, v12 /*v268*/, v128 /*v384*/
	v_add3_u32 v52 /*v308*/, v52 /*v308*/, v108 /*v364*/, v107 /*v363*/
	v_mul_i32_i24_e32 v107 /*v363*/, v126 /*v382*/, v85 /*v341*/
	v_mul_i32_i24_e32 v108 /*v364*/, v129 /*v385*/, v91 /*v347*/
	s_set_vgpr_msb 20                       ;  msbs: dst=0 src0=0 src1=1 src2=1
	v_add3_u32 v108, v108, v41 /*v297*/, v39 /*v295*/
	s_set_vgpr_msb 0x44                     ;  msbs: dst=1 src0=0 src1=1 src2=0
	v_mul_i32_i24_e32 v39 /*v295*/, v146, v37 /*v293*/
	s_set_vgpr_msb 0x41                     ;  msbs: dst=1 src0=1 src1=0 src2=0
	v_mul_i32_i24_e32 v41 /*v297*/, v97 /*v353*/, v240
	s_set_vgpr_msb 4                        ;  msbs: dst=0 src0=0 src1=1 src2=0
	v_add3_u32 v85, v107, v4 /*v260*/, v85
	s_set_vgpr_msb 0x55                     ;  msbs: dst=1 src0=1 src1=1 src2=1
	v_add3_u32 v55 /*v311*/, v55 /*v311*/, v108 /*v364*/, v107 /*v363*/
	v_mul_i32_i24_e32 v107 /*v363*/, v130 /*v386*/, v85 /*v341*/
	v_mul_i32_i24_e32 v108 /*v364*/, v63 /*v319*/, v91 /*v347*/
	v_add3_u32 v39 /*v295*/, v43 /*v299*/, v41 /*v297*/, v39 /*v295*/
	s_set_vgpr_msb 0x44                     ;  msbs: dst=1 src0=0 src1=1 src2=0
	v_mul_i32_i24_e32 v41 /*v297*/, v146, v85 /*v341*/
	s_set_vgpr_msb 0x55                     ;  msbs: dst=1 src0=1 src1=1 src2=1
	v_mul_i32_i24_e32 v43 /*v299*/, v97 /*v353*/, v91 /*v347*/
	v_mul_i32_i24_e32 v58 /*v314*/, v130 /*v386*/, v103 /*v359*/
	v_add3_u32 v72 /*v328*/, v72 /*v328*/, v108 /*v364*/, v107 /*v363*/
	v_mul_i32_i24_e32 v107 /*v363*/, v0 /*v256*/, v103 /*v359*/
	v_mul_i32_i24_e32 v108 /*v364*/, v1 /*v257*/, v34 /*v290*/
	v_add3_u32 v41 /*v297*/, v53 /*v309*/, v43 /*v299*/, v41 /*v297*/
	v_mul_i32_i24_e32 v53 /*v309*/, v116 /*v372*/, v25 /*v281*/
	v_mul_i32_i24_e32 v25 /*v281*/, v13 /*v269*/, v120 /*v376*/
	v_mul_i32_i24_e32 v81 /*v337*/, v63 /*v319*/, v34 /*v290*/
	v_add3_u32 v107 /*v363*/, v115 /*v371*/, v108 /*v364*/, v107 /*v363*/
	s_set_vgpr_msb 0x54                     ;  msbs: dst=1 src0=0 src1=1 src2=1
	v_bfe_i32 v115 /*v371*/, v123, 8, 8
	v_bfe_i32 v28 /*v284*/, v123, 0, 8
	v_add3_u32 v12 /*v268*/, v86, v12 /*v268*/, v25 /*v281*/
	s_set_vgpr_msb 5                        ;  msbs: dst=0 src0=1 src1=1 src2=0
	v_mul_i32_i24_e32 v86, v13 /*v269*/, v87 /*v343*/
	s_set_vgpr_msb 0                        ;  msbs: dst=0 src0=0 src1=0 src2=0
	v_ashrrev_i32_e32 v123, 24, v123
	s_set_vgpr_msb 0x55                     ;  msbs: dst=1 src0=1 src1=1 src2=1
	v_add3_u32 v58 /*v314*/, v59 /*v315*/, v81 /*v337*/, v58 /*v314*/
	s_set_vgpr_msb 64                       ;  msbs: dst=1 src0=0 src1=0 src2=0
	v_dual_ashrrev_i32 v81 /*v337*/, 24, v113 :: v_dual_ashrrev_i32 v120 /*v376*/, 24, v111
	v_add3_u32 v13 /*v269*/, v85, v84, v86
	s_set_vgpr_msb 5                        ;  msbs: dst=0 src0=1 src1=1 src2=0
	v_mul_i32_i24_e32 v84, v115 /*v371*/, v75 /*v331*/
	s_set_vgpr_msb 64                       ;  msbs: dst=1 src0=0 src1=0 src2=0
	v_bfe_i32 v25 /*v281*/, v111, 8, 8
	s_set_vgpr_msb 4                        ;  msbs: dst=0 src0=0 src1=1 src2=0
	v_mul_i32_i24_e32 v85, v123, v5 /*v261*/
	s_set_vgpr_msb 64                       ;  msbs: dst=1 src0=0 src1=0 src2=0
	v_bfe_i32 v59 /*v315*/, v113, 8, 8
	s_set_vgpr_msb 0x45                     ;  msbs: dst=1 src0=1 src1=1 src2=0
	v_mul_i32_i24_e32 v68 /*v324*/, v81 /*v337*/, v34 /*v290*/
	s_set_vgpr_msb 5                        ;  msbs: dst=0 src0=1 src1=1 src2=0
	v_mad_i32_i24 v84, v28 /*v284*/, v7 /*v263*/, v84
	v_mul_i32_i24_e32 v86, v45 /*v301*/, v87 /*v343*/
	s_set_vgpr_msb 64                       ;  msbs: dst=1 src0=0 src1=0 src2=0
	v_bfe_i32 v128 /*v384*/, v114, 0, 8
	s_set_vgpr_msb 0x55                     ;  msbs: dst=1 src0=1 src1=1 src2=1
	v_mul_i32_i24_e32 v67 /*v323*/, v59 /*v315*/, v103 /*v359*/
	v_add3_u32 v30 /*v286*/, v30 /*v286*/, v35 /*v291*/, v47 /*v303*/
	s_set_vgpr_msb 64                       ;  msbs: dst=1 src0=0 src1=0 src2=0
	v_add3_u32 v133 /*v389*/, v87, v85, v84
	s_set_vgpr_msb 5                        ;  msbs: dst=0 src0=1 src1=1 src2=0
	v_mul_i32_i24_e32 v84, v25 /*v281*/, v103 /*v359*/
	v_mul_i32_i24_e32 v85, v120 /*v376*/, v34 /*v290*/
	s_set_vgpr_msb 0x55                     ;  msbs: dst=1 src0=1 src1=1 src2=1
	v_add3_u32 v60 /*v316*/, v60 /*v316*/, v68 /*v324*/, v67 /*v323*/
	v_mul_i32_i24_e32 v67 /*v323*/, v59 /*v315*/, v37 /*v293*/
	s_set_vgpr_msb 0x41                     ;  msbs: dst=1 src0=1 src1=0 src2=0
	v_mul_i32_i24_e32 v68 /*v324*/, v81 /*v337*/, v240
	s_set_vgpr_msb 64                       ;  msbs: dst=1 src0=0 src1=0 src2=0
	v_bfe_i32 v45 /*v301*/, v113, 0, 8
	s_set_vgpr_msb 0                        ;  msbs: dst=0 src0=0 src1=0 src2=0
	v_add3_u32 v148, v148, v85, v84
	s_set_vgpr_msb 5                        ;  msbs: dst=0 src0=1 src1=1 src2=0
	v_mul_i32_i24_e32 v84, v25 /*v281*/, v37 /*v293*/
	s_set_vgpr_msb 1                        ;  msbs: dst=0 src0=1 src1=0 src2=0
	v_mul_i32_i24_e32 v85, v120 /*v376*/, v240
	s_set_vgpr_msb 0x55                     ;  msbs: dst=1 src0=1 src1=1 src2=1
	v_add3_u32 v62 /*v318*/, v62 /*v318*/, v68 /*v324*/, v67 /*v323*/
	v_mul_i32_i24_e32 v67 /*v323*/, v59 /*v315*/, v85 /*v341*/
	v_mul_i32_i24_e32 v68 /*v324*/, v81 /*v337*/, v91 /*v347*/
	s_set_vgpr_msb 0                        ;  msbs: dst=0 src0=0 src1=0 src2=0
	v_bfe_i32 v113, v113, 16, 8
	s_set_vgpr_msb 0x41                     ;  msbs: dst=1 src0=1 src1=0 src2=0
	v_add3_u32 v11 /*v267*/, v11 /*v267*/, v85, v84
	s_set_vgpr_msb 5                        ;  msbs: dst=0 src0=1 src1=1 src2=0
	v_mul_i32_i24_e32 v84, v25 /*v281*/, v85 /*v341*/
	v_mul_i32_i24_e32 v85, v120 /*v376*/, v91 /*v347*/
	s_set_vgpr_msb 0x55                     ;  msbs: dst=1 src0=1 src1=1 src2=1
	v_add3_u32 v26 /*v282*/, v26 /*v282*/, v68 /*v324*/, v67 /*v323*/
	s_set_vgpr_msb 64                       ;  msbs: dst=1 src0=0 src1=0 src2=0
	v_ashrrev_i32_e32 v67 /*v323*/, 24, v121
	s_set_vgpr_msb 17                       ;  msbs: dst=0 src0=1 src1=0 src2=1
	v_add3_u32 v147, v56 /*v312*/, v147, v53 /*v309*/
	s_set_vgpr_msb 0x45                     ;  msbs: dst=1 src0=1 src1=1 src2=0
	v_mul_i32_i24_e32 v53 /*v309*/, v126 /*v382*/, v103 /*v359*/
	s_set_vgpr_msb 0x41                     ;  msbs: dst=1 src0=1 src1=0 src2=0
	v_add3_u32 v71 /*v327*/, v71 /*v327*/, v85, v84
	s_set_vgpr_msb 0                        ;  msbs: dst=0 src0=0 src1=0 src2=0
	v_mul_i32_i24_e32 v84, v150, v253
	v_mul_i32_i24_e32 v85, v238, v241
	s_set_vgpr_msb 0x45                     ;  msbs: dst=1 src0=1 src1=1 src2=0
	v_mul_i32_i24_e32 v56 /*v312*/, v129 /*v385*/, v34 /*v290*/
	s_set_vgpr_msb 5                        ;  msbs: dst=0 src0=1 src1=1 src2=0
	v_mul_i32_i24_e32 v87, v98 /*v354*/, v91 /*v347*/
	s_set_vgpr_msb 4                        ;  msbs: dst=0 src0=0 src1=1 src2=0
	v_mul_i32_i24_e32 v100, v100, v27 /*v283*/
	v_mul_i32_i24_e32 v98, v98, v87 /*v343*/
	s_set_vgpr_msb 0x41                     ;  msbs: dst=1 src0=1 src1=0 src2=0
	v_add3_u32 v86 /*v342*/, v86 /*v342*/, v84, v85
	s_set_vgpr_msb 4                        ;  msbs: dst=0 src0=0 src1=1 src2=0
	v_mul_i32_i24_e32 v84, v249, v29 /*v285*/
	v_mul_i32_i24_e32 v85, v247, v36 /*v292*/
	s_set_vgpr_msb 64                       ;  msbs: dst=1 src0=0 src1=0 src2=0
	v_bfe_u32 v36 /*v292*/, v94, 16, 4
	s_set_vgpr_msb 0x55                     ;  msbs: dst=1 src0=1 src1=1 src2=1
	v_add3_u32 v53 /*v309*/, v57 /*v313*/, v56 /*v312*/, v53 /*v309*/
	s_set_vgpr_msb 0                        ;  msbs: dst=0 src0=0 src1=0 src2=0
	v_bfe_i32 v111, v111, 16, 8
	s_set_vgpr_msb 64                       ;  msbs: dst=1 src0=0 src1=0 src2=0
	v_bfe_i32 v22 /*v278*/, v127, 0, 8
	s_set_vgpr_msb 0x41                     ;  msbs: dst=1 src0=1 src1=0 src2=0
	v_add3_u32 v29 /*v285*/, v31 /*v287*/, v84, v85
	s_set_vgpr_msb 4                        ;  msbs: dst=0 src0=0 src1=1 src2=0
	v_mul_i32_i24_e32 v84, v150, v65 /*v321*/
	v_mul_i32_i24_e32 v85, v238, v66 /*v322*/
	s_set_vgpr_msb 0                        ;  msbs: dst=0 src0=0 src1=0 src2=0
	v_ashrrev_i32_e32 v107, 24, v127
	s_set_vgpr_msb 64                       ;  msbs: dst=1 src0=0 src1=0 src2=0
	v_bfe_i32 v4 /*v260*/, v125, 0, 8
	v_ashrrev_i32_e32 v108 /*v364*/, 24, v125
	s_set_vgpr_msb 0x45                     ;  msbs: dst=1 src0=1 src1=1 src2=0
	v_mul_i32_i24_e32 v0 /*v256*/, v0 /*v256*/, v123 /*v379*/
	s_set_vgpr_msb 0x41                     ;  msbs: dst=1 src0=1 src1=0 src2=0
	v_add3_u32 v31 /*v287*/, v33 /*v289*/, v84, v85
	s_set_vgpr_msb 0                        ;  msbs: dst=0 src0=0 src1=0 src2=0
	v_mul_i32_i24_e32 v84, v249, v139
	s_set_vgpr_msb 4                        ;  msbs: dst=0 src0=0 src1=1 src2=0
	v_mul_i32_i24_e32 v85, v247, v114 /*v370*/
	s_set_vgpr_msb 64                       ;  msbs: dst=1 src0=0 src1=0 src2=0
	v_dual_ashrrev_i32 v56 /*v312*/, 24, v119 :: v_dual_bitop2_b32 v33 /*v289*/, 15, v94 bitop3:0x40
	v_bfe_i32 v109 /*v365*/, v127, 8, 8
	s_set_vgpr_msb 0                        ;  msbs: dst=0 src0=0 src1=0 src2=0
	v_bfe_i32 v127, v127, 16, 8
	s_set_vgpr_msb 1                        ;  msbs: dst=0 src0=1 src1=0 src2=0
	v_add3_u32 v139, v51 /*v307*/, v84, v85
	v_mul_i32_i24_e32 v84, v77 /*v333*/, v253
	s_set_vgpr_msb 0                        ;  msbs: dst=0 src0=0 src1=0 src2=0
	v_mul_i32_i24_e32 v85, v131, v241
	s_set_vgpr_msb 64                       ;  msbs: dst=1 src0=0 src1=0 src2=0
	v_bfe_i32 v110 /*v366*/, v125, 8, 8
	s_set_vgpr_msb 0                        ;  msbs: dst=0 src0=0 src1=0 src2=0
	v_bfe_i32 v125, v125, 16, 8
	s_set_vgpr_msb 64                       ;  msbs: dst=1 src0=0 src1=0 src2=0
	v_bfe_i32 v114 /*v370*/, v105, 8, 8
	v_bfe_i32 v111 /*v367*/, v117, 8, 8
	s_set_vgpr_msb 0x41                     ;  msbs: dst=1 src0=1 src1=0 src2=0
	v_add3_u32 v50 /*v306*/, v50 /*v306*/, v84, v85
	s_set_vgpr_msb 1                        ;  msbs: dst=0 src0=1 src1=0 src2=0
	v_mul_i32_i24_e32 v84, v132 /*v388*/, v253
	s_set_vgpr_msb 0                        ;  msbs: dst=0 src0=0 src1=0 src2=0
	v_mul_i32_i24_e32 v85, v129, v241
	s_set_vgpr_msb 64                       ;  msbs: dst=1 src0=0 src1=0 src2=0
	v_bfe_i32 v35 /*v291*/, v115, 8, 8
	v_ashrrev_i32_e32 v47 /*v303*/, 24, v115
	s_set_vgpr_msb 1                        ;  msbs: dst=0 src0=1 src1=0 src2=0
	v_mul_i32_i24_e32 v90, v77 /*v333*/, v199
	s_set_vgpr_msb 64                       ;  msbs: dst=1 src0=0 src1=0 src2=0
	v_bfe_i32 v112 /*v368*/, v117, 0, 8
	s_set_vgpr_msb 0x41                     ;  msbs: dst=1 src0=1 src1=0 src2=0
	v_add3_u32 v51 /*v307*/, v52 /*v308*/, v84, v85
	s_set_vgpr_msb 5                        ;  msbs: dst=0 src0=1 src1=1 src2=0
	v_mul_i32_i24_e32 v84, v77 /*v333*/, v65 /*v321*/
	s_set_vgpr_msb 4                        ;  msbs: dst=0 src0=0 src1=1 src2=0
	v_mul_i32_i24_e32 v85, v131, v66 /*v322*/
	v_bfe_i32 v117, v117, 16, 8
	s_set_vgpr_msb 64                       ;  msbs: dst=1 src0=0 src1=0 src2=0
	v_bfe_i32 v68 /*v324*/, v115, 0, 8
	s_set_vgpr_msb 0                        ;  msbs: dst=0 src0=0 src1=0 src2=0
	v_bfe_i32 v115, v115, 16, 8
	s_set_vgpr_msb 0x41                     ;  msbs: dst=1 src0=1 src1=0 src2=0
	v_mul_i32_i24_e32 v190 /*v446*/, v112 /*v368*/, v230
	v_add3_u32 v52 /*v308*/, v55 /*v311*/, v84, v85
	s_set_vgpr_msb 5                        ;  msbs: dst=0 src0=1 src1=1 src2=0
	v_mul_i32_i24_e32 v84, v132 /*v388*/, v65 /*v321*/
	s_set_vgpr_msb 4                        ;  msbs: dst=0 src0=0 src1=1 src2=0
	v_mul_i32_i24_e32 v85, v129, v66 /*v322*/
	s_set_vgpr_msb 0x41                     ;  msbs: dst=1 src0=1 src1=0 src2=0
	v_mul_i32_i24_e32 v191 /*v447*/, v68 /*v324*/, v230
	s_set_vgpr_msb 64                       ;  msbs: dst=1 src0=0 src1=0 src2=0
	v_bfe_i32 v43 /*v299*/, v119, 0, 8
	v_bfe_i32 v57 /*v313*/, v121, 0, 8
	;; [unrolled: 1-line block ×3, first 2 shown]
	s_set_vgpr_msb 0x41                     ;  msbs: dst=1 src0=1 src1=0 src2=0
	v_add3_u32 v55 /*v311*/, v72 /*v328*/, v84, v85
	s_set_vgpr_msb 4                        ;  msbs: dst=0 src0=0 src1=1 src2=0
	v_mul_i32_i24_e32 v84, v150, v33 /*v289*/
	v_mul_i32_i24_e32 v85, v238, v36 /*v292*/
	v_bfe_i32 v119, v119, 16, 8
	s_set_vgpr_msb 64                       ;  msbs: dst=1 src0=0 src1=0 src2=0
	v_bfe_i32 v105 /*v361*/, v121, 8, 8
	s_set_vgpr_msb 0                        ;  msbs: dst=0 src0=0 src1=0 src2=0
	v_bfe_i32 v121, v121, 16, 8
	s_set_vgpr_msb 64                       ;  msbs: dst=1 src0=0 src1=0 src2=0
	v_mul_i32_i24_e32 v193 /*v449*/, v117, v229
	s_set_vgpr_msb 0x41                     ;  msbs: dst=1 src0=1 src1=0 src2=0
	v_add3_u32 v72 /*v328*/, v107 /*v363*/, v84, v85
	s_set_vgpr_msb 5                        ;  msbs: dst=0 src0=1 src1=1 src2=0
	v_mul_i32_i24_e32 v84, v46 /*v302*/, v27 /*v283*/
	s_set_vgpr_msb 4                        ;  msbs: dst=0 src0=0 src1=1 src2=0
	v_mul_i32_i24_e32 v85, v149, v103 /*v359*/
	s_set_vgpr_msb 0x45                     ;  msbs: dst=1 src0=1 src1=1 src2=0
	v_mul_i32_i24_e32 v46 /*v302*/, v101 /*v357*/, v87 /*v343*/
	v_mul_i32_i24_e32 v107 /*v363*/, v131 /*v387*/, v87 /*v343*/
	;; [unrolled: 1-line block ×3, first 2 shown]
	s_set_vgpr_msb 0                        ;  msbs: dst=0 src0=0 src1=0 src2=0
	v_add3_u32 v114, v144, v86, v84
	s_set_vgpr_msb 5                        ;  msbs: dst=0 src0=1 src1=1 src2=0
	v_mul_i32_i24_e32 v84, v98 /*v354*/, v34 /*v290*/
	s_set_vgpr_msb 4                        ;  msbs: dst=0 src0=0 src1=1 src2=0
	v_mul_i32_i24_e32 v86, v149, v37 /*v293*/
	v_add3_u32 v92, v92, v46 /*v302*/, v102
	v_add3_u32 v96, v96, v107 /*v363*/, v104
	s_set_vgpr_msb 5                        ;  msbs: dst=0 src0=1 src1=1 src2=0
	v_mul_i32_i24_e32 v104, v45 /*v301*/, v33 /*v289*/
	s_set_vgpr_msb 0                        ;  msbs: dst=0 src0=0 src1=0 src2=0
	v_add3_u32 v116, v145, v84, v85
	s_set_vgpr_msb 1                        ;  msbs: dst=0 src0=1 src1=0 src2=0
	v_mul_i32_i24_e32 v84, v98 /*v354*/, v240
	s_set_vgpr_msb 0x44                     ;  msbs: dst=1 src0=0 src1=1 src2=0
	v_mul_i32_i24_e32 v107 /*v363*/, v113, v36 /*v292*/
	s_set_vgpr_msb 0x45                     ;  msbs: dst=1 src0=1 src1=1 src2=0
	v_mul_i32_i24_e32 v98 /*v354*/, v113 /*v369*/, v87 /*v343*/
	s_set_vgpr_msb 4                        ;  msbs: dst=0 src0=0 src1=1 src2=0
	v_mul_i32_i24_e32 v144, v249, v27 /*v283*/
	s_set_vgpr_msb 64                       ;  msbs: dst=1 src0=0 src1=0 src2=0
	v_ashrrev_i32_e32 v131 /*v387*/, 24, v101
	s_set_vgpr_msb 1                        ;  msbs: dst=0 src0=1 src1=0 src2=0
	v_add3_u32 v145, v30 /*v286*/, v84, v86
	s_set_vgpr_msb 64                       ;  msbs: dst=1 src0=0 src1=0 src2=0
	v_bfe_i32 v30 /*v286*/, v109, 0, 8
	s_set_vgpr_msb 0                        ;  msbs: dst=0 src0=0 src1=0 src2=0
	v_bfe_i32 v109, v109, 16, 8
	s_set_vgpr_msb 17                       ;  msbs: dst=0 src0=1 src1=0 src2=1
	v_add3_u32 v104, v60 /*v316*/, v104, v107 /*v363*/
	s_set_vgpr_msb 0x41                     ;  msbs: dst=1 src0=1 src1=0 src2=0
	v_mul_i32_i24_e32 v60 /*v316*/, v45 /*v301*/, v253
	s_set_vgpr_msb 64                       ;  msbs: dst=1 src0=0 src1=0 src2=0
	v_mul_i32_i24_e32 v107 /*v363*/, v113, v241
	s_set_vgpr_msb 5                        ;  msbs: dst=0 src0=1 src1=1 src2=0
	v_mul_i32_i24_e32 v102, v30 /*v286*/, v33 /*v289*/
	s_set_vgpr_msb 0x44                     ;  msbs: dst=1 src0=0 src1=1 src2=0
	v_mul_i32_i24_e32 v46 /*v302*/, v109, v36 /*v292*/
	s_set_vgpr_msb 4                        ;  msbs: dst=0 src0=0 src1=1 src2=0
	v_add3_u32 v126, v147, v98 /*v354*/, v126
	s_set_vgpr_msb 5                        ;  msbs: dst=0 src0=1 src1=1 src2=0
	v_mul_i32_i24_e32 v147, v77 /*v333*/, v33 /*v289*/
	s_set_vgpr_msb 0x44                     ;  msbs: dst=1 src0=0 src1=1 src2=0
	v_mul_i32_i24_e32 v98 /*v354*/, v131, v36 /*v292*/
	s_set_vgpr_msb 0x55                     ;  msbs: dst=1 src0=1 src1=1 src2=1
	v_add3_u32 v60 /*v316*/, v62 /*v318*/, v60 /*v316*/, v107 /*v363*/
	s_set_vgpr_msb 16                       ;  msbs: dst=0 src0=0 src1=0 src2=1
	v_add3_u32 v102, v108, v102, v46 /*v302*/
	s_set_vgpr_msb 1                        ;  msbs: dst=0 src0=1 src1=0 src2=0
	v_mul_i32_i24_e32 v108, v30 /*v286*/, v253
	s_set_vgpr_msb 64                       ;  msbs: dst=1 src0=0 src1=0 src2=0
	v_mul_i32_i24_e32 v46 /*v302*/, v109, v241
	s_set_vgpr_msb 0x45                     ;  msbs: dst=1 src0=1 src1=1 src2=0
	v_mul_i32_i24_e32 v62 /*v318*/, v45 /*v301*/, v65 /*v321*/
	s_set_vgpr_msb 0x44                     ;  msbs: dst=1 src0=0 src1=1 src2=0
	v_mul_i32_i24_e32 v107 /*v363*/, v113, v66 /*v322*/
	s_set_vgpr_msb 4                        ;  msbs: dst=0 src0=0 src1=1 src2=0
	v_mul_i32_i24_e32 v86, v149, v85 /*v341*/
	v_mul_i32_i24_e32 v149, v247, v23 /*v279*/
	s_set_vgpr_msb 17                       ;  msbs: dst=0 src0=1 src1=0 src2=1
	v_add3_u32 v108, v39 /*v295*/, v108, v46 /*v302*/
	s_set_vgpr_msb 0x45                     ;  msbs: dst=1 src0=1 src1=1 src2=0
	v_mul_i32_i24_e32 v39 /*v295*/, v30 /*v286*/, v65 /*v321*/
	s_set_vgpr_msb 0x44                     ;  msbs: dst=1 src0=0 src1=1 src2=0
	v_mul_i32_i24_e32 v46 /*v302*/, v109, v66 /*v322*/
	v_bfe_u32 v23 /*v279*/, v94, 4, 4
	s_set_vgpr_msb 17                       ;  msbs: dst=0 src0=1 src1=0 src2=1
	v_add3_u32 v147, v53 /*v309*/, v147, v98 /*v354*/
	s_set_vgpr_msb 64                       ;  msbs: dst=1 src0=0 src1=0 src2=0
	v_ashrrev_i32_e32 v53 /*v309*/, 24, v103
	s_set_vgpr_msb 0x55                     ;  msbs: dst=1 src0=1 src1=1 src2=1
	v_add3_u32 v26 /*v282*/, v26 /*v282*/, v62 /*v318*/, v107 /*v363*/
	v_add3_u32 v39 /*v295*/, v41 /*v297*/, v39 /*v295*/, v46 /*v302*/
	s_set_vgpr_msb 64                       ;  msbs: dst=1 src0=0 src1=0 src2=0
	v_lshrrev_b32_e32 v41 /*v297*/, 28, v94
	v_bfe_i32 v62 /*v318*/, v101, 0, 8
	v_bfe_u32 v27 /*v283*/, v94, 12, 4
	v_bfe_u32 v87 /*v343*/, v94, 20, 4
	s_set_vgpr_msb 1                        ;  msbs: dst=0 src0=1 src1=0 src2=0
	v_add3_u32 v94, v10 /*v266*/, v98, v100
	s_set_vgpr_msb 64                       ;  msbs: dst=1 src0=0 src1=0 src2=0
	v_bfe_i32 v10 /*v266*/, v101, 8, 8
	s_set_vgpr_msb 0                        ;  msbs: dst=0 src0=0 src1=0 src2=0
	v_mul_i32_i24_e32 v98, v249, v135
	s_set_vgpr_msb 4                        ;  msbs: dst=0 src0=0 src1=1 src2=0
	v_mul_i32_i24_e32 v100, v247, v139 /*v395*/
	s_set_vgpr_msb 5                        ;  msbs: dst=0 src0=1 src1=1 src2=0
	v_mul_i32_i24_e32 v101, v155 /*v411*/, v121 /*v377*/
	s_set_vgpr_msb 64                       ;  msbs: dst=1 src0=0 src1=0 src2=0
	v_bfe_i32 v46 /*v302*/, v103, 0, 8
	v_bfe_i32 v107 /*v363*/, v103, 8, 8
	;; [unrolled: 1-line block ×3, first 2 shown]
	s_set_vgpr_msb 1                        ;  msbs: dst=0 src0=1 src1=0 src2=0
	v_add3_u32 v98, v12 /*v268*/, v98, v100
	v_add3_u32 v100, v13 /*v269*/, v144, v149
	s_set_vgpr_msb 5                        ;  msbs: dst=0 src0=1 src1=1 src2=0
	v_add3_u32 v144, v133 /*v389*/, v127 /*v383*/, v101
	s_set_vgpr_msb 4                        ;  msbs: dst=0 src0=0 src1=1 src2=0
	v_mul_i32_i24_e32 v101, v106, v33 /*v289*/
	v_mul_i32_i24_e32 v103, v111, v36 /*v292*/
	;; [unrolled: 1-line block ×3, first 2 shown]
	s_set_vgpr_msb 0x44                     ;  msbs: dst=1 src0=0 src1=1 src2=0
	v_mul_i32_i24_e32 v37 /*v293*/, v233, v37 /*v293*/
	v_mul_i32_i24_e32 v85 /*v341*/, v233, v85 /*v341*/
	s_set_vgpr_msb 5                        ;  msbs: dst=0 src0=1 src1=1 src2=0
	v_add3_u32 v124, v6 /*v262*/, v101 /*v357*/, v124
	s_set_vgpr_msb 0                        ;  msbs: dst=0 src0=0 src1=0 src2=0
	v_add3_u32 v101, v148, v101, v103
	v_mul_i32_i24_e32 v103, v106, v253
	v_mul_i32_i24_e32 v148, v111, v241
	s_set_vgpr_msb 0x45                     ;  msbs: dst=1 src0=1 src1=1 src2=0
	v_mul_i32_i24_e32 v6 /*v262*/, v132 /*v388*/, v33 /*v289*/
	s_set_vgpr_msb 0x44                     ;  msbs: dst=1 src0=0 src1=1 src2=0
	v_mul_i32_i24_e32 v101 /*v357*/, v129, v36 /*v292*/
	s_set_vgpr_msb 0                        ;  msbs: dst=0 src0=0 src1=0 src2=0
	v_add3_u32 v140, v140, v87, v86
	v_bfe_i32 v249, v89, 8, 8
	s_set_vgpr_msb 1                        ;  msbs: dst=0 src0=1 src1=0 src2=0
	v_add3_u32 v103, v11 /*v267*/, v103, v148
	s_set_vgpr_msb 4                        ;  msbs: dst=0 src0=0 src1=1 src2=0
	v_mul_i32_i24_e32 v148, v106, v65 /*v321*/
	s_set_vgpr_msb 64                       ;  msbs: dst=1 src0=0 src1=0 src2=0
	v_mul_i32_i24_e32 v11 /*v267*/, v155, v197
	s_set_vgpr_msb 0x55                     ;  msbs: dst=1 src0=1 src1=1 src2=1
	v_add3_u32 v6 /*v262*/, v58 /*v314*/, v6 /*v262*/, v101 /*v357*/
	s_set_vgpr_msb 64                       ;  msbs: dst=1 src0=0 src1=0 src2=0
	v_ashrrev_i32_e32 v58 /*v314*/, 24, v105
	v_ashrrev_i32_e32 v12 /*v268*/, 24, v89
	s_set_vgpr_msb 1                        ;  msbs: dst=0 src0=1 src1=0 src2=0
	v_add3_u32 v149, v71 /*v327*/, v148, v149
	s_set_vgpr_msb 0                        ;  msbs: dst=0 src0=0 src1=0 src2=0
	v_mul_i32_i24_e32 v148, v154, v198
	s_set_vgpr_msb 64                       ;  msbs: dst=1 src0=0 src1=0 src2=0
	v_bfe_i32 v127 /*v383*/, v89, 0, 8
	v_bfe_i32 v13 /*v269*/, v91, 8, 8
	v_ashrrev_i32_e32 v71 /*v327*/, 24, v91
	v_bfe_i32 v98 /*v354*/, v105, 0, 8
	s_set_vgpr_msb 0x45                     ;  msbs: dst=1 src0=1 src1=1 src2=0
	v_add3_u32 v11 /*v267*/, v86 /*v342*/, v11 /*v267*/, v148
	s_set_vgpr_msb 0                        ;  msbs: dst=0 src0=0 src1=0 src2=0
	v_mul_i32_i24_e32 v148, v234, v253
	s_set_vgpr_msb 64                       ;  msbs: dst=1 src0=0 src1=0 src2=0
	v_mul_i32_i24_e32 v101 /*v357*/, v234, v199
	s_set_vgpr_msb 1                        ;  msbs: dst=0 src0=1 src1=0 src2=0
	v_mul_i32_i24_e32 v88, v30 /*v286*/, v199
	s_set_vgpr_msb 0x44                     ;  msbs: dst=1 src0=0 src1=1 src2=0
	v_ashrrev_i32_e32 v86 /*v342*/, 24, v3 /*v259*/
	v_bfe_i32 v119 /*v375*/, v105, 16, 8
	s_set_vgpr_msb 0x45                     ;  msbs: dst=1 src0=1 src1=1 src2=0
	v_add3_u32 v29 /*v285*/, v29 /*v285*/, v37 /*v293*/, v148
	s_set_vgpr_msb 4                        ;  msbs: dst=0 src0=0 src1=1 src2=0
	v_mul_i32_i24_e32 v148, v154, v99 /*v355*/
	s_set_vgpr_msb 0x44                     ;  msbs: dst=1 src0=0 src1=1 src2=0
	v_mul_i32_i24_e32 v37 /*v293*/, v155, v100 /*v356*/
	s_set_vgpr_msb 0                        ;  msbs: dst=0 src0=0 src1=0 src2=0
	v_mul_i32_i24_e32 v105, v204, v231
	s_set_vgpr_msb 64                       ;  msbs: dst=1 src0=0 src1=0 src2=0
	v_bfe_i32 v133 /*v389*/, v99, 0, 8
	s_set_vgpr_msb 0                        ;  msbs: dst=0 src0=0 src1=0 src2=0
	v_bfe_u32 v135, v95, 8, 4
	v_bfe_u32 v247, v95, 24, 4
	s_set_vgpr_msb 0x45                     ;  msbs: dst=1 src0=1 src1=1 src2=0
	v_add3_u32 v31 /*v287*/, v31 /*v287*/, v37 /*v293*/, v148
	s_set_vgpr_msb 4                        ;  msbs: dst=0 src0=0 src1=1 src2=0
	v_mul_i32_i24_e32 v148, v234, v65 /*v321*/
	s_set_vgpr_msb 64                       ;  msbs: dst=1 src0=0 src1=0 src2=0
	v_bfe_u32 v139 /*v395*/, v95, 12, 4
	v_mul_i32_i24_e32 v37 /*v293*/, v202, v203
	s_set_vgpr_msb 0x41                     ;  msbs: dst=1 src0=1 src1=0 src2=0
	v_mul_i32_i24_e32 v189 /*v445*/, v127 /*v383*/, v230
	s_set_vgpr_msb 1                        ;  msbs: dst=0 src0=1 src1=0 src2=0
	v_cvt_f32_f16_e64 v85, v14 /*v270*/
	s_set_vgpr_msb 4                        ;  msbs: dst=0 src0=0 src1=1 src2=0
	v_add3_u32 v139, v139, v85 /*v341*/, v148
	s_set_vgpr_msb 1                        ;  msbs: dst=0 src0=1 src1=0 src2=0
	v_mul_i32_i24_e32 v148, v22 /*v278*/, v198
	s_set_vgpr_msb 64                       ;  msbs: dst=1 src0=0 src1=0 src2=0
	v_mul_i32_i24_e32 v85 /*v341*/, v107, v197
	s_set_vgpr_msb 0x44                     ;  msbs: dst=1 src0=0 src1=1 src2=0
	v_lshrrev_b32_e32 v14 /*v270*/, 16, v14 /*v270*/
	s_set_vgpr_msb 1                        ;  msbs: dst=0 src0=1 src1=0 src2=0
	v_cvt_f32_f16_e64 v84, v16 /*v272*/
	s_set_vgpr_msb 0x44                     ;  msbs: dst=1 src0=0 src1=1 src2=0
	v_lshrrev_b32_e32 v16 /*v272*/, 16, v16 /*v272*/
	s_set_vgpr_msb 1                        ;  msbs: dst=0 src0=1 src1=0 src2=0
	v_cvt_f32_f16_e64 v87, v17 /*v273*/
	s_set_vgpr_msb 0x45                     ;  msbs: dst=1 src0=1 src1=1 src2=0
	v_add3_u32 v50 /*v306*/, v50 /*v306*/, v85 /*v341*/, v148
	s_set_vgpr_msb 1                        ;  msbs: dst=0 src0=1 src1=0 src2=0
	v_mul_i32_i24_e32 v148, v4 /*v260*/, v198
	s_set_vgpr_msb 0x41                     ;  msbs: dst=1 src0=1 src1=0 src2=0
	v_mul_i32_i24_e32 v85 /*v341*/, v108 /*v364*/, v197
	s_set_vgpr_msb 1                        ;  msbs: dst=0 src0=1 src1=0 src2=0
	v_cvt_f32_f16_e64 v86, v20 /*v276*/
	s_set_vgpr_msb 0x44                     ;  msbs: dst=1 src0=0 src1=1 src2=0
	v_dual_lshrrev_b32 v17 /*v273*/, 16, v17 /*v273*/ :: v_dual_lshrrev_b32 v20 /*v276*/, 16, v20 /*v276*/
	s_set_vgpr_msb 0x41                     ;  msbs: dst=1 src0=1 src1=0 src2=0
	v_mul_i32_i24_e32 v77 /*v333*/, v49 /*v305*/, v133
	s_set_vgpr_msb 0x45                     ;  msbs: dst=1 src0=1 src1=1 src2=0
	v_add3_u32 v51 /*v307*/, v51 /*v307*/, v85 /*v341*/, v148
	s_set_vgpr_msb 5                        ;  msbs: dst=0 src0=1 src1=1 src2=0
	v_mul_i32_i24_e32 v148, v22 /*v278*/, v99 /*v355*/
	s_set_vgpr_msb 0x44                     ;  msbs: dst=1 src0=0 src1=1 src2=0
	v_mul_i32_i24_e32 v85 /*v341*/, v107, v100 /*v356*/
	s_set_vgpr_msb 64                       ;  msbs: dst=1 src0=0 src1=0 src2=0
	v_mul_i32_i24_e32 v194 /*v450*/, v115, v229
	s_set_vgpr_msb 0                        ;  msbs: dst=0 src0=0 src1=0 src2=0
	v_cvt_f32_i32_e32 v144, v144
	s_set_vgpr_msb 0x45                     ;  msbs: dst=1 src0=1 src1=1 src2=0
	v_add3_u32 v52 /*v308*/, v52 /*v308*/, v85 /*v341*/, v148
	s_set_vgpr_msb 5                        ;  msbs: dst=0 src0=1 src1=1 src2=0
	v_mul_i32_i24_e32 v148, v4 /*v260*/, v99 /*v355*/
	s_set_vgpr_msb 0x45                     ;  msbs: dst=1 src0=1 src1=1 src2=0
	v_mul_i32_i24_e32 v85 /*v341*/, v108 /*v364*/, v100 /*v356*/
	s_delay_alu instid0(VALU_DEP_1)
	v_add3_u32 v55 /*v311*/, v55 /*v311*/, v85 /*v341*/, v148
	s_set_vgpr_msb 4                        ;  msbs: dst=0 src0=0 src1=1 src2=0
	v_mul_i32_i24_e32 v148, v154, v23 /*v279*/
	s_set_vgpr_msb 0x44                     ;  msbs: dst=1 src0=0 src1=1 src2=0
	v_mul_i32_i24_e32 v85 /*v341*/, v155, v41 /*v297*/
	s_set_vgpr_msb 0x45                     ;  msbs: dst=1 src0=1 src1=1 src2=0
	s_delay_alu instid0(VALU_DEP_1)
	v_add3_u32 v72 /*v328*/, v72 /*v328*/, v85 /*v341*/, v148
	s_set_vgpr_msb 1                        ;  msbs: dst=0 src0=1 src1=0 src2=0
	v_mul_i32_i24_e32 v148, v1 /*v257*/, v239
	s_set_vgpr_msb 64                       ;  msbs: dst=1 src0=0 src1=0 src2=0
	v_bfe_u32 v1 /*v257*/, v95, 16, 4
	s_set_vgpr_msb 0x41                     ;  msbs: dst=1 src0=1 src1=0 src2=0
	v_bfe_i32 v85 /*v341*/, v3 /*v259*/, 8, 8
	s_set_vgpr_msb 16                       ;  msbs: dst=0 src0=0 src1=0 src2=1
	v_add3_u32 v114, v114, v148, v0 /*v256*/
	s_set_vgpr_msb 5                        ;  msbs: dst=0 src0=1 src1=1 src2=0
	v_mul_i32_i24_e32 v148, v102 /*v358*/, v33 /*v289*/
	s_set_vgpr_msb 0x45                     ;  msbs: dst=1 src0=1 src1=1 src2=0
	v_mul_i32_i24_e32 v0 /*v256*/, v106 /*v362*/, v36 /*v292*/
	s_set_vgpr_msb 16                       ;  msbs: dst=0 src0=0 src1=0 src2=1
	s_delay_alu instid0(VALU_DEP_1)
	v_add3_u32 v116, v116, v148, v0 /*v256*/
	s_set_vgpr_msb 1                        ;  msbs: dst=0 src0=1 src1=0 src2=0
	v_mul_i32_i24_e32 v148, v102 /*v358*/, v253
	v_mul_i32_i24_e32 v253, v106 /*v362*/, v241
	s_set_vgpr_msb 64                       ;  msbs: dst=1 src0=0 src1=0 src2=0
	v_and_b32_e32 v0 /*v256*/, 15, v95
	s_set_vgpr_msb 0                        ;  msbs: dst=0 src0=0 src1=0 src2=0
	s_delay_alu instid0(VALU_DEP_2)
	v_add3_u32 v253, v145, v148, v253
	s_set_vgpr_msb 5                        ;  msbs: dst=0 src0=1 src1=1 src2=0
	v_mul_i32_i24_e32 v145, v102 /*v358*/, v65 /*v321*/
	s_set_vgpr_msb 64                       ;  msbs: dst=1 src0=0 src1=0 src2=0
	v_bfe_i32 v65 /*v321*/, v89, 16, 8
	s_set_vgpr_msb 5                        ;  msbs: dst=0 src0=1 src1=1 src2=0
	v_mul_i32_i24_e32 v89, v106 /*v362*/, v66 /*v322*/
	s_set_vgpr_msb 64                       ;  msbs: dst=1 src0=0 src1=0 src2=0
	v_bfe_i32 v102 /*v358*/, v91, 16, 8
	s_set_vgpr_msb 0                        ;  msbs: dst=0 src0=0 src1=0 src2=0
	v_mul_i32_i24_e32 v148, v227, v225
	s_set_vgpr_msb 0x41                     ;  msbs: dst=1 src0=1 src1=0 src2=0
	v_mul_i32_i24_e32 v192 /*v448*/, v65 /*v321*/, v229
	s_set_vgpr_msb 0                        ;  msbs: dst=0 src0=0 src1=0 src2=0
	v_add3_u32 v89, v140, v145, v89
	v_bfe_i32 v140, v91, 0, 8
	s_set_vgpr_msb 1                        ;  msbs: dst=0 src0=1 src1=0 src2=0
	v_mul_i32_i24_e32 v91, v97 /*v353*/, v239
	s_set_vgpr_msb 4                        ;  msbs: dst=0 src0=0 src1=1 src2=0
	v_mul_i32_i24_e32 v145, v146, v123 /*v379*/
	s_set_vgpr_msb 5                        ;  msbs: dst=0 src0=1 src1=1 src2=0
	v_mul_i32_i24_e32 v146, v126 /*v382*/, v123 /*v379*/
	s_set_vgpr_msb 64                       ;  msbs: dst=1 src0=0 src1=0 src2=0
	v_mul_i32_i24_e32 v97 /*v353*/, v217, v200
	s_set_vgpr_msb 0x41                     ;  msbs: dst=1 src0=1 src1=0 src2=0
	v_bfe_i32 v126 /*v382*/, v3 /*v259*/, 0, 8
	v_bfe_i32 v3 /*v259*/, v3 /*v259*/, 16, 8
	s_set_vgpr_msb 0                        ;  msbs: dst=0 src0=0 src1=0 src2=0
	v_add3_u32 v91, v92, v91, v145
	s_set_vgpr_msb 5                        ;  msbs: dst=0 src0=1 src1=1 src2=0
	v_mul_i32_i24_e32 v92, v46 /*v302*/, v23 /*v279*/
	v_mul_i32_i24_e32 v145, v53 /*v309*/, v41 /*v297*/
	s_set_vgpr_msb 0x41                     ;  msbs: dst=1 src0=1 src1=0 src2=0
	v_mul_i32_i24_e32 v148 /*v404*/, v126 /*v382*/, v230
	v_mul_i32_i24_e32 v195 /*v451*/, v102 /*v358*/, v229
	;; [unrolled: 1-line block ×3, first 2 shown]
	s_set_vgpr_msb 0                        ;  msbs: dst=0 src0=0 src1=0 src2=0
	v_add3_u32 v92, v102, v145, v92
	s_set_vgpr_msb 1                        ;  msbs: dst=0 src0=1 src1=0 src2=0
	v_mul_i32_i24_e32 v102, v46 /*v302*/, v198
	v_mul_i32_i24_e32 v145, v53 /*v309*/, v197
	s_set_vgpr_msb 0                        ;  msbs: dst=0 src0=0 src1=0 src2=0
	s_delay_alu instid0(VALU_DEP_1) | instskip(SKIP_4) | instid1(VALU_DEP_1)
	v_add3_u32 v102, v108, v145, v102
	s_set_vgpr_msb 5                        ;  msbs: dst=0 src0=1 src1=1 src2=0
	v_mul_i32_i24_e32 v108, v46 /*v302*/, v99 /*v355*/
	v_mul_i32_i24_e32 v145, v53 /*v309*/, v100 /*v356*/
	s_set_vgpr_msb 1                        ;  msbs: dst=0 src0=1 src1=0 src2=0
	v_add3_u32 v108, v39 /*v295*/, v145, v108
	v_mul_i32_i24_e32 v145, v129 /*v385*/, v239
	s_set_vgpr_msb 64                       ;  msbs: dst=1 src0=0 src1=0 src2=0
	v_ashrrev_i32_e32 v129 /*v385*/, 24, v97
	v_mul_i32_i24_e32 v39 /*v295*/, v216, v211
	s_set_vgpr_msb 0                        ;  msbs: dst=0 src0=0 src1=0 src2=0
	v_add3_u32 v126, v126, v145, v146
	s_set_vgpr_msb 5                        ;  msbs: dst=0 src0=1 src1=1 src2=0
	v_mul_i32_i24_e32 v145, v22 /*v278*/, v23 /*v279*/
	s_set_vgpr_msb 4                        ;  msbs: dst=0 src0=0 src1=1 src2=0
	v_mul_i32_i24_e32 v146, v107, v41 /*v297*/
	s_set_vgpr_msb 0                        ;  msbs: dst=0 src0=0 src1=0 src2=0
	v_mul_i32_i24_e32 v107, v107, v200
	s_set_vgpr_msb 64                       ;  msbs: dst=1 src0=0 src1=0 src2=0
	s_delay_alu instid0(VALU_DEP_2)
	v_add3_u32 v106 /*v362*/, v147, v146, v145
	s_set_vgpr_msb 1                        ;  msbs: dst=0 src0=1 src1=0 src2=0
	v_mul_i32_i24_e32 v145, v63 /*v319*/, v239
	s_set_vgpr_msb 5                        ;  msbs: dst=0 src0=1 src1=1 src2=0
	v_mul_i32_i24_e32 v146, v130 /*v386*/, v123 /*v379*/
	s_set_vgpr_msb 64                       ;  msbs: dst=1 src0=0 src1=0 src2=0
	v_ashrrev_i32_e32 v130 /*v386*/, 24, v93
	v_bfe_i32 v63 /*v319*/, v97, 0, 8
	s_set_vgpr_msb 1                        ;  msbs: dst=0 src0=1 src1=0 src2=0
	v_mul_i32_i24_e32 v97, v119 /*v375*/, v153
	s_set_vgpr_msb 0                        ;  msbs: dst=0 src0=0 src1=0 src2=0
	v_mul_i32_i24_e32 v147, v228, v229
	v_add3_u32 v124, v124, v145, v146
	s_set_vgpr_msb 5                        ;  msbs: dst=0 src0=1 src1=1 src2=0
	v_mul_i32_i24_e32 v145, v4 /*v260*/, v23 /*v279*/
	v_mul_i32_i24_e32 v146, v108 /*v364*/, v41 /*v297*/
	s_set_vgpr_msb 0x41                     ;  msbs: dst=1 src0=1 src1=0 src2=0
	s_delay_alu instid0(VALU_DEP_1)
	v_add3_u32 v6 /*v262*/, v6 /*v262*/, v146, v145
	s_set_vgpr_msb 1                        ;  msbs: dst=0 src0=1 src1=0 src2=0
	v_mul_i32_i24_e32 v145, v81 /*v337*/, v239
	s_set_vgpr_msb 5                        ;  msbs: dst=0 src0=1 src1=1 src2=0
	v_mul_i32_i24_e32 v146, v59 /*v315*/, v123 /*v379*/
	s_set_vgpr_msb 64                       ;  msbs: dst=1 src0=0 src1=0 src2=0
	v_bfe_u32 v81 /*v337*/, v95, 4, 4
	s_set_vgpr_msb 0                        ;  msbs: dst=0 src0=0 src1=0 src2=0
	s_delay_alu instid0(VALU_DEP_2) | instskip(SKIP_4) | instid1(VALU_DEP_1)
	v_add3_u32 v96, v96, v145, v146
	s_set_vgpr_msb 5                        ;  msbs: dst=0 src0=1 src1=1 src2=0
	v_mul_i32_i24_e32 v145, v98 /*v354*/, v23 /*v279*/
	v_mul_i32_i24_e32 v146, v58 /*v314*/, v41 /*v297*/
	s_set_vgpr_msb 0                        ;  msbs: dst=0 src0=0 src1=0 src2=0
	v_add3_u32 v104, v104, v146, v145
	s_set_vgpr_msb 1                        ;  msbs: dst=0 src0=1 src1=0 src2=0
	v_mul_i32_i24_e32 v145, v98 /*v354*/, v198
	v_mul_i32_i24_e32 v146, v58 /*v314*/, v197
	s_set_vgpr_msb 0x41                     ;  msbs: dst=1 src0=1 src1=0 src2=0
	s_delay_alu instid0(VALU_DEP_1)
	v_add3_u32 v59 /*v315*/, v60 /*v316*/, v146, v145
	s_set_vgpr_msb 5                        ;  msbs: dst=0 src0=1 src1=1 src2=0
	v_mul_i32_i24_e32 v145, v98 /*v354*/, v99 /*v355*/
	v_mul_i32_i24_e32 v146, v58 /*v314*/, v100 /*v356*/
	s_set_vgpr_msb 64                       ;  msbs: dst=1 src0=0 src1=0 src2=0
	v_mul_i32_i24_e32 v60 /*v316*/, v224, v230
	s_set_vgpr_msb 0x41                     ;  msbs: dst=1 src0=1 src1=0 src2=0
	s_delay_alu instid0(VALU_DEP_2)
	v_add3_u32 v26 /*v282*/, v26 /*v282*/, v146, v145
	s_set_vgpr_msb 1                        ;  msbs: dst=0 src0=1 src1=0 src2=0
	v_mul_i32_i24_e32 v145, v120 /*v376*/, v239
	s_set_vgpr_msb 5                        ;  msbs: dst=0 src0=1 src1=1 src2=0
	v_mul_i32_i24_e32 v146, v25 /*v281*/, v123 /*v379*/
	s_set_vgpr_msb 64                       ;  msbs: dst=1 src0=0 src1=0 src2=0
	v_bfe_i32 v25 /*v281*/, v93, 0, 8
	s_set_vgpr_msb 4                        ;  msbs: dst=0 src0=0 src1=1 src2=0
	v_mul_i32_i24_e32 v93, v233, v123 /*v379*/
	s_set_vgpr_msb 64                       ;  msbs: dst=1 src0=0 src1=0 src2=0
	v_lshrrev_b32_e32 v120 /*v376*/, 28, v95
	s_set_vgpr_msb 0                        ;  msbs: dst=0 src0=0 src1=0 src2=0
	v_mul_i32_i24_e32 v95, v113, v231
	v_add3_u32 v239, v94, v145, v146
	s_set_vgpr_msb 4                        ;  msbs: dst=0 src0=0 src1=1 src2=0
	v_mul_i32_i24_e32 v94, v234, v33 /*v289*/
	v_mul_i32_i24_e32 v145, v233, v103 /*v359*/
	s_set_vgpr_msb 16                       ;  msbs: dst=0 src0=0 src1=0 src2=1
	v_add3_u32 v233, v100, v93, v101 /*v357*/
	s_set_vgpr_msb 5                        ;  msbs: dst=0 src0=1 src1=1 src2=0
	v_mul_i32_i24_e32 v93, v62 /*v318*/, v23 /*v279*/
	s_set_vgpr_msb 0                        ;  msbs: dst=0 src0=0 src1=0 src2=0
	v_mul_i32_i24_e32 v100, v106, v199
	s_set_vgpr_msb 64                       ;  msbs: dst=1 src0=0 src1=0 src2=0
	v_ashrrev_i32_e32 v103 /*v359*/, 24, v99
	s_set_vgpr_msb 0                        ;  msbs: dst=0 src0=0 src1=0 src2=0
	v_add3_u32 v234, v98, v145, v94
	s_set_vgpr_msb 5                        ;  msbs: dst=0 src0=1 src1=1 src2=0
	v_mul_i32_i24_e32 v94, v131 /*v387*/, v41 /*v297*/
	v_mul_i32_i24_e32 v98, v114 /*v370*/, v83 /*v339*/
	v_mul_i32_i24_e32 v99, v119 /*v375*/, v84 /*v340*/
	v_mul_i32_i24_e32 v145, v15 /*v271*/, v7 /*v263*/
	v_mul_i32_i24_e32 v146, v18 /*v274*/, v75 /*v331*/
	s_set_vgpr_msb 64                       ;  msbs: dst=1 src0=0 src1=0 src2=0
	v_add3_u32 v33 /*v289*/, v101, v94, v93
	s_set_vgpr_msb 1                        ;  msbs: dst=0 src0=1 src1=0 src2=0
	v_mul_i32_i24_e32 v93, v62 /*v318*/, v198
	v_mul_i32_i24_e32 v94, v131 /*v387*/, v197
	s_set_vgpr_msb 0                        ;  msbs: dst=0 src0=0 src1=0 src2=0
	v_mul_i32_i24_e32 v101, v111, v231
	s_set_vgpr_msb 1                        ;  msbs: dst=0 src0=1 src1=0 src2=0
	v_add3_u32 v111, v26 /*v282*/, v98, v99
	s_set_vgpr_msb 0                        ;  msbs: dst=0 src0=0 src1=0 src2=0
	v_cvt_f32_f16_e64 v98, v209
	v_cvt_f32_f16_e64 v99, v212
	s_set_vgpr_msb 64                       ;  msbs: dst=1 src0=0 src1=0 src2=0
	v_add3_u32 v101 /*v357*/, v103, v94, v93
	s_set_vgpr_msb 5                        ;  msbs: dst=0 src0=1 src1=1 src2=0
	v_mul_i32_i24_e32 v93, v62 /*v318*/, v99 /*v355*/
	v_mul_i32_i24_e32 v94, v131 /*v387*/, v100 /*v356*/
	s_set_vgpr_msb 4                        ;  msbs: dst=0 src0=0 src1=1 src2=0
	v_mul_i32_i24_e32 v103, v204, v36 /*v292*/
	s_set_vgpr_msb 0x44                     ;  msbs: dst=1 src0=0 src1=1 src2=0
	v_mul_i32_i24_e32 v26 /*v282*/, v201, v27 /*v283*/
	s_set_vgpr_msb 0x45                     ;  msbs: dst=1 src0=1 src1=1 src2=0
	v_mul_i32_i24_e32 v36 /*v292*/, v8 /*v264*/, v94 /*v350*/
	s_set_vgpr_msb 64                       ;  msbs: dst=1 src0=0 src1=0 src2=0
	v_add3_u32 v123 /*v379*/, v149, v94, v93
	s_set_vgpr_msb 0                        ;  msbs: dst=0 src0=0 src1=0 src2=0
	v_mul_i32_i24_e32 v93, v254, v152
	v_mul_i32_i24_e32 v94, v255, v153
	s_set_vgpr_msb 5                        ;  msbs: dst=0 src0=1 src1=1 src2=0
	v_mul_i32_i24_e32 v149, v54 /*v310*/, v5 /*v261*/
	s_set_vgpr_msb 0x41                     ;  msbs: dst=1 src0=1 src1=0 src2=0
	s_delay_alu instid0(VALU_DEP_2) | instskip(SKIP_4) | instid1(VALU_DEP_1)
	v_add3_u32 v11 /*v267*/, v11 /*v267*/, v93, v94
	s_set_vgpr_msb 0                        ;  msbs: dst=0 src0=0 src1=0 src2=0
	v_mul_i32_i24_e32 v93, v205, v240
	v_mul_i32_i24_e32 v94, v204, v241
	s_set_vgpr_msb 1                        ;  msbs: dst=0 src0=1 src1=0 src2=0
	v_add3_u32 v240, v29 /*v285*/, v94, v93
	s_set_vgpr_msb 4                        ;  msbs: dst=0 src0=0 src1=1 src2=0
	v_mul_i32_i24_e32 v93, v254, v83 /*v339*/
	v_mul_i32_i24_e32 v94, v255, v84 /*v340*/
	s_set_vgpr_msb 1                        ;  msbs: dst=0 src0=1 src1=0 src2=0
	s_delay_alu instid0(VALU_DEP_1)
	v_add3_u32 v241, v31 /*v287*/, v93, v94
	s_set_vgpr_msb 4                        ;  msbs: dst=0 src0=0 src1=1 src2=0
	v_mul_i32_i24_e32 v93, v205, v91 /*v347*/
	v_mul_i32_i24_e32 v94, v204, v66 /*v322*/
	s_set_vgpr_msb 0                        ;  msbs: dst=0 src0=0 src1=0 src2=0
	v_add3_u32 v204, v239, v100, v101
	v_cvt_f32_f16_e64 v100, v207
	v_cvt_f32_f16_e64 v101, v210
	v_mul_i32_i24_e32 v239, v251, v236
	v_add3_u32 v139, v139, v94, v93
	s_set_vgpr_msb 1                        ;  msbs: dst=0 src0=1 src1=0 src2=0
	v_mul_i32_i24_e32 v93, v109 /*v365*/, v152
	s_set_vgpr_msb 0                        ;  msbs: dst=0 src0=0 src1=0 src2=0
	v_mul_i32_i24_e32 v94, v127, v153
	s_set_vgpr_msb 0x44                     ;  msbs: dst=1 src0=0 src1=1 src2=0
	v_mul_i32_i24_e32 v66 /*v322*/, v228, v40 /*v296*/
	s_set_vgpr_msb 0x41                     ;  msbs: dst=1 src0=1 src1=0 src2=0
	s_delay_alu instid0(VALU_DEP_2)
	v_add3_u32 v29 /*v285*/, v50 /*v306*/, v93, v94
	s_set_vgpr_msb 1                        ;  msbs: dst=0 src0=1 src1=0 src2=0
	v_mul_i32_i24_e32 v93, v110 /*v366*/, v152
	s_set_vgpr_msb 0                        ;  msbs: dst=0 src0=0 src1=0 src2=0
	v_mul_i32_i24_e32 v94, v125, v153
	s_set_vgpr_msb 0x41                     ;  msbs: dst=1 src0=1 src1=0 src2=0
	s_delay_alu instid0(VALU_DEP_1)
	v_add3_u32 v31 /*v287*/, v51 /*v307*/, v93, v94
	s_set_vgpr_msb 5                        ;  msbs: dst=0 src0=1 src1=1 src2=0
	v_mul_i32_i24_e32 v93, v109 /*v365*/, v83 /*v339*/
	s_set_vgpr_msb 4                        ;  msbs: dst=0 src0=0 src1=1 src2=0
	v_mul_i32_i24_e32 v94, v127, v84 /*v340*/
	s_set_vgpr_msb 0x41                     ;  msbs: dst=1 src0=1 src1=0 src2=0
	s_delay_alu instid0(VALU_DEP_1)
	v_add3_u32 v50 /*v306*/, v52 /*v308*/, v93, v94
	s_set_vgpr_msb 5                        ;  msbs: dst=0 src0=1 src1=1 src2=0
	v_mul_i32_i24_e32 v93, v110 /*v366*/, v83 /*v339*/
	s_set_vgpr_msb 4                        ;  msbs: dst=0 src0=0 src1=1 src2=0
	v_mul_i32_i24_e32 v94, v125, v84 /*v340*/
	s_set_vgpr_msb 0x41                     ;  msbs: dst=1 src0=1 src1=0 src2=0
	s_delay_alu instid0(VALU_DEP_1)
	v_add3_u32 v51 /*v307*/, v55 /*v311*/, v93, v94
	s_set_vgpr_msb 4                        ;  msbs: dst=0 src0=0 src1=1 src2=0
	v_mul_i32_i24_e32 v93, v254, v27 /*v283*/
	v_mul_i32_i24_e32 v94, v255, v87 /*v343*/
	s_set_vgpr_msb 0x45                     ;  msbs: dst=1 src0=1 src1=1 src2=0
	v_mul_i32_i24_e32 v55 /*v311*/, v49 /*v305*/, v21 /*v277*/
	s_set_vgpr_msb 0x41                     ;  msbs: dst=1 src0=1 src1=0 src2=0
	s_delay_alu instid0(VALU_DEP_2)
	v_add3_u32 v52 /*v308*/, v72 /*v328*/, v93, v94
	s_set_vgpr_msb 0                        ;  msbs: dst=0 src0=0 src1=0 src2=0
	v_mul_i32_i24_e32 v93, v150, v199
	v_mul_i32_i24_e32 v94, v238, v231
	s_set_vgpr_msb 0x44                     ;  msbs: dst=1 src0=0 src1=1 src2=0
	v_mul_i32_i24_e32 v72 /*v328*/, v143, v125 /*v381*/
	s_set_vgpr_msb 5                        ;  msbs: dst=0 src0=1 src1=1 src2=0
	v_mul_i32_i24_e32 v150, v48 /*v304*/, v73 /*v329*/
	s_set_vgpr_msb 0                        ;  msbs: dst=0 src0=0 src1=0 src2=0
	v_add3_u32 v114, v114, v93, v94
	s_set_vgpr_msb 5                        ;  msbs: dst=0 src0=1 src1=1 src2=0
	v_mul_i32_i24_e32 v93, v78 /*v334*/, v23 /*v279*/
	v_mul_i32_i24_e32 v94, v79 /*v335*/, v41 /*v297*/
	s_set_vgpr_msb 0                        ;  msbs: dst=0 src0=0 src1=0 src2=0
	s_delay_alu instid0(VALU_DEP_1) | instskip(SKIP_4) | instid1(VALU_DEP_1)
	v_add3_u32 v116, v116, v94, v93
	s_set_vgpr_msb 1                        ;  msbs: dst=0 src0=1 src1=0 src2=0
	v_mul_i32_i24_e32 v93, v78 /*v334*/, v198
	v_mul_i32_i24_e32 v94, v79 /*v335*/, v197
	s_set_vgpr_msb 0                        ;  msbs: dst=0 src0=0 src1=0 src2=0
	v_add3_u32 v238, v253, v94, v93
	s_set_vgpr_msb 5                        ;  msbs: dst=0 src0=1 src1=1 src2=0
	v_mul_i32_i24_e32 v93, v78 /*v334*/, v99 /*v355*/
	v_mul_i32_i24_e32 v94, v79 /*v335*/, v100 /*v356*/
	s_set_vgpr_msb 0x45                     ;  msbs: dst=1 src0=1 src1=1 src2=0
	v_mul_i32_i24_e32 v78 /*v334*/, v105 /*v361*/, v19 /*v275*/
	s_set_vgpr_msb 0                        ;  msbs: dst=0 src0=0 src1=0 src2=0
	s_delay_alu instid0(VALU_DEP_2)
	v_add3_u32 v253, v89, v94, v93
	v_mul_i32_i24_e32 v89, v109, v231
	s_set_vgpr_msb 1                        ;  msbs: dst=0 src0=1 src1=0 src2=0
	v_mul_i32_i24_e32 v94, v45 /*v301*/, v199
	s_set_vgpr_msb 0                        ;  msbs: dst=0 src0=0 src1=0 src2=0
	v_mul_i32_i24_e32 v93, v129, v231
	v_add3_u32 v109, v91, v88, v89
	s_set_vgpr_msb 5                        ;  msbs: dst=0 src0=1 src1=1 src2=0
	v_mul_i32_i24_e32 v88, v107 /*v363*/, v27 /*v283*/
	v_mul_i32_i24_e32 v89, v113 /*v369*/, v87 /*v343*/
	s_set_vgpr_msb 0                        ;  msbs: dst=0 src0=0 src1=0 src2=0
	v_add3_u32 v113, v96, v94, v95
	s_set_vgpr_msb 1                        ;  msbs: dst=0 src0=1 src1=0 src2=0
	v_mul_i32_i24_e32 v96, v114 /*v370*/, v152
	s_set_vgpr_msb 5                        ;  msbs: dst=0 src0=1 src1=1 src2=0
	v_mul_i32_i24_e32 v94, v114 /*v370*/, v27 /*v283*/
	v_mul_i32_i24_e32 v95, v119 /*v375*/, v87 /*v343*/
	s_set_vgpr_msb 64                       ;  msbs: dst=1 src0=0 src1=0 src2=0
	v_add3_u32 v2 /*v258*/, v92, v88, v89
	s_set_vgpr_msb 1                        ;  msbs: dst=0 src0=1 src1=0 src2=0
	v_mul_i32_i24_e32 v88, v107 /*v363*/, v152
	v_mul_i32_i24_e32 v89, v113 /*v369*/, v153
	v_add3_u32 v106, v59 /*v315*/, v96, v97
	s_set_vgpr_msb 0                        ;  msbs: dst=0 src0=0 src1=0 src2=0
	v_cvt_f32_f16_e64 v97, v213
	s_set_vgpr_msb 1                        ;  msbs: dst=0 src0=1 src1=0 src2=0
	v_mul_i32_i24_e32 v92, v132 /*v388*/, v199
	s_set_vgpr_msb 0                        ;  msbs: dst=0 src0=0 src1=0 src2=0
	v_add3_u32 v104, v104, v94, v95
	s_set_vgpr_msb 64                       ;  msbs: dst=1 src0=0 src1=0 src2=0
	v_add3_u32 v30 /*v286*/, v102, v88, v89
	s_set_vgpr_msb 4                        ;  msbs: dst=0 src0=0 src1=1 src2=0
	v_mul_i32_i24_e32 v102, v205, v34 /*v290*/
	v_cvt_f32_f16_e64 v94, v214
	v_mul_i32_i24_e32 v199, v202, v99 /*v355*/
	s_set_vgpr_msb 0                        ;  msbs: dst=0 src0=0 src1=0 src2=0
	v_add3_u32 v124, v124, v92, v93
	s_set_vgpr_msb 5                        ;  msbs: dst=0 src0=1 src1=1 src2=0
	v_mul_i32_i24_e32 v92, v110 /*v366*/, v27 /*v283*/
	s_set_vgpr_msb 0                        ;  msbs: dst=0 src0=0 src1=0 src2=0
	v_add3_u32 v205, v234, v103, v102
	v_cvt_f32_f16_e64 v103, v151
	v_cvt_f32_f16_e64 v102, v206
	s_set_vgpr_msb 16                       ;  msbs: dst=0 src0=0 src1=0 src2=1
	v_add3_u32 v206, v233, v105, v138 /*v394*/
	s_set_vgpr_msb 5                        ;  msbs: dst=0 src0=1 src1=1 src2=0
	v_mul_i32_i24_e32 v105, v10 /*v266*/, v27 /*v283*/
	v_mul_i32_i24_e32 v151, v136 /*v392*/, v87 /*v343*/
	s_set_vgpr_msb 4                        ;  msbs: dst=0 src0=0 src1=1 src2=0
	v_mul_i32_i24_e32 v93, v125, v87 /*v343*/
	v_cvt_f32_f16_e64 v96, v215
	s_set_vgpr_msb 5                        ;  msbs: dst=0 src0=1 src1=1 src2=0
	v_mul_i32_i24_e32 v88, v107 /*v363*/, v83 /*v339*/
	v_mul_i32_i24_e32 v89, v113 /*v369*/, v84 /*v340*/
	s_set_vgpr_msb 1                        ;  msbs: dst=0 src0=1 src1=0 src2=0
	v_add3_u32 v207, v33 /*v289*/, v105, v151
	v_mul_i32_i24_e32 v105, v10 /*v266*/, v152
	v_mul_i32_i24_e32 v151, v136 /*v392*/, v153
	v_add3_u32 v129, v6 /*v262*/, v92, v93
	s_set_vgpr_msb 0                        ;  msbs: dst=0 src0=0 src1=0 src2=0
	v_cvt_f32_f16_e64 v92, v219
	s_set_vgpr_msb 64                       ;  msbs: dst=1 src0=0 src1=0 src2=0
	v_lshrrev_b32_e32 v132 /*v388*/, 16, v219
	s_set_vgpr_msb 0                        ;  msbs: dst=0 src0=0 src1=0 src2=0
	v_cvt_f32_f16_e64 v95, v218
	s_set_vgpr_msb 1                        ;  msbs: dst=0 src0=1 src1=0 src2=0
	v_add3_u32 v209, v101 /*v357*/, v105, v151
	s_set_vgpr_msb 5                        ;  msbs: dst=0 src0=1 src1=1 src2=0
	v_mul_i32_i24_e32 v105, v10 /*v266*/, v83 /*v339*/
	v_mul_i32_i24_e32 v151, v136 /*v392*/, v84 /*v340*/
	s_set_vgpr_msb 0                        ;  msbs: dst=0 src0=0 src1=0 src2=0
	v_add3_u32 v108, v108, v88, v89
	v_cvt_f32_f16_e64 v88, v223
	v_cvt_f32_f16_e64 v93, v220
	v_mul_i32_i24_e32 v91, v131, v231
	s_set_vgpr_msb 1                        ;  msbs: dst=0 src0=1 src1=0 src2=0
	v_add3_u32 v210, v123 /*v379*/, v105, v151
	s_set_vgpr_msb 0                        ;  msbs: dst=0 src0=0 src1=0 src2=0
	v_mul_i32_i24_e32 v105, v235, v208
	v_mul_i32_i24_e32 v151, v242, v252
	;; [unrolled: 1-line block ×3, first 2 shown]
	v_add3_u32 v126, v126, v90, v91
	s_set_vgpr_msb 5                        ;  msbs: dst=0 src0=1 src1=1 src2=0
	v_mul_i32_i24_e32 v90, v109 /*v365*/, v27 /*v283*/
	s_set_vgpr_msb 4                        ;  msbs: dst=0 src0=0 src1=1 src2=0
	v_mul_i32_i24_e32 v91, v127, v87 /*v343*/
	s_set_vgpr_msb 1                        ;  msbs: dst=0 src0=1 src1=0 src2=0
	v_add3_u32 v212, v11 /*v267*/, v151, v105
	s_set_vgpr_msb 0                        ;  msbs: dst=0 src0=0 src1=0 src2=0
	v_mul_i32_i24_e32 v105, v201, v152
	v_mul_i32_i24_e32 v151, v202, v198
	s_set_vgpr_msb 4                        ;  msbs: dst=0 src0=0 src1=1 src2=0
	v_mul_i32_i24_e32 v198, v235, v104 /*v360*/
	s_set_vgpr_msb 1                        ;  msbs: dst=0 src0=1 src1=0 src2=0
	v_add3_u32 v131, v106 /*v362*/, v90, v91
	s_set_vgpr_msb 0                        ;  msbs: dst=0 src0=0 src1=0 src2=0
	v_cvt_f32_f16_e64 v89, v226
	v_cvt_f32_f16_e64 v90, v221
	v_add3_u32 v213, v240, v151, v105
	s_set_vgpr_msb 4                        ;  msbs: dst=0 src0=0 src1=1 src2=0
	v_mul_i32_i24_e32 v105, v242, v122 /*v378*/
	v_mul_i32_i24_e32 v151, v201, v83 /*v339*/
	v_cvt_f32_f16_e64 v91, v222
	s_set_vgpr_msb 0                        ;  msbs: dst=0 src0=0 src1=0 src2=0
	v_mul_i32_i24_e32 v221, v237, v244
	v_mul_i32_i24_e32 v222, v250, v243
	v_add3_u32 v214, v241, v105, v198
	s_set_vgpr_msb 1                        ;  msbs: dst=0 src0=1 src1=0 src2=0
	v_mul_i32_i24_e32 v105, v111 /*v367*/, v208
	v_mul_i32_i24_e32 v198, v44 /*v300*/, v252
	s_set_vgpr_msb 0                        ;  msbs: dst=0 src0=0 src1=0 src2=0
	v_add3_u32 v139, v139, v199, v151
	s_set_vgpr_msb 1                        ;  msbs: dst=0 src0=1 src1=0 src2=0
	v_mul_i32_i24_e32 v151, v35 /*v291*/, v208
	v_mul_i32_i24_e32 v199, v47 /*v303*/, v252
	s_set_vgpr_msb 0                        ;  msbs: dst=0 src0=0 src1=0 src2=0
	v_mul_i32_i24_e32 v226, v217, v197
	s_set_vgpr_msb 1                        ;  msbs: dst=0 src0=1 src1=0 src2=0
	v_add3_u32 v215, v29 /*v285*/, v198, v105
	s_set_vgpr_msb 5                        ;  msbs: dst=0 src0=1 src1=1 src2=0
	v_mul_i32_i24_e32 v105, v111 /*v367*/, v104 /*v360*/
	v_mul_i32_i24_e32 v198, v44 /*v300*/, v122 /*v378*/
	s_set_vgpr_msb 1                        ;  msbs: dst=0 src0=1 src1=0 src2=0
	v_add3_u32 v218, v31 /*v287*/, v199, v151
	s_set_vgpr_msb 5                        ;  msbs: dst=0 src0=1 src1=1 src2=0
	v_mul_i32_i24_e32 v151, v35 /*v291*/, v104 /*v360*/
	v_mul_i32_i24_e32 v199, v47 /*v303*/, v122 /*v378*/
	s_set_vgpr_msb 4                        ;  msbs: dst=0 src0=0 src1=1 src2=0
	v_mul_i32_i24_e32 v202, v202, v23 /*v279*/
	s_set_vgpr_msb 1                        ;  msbs: dst=0 src0=1 src1=0 src2=0
	v_add3_u32 v219, v50 /*v306*/, v198, v105
	s_set_vgpr_msb 0                        ;  msbs: dst=0 src0=0 src1=0 src2=0
	v_mul_i32_i24_e32 v105, v235, v135
	v_mul_i32_i24_e32 v198, v242, v247
	s_set_vgpr_msb 1                        ;  msbs: dst=0 src0=1 src1=0 src2=0
	v_add3_u32 v220, v51 /*v307*/, v199, v151
	s_set_vgpr_msb 0                        ;  msbs: dst=0 src0=0 src1=0 src2=0
	v_mul_i32_i24_e32 v151, v154, v203
	v_mul_i32_i24_e32 v154, v155, v200
	s_set_vgpr_msb 5                        ;  msbs: dst=0 src0=1 src1=1 src2=0
	v_mul_i32_i24_e32 v155, v38 /*v294*/, v87 /*v343*/
	s_set_vgpr_msb 1                        ;  msbs: dst=0 src0=1 src1=0 src2=0
	v_add3_u32 v223, v52 /*v308*/, v198, v105
	s_set_vgpr_msb 5                        ;  msbs: dst=0 src0=1 src1=1 src2=0
	v_mul_i32_i24_e32 v105, v117 /*v373*/, v27 /*v283*/
	s_set_vgpr_msb 0                        ;  msbs: dst=0 src0=0 src1=0 src2=0
	v_mul_i32_i24_e32 v201, v201, v110
	v_add3_u32 v114, v114, v154, v151
	s_set_vgpr_msb 1                        ;  msbs: dst=0 src0=1 src1=0 src2=0
	v_mul_i32_i24_e32 v151, v38 /*v294*/, v153
	s_set_vgpr_msb 5                        ;  msbs: dst=0 src0=1 src1=1 src2=0
	v_mul_i32_i24_e32 v153, v38 /*v294*/, v84 /*v340*/
	s_set_vgpr_msb 0                        ;  msbs: dst=0 src0=0 src1=0 src2=0
	v_add3_u32 v116, v116, v105, v155
	s_set_vgpr_msb 1                        ;  msbs: dst=0 src0=1 src1=0 src2=0
	v_mul_i32_i24_e32 v105, v117 /*v373*/, v152
	s_set_vgpr_msb 5                        ;  msbs: dst=0 src0=1 src1=1 src2=0
	v_mul_i32_i24_e32 v152, v117 /*v373*/, v83 /*v339*/
	s_set_vgpr_msb 0                        ;  msbs: dst=0 src0=0 src1=0 src2=0
	v_mul_i32_i24_e32 v154, v249, v135
	s_set_vgpr_msb 0x50                     ;  msbs: dst=1 src0=0 src1=0 src2=1
	v_add3_u32 v26 /*v282*/, v205, v202, v26 /*v282*/
	s_set_vgpr_msb 1                        ;  msbs: dst=0 src0=1 src1=0 src2=0
	v_mul_i32_i24_e32 v202, v85 /*v341*/, v208
	s_set_vgpr_msb 0                        ;  msbs: dst=0 src0=0 src1=0 src2=0
	v_add3_u32 v238, v238, v105, v151
	s_set_vgpr_msb 1                        ;  msbs: dst=0 src0=1 src1=0 src2=0
	v_mul_i32_i24_e32 v105, v46 /*v302*/, v203
	v_mul_i32_i24_e32 v151, v53 /*v309*/, v200
	s_set_vgpr_msb 0                        ;  msbs: dst=0 src0=0 src1=0 src2=0
	v_add3_u32 v241, v253, v152, v153
	s_set_vgpr_msb 1                        ;  msbs: dst=0 src0=1 src1=0 src2=0
	v_mul_i32_i24_e32 v152, v12 /*v268*/, v247
	s_set_vgpr_msb 0                        ;  msbs: dst=0 src0=0 src1=0 src2=0
	v_mul_i32_i24_e32 v153, v249, v208
	s_set_vgpr_msb 64                       ;  msbs: dst=1 src0=0 src1=0 src2=0
	v_add3_u32 v38 /*v294*/, v212, v221, v222
	s_set_vgpr_msb 0                        ;  msbs: dst=0 src0=0 src1=0 src2=0
	v_add3_u32 v109, v109, v151, v105
	s_set_vgpr_msb 1                        ;  msbs: dst=0 src0=1 src1=0 src2=0
	v_mul_i32_i24_e32 v105, v12 /*v268*/, v252
	v_add3_u32 v253, v2 /*v258*/, v152, v154
	s_set_vgpr_msb 4                        ;  msbs: dst=0 src0=0 src1=1 src2=0
	v_mul_i32_i24_e32 v151, v249, v104 /*v360*/
	s_set_vgpr_msb 5                        ;  msbs: dst=0 src0=1 src1=1 src2=0
	v_mul_i32_i24_e32 v152, v12 /*v268*/, v122 /*v378*/
	s_set_vgpr_msb 0                        ;  msbs: dst=0 src0=0 src1=0 src2=0
	v_add3_u32 v221, v213, v231, v226
	s_set_vgpr_msb 0x41                     ;  msbs: dst=1 src0=1 src1=0 src2=0
	v_add3_u32 v2 /*v258*/, v30 /*v286*/, v105, v153
	s_set_vgpr_msb 1                        ;  msbs: dst=0 src0=1 src1=0 src2=0
	v_mul_i32_i24_e32 v105, v22 /*v278*/, v203
	v_mul_i32_i24_e32 v153, v13 /*v269*/, v135
	s_set_vgpr_msb 0                        ;  msbs: dst=0 src0=0 src1=0 src2=0
	v_add3_u32 v108, v108, v152, v151
	s_set_vgpr_msb 1                        ;  msbs: dst=0 src0=1 src1=0 src2=0
	v_mul_i32_i24_e32 v151, v111 /*v367*/, v135
	v_mul_i32_i24_e32 v152, v44 /*v300*/, v247
	s_set_vgpr_msb 0                        ;  msbs: dst=0 src0=0 src1=0 src2=0
	v_add3_u32 v126, v126, v107, v105
	s_set_vgpr_msb 1                        ;  msbs: dst=0 src0=1 src1=0 src2=0
	v_mul_i32_i24_e32 v105, v4 /*v260*/, v203
	v_mul_i32_i24_e32 v107, v108 /*v364*/, v200
	s_set_vgpr_msb 0x44                     ;  msbs: dst=1 src0=0 src1=1 src2=0
	v_add3_u32 v30 /*v286*/, v206, v37 /*v293*/, v201
	s_set_vgpr_msb 0                        ;  msbs: dst=0 src0=0 src1=0 src2=0
	v_add3_u32 v131, v131, v152, v151
	s_set_vgpr_msb 1                        ;  msbs: dst=0 src0=1 src1=0 src2=0
	v_mul_i32_i24_e32 v151, v35 /*v291*/, v135
	v_mul_i32_i24_e32 v152, v47 /*v303*/, v247
	s_set_vgpr_msb 0                        ;  msbs: dst=0 src0=0 src1=0 src2=0
	v_add3_u32 v124, v124, v107, v105
	s_set_vgpr_msb 1                        ;  msbs: dst=0 src0=1 src1=0 src2=0
	v_mul_i32_i24_e32 v105, v98 /*v354*/, v203
	v_mul_i32_i24_e32 v107, v58 /*v314*/, v200
	;; [unrolled: 1-line block ×3, first 2 shown]
	s_set_vgpr_msb 0                        ;  msbs: dst=0 src0=0 src1=0 src2=0
	v_add3_u32 v129, v129, v152, v151
	s_set_vgpr_msb 1                        ;  msbs: dst=0 src0=1 src1=0 src2=0
	v_mul_i32_i24_e32 v152, v13 /*v269*/, v208
	v_mul_i32_i24_e32 v151, v71 /*v327*/, v247
	s_set_vgpr_msb 0                        ;  msbs: dst=0 src0=0 src1=0 src2=0
	v_add3_u32 v113, v113, v107, v105
	s_set_vgpr_msb 1                        ;  msbs: dst=0 src0=1 src1=0 src2=0
	v_mul_i32_i24_e32 v105, v71 /*v327*/, v252
	s_set_vgpr_msb 5                        ;  msbs: dst=0 src0=1 src1=1 src2=0
	v_mul_i32_i24_e32 v107, v13 /*v269*/, v104 /*v360*/
	s_set_vgpr_msb 1                        ;  msbs: dst=0 src0=1 src1=0 src2=0
	v_mul_i32_i24_e32 v201, v86 /*v342*/, v252
	s_set_vgpr_msb 64                       ;  msbs: dst=1 src0=0 src1=0 src2=0
	v_add3_u32 v4 /*v260*/, v104, v151, v153
	s_set_vgpr_msb 5                        ;  msbs: dst=0 src0=1 src1=1 src2=0
	v_mul_i32_i24_e32 v104, v71 /*v327*/, v122 /*v378*/
	s_set_vgpr_msb 64                       ;  msbs: dst=1 src0=0 src1=0 src2=0
	v_add3_u32 v6 /*v262*/, v106, v105, v152
	s_set_vgpr_msb 1                        ;  msbs: dst=0 src0=1 src1=0 src2=0
	v_mul_i32_i24_e32 v106, v62 /*v318*/, v203
	s_set_vgpr_msb 4                        ;  msbs: dst=0 src0=0 src1=1 src2=0
	v_mul_i32_i24_e32 v203, v250, v40 /*v296*/
	s_set_vgpr_msb 0x44                     ;  msbs: dst=1 src0=0 src1=1 src2=0
	v_mul_i32_i24_e32 v11 /*v267*/, v217, v100 /*v356*/
	s_set_vgpr_msb 0                        ;  msbs: dst=0 src0=0 src1=0 src2=0
	v_add3_u32 v111, v111, v104, v107
	s_set_vgpr_msb 4                        ;  msbs: dst=0 src0=0 src1=1 src2=0
	v_mul_i32_i24_e32 v107, v237, v124 /*v380*/
	s_set_vgpr_msb 64                       ;  msbs: dst=1 src0=0 src1=0 src2=0
	v_add3_u32 v27 /*v283*/, v204, v200, v106
	s_set_vgpr_msb 1                        ;  msbs: dst=0 src0=1 src1=0 src2=0
	v_mul_i32_i24_e32 v106, v85 /*v341*/, v135
	v_mul_i32_i24_e32 v200, v86 /*v342*/, v247
	s_set_vgpr_msb 5                        ;  msbs: dst=0 src0=1 src1=1 src2=0
	v_mul_i32_i24_e32 v204, v85 /*v341*/, v104 /*v360*/
	s_set_vgpr_msb 0                        ;  msbs: dst=0 src0=0 src1=0 src2=0
	v_add3_u32 v226, v214, v107, v203
	v_mul_i32_i24_e32 v107, v117, v243
	s_set_vgpr_msb 0x44                     ;  msbs: dst=1 src0=0 src1=1 src2=0
	v_mul_i32_i24_e32 v22 /*v278*/, v216, v84 /*v340*/
	s_set_vgpr_msb 64                       ;  msbs: dst=1 src0=0 src1=0 src2=0
	v_add3_u32 v31 /*v287*/, v207, v200, v106
	s_set_vgpr_msb 5                        ;  msbs: dst=0 src0=1 src1=1 src2=0
	v_mul_i32_i24_e32 v106, v86 /*v342*/, v122 /*v378*/
	s_set_vgpr_msb 64                       ;  msbs: dst=1 src0=0 src1=0 src2=0
	v_add3_u32 v34 /*v290*/, v209, v201, v202
	s_set_vgpr_msb 1                        ;  msbs: dst=0 src0=1 src1=0 src2=0
	v_mul_i32_i24_e32 v200, v68 /*v324*/, v244
	s_set_vgpr_msb 0                        ;  msbs: dst=0 src0=0 src1=0 src2=0
	v_mul_i32_i24_e32 v201, v115, v243
	s_set_vgpr_msb 5                        ;  msbs: dst=0 src0=1 src1=1 src2=0
	v_mul_i32_i24_e32 v202, v112 /*v368*/, v124 /*v380*/
	s_set_vgpr_msb 64                       ;  msbs: dst=1 src0=0 src1=0 src2=0
	v_add3_u32 v37 /*v293*/, v210, v106, v204
	s_set_vgpr_msb 1                        ;  msbs: dst=0 src0=1 src1=0 src2=0
	v_mul_i32_i24_e32 v106, v112 /*v368*/, v244
	s_set_vgpr_msb 0                        ;  msbs: dst=0 src0=0 src1=0 src2=0
	v_mul_i32_i24_e32 v234, v248, v208
	s_set_vgpr_msb 20                       ;  msbs: dst=0 src0=0 src1=1 src2=1
	v_add3_u32 v139, v139, v22 /*v278*/, v11 /*v267*/
	s_set_vgpr_msb 64                       ;  msbs: dst=1 src0=0 src1=0 src2=0
	v_add3_u32 v11 /*v267*/, v218, v200, v201
	s_set_vgpr_msb 4                        ;  msbs: dst=0 src0=0 src1=1 src2=0
	v_mul_i32_i24_e32 v200, v115, v40 /*v296*/
	s_set_vgpr_msb 0                        ;  msbs: dst=0 src0=0 src1=0 src2=0
	v_add3_u32 v231, v215, v106, v107
	s_set_vgpr_msb 4                        ;  msbs: dst=0 src0=0 src1=1 src2=0
	v_mul_i32_i24_e32 v106, v117, v40 /*v296*/
	s_set_vgpr_msb 5                        ;  msbs: dst=0 src0=1 src1=1 src2=0
	v_mul_i32_i24_e32 v107, v68 /*v324*/, v124 /*v380*/
	s_set_vgpr_msb 4                        ;  msbs: dst=0 src0=0 src1=1 src2=0
	v_mul_i32_i24_e32 v201, v250, v1 /*v257*/
	s_set_vgpr_msb 1                        ;  msbs: dst=0 src0=1 src1=0 src2=0
	v_mul_i32_i24_e32 v208, v9 /*v265*/, v208
	s_set_vgpr_msb 0                        ;  msbs: dst=0 src0=0 src1=0 src2=0
	v_mul_i32_i24_e32 v209, v245, v252
	s_set_vgpr_msb 64                       ;  msbs: dst=1 src0=0 src1=0 src2=0
	v_add3_u32 v22 /*v278*/, v219, v202, v106
	s_set_vgpr_msb 4                        ;  msbs: dst=0 src0=0 src1=1 src2=0
	v_mul_i32_i24_e32 v106, v237, v0 /*v256*/
	s_set_vgpr_msb 5                        ;  msbs: dst=0 src0=1 src1=1 src2=0
	v_mul_i32_i24_e32 v210, v9 /*v265*/, v104 /*v360*/
	s_set_vgpr_msb 4                        ;  msbs: dst=0 src0=0 src1=1 src2=0
	v_mul_i32_i24_e32 v212, v245, v122 /*v378*/
	s_set_vgpr_msb 64                       ;  msbs: dst=1 src0=0 src1=0 src2=0
	v_add3_u32 v45 /*v301*/, v220, v107, v200
	s_set_vgpr_msb 0                        ;  msbs: dst=0 src0=0 src1=0 src2=0
	v_mul_i32_i24_e32 v107, v255, v211
	v_add3_u32 v255, v223, v106, v201
	v_mul_i32_i24_e32 v201, v254, v110
	v_add3_u32 v238, v238, v209, v208
	s_set_vgpr_msb 1                        ;  msbs: dst=0 src0=1 src1=0 src2=0
	v_mul_i32_i24_e32 v208, v113 /*v369*/, v211
	s_set_vgpr_msb 5                        ;  msbs: dst=0 src0=1 src1=1 src2=0
	v_mul_i32_i24_e32 v209, v127 /*v383*/, v0 /*v256*/
	s_set_vgpr_msb 0                        ;  msbs: dst=0 src0=0 src1=0 src2=0
	v_add3_u32 v241, v241, v212, v210
	s_set_vgpr_msb 5                        ;  msbs: dst=0 src0=1 src1=1 src2=0
	v_mul_i32_i24_e32 v210, v65 /*v321*/, v1 /*v257*/
	s_set_vgpr_msb 1                        ;  msbs: dst=0 src0=1 src1=0 src2=0
	v_mul_i32_i24_e32 v213, v107 /*v363*/, v110
	s_set_vgpr_msb 0                        ;  msbs: dst=0 src0=0 src1=0 src2=0
	v_add3_u32 v114, v114, v201, v107
	s_set_vgpr_msb 1                        ;  msbs: dst=0 src0=1 src1=0 src2=0
	v_cvt_f32_f16_e64 v107, v24 /*v280*/
	v_mul_i32_i24_e32 v212, v127 /*v383*/, v244
	s_set_vgpr_msb 64                       ;  msbs: dst=1 src0=0 src1=0 src2=0
	v_add3_u32 v50 /*v306*/, v253, v209, v210
	v_add3_u32 v24 /*v280*/, v109, v213, v208
	s_set_vgpr_msb 1                        ;  msbs: dst=0 src0=1 src1=0 src2=0
	v_mul_i32_i24_e32 v109, v65 /*v321*/, v243
	s_set_vgpr_msb 5                        ;  msbs: dst=0 src0=1 src1=1 src2=0
	v_mul_i32_i24_e32 v208, v127 /*v383*/, v124 /*v380*/
	v_mul_i32_i24_e32 v209, v65 /*v321*/, v40 /*v296*/
	s_set_vgpr_msb 1                        ;  msbs: dst=0 src0=1 src1=0 src2=0
	v_mul_i32_i24_e32 v240, v8 /*v264*/, v246
	s_set_vgpr_msb 4                        ;  msbs: dst=0 src0=0 src1=1 src2=0
	v_mul_i32_i24_e32 v217, v217, v41 /*v297*/
	s_set_vgpr_msb 1                        ;  msbs: dst=0 src0=1 src1=0 src2=0
	v_add3_u32 v253, v2 /*v258*/, v212, v109
	s_set_vgpr_msb 0                        ;  msbs: dst=0 src0=0 src1=0 src2=0
	v_mul_i32_i24_e32 v109, v127, v211
	v_add3_u32 v127, v108, v208, v209
	s_set_vgpr_msb 5                        ;  msbs: dst=0 src0=1 src1=1 src2=0
	v_mul_i32_i24_e32 v108, v112 /*v368*/, v0 /*v256*/
	s_set_vgpr_msb 4                        ;  msbs: dst=0 src0=0 src1=1 src2=0
	v_mul_i32_i24_e32 v208, v117, v1 /*v257*/
	s_set_vgpr_msb 1                        ;  msbs: dst=0 src0=1 src1=0 src2=0
	v_mul_i32_i24_e32 v209, v109 /*v365*/, v110
	s_set_vgpr_msb 4                        ;  msbs: dst=0 src0=0 src1=1 src2=0
	v_mul_i32_i24_e32 v216, v216, v87 /*v343*/
	s_set_vgpr_msb 0                        ;  msbs: dst=0 src0=0 src1=0 src2=0
	v_mul_i32_i24_e32 v233, v224, v244
	s_set_vgpr_msb 64                       ;  msbs: dst=1 src0=0 src1=0 src2=0
	v_mul_i32_i24_e32 v46 /*v302*/, v228, v243
	s_set_vgpr_msb 0x41                     ;  msbs: dst=1 src0=1 src1=0 src2=0
	v_add3_u32 v91 /*v347*/, v38 /*v294*/, v240, v239
	s_set_vgpr_msb 0                        ;  msbs: dst=0 src0=0 src1=0 src2=0
	v_add3_u32 v126, v126, v209, v109
	v_mul_i32_i24_e32 v109, v125, v211
	v_add3_u32 v125, v131, v108, v208
	s_set_vgpr_msb 5                        ;  msbs: dst=0 src0=1 src1=1 src2=0
	v_mul_i32_i24_e32 v108, v68 /*v324*/, v0 /*v256*/
	s_set_vgpr_msb 4                        ;  msbs: dst=0 src0=0 src1=1 src2=0
	v_mul_i32_i24_e32 v131, v115, v1 /*v257*/
	s_set_vgpr_msb 1                        ;  msbs: dst=0 src0=1 src1=0 src2=0
	v_mul_i32_i24_e32 v208, v110 /*v366*/, v110
	v_mul_i32_i24_e32 v209, v114 /*v370*/, v110
	s_set_vgpr_msb 0x41                     ;  msbs: dst=1 src0=1 src1=0 src2=0
	v_add3_u32 v26 /*v282*/, v26 /*v282*/, v216, v217
	s_set_vgpr_msb 1                        ;  msbs: dst=0 src0=1 src1=0 src2=0
	v_mul_i32_i24_e32 v217, v3 /*v259*/, v243
	s_set_vgpr_msb 0                        ;  msbs: dst=0 src0=0 src1=0 src2=0
	v_add3_u32 v129, v129, v108, v131
	v_add3_u32 v124, v124, v208, v109
	s_set_vgpr_msb 1                        ;  msbs: dst=0 src0=1 src1=0 src2=0
	v_mul_i32_i24_e32 v109, v119 /*v375*/, v211
	s_set_vgpr_msb 4                        ;  msbs: dst=0 src0=0 src1=1 src2=0
	v_mul_i32_i24_e32 v208, v140, v0 /*v256*/
	s_set_vgpr_msb 5                        ;  msbs: dst=0 src0=1 src1=1 src2=0
	v_mul_i32_i24_e32 v108, v102 /*v358*/, v1 /*v257*/
	s_set_vgpr_msb 0                        ;  msbs: dst=0 src0=0 src1=0 src2=0
	v_mul_i32_i24_e32 v131, v140, v244
	v_mul_i32_i24_e32 v240, v122, v243
	v_add3_u32 v113, v113, v209, v109
	s_set_vgpr_msb 1                        ;  msbs: dst=0 src0=1 src1=0 src2=0
	v_mul_i32_i24_e32 v109, v102 /*v358*/, v243
	s_set_vgpr_msb 4                        ;  msbs: dst=0 src0=0 src1=1 src2=0
	v_mul_i32_i24_e32 v209, v140, v124 /*v380*/
	s_set_vgpr_msb 0x41                     ;  msbs: dst=1 src0=1 src1=0 src2=0
	v_add3_u32 v53 /*v309*/, v4 /*v260*/, v208, v108
	s_set_vgpr_msb 5                        ;  msbs: dst=0 src0=1 src1=1 src2=0
	v_mul_i32_i24_e32 v108, v102 /*v358*/, v40 /*v296*/
	s_set_vgpr_msb 1                        ;  msbs: dst=0 src0=1 src1=0 src2=0
	v_mul_i32_i24_e32 v243, v44 /*v300*/, v225
	s_set_vgpr_msb 64                       ;  msbs: dst=1 src0=0 src1=0 src2=0
	v_mul_i32_i24_e32 v117 /*v373*/, v237, v230
	s_set_vgpr_msb 0                        ;  msbs: dst=0 src0=0 src1=0 src2=0
	v_mul_i32_i24_e32 v140, v140, v230
	s_set_vgpr_msb 1                        ;  msbs: dst=0 src0=1 src1=0 src2=0
	v_mul_i32_i24_e32 v230, v111 /*v367*/, v132
	v_cvt_f32_f16_e64 v104, v89 /*v345*/
	s_set_vgpr_msb 0x44                     ;  msbs: dst=1 src0=0 src1=1 src2=0
	v_mul_i32_i24_e32 v33 /*v289*/, v251, v42 /*v298*/
	s_set_vgpr_msb 64                       ;  msbs: dst=1 src0=0 src1=0 src2=0
	v_add3_u32 v2 /*v258*/, v111, v209, v108
	s_set_vgpr_msb 1                        ;  msbs: dst=0 src0=1 src1=0 src2=0
	v_mul_i32_i24_e32 v111, v136 /*v392*/, v211
	v_mul_i32_i24_e32 v110, v10 /*v266*/, v110
	;; [unrolled: 1-line block ×3, first 2 shown]
	s_set_vgpr_msb 64                       ;  msbs: dst=1 src0=0 src1=0 src2=0
	v_add3_u32 v89 /*v345*/, v221, v234, v233
	s_set_vgpr_msb 0                        ;  msbs: dst=0 src0=0 src1=0 src2=0
	v_mul_i32_i24_e32 v234, v232, v244
	s_set_vgpr_msb 1                        ;  msbs: dst=0 src0=1 src1=0 src2=0
	v_mul_i32_i24_e32 v244, v47 /*v303*/, v225
	s_set_vgpr_msb 64                       ;  msbs: dst=1 src0=0 src1=0 src2=0
	v_add3_u32 v196 /*v452*/, v126, v243, v230
	s_set_vgpr_msb 1                        ;  msbs: dst=0 src0=1 src1=0 src2=0
	v_mul_i32_i24_e32 v126, v35 /*v291*/, v132
	s_set_vgpr_msb 64                       ;  msbs: dst=1 src0=0 src1=0 src2=0
	v_mul_i32_i24_e32 v51 /*v307*/, v227, v252
	s_set_vgpr_msb 1                        ;  msbs: dst=0 src0=1 src1=0 src2=0
	v_mul_i32_i24_e32 v254, v43 /*v299*/, v236
	v_mul_i32_i24_e32 v252, v56 /*v312*/, v246
	v_add3_u32 v131, v6 /*v262*/, v131, v109
	v_cvt_f32_f16_e64 v109, v14 /*v270*/
	s_set_vgpr_msb 0x41                     ;  msbs: dst=1 src0=1 src1=0 src2=0
	v_add3_u32 v14 /*v270*/, v27 /*v283*/, v110, v111
	s_set_vgpr_msb 5                        ;  msbs: dst=0 src0=1 src1=1 src2=0
	v_mul_i32_i24_e32 v110, v126 /*v382*/, v0 /*v256*/
	v_mul_i32_i24_e32 v111, v3 /*v259*/, v1 /*v257*/
	s_set_vgpr_msb 0x55                     ;  msbs: dst=1 src0=1 src1=1 src2=1
	v_add3_u32 v27 /*v283*/, v30 /*v286*/, v39 /*v295*/, v97 /*v353*/
	s_set_vgpr_msb 0x54                     ;  msbs: dst=1 src0=0 src1=1 src2=1
	v_add3_u32 v97 /*v353*/, v226, v36 /*v292*/, v33 /*v289*/
	s_set_vgpr_msb 0                        ;  msbs: dst=0 src0=0 src1=0 src2=0
	v_mul_i32_i24_e32 v226, v242, v225
	s_set_vgpr_msb 1                        ;  msbs: dst=0 src0=1 src1=0 src2=0
	v_mul_i32_i24_e32 v242, v12 /*v268*/, v225
	s_set_vgpr_msb 0x41                     ;  msbs: dst=1 src0=1 src1=0 src2=0
	v_mul_i32_i24_e32 v12 /*v268*/, v71 /*v327*/, v225
	s_set_vgpr_msb 64                       ;  msbs: dst=1 src0=0 src1=0 src2=0
	v_add3_u32 v197 /*v453*/, v124, v244, v126
	s_set_vgpr_msb 1                        ;  msbs: dst=0 src0=1 src1=0 src2=0
	v_mul_i32_i24_e32 v124, v13 /*v269*/, v132
	v_mul_i32_i24_e32 v106, v9 /*v265*/, v135
	s_set_vgpr_msb 0                        ;  msbs: dst=0 src0=0 src1=0 src2=0
	v_mul_i32_i24_e32 v203, v245, v247
	s_set_vgpr_msb 1                        ;  msbs: dst=0 src0=1 src1=0 src2=0
	v_mul_i32_i24_e32 v245, v57 /*v313*/, v236
	s_set_vgpr_msb 0x41                     ;  msbs: dst=1 src0=1 src1=0 src2=0
	v_mul_i32_i24_e32 v9 /*v265*/, v67 /*v323*/, v246
	s_set_vgpr_msb 0x45                     ;  msbs: dst=1 src0=1 src1=1 src2=0
	v_mul_i32_i24_e32 v4 /*v260*/, v43 /*v299*/, v42 /*v298*/
	v_mul_i32_i24_e32 v6 /*v262*/, v56 /*v312*/, v94 /*v350*/
	s_set_vgpr_msb 5                        ;  msbs: dst=0 src0=1 src1=1 src2=0
	v_mul_i32_i24_e32 v218, v126 /*v382*/, v124 /*v380*/
	s_set_vgpr_msb 0x41                     ;  msbs: dst=1 src0=1 src1=0 src2=0
	v_add3_u32 v41 /*v297*/, v31 /*v287*/, v110, v111
	s_set_vgpr_msb 5                        ;  msbs: dst=0 src0=1 src1=1 src2=0
	v_mul_i32_i24_e32 v110, v3 /*v259*/, v40 /*v296*/
	s_set_vgpr_msb 0x41                     ;  msbs: dst=1 src0=1 src1=0 src2=0
	v_add3_u32 v106 /*v362*/, v11 /*v267*/, v252, v254
	v_mul_i32_i24_e32 v11 /*v267*/, v86 /*v342*/, v225
	s_set_vgpr_msb 0x44                     ;  msbs: dst=1 src0=0 src1=1 src2=0
	v_add3_u32 v198 /*v454*/, v113, v12 /*v268*/, v124
	s_set_vgpr_msb 1                        ;  msbs: dst=0 src0=1 src1=0 src2=0
	v_mul_i32_i24_e32 v113, v85 /*v341*/, v132
	s_set_vgpr_msb 0x44                     ;  msbs: dst=1 src0=0 src1=1 src2=0
	v_mul_i32_i24_e32 v52 /*v308*/, v143, v19 /*v275*/
	v_mul_i32_i24_e32 v23 /*v279*/, v224, v124 /*v380*/
	v_mul_i32_i24_e32 v29 /*v285*/, v248, v104 /*v360*/
	s_set_vgpr_msb 1                        ;  msbs: dst=0 src0=1 src1=0 src2=0
	v_cvt_f32_f16_e64 v108, v16 /*v272*/
	s_set_vgpr_msb 0x45                     ;  msbs: dst=1 src0=1 src1=1 src2=0
	v_mul_i32_i24_e32 v10 /*v266*/, v57 /*v313*/, v42 /*v298*/
	v_mul_i32_i24_e32 v16 /*v272*/, v67 /*v323*/, v94 /*v350*/
	;; [unrolled: 1-line block ×3, first 2 shown]
	s_set_vgpr_msb 0x41                     ;  msbs: dst=1 src0=1 src1=0 src2=0
	v_add3_u32 v87 /*v343*/, v37 /*v293*/, v218, v110
	s_set_vgpr_msb 64                       ;  msbs: dst=1 src0=0 src1=0 src2=0
	v_mul_i32_i24_e32 v104 /*v360*/, v119, v133
	s_set_vgpr_msb 5                        ;  msbs: dst=0 src0=1 src1=1 src2=0
	v_cvt_f32_f16_e64 v110, v20 /*v276*/
	v_mul_i32_i24_e32 v254, v63 /*v319*/, v42 /*v298*/
	s_set_vgpr_msb 0x45                     ;  msbs: dst=1 src0=1 src1=1 src2=0
	v_mul_i32_i24_e32 v20 /*v276*/, v129 /*v385*/, v94 /*v350*/
	s_set_vgpr_msb 0x44                     ;  msbs: dst=1 src0=0 src1=1 src2=0
	v_add3_u32 v107 /*v363*/, v231, v9 /*v265*/, v245
	s_set_vgpr_msb 0x55                     ;  msbs: dst=1 src0=1 src1=1 src2=1
	v_add3_u32 v109 /*v365*/, v45 /*v301*/, v6 /*v262*/, v4 /*v260*/
	s_set_vgpr_msb 0                        ;  msbs: dst=0 src0=0 src1=0 src2=0
	v_mul_i32_i24_e32 v231, v249, v132
	s_set_vgpr_msb 0x45                     ;  msbs: dst=1 src0=1 src1=1 src2=0
	v_add3_u32 v150 /*v406*/, v14 /*v270*/, v11 /*v267*/, v113
	s_set_vgpr_msb 0                        ;  msbs: dst=0 src0=0 src1=0 src2=0
	v_mul_i32_i24_e32 v113, v248, v132
	s_set_vgpr_msb 5                        ;  msbs: dst=0 src0=1 src1=1 src2=0
	v_mul_i32_i24_e32 v151, v48 /*v304*/, v21 /*v277*/
	s_set_vgpr_msb 4                        ;  msbs: dst=0 src0=0 src1=1 src2=0
	v_mul_i32_i24_e32 v153, v130, v90 /*v346*/
	s_set_vgpr_msb 1                        ;  msbs: dst=0 src0=1 src1=0 src2=0
	v_cvt_f32_f16_e64 v105, v82 /*v338*/
	s_set_vgpr_msb 0x44                     ;  msbs: dst=1 src0=0 src1=1 src2=0
	v_mul_i32_i24_e32 v59 /*v315*/, v227, v122 /*v378*/
	s_set_vgpr_msb 1                        ;  msbs: dst=0 src0=1 src1=0 src2=0
	v_mul_i32_i24_e32 v200, v48 /*v304*/, v133
	s_set_vgpr_msb 4                        ;  msbs: dst=0 src0=0 src1=1 src2=0
	v_mul_i32_i24_e32 v201, v130, v92 /*v348*/
	s_set_vgpr_msb 0                        ;  msbs: dst=0 src0=0 src1=0 src2=0
	v_add3_u32 v116, v116, v203, v106
	s_set_vgpr_msb 0x44                     ;  msbs: dst=1 src0=0 src1=1 src2=0
	v_mul_i32_i24_e32 v82 /*v338*/, v121, v21 /*v277*/
	s_set_vgpr_msb 20                       ;  msbs: dst=0 src0=0 src1=1 src2=1
	v_add3_u32 v139, v139, v29 /*v285*/, v23 /*v279*/
	s_set_vgpr_msb 1                        ;  msbs: dst=0 src0=1 src1=0 src2=0
	v_cvt_f32_f16_e64 v111, v17 /*v273*/
	s_set_vgpr_msb 4                        ;  msbs: dst=0 src0=0 src1=1 src2=0
	v_mul_i32_i24_e32 v233, v232, v0 /*v256*/
	v_mul_i32_i24_e32 v232, v232, v124 /*v380*/
	;; [unrolled: 1-line block ×4, first 2 shown]
	s_set_vgpr_msb 0x41                     ;  msbs: dst=1 src0=1 src1=0 src2=0
	v_mul_i32_i24_e32 v17 /*v273*/, v63 /*v319*/, v236
	s_set_vgpr_msb 1                        ;  msbs: dst=0 src0=1 src1=0 src2=0
	v_mul_i32_i24_e32 v252, v129 /*v385*/, v246
	s_set_vgpr_msb 0x44                     ;  msbs: dst=1 src0=0 src1=1 src2=0
	v_mul_i32_i24_e32 v0 /*v256*/, v224, v0 /*v256*/
	v_mul_i32_i24_e32 v23 /*v279*/, v251, v81 /*v337*/
	s_set_vgpr_msb 0x45                     ;  msbs: dst=1 src0=1 src1=1 src2=0
	v_mul_i32_i24_e32 v9 /*v265*/, v8 /*v264*/, v120 /*v376*/
	s_set_vgpr_msb 0x41                     ;  msbs: dst=1 src0=1 src1=0 src2=0
	v_mul_i32_i24_e32 v29 /*v285*/, v25 /*v281*/, v236
	v_mul_i32_i24_e32 v30 /*v286*/, v130 /*v386*/, v246
	s_set_vgpr_msb 0x55                     ;  msbs: dst=1 src0=1 src1=1 src2=1
	v_add3_u32 v114 /*v370*/, v22 /*v278*/, v16 /*v272*/, v10 /*v266*/
	s_set_vgpr_msb 0                        ;  msbs: dst=0 src0=0 src1=0 src2=0
	v_mul_i32_i24_e32 v224, v235, v132
	v_add3_u32 v225, v238, v234, v240
	s_set_vgpr_msb 0x41                     ;  msbs: dst=1 src0=1 src1=0 src2=0
	v_add3_u32 v188 /*v444*/, v24 /*v280*/, v242, v231
	s_set_vgpr_msb 0x45                     ;  msbs: dst=1 src0=1 src1=1 src2=0
	v_mul_i32_i24_e32 v47 /*v303*/, v103 /*v359*/, v120 /*v376*/
	s_set_vgpr_msb 0x41                     ;  msbs: dst=1 src0=1 src1=0 src2=0
	v_mul_i32_i24_e32 v68 /*v324*/, v103 /*v359*/, v246
	s_set_vgpr_msb 64                       ;  msbs: dst=1 src0=0 src1=0 src2=0
	v_mul_i32_i24_e32 v112 /*v368*/, v250, v229
	s_set_vgpr_msb 0                        ;  msbs: dst=0 src0=0 src1=0 src2=0
	v_mul_i32_i24_e32 v227, v227, v247
	s_set_vgpr_msb 5                        ;  msbs: dst=0 src0=1 src1=1 src2=0
	v_mul_i32_i24_e32 v117, v103 /*v359*/, v94 /*v350*/
	s_set_vgpr_msb 4                        ;  msbs: dst=0 src0=0 src1=1 src2=0
	v_mul_i32_i24_e32 v229, v228, v1 /*v257*/
	s_set_vgpr_msb 5                        ;  msbs: dst=0 src0=1 src1=1 src2=0
	v_mul_i32_i24_e32 v231, v49 /*v305*/, v142 /*v398*/
	s_set_vgpr_msb 1                        ;  msbs: dst=0 src0=1 src1=0 src2=0
	v_mul_i32_i24_e32 v234, v28 /*v284*/, v236
	s_set_vgpr_msb 5                        ;  msbs: dst=0 src0=1 src1=1 src2=0
	v_mul_i32_i24_e32 v238, v28 /*v284*/, v42 /*v298*/
	v_add3_u32 v247, v2 /*v258*/, v20 /*v276*/, v254
	v_mul_i32_i24_e32 v243, v28 /*v284*/, v81 /*v337*/
	v_mul_i32_i24_e32 v249, v158 /*v414*/, v142 /*v398*/
	s_set_vgpr_msb 0x44                     ;  msbs: dst=1 src0=0 src1=1 src2=0
	v_mul_i32_i24_e32 v1 /*v257*/, v121, v142 /*v398*/
	v_mul_i32_i24_e32 v2 /*v258*/, v119, v142 /*v398*/
	s_set_vgpr_msb 0x51                     ;  msbs: dst=1 src0=1 src1=0 src2=1
	v_add3_u32 v28 /*v284*/, v27 /*v283*/, v113, v60 /*v316*/
	s_set_vgpr_msb 0x45                     ;  msbs: dst=1 src0=1 src1=1 src2=0
	v_mul_i32_i24_e32 v4 /*v260*/, v156 /*v412*/, v142 /*v398*/
	v_mul_i32_i24_e32 v12 /*v268*/, v160 /*v416*/, v142 /*v398*/
	v_mul_i32_i24_e32 v11 /*v267*/, v103 /*v359*/, v5 /*v261*/
	v_mul_i32_i24_e32 v22 /*v278*/, v32 /*v288*/, v21 /*v277*/
	s_set_vgpr_msb 0x41                     ;  msbs: dst=1 src0=1 src1=0 src2=0
	v_mul_i32_i24_e32 v27 /*v283*/, v32 /*v288*/, v133
	s_set_vgpr_msb 0x55                     ;  msbs: dst=1 src0=1 src1=1 src2=1
	v_mul_i32_i24_e32 v32 /*v288*/, v32 /*v288*/, v142 /*v398*/
	v_add3_u32 v123 /*v379*/, v89 /*v345*/, v46 /*v302*/, v51 /*v307*/
	v_add3_u32 v126 /*v382*/, v91 /*v347*/, v52 /*v308*/, v55 /*v311*/
	v_mul_i32_i24_e32 v48 /*v304*/, v48 /*v304*/, v142 /*v398*/
	s_set_vgpr_msb 0x41                     ;  msbs: dst=1 src0=1 src1=0 src2=0
	v_mul_i32_i24_e32 v55 /*v311*/, v95 /*v351*/, v130
	s_set_vgpr_msb 0x55                     ;  msbs: dst=1 src0=1 src1=1 src2=1
	v_add3_u32 v131 /*v387*/, v97 /*v353*/, v72 /*v328*/, v77 /*v333*/
	v_mul_i32_i24_e32 v85 /*v341*/, v95 /*v351*/, v167 /*v423*/
	v_mul_i32_i24_e32 v89 /*v345*/, v95 /*v351*/, v140 /*v396*/
	;; [unrolled: 1-line block ×4, first 2 shown]
	v_add3_u32 v142 /*v398*/, v109 /*v365*/, v101 /*v357*/, v104 /*v360*/
	v_mul_i32_i24_e32 v109 /*v365*/, v171 /*v427*/, v95 /*v351*/
	v_mul_i32_i24_e32 v127 /*v383*/, v95 /*v351*/, v96 /*v352*/
	s_set_vgpr_msb 0x44                     ;  msbs: dst=1 src0=0 src1=1 src2=0
	v_mul_i32_i24_e32 v95 /*v351*/, v130, v93 /*v349*/
	s_set_vgpr_msb 4                        ;  msbs: dst=0 src0=0 src1=1 src2=0
	v_dual_lshrrev_b32 v130, 16, v146 /*v402*/ :: v_dual_lshrrev_b32 v132, 16, v145 /*v401*/
	s_set_vgpr_msb 1                        ;  msbs: dst=0 src0=1 src1=0 src2=0
	v_mul_i32_i24_e32 v198, v15 /*v271*/, v236
	s_set_vgpr_msb 5                        ;  msbs: dst=0 src0=1 src1=1 src2=0
	v_mul_i32_i24_e32 v207, v18 /*v274*/, v125 /*v381*/
	v_mul_i32_i24_e32 v202, v54 /*v310*/, v94 /*v350*/
	s_set_vgpr_msb 0x45                     ;  msbs: dst=1 src0=1 src1=1 src2=0
	v_mul_i32_i24_e32 v83 /*v339*/, v116 /*v372*/, v19 /*v275*/
	s_set_vgpr_msb 0x44                     ;  msbs: dst=1 src0=0 src1=1 src2=0
	v_mul_i32_i24_e32 v84 /*v340*/, v119, v21 /*v277*/
	s_set_vgpr_msb 0x45                     ;  msbs: dst=1 src0=1 src1=1 src2=0
	v_mul_i32_i24_e32 v98 /*v354*/, v105 /*v361*/, v125 /*v381*/
	s_set_vgpr_msb 0x41                     ;  msbs: dst=1 src0=1 src1=0 src2=0
	v_add3_u32 v58 /*v314*/, v34 /*v290*/, v216, v217
	s_set_vgpr_msb 64                       ;  msbs: dst=1 src0=0 src1=0 src2=0
	v_mul_i32_i24_e32 v99 /*v355*/, v121, v133
	s_set_vgpr_msb 0                        ;  msbs: dst=0 src0=0 src1=0 src2=0
	v_mul_i32_i24_e32 v135, v248, v135
	s_set_vgpr_msb 0x45                     ;  msbs: dst=1 src0=1 src1=1 src2=0
	v_mul_i32_i24_e32 v31 /*v287*/, v25 /*v281*/, v42 /*v298*/
	v_mul_i32_i24_e32 v16 /*v272*/, v130 /*v386*/, v94 /*v350*/
	;; [unrolled: 1-line block ×3, first 2 shown]
	s_set_vgpr_msb 0                        ;  msbs: dst=0 src0=0 src1=0 src2=0
	v_add3_u32 v114, v114, v226, v224
	s_set_vgpr_msb 0x45                     ;  msbs: dst=1 src0=1 src1=1 src2=0
	v_mul_i32_i24_e32 v36 /*v292*/, v130 /*v386*/, v120 /*v376*/
	v_mul_i32_i24_e32 v37 /*v293*/, v43 /*v299*/, v81 /*v337*/
	s_set_vgpr_msb 0                        ;  msbs: dst=0 src0=0 src1=0 src2=0
	v_add3_u32 v224, v116, v233, v239
	s_set_vgpr_msb 5                        ;  msbs: dst=0 src0=1 src1=1 src2=0
	v_mul_i32_i24_e32 v116, v56 /*v312*/, v120 /*v376*/
	s_set_vgpr_msb 0x45                     ;  msbs: dst=1 src0=1 src1=1 src2=0
	v_mul_i32_i24_e32 v38 /*v294*/, v57 /*v313*/, v81 /*v337*/
	v_mul_i32_i24_e32 v39 /*v295*/, v67 /*v323*/, v120 /*v376*/
	;; [unrolled: 1-line block ×3, first 2 shown]
	s_set_vgpr_msb 0                        ;  msbs: dst=0 src0=0 src1=0 src2=0
	v_add3_u32 v226, v241, v232, v122
	s_set_vgpr_msb 5                        ;  msbs: dst=0 src0=1 src1=1 src2=0
	v_mul_i32_i24_e32 v122, v129 /*v385*/, v120 /*v376*/
	s_set_vgpr_msb 0x45                     ;  msbs: dst=1 src0=1 src1=1 src2=0
	v_mul_i32_i24_e32 v45 /*v301*/, v133 /*v389*/, v81 /*v337*/
	s_set_vgpr_msb 0x41                     ;  msbs: dst=1 src0=1 src1=0 src2=0
	v_mul_i32_i24_e32 v71 /*v327*/, v133 /*v389*/, v236
	s_set_vgpr_msb 5                        ;  msbs: dst=0 src0=1 src1=1 src2=0
	v_mul_i32_i24_e32 v115, v133 /*v389*/, v42 /*v298*/
	v_mul_i32_i24_e32 v232, v143 /*v399*/, v125 /*v381*/
	s_set_vgpr_msb 16                       ;  msbs: dst=0 src0=0 src1=0 src2=1
	v_add3_u32 v242, v131, v252, v17 /*v273*/
	s_set_vgpr_msb 5                        ;  msbs: dst=0 src0=1 src1=1 src2=0
	v_mul_i32_i24_e32 v241, v157 /*v413*/, v125 /*v381*/
	s_set_vgpr_msb 0x54                     ;  msbs: dst=1 src0=0 src1=1 src2=1
	v_add3_u32 v33 /*v289*/, v255, v9 /*v265*/, v23 /*v279*/
	v_add3_u32 v30 /*v286*/, v253, v30 /*v286*/, v29 /*v285*/
	s_set_vgpr_msb 4                        ;  msbs: dst=0 src0=0 src1=1 src2=0
	v_mul_i32_i24_e32 v251, v251, v7 /*v263*/
	s_set_vgpr_msb 5                        ;  msbs: dst=0 src0=1 src1=1 src2=0
	v_mul_i32_i24_e32 v252, v25 /*v281*/, v7 /*v263*/
	v_mul_i32_i24_e32 v253, v57 /*v313*/, v7 /*v263*/
	;; [unrolled: 1-line block ×5, first 2 shown]
	s_set_vgpr_msb 0x45                     ;  msbs: dst=1 src0=1 src1=1 src2=0
	v_mul_i32_i24_e32 v29 /*v285*/, v159 /*v415*/, v125 /*v381*/
	v_mul_i32_i24_e32 v7 /*v263*/, v8 /*v264*/, v5 /*v261*/
	;; [unrolled: 1-line block ×4, first 2 shown]
	s_set_vgpr_msb 0x54                     ;  msbs: dst=1 src0=0 src1=1 src2=1
	v_add3_u32 v125 /*v381*/, v139, v66 /*v322*/, v59 /*v315*/
	s_set_vgpr_msb 64                       ;  msbs: dst=1 src0=0 src1=0 src2=0
	v_mul_i32_i24_e32 v59 /*v315*/, v134, v128
	s_set_vgpr_msb 0x44                     ;  msbs: dst=1 src0=0 src1=1 src2=0
	v_mul_i32_i24_e32 v91 /*v347*/, v134, v168 /*v424*/
	s_set_vgpr_msb 0x55                     ;  msbs: dst=1 src0=1 src1=1 src2=1
	v_add3_u32 v136 /*v392*/, v107 /*v363*/, v78 /*v334*/, v82 /*v338*/
	s_set_vgpr_msb 0x44                     ;  msbs: dst=1 src0=0 src1=1 src2=0
	v_mul_i32_i24_e32 v102 /*v358*/, v134, v154 /*v410*/
	s_set_vgpr_msb 0x41                     ;  msbs: dst=1 src0=1 src1=0 src2=0
	v_mul_i32_i24_e32 v107 /*v363*/, v170 /*v426*/, v134
	v_mul_i32_i24_e32 v111 /*v367*/, v172 /*v428*/, v134
	s_set_vgpr_msb 0x44                     ;  msbs: dst=1 src0=0 src1=1 src2=0
	v_mul_i32_i24_e32 v130 /*v386*/, v134, v155 /*v411*/
	s_set_vgpr_msb 0                        ;  msbs: dst=0 src0=0 src1=0 src2=0
	v_cvt_f32_f16_e64 v131, v130
	v_cvt_f32_f16_e64 v130, v132
	;; [unrolled: 1-line block ×3, first 2 shown]
	v_lshrrev_b32_e32 v136, 16, v136
	v_mul_i32_i24_e32 v236, v123, v246
	s_set_vgpr_msb 4                        ;  msbs: dst=0 src0=0 src1=1 src2=0
	v_mul_i32_i24_e32 v240, v123, v94 /*v350*/
	s_set_vgpr_msb 0x44                     ;  msbs: dst=1 src0=0 src1=1 src2=0
	v_mul_i32_i24_e32 v94 /*v350*/, v134, v144 /*v400*/
	s_set_vgpr_msb 0                        ;  msbs: dst=0 src0=0 src1=0 src2=0
	v_lshrrev_b32_e32 v134, 16, v137
	s_set_vgpr_msb 4                        ;  msbs: dst=0 src0=0 src1=1 src2=0
	v_mul_i32_i24_e32 v155, v141, v61 /*v317*/
	v_mul_i32_i24_e32 v197, v112, v64 /*v320*/
	s_set_vgpr_msb 5                        ;  msbs: dst=0 src0=1 src1=1 src2=0
	v_mul_i32_i24_e32 v199, v18 /*v274*/, v19 /*v275*/
	s_set_vgpr_msb 1                        ;  msbs: dst=0 src0=1 src1=0 src2=0
	v_mul_i32_i24_e32 v152, v54 /*v310*/, v246
	s_set_vgpr_msb 0                        ;  msbs: dst=0 src0=0 src1=0 src2=0
	v_mul_i32_i24_e32 v154, v128, v142
	s_set_vgpr_msb 4                        ;  msbs: dst=0 src0=0 src1=1 src2=0
	v_mul_i32_i24_e32 v204, v141, v69 /*v325*/
	v_mul_i32_i24_e32 v205, v112, v70 /*v326*/
	s_set_vgpr_msb 5                        ;  msbs: dst=0 src0=1 src1=1 src2=0
	v_mul_i32_i24_e32 v206, v15 /*v271*/, v42 /*v298*/
	s_set_vgpr_msb 0                        ;  msbs: dst=0 src0=0 src1=0 src2=0
	v_mul_i32_i24_e32 v203, v128, v138
	s_set_vgpr_msb 5                        ;  msbs: dst=0 src0=1 src1=1 src2=0
	v_mul_i32_i24_e32 v212, v61 /*v317*/, v128 /*v384*/
	v_mul_i32_i24_e32 v213, v64 /*v320*/, v134 /*v390*/
	;; [unrolled: 1-line block ×5, first 2 shown]
	s_set_vgpr_msb 4                        ;  msbs: dst=0 src0=0 src1=1 src2=0
	v_mul_i32_i24_e32 v209, v142, v144 /*v400*/
	s_set_vgpr_msb 5                        ;  msbs: dst=0 src0=1 src1=1 src2=0
	v_mul_i32_i24_e32 v210, v90 /*v346*/, v141 /*v397*/
	v_mul_i32_i24_e32 v220, v69 /*v325*/, v128 /*v384*/
	;; [unrolled: 1-line block ×6, first 2 shown]
	s_set_vgpr_msb 4                        ;  msbs: dst=0 src0=0 src1=1 src2=0
	v_mul_i32_i24_e32 v218, v138, v144 /*v400*/
	s_set_vgpr_msb 5                        ;  msbs: dst=0 src0=1 src1=1 src2=0
	v_mul_i32_i24_e32 v217, v92 /*v348*/, v141 /*v397*/
	s_set_vgpr_msb 4                        ;  msbs: dst=0 src0=0 src1=1 src2=0
	v_mul_i32_i24_e32 v219, v138, v154 /*v410*/
	v_mul_i32_i24_e32 v228, v143, v139 /*v395*/
	s_set_vgpr_msb 5                        ;  msbs: dst=0 src0=1 src1=1 src2=0
	v_mul_i32_i24_e32 v230, v143 /*v399*/, v19 /*v275*/
	v_mul_i32_i24_e32 v233, v156 /*v412*/, v21 /*v277*/
	s_set_vgpr_msb 1                        ;  msbs: dst=0 src0=1 src1=0 src2=0
	v_mul_i32_i24_e32 v235, v156 /*v412*/, v133
	s_set_vgpr_msb 5                        ;  msbs: dst=0 src0=1 src1=1 src2=0
	v_mul_i32_i24_e32 v237, v157 /*v413*/, v19 /*v275*/
	v_mul_i32_i24_e32 v239, v158 /*v414*/, v21 /*v277*/
	s_set_vgpr_msb 1                        ;  msbs: dst=0 src0=1 src1=0 src2=0
	v_mul_i32_i24_e32 v244, v158 /*v414*/, v133
	s_set_vgpr_msb 4                        ;  msbs: dst=0 src0=0 src1=1 src2=0
	v_mul_i32_i24_e32 v245, v123, v120 /*v376*/
	s_set_vgpr_msb 5                        ;  msbs: dst=0 src0=1 src1=1 src2=0
	v_mul_i32_i24_e32 v246, v157 /*v413*/, v139 /*v395*/
	v_mul_i32_i24_e32 v250, v105 /*v361*/, v139 /*v395*/
	s_set_vgpr_msb 0x51                     ;  msbs: dst=1 src0=1 src1=0 src2=1
	v_add3_u32 v20 /*v276*/, v26 /*v282*/, v135, v0 /*v256*/
	s_set_vgpr_msb 0x45                     ;  msbs: dst=1 src0=1 src1=1 src2=0
	v_mul_i32_i24_e32 v0 /*v256*/, v116 /*v372*/, v139 /*v395*/
	v_mul_i32_i24_e32 v3 /*v259*/, v143 /*v399*/, v139 /*v395*/
	;; [unrolled: 1-line block ×8, first 2 shown]
	s_set_vgpr_msb 0x54                     ;  msbs: dst=1 src0=0 src1=1 src2=1
	v_add3_u32 v62 /*v318*/, v127, v16 /*v272*/, v31 /*v287*/
	s_set_vgpr_msb 64                       ;  msbs: dst=1 src0=0 src1=0 src2=0
	v_mul_i32_i24_e32 v13 /*v269*/, v141, v120
	s_set_vgpr_msb 0x55                     ;  msbs: dst=1 src0=1 src1=1 src2=1
	v_mul_i32_i24_e32 v15 /*v271*/, v15 /*v271*/, v81 /*v337*/
	v_mul_i32_i24_e32 v18 /*v274*/, v18 /*v274*/, v139 /*v395*/
	;; [unrolled: 1-line block ×4, first 2 shown]
	v_add3_u32 v79 /*v335*/, v50 /*v306*/, v36 /*v292*/, v34 /*v290*/
	v_mul_i32_i24_e32 v23 /*v279*/, v64 /*v320*/, v162 /*v418*/
	v_mul_i32_i24_e32 v26 /*v282*/, v69 /*v325*/, v161 /*v417*/
	;; [unrolled: 1-line block ×4, first 2 shown]
	s_set_vgpr_msb 0x50                     ;  msbs: dst=1 src0=0 src1=0 src2=1
	v_add3_u32 v100 /*v356*/, v129, v116, v37 /*v293*/
	s_set_vgpr_msb 0x54                     ;  msbs: dst=1 src0=0 src1=1 src2=1
	v_add3_u32 v108 /*v364*/, v125, v39 /*v295*/, v38 /*v294*/
	v_mul_i32_i24_e32 v36 /*v292*/, v120, v128 /*v384*/
	v_mul_i32_i24_e32 v37 /*v293*/, v118, v134 /*v390*/
	s_set_vgpr_msb 0x51                     ;  msbs: dst=1 src0=1 src1=0 src2=1
	v_add3_u32 v110 /*v366*/, v53 /*v309*/, v122, v44 /*v300*/
	s_set_vgpr_msb 0x44                     ;  msbs: dst=1 src0=0 src1=1 src2=0
	v_mul_i32_i24_e32 v38 /*v294*/, v120, v135 /*v391*/
	s_set_vgpr_msb 0x55                     ;  msbs: dst=1 src0=1 src1=1 src2=1
	v_add3_u32 v113 /*v369*/, v41 /*v297*/, v47 /*v303*/, v45 /*v301*/
	v_add3_u32 v115 /*v371*/, v58 /*v314*/, v68 /*v324*/, v71 /*v327*/
	s_set_vgpr_msb 0x41                     ;  msbs: dst=1 src0=1 src1=0 src2=0
	v_add3_u32 v122 /*v378*/, v87 /*v343*/, v117, v115
	s_set_vgpr_msb 0x45                     ;  msbs: dst=1 src0=1 src1=1 src2=0
	v_mul_i32_i24_e32 v50 /*v306*/, v163 /*v419*/, v61 /*v317*/
	v_mul_i32_i24_e32 v53 /*v309*/, v164 /*v420*/, v64 /*v320*/
	;; [unrolled: 1-line block ×19, first 2 shown]
	s_set_vgpr_msb 0x44                     ;  msbs: dst=1 src0=0 src1=1 src2=0
	v_mul_i32_i24_e32 v70 /*v326*/, v120, v76 /*v332*/
	s_set_vgpr_msb 0x45                     ;  msbs: dst=1 src0=1 src1=1 src2=0
	v_mul_i32_i24_e32 v76 /*v332*/, v92 /*v348*/, v167 /*v423*/
	s_set_vgpr_msb 0x44                     ;  msbs: dst=1 src0=0 src1=1 src2=0
	v_mul_i32_i24_e32 v77 /*v333*/, v118, v74 /*v330*/
	v_mul_i32_i24_e32 v81 /*v337*/, v138, v168 /*v424*/
	s_set_vgpr_msb 0x45                     ;  msbs: dst=1 src0=1 src1=1 src2=0
	v_mul_i32_i24_e32 v74 /*v330*/, v105 /*v361*/, v75 /*v331*/
	s_set_vgpr_msb 0x44                     ;  msbs: dst=1 src0=0 src1=1 src2=0
	v_mul_i32_i24_e32 v86 /*v342*/, v121, v73 /*v329*/
	v_mul_i32_i24_e32 v87 /*v343*/, v119, v73 /*v329*/
	s_set_vgpr_msb 0x55                     ;  msbs: dst=1 src0=1 src1=1 src2=1
	v_add3_u32 v138 /*v394*/, v106 /*v362*/, v83 /*v339*/, v84 /*v340*/
	v_add3_u32 v139 /*v395*/, v114 /*v370*/, v98 /*v354*/, v99 /*v355*/
	s_set_vgpr_msb 0x54                     ;  msbs: dst=1 src0=0 src1=1 src2=1
	v_add3_u32 v143 /*v399*/, v114, v117 /*v373*/, v112 /*v368*/
	s_set_vgpr_msb 0x45                     ;  msbs: dst=1 src0=1 src1=1 src2=0
	v_mul_i32_i24_e32 v112 /*v368*/, v169 /*v425*/, v90 /*v346*/
	s_set_vgpr_msb 0x44                     ;  msbs: dst=1 src0=0 src1=1 src2=0
	v_mul_i32_i24_e32 v82 /*v338*/, v141, v80 /*v336*/
	s_set_vgpr_msb 0x45                     ;  msbs: dst=1 src0=1 src1=1 src2=0
	v_mul_i32_i24_e32 v83 /*v339*/, v165 /*v421*/, v80 /*v336*/
	v_mul_i32_i24_e32 v84 /*v340*/, v80 /*v336*/, v163 /*v419*/
	;; [unrolled: 1-line block ×6, first 2 shown]
	s_set_vgpr_msb 0x44                     ;  msbs: dst=1 src0=0 src1=1 src2=0
	v_mul_i32_i24_e32 v104 /*v360*/, v112, v88 /*v344*/
	s_set_vgpr_msb 0x45                     ;  msbs: dst=1 src0=1 src1=1 src2=0
	v_mul_i32_i24_e32 v105 /*v361*/, v166 /*v422*/, v88 /*v344*/
	v_mul_i32_i24_e32 v106 /*v362*/, v164 /*v420*/, v88 /*v344*/
	v_mul_i32_i24_e32 v101 /*v357*/, v162 /*v418*/, v88 /*v344*/
	v_mul_i32_i24_e32 v99 /*v355*/, v88 /*v344*/, v134 /*v390*/
	v_mul_i32_i24_e32 v98 /*v354*/, v88 /*v344*/, v137 /*v393*/
	v_mul_i32_i24_e32 v134 /*v390*/, v169 /*v425*/, v92 /*v348*/
	v_mul_i32_i24_e32 v128 /*v384*/, v90 /*v346*/, v96 /*v352*/
	v_mul_i32_i24_e32 v129 /*v385*/, v92 /*v348*/, v96 /*v352*/
	v_mul_i32_i24_e32 v135 /*v391*/, v171 /*v427*/, v92 /*v348*/
	v_mul_i32_i24_e32 v88 /*v344*/, v93 /*v349*/, v171 /*v427*/
	v_mul_i32_i24_e32 v96 /*v352*/, v93 /*v349*/, v169 /*v425*/
	v_mul_i32_i24_e32 v90 /*v346*/, v167 /*v423*/, v93 /*v349*/
	v_mul_i32_i24_e32 v92 /*v348*/, v140 /*v396*/, v93 /*v349*/
	v_mul_i32_i24_e32 v93 /*v349*/, v141 /*v397*/, v93 /*v349*/
	s_set_vgpr_msb 0x44                     ;  msbs: dst=1 src0=0 src1=1 src2=0
	v_mul_i32_i24_e32 v133 /*v389*/, v138, v155 /*v411*/
	s_set_vgpr_msb 0x41                     ;  msbs: dst=1 src0=1 src1=0 src2=0
	v_mul_i32_i24_e32 v140 /*v396*/, v170 /*v426*/, v138
	v_mul_i32_i24_e32 v141 /*v397*/, v172 /*v428*/, v138
	s_set_vgpr_msb 0x44                     ;  msbs: dst=1 src0=0 src1=1 src2=0
	v_mul_i32_i24_e32 v117 /*v373*/, v128, v121 /*v377*/
	s_set_vgpr_msb 0x55                     ;  msbs: dst=1 src0=1 src1=1 src2=1
	v_mul_i32_i24_e32 v120 /*v376*/, v144 /*v400*/, v121 /*v377*/
	v_add3_u32 v144 /*v400*/, v188 /*v444*/, v189 /*v445*/, v192 /*v448*/
	s_set_vgpr_msb 1                        ;  msbs: dst=0 src0=1 src1=0 src2=0
	v_cvt_f32_f16_e64 v129, v146 /*v402*/
	v_cvt_f32_f16_e64 v128, v145 /*v401*/
	s_set_vgpr_msb 0x55                     ;  msbs: dst=1 src0=1 src1=1 src2=1
	v_add3_u32 v145 /*v401*/, v196 /*v452*/, v190 /*v446*/, v193 /*v449*/
	s_set_vgpr_msb 0                        ;  msbs: dst=0 src0=0 src1=0 src2=0
	v_cvt_f32_f16_e64 v135, v134
	v_cvt_f32_f16_e64 v134, v136
	s_set_vgpr_msb 0x55                     ;  msbs: dst=1 src0=1 src1=1 src2=1
	v_add3_u32 v146 /*v402*/, v197 /*v453*/, v191 /*v447*/, v194 /*v450*/
	s_set_vgpr_msb 1                        ;  msbs: dst=0 src0=1 src1=0 src2=0
	v_cvt_f32_f16_e64 v136, v147 /*v403*/
	s_set_vgpr_msb 4                        ;  msbs: dst=0 src0=0 src1=1 src2=0
	v_dual_lshrrev_b32 v138, 16, v153 /*v409*/ :: v_dual_lshrrev_b32 v141, 16, v147 /*v403*/
	s_set_vgpr_msb 0x51                     ;  msbs: dst=1 src0=1 src1=0 src2=1
	v_add3_u32 v147 /*v403*/, v198 /*v454*/, v140, v195 /*v451*/
	s_set_vgpr_msb 0x55                     ;  msbs: dst=1 src0=1 src1=1 src2=1
	v_add3_u32 v148 /*v404*/, v150 /*v406*/, v148 /*v404*/, v149 /*v405*/
	s_set_vgpr_msb 1                        ;  msbs: dst=0 src0=1 src1=0 src2=0
	v_add3_u32 v147, v28 /*v284*/, v147, v148
	s_set_vgpr_msb 0                        ;  msbs: dst=0 src0=0 src1=0 src2=0
	v_add3_u32 v225, v225, v236, v234
	v_add3_u32 v226, v226, v240, v238
	s_set_vgpr_msb 4                        ;  msbs: dst=0 src0=0 src1=1 src2=0
	v_mul_i32_i24_e32 v211, v142, v154 /*v410*/
	s_set_vgpr_msb 0x41                     ;  msbs: dst=1 src0=1 src1=0 src2=0
	v_mul_i32_i24_e32 v40 /*v296*/, v160 /*v416*/, v133
	s_set_vgpr_msb 64                       ;  msbs: dst=1 src0=0 src1=0 src2=0
	v_mul_i32_i24_e32 v16 /*v272*/, v112, v118
	s_set_vgpr_msb 0x44                     ;  msbs: dst=1 src0=0 src1=1 src2=0
	v_mul_i32_i24_e32 v34 /*v290*/, v120, v161 /*v417*/
	v_mul_i32_i24_e32 v35 /*v291*/, v118, v162 /*v418*/
	v_mul_i32_i24_e32 v39 /*v295*/, v118, v137 /*v393*/
	s_set_vgpr_msb 0x45                     ;  msbs: dst=1 src0=1 src1=1 src2=0
	v_mul_i32_i24_e32 v44 /*v300*/, v159 /*v415*/, v75 /*v331*/
	s_set_vgpr_msb 0x44                     ;  msbs: dst=1 src0=0 src1=1 src2=0
	v_mul_i32_i24_e32 v46 /*v302*/, v143, v75 /*v331*/
	s_set_vgpr_msb 0x45                     ;  msbs: dst=1 src0=1 src1=1 src2=0
	v_mul_i32_i24_e32 v57 /*v313*/, v157 /*v413*/, v75 /*v331*/
	v_mul_i32_i24_e32 v75 /*v331*/, v116 /*v372*/, v75 /*v331*/
	s_set_vgpr_msb 1                        ;  msbs: dst=0 src0=1 src1=0 src2=0
	v_add3_u32 v227, v20 /*v276*/, v229, v227
	v_add3_u32 v148, v33 /*v289*/, v228, v231
	s_set_vgpr_msb 0                        ;  msbs: dst=0 src0=0 src1=0 src2=0
	v_add3_u32 v228, v242, v230, v233
	v_add3_u32 v229, v247, v232, v235
	s_set_vgpr_msb 1                        ;  msbs: dst=0 src0=1 src1=0 src2=0
	v_add3_u32 v230, v30 /*v286*/, v237, v239
	v_add3_u32 v231, v62 /*v318*/, v241, v244
	s_set_vgpr_msb 0                        ;  msbs: dst=0 src0=0 src1=0 src2=0
	v_add3_u32 v224, v224, v245, v243
	s_set_vgpr_msb 1                        ;  msbs: dst=0 src0=1 src1=0 src2=0
	v_add3_u32 v232, v79 /*v335*/, v246, v249
	s_set_vgpr_msb 17                       ;  msbs: dst=0 src0=1 src1=0 src2=1
	v_add3_u32 v233, v108 /*v364*/, v250, v1 /*v257*/
	s_set_vgpr_msb 1                        ;  msbs: dst=0 src0=1 src1=0 src2=0
	v_add3_u32 v155, v126 /*v382*/, v155, v197
	v_add3_u32 v197, v123 /*v379*/, v198, v199
	v_add3_u32 v198, v131 /*v387*/, v204, v205
	v_add3_u32 v199, v125 /*v381*/, v206, v207
	v_add3_u32 v204, v138 /*v394*/, v212, v213
	v_add3_u32 v205, v136 /*v392*/, v214, v215
	v_add3_u32 v206, v142 /*v398*/, v220, v222
	v_add3_u32 v207, v139 /*v395*/, v221, v223
	s_set_vgpr_msb 5                        ;  msbs: dst=0 src0=1 src1=1 src2=0
	v_add3_u32 v212, v143 /*v399*/, v7 /*v263*/, v251
	v_add3_u32 v213, v144 /*v400*/, v8 /*v264*/, v252
	;; [unrolled: 1-line block ×5, first 2 shown]
	s_set_vgpr_msb 0                        ;  msbs: dst=0 src0=0 src1=0 src2=0
	v_add3_u32 v145, v147, v145, v146
	s_set_vgpr_msb 5                        ;  msbs: dst=0 src0=1 src1=1 src2=0
	v_add3_u32 v146, v147 /*v403*/, v5 /*v261*/, v248
	s_set_vgpr_msb 20                       ;  msbs: dst=0 src0=0 src1=1 src2=1
	v_add3_u32 v221, v225, v19 /*v275*/, v22 /*v278*/
	v_add3_u32 v223, v226, v24 /*v280*/, v27 /*v283*/
	s_set_vgpr_msb 0x44                     ;  msbs: dst=1 src0=0 src1=1 src2=0
	v_mul_i32_i24_e32 v41 /*v297*/, v120, v163 /*v419*/
	s_set_vgpr_msb 0x41                     ;  msbs: dst=1 src0=1 src1=0 src2=0
	v_mul_i32_i24_e32 v42 /*v298*/, v164 /*v420*/, v118
	v_mul_i32_i24_e32 v43 /*v299*/, v165 /*v421*/, v120
	;; [unrolled: 1-line block ×3, first 2 shown]
	s_set_vgpr_msb 0x44                     ;  msbs: dst=1 src0=0 src1=1 src2=0
	v_mul_i32_i24_e32 v68 /*v324*/, v142, v168 /*v424*/
	s_set_vgpr_msb 1                        ;  msbs: dst=0 src0=1 src1=0 src2=0
	v_cvt_f32_f16_e64 v114, v132 /*v388*/
	s_set_vgpr_msb 0x44                     ;  msbs: dst=1 src0=0 src1=1 src2=0
	v_mul_i32_i24_e32 v132 /*v388*/, v142, v155 /*v411*/
	s_set_vgpr_msb 21                       ;  msbs: dst=0 src0=1 src1=1 src2=1
	v_add3_u32 v234, v100 /*v356*/, v0 /*v256*/, v2 /*v258*/
	v_add3_u32 v235, v110 /*v366*/, v3 /*v259*/, v4 /*v260*/
	;; [unrolled: 1-line block ×5, first 2 shown]
	s_set_vgpr_msb 20                       ;  msbs: dst=0 src0=0 src1=1 src2=1
	v_add3_u32 v147, v148, v13 /*v269*/, v16 /*v272*/
	v_add3_u32 v148, v227, v15 /*v271*/, v18 /*v274*/
	;; [unrolled: 1-line block ×7, first 2 shown]
	s_set_vgpr_msb 0                        ;  msbs: dst=0 src0=0 src1=0 src2=0
	v_add3_u32 v151, v197, v151, v152
	v_add3_u32 v152, v155, v153, v154
	;; [unrolled: 1-line block ×8, first 2 shown]
	s_set_vgpr_msb 20                       ;  msbs: dst=0 src0=0 src1=1 src2=1
	v_add3_u32 v200, v220, v44 /*v300*/, v47 /*v303*/
	v_add3_u32 v201, v212, v46 /*v302*/, v51 /*v307*/
	;; [unrolled: 1-line block ×8, first 2 shown]
	s_set_vgpr_msb 1                        ;  msbs: dst=0 src0=1 src1=0 src2=0
	v_cvt_f32_f16_e64 v106, v118 /*v374*/
	s_set_vgpr_msb 0x41                     ;  msbs: dst=1 src0=1 src1=0 src2=0
	v_mul_i32_i24_e32 v114 /*v370*/, v170 /*v426*/, v142
	v_mul_i32_i24_e32 v137 /*v393*/, v172 /*v428*/, v142
	s_set_vgpr_msb 0x45                     ;  msbs: dst=1 src0=1 src1=1 src2=0
	v_mul_i32_i24_e32 v118 /*v374*/, v121 /*v377*/, v170 /*v426*/
	v_mul_i32_i24_e32 v116 /*v372*/, v121 /*v377*/, v172 /*v428*/
	;; [unrolled: 1-line block ×4, first 2 shown]
	s_set_vgpr_msb 20                       ;  msbs: dst=0 src0=0 src1=1 src2=1
	v_add3_u32 v227, v234, v36 /*v292*/, v37 /*v293*/
	v_add3_u32 v231, v236, v41 /*v297*/, v42 /*v298*/
	v_add3_u32 v232, v235, v43 /*v299*/, v45 /*v301*/
	v_add3_u32 v233, v237, v50 /*v306*/, v53 /*v309*/
	v_add3_u32 v228, v228, v56 /*v312*/, v58 /*v314*/
	v_add3_u32 v234, v238, v63 /*v319*/, v65 /*v321*/
	v_add3_u32 v229, v229, v66 /*v322*/, v71 /*v327*/
	s_set_vgpr_msb 0                        ;  msbs: dst=0 src0=0 src1=0 src2=0
	v_add3_u32 v145, v145, v150, v149
	s_set_vgpr_msb 20                       ;  msbs: dst=0 src0=0 src1=1 src2=1
	v_add3_u32 v203, v147, v55 /*v311*/, v59 /*v315*/
	v_add3_u32 v204, v148, v48 /*v304*/, v54 /*v310*/
	;; [unrolled: 1-line block ×7, first 2 shown]
	v_cvt_f32_i32_e32 v147, v152
	v_cvt_f32_i32_e32 v146, v151
	;; [unrolled: 1-line block ×7, first 2 shown]
	v_add3_u32 v155, v201, v82 /*v338*/, v104 /*v360*/
	v_add3_u32 v197, v202, v83 /*v339*/, v105 /*v361*/
	;; [unrolled: 1-line block ×8, first 2 shown]
	s_set_vgpr_msb 1                        ;  msbs: dst=0 src0=1 src1=0 src2=0
	v_cvt_f32_f16_e64 v125, v184 /*v440*/
	v_cvt_f32_f16_e64 v124, v185 /*v441*/
	;; [unrolled: 1-line block ×5, first 2 shown]
	s_set_vgpr_msb 4                        ;  msbs: dst=0 src0=0 src1=1 src2=0
	v_lshrrev_b32_e32 v142, 16, v152 /*v408*/
	s_set_vgpr_msb 0x44                     ;  msbs: dst=1 src0=0 src1=1 src2=0
	v_lshrrev_b32_e32 v151 /*v407*/, 16, v151 /*v407*/
	s_set_vgpr_msb 20                       ;  msbs: dst=0 src0=0 src1=1 src2=1
	v_add3_u32 v214, v227, v97 /*v353*/, v102 /*v358*/
	v_add3_u32 v215, v232, v103 /*v359*/, v107 /*v363*/
	;; [unrolled: 1-line block ×7, first 2 shown]
	v_cvt_f32_i32_e32 v153, v199
	v_add3_u32 v224, v208, v127 /*v383*/, v130 /*v386*/
	v_cvt_f32_i32_e32 v154, v145
	v_cvt_f32_i32_e32 v202, v213
	v_cvt_f32_i32_e32 v211, v210
	v_cvt_f32_i32_e32 v213, v212
	s_set_vgpr_msb 0                        ;  msbs: dst=0 src0=0 src1=0 src2=0
	v_pk_fma_f32 v[80:81], v[80:81], v[146:147], v[104:105]
	v_pk_fma_f32 v[82:83], v[82:83], v[148:149], v[106:107]
	;; [unrolled: 1-line block ×3, first 2 shown]
	s_set_vgpr_msb 20                       ;  msbs: dst=0 src0=0 src1=1 src2=1
	v_add3_u32 v145, v155, v95 /*v351*/, v117 /*v373*/
	v_add3_u32 v146, v197, v96 /*v352*/, v118 /*v374*/
	;; [unrolled: 1-line block ×6, first 2 shown]
	v_cvt_f32_i32_e32 v210, v201
	v_cvt_f32_i32_e32 v212, v222
	s_set_vgpr_msb 1                        ;  msbs: dst=0 src0=1 src1=0 src2=0
	v_cvt_f32_f16_e64 v117, v173 /*v429*/
	v_cvt_f32_f16_e64 v116, v174 /*v430*/
	;; [unrolled: 1-line block ×11, first 2 shown]
	s_set_vgpr_msb 0                        ;  msbs: dst=0 src0=0 src1=0 src2=0
	v_cvt_f32_f16_e64 v133, v137
	s_set_vgpr_msb 1                        ;  msbs: dst=0 src0=1 src1=0 src2=0
	v_cvt_f32_f16_e64 v137, v153 /*v409*/
	s_set_vgpr_msb 0                        ;  msbs: dst=0 src0=0 src1=0 src2=0
	v_cvt_f32_f16_e64 v139, v138
	v_cvt_f32_f16_e64 v138, v141
	s_set_vgpr_msb 1                        ;  msbs: dst=0 src0=1 src1=0 src2=0
	v_cvt_f32_f16_e64 v141, v152 /*v408*/
	s_set_vgpr_msb 0                        ;  msbs: dst=0 src0=0 src1=0 src2=0
	v_cvt_f32_f16_e64 v143, v142
	s_set_vgpr_msb 1                        ;  msbs: dst=0 src0=1 src1=0 src2=0
	v_cvt_f32_f16_e64 v142, v151 /*v407*/
	s_set_vgpr_msb 0                        ;  msbs: dst=0 src0=0 src1=0 src2=0
	v_cvt_f32_i32_e32 v199, v203
	v_cvt_f32_i32_e32 v200, v204
	;; [unrolled: 1-line block ×10, first 2 shown]
	v_pk_fma_f32 v[86:87], v[86:87], v[152:153], v[110:111]
	v_cvt_f32_i32_e32 v214, v224
	v_cvt_f32_i32_e32 v155, v145
	v_pk_add_f32 v[32:33], v[32:33], v[80:81]
	v_pk_add_f32 v[30:31], v[30:31], v[82:83]
	v_cvt_f32_i32_e32 v198, v146
	v_cvt_f32_i32_e32 v201, v147
	v_pk_fma_f32 v[80:81], v[100:101], v[210:211], v[124:125]
	v_pk_fma_f32 v[82:83], v[102:103], v[212:213], v[126:127]
	v_cvt_f32_i32_e32 v145, v148
	v_pk_add_f32 v[16:17], v[16:17], v[84:85]
	v_cvt_f32_i32_e32 v85, v150
	v_cvt_f32_i32_e32 v84, v149
	v_pk_fma_f32 v[104:105], v[128:129], v[202:203], v[130:131]
	v_pk_fma_f32 v[106:107], v[132:133], v[204:205], v[134:135]
	;; [unrolled: 1-line block ×5, first 2 shown]
	v_pk_add_f32 v[14:15], v[14:15], v[86:87]
	v_pk_fma_f32 v[86:87], v[88:89], v[154:155], v[116:117]
	v_pk_fma_f32 v[88:89], v[96:97], v[198:199], v[120:121]
	;; [unrolled: 1-line block ×3, first 2 shown]
	v_pk_add_f32 v[24:25], v[24:25], v[80:81]
	v_pk_add_f32 v[22:23], v[22:23], v[82:83]
	v_pk_fma_f32 v[80:81], v[90:91], v[144:145], v[112:113]
	v_pk_fma_f32 v[82:83], v[92:93], v[84:85], v[114:115]
	v_pk_add_f32 v[18:19], v[18:19], v[104:105]
	v_pk_add_f32 v[4:5], v[4:5], v[106:107]
	;; [unrolled: 1-line block ×10, first 2 shown]
	s_cbranch_scc1 .LBB120_9
; %bb.10:                               ;   in Loop: Header=BB120_7 Depth=1
	s_and_b32 s10, s7, -4
	s_delay_alu instid0(SALU_CYCLE_1)
	s_cmp_eq_u32 s10, 4
	s_barrier_signal -1
	s_barrier_wait -1
	s_cbranch_scc1 .LBB120_6
; %bb.11:                               ;   in Loop: Header=BB120_7 Depth=1
	v_dual_add_nc_u32 v80, s4, v168 :: v_dual_add_nc_u32 v96, 4, v189
	v_dual_mov_b32 v98, v185 :: v_dual_mov_b32 v99, v183
	v_dual_mov_b32 v100, v181 :: v_dual_mov_b32 v101, v179
	s_delay_alu instid0(VALU_DEP_3) | instskip(SKIP_3) | instid1(VALU_DEP_4)
	v_dual_add_nc_u32 v86, v80, v162 :: v_dual_add_nc_u32 v81, v80, v167
	v_dual_add_nc_u32 v82, v80, v160 :: v_dual_add_nc_u32 v84, v80, v161
	;; [unrolled: 1-line block ×4, first 2 shown]
	v_mad_nc_i64_i32 v[80:81], v81, 36, v[38:39]
	s_delay_alu instid0(VALU_DEP_4)
	v_mad_nc_i64_i32 v[82:83], v82, 36, v[38:39]
	v_mad_nc_i64_i32 v[84:85], v84, 36, v[38:39]
	;; [unrolled: 1-line block ×7, first 2 shown]
	v_mad_nc_u64_u32 v[96:97], v96, 36, s[2:3]
	s_clause 0x8
	global_load_b32 v103, v[80:81], off offset:4
	global_load_b32 v104, v[82:83], off offset:4
	;; [unrolled: 1-line block ×8, first 2 shown]
	global_load_b32 v111, v[96:97], off
	s_wait_xcnt 0x0
	v_dual_mov_b32 v96, v187 :: v_dual_mov_b32 v97, v177
	v_mov_b32_e32 v102, v188
	s_mov_b32 s10, 12
	s_wait_loadcnt 0x8
	ds_store_b32 v175, v103
	s_wait_loadcnt 0x7
	ds_store_b32 v176, v104
	;; [unrolled: 2-line block ×9, first 2 shown]
	s_wait_dscnt 0x0
	s_barrier_signal -1
	s_barrier_wait -1
.LBB120_12:                             ;   Parent Loop BB120_7 Depth=1
                                        ; =>  This Inner Loop Header: Depth=2
	ds_load_2addr_b32 v[80:81], v97 offset0:1 offset1:2
	ds_load_2addr_b32 v[82:83], v97 offset0:5 offset1:6
	ds_load_2addr_b32 v[84:85], v97 offset1:3
	ds_load_2addr_b32 v[88:89], v97 offset0:4 offset1:7
	ds_load_2addr_b32 v[86:87], v96 offset1:32
	s_add_co_i32 s10, s10, 4
	s_delay_alu instid0(SALU_CYCLE_1)
	s_cmp_lt_u32 s10, 28
	s_wait_dscnt 0x4
	s_set_vgpr_msb 64                       ;  msbs: dst=1 src0=0 src1=0 src2=0
	v_bfe_i32 v18 /*v274*/, v80, 0, 8
	v_bfe_i32 v19 /*v275*/, v80, 8, 8
	s_wait_dscnt 0x2
	s_set_vgpr_msb 0                        ;  msbs: dst=0 src0=0 src1=0 src2=0
	v_bfe_i32 v238, v84, 0, 8
	s_set_vgpr_msb 64                       ;  msbs: dst=1 src0=0 src1=0 src2=0
	v_bfe_i32 v8 /*v264*/, v84, 8, 8
	v_bfe_i32 v9 /*v265*/, v84, 16, 8
	v_dual_ashrrev_i32 v10 /*v266*/, 24, v84 :: v_dual_ashrrev_i32 v35 /*v291*/, 24, v82
	s_set_vgpr_msb 0                        ;  msbs: dst=0 src0=0 src1=0 src2=0
	v_bfe_i32 v94, v85, 0, 8
	v_bfe_i32 v95, v85, 8, 8
	s_set_vgpr_msb 64                       ;  msbs: dst=1 src0=0 src1=0 src2=0
	v_bfe_i32 v24 /*v280*/, v85, 16, 8
	s_set_vgpr_msb 0                        ;  msbs: dst=0 src0=0 src1=0 src2=0
	v_ashrrev_i32_e32 v103, 24, v85
	ds_load_b32 v108, v98
	ds_load_2addr_b32 v[84:85], v102 offset1:1
	s_set_vgpr_msb 64                       ;  msbs: dst=1 src0=0 src1=0 src2=0
	v_bfe_i32 v20 /*v276*/, v80, 16, 8
	v_dual_ashrrev_i32 v37 /*v293*/, 24, v80 :: v_dual_ashrrev_i32 v31 /*v287*/, 24, v83
	v_bfe_i32 v21 /*v277*/, v82, 0, 8
	v_bfe_i32 v22 /*v278*/, v82, 8, 8
	;; [unrolled: 1-line block ×6, first 2 shown]
	s_set_vgpr_msb 0                        ;  msbs: dst=0 src0=0 src1=0 src2=0
	ds_load_2addr_b32 v[82:83], v102 offset0:2 offset1:3
	s_wait_dscnt 0x4
	s_set_vgpr_msb 64                       ;  msbs: dst=1 src0=0 src1=0 src2=0
	v_dual_ashrrev_i32 v38 /*v294*/, 24, v88 :: v_dual_ashrrev_i32 v33 /*v289*/, 24, v81
	v_bfe_i32 v25 /*v281*/, v81, 0, 8
	v_bfe_i32 v26 /*v282*/, v81, 8, 8
	;; [unrolled: 1-line block ×6, first 2 shown]
	s_set_vgpr_msb 0                        ;  msbs: dst=0 src0=0 src1=0 src2=0
	v_bfe_i32 v107, v89, 0, 8
	s_wait_dscnt 0x1
	v_lshrrev_b32_e32 v80, 4, v84
	v_bfe_i32 v105, v89, 8, 8
	v_bfe_i32 v106, v89, 16, 8
	v_dual_ashrrev_i32 v104, 24, v89 :: v_dual_lshrrev_b32 v111, 28, v84
	s_delay_alu instid0(VALU_DEP_4)
	v_lshrrev_b16 v80, 8, v80
	v_lshrrev_b32_e32 v109, 28, v85
	v_pk_mul_f16 v234, v86, v108
	s_set_vgpr_msb 64                       ;  msbs: dst=1 src0=0 src1=0 src2=0
	v_bfe_u32 v1 /*v257*/, v84, 8, 4
	s_set_vgpr_msb 0                        ;  msbs: dst=0 src0=0 src1=0 src2=0
	v_bfe_u32 v251, v84, 24, 4
	s_set_vgpr_msb 64                       ;  msbs: dst=1 src0=0 src1=0 src2=0
	v_and_b32_e32 v12 /*v268*/, 15, v80
	s_set_vgpr_msb 0                        ;  msbs: dst=0 src0=0 src1=0 src2=0
	v_and_b32_e32 v80, 0xf0f0f0f, v85
	s_set_vgpr_msb 64                       ;  msbs: dst=1 src0=0 src1=0 src2=0
	v_bfe_u32 v2 /*v258*/, v84, 16, 4
	s_wait_dscnt 0x0
	v_lshrrev_b32_e32 v5 /*v261*/, 28, v83
	s_set_vgpr_msb 0                        ;  msbs: dst=0 src0=0 src1=0 src2=0
	v_bfe_u32 v113, v85, 24, 4
	v_bfe_u32 v114, v82, 24, 4
	s_set_vgpr_msb 64                       ;  msbs: dst=1 src0=0 src1=0 src2=0
	v_lshrrev_b16 v40 /*v296*/, 8, v80
	s_set_vgpr_msb 0                        ;  msbs: dst=0 src0=0 src1=0 src2=0
	v_lshrrev_b32_e32 v80, 4, v85
	v_bfe_u32 v112, v83, 24, 4
	s_set_vgpr_msb 64                       ;  msbs: dst=1 src0=0 src1=0 src2=0
	v_bfe_u32 v3 /*v259*/, v83, 4, 4
	v_bfe_u32 v4 /*v260*/, v83, 12, 4
	s_set_vgpr_msb 0                        ;  msbs: dst=0 src0=0 src1=0 src2=0
	v_lshrrev_b32_e32 v110, 28, v82
	v_lshrrev_b16 v80, 8, v80
	v_bfe_u32 v250, v83, 20, 4
	s_set_vgpr_msb 0x44                     ;  msbs: dst=1 src0=0 src1=1 src2=0
	v_mul_i32_i24_e32 v44 /*v300*/, v107, v3 /*v259*/
	v_mul_i32_i24_e32 v47 /*v303*/, v105, v4 /*v260*/
	s_set_vgpr_msb 0                        ;  msbs: dst=0 src0=0 src1=0 src2=0
	v_add_nc_u32_e32 v98, 4, v98
	s_set_vgpr_msb 64                       ;  msbs: dst=1 src0=0 src1=0 src2=0
	v_and_b32_e32 v39 /*v295*/, 15, v80
	s_set_vgpr_msb 0                        ;  msbs: dst=0 src0=0 src1=0 src2=0
	v_and_b32_e32 v80, 0xf0f0f0f, v82
	s_set_vgpr_msb 64                       ;  msbs: dst=1 src0=0 src1=0 src2=0
	v_mul_i32_i24_e32 v46 /*v302*/, v106, v250
	s_set_vgpr_msb 0                        ;  msbs: dst=0 src0=0 src1=0 src2=0
	v_and_b32_e32 v253, 15, v84
	s_set_vgpr_msb 64                       ;  msbs: dst=1 src0=0 src1=0 src2=0
	v_lshrrev_b16 v36 /*v292*/, 8, v80
	s_set_vgpr_msb 0                        ;  msbs: dst=0 src0=0 src1=0 src2=0
	v_lshrrev_b32_e32 v80, 4, v82
	s_delay_alu instid0(VALU_DEP_1) | instskip(SKIP_1) | instid1(VALU_DEP_1)
	v_lshrrev_b16 v80, 8, v80
	s_set_vgpr_msb 64                       ;  msbs: dst=1 src0=0 src1=0 src2=0
	v_and_b32_e32 v34 /*v290*/, 15, v80
	s_set_vgpr_msb 0                        ;  msbs: dst=0 src0=0 src1=0 src2=0
	v_and_b32_e32 v80, 0xf0f0f0f, v83
	s_set_vgpr_msb 64                       ;  msbs: dst=1 src0=0 src1=0 src2=0
	s_delay_alu instid0(VALU_DEP_1)
	v_lshrrev_b16 v32 /*v288*/, 8, v80
	s_set_vgpr_msb 0                        ;  msbs: dst=0 src0=0 src1=0 src2=0
	v_add_nc_u32_e32 v80, 0x1080, v102
	ds_load_b32 v115, v99
	ds_load_2addr_b32 v[80:81], v80 offset1:1
	v_add_nc_u32_e32 v99, 4, v99
	s_wait_dscnt 0x1
	v_pk_mul_f16 v191, v86, v115
	s_wait_dscnt 0x0
	v_dual_lshrrev_b32 v123, 28, v80 :: v_dual_bitop2_b32 v118, 15, v80 bitop3:0x40
	v_bfe_u32 v119, v80, 8, 4
	v_bfe_u32 v116, v80, 16, 4
	;; [unrolled: 1-line block ×3, first 2 shown]
	s_delay_alu instid0(VALU_DEP_4)
	v_mul_i32_i24_e32 v88, v118, v238
	v_bfe_u32 v120, v80, 4, 4
	v_bfe_u32 v122, v80, 12, 4
	s_set_vgpr_msb 4                        ;  msbs: dst=0 src0=0 src1=1 src2=0
	v_mul_i32_i24_e32 v89, v116, v9 /*v265*/
	v_mul_i32_i24_e32 v90, v117, v10 /*v266*/
	v_mad_i32_i24 v88, v119, v8 /*v264*/, v88
	v_bfe_u32 v121, v80, 20, 4
	v_mul_i32_i24_e32 v80, v123, v38 /*v294*/
	s_set_vgpr_msb 0                        ;  msbs: dst=0 src0=0 src1=0 src2=0
	v_dual_lshrrev_b32 v130, 28, v81 :: v_dual_bitop2_b32 v124, 15, v81 bitop3:0x40
	v_add3_u32 v88, v88, v89, v90
	s_set_vgpr_msb 4                        ;  msbs: dst=0 src0=0 src1=1 src2=0
	v_mul_i32_i24_e32 v89, v120, v15 /*v271*/
	v_mul_i32_i24_e32 v90, v122, v16 /*v272*/
	;; [unrolled: 1-line block ×3, first 2 shown]
	v_bfe_u32 v125, v81, 8, 4
	v_bfe_u32 v126, v81, 16, 4
	;; [unrolled: 1-line block ×3, first 2 shown]
	s_set_vgpr_msb 0                        ;  msbs: dst=0 src0=0 src1=0 src2=0
	v_add3_u32 v88, v88, v90, v89
	v_bfe_u32 v128, v81, 4, 4
	s_set_vgpr_msb 1                        ;  msbs: dst=0 src0=1 src1=0 src2=0
	v_mul_i32_i24_e32 v89, v19 /*v275*/, v125
	v_mul_i32_i24_e32 v90, v20 /*v276*/, v126
	s_set_vgpr_msb 0                        ;  msbs: dst=0 src0=0 src1=0 src2=0
	v_bfe_u32 v129, v81, 12, 4
	v_add3_u32 v80, v88, v91, v80
	s_set_vgpr_msb 1                        ;  msbs: dst=0 src0=1 src1=0 src2=0
	v_mul_i32_i24_e32 v88, v18 /*v274*/, v124
	v_mul_i32_i24_e32 v91, v37 /*v293*/, v127
	s_set_vgpr_msb 0                        ;  msbs: dst=0 src0=0 src1=0 src2=0
	v_bfe_u32 v131, v81, 20, 4
	s_delay_alu instid0(VALU_DEP_3) | instskip(SKIP_2) | instid1(VALU_DEP_3)
	v_add3_u32 v80, v80, v89, v88
	s_set_vgpr_msb 1                        ;  msbs: dst=0 src0=1 src1=0 src2=0
	v_mul_i32_i24_e32 v89, v21 /*v277*/, v128
	v_mul_i32_i24_e32 v92, v23 /*v279*/, v131
	s_set_vgpr_msb 0                        ;  msbs: dst=0 src0=0 src1=0 src2=0
	v_add3_u32 v88, v80, v90, v91
	v_add_nc_u32_e32 v80, 0x1088, v102
	s_set_vgpr_msb 1                        ;  msbs: dst=0 src0=1 src1=0 src2=0
	v_mul_i32_i24_e32 v90, v22 /*v278*/, v129
	v_mul_i32_i24_e32 v91, v35 /*v291*/, v130
	s_set_vgpr_msb 0                        ;  msbs: dst=0 src0=0 src1=0 src2=0
	ds_load_2addr_b32 v[80:81], v80 offset1:1
	v_add3_u32 v88, v88, v89, v90
	s_delay_alu instid0(VALU_DEP_1)
	v_add3_u32 v88, v88, v92, v91
	s_wait_dscnt 0x0
	v_bfe_u32 v132, v80, 8, 4
	v_dual_lshrrev_b32 v138, 28, v80 :: v_dual_bitop2_b32 v133, 15, v80 bitop3:0x40
	v_bfe_u32 v134, v80, 24, 4
	v_bfe_u32 v135, v80, 16, 4
	s_set_vgpr_msb 1                        ;  msbs: dst=0 src0=1 src1=0 src2=0
	v_mul_i32_i24_e32 v144, v26 /*v282*/, v132
	v_mul_i32_i24_e32 v93, v25 /*v281*/, v133
	s_set_vgpr_msb 0                        ;  msbs: dst=0 src0=0 src1=0 src2=0
	v_bfe_u32 v136, v80, 4, 4
	s_set_vgpr_msb 1                        ;  msbs: dst=0 src0=1 src1=0 src2=0
	v_mul_i32_i24_e32 v145, v33 /*v289*/, v134
	v_mul_i32_i24_e32 v146, v30 /*v286*/, v135
	s_set_vgpr_msb 0                        ;  msbs: dst=0 src0=0 src1=0 src2=0
	v_bfe_u32 v137, v80, 12, 4
	v_add3_u32 v88, v88, v144, v93
	s_set_vgpr_msb 1                        ;  msbs: dst=0 src0=1 src1=0 src2=0
	v_mul_i32_i24_e32 v148, v27 /*v283*/, v136
	s_set_vgpr_msb 0                        ;  msbs: dst=0 src0=0 src1=0 src2=0
	v_bfe_u32 v139, v80, 20, 4
	s_set_vgpr_msb 1                        ;  msbs: dst=0 src0=1 src1=0 src2=0
	v_mul_i32_i24_e32 v80, v31 /*v287*/, v138
	v_mul_i32_i24_e32 v147, v28 /*v284*/, v137
	s_set_vgpr_msb 0                        ;  msbs: dst=0 src0=0 src1=0 src2=0
	v_add3_u32 v88, v88, v146, v145
	v_bfe_u32 v140, v81, 8, 4
	s_set_vgpr_msb 1                        ;  msbs: dst=0 src0=1 src1=0 src2=0
	v_mul_i32_i24_e32 v149, v29 /*v285*/, v139
	v_and_b32_e32 v141, 15, v81
	s_set_vgpr_msb 0                        ;  msbs: dst=0 src0=0 src1=0 src2=0
	v_bfe_u32 v143, v81, 24, 4
	v_add3_u32 v88, v88, v148, v147
	v_mul_i32_i24_e32 v151, v95, v140
	v_bfe_u32 v142, v81, 16, 4
	v_mul_i32_i24_e32 v150, v94, v141
	s_delay_alu instid0(VALU_DEP_4) | instskip(SKIP_1) | instid1(VALU_DEP_3)
	v_add3_u32 v80, v88, v149, v80
	s_set_vgpr_msb 1                        ;  msbs: dst=0 src0=1 src1=0 src2=0
	v_mul_i32_i24_e32 v190, v24 /*v280*/, v142
	s_set_vgpr_msb 0                        ;  msbs: dst=0 src0=0 src1=0 src2=0
	s_delay_alu instid0(VALU_DEP_2)
	v_add3_u32 v192, v80, v151, v150
	v_add_nc_u32_e32 v80, 0x2100, v102
	ds_load_b32 v144, v100
	ds_load_2addr_b32 v[92:93], v80 offset1:1
	v_add_nc_u32_e32 v80, 0x2108, v102
	v_add_nc_u32_e32 v100, 4, v100
	ds_load_2addr_b32 v[240:241], v80 offset1:1
	v_add_nc_u32_e32 v80, 0x3180, v102
	ds_load_b32 v205, v101
	ds_load_2addr_b32 v[242:243], v80 offset1:1
	v_add_nc_u32_e32 v80, 0x3188, v102
	v_dual_add_nc_u32 v101, 4, v101 :: v_dual_add_nc_u32 v102, 16, v102
	s_set_vgpr_msb 64                       ;  msbs: dst=1 src0=0 src1=0 src2=0
	ds_load_2addr_b32 v[74:75] /*v[330:331]*/, v80 offset1:1
	s_wait_dscnt 0x5
	v_pk_mul_f16 v92 /*v348*/, v86, v144
	s_wait_dscnt 0x4
	s_set_vgpr_msb 0                        ;  msbs: dst=0 src0=0 src1=0 src2=0
	v_dual_lshrrev_b32 v155, 28, v93 :: v_dual_bitop2_b32 v149, 15, v93 bitop3:0x40
	v_bfe_u32 v150, v93, 8, 4
	v_bfe_u32 v151, v93, 16, 4
	;; [unrolled: 1-line block ×7, first 2 shown]
	v_lshrrev_b32_e32 v148, 28, v92
	s_wait_dscnt 0x2
	s_set_vgpr_msb 64                       ;  msbs: dst=1 src0=0 src1=0 src2=0
	v_pk_mul_f16 v116 /*v372*/, v86, v205
	s_set_vgpr_msb 0                        ;  msbs: dst=0 src0=0 src1=0 src2=0
	v_add_nc_u32_e32 v86, 0x404, v97
	s_wait_dscnt 0x1
	v_dual_lshrrev_b32 v216, 28, v243 :: v_dual_bitop2_b32 v210, 15, v243 bitop3:0x40
	v_bfe_u32 v211, v243, 8, 4
	v_bfe_u32 v212, v243, 16, 4
	ds_load_2addr_b32 v[90:91], v86 offset1:1
	v_add_nc_u32_e32 v80, 0x400, v97
	v_add_nc_u32_e32 v86, 0x414, v97
	s_wait_dscnt 0x1
	s_set_vgpr_msb 1                        ;  msbs: dst=0 src0=1 src1=0 src2=0
	v_bfe_u32 v218, v74 /*v330*/, 8, 4
	s_set_vgpr_msb 4                        ;  msbs: dst=0 src0=0 src1=1 src2=0
	v_dual_lshrrev_b32 v224, 28, v74 /*v330*/ :: v_dual_bitop2_b32 v219, 15, v74 /*v330*/ bitop3:0x40
	ds_load_2addr_b32 v[88:89], v80 offset0:4 offset1:7
	ds_load_2addr_b32 v[230:231], v86 offset1:1
	ds_load_2addr_b32 v[232:233], v80 offset1:3
	s_set_vgpr_msb 1                        ;  msbs: dst=0 src0=1 src1=0 src2=0
	v_bfe_u32 v220, v74 /*v330*/, 24, 4
	v_bfe_u32 v221, v74 /*v330*/, 16, 4
	;; [unrolled: 1-line block ×5, first 2 shown]
	s_set_vgpr_msb 0                        ;  msbs: dst=0 src0=0 src1=0 src2=0
	v_bfe_u32 v213, v243, 24, 4
	v_bfe_u32 v214, v243, 4, 4
	;; [unrolled: 1-line block ×7, first 2 shown]
	s_wait_dscnt 0x3
	s_set_vgpr_msb 64                       ;  msbs: dst=1 src0=0 src1=0 src2=0
	v_bfe_i32 v66 /*v322*/, v90, 0, 8
	v_bfe_i32 v67 /*v323*/, v90, 8, 8
	;; [unrolled: 1-line block ×3, first 2 shown]
	v_ashrrev_i32_e32 v69 /*v325*/, 24, v90
	v_bfe_i32 v58 /*v314*/, v91, 0, 8
	v_bfe_i32 v59 /*v315*/, v91, 8, 8
	s_wait_dscnt 0x2
	s_set_vgpr_msb 0                        ;  msbs: dst=0 src0=0 src1=0 src2=0
	v_ashrrev_i32_e32 v249, 24, v89
	s_set_vgpr_msb 64                       ;  msbs: dst=1 src0=0 src1=0 src2=0
	v_bfe_i32 v70 /*v326*/, v88, 0, 8
	v_bfe_i32 v71 /*v327*/, v88, 8, 8
	;; [unrolled: 1-line block ×3, first 2 shown]
	s_wait_dscnt 0x0
	v_dual_ashrrev_i32 v73 /*v329*/, 24, v88 :: v_dual_ashrrev_i32 v42 /*v298*/, 24, v233
	s_set_vgpr_msb 0                        ;  msbs: dst=0 src0=0 src1=0 src2=0
	v_mul_i32_i24_e32 v88, v253, v238
	s_set_vgpr_msb 64                       ;  msbs: dst=1 src0=0 src1=0 src2=0
	v_bfe_i32 v62 /*v318*/, v230, 0, 8
	v_bfe_i32 v63 /*v319*/, v230, 8, 8
	;; [unrolled: 1-line block ×3, first 2 shown]
	v_ashrrev_i32_e32 v65 /*v321*/, 24, v230
	v_bfe_i32 v60 /*v316*/, v91, 16, 8
	v_ashrrev_i32_e32 v61 /*v317*/, 24, v91
	s_set_vgpr_msb 0                        ;  msbs: dst=0 src0=0 src1=0 src2=0
	v_bfe_i32 v246, v89, 0, 8
	v_bfe_i32 v247, v89, 8, 8
	;; [unrolled: 1-line block ×3, first 2 shown]
	v_pk_mul_f16 v90, v108, v87
	s_set_vgpr_msb 5                        ;  msbs: dst=0 src0=1 src1=1 src2=0
	v_mul_i32_i24_e32 v89, v2 /*v258*/, v9 /*v265*/
	s_set_vgpr_msb 4                        ;  msbs: dst=0 src0=0 src1=1 src2=0
	v_mul_i32_i24_e32 v91, v251, v10 /*v266*/
	s_set_vgpr_msb 5                        ;  msbs: dst=0 src0=1 src1=1 src2=0
	v_mad_i32_i24 v88, v1 /*v257*/, v8 /*v264*/, v88
	s_set_vgpr_msb 1                        ;  msbs: dst=0 src0=1 src1=0 src2=0
	v_mul_i32_i24_e32 v230, v71 /*v327*/, v122
	s_set_vgpr_msb 0                        ;  msbs: dst=0 src0=0 src1=0 src2=0
	v_bfe_i32 v86, v232, 0, 8
	s_set_vgpr_msb 64                       ;  msbs: dst=1 src0=0 src1=0 src2=0
	v_bfe_i32 v117 /*v373*/, v232, 8, 8
	v_bfe_i32 v118 /*v374*/, v232, 16, 8
	v_dual_ashrrev_i32 v119 /*v375*/, 24, v232 :: v_dual_ashrrev_i32 v56 /*v312*/, 24, v231
	v_bfe_i32 v53 /*v309*/, v231, 0, 8
	v_bfe_i32 v54 /*v310*/, v231, 8, 8
	v_bfe_i32 v55 /*v311*/, v231, 16, 8
	v_add3_u32 v74 /*v330*/, v88, v89, v91
	s_set_vgpr_msb 0                        ;  msbs: dst=0 src0=0 src1=0 src2=0
	v_cvt_f32_f16_e32 v89, v90
	v_lshrrev_b32_e32 v90, 16, v90
	s_set_vgpr_msb 1                        ;  msbs: dst=0 src0=1 src1=0 src2=0
	v_mul_i32_i24_e32 v231, v72 /*v328*/, v121
	v_mul_i32_i24_e32 v232, v73 /*v329*/, v123
	v_mad_i32_i24 v230, v70 /*v326*/, v120, v230
	s_set_vgpr_msb 0                        ;  msbs: dst=0 src0=0 src1=0 src2=0
	v_cvt_f32_f16_e64 v88, v234
	v_cvt_f32_f16_e32 v91, v90
	v_lshrrev_b32_e32 v90, 16, v234
	s_set_vgpr_msb 1                        ;  msbs: dst=0 src0=1 src1=0 src2=0
	v_mul_i32_i24_e32 v234, v67 /*v323*/, v125
	v_mul_i32_i24_e32 v236, v69 /*v325*/, v127
	s_set_vgpr_msb 0                        ;  msbs: dst=0 src0=0 src1=0 src2=0
	v_add3_u32 v230, v230, v231, v232
	v_bfe_i32 v80, v233, 0, 8
	v_bfe_i32 v93, v233, 8, 8
	s_set_vgpr_msb 64                       ;  msbs: dst=1 src0=0 src1=0 src2=0
	v_bfe_i32 v41 /*v297*/, v233, 16, 8
	s_set_vgpr_msb 1                        ;  msbs: dst=0 src0=1 src1=0 src2=0
	v_mul_i32_i24_e32 v233, v66 /*v322*/, v124
	v_mul_i32_i24_e32 v235, v68 /*v324*/, v126
	s_set_vgpr_msb 0                        ;  msbs: dst=0 src0=0 src1=0 src2=0
	v_add3_u32 v230, v230, v236, v234
	s_set_vgpr_msb 1                        ;  msbs: dst=0 src0=1 src1=0 src2=0
	v_mul_i32_i24_e32 v237, v62 /*v318*/, v128
	s_set_vgpr_msb 0x41                     ;  msbs: dst=1 src0=1 src1=0 src2=0
	v_mul_i32_i24_e32 v7 /*v263*/, v65 /*v321*/, v130
	s_set_vgpr_msb 1                        ;  msbs: dst=0 src0=1 src1=0 src2=0
	v_mul_i32_i24_e32 v243, v63 /*v319*/, v129
	s_set_vgpr_msb 0x41                     ;  msbs: dst=1 src0=1 src1=0 src2=0
	v_mul_i32_i24_e32 v6 /*v262*/, v64 /*v320*/, v131
	s_set_vgpr_msb 0                        ;  msbs: dst=0 src0=0 src1=0 src2=0
	v_add3_u32 v230, v230, v233, v235
	s_set_vgpr_msb 0x41                     ;  msbs: dst=1 src0=1 src1=0 src2=0
	v_mul_i32_i24_e32 v121 /*v377*/, v59 /*v315*/, v132
	v_mul_i32_i24_e32 v123 /*v379*/, v61 /*v317*/, v134
	;; [unrolled: 1-line block ×4, first 2 shown]
	s_set_vgpr_msb 4                        ;  msbs: dst=0 src0=0 src1=1 src2=0
	v_add3_u32 v230, v230, v7 /*v263*/, v237
	s_set_vgpr_msb 0x41                     ;  msbs: dst=1 src0=1 src1=0 src2=0
	v_mul_i32_i24_e32 v124 /*v380*/, v53 /*v309*/, v136
	v_mul_i32_i24_e32 v127 /*v383*/, v56 /*v312*/, v138
	;; [unrolled: 1-line block ×4, first 2 shown]
	s_set_vgpr_msb 16                       ;  msbs: dst=0 src0=0 src1=0 src2=1
	v_add3_u32 v230, v230, v243, v6 /*v262*/
	s_set_vgpr_msb 64                       ;  msbs: dst=1 src0=0 src1=0 src2=0
	v_mul_i32_i24_e32 v129 /*v385*/, v93, v140
	s_set_vgpr_msb 0x41                     ;  msbs: dst=1 src0=1 src1=0 src2=0
	v_mul_i32_i24_e32 v131 /*v387*/, v42 /*v298*/, v143
	s_set_vgpr_msb 64                       ;  msbs: dst=1 src0=0 src1=0 src2=0
	v_mul_i32_i24_e32 v128 /*v384*/, v80, v141
	s_set_vgpr_msb 0x41                     ;  msbs: dst=1 src0=1 src1=0 src2=0
	v_mul_i32_i24_e32 v130 /*v386*/, v41 /*v297*/, v142
	s_set_vgpr_msb 20                       ;  msbs: dst=0 src0=0 src1=1 src2=1
	v_add3_u32 v230, v230, v123 /*v379*/, v121 /*v377*/
	s_set_vgpr_msb 1                        ;  msbs: dst=0 src0=1 src1=0 src2=0
	v_mul_i32_i24_e32 v231, v72 /*v328*/, v146
	v_mul_i32_i24_e32 v232, v73 /*v329*/, v148
	;; [unrolled: 1-line block ×4, first 2 shown]
	s_set_vgpr_msb 20                       ;  msbs: dst=0 src0=0 src1=1 src2=1
	v_add3_u32 v230, v230, v120 /*v376*/, v122 /*v378*/
	s_set_vgpr_msb 1                        ;  msbs: dst=0 src0=1 src1=0 src2=0
	v_mul_i32_i24_e32 v233, v66 /*v322*/, v149
	v_mul_i32_i24_e32 v235, v68 /*v324*/, v151
	;; [unrolled: 1-line block ×3, first 2 shown]
	s_set_vgpr_msb 0x41                     ;  msbs: dst=1 src0=1 src1=0 src2=0
	v_mul_i32_i24_e32 v121 /*v377*/, v65 /*v321*/, v155
	s_set_vgpr_msb 20                       ;  msbs: dst=0 src0=0 src1=1 src2=1
	v_add3_u32 v230, v230, v127 /*v383*/, v124 /*v380*/
	v_bfe_u32 v195, v240, 24, 4
	s_set_vgpr_msb 1                        ;  msbs: dst=0 src0=1 src1=0 src2=0
	v_mul_i32_i24_e32 v243, v63 /*v319*/, v154
	s_set_vgpr_msb 0x41                     ;  msbs: dst=1 src0=1 src1=0 src2=0
	v_mul_i32_i24_e32 v120 /*v376*/, v64 /*v320*/, v189
	s_set_vgpr_msb 0                        ;  msbs: dst=0 src0=0 src1=0 src2=0
	v_dual_lshrrev_b32 v199, 28, v240 :: v_dual_bitop2_b32 v194, 15, v240 bitop3:0x40
	s_set_vgpr_msb 20                       ;  msbs: dst=0 src0=0 src1=1 src2=1
	v_add3_u32 v230, v230, v125 /*v381*/, v126 /*v382*/
	v_bfe_u32 v196, v240, 16, 4
	s_set_vgpr_msb 0x41                     ;  msbs: dst=1 src0=1 src1=0 src2=0
	v_mul_i32_i24_e32 v123 /*v379*/, v59 /*v315*/, v193
	v_mul_i32_i24_e32 v125 /*v381*/, v61 /*v317*/, v195
	s_set_vgpr_msb 20                       ;  msbs: dst=0 src0=0 src1=1 src2=1
	v_bfe_u32 v197, v240, 4, 4
	v_add3_u32 v230, v230, v131 /*v387*/, v129 /*v385*/
	s_set_vgpr_msb 0x41                     ;  msbs: dst=1 src0=1 src1=0 src2=0
	v_mul_i32_i24_e32 v122 /*v378*/, v58 /*v314*/, v194
	v_mul_i32_i24_e32 v124 /*v380*/, v60 /*v316*/, v196
	s_set_vgpr_msb 0                        ;  msbs: dst=0 src0=0 src1=0 src2=0
	v_bfe_u32 v198, v240, 12, 4
	v_bfe_u32 v200, v240, 20, 4
	s_set_vgpr_msb 0x54                     ;  msbs: dst=1 src0=0 src1=1 src2=1
	v_add3_u32 v7 /*v263*/, v230, v128 /*v384*/, v130 /*v386*/
	s_set_vgpr_msb 1                        ;  msbs: dst=0 src0=1 src1=0 src2=0
	v_mul_i32_i24_e32 v230, v71 /*v327*/, v147
	s_set_vgpr_msb 0x41                     ;  msbs: dst=1 src0=1 src1=0 src2=0
	v_mul_i32_i24_e32 v126 /*v382*/, v53 /*v309*/, v197
	v_mul_i32_i24_e32 v129 /*v385*/, v56 /*v312*/, v199
	s_set_vgpr_msb 0                        ;  msbs: dst=0 src0=0 src1=0 src2=0
	v_bfe_u32 v201, v241, 8, 4
	v_bfe_u32 v204, v241, 24, 4
	s_set_vgpr_msb 1                        ;  msbs: dst=0 src0=1 src1=0 src2=0
	v_mad_i32_i24 v230, v70 /*v326*/, v145, v230
	s_set_vgpr_msb 0x41                     ;  msbs: dst=1 src0=1 src1=0 src2=0
	v_mul_i32_i24_e32 v127 /*v383*/, v54 /*v310*/, v198
	v_mul_i32_i24_e32 v128 /*v384*/, v55 /*v311*/, v200
	s_set_vgpr_msb 0                        ;  msbs: dst=0 src0=0 src1=0 src2=0
	v_dual_lshrrev_b32 v209, 28, v242 :: v_dual_bitop2_b32 v202, 15, v241 bitop3:0x40
	v_add3_u32 v230, v230, v231, v232
	v_bfe_u32 v203, v241, 16, 4
	s_set_vgpr_msb 64                       ;  msbs: dst=1 src0=0 src1=0 src2=0
	v_mul_i32_i24_e32 v131 /*v387*/, v93, v201
	s_set_vgpr_msb 0x41                     ;  msbs: dst=1 src0=1 src1=0 src2=0
	v_mul_i32_i24_e32 v133 /*v389*/, v42 /*v298*/, v204
	s_set_vgpr_msb 0                        ;  msbs: dst=0 src0=0 src1=0 src2=0
	v_and_b32_e32 v232, 15, v92
	v_add3_u32 v230, v230, v236, v234
	s_set_vgpr_msb 64                       ;  msbs: dst=1 src0=0 src1=0 src2=0
	v_mul_i32_i24_e32 v130 /*v386*/, v80, v202
	s_set_vgpr_msb 0x41                     ;  msbs: dst=1 src0=1 src1=0 src2=0
	v_mul_i32_i24_e32 v132 /*v388*/, v41 /*v297*/, v203
	s_set_vgpr_msb 0                        ;  msbs: dst=0 src0=0 src1=0 src2=0
	v_bfe_u32 v231, v92, 24, 4
	v_bfe_u32 v234, v92, 16, 4
	v_add3_u32 v230, v230, v233, v235
	v_bfe_u32 v233, v92, 8, 4
	v_bfe_u32 v235, v241, 4, 4
	;; [unrolled: 1-line block ×3, first 2 shown]
	s_set_vgpr_msb 4                        ;  msbs: dst=0 src0=0 src1=1 src2=0
	v_mul_i32_i24_e32 v92, v234, v9 /*v265*/
	v_add3_u32 v230, v230, v121 /*v377*/, v237
	s_set_vgpr_msb 64                       ;  msbs: dst=1 src0=0 src1=0 src2=0
	v_mul_i32_i24_e32 v121 /*v377*/, v232, v238
	s_set_vgpr_msb 0                        ;  msbs: dst=0 src0=0 src1=0 src2=0
	v_lshrrev_b32_e32 v237, 28, v241
	s_set_vgpr_msb 4                        ;  msbs: dst=0 src0=0 src1=1 src2=0
	v_mul_i32_i24_e32 v239, v145, v15 /*v271*/
	v_mul_i32_i24_e32 v244, v147, v16 /*v272*/
	s_set_vgpr_msb 16                       ;  msbs: dst=0 src0=0 src1=0 src2=1
	v_add3_u32 v230, v230, v243, v120 /*v376*/
	s_set_vgpr_msb 0x54                     ;  msbs: dst=1 src0=0 src1=1 src2=1
	v_mad_i32_i24 v121 /*v377*/, v233, v8 /*v264*/, v121 /*v377*/
	s_set_vgpr_msb 4                        ;  msbs: dst=0 src0=0 src1=1 src2=0
	v_mul_i32_i24_e32 v245, v146, v17 /*v273*/
	s_set_vgpr_msb 0x44                     ;  msbs: dst=1 src0=0 src1=1 src2=0
	v_mul_i32_i24_e32 v11 /*v267*/, v148, v38 /*v294*/
	s_set_vgpr_msb 0x41                     ;  msbs: dst=1 src0=1 src1=0 src2=0
	v_mul_i32_i24_e32 v13 /*v269*/, v18 /*v274*/, v149
	s_set_vgpr_msb 20                       ;  msbs: dst=0 src0=0 src1=1 src2=1
	v_add3_u32 v230, v230, v125 /*v381*/, v123 /*v379*/
	s_set_vgpr_msb 0x41                     ;  msbs: dst=1 src0=1 src1=0 src2=0
	v_mul_i32_i24_e32 v14 /*v270*/, v19 /*v275*/, v150
	v_mul_i32_i24_e32 v76 /*v332*/, v20 /*v276*/, v151
	v_mul_i32_i24_e32 v77 /*v333*/, v37 /*v293*/, v152
	v_mul_i32_i24_e32 v78 /*v334*/, v21 /*v277*/, v153
	s_set_vgpr_msb 20                       ;  msbs: dst=0 src0=0 src1=1 src2=1
	v_add3_u32 v230, v230, v122 /*v378*/, v124 /*v380*/
	s_set_vgpr_msb 0x41                     ;  msbs: dst=1 src0=1 src1=0 src2=0
	v_mul_i32_i24_e32 v79 /*v335*/, v22 /*v278*/, v154
	v_mul_i32_i24_e32 v80 /*v336*/, v35 /*v291*/, v155
	v_mul_i32_i24_e32 v81 /*v337*/, v23 /*v279*/, v189
	;; [unrolled: 7-line block ×3, first 2 shown]
	v_mul_i32_i24_e32 v86 /*v342*/, v28 /*v284*/, v198
	s_set_vgpr_msb 20                       ;  msbs: dst=0 src0=0 src1=1 src2=1
	v_add3_u32 v230, v230, v127 /*v383*/, v128 /*v384*/
	s_set_vgpr_msb 0x41                     ;  msbs: dst=1 src0=1 src1=0 src2=0
	v_mul_i32_i24_e32 v87 /*v343*/, v27 /*v283*/, v197
	s_set_vgpr_msb 1                        ;  msbs: dst=0 src0=1 src1=0 src2=0
	v_mul_i32_i24_e32 v240, v31 /*v287*/, v199
	s_set_vgpr_msb 0x41                     ;  msbs: dst=1 src0=1 src1=0 src2=0
	v_mul_i32_i24_e32 v88 /*v344*/, v29 /*v285*/, v200
	s_set_vgpr_msb 64                       ;  msbs: dst=1 src0=0 src1=0 src2=0
	v_mul_i32_i24_e32 v89 /*v345*/, v94, v202
	s_set_vgpr_msb 20                       ;  msbs: dst=0 src0=0 src1=1 src2=1
	v_add3_u32 v230, v230, v133 /*v389*/, v131 /*v387*/
	s_set_vgpr_msb 64                       ;  msbs: dst=1 src0=0 src1=0 src2=0
	v_mul_i32_i24_e32 v90 /*v346*/, v95, v201
	s_set_vgpr_msb 0x41                     ;  msbs: dst=1 src0=1 src1=0 src2=0
	v_mul_i32_i24_e32 v91 /*v347*/, v24 /*v280*/, v203
	s_set_vgpr_msb 64                       ;  msbs: dst=1 src0=0 src1=0 src2=0
	v_pk_mul_f16 v120 /*v376*/, v144, v87
	s_set_vgpr_msb 20                       ;  msbs: dst=0 src0=0 src1=1 src2=1
	v_and_b32_e32 v227, 15, v75 /*v331*/
	v_add3_u32 v243, v230, v130 /*v386*/, v132 /*v388*/
	v_bfe_u32 v230, v241, 20, 4
	v_mul_i32_i24_e32 v241, v231, v10 /*v266*/
	v_bfe_u32 v208, v242, 12, 4
	v_bfe_u32 v207, v242, 20, 4
	v_bfe_u32 v206, v242, 4, 4
	s_set_vgpr_msb 64                       ;  msbs: dst=1 src0=0 src1=0 src2=0
	v_pk_mul_f16 v6 /*v262*/, v115, v87
	s_set_vgpr_msb 1                        ;  msbs: dst=0 src0=1 src1=0 src2=0
	v_add3_u32 v92, v121 /*v377*/, v92, v241
	s_set_vgpr_msb 0                        ;  msbs: dst=0 src0=0 src1=0 src2=0
	v_mul_i32_i24_e32 v241, v105, v236
	s_set_vgpr_msb 0x44                     ;  msbs: dst=1 src0=0 src1=1 src2=0
	v_mul_i32_i24_e32 v94 /*v350*/, v208, v16 /*v272*/
	v_mul_i32_i24_e32 v93 /*v349*/, v206, v15 /*v271*/
	v_mul_i32_i24_e32 v95 /*v351*/, v207, v17 /*v273*/
	s_set_vgpr_msb 0                        ;  msbs: dst=0 src0=0 src1=0 src2=0
	v_add3_u32 v92, v92, v244, v239
	v_mul_i32_i24_e32 v239, v107, v235
	s_set_vgpr_msb 1                        ;  msbs: dst=0 src0=1 src1=0 src2=0
	v_mul_i32_i24_e32 v244, v117 /*v373*/, v233
	s_set_vgpr_msb 0x44                     ;  msbs: dst=1 src0=0 src1=1 src2=0
	v_mul_i32_i24_e32 v96 /*v352*/, v209, v38 /*v294*/
	s_set_vgpr_msb 0x41                     ;  msbs: dst=1 src0=1 src1=0 src2=0
	v_mul_i32_i24_e32 v97 /*v353*/, v18 /*v274*/, v210
	s_set_vgpr_msb 16                       ;  msbs: dst=0 src0=0 src1=0 src2=1
	v_add3_u32 v92, v92, v245, v11 /*v267*/
	s_set_vgpr_msb 1                        ;  msbs: dst=0 src0=1 src1=0 src2=0
	v_mul_i32_i24_e32 v245, v118 /*v374*/, v234
	s_set_vgpr_msb 64                       ;  msbs: dst=1 src0=0 src1=0 src2=0
	v_mul_i32_i24_e32 v11 /*v267*/, v106, v230
	s_set_vgpr_msb 0x41                     ;  msbs: dst=1 src0=1 src1=0 src2=0
	v_mul_i32_i24_e32 v98 /*v354*/, v19 /*v275*/, v211
	v_mul_i32_i24_e32 v99 /*v355*/, v20 /*v276*/, v212
	s_set_vgpr_msb 20                       ;  msbs: dst=0 src0=0 src1=1 src2=1
	v_add3_u32 v92, v92, v14 /*v270*/, v13 /*v269*/
	s_set_vgpr_msb 0x41                     ;  msbs: dst=1 src0=1 src1=0 src2=0
	v_mul_i32_i24_e32 v13 /*v269*/, v119 /*v375*/, v231
	s_set_vgpr_msb 64                       ;  msbs: dst=1 src0=0 src1=0 src2=0
	v_mul_i32_i24_e32 v14 /*v270*/, v104, v237
	s_set_vgpr_msb 0x41                     ;  msbs: dst=1 src0=1 src1=0 src2=0
	v_mul_i32_i24_e32 v100 /*v356*/, v37 /*v293*/, v213
	v_mul_i32_i24_e32 v101 /*v357*/, v21 /*v277*/, v214
	s_set_vgpr_msb 20                       ;  msbs: dst=0 src0=0 src1=1 src2=1
	v_add3_u32 v92, v92, v76 /*v332*/, v77 /*v333*/
	s_set_vgpr_msb 64                       ;  msbs: dst=1 src0=0 src1=0 src2=0
	v_mul_i32_i24_e32 v76 /*v332*/, v246, v235
	v_mul_i32_i24_e32 v77 /*v333*/, v247, v236
	s_set_vgpr_msb 0x41                     ;  msbs: dst=1 src0=1 src1=0 src2=0
	v_mul_i32_i24_e32 v102 /*v358*/, v22 /*v278*/, v215
	v_mul_i32_i24_e32 v103 /*v359*/, v35 /*v291*/, v216
	s_set_vgpr_msb 20                       ;  msbs: dst=0 src0=0 src1=1 src2=1
	v_add3_u32 v92, v92, v78 /*v334*/, v79 /*v335*/
	s_set_vgpr_msb 64                       ;  msbs: dst=1 src0=0 src1=0 src2=0
	v_mul_i32_i24_e32 v78 /*v334*/, v103, v204
	;; [unrolled: 8-line block ×3, first 2 shown]
	s_set_vgpr_msb 0x41                     ;  msbs: dst=1 src0=1 src1=0 src2=0
	v_mul_i32_i24_e32 v106 /*v362*/, v26 /*v282*/, v218
	v_mul_i32_i24_e32 v81 /*v337*/, v53 /*v309*/, v222
	;; [unrolled: 1-line block ×3, first 2 shown]
	s_set_vgpr_msb 20                       ;  msbs: dst=0 src0=0 src1=1 src2=1
	v_add3_u32 v92, v92, v83 /*v339*/, v82 /*v338*/
	v_add3_u32 v243, v243, v80 /*v336*/, v76 /*v332*/
	s_set_vgpr_msb 0x41                     ;  msbs: dst=1 src0=1 src1=0 src2=0
	v_mul_i32_i24_e32 v80 /*v336*/, v61 /*v317*/, v220
	v_mul_i32_i24_e32 v108 /*v364*/, v30 /*v286*/, v221
	s_set_vgpr_msb 1                        ;  msbs: dst=0 src0=1 src1=0 src2=0
	v_bfe_u32 v226, v75 /*v331*/, 8, 4
	s_set_vgpr_msb 20                       ;  msbs: dst=0 src0=0 src1=1 src2=1
	v_add3_u32 v92, v92, v85 /*v341*/, v84 /*v340*/
	v_add3_u32 v243, v243, v77 /*v333*/, v79 /*v335*/
	s_set_vgpr_msb 0x41                     ;  msbs: dst=1 src0=1 src1=0 src2=0
	v_mul_i32_i24_e32 v79 /*v335*/, v60 /*v316*/, v221
	v_mul_i32_i24_e32 v84 /*v340*/, v56 /*v312*/, v224
	s_set_vgpr_msb 1                        ;  msbs: dst=0 src0=1 src1=0 src2=0
	v_bfe_u32 v229, v75 /*v331*/, 24, 4
	s_set_vgpr_msb 20                       ;  msbs: dst=0 src0=0 src1=1 src2=1
	v_add3_u32 v92, v92, v87 /*v343*/, v86 /*v342*/
	s_set_vgpr_msb 0x41                     ;  msbs: dst=1 src0=1 src1=0 src2=0
	v_mul_i32_i24_e32 v82 /*v338*/, v54 /*v310*/, v223
	v_mul_i32_i24_e32 v83 /*v339*/, v55 /*v311*/, v225
	;; [unrolled: 1-line block ×4, first 2 shown]
	s_set_vgpr_msb 4                        ;  msbs: dst=0 src0=0 src1=1 src2=0
	v_add3_u32 v92, v92, v88 /*v344*/, v240
	s_set_vgpr_msb 0                        ;  msbs: dst=0 src0=0 src1=0 src2=0
	v_mul_i32_i24_e32 v240, v86, v232
	s_set_vgpr_msb 1                        ;  msbs: dst=0 src0=1 src1=0 src2=0
	v_bfe_u32 v228, v75 /*v331*/, 16, 4
	s_set_vgpr_msb 64                       ;  msbs: dst=1 src0=0 src1=0 src2=0
	v_mul_i32_i24_e32 v86 /*v342*/, v93, v226
	s_set_vgpr_msb 0x41                     ;  msbs: dst=1 src0=1 src1=0 src2=0
	v_mul_i32_i24_e32 v88 /*v344*/, v42 /*v298*/, v229
	s_set_vgpr_msb 20                       ;  msbs: dst=0 src0=0 src1=1 src2=1
	v_add3_u32 v92, v92, v90 /*v346*/, v89 /*v345*/
	s_set_vgpr_msb 0                        ;  msbs: dst=0 src0=0 src1=0 src2=0
	v_add3_u32 v240, v243, v240, v244
	s_set_vgpr_msb 4                        ;  msbs: dst=0 src0=0 src1=1 src2=0
	v_lshrrev_b32_e32 v243, 16, v120 /*v376*/
	s_set_vgpr_msb 0x41                     ;  msbs: dst=1 src0=1 src1=0 src2=0
	v_mul_i32_i24_e32 v111 /*v367*/, v31 /*v287*/, v224
	v_mul_i32_i24_e32 v112 /*v368*/, v29 /*v285*/, v225
	s_set_vgpr_msb 20                       ;  msbs: dst=0 src0=0 src1=1 src2=1
	v_add3_u32 v92, v92, v91 /*v347*/, v78 /*v334*/
	s_set_vgpr_msb 0x41                     ;  msbs: dst=1 src0=1 src1=0 src2=0
	v_mul_i32_i24_e32 v78 /*v334*/, v59 /*v315*/, v218
	s_set_vgpr_msb 64                       ;  msbs: dst=1 src0=0 src1=0 src2=0
	v_mul_i32_i24_e32 v85 /*v341*/, v80, v227
	s_set_vgpr_msb 0x41                     ;  msbs: dst=1 src0=1 src1=0 src2=0
	v_mul_i32_i24_e32 v87 /*v343*/, v41 /*v297*/, v228
	s_set_vgpr_msb 64                       ;  msbs: dst=1 src0=0 src1=0 src2=0
	v_mul_i32_i24_e32 v113 /*v369*/, v94, v227
	s_set_vgpr_msb 0                        ;  msbs: dst=0 src0=0 src1=0 src2=0
	v_add3_u32 v92, v92, v239, v241
	s_set_vgpr_msb 16                       ;  msbs: dst=0 src0=0 src1=0 src2=1
	v_add3_u32 v239, v240, v245, v13 /*v269*/
	v_cvt_f32_f16_e64 v245, v243
	s_set_vgpr_msb 4                        ;  msbs: dst=0 src0=0 src1=1 src2=0
	v_lshrrev_b32_e32 v243, 16, v92 /*v348*/
	s_set_vgpr_msb 1                        ;  msbs: dst=0 src0=1 src1=0 src2=0
	v_cvt_f32_f16_e64 v241, v120 /*v376*/
	s_set_vgpr_msb 20                       ;  msbs: dst=0 src0=0 src1=1 src2=1
	v_add3_u32 v92, v92, v11 /*v267*/, v14 /*v270*/
	s_set_vgpr_msb 1                        ;  msbs: dst=0 src0=1 src1=0 src2=0
	v_cvt_f32_f16_e64 v240, v92 /*v348*/
	s_set_vgpr_msb 64                       ;  msbs: dst=1 src0=0 src1=0 src2=0
	v_cvt_f32_i32_e32 v77 /*v333*/, v239
	s_set_vgpr_msb 0                        ;  msbs: dst=0 src0=0 src1=0 src2=0
	v_cvt_f32_f16_e64 v244, v243
	s_set_vgpr_msb 1                        ;  msbs: dst=0 src0=1 src1=0 src2=0
	v_mul_i32_i24_e32 v239, v72 /*v328*/, v207
	s_set_vgpr_msb 64                       ;  msbs: dst=1 src0=0 src1=0 src2=0
	v_cvt_f32_i32_e32 v76 /*v332*/, v92
	s_set_vgpr_msb 1                        ;  msbs: dst=0 src0=1 src1=0 src2=0
	v_mul_i32_i24_e32 v92, v71 /*v327*/, v208
	v_mul_i32_i24_e32 v243, v67 /*v323*/, v211
	s_set_vgpr_msb 0x41                     ;  msbs: dst=1 src0=1 src1=0 src2=0
	v_mul_i32_i24_e32 v11 /*v267*/, v62 /*v318*/, v214
	v_mul_i32_i24_e32 v13 /*v269*/, v63 /*v319*/, v215
	s_set_vgpr_msb 4                        ;  msbs: dst=0 src0=0 src1=1 src2=0
	v_pk_fma_f32 v[240:241], v[240:241], v[76:77] /*v[332:333]*/, v[244:245]
	s_set_vgpr_msb 1                        ;  msbs: dst=0 src0=1 src1=0 src2=0
	v_mad_i32_i24 v92, v70 /*v326*/, v206, v92
	v_mul_i32_i24_e32 v245, v69 /*v325*/, v213
	v_mul_i32_i24_e32 v244, v68 /*v324*/, v212
	s_set_vgpr_msb 0x41                     ;  msbs: dst=1 src0=1 src1=0 src2=0
	v_mul_i32_i24_e32 v76 /*v332*/, v65 /*v321*/, v216
	s_set_vgpr_msb 0                        ;  msbs: dst=0 src0=0 src1=0 src2=0
	v_pk_add_f32 v[32:33], v[32:33], v[240:241]
	s_set_vgpr_msb 1                        ;  msbs: dst=0 src0=1 src1=0 src2=0
	v_mul_i32_i24_e32 v240, v73 /*v329*/, v209
	v_mul_i32_i24_e32 v241, v66 /*v322*/, v210
	s_set_vgpr_msb 0x41                     ;  msbs: dst=1 src0=1 src1=0 src2=0
	v_mul_i32_i24_e32 v14 /*v270*/, v64 /*v320*/, v217
	v_mul_i32_i24_e32 v77 /*v333*/, v58 /*v314*/, v219
	s_set_vgpr_msb 64                       ;  msbs: dst=1 src0=0 src1=0 src2=0
	v_mul_i32_i24_e32 v114 /*v370*/, v95, v226
	s_set_vgpr_msb 0                        ;  msbs: dst=0 src0=0 src1=0 src2=0
	v_add3_u32 v92, v92, v239, v240
	v_and_b32_e32 v240, 15, v242
	v_bfe_u32 v239, v242, 24, 4
	s_set_vgpr_msb 0x41                     ;  msbs: dst=1 src0=1 src1=0 src2=0
	v_mul_i32_i24_e32 v115 /*v371*/, v24 /*v280*/, v228
	s_set_vgpr_msb 64                       ;  msbs: dst=1 src0=0 src1=0 src2=0
	v_mul_i32_i24_e32 v43 /*v299*/, v86, v253
	s_set_vgpr_msb 0                        ;  msbs: dst=0 src0=0 src1=0 src2=0
	v_add3_u32 v92, v92, v245, v243
	s_set_vgpr_msb 1                        ;  msbs: dst=0 src0=1 src1=0 src2=0
	v_bfe_u32 v243, v75 /*v331*/, 4, 4
	s_set_vgpr_msb 0x44                     ;  msbs: dst=1 src0=0 src1=1 src2=0
	v_mul_i32_i24_e32 v10 /*v266*/, v239, v10 /*v266*/
	s_set_vgpr_msb 4                        ;  msbs: dst=0 src0=0 src1=1 src2=0
	v_lshrrev_b32_e32 v245, 28, v75 /*v331*/
	s_set_vgpr_msb 0                        ;  msbs: dst=0 src0=0 src1=0 src2=0
	v_mul_i32_i24_e32 v252, v86, v118
	v_add3_u32 v92, v92, v241, v244
	v_bfe_u32 v241, v242, 8, 4
	v_bfe_u32 v242, v242, 16, 4
	s_set_vgpr_msb 1                        ;  msbs: dst=0 src0=1 src1=0 src2=0
	v_bfe_u32 v244, v75 /*v331*/, 12, 4
	s_set_vgpr_msb 0                        ;  msbs: dst=0 src0=0 src1=0 src2=0
	v_mul_i32_i24_e32 v86, v86, v240
	s_set_vgpr_msb 20                       ;  msbs: dst=0 src0=0 src1=1 src2=1
	v_add3_u32 v92, v92, v76 /*v332*/, v11 /*v267*/
	s_set_vgpr_msb 64                       ;  msbs: dst=1 src0=0 src1=0 src2=0
	v_pk_mul_f16 v11 /*v267*/, v205, v87
	s_set_vgpr_msb 0                        ;  msbs: dst=0 src0=0 src1=0 src2=0
	v_mul_i32_i24_e32 v87, v240, v238
	s_set_vgpr_msb 0x44                     ;  msbs: dst=1 src0=0 src1=1 src2=0
	v_mul_i32_i24_e32 v9 /*v265*/, v242, v9 /*v265*/
	s_set_vgpr_msb 1                        ;  msbs: dst=0 src0=1 src1=0 src2=0
	v_bfe_u32 v238, v75 /*v331*/, 20, 4
	s_set_vgpr_msb 20                       ;  msbs: dst=0 src0=0 src1=1 src2=1
	v_add3_u32 v92, v92, v13 /*v269*/, v14 /*v270*/
	s_set_vgpr_msb 0x41                     ;  msbs: dst=1 src0=1 src1=0 src2=0
	v_mul_i32_i24_e32 v13 /*v269*/, v118 /*v374*/, v242
	s_set_vgpr_msb 4                        ;  msbs: dst=0 src0=0 src1=1 src2=0
	v_mad_i32_i24 v87, v241, v8 /*v264*/, v87
	s_set_vgpr_msb 64                       ;  msbs: dst=1 src0=0 src1=0 src2=0
	v_mul_i32_i24_e32 v8 /*v264*/, v107, v243
	v_mul_i32_i24_e32 v14 /*v270*/, v106, v238
	s_set_vgpr_msb 20                       ;  msbs: dst=0 src0=0 src1=1 src2=1
	v_add3_u32 v92, v92, v80 /*v336*/, v78 /*v334*/
	s_set_vgpr_msb 64                       ;  msbs: dst=1 src0=0 src1=0 src2=0
	v_mul_i32_i24_e32 v78 /*v334*/, v247, v244
	s_set_vgpr_msb 20                       ;  msbs: dst=0 src0=0 src1=1 src2=1
	v_add3_u32 v87, v87, v9 /*v265*/, v10 /*v266*/
	s_set_vgpr_msb 64                       ;  msbs: dst=1 src0=0 src1=0 src2=0
	v_mul_i32_i24_e32 v80 /*v336*/, v248, v238
	v_mul_i32_i24_e32 v9 /*v265*/, v105, v244
	s_set_vgpr_msb 20                       ;  msbs: dst=0 src0=0 src1=1 src2=1
	v_add3_u32 v92, v92, v77 /*v333*/, v79 /*v335*/
	s_set_vgpr_msb 64                       ;  msbs: dst=1 src0=0 src1=0 src2=0
	v_mul_i32_i24_e32 v77 /*v333*/, v246, v243
	s_set_vgpr_msb 20                       ;  msbs: dst=0 src0=0 src1=1 src2=1
	v_add3_u32 v87, v87, v94 /*v350*/, v93 /*v349*/
	s_set_vgpr_msb 64                       ;  msbs: dst=1 src0=0 src1=0 src2=0
	v_mul_i32_i24_e32 v79 /*v335*/, v103, v229
	s_set_vgpr_msb 0x41                     ;  msbs: dst=1 src0=1 src1=0 src2=0
	v_mul_i32_i24_e32 v10 /*v266*/, v117 /*v373*/, v241
	s_set_vgpr_msb 20                       ;  msbs: dst=0 src0=0 src1=1 src2=1
	v_add3_u32 v92, v92, v84 /*v340*/, v81 /*v337*/
	s_set_vgpr_msb 64                       ;  msbs: dst=1 src0=0 src1=0 src2=0
	v_mul_i32_i24_e32 v81 /*v337*/, v249, v245
	s_set_vgpr_msb 20                       ;  msbs: dst=0 src0=0 src1=1 src2=1
	v_add3_u32 v87, v87, v95 /*v351*/, v96 /*v352*/
	s_set_vgpr_msb 0x41                     ;  msbs: dst=1 src0=1 src1=0 src2=0
	v_mul_i32_i24_e32 v75 /*v331*/, v119 /*v375*/, v239
	s_set_vgpr_msb 64                       ;  msbs: dst=1 src0=0 src1=0 src2=0
	v_mul_i32_i24_e32 v76 /*v332*/, v104, v245
	s_set_vgpr_msb 20                       ;  msbs: dst=0 src0=0 src1=1 src2=1
	v_add3_u32 v92, v92, v82 /*v338*/, v83 /*v339*/
	s_set_vgpr_msb 0x41                     ;  msbs: dst=1 src0=1 src1=0 src2=0
	v_mul_i32_i24_e32 v37 /*v293*/, v37 /*v293*/, v113
	s_set_vgpr_msb 20                       ;  msbs: dst=0 src0=0 src1=1 src2=1
	v_add3_u32 v87, v87, v98 /*v354*/, v97 /*v353*/
	s_set_vgpr_msb 0x41                     ;  msbs: dst=1 src0=1 src1=0 src2=0
	v_mul_i32_i24_e32 v33 /*v289*/, v33 /*v289*/, v114
	s_set_vgpr_msb 0x44                     ;  msbs: dst=1 src0=0 src1=1 src2=0
	v_mul_i32_i24_e32 v51 /*v307*/, v246, v3 /*v259*/
	s_set_vgpr_msb 20                       ;  msbs: dst=0 src0=0 src1=1 src2=1
	v_add3_u32 v92, v92, v88 /*v344*/, v86 /*v342*/
	s_set_vgpr_msb 0x44                     ;  msbs: dst=1 src0=0 src1=1 src2=0
	v_mul_i32_i24_e32 v52 /*v308*/, v247, v4 /*v260*/
	s_set_vgpr_msb 20                       ;  msbs: dst=0 src0=0 src1=1 src2=1
	v_add3_u32 v87, v87, v99 /*v355*/, v100 /*v356*/
	s_set_vgpr_msb 0x45                     ;  msbs: dst=1 src0=1 src1=1 src2=0
	v_mul_i32_i24_e32 v45 /*v301*/, v117 /*v373*/, v1 /*v257*/
	v_mul_i32_i24_e32 v48 /*v304*/, v118 /*v374*/, v2 /*v258*/
	s_set_vgpr_msb 20                       ;  msbs: dst=0 src0=0 src1=1 src2=1
	v_add3_u32 v92, v92, v85 /*v341*/, v87 /*v343*/
	s_set_vgpr_msb 0x41                     ;  msbs: dst=1 src0=1 src1=0 src2=0
	v_mul_i32_i24_e32 v50 /*v306*/, v119 /*v375*/, v251
	s_set_vgpr_msb 20                       ;  msbs: dst=0 src0=0 src1=1 src2=1
	v_add3_u32 v87, v87, v101 /*v357*/, v102 /*v358*/
	v_cvt_f32_f16_e32 v90, v90
	s_set_vgpr_msb 0x41                     ;  msbs: dst=1 src0=1 src1=0 src2=0
	v_mul_i32_i24_e32 v0 /*v256*/, v119 /*v375*/, v117
	s_set_vgpr_msb 20                       ;  msbs: dst=0 src0=0 src1=1 src2=1
	v_add3_u32 v92, v92, v81 /*v337*/, v77 /*v333*/
	s_set_vgpr_msb 1                        ;  msbs: dst=0 src0=1 src1=0 src2=0
	v_mul_i32_i24_e32 v254, v117 /*v373*/, v119
	s_set_vgpr_msb 20                       ;  msbs: dst=0 src0=0 src1=1 src2=1
	v_add3_u32 v87, v87, v104 /*v360*/, v103 /*v359*/
	s_set_vgpr_msb 1                        ;  msbs: dst=0 src0=1 src1=0 src2=0
	v_mul_i32_i24_e32 v255, v118 /*v374*/, v116
	s_set_vgpr_msb 20                       ;  msbs: dst=0 src0=0 src1=1 src2=1
	v_add3_u32 v92, v92, v78 /*v334*/, v80 /*v336*/
	v_add3_u32 v87, v87, v106 /*v362*/, v105 /*v361*/
	s_set_vgpr_msb 16                       ;  msbs: dst=0 src0=0 src1=0 src2=1
	s_delay_alu instid0(VALU_DEP_2) | instskip(SKIP_1) | instid1(VALU_DEP_2)
	v_add3_u32 v86, v92, v86, v10 /*v266*/
	s_set_vgpr_msb 20                       ;  msbs: dst=0 src0=0 src1=1 src2=1
	v_add3_u32 v87, v87, v108 /*v364*/, v107 /*v363*/
	s_set_vgpr_msb 0x54                     ;  msbs: dst=1 src0=0 src1=1 src2=1
	s_delay_alu instid0(VALU_DEP_2) | instskip(SKIP_4) | instid1(VALU_DEP_1)
	v_add3_u32 v10 /*v266*/, v86, v13 /*v269*/, v75 /*v331*/
	s_set_vgpr_msb 1                        ;  msbs: dst=0 src0=1 src1=0 src2=0
	v_cvt_f32_f16_e64 v86, v116 /*v372*/
	s_set_vgpr_msb 20                       ;  msbs: dst=0 src0=0 src1=1 src2=1
	v_add3_u32 v87, v87, v110 /*v366*/, v109 /*v365*/
	v_add3_u32 v87, v87, v112 /*v368*/, v111 /*v367*/
	s_delay_alu instid0(VALU_DEP_1) | instskip(NEXT) | instid1(VALU_DEP_1)
	v_add3_u32 v87, v87, v114 /*v370*/, v113 /*v369*/
	v_add3_u32 v87, v87, v115 /*v371*/, v79 /*v335*/
	s_delay_alu instid0(VALU_DEP_1) | instskip(SKIP_3) | instid1(VALU_DEP_2)
	v_add3_u32 v87, v87, v8 /*v264*/, v9 /*v265*/
	s_set_vgpr_msb 0x44                     ;  msbs: dst=1 src0=0 src1=1 src2=0
	v_lshrrev_b32_e32 v8 /*v264*/, 16, v11 /*v267*/
	s_set_vgpr_msb 20                       ;  msbs: dst=0 src0=0 src1=1 src2=1
	v_add3_u32 v92, v87, v14 /*v270*/, v76 /*v332*/
	s_set_vgpr_msb 0x41                     ;  msbs: dst=1 src0=1 src1=0 src2=0
	s_delay_alu instid0(VALU_DEP_2)
	v_cvt_f32_f16_e64 v9 /*v265*/, v8 /*v264*/
	s_set_vgpr_msb 0x44                     ;  msbs: dst=1 src0=0 src1=1 src2=0
	v_lshrrev_b32_e32 v8 /*v264*/, 16, v116 /*v372*/
	s_set_vgpr_msb 1                        ;  msbs: dst=0 src0=1 src1=0 src2=0
	v_cvt_f32_f16_e64 v87, v11 /*v267*/
	s_set_vgpr_msb 0x41                     ;  msbs: dst=1 src0=1 src1=0 src2=0
	v_cvt_f32_i32_e32 v11 /*v267*/, v10 /*v266*/
	s_set_vgpr_msb 64                       ;  msbs: dst=1 src0=0 src1=0 src2=0
	v_cvt_f32_i32_e32 v10 /*v266*/, v92
	v_bfe_u32 v14 /*v270*/, v84, 20, 4
	s_set_vgpr_msb 0x41                     ;  msbs: dst=1 src0=1 src1=0 src2=0
	v_cvt_f32_f16_e64 v8 /*v264*/, v8 /*v264*/
	s_set_vgpr_msb 20                       ;  msbs: dst=0 src0=0 src1=1 src2=1
	s_delay_alu instid0(VALU_DEP_1) | instskip(SKIP_1) | instid1(VALU_DEP_1)
	v_pk_fma_f32 v[86:87], v[86:87], v[10:11] /*v[266:267]*/, v[8:9] /*v[264:265]*/
	s_set_vgpr_msb 0                        ;  msbs: dst=0 src0=0 src1=0 src2=0
	v_pk_add_f32 v[30:31], v[30:31], v[86:87]
	v_add_nc_u32_e32 v87, 0x804, v97
	v_add_nc_u32_e32 v86, 0x800, v97
	s_set_vgpr_msb 64                       ;  msbs: dst=1 src0=0 src1=0 src2=0
	ds_load_2addr_b32 v[78:79] /*v[334:335]*/, v87 offset1:1
	s_set_vgpr_msb 0                        ;  msbs: dst=0 src0=0 src1=0 src2=0
	v_add_nc_u32_e32 v87, 0x814, v97
	s_set_vgpr_msb 64                       ;  msbs: dst=1 src0=0 src1=0 src2=0
	ds_load_2addr_b32 v[76:77] /*v[332:333]*/, v86 offset0:4 offset1:7
	ds_load_2addr_b32 v[80:81] /*v[336:337]*/, v87 offset1:1
	ds_load_2addr_b32 v[82:83] /*v[338:339]*/, v86 offset1:3
	s_set_vgpr_msb 0                        ;  msbs: dst=0 src0=0 src1=0 src2=0
	ds_load_2addr_b32 v[86:87], v96 offset0:64 offset1:96
	s_wait_dscnt 0x4
	s_set_vgpr_msb 0x41                     ;  msbs: dst=1 src0=1 src1=0 src2=0
	v_bfe_i32 v89 /*v345*/, v78 /*v334*/, 8, 8
	v_bfe_i32 v90 /*v346*/, v79 /*v335*/, 8, 8
	s_wait_dscnt 0x3
	v_bfe_i32 v8 /*v264*/, v77 /*v333*/, 0, 8
	v_bfe_i32 v9 /*v265*/, v77 /*v333*/, 8, 8
	;; [unrolled: 1-line block ×3, first 2 shown]
	s_wait_dscnt 0x1
	s_set_vgpr_msb 0x44                     ;  msbs: dst=1 src0=0 src1=1 src2=0
	v_lshrrev_b16 v13 /*v269*/, 8, v82 /*v338*/
	v_ashrrev_i32_e32 v11 /*v267*/, 24, v77 /*v333*/
	s_set_vgpr_msb 4                        ;  msbs: dst=0 src0=0 src1=1 src2=0
	v_lshrrev_b16 v92, 8, v76 /*v332*/
	s_set_vgpr_msb 0x44                     ;  msbs: dst=1 src0=0 src1=1 src2=0
	v_ashrrev_i32_e32 v75 /*v331*/, 24, v82 /*v338*/
	s_set_vgpr_msb 0x41                     ;  msbs: dst=1 src0=1 src1=0 src2=0
	v_bfe_i32 v84 /*v340*/, v82 /*v338*/, 16, 8
	v_bfe_i32 v77 /*v333*/, v13 /*v269*/, 0, 8
	s_set_vgpr_msb 0x44                     ;  msbs: dst=1 src0=0 src1=1 src2=0
	v_and_b32_e32 v13 /*v269*/, 0xffff, v12 /*v268*/
	v_bfe_u32 v12 /*v268*/, v84, 4, 4
	s_set_vgpr_msb 0                        ;  msbs: dst=0 src0=0 src1=0 src2=0
	v_bfe_i32 v92, v92, 0, 8
	s_set_vgpr_msb 0x41                     ;  msbs: dst=1 src0=1 src1=0 src2=0
	v_bfe_i32 v91 /*v347*/, v83 /*v339*/, 16, 8
	v_bfe_i32 v92 /*v348*/, v83 /*v339*/, 8, 8
	;; [unrolled: 1-line block ×3, first 2 shown]
	s_set_vgpr_msb 5                        ;  msbs: dst=0 src0=1 src1=1 src2=0
	v_mul_i32_i24_e32 v84, v12 /*v268*/, v15 /*v271*/
	s_set_vgpr_msb 0x45                     ;  msbs: dst=1 src0=1 src1=1 src2=0
	v_mul_i32_i24_e32 v15 /*v271*/, v13 /*v269*/, v16 /*v272*/
	v_mul_i32_i24_e32 v16 /*v272*/, v14 /*v270*/, v17 /*v273*/
	s_set_vgpr_msb 0x44                     ;  msbs: dst=1 src0=0 src1=1 src2=0
	v_mul_i32_i24_e32 v17 /*v273*/, v111, v38 /*v294*/
	s_set_vgpr_msb 0x45                     ;  msbs: dst=1 src0=1 src1=1 src2=0
	v_mul_i32_i24_e32 v38 /*v294*/, v13 /*v269*/, v71 /*v327*/
	v_mul_i32_i24_e32 v71 /*v327*/, v14 /*v270*/, v72 /*v328*/
	s_set_vgpr_msb 5                        ;  msbs: dst=0 src0=1 src1=1 src2=0
	v_add3_u32 v84, v74 /*v330*/, v15 /*v271*/, v84
	s_set_vgpr_msb 0x44                     ;  msbs: dst=1 src0=0 src1=1 src2=0
	v_and_b32_e32 v15 /*v271*/, 0xffff, v40 /*v296*/
	v_mul_i32_i24_e32 v72 /*v328*/, v111, v73 /*v329*/
	s_set_vgpr_msb 0x55                     ;  msbs: dst=1 src0=1 src1=1 src2=1
	v_mad_i32_i24 v38 /*v294*/, v12 /*v268*/, v70 /*v326*/, v38 /*v294*/
	v_ashrrev_i32_e32 v70 /*v326*/, 24, v76 /*v332*/
	s_set_vgpr_msb 20                       ;  msbs: dst=0 src0=0 src1=1 src2=1
	v_add3_u32 v84, v84, v16 /*v272*/, v17 /*v273*/
	s_set_vgpr_msb 64                       ;  msbs: dst=1 src0=0 src1=0 src2=0
	v_and_b32_e32 v17 /*v273*/, 15, v85
	v_bfe_u32 v16 /*v272*/, v85, 16, 4
	s_set_vgpr_msb 0x55                     ;  msbs: dst=1 src0=1 src1=1 src2=1
	v_mul_i32_i24_e32 v19 /*v275*/, v19 /*v275*/, v15 /*v271*/
	v_add3_u32 v38 /*v294*/, v38 /*v294*/, v71 /*v327*/, v72 /*v328*/
	s_set_vgpr_msb 0x44                     ;  msbs: dst=1 src0=0 src1=1 src2=0
	v_mul_i32_i24_e32 v57 /*v313*/, v249, v5 /*v261*/
	s_set_vgpr_msb 0x45                     ;  msbs: dst=1 src0=1 src1=1 src2=0
	v_mul_i32_i24_e32 v18 /*v274*/, v18 /*v274*/, v17 /*v273*/
	v_mul_i32_i24_e32 v20 /*v276*/, v20 /*v276*/, v16 /*v272*/
	;; [unrolled: 1-line block ×5, first 2 shown]
	s_set_vgpr_msb 20                       ;  msbs: dst=0 src0=0 src1=1 src2=1
	v_add3_u32 v84, v84, v19 /*v275*/, v18 /*v274*/
	s_set_vgpr_msb 0x44                     ;  msbs: dst=1 src0=0 src1=1 src2=0
	v_and_b32_e32 v18 /*v274*/, 0xffff, v39 /*v295*/
	s_set_vgpr_msb 0x41                     ;  msbs: dst=1 src0=1 src1=0 src2=0
	v_mul_i32_i24_e32 v68 /*v324*/, v69 /*v325*/, v113
	s_set_vgpr_msb 0x44                     ;  msbs: dst=1 src0=0 src1=1 src2=0
	v_bfe_u32 v19 /*v275*/, v85, 20, 4
	v_mul_i32_i24_e32 v49 /*v305*/, v104, v5 /*v261*/
	s_set_vgpr_msb 20                       ;  msbs: dst=0 src0=0 src1=1 src2=1
	v_add3_u32 v84, v84, v20 /*v276*/, v37 /*v293*/
	s_set_vgpr_msb 64                       ;  msbs: dst=1 src0=0 src1=0 src2=0
	v_bfe_u32 v20 /*v276*/, v85, 4, 4
	s_set_vgpr_msb 0x55                     ;  msbs: dst=1 src0=1 src1=1 src2=1
	v_add3_u32 v38 /*v294*/, v38 /*v294*/, v68 /*v324*/, v66 /*v322*/
	v_mul_i32_i24_e32 v39 /*v295*/, v63 /*v319*/, v18 /*v274*/
	s_set_vgpr_msb 0x41                     ;  msbs: dst=1 src0=1 src1=0 src2=0
	v_mul_i32_i24_e32 v63 /*v319*/, v65 /*v321*/, v109
	v_bfe_i32 v71 /*v327*/, v76 /*v332*/, 0, 8
	s_set_vgpr_msb 5                        ;  msbs: dst=0 src0=1 src1=1 src2=0
	v_mul_i32_i24_e32 v85, v21 /*v277*/, v20 /*v276*/
	s_set_vgpr_msb 0x45                     ;  msbs: dst=1 src0=1 src1=1 src2=0
	v_mul_i32_i24_e32 v21 /*v277*/, v22 /*v278*/, v18 /*v274*/
	v_mul_i32_i24_e32 v22 /*v278*/, v23 /*v279*/, v19 /*v275*/
	s_set_vgpr_msb 0x41                     ;  msbs: dst=1 src0=1 src1=0 src2=0
	v_mul_i32_i24_e32 v23 /*v279*/, v35 /*v291*/, v109
	s_set_vgpr_msb 0x55                     ;  msbs: dst=1 src0=1 src1=1 src2=1
	v_add3_u32 v38 /*v294*/, v38 /*v294*/, v40 /*v296*/, v67 /*v323*/
	v_mul_i32_i24_e32 v35 /*v291*/, v62 /*v318*/, v20 /*v276*/
	s_set_vgpr_msb 16                       ;  msbs: dst=0 src0=0 src1=0 src2=1
	v_add3_u32 v84, v84, v85, v21 /*v277*/
	s_set_vgpr_msb 0x55                     ;  msbs: dst=1 src0=1 src1=1 src2=1
	v_and_b32_e32 v21 /*v277*/, 0xffff, v36 /*v292*/
	v_mul_i32_i24_e32 v62 /*v318*/, v64 /*v320*/, v19 /*v275*/
	v_bfe_i32 v72 /*v328*/, v76 /*v332*/, 16, 8
	v_add3_u32 v35 /*v291*/, v38 /*v294*/, v63 /*v319*/, v35 /*v291*/
	s_set_vgpr_msb 20                       ;  msbs: dst=0 src0=0 src1=1 src2=1
	v_add3_u32 v84, v84, v22 /*v278*/, v23 /*v279*/
	s_set_vgpr_msb 64                       ;  msbs: dst=1 src0=0 src1=0 src2=0
	v_and_b32_e32 v23 /*v279*/, 15, v82
	v_bfe_u32 v22 /*v278*/, v82, 16, 4
	s_set_vgpr_msb 0x55                     ;  msbs: dst=1 src0=1 src1=1 src2=1
	v_mul_i32_i24_e32 v26 /*v282*/, v26 /*v282*/, v21 /*v277*/
	v_add3_u32 v35 /*v291*/, v35 /*v291*/, v39 /*v295*/, v62 /*v318*/
	v_ashrrev_i32_e32 v69 /*v325*/, 24, v78 /*v334*/
	v_mul_i32_i24_e32 v25 /*v281*/, v25 /*v281*/, v23 /*v279*/
	v_mul_i32_i24_e32 v30 /*v286*/, v30 /*v286*/, v22 /*v278*/
	;; [unrolled: 1-line block ×5, first 2 shown]
	s_set_vgpr_msb 0x41                     ;  msbs: dst=1 src0=1 src1=0 src2=0
	v_mul_i32_i24_e32 v60 /*v316*/, v61 /*v317*/, v114
	s_set_vgpr_msb 20                       ;  msbs: dst=0 src0=0 src1=1 src2=1
	v_add3_u32 v84, v84, v26 /*v282*/, v25 /*v281*/
	s_set_vgpr_msb 0x44                     ;  msbs: dst=1 src0=0 src1=1 src2=0
	v_and_b32_e32 v25 /*v281*/, 0xffff, v34 /*v290*/
	v_bfe_u32 v26 /*v282*/, v82, 20, 4
	s_set_vgpr_msb 0x55                     ;  msbs: dst=1 src0=1 src1=1 src2=1
	v_bfe_i32 v76 /*v332*/, v78 /*v334*/, 16, 8
	v_add3_u32 v35 /*v291*/, v35 /*v291*/, v60 /*v316*/, v58 /*v314*/
	s_set_vgpr_msb 20                       ;  msbs: dst=0 src0=0 src1=1 src2=1
	v_add3_u32 v84, v84, v30 /*v286*/, v33 /*v289*/
	s_set_vgpr_msb 64                       ;  msbs: dst=1 src0=0 src1=0 src2=0
	v_bfe_u32 v30 /*v286*/, v82, 4, 4
	s_set_vgpr_msb 0x55                     ;  msbs: dst=1 src0=1 src1=1 src2=1
	v_mul_i32_i24_e32 v33 /*v289*/, v54 /*v310*/, v25 /*v281*/
	v_mul_i32_i24_e32 v34 /*v290*/, v55 /*v311*/, v26 /*v282*/
	v_add3_u32 v35 /*v291*/, v35 /*v291*/, v36 /*v292*/, v59 /*v315*/
	v_bfe_i32 v78 /*v334*/, v78 /*v334*/, 0, 8
	s_set_vgpr_msb 5                        ;  msbs: dst=0 src0=1 src1=1 src2=0
	v_mul_i32_i24_e32 v82, v27 /*v283*/, v30 /*v286*/
	s_set_vgpr_msb 0x45                     ;  msbs: dst=1 src0=1 src1=1 src2=0
	v_mul_i32_i24_e32 v27 /*v283*/, v28 /*v284*/, v25 /*v281*/
	v_mul_i32_i24_e32 v28 /*v284*/, v29 /*v285*/, v26 /*v282*/
	s_set_vgpr_msb 0x41                     ;  msbs: dst=1 src0=1 src1=0 src2=0
	v_mul_i32_i24_e32 v29 /*v285*/, v31 /*v287*/, v110
	s_set_vgpr_msb 0x45                     ;  msbs: dst=1 src0=1 src1=1 src2=0
	v_mul_i32_i24_e32 v31 /*v287*/, v53 /*v309*/, v30 /*v286*/
	s_set_vgpr_msb 0x41                     ;  msbs: dst=1 src0=1 src1=0 src2=0
	v_mul_i32_i24_e32 v53 /*v309*/, v56 /*v312*/, v110
	s_set_vgpr_msb 16                       ;  msbs: dst=0 src0=0 src1=0 src2=1
	v_add3_u32 v82, v84, v82, v27 /*v283*/
	s_set_vgpr_msb 0x44                     ;  msbs: dst=1 src0=0 src1=1 src2=0
	v_dual_ashrrev_i32 v64 /*v320*/, 24, v80 /*v336*/ :: v_dual_ashrrev_i32 v61 /*v317*/, 24, v79 /*v335*/
	s_set_vgpr_msb 0x55                     ;  msbs: dst=1 src0=1 src1=1 src2=1
	v_bfe_i32 v65 /*v321*/, v80 /*v336*/, 16, 8
	v_add3_u32 v31 /*v287*/, v35 /*v291*/, v53 /*v309*/, v31 /*v287*/
	s_set_vgpr_msb 0x41                     ;  msbs: dst=1 src0=1 src1=0 src2=0
	v_mul_i32_i24_e32 v35 /*v291*/, v42 /*v298*/, v112
	s_set_vgpr_msb 20                       ;  msbs: dst=0 src0=0 src1=1 src2=1
	v_add3_u32 v82, v82, v28 /*v284*/, v29 /*v285*/
	s_set_vgpr_msb 64                       ;  msbs: dst=1 src0=0 src1=0 src2=0
	v_mul_i32_i24_e32 v42 /*v298*/, v248, v250
	s_set_vgpr_msb 0x55                     ;  msbs: dst=1 src0=1 src1=1 src2=1
	v_mul_i32_i24_e32 v73 /*v329*/, v72 /*v328*/, v14 /*v270*/
	v_add3_u32 v34 /*v290*/, v31 /*v287*/, v33 /*v289*/, v34 /*v290*/
	v_and_b32_e32 v31 /*v287*/, 0xffff, v32 /*v288*/
	s_set_vgpr_msb 64                       ;  msbs: dst=1 src0=0 src1=0 src2=0
	v_and_b32_e32 v33 /*v289*/, 15, v83
	v_bfe_u32 v32 /*v288*/, v83, 16, 4
	s_set_vgpr_msb 0x41                     ;  msbs: dst=1 src0=1 src1=0 src2=0
	v_mul_i32_i24_e32 v74 /*v330*/, v70 /*v326*/, v111
	s_set_vgpr_msb 0x45                     ;  msbs: dst=1 src0=1 src1=1 src2=0
	v_mul_i32_i24_e32 v37 /*v293*/, v78 /*v334*/, v17 /*v273*/
	s_set_vgpr_msb 4                        ;  msbs: dst=0 src0=0 src1=1 src2=0
	v_mul_i32_i24_e32 v93, v93, v31 /*v287*/
	v_mul_i32_i24_e32 v83, v94, v33 /*v289*/
	;; [unrolled: 1-line block ×3, first 2 shown]
	s_set_vgpr_msb 5                        ;  msbs: dst=0 src0=1 src1=1 src2=0
	v_mul_i32_i24_e32 v95, v24 /*v280*/, v32 /*v288*/
	s_set_vgpr_msb 4                        ;  msbs: dst=0 src0=0 src1=1 src2=0
	v_mul_i32_i24_e32 v80, v80, v33 /*v289*/
	s_set_vgpr_msb 0x45                     ;  msbs: dst=1 src0=1 src1=1 src2=0
	v_mul_i32_i24_e32 v24 /*v280*/, v41 /*v297*/, v32 /*v288*/
	s_set_vgpr_msb 5                        ;  msbs: dst=0 src0=1 src1=1 src2=0
	v_add3_u32 v93, v34 /*v290*/, v35 /*v291*/, v93
	s_set_vgpr_msb 64                       ;  msbs: dst=1 src0=0 src1=0 src2=0
	v_mul_i32_i24_e32 v41 /*v297*/, v103, v112
	s_set_vgpr_msb 0                        ;  msbs: dst=0 src0=0 src1=0 src2=0
	v_add3_u32 v82, v82, v94, v83
	s_set_vgpr_msb 0x45                     ;  msbs: dst=1 src0=1 src1=1 src2=0
	v_mul_i32_i24_e32 v40 /*v296*/, v89 /*v345*/, v15 /*v271*/
	v_mul_i32_i24_e32 v66 /*v322*/, v76 /*v332*/, v16 /*v272*/
	s_set_vgpr_msb 16                       ;  msbs: dst=0 src0=0 src1=0 src2=1
	v_add3_u32 v80, v93, v80, v24 /*v280*/
	s_set_vgpr_msb 0x41                     ;  msbs: dst=1 src0=1 src1=0 src2=0
	v_mul_i32_i24_e32 v67 /*v323*/, v69 /*v325*/, v113
	s_set_vgpr_msb 16                       ;  msbs: dst=0 src0=0 src1=0 src2=1
	v_add3_u32 v82, v82, v95, v41 /*v297*/
	s_set_vgpr_msb 0x41                     ;  msbs: dst=1 src0=1 src1=0 src2=0
	v_bfe_i32 v68 /*v324*/, v80 /*v336*/, 8, 8
	v_bfe_i32 v80 /*v336*/, v80 /*v336*/, 0, 8
	s_set_vgpr_msb 20                       ;  msbs: dst=0 src0=0 src1=1 src2=1
	v_add3_u32 v80, v80, v57 /*v313*/, v51 /*v307*/
	s_set_vgpr_msb 0x45                     ;  msbs: dst=1 src0=1 src1=1 src2=0
	v_mul_i32_i24_e32 v39 /*v295*/, v65 /*v321*/, v19 /*v275*/
	s_set_vgpr_msb 20                       ;  msbs: dst=0 src0=0 src1=1 src2=1
	v_add3_u32 v82, v82, v44 /*v300*/, v47 /*v303*/
	s_set_vgpr_msb 0x41                     ;  msbs: dst=1 src0=1 src1=0 src2=0
	v_mul_i32_i24_e32 v62 /*v318*/, v64 /*v320*/, v109
	v_bfe_i32 v63 /*v319*/, v79 /*v335*/, 16, 8
	s_set_vgpr_msb 20                       ;  msbs: dst=0 src0=0 src1=1 src2=1
	v_add3_u32 v80, v80, v52 /*v308*/, v42 /*v298*/
	s_set_vgpr_msb 0x41                     ;  msbs: dst=1 src0=1 src1=0 src2=0
	v_bfe_i32 v79 /*v335*/, v79 /*v335*/, 0, 8
	s_set_vgpr_msb 20                       ;  msbs: dst=0 src0=0 src1=1 src2=1
	v_add3_u32 v82, v82, v46 /*v302*/, v49 /*v305*/
	s_set_vgpr_msb 0x44                     ;  msbs: dst=1 src0=0 src1=1 src2=0
	v_dual_ashrrev_i32 v54 /*v310*/, 24, v81 /*v337*/ :: v_dual_ashrrev_i32 v53 /*v309*/, 24, v83 /*v339*/
	s_set_vgpr_msb 20                       ;  msbs: dst=0 src0=0 src1=1 src2=1
	v_add3_u32 v80, v80, v43 /*v299*/, v45 /*v301*/
	s_set_vgpr_msb 0x41                     ;  msbs: dst=1 src0=1 src1=0 src2=0
	v_bfe_i32 v55 /*v311*/, v81 /*v337*/, 16, 8
	s_set_vgpr_msb 0                        ;  msbs: dst=0 src0=0 src1=0 src2=0
	v_cvt_f32_i32_e32 v82, v82
	s_set_vgpr_msb 5                        ;  msbs: dst=0 src0=1 src1=1 src2=0
	v_mul_i32_i24_e32 v85, v80 /*v336*/, v20 /*v276*/
	s_set_vgpr_msb 0x45                     ;  msbs: dst=1 src0=1 src1=1 src2=0
	v_mul_i32_i24_e32 v38 /*v294*/, v68 /*v324*/, v18 /*v274*/
	s_set_vgpr_msb 20                       ;  msbs: dst=0 src0=0 src1=1 src2=1
	v_add3_u32 v80, v80, v48 /*v304*/, v50 /*v306*/
	s_set_vgpr_msb 0x45                     ;  msbs: dst=1 src0=1 src1=1 src2=0
	v_mul_i32_i24_e32 v36 /*v292*/, v79 /*v335*/, v23 /*v279*/
	v_mul_i32_i24_e32 v58 /*v314*/, v90 /*v346*/, v21 /*v277*/
	;; [unrolled: 1-line block ×3, first 2 shown]
	s_set_vgpr_msb 0x41                     ;  msbs: dst=1 src0=1 src1=0 src2=0
	v_mul_i32_i24_e32 v60 /*v316*/, v61 /*v317*/, v114
	s_set_vgpr_msb 0                        ;  msbs: dst=0 src0=0 src1=0 src2=0
	v_cvt_f32_i32_e32 v83, v80
	s_set_vgpr_msb 0x45                     ;  msbs: dst=1 src0=1 src1=1 src2=0
	v_bfe_i32 v56 /*v312*/, v81 /*v337*/, 8, 8
	v_bfe_i32 v81 /*v337*/, v81 /*v337*/, 0, 8
	v_mul_i32_i24_e32 v28 /*v284*/, v55 /*v311*/, v26 /*v282*/
	s_set_vgpr_msb 0x41                     ;  msbs: dst=1 src0=1 src1=0 src2=0
	v_mul_i32_i24_e32 v29 /*v285*/, v54 /*v310*/, v110
	v_bfe_i32 v83 /*v339*/, v83 /*v339*/, 0, 8
	s_set_vgpr_msb 0                        ;  msbs: dst=0 src0=0 src1=0 src2=0
	v_pk_fma_f32 v[82:83], v[88:89], v[82:83], v[90:91]
	s_set_vgpr_msb 21                       ;  msbs: dst=0 src0=1 src1=1 src2=1
	v_mad_i32_i24 v93, v71 /*v327*/, v12 /*v268*/, v37 /*v293*/
	s_set_vgpr_msb 20                       ;  msbs: dst=0 src0=0 src1=1 src2=1
	v_mad_i32_i24 v94, v92, v13 /*v269*/, v40 /*v296*/
	s_set_vgpr_msb 21                       ;  msbs: dst=0 src0=1 src1=1 src2=1
	v_add3_u32 v95, v74 /*v330*/, v67 /*v323*/, v62 /*v318*/
	s_set_vgpr_msb 0x55                     ;  msbs: dst=1 src0=1 src1=1 src2=1
	v_add3_u32 v24 /*v280*/, v73 /*v329*/, v66 /*v322*/, v39 /*v295*/
	v_mul_i32_i24_e32 v87 /*v343*/, v2 /*v258*/, v84 /*v340*/
	s_set_vgpr_msb 0x44                     ;  msbs: dst=1 src0=0 src1=1 src2=0
	v_mul_i32_i24_e32 v88 /*v344*/, v251, v75 /*v331*/
	s_set_vgpr_msb 5                        ;  msbs: dst=0 src0=1 src1=1 src2=0
	v_mul_i32_i24_e32 v84, v81 /*v337*/, v30 /*v286*/
	s_set_vgpr_msb 0x45                     ;  msbs: dst=1 src0=1 src1=1 src2=0
	v_mul_i32_i24_e32 v27 /*v283*/, v56 /*v312*/, v25 /*v281*/
	s_set_vgpr_msb 0                        ;  msbs: dst=0 src0=0 src1=0 src2=0
	v_pk_add_f32 v[36:37], v[36:37], v[82:83]
	s_set_vgpr_msb 5                        ;  msbs: dst=0 src0=1 src1=1 src2=0
	v_mul_i32_i24_e32 v80, v83 /*v339*/, v33 /*v289*/
	v_mul_i32_i24_e32 v82, v92 /*v348*/, v31 /*v287*/
	;; [unrolled: 1-line block ×3, first 2 shown]
	s_set_vgpr_msb 1                        ;  msbs: dst=0 src0=1 src1=0 src2=0
	v_mul_i32_i24_e32 v88, v53 /*v309*/, v112
	s_set_vgpr_msb 20                       ;  msbs: dst=0 src0=0 src1=1 src2=1
	v_add3_u32 v94, v94, v38 /*v294*/, v58 /*v314*/
	s_set_vgpr_msb 16                       ;  msbs: dst=0 src0=0 src1=0 src2=1
	v_add3_u32 v85, v93, v85, v36 /*v292*/
	s_set_vgpr_msb 21                       ;  msbs: dst=0 src0=1 src1=1 src2=1
	v_add3_u32 v93, v24 /*v280*/, v59 /*v315*/, v28 /*v284*/
	s_set_vgpr_msb 20                       ;  msbs: dst=0 src0=0 src1=1 src2=1
	v_add3_u32 v95, v95, v60 /*v316*/, v29 /*v285*/
	s_set_vgpr_msb 0x44                     ;  msbs: dst=1 src0=0 src1=1 src2=0
	v_mul_i32_i24_e32 v85 /*v341*/, v253, v82 /*v338*/
	s_set_vgpr_msb 0x45                     ;  msbs: dst=1 src0=1 src1=1 src2=0
	v_mul_i32_i24_e32 v86 /*v342*/, v1 /*v257*/, v77 /*v333*/
	s_set_vgpr_msb 4                        ;  msbs: dst=0 src0=0 src1=1 src2=0
	v_add3_u32 v82, v94, v27 /*v283*/, v82
	s_set_vgpr_msb 0                        ;  msbs: dst=0 src0=0 src1=0 src2=0
	v_add3_u32 v80, v85, v84, v80
	s_set_vgpr_msb 16                       ;  msbs: dst=0 src0=0 src1=0 src2=1
	v_add3_u32 v84, v95, v88, v88 /*v344*/
	v_add3_u32 v83, v93, v83, v87 /*v343*/
	s_set_vgpr_msb 5                        ;  msbs: dst=0 src0=1 src1=1 src2=0
	v_mul_i32_i24_e32 v89, v9 /*v265*/, v4 /*v260*/
	v_mul_i32_i24_e32 v91, v11 /*v267*/, v5 /*v261*/
	s_set_vgpr_msb 1                        ;  msbs: dst=0 src0=1 src1=0 src2=0
	v_mul_i32_i24_e32 v90, v10 /*v266*/, v250
	s_set_vgpr_msb 4                        ;  msbs: dst=0 src0=0 src1=1 src2=0
	v_add3_u32 v82, v82, v86 /*v342*/, v84
	v_add3_u32 v80, v80, v85 /*v341*/, v83
	s_set_vgpr_msb 1                        ;  msbs: dst=0 src0=1 src1=0 src2=0
	v_mul_i32_i24_e32 v83, v70 /*v326*/, v123
	v_mul_i32_i24_e32 v85, v89 /*v345*/, v125
	;; [unrolled: 1-line block ×4, first 2 shown]
	s_set_vgpr_msb 0                        ;  msbs: dst=0 src0=0 src1=0 src2=0
	v_add3_u32 v80, v80, v82, v91
	s_set_vgpr_msb 5                        ;  msbs: dst=0 src0=1 src1=1 src2=0
	v_mad_i32_i24 v82, v8 /*v264*/, v3 /*v259*/, v89
	s_set_vgpr_msb 1                        ;  msbs: dst=0 src0=1 src1=0 src2=0
	v_mul_i32_i24_e32 v89, v69 /*v325*/, v127
	v_mul_i32_i24_e32 v91, v80 /*v336*/, v128
	;; [unrolled: 1-line block ×4, first 2 shown]
	s_set_vgpr_msb 0                        ;  msbs: dst=0 src0=0 src1=0 src2=0
	v_add3_u32 v80, v80, v82, v90
	s_wait_dscnt 0x0
	v_pk_mul_f16 v82, v108, v86
	s_set_vgpr_msb 1                        ;  msbs: dst=0 src0=1 src1=0 src2=0
	v_mul_i32_i24_e32 v94, v65 /*v321*/, v131
	s_set_vgpr_msb 0x41                     ;  msbs: dst=1 src0=1 src1=0 src2=0
	v_mul_i32_i24_e32 v35 /*v291*/, v90 /*v346*/, v132
	v_mul_i32_i24_e32 v37 /*v293*/, v61 /*v317*/, v134
	s_set_vgpr_msb 0                        ;  msbs: dst=0 src0=0 src1=0 src2=0
	v_cvt_f32_i32_e32 v80, v80
	s_set_vgpr_msb 0x41                     ;  msbs: dst=1 src0=1 src1=0 src2=0
	v_mul_i32_i24_e32 v34 /*v290*/, v79 /*v335*/, v133
	v_mul_i32_i24_e32 v36 /*v292*/, v63 /*v319*/, v135
	;; [unrolled: 1-line block ×4, first 2 shown]
	s_set_vgpr_msb 0                        ;  msbs: dst=0 src0=0 src1=0 src2=0
	v_fma_mix_f32 v90, v82, v80, v82 op_sel:[0,0,1] op_sel_hi:[1,0,1]
	v_mul_i32_i24_e32 v80, v92, v122
	s_set_vgpr_msb 1                        ;  msbs: dst=0 src0=1 src1=0 src2=0
	v_mul_i32_i24_e32 v82, v72 /*v328*/, v121
	s_set_vgpr_msb 0x41                     ;  msbs: dst=1 src0=1 src1=0 src2=0
	v_mul_i32_i24_e32 v39 /*v295*/, v56 /*v312*/, v137
	v_mul_i32_i24_e32 v40 /*v296*/, v55 /*v311*/, v139
	;; [unrolled: 1-line block ×3, first 2 shown]
	s_set_vgpr_msb 1                        ;  msbs: dst=0 src0=1 src1=0 src2=0
	v_mad_i32_i24 v80, v71 /*v327*/, v120, v80
	s_set_vgpr_msb 0x41                     ;  msbs: dst=1 src0=1 src1=0 src2=0
	v_mul_i32_i24_e32 v45 /*v301*/, v53 /*v309*/, v143
	v_mul_i32_i24_e32 v42 /*v298*/, v83 /*v339*/, v141
	v_mul_i32_i24_e32 v44 /*v300*/, v91 /*v347*/, v142
	v_mul_i32_i24_e32 v48 /*v304*/, v54 /*v310*/, v199
	s_set_vgpr_msb 0                        ;  msbs: dst=0 src0=0 src1=0 src2=0
	v_add3_u32 v80, v80, v82, v83
	s_set_vgpr_msb 0x41                     ;  msbs: dst=1 src0=1 src1=0 src2=0
	v_mul_i32_i24_e32 v46 /*v302*/, v56 /*v312*/, v198
	v_mul_i32_i24_e32 v47 /*v303*/, v55 /*v311*/, v200
	;; [unrolled: 1-line block ×4, first 2 shown]
	s_set_vgpr_msb 0                        ;  msbs: dst=0 src0=0 src1=0 src2=0
	v_add3_u32 v80, v80, v89, v85
	v_mul_i32_i24_e32 v89, v92, v147
	s_set_vgpr_msb 0x41                     ;  msbs: dst=1 src0=1 src1=0 src2=0
	v_mul_i32_i24_e32 v49 /*v305*/, v83 /*v339*/, v202
	v_mul_i32_i24_e32 v51 /*v307*/, v91 /*v347*/, v203
	;; [unrolled: 1-line block ×3, first 2 shown]
	s_set_vgpr_msb 0                        ;  msbs: dst=0 src0=0 src1=0 src2=0
	v_add3_u32 v80, v80, v84, v88
	s_set_vgpr_msb 1                        ;  msbs: dst=0 src0=1 src1=0 src2=0
	v_mad_i32_i24 v89, v71 /*v327*/, v145, v89
	s_set_vgpr_msb 0x41                     ;  msbs: dst=1 src0=1 src1=0 src2=0
	v_mul_i32_i24_e32 v60 /*v316*/, v11 /*v267*/, v237
	v_mul_i32_i24_e32 v58 /*v314*/, v9 /*v265*/, v236
	;; [unrolled: 1-line block ×3, first 2 shown]
	s_set_vgpr_msb 0                        ;  msbs: dst=0 src0=0 src1=0 src2=0
	v_add3_u32 v80, v80, v95, v91
	s_set_vgpr_msb 1                        ;  msbs: dst=0 src0=1 src1=0 src2=0
	v_mul_i32_i24_e32 v91, v72 /*v328*/, v146
	v_mul_i32_i24_e32 v95, v89 /*v345*/, v150
	;; [unrolled: 1-line block ×4, first 2 shown]
	s_set_vgpr_msb 0                        ;  msbs: dst=0 src0=0 src1=0 src2=0
	v_add3_u32 v80, v80, v93, v94
	s_set_vgpr_msb 1                        ;  msbs: dst=0 src0=1 src1=0 src2=0
	v_mul_i32_i24_e32 v93, v70 /*v326*/, v148
	v_mul_i32_i24_e32 v94, v78 /*v334*/, v149
	;; [unrolled: 1-line block ×3, first 2 shown]
	s_set_vgpr_msb 0x41                     ;  msbs: dst=1 src0=1 src1=0 src2=0
	v_mul_i32_i24_e32 v29 /*v285*/, v75 /*v331*/, v117
	s_set_vgpr_msb 20                       ;  msbs: dst=0 src0=0 src1=1 src2=1
	v_add3_u32 v80, v80, v37 /*v293*/, v35 /*v291*/
	s_set_vgpr_msb 0                        ;  msbs: dst=0 src0=0 src1=0 src2=0
	v_add3_u32 v89, v89, v91, v93
	s_set_vgpr_msb 0x41                     ;  msbs: dst=1 src0=1 src1=0 src2=0
	v_mul_i32_i24_e32 v35 /*v291*/, v76 /*v332*/, v151
	v_mul_i32_i24_e32 v37 /*v293*/, v80 /*v336*/, v153
	s_set_vgpr_msb 0                        ;  msbs: dst=0 src0=0 src1=0 src2=0
	v_mul_i32_i24_e32 v91, v92, v208
	s_set_vgpr_msb 20                       ;  msbs: dst=0 src0=0 src1=1 src2=1
	v_add3_u32 v80, v80, v34 /*v290*/, v36 /*v292*/
	s_set_vgpr_msb 0x41                     ;  msbs: dst=1 src0=1 src1=0 src2=0
	v_mul_i32_i24_e32 v36 /*v292*/, v69 /*v325*/, v152
	s_set_vgpr_msb 1                        ;  msbs: dst=0 src0=1 src1=0 src2=0
	v_mul_i32_i24_e32 v92, v72 /*v328*/, v207
	v_mul_i32_i24_e32 v93, v70 /*v326*/, v209
	v_mad_i32_i24 v91, v71 /*v327*/, v206, v91
	s_set_vgpr_msb 20                       ;  msbs: dst=0 src0=0 src1=1 src2=1
	v_add3_u32 v80, v80, v41 /*v297*/, v38 /*v294*/
	s_set_vgpr_msb 4                        ;  msbs: dst=0 src0=0 src1=1 src2=0
	v_add3_u32 v89, v89, v36 /*v292*/, v95
	s_set_vgpr_msb 0x41                     ;  msbs: dst=1 src0=1 src1=0 src2=0
	v_mul_i32_i24_e32 v38 /*v294*/, v68 /*v324*/, v154
	s_set_vgpr_msb 1                        ;  msbs: dst=0 src0=1 src1=0 src2=0
	v_mul_i32_i24_e32 v95, v89 /*v345*/, v211
	s_set_vgpr_msb 0x41                     ;  msbs: dst=1 src0=1 src1=0 src2=0
	v_mul_i32_i24_e32 v36 /*v292*/, v69 /*v325*/, v213
	s_set_vgpr_msb 20                       ;  msbs: dst=0 src0=0 src1=1 src2=1
	v_add3_u32 v80, v80, v39 /*v295*/, v40 /*v296*/
	s_set_vgpr_msb 0x41                     ;  msbs: dst=1 src0=1 src1=0 src2=0
	v_mul_i32_i24_e32 v40 /*v296*/, v64 /*v320*/, v155
	s_set_vgpr_msb 16                       ;  msbs: dst=0 src0=0 src1=0 src2=1
	v_add3_u32 v89, v89, v94, v35 /*v291*/
	s_set_vgpr_msb 0x41                     ;  msbs: dst=1 src0=1 src1=0 src2=0
	v_mul_i32_i24_e32 v39 /*v295*/, v65 /*v321*/, v189
	s_set_vgpr_msb 0                        ;  msbs: dst=0 src0=0 src1=0 src2=0
	v_add3_u32 v91, v91, v92, v93
	s_set_vgpr_msb 20                       ;  msbs: dst=0 src0=0 src1=1 src2=1
	v_add3_u32 v80, v80, v45 /*v301*/, v43 /*v299*/
	s_set_vgpr_msb 0x41                     ;  msbs: dst=1 src0=1 src1=0 src2=0
	v_mul_i32_i24_e32 v41 /*v297*/, v79 /*v335*/, v194
	s_set_vgpr_msb 20                       ;  msbs: dst=0 src0=0 src1=1 src2=1
	v_add3_u32 v89, v89, v40 /*v296*/, v37 /*v293*/
	s_set_vgpr_msb 0x41                     ;  msbs: dst=1 src0=1 src1=0 src2=0
	v_mul_i32_i24_e32 v43 /*v299*/, v63 /*v319*/, v196
	s_set_vgpr_msb 1                        ;  msbs: dst=0 src0=1 src1=0 src2=0
	v_mul_i32_i24_e32 v94, v78 /*v334*/, v210
	s_set_vgpr_msb 0x54                     ;  msbs: dst=1 src0=0 src1=1 src2=1
	v_add3_u32 v34 /*v290*/, v80, v42 /*v298*/, v44 /*v300*/
	s_set_vgpr_msb 0x41                     ;  msbs: dst=1 src0=1 src1=0 src2=0
	v_mul_i32_i24_e32 v42 /*v298*/, v90 /*v346*/, v193
	v_mul_i32_i24_e32 v44 /*v300*/, v61 /*v317*/, v195
	s_set_vgpr_msb 20                       ;  msbs: dst=0 src0=0 src1=1 src2=1
	v_add3_u32 v89, v89, v38 /*v294*/, v39 /*v295*/
	s_set_vgpr_msb 0x41                     ;  msbs: dst=1 src0=1 src1=0 src2=0
	v_mul_i32_i24_e32 v35 /*v291*/, v76 /*v332*/, v212
	s_set_vgpr_msb 4                        ;  msbs: dst=0 src0=0 src1=1 src2=0
	v_add3_u32 v91, v91, v36 /*v292*/, v95
	s_set_vgpr_msb 0x41                     ;  msbs: dst=1 src0=1 src1=0 src2=0
	v_mul_i32_i24_e32 v45 /*v301*/, v81 /*v337*/, v197
	v_mul_i32_i24_e32 v37 /*v293*/, v80 /*v336*/, v214
	s_set_vgpr_msb 20                       ;  msbs: dst=0 src0=0 src1=1 src2=1
	v_add3_u32 v89, v89, v44 /*v300*/, v42 /*v298*/
	s_set_vgpr_msb 0x41                     ;  msbs: dst=1 src0=1 src1=0 src2=0
	v_mul_i32_i24_e32 v40 /*v296*/, v64 /*v320*/, v216
	s_set_vgpr_msb 16                       ;  msbs: dst=0 src0=0 src1=0 src2=1
	v_add3_u32 v91, v91, v94, v35 /*v291*/
	s_set_vgpr_msb 0x41                     ;  msbs: dst=1 src0=1 src1=0 src2=0
	v_mul_i32_i24_e32 v38 /*v294*/, v68 /*v324*/, v215
	v_mul_i32_i24_e32 v39 /*v295*/, v65 /*v321*/, v217
	s_set_vgpr_msb 20                       ;  msbs: dst=0 src0=0 src1=1 src2=1
	v_add3_u32 v89, v89, v41 /*v297*/, v43 /*v299*/
	s_set_vgpr_msb 0x41                     ;  msbs: dst=1 src0=1 src1=0 src2=0
	v_mul_i32_i24_e32 v42 /*v298*/, v90 /*v346*/, v218
	s_set_vgpr_msb 20                       ;  msbs: dst=0 src0=0 src1=1 src2=1
	v_add3_u32 v91, v91, v40 /*v296*/, v37 /*v293*/
	s_set_vgpr_msb 0x41                     ;  msbs: dst=1 src0=1 src1=0 src2=0
	v_mul_i32_i24_e32 v44 /*v300*/, v61 /*v317*/, v220
	v_mul_i32_i24_e32 v41 /*v297*/, v79 /*v335*/, v219
	s_set_vgpr_msb 20                       ;  msbs: dst=0 src0=0 src1=1 src2=1
	v_add3_u32 v89, v89, v48 /*v304*/, v45 /*v301*/
	s_set_vgpr_msb 0x41                     ;  msbs: dst=1 src0=1 src1=0 src2=0
	v_mul_i32_i24_e32 v43 /*v299*/, v63 /*v319*/, v221
	s_set_vgpr_msb 20                       ;  msbs: dst=0 src0=0 src1=1 src2=1
	v_add3_u32 v91, v91, v38 /*v294*/, v39 /*v295*/
	s_set_vgpr_msb 0                        ;  msbs: dst=0 src0=0 src1=0 src2=0
	v_pk_mul_f16 v80, v115, v86
	s_set_vgpr_msb 0x41                     ;  msbs: dst=1 src0=1 src1=0 src2=0
	v_mul_i32_i24_e32 v45 /*v301*/, v81 /*v337*/, v222
	s_set_vgpr_msb 20                       ;  msbs: dst=0 src0=0 src1=1 src2=1
	v_add3_u32 v89, v89, v46 /*v302*/, v47 /*v303*/
	s_set_vgpr_msb 0x41                     ;  msbs: dst=1 src0=1 src1=0 src2=0
	v_mul_i32_i24_e32 v48 /*v304*/, v54 /*v310*/, v224
	s_set_vgpr_msb 20                       ;  msbs: dst=0 src0=0 src1=1 src2=1
	v_add3_u32 v91, v91, v44 /*v300*/, v42 /*v298*/
	v_cvt_f32_f16_e32 v82, v80
	s_set_vgpr_msb 0                        ;  msbs: dst=0 src0=0 src1=0 src2=0
	v_lshrrev_b32_e32 v80, 16, v80
	s_set_vgpr_msb 20                       ;  msbs: dst=0 src0=0 src1=1 src2=1
	v_add3_u32 v89, v89, v52 /*v308*/, v50 /*v306*/
	s_set_vgpr_msb 0x41                     ;  msbs: dst=1 src0=1 src1=0 src2=0
	v_mul_i32_i24_e32 v46 /*v302*/, v56 /*v312*/, v223
	s_set_vgpr_msb 20                       ;  msbs: dst=0 src0=0 src1=1 src2=1
	v_add3_u32 v91, v91, v41 /*v297*/, v43 /*v299*/
	s_set_vgpr_msb 0x41                     ;  msbs: dst=1 src0=1 src1=0 src2=0
	v_mul_i32_i24_e32 v47 /*v303*/, v55 /*v311*/, v225
	s_set_vgpr_msb 20                       ;  msbs: dst=0 src0=0 src1=1 src2=1
	v_cvt_f32_f16_e32 v84, v80
	v_add3_u32 v89, v89, v49 /*v305*/, v51 /*v307*/
	s_set_vgpr_msb 1                        ;  msbs: dst=0 src0=1 src1=0 src2=0
	v_mul_i32_i24_e32 v80, v82 /*v338*/, v232
	s_set_vgpr_msb 20                       ;  msbs: dst=0 src0=0 src1=1 src2=1
	v_add3_u32 v91, v91, v48 /*v304*/, v45 /*v301*/
	s_set_vgpr_msb 0x41                     ;  msbs: dst=1 src0=1 src1=0 src2=0
	v_mul_i32_i24_e32 v50 /*v306*/, v92 /*v348*/, v226
	v_mul_i32_i24_e32 v52 /*v308*/, v53 /*v309*/, v229
	s_set_vgpr_msb 20                       ;  msbs: dst=0 src0=0 src1=1 src2=1
	v_add3_u32 v89, v89, v60 /*v316*/, v57 /*v313*/
	s_set_vgpr_msb 0x41                     ;  msbs: dst=1 src0=1 src1=0 src2=0
	v_mul_i32_i24_e32 v49 /*v305*/, v83 /*v339*/, v227
	s_set_vgpr_msb 20                       ;  msbs: dst=0 src0=0 src1=1 src2=1
	v_add3_u32 v91, v91, v46 /*v302*/, v47 /*v303*/
	s_set_vgpr_msb 0x41                     ;  msbs: dst=1 src0=1 src1=0 src2=0
	v_mul_i32_i24_e32 v51 /*v307*/, v91 /*v347*/, v228
	v_mul_i32_i24_e32 v53 /*v309*/, v8 /*v264*/, v243
	s_set_vgpr_msb 20                       ;  msbs: dst=0 src0=0 src1=1 src2=1
	v_add3_u32 v89, v89, v58 /*v314*/, v59 /*v315*/
	s_set_vgpr_msb 0x41                     ;  msbs: dst=1 src0=1 src1=0 src2=0
	v_mul_i32_i24_e32 v56 /*v312*/, v11 /*v267*/, v245
	s_set_vgpr_msb 20                       ;  msbs: dst=0 src0=0 src1=1 src2=1
	v_add3_u32 v91, v91, v52 /*v308*/, v50 /*v306*/
	s_set_vgpr_msb 0x41                     ;  msbs: dst=1 src0=1 src1=0 src2=0
	v_mul_i32_i24_e32 v54 /*v310*/, v9 /*v265*/, v244
	v_mul_i32_i24_e32 v55 /*v311*/, v10 /*v266*/, v238
	s_set_vgpr_msb 0                        ;  msbs: dst=0 src0=0 src1=0 src2=0
	v_add3_u32 v80, v89, v80, v83
	v_pk_mul_f16 v83, v144, v86
	s_set_vgpr_msb 20                       ;  msbs: dst=0 src0=0 src1=1 src2=1
	v_add3_u32 v91, v91, v49 /*v305*/, v51 /*v307*/
	s_set_vgpr_msb 1                        ;  msbs: dst=0 src0=1 src1=0 src2=0
	v_mul_i32_i24_e32 v89, v75 /*v331*/, v239
	s_set_vgpr_msb 0x41                     ;  msbs: dst=1 src0=1 src1=0 src2=0
	v_mul_i32_i24_e32 v27 /*v283*/, v77 /*v333*/, v119
	s_set_vgpr_msb 0                        ;  msbs: dst=0 src0=0 src1=0 src2=0
	v_add3_u32 v80, v80, v85, v88
	s_set_vgpr_msb 1                        ;  msbs: dst=0 src0=1 src1=0 src2=0
	v_mul_i32_i24_e32 v85, v84 /*v340*/, v242
	s_set_vgpr_msb 20                       ;  msbs: dst=0 src0=0 src1=1 src2=1
	v_add3_u32 v91, v91, v56 /*v312*/, v53 /*v309*/
	s_set_vgpr_msb 0x41                     ;  msbs: dst=1 src0=1 src1=0 src2=0
	v_mul_i32_i24_e32 v24 /*v280*/, v82 /*v338*/, v118
	v_mul_i32_i24_e32 v28 /*v284*/, v84 /*v340*/, v116
	s_set_vgpr_msb 0                        ;  msbs: dst=0 src0=0 src1=0 src2=0
	v_cvt_f32_i32_e32 v80, v80
	v_mul_i32_i24_e32 v103, v103, v143
	s_set_vgpr_msb 20                       ;  msbs: dst=0 src0=0 src1=1 src2=1
	v_add3_u32 v91, v91, v54 /*v310*/, v55 /*v311*/
	s_set_vgpr_msb 0                        ;  msbs: dst=0 src0=0 src1=0 src2=0
	v_fma_mix_f32 v88, v83, v80, v83 op_sel:[0,0,1] op_sel_hi:[1,0,1]
	s_set_vgpr_msb 1                        ;  msbs: dst=0 src0=1 src1=0 src2=0
	v_mul_i32_i24_e32 v80, v82 /*v338*/, v240
	v_mul_i32_i24_e32 v83, v77 /*v333*/, v241
	s_set_vgpr_msb 0                        ;  msbs: dst=0 src0=0 src1=0 src2=0
	v_add3_u32 v103, v192, v190, v103
	s_delay_alu instid0(VALU_DEP_2) | instskip(SKIP_1) | instid1(VALU_DEP_2)
	v_add3_u32 v80, v91, v80, v83
	v_pk_mul_f16 v83, v205, v86
	v_add3_u32 v80, v80, v85, v89
	s_delay_alu instid0(VALU_DEP_1) | instskip(NEXT) | instid1(VALU_DEP_1)
	v_cvt_f32_i32_e32 v80, v80
	v_fma_mix_f32 v86, v83, v80, v83 op_sel:[0,0,1] op_sel_hi:[1,0,1]
	v_add_nc_u32_e32 v80, 0xc04, v97
	ds_load_2addr_b32 v[92:93], v80 offset1:1
	v_add_nc_u32_e32 v80, 0xc14, v97
	ds_load_2addr_b32 v[94:95], v80 offset1:1
	v_add_nc_u32_e32 v80, 0xc00, v97
	s_set_vgpr_msb 64                       ;  msbs: dst=1 src0=0 src1=0 src2=0
	ds_load_2addr_b32 v[40:41] /*v[296:297]*/, v80 offset1:3
	ds_load_2addr_b32 v[38:39] /*v[294:295]*/, v80 offset0:4 offset1:7
	s_wait_dscnt 0x3
	v_bfe_i32 v47 /*v303*/, v92, 0, 8
	v_bfe_i32 v48 /*v304*/, v92, 8, 8
	;; [unrolled: 1-line block ×3, first 2 shown]
	s_set_vgpr_msb 0                        ;  msbs: dst=0 src0=0 src1=0 src2=0
	v_ashrrev_i32_e32 v92, 24, v92
	s_set_vgpr_msb 64                       ;  msbs: dst=1 src0=0 src1=0 src2=0
	v_bfe_i32 v53 /*v309*/, v93, 0, 8
	s_set_vgpr_msb 0x45                     ;  msbs: dst=1 src0=1 src1=1 src2=0
	v_mul_i32_i24_e32 v42 /*v298*/, v47 /*v303*/, v17 /*v273*/
	s_wait_dscnt 0x2
	s_set_vgpr_msb 64                       ;  msbs: dst=1 src0=0 src1=0 src2=0
	v_bfe_i32 v50 /*v306*/, v94, 0, 8
	v_bfe_i32 v51 /*v307*/, v94, 8, 8
	;; [unrolled: 1-line block ×3, first 2 shown]
	s_set_vgpr_msb 0                        ;  msbs: dst=0 src0=0 src1=0 src2=0
	v_ashrrev_i32_e32 v94, 24, v94
	s_set_vgpr_msb 0x45                     ;  msbs: dst=1 src0=1 src1=1 src2=0
	v_mul_i32_i24_e32 v43 /*v299*/, v48 /*v304*/, v15 /*v271*/
	s_wait_dscnt 0x1
	v_bfe_i32 v59 /*v315*/, v41 /*v297*/, 0, 8
	s_wait_dscnt 0x0
	v_bfe_i32 v44 /*v300*/, v38 /*v294*/, 8, 8
	s_set_vgpr_msb 1                        ;  msbs: dst=0 src0=1 src1=0 src2=0
	v_bfe_i32 v80, v38 /*v294*/, 0, 8
	s_set_vgpr_msb 0x41                     ;  msbs: dst=1 src0=1 src1=0 src2=0
	v_bfe_i32 v45 /*v301*/, v38 /*v294*/, 16, 8
	s_set_vgpr_msb 0x44                     ;  msbs: dst=1 src0=0 src1=1 src2=0
	v_dual_ashrrev_i32 v46 /*v302*/, 24, v38 /*v294*/ :: v_dual_ashrrev_i32 v62 /*v318*/, 24, v41 /*v297*/
	s_set_vgpr_msb 0x41                     ;  msbs: dst=1 src0=1 src1=0 src2=0
	v_bfe_i32 v35 /*v291*/, v39 /*v295*/, 0, 8
	v_bfe_i32 v36 /*v292*/, v39 /*v295*/, 8, 8
	;; [unrolled: 1-line block ×3, first 2 shown]
	s_set_vgpr_msb 0x45                     ;  msbs: dst=1 src0=1 src1=1 src2=0
	v_dual_ashrrev_i32 v38 /*v294*/, 24, v39 /*v295*/ :: v_dual_ashrrev_i32 v65 /*v321*/, 24, v40 /*v296*/
	v_mul_i32_i24_e32 v39 /*v295*/, v13 /*v269*/, v44 /*v300*/
	v_bfe_i32 v60 /*v316*/, v41 /*v297*/, 8, 8
	v_bfe_i32 v61 /*v317*/, v41 /*v297*/, 16, 8
	v_bfe_i32 v63 /*v319*/, v40 /*v296*/, 8, 8
	v_bfe_i32 v64 /*v320*/, v40 /*v296*/, 0, 8
	v_bfe_i32 v66 /*v322*/, v40 /*v296*/, 16, 8
	v_mul_i32_i24_e32 v40 /*v296*/, v14 /*v270*/, v45 /*v301*/
	s_set_vgpr_msb 0x44                     ;  msbs: dst=1 src0=0 src1=1 src2=0
	v_mul_i32_i24_e32 v41 /*v297*/, v111, v46 /*v302*/
	s_set_vgpr_msb 0x51                     ;  msbs: dst=1 src0=1 src1=0 src2=1
	v_mad_i32_i24 v39 /*v295*/, v12 /*v268*/, v80, v39 /*v295*/
	s_set_vgpr_msb 64                       ;  msbs: dst=1 src0=0 src1=0 src2=0
	v_mul_i32_i24_e32 v68 /*v324*/, v92, v113
	s_set_vgpr_msb 0x45                     ;  msbs: dst=1 src0=1 src1=1 src2=0
	v_mul_i32_i24_e32 v67 /*v323*/, v49 /*v305*/, v16 /*v272*/
	v_mul_i32_i24_e32 v69 /*v325*/, v50 /*v306*/, v20 /*v276*/
	s_set_vgpr_msb 64                       ;  msbs: dst=1 src0=0 src1=0 src2=0
	v_mul_i32_i24_e32 v72 /*v328*/, v94, v109
	s_set_vgpr_msb 0x55                     ;  msbs: dst=1 src0=1 src1=1 src2=1
	v_add3_u32 v39 /*v295*/, v39 /*v295*/, v40 /*v296*/, v41 /*v297*/
	s_set_vgpr_msb 64                       ;  msbs: dst=1 src0=0 src1=0 src2=0
	v_bfe_i32 v54 /*v310*/, v93, 8, 8
	v_bfe_i32 v55 /*v311*/, v93, 16, 8
	s_set_vgpr_msb 0                        ;  msbs: dst=0 src0=0 src1=0 src2=0
	v_ashrrev_i32_e32 v93, 24, v93
	s_set_vgpr_msb 0x55                     ;  msbs: dst=1 src0=1 src1=1 src2=1
	v_mul_i32_i24_e32 v70 /*v326*/, v51 /*v307*/, v18 /*v274*/
	v_add3_u32 v39 /*v295*/, v39 /*v295*/, v68 /*v324*/, v43 /*v299*/
	v_mul_i32_i24_e32 v71 /*v327*/, v52 /*v308*/, v19 /*v275*/
	s_set_vgpr_msb 64                       ;  msbs: dst=1 src0=0 src1=0 src2=0
	v_bfe_i32 v56 /*v312*/, v95, 0, 8
	v_bfe_i32 v57 /*v313*/, v95, 8, 8
	;; [unrolled: 1-line block ×3, first 2 shown]
	s_set_vgpr_msb 0x55                     ;  msbs: dst=1 src0=1 src1=1 src2=1
	v_add3_u32 v39 /*v295*/, v39 /*v295*/, v42 /*v298*/, v67 /*v323*/
	s_set_vgpr_msb 0                        ;  msbs: dst=0 src0=0 src1=0 src2=0
	v_ashrrev_i32_e32 v95, 24, v95
	s_set_vgpr_msb 0x45                     ;  msbs: dst=1 src0=1 src1=1 src2=0
	v_mul_i32_i24_e32 v74 /*v330*/, v54 /*v310*/, v21 /*v277*/
	s_set_vgpr_msb 64                       ;  msbs: dst=1 src0=0 src1=0 src2=0
	v_mul_i32_i24_e32 v76 /*v332*/, v93, v114
	s_set_vgpr_msb 0x55                     ;  msbs: dst=1 src0=1 src1=1 src2=1
	v_mul_i32_i24_e32 v73 /*v329*/, v53 /*v309*/, v23 /*v279*/
	v_add3_u32 v39 /*v295*/, v39 /*v295*/, v72 /*v328*/, v69 /*v325*/
	v_mul_i32_i24_e32 v75 /*v331*/, v55 /*v311*/, v22 /*v278*/
	v_mul_i32_i24_e32 v77 /*v333*/, v56 /*v312*/, v30 /*v286*/
	s_set_vgpr_msb 64                       ;  msbs: dst=1 src0=0 src1=0 src2=0
	v_mul_i32_i24_e32 v80 /*v336*/, v95, v110
	s_set_vgpr_msb 0x55                     ;  msbs: dst=1 src0=1 src1=1 src2=1
	v_mul_i32_i24_e32 v78 /*v334*/, v57 /*v313*/, v25 /*v281*/
	v_add3_u32 v39 /*v295*/, v39 /*v295*/, v70 /*v326*/, v71 /*v327*/
	v_mul_i32_i24_e32 v79 /*v335*/, v58 /*v314*/, v26 /*v282*/
	v_mul_i32_i24_e32 v82 /*v338*/, v60 /*v316*/, v31 /*v287*/
	s_set_vgpr_msb 0x41                     ;  msbs: dst=1 src0=1 src1=0 src2=0
	v_mul_i32_i24_e32 v84 /*v340*/, v62 /*v318*/, v112
	s_set_vgpr_msb 0x55                     ;  msbs: dst=1 src0=1 src1=1 src2=1
	v_mul_i32_i24_e32 v81 /*v337*/, v59 /*v315*/, v33 /*v289*/
	v_add3_u32 v39 /*v295*/, v39 /*v295*/, v76 /*v332*/, v74 /*v330*/
	v_mul_i32_i24_e32 v83 /*v339*/, v61 /*v317*/, v32 /*v288*/
	v_mul_i32_i24_e32 v85 /*v341*/, v35 /*v291*/, v3 /*v259*/
	;; [unrolled: 1-line block ×4, first 2 shown]
	v_add3_u32 v39 /*v295*/, v39 /*v295*/, v73 /*v329*/, v75 /*v331*/
	s_set_vgpr_msb 0x41                     ;  msbs: dst=1 src0=1 src1=0 src2=0
	v_mul_i32_i24_e32 v87 /*v343*/, v37 /*v293*/, v250
	s_set_vgpr_msb 4                        ;  msbs: dst=0 src0=0 src1=1 src2=0
	v_mul_i32_i24_e32 v83, v253, v64 /*v320*/
	s_set_vgpr_msb 5                        ;  msbs: dst=0 src0=1 src1=1 src2=0
	v_mul_i32_i24_e32 v85, v1 /*v257*/, v63 /*v319*/
	v_mul_i32_i24_e32 v89, v2 /*v258*/, v66 /*v322*/
	s_set_vgpr_msb 0x55                     ;  msbs: dst=1 src0=1 src1=1 src2=1
	v_add3_u32 v39 /*v295*/, v39 /*v295*/, v80 /*v336*/, v77 /*v333*/
	s_set_vgpr_msb 4                        ;  msbs: dst=0 src0=0 src1=1 src2=0
	v_mul_i32_i24_e32 v91, v251, v65 /*v321*/
	s_set_vgpr_msb 64                       ;  msbs: dst=1 src0=0 src1=0 src2=0
	v_mul_i32_i24_e32 v67 /*v323*/, v92, v127
	s_set_vgpr_msb 0x41                     ;  msbs: dst=1 src0=1 src1=0 src2=0
	v_mul_i32_i24_e32 v43 /*v299*/, v49 /*v305*/, v126
	v_mul_i32_i24_e32 v68 /*v324*/, v50 /*v306*/, v128
	s_set_vgpr_msb 0x55                     ;  msbs: dst=1 src0=1 src1=1 src2=1
	v_add3_u32 v39 /*v295*/, v39 /*v295*/, v78 /*v334*/, v79 /*v335*/
	s_set_vgpr_msb 64                       ;  msbs: dst=1 src0=0 src1=0 src2=0
	v_mul_i32_i24_e32 v71 /*v327*/, v94, v130
	s_set_vgpr_msb 0x41                     ;  msbs: dst=1 src0=1 src1=0 src2=0
	v_mul_i32_i24_e32 v69 /*v325*/, v51 /*v307*/, v129
	v_mul_i32_i24_e32 v70 /*v326*/, v52 /*v308*/, v131
	v_mul_i32_i24_e32 v73 /*v329*/, v54 /*v310*/, v132
	s_set_vgpr_msb 0x55                     ;  msbs: dst=1 src0=1 src1=1 src2=1
	v_add3_u32 v39 /*v295*/, v39 /*v295*/, v84 /*v340*/, v82 /*v338*/
	s_set_vgpr_msb 64                       ;  msbs: dst=1 src0=0 src1=0 src2=0
	v_mul_i32_i24_e32 v75 /*v331*/, v93, v134
	s_set_vgpr_msb 0x41                     ;  msbs: dst=1 src0=1 src1=0 src2=0
	v_mul_i32_i24_e32 v72 /*v328*/, v53 /*v309*/, v133
	;; [unrolled: 8-line block ×3, first 2 shown]
	v_mul_i32_i24_e32 v78 /*v334*/, v58 /*v314*/, v139
	v_mul_i32_i24_e32 v81 /*v337*/, v60 /*v316*/, v140
	s_set_vgpr_msb 0x55                     ;  msbs: dst=1 src0=1 src1=1 src2=1
	v_add3_u32 v39 /*v295*/, v39 /*v295*/, v88 /*v344*/, v85 /*v341*/
	s_set_vgpr_msb 0x41                     ;  msbs: dst=1 src0=1 src1=0 src2=0
	v_mul_i32_i24_e32 v83 /*v339*/, v62 /*v318*/, v143
	v_mul_i32_i24_e32 v80 /*v336*/, v59 /*v315*/, v141
	;; [unrolled: 1-line block ×4, first 2 shown]
	s_set_vgpr_msb 0x55                     ;  msbs: dst=1 src0=1 src1=1 src2=1
	v_add3_u32 v39 /*v295*/, v39 /*v295*/, v86 /*v342*/, v87 /*v343*/
	s_set_vgpr_msb 64                       ;  msbs: dst=1 src0=0 src1=0 src2=0
	v_mul_i32_i24_e32 v86 /*v342*/, v95, v199
	s_set_vgpr_msb 0x41                     ;  msbs: dst=1 src0=1 src1=0 src2=0
	v_mul_i32_i24_e32 v85 /*v341*/, v58 /*v314*/, v200
	v_mul_i32_i24_e32 v88 /*v344*/, v60 /*v316*/, v201
	;; [unrolled: 1-line block ×3, first 2 shown]
	s_set_vgpr_msb 1                        ;  msbs: dst=0 src0=1 src1=0 src2=0
	v_add3_u32 v83, v39 /*v295*/, v83, v85
	s_set_vgpr_msb 0                        ;  msbs: dst=0 src0=0 src1=0 src2=0
	v_pk_mul_f16 v85, v108, v87
	s_set_vgpr_msb 0x41                     ;  msbs: dst=1 src0=1 src1=0 src2=0
	v_mul_i32_i24_e32 v87 /*v343*/, v59 /*v315*/, v202
	v_mul_i32_i24_e32 v89 /*v345*/, v61 /*v317*/, v203
	;; [unrolled: 1-line block ×3, first 2 shown]
	s_set_vgpr_msb 0                        ;  msbs: dst=0 src0=0 src1=0 src2=0
	v_add3_u32 v83, v83, v89, v91
	s_set_vgpr_msb 1                        ;  msbs: dst=0 src0=1 src1=0 src2=0
	v_mul_i32_i24_e32 v89, v46 /*v302*/, v123
	s_set_vgpr_msb 0x41                     ;  msbs: dst=1 src0=1 src1=0 src2=0
	v_mul_i32_i24_e32 v94 /*v350*/, v38 /*v294*/, v237
	v_mul_i32_i24_e32 v92 /*v348*/, v36 /*v292*/, v236
	;; [unrolled: 1-line block ×3, first 2 shown]
	s_set_vgpr_msb 0                        ;  msbs: dst=0 src0=0 src1=0 src2=0
	v_cvt_f32_i32_e32 v83, v83
	v_mul_i32_i24_e32 v95, v95, v224
	s_set_vgpr_msb 0x41                     ;  msbs: dst=1 src0=1 src1=0 src2=0
	v_mul_i32_i24_e32 v57 /*v313*/, v57 /*v313*/, v223
	v_mul_i32_i24_e32 v58 /*v314*/, v58 /*v314*/, v225
	v_mul_i32_i24_e32 v60 /*v316*/, v60 /*v316*/, v226
	s_set_vgpr_msb 0                        ;  msbs: dst=0 src0=0 src1=0 src2=0
	v_fma_mix_f32 v91, v85, v83, v85 op_sel:[0,0,1] op_sel_hi:[1,0,1]
	s_set_vgpr_msb 1                        ;  msbs: dst=0 src0=1 src1=0 src2=0
	v_mul_i32_i24_e32 v83, v44 /*v300*/, v122
	v_mul_i32_i24_e32 v85, v45 /*v301*/, v121
	s_set_vgpr_msb 0x41                     ;  msbs: dst=1 src0=1 src1=0 src2=0
	v_mul_i32_i24_e32 v62 /*v318*/, v62 /*v318*/, v229
	v_mul_i32_i24_e32 v59 /*v315*/, v59 /*v315*/, v227
	s_set_vgpr_msb 0                        ;  msbs: dst=0 src0=0 src1=0 src2=0
	v_pk_add_f32 v[28:29], v[28:29], v[90:91]
	v_mad_i32_i24 v83, v80, v120, v83
	s_set_vgpr_msb 1                        ;  msbs: dst=0 src0=1 src1=0 src2=0
	v_mul_i32_i24_e32 v91, v48 /*v304*/, v125
	v_mul_i32_i24_e32 v90, v47 /*v303*/, v124
	s_set_vgpr_msb 0x41                     ;  msbs: dst=1 src0=1 src1=0 src2=0
	v_mul_i32_i24_e32 v61 /*v317*/, v61 /*v317*/, v228
	v_mul_i32_i24_e32 v42 /*v298*/, v63 /*v319*/, v119
	s_set_vgpr_msb 0                        ;  msbs: dst=0 src0=0 src1=0 src2=0
	v_add3_u32 v83, v83, v85, v89
	s_set_vgpr_msb 1                        ;  msbs: dst=0 src0=1 src1=0 src2=0
	v_mul_i32_i24_e32 v89, v64 /*v320*/, v232
	s_set_vgpr_msb 0x41                     ;  msbs: dst=1 src0=1 src1=0 src2=0
	v_mul_i32_i24_e32 v39 /*v295*/, v66 /*v322*/, v116
	v_mul_i32_i24_e32 v40 /*v296*/, v64 /*v320*/, v118
	;; [unrolled: 1-line block ×3, first 2 shown]
	s_set_vgpr_msb 4                        ;  msbs: dst=0 src0=0 src1=1 src2=0
	v_add3_u32 v83, v83, v67 /*v323*/, v91
	s_set_vgpr_msb 1                        ;  msbs: dst=0 src0=1 src1=0 src2=0
	v_mul_i32_i24_e32 v91, v66 /*v322*/, v234
	s_set_vgpr_msb 0x41                     ;  msbs: dst=1 src0=1 src1=0 src2=0
	v_mul_i32_i24_e32 v67 /*v323*/, v65 /*v321*/, v231
	s_set_vgpr_msb 16                       ;  msbs: dst=0 src0=0 src1=0 src2=1
	v_pk_mul_f16 v85, v115, v87
	v_add3_u32 v83, v83, v90, v43 /*v299*/
	s_set_vgpr_msb 1                        ;  msbs: dst=0 src0=1 src1=0 src2=0
	v_mul_i32_i24_e32 v90, v63 /*v319*/, v233
	s_set_vgpr_msb 20                       ;  msbs: dst=0 src0=0 src1=1 src2=1
	s_delay_alu instid0(VALU_DEP_2)
	v_add3_u32 v83, v83, v71 /*v327*/, v68 /*v324*/
	s_set_vgpr_msb 0x41                     ;  msbs: dst=1 src0=1 src1=0 src2=0
	v_mul_i32_i24_e32 v68 /*v324*/, v44 /*v300*/, v147
	v_mul_i32_i24_e32 v71 /*v327*/, v47 /*v303*/, v149
	;; [unrolled: 1-line block ×4, first 2 shown]
	s_set_vgpr_msb 20                       ;  msbs: dst=0 src0=0 src1=1 src2=1
	v_add3_u32 v83, v83, v69 /*v325*/, v70 /*v326*/
	s_set_vgpr_msb 0x41                     ;  msbs: dst=1 src0=1 src1=0 src2=0
	v_mul_i32_i24_e32 v69 /*v325*/, v45 /*v301*/, v146
	v_mul_i32_i24_e32 v70 /*v326*/, v46 /*v302*/, v148
	s_set_vgpr_msb 0x50                     ;  msbs: dst=1 src0=0 src1=0 src2=1
	v_mad_i32_i24 v68 /*v324*/, v80, v145, v68 /*v324*/
	s_set_vgpr_msb 0x41                     ;  msbs: dst=1 src0=1 src1=0 src2=0
	v_mul_i32_i24_e32 v45 /*v301*/, v45 /*v301*/, v207
	s_set_vgpr_msb 20                       ;  msbs: dst=0 src0=0 src1=1 src2=1
	v_add3_u32 v83, v83, v75 /*v331*/, v73 /*v329*/
	s_set_vgpr_msb 0x41                     ;  msbs: dst=1 src0=1 src1=0 src2=0
	v_mul_i32_i24_e32 v73 /*v329*/, v49 /*v305*/, v151
	v_mul_i32_i24_e32 v75 /*v331*/, v50 /*v306*/, v153
	s_set_vgpr_msb 0x55                     ;  msbs: dst=1 src0=1 src1=1 src2=1
	v_add3_u32 v68 /*v324*/, v68 /*v324*/, v69 /*v325*/, v70 /*v326*/
	s_set_vgpr_msb 0x41                     ;  msbs: dst=1 src0=1 src1=0 src2=0
	v_mul_i32_i24_e32 v46 /*v302*/, v46 /*v302*/, v209
	s_set_vgpr_msb 20                       ;  msbs: dst=0 src0=0 src1=1 src2=1
	v_add3_u32 v83, v83, v72 /*v328*/, v74 /*v330*/
	s_set_vgpr_msb 0x41                     ;  msbs: dst=1 src0=1 src1=0 src2=0
	v_mul_i32_i24_e32 v72 /*v328*/, v48 /*v304*/, v150
	s_set_vgpr_msb 64                       ;  msbs: dst=1 src0=0 src1=0 src2=0
	v_mul_i32_i24_e32 v74 /*v330*/, v92, v152
	s_set_vgpr_msb 16                       ;  msbs: dst=0 src0=0 src1=0 src2=1
	v_mad_i32_i24 v80, v80, v206, v44 /*v300*/
	s_set_vgpr_msb 0x41                     ;  msbs: dst=1 src0=1 src1=0 src2=0
	v_mul_i32_i24_e32 v48 /*v304*/, v48 /*v304*/, v211
	s_set_vgpr_msb 20                       ;  msbs: dst=0 src0=0 src1=1 src2=1
	v_add3_u32 v83, v83, v79 /*v335*/, v76 /*v332*/
	s_set_vgpr_msb 0x41                     ;  msbs: dst=1 src0=1 src1=0 src2=0
	v_mul_i32_i24_e32 v76 /*v332*/, v51 /*v307*/, v154
	s_set_vgpr_msb 0x55                     ;  msbs: dst=1 src0=1 src1=1 src2=1
	v_add3_u32 v68 /*v324*/, v68 /*v324*/, v74 /*v330*/, v72 /*v328*/
	s_set_vgpr_msb 0x41                     ;  msbs: dst=1 src0=1 src1=0 src2=0
	v_mul_i32_i24_e32 v79 /*v335*/, v53 /*v309*/, v194
	s_set_vgpr_msb 0                        ;  msbs: dst=0 src0=0 src1=0 src2=0
	v_mul_i32_i24_e32 v92, v92, v213
	s_set_vgpr_msb 20                       ;  msbs: dst=0 src0=0 src1=1 src2=1
	v_add3_u32 v83, v83, v77 /*v333*/, v78 /*v334*/
	s_set_vgpr_msb 64                       ;  msbs: dst=1 src0=0 src1=0 src2=0
	v_mul_i32_i24_e32 v78 /*v334*/, v94, v155
	s_set_vgpr_msb 0x55                     ;  msbs: dst=1 src0=1 src1=1 src2=1
	v_add3_u32 v68 /*v324*/, v68 /*v324*/, v71 /*v327*/, v73 /*v329*/
	s_set_vgpr_msb 0x41                     ;  msbs: dst=1 src0=1 src1=0 src2=0
	v_mul_i32_i24_e32 v77 /*v333*/, v52 /*v308*/, v189
	s_set_vgpr_msb 20                       ;  msbs: dst=0 src0=0 src1=1 src2=1
	v_add3_u32 v80, v80, v45 /*v301*/, v46 /*v302*/
	v_add3_u32 v83, v83, v83 /*v339*/, v81 /*v337*/
	s_set_vgpr_msb 0x41                     ;  msbs: dst=1 src0=1 src1=0 src2=0
	v_mul_i32_i24_e32 v81 /*v337*/, v55 /*v311*/, v196
	s_set_vgpr_msb 0x55                     ;  msbs: dst=1 src0=1 src1=1 src2=1
	v_add3_u32 v68 /*v324*/, v68 /*v324*/, v78 /*v334*/, v75 /*v331*/
	s_set_vgpr_msb 0x41                     ;  msbs: dst=1 src0=1 src1=0 src2=0
	v_mul_i32_i24_e32 v83 /*v339*/, v56 /*v312*/, v197
	v_mul_i32_i24_e32 v49 /*v305*/, v49 /*v305*/, v212
	s_set_vgpr_msb 0x54                     ;  msbs: dst=1 src0=0 src1=1 src2=1
	v_add3_u32 v43 /*v299*/, v83, v80 /*v336*/, v82 /*v338*/
	s_set_vgpr_msb 0x41                     ;  msbs: dst=1 src0=1 src1=0 src2=0
	v_mul_i32_i24_e32 v80 /*v336*/, v54 /*v310*/, v193
	s_set_vgpr_msb 64                       ;  msbs: dst=1 src0=0 src1=0 src2=0
	v_mul_i32_i24_e32 v82 /*v338*/, v93, v195
	s_set_vgpr_msb 0x55                     ;  msbs: dst=1 src0=1 src1=1 src2=1
	v_add3_u32 v68 /*v324*/, v68 /*v324*/, v76 /*v332*/, v77 /*v333*/
	s_set_vgpr_msb 16                       ;  msbs: dst=0 src0=0 src1=0 src2=1
	v_add3_u32 v80, v80, v92, v48 /*v304*/
	s_set_vgpr_msb 0x41                     ;  msbs: dst=1 src0=1 src1=0 src2=0
	v_mul_i32_i24_e32 v50 /*v306*/, v50 /*v306*/, v214
	s_set_vgpr_msb 0                        ;  msbs: dst=0 src0=0 src1=0 src2=0
	v_mul_i32_i24_e32 v94, v94, v216
	s_set_vgpr_msb 0x41                     ;  msbs: dst=1 src0=1 src1=0 src2=0
	v_mul_i32_i24_e32 v51 /*v307*/, v51 /*v307*/, v215
	s_set_vgpr_msb 0x55                     ;  msbs: dst=1 src0=1 src1=1 src2=1
	v_add3_u32 v68 /*v324*/, v68 /*v324*/, v82 /*v338*/, v80 /*v336*/
	s_set_vgpr_msb 20                       ;  msbs: dst=0 src0=0 src1=1 src2=1
	v_add3_u32 v80, v80, v47 /*v303*/, v49 /*v305*/
	s_set_vgpr_msb 0x41                     ;  msbs: dst=1 src0=1 src1=0 src2=0
	v_mul_i32_i24_e32 v52 /*v308*/, v52 /*v308*/, v217
	v_mul_i32_i24_e32 v54 /*v310*/, v54 /*v310*/, v218
	s_set_vgpr_msb 0                        ;  msbs: dst=0 src0=0 src1=0 src2=0
	v_mul_i32_i24_e32 v93, v93, v220
	s_set_vgpr_msb 0x55                     ;  msbs: dst=1 src0=1 src1=1 src2=1
	v_add3_u32 v68 /*v324*/, v68 /*v324*/, v79 /*v335*/, v81 /*v337*/
	s_set_vgpr_msb 16                       ;  msbs: dst=0 src0=0 src1=0 src2=1
	v_add3_u32 v80, v80, v94, v50 /*v306*/
	s_set_vgpr_msb 0x41                     ;  msbs: dst=1 src0=1 src1=0 src2=0
	v_mul_i32_i24_e32 v53 /*v309*/, v53 /*v309*/, v219
	v_mul_i32_i24_e32 v55 /*v311*/, v55 /*v311*/, v221
	;; [unrolled: 1-line block ×3, first 2 shown]
	s_set_vgpr_msb 0x55                     ;  msbs: dst=1 src0=1 src1=1 src2=1
	v_add3_u32 v68 /*v324*/, v68 /*v324*/, v86 /*v342*/, v83 /*v339*/
	s_set_vgpr_msb 20                       ;  msbs: dst=0 src0=0 src1=1 src2=1
	v_add3_u32 v80, v80, v51 /*v307*/, v52 /*v308*/
	v_cvt_f32_f16_e32 v83, v85
	s_set_vgpr_msb 0x55                     ;  msbs: dst=1 src0=1 src1=1 src2=1
	v_add3_u32 v68 /*v324*/, v68 /*v324*/, v84 /*v340*/, v85 /*v341*/
	s_set_vgpr_msb 16                       ;  msbs: dst=0 src0=0 src1=0 src2=1
	v_add3_u32 v80, v80, v93, v54 /*v310*/
	s_set_vgpr_msb 0x55                     ;  msbs: dst=1 src0=1 src1=1 src2=1
	s_delay_alu instid0(VALU_DEP_2) | instskip(SKIP_1) | instid1(VALU_DEP_2)
	v_add3_u32 v68 /*v324*/, v68 /*v324*/, v90 /*v346*/, v88 /*v344*/
	s_set_vgpr_msb 20                       ;  msbs: dst=0 src0=0 src1=1 src2=1
	v_add3_u32 v80, v80, v53 /*v309*/, v55 /*v311*/
	s_set_vgpr_msb 0x55                     ;  msbs: dst=1 src0=1 src1=1 src2=1
	s_delay_alu instid0(VALU_DEP_2) | instskip(SKIP_1) | instid1(VALU_DEP_2)
	v_add3_u32 v68 /*v324*/, v68 /*v324*/, v87 /*v343*/, v89 /*v345*/
	s_set_vgpr_msb 16                       ;  msbs: dst=0 src0=0 src1=0 src2=1
	v_add3_u32 v80, v80, v95, v56 /*v312*/
	s_set_vgpr_msb 0x55                     ;  msbs: dst=1 src0=1 src1=1 src2=1
	s_delay_alu instid0(VALU_DEP_2) | instskip(SKIP_1) | instid1(VALU_DEP_2)
	v_add3_u32 v68 /*v324*/, v68 /*v324*/, v94 /*v350*/, v91 /*v347*/
	s_set_vgpr_msb 20                       ;  msbs: dst=0 src0=0 src1=1 src2=1
	v_add3_u32 v80, v80, v57 /*v313*/, v58 /*v314*/
	s_set_vgpr_msb 0x55                     ;  msbs: dst=1 src0=1 src1=1 src2=1
	s_delay_alu instid0(VALU_DEP_2) | instskip(SKIP_1) | instid1(VALU_DEP_2)
	v_add3_u32 v68 /*v324*/, v68 /*v324*/, v92 /*v348*/, v93 /*v349*/
	s_set_vgpr_msb 20                       ;  msbs: dst=0 src0=0 src1=1 src2=1
	v_add3_u32 v80, v80, v62 /*v318*/, v60 /*v316*/
	s_set_vgpr_msb 1                        ;  msbs: dst=0 src0=1 src1=0 src2=0
	s_delay_alu instid0(VALU_DEP_2)
	v_add3_u32 v89, v68 /*v324*/, v89, v90
	s_set_vgpr_msb 0                        ;  msbs: dst=0 src0=0 src1=0 src2=0
	v_pk_mul_f16 v90, v144, v87
	s_set_vgpr_msb 20                       ;  msbs: dst=0 src0=0 src1=1 src2=1
	v_add3_u32 v80, v80, v59 /*v315*/, v61 /*v317*/
	s_set_vgpr_msb 16                       ;  msbs: dst=0 src0=0 src1=0 src2=1
	v_pk_mul_f16 v87, v205, v87
	v_add3_u32 v89, v89, v91, v67 /*v323*/
	s_set_vgpr_msb 1                        ;  msbs: dst=0 src0=1 src1=0 src2=0
	v_mul_i32_i24_e32 v91, v65 /*v321*/, v239
	s_set_vgpr_msb 0x41                     ;  msbs: dst=1 src0=1 src1=0 src2=0
	v_mul_i32_i24_e32 v65 /*v321*/, v37 /*v293*/, v238
	s_set_vgpr_msb 0                        ;  msbs: dst=0 src0=0 src1=0 src2=0
	v_cvt_f32_i32_e32 v89, v89
	s_delay_alu instid0(VALU_DEP_1)
	v_fma_mix_f32 v89, v90, v89, v90 op_sel:[0,0,1] op_sel_hi:[1,0,1]
	s_set_vgpr_msb 1                        ;  msbs: dst=0 src0=1 src1=0 src2=0
	v_mul_i32_i24_e32 v90, v66 /*v322*/, v242
	s_set_vgpr_msb 0x41                     ;  msbs: dst=1 src0=1 src1=0 src2=0
	v_mul_i32_i24_e32 v66 /*v322*/, v38 /*v294*/, v245
	s_set_vgpr_msb 0                        ;  msbs: dst=0 src0=0 src1=0 src2=0
	v_pk_add_f32 v[24:25], v[24:25], v[88:89]
	s_set_vgpr_msb 1                        ;  msbs: dst=0 src0=1 src1=0 src2=0
	v_mul_i32_i24_e32 v89, v63 /*v319*/, v241
	s_set_vgpr_msb 0x41                     ;  msbs: dst=1 src0=1 src1=0 src2=0
	v_mul_i32_i24_e32 v63 /*v319*/, v35 /*v291*/, v243
	s_set_vgpr_msb 1                        ;  msbs: dst=0 src0=1 src1=0 src2=0
	v_mul_i32_i24_e32 v88, v64 /*v320*/, v240
	s_set_vgpr_msb 0x41                     ;  msbs: dst=1 src0=1 src1=0 src2=0
	v_mul_i32_i24_e32 v64 /*v320*/, v36 /*v292*/, v244
	s_set_vgpr_msb 20                       ;  msbs: dst=0 src0=0 src1=1 src2=1
	v_add3_u32 v80, v80, v66 /*v322*/, v63 /*v319*/
	s_delay_alu instid0(VALU_DEP_1) | instskip(SKIP_1) | instid1(VALU_DEP_1)
	v_add3_u32 v80, v80, v64 /*v320*/, v65 /*v321*/
	s_set_vgpr_msb 0                        ;  msbs: dst=0 src0=0 src1=0 src2=0
	v_add3_u32 v80, v80, v88, v89
	s_delay_alu instid0(VALU_DEP_1) | instskip(NEXT) | instid1(VALU_DEP_1)
	v_add3_u32 v80, v80, v90, v91
	v_cvt_f32_i32_e32 v80, v80
	s_delay_alu instid0(VALU_DEP_1) | instskip(SKIP_1) | instid1(VALU_DEP_2)
	v_fma_mix_f32 v87, v87, v80, v87 op_sel:[0,0,1] op_sel_hi:[1,0,1]
	v_add_nc_u32_e32 v80, 0x1004, v97
	v_pk_add_f32 v[22:23], v[22:23], v[86:87]
	ds_load_2addr_b32 v[86:87], v80 offset1:1
	v_add_nc_u32_e32 v80, 0x1014, v97
	v_lshrrev_b32_e32 v85, 16, v85
	ds_load_2addr_b32 v[88:89], v80 offset1:1
	v_add_nc_u32_e32 v80, 0x1000, v97
	ds_load_2addr_b32 v[92:93], v80 offset1:3
	ds_load_2addr_b32 v[94:95], v80 offset0:4 offset1:7
	ds_load_2addr_b32 v[90:91], v96 offset0:128 offset1:160
	s_wait_dscnt 0x4
	s_set_vgpr_msb 64                       ;  msbs: dst=1 src0=0 src1=0 src2=0
	v_bfe_i32 v57 /*v313*/, v86, 8, 8
	v_ashrrev_i32_e32 v59 /*v315*/, 24, v86
	v_bfe_i32 v56 /*v312*/, v86, 0, 8
	v_bfe_i32 v58 /*v314*/, v86, 16, 8
	;; [unrolled: 1-line block ×3, first 2 shown]
	s_set_vgpr_msb 0x45                     ;  msbs: dst=1 src0=1 src1=1 src2=0
	v_mul_i32_i24_e32 v52 /*v308*/, v57 /*v313*/, v15 /*v271*/
	s_wait_dscnt 0x3
	s_set_vgpr_msb 64                       ;  msbs: dst=1 src0=0 src1=0 src2=0
	v_bfe_i32 v60 /*v316*/, v88, 0, 8
	v_ashrrev_i32_e32 v63 /*v319*/, 24, v88
	s_set_vgpr_msb 0x45                     ;  msbs: dst=1 src0=1 src1=1 src2=0
	v_mul_i32_i24_e32 v51 /*v307*/, v56 /*v312*/, v17 /*v273*/
	v_mul_i32_i24_e32 v76 /*v332*/, v58 /*v314*/, v16 /*v272*/
	s_set_vgpr_msb 64                       ;  msbs: dst=1 src0=0 src1=0 src2=0
	v_bfe_i32 v61 /*v317*/, v88, 8, 8
	s_wait_dscnt 0x1
	v_bfe_i32 v53 /*v309*/, v94, 8, 8
	s_set_vgpr_msb 0                        ;  msbs: dst=0 src0=0 src1=0 src2=0
	v_bfe_i32 v80, v94, 0, 8
	s_set_vgpr_msb 64                       ;  msbs: dst=1 src0=0 src1=0 src2=0
	v_bfe_i32 v54 /*v310*/, v94, 16, 8
	v_dual_ashrrev_i32 v55 /*v311*/, 24, v94 :: v_dual_ashrrev_i32 v47 /*v303*/, 24, v95
	s_set_vgpr_msb 0x45                     ;  msbs: dst=1 src0=1 src1=1 src2=0
	v_mul_i32_i24_e32 v48 /*v304*/, v13 /*v269*/, v53 /*v309*/
	s_set_vgpr_msb 0x41                     ;  msbs: dst=1 src0=1 src1=0 src2=0
	v_mul_i32_i24_e32 v77 /*v333*/, v59 /*v315*/, v113
	s_set_vgpr_msb 0x45                     ;  msbs: dst=1 src0=1 src1=1 src2=0
	v_mul_i32_i24_e32 v49 /*v305*/, v14 /*v270*/, v54 /*v310*/
	s_set_vgpr_msb 0x44                     ;  msbs: dst=1 src0=0 src1=1 src2=0
	v_mul_i32_i24_e32 v50 /*v306*/, v111, v55 /*v311*/
	v_bfe_i32 v62 /*v318*/, v88, 16, 8
	s_set_vgpr_msb 0x51                     ;  msbs: dst=1 src0=1 src1=0 src2=1
	v_mad_i32_i24 v48 /*v304*/, v12 /*v268*/, v80, v48 /*v304*/
	s_set_vgpr_msb 0x45                     ;  msbs: dst=1 src0=1 src1=1 src2=0
	v_mul_i32_i24_e32 v78 /*v334*/, v60 /*v316*/, v20 /*v276*/
	s_set_vgpr_msb 0x41                     ;  msbs: dst=1 src0=1 src1=0 src2=0
	v_mul_i32_i24_e32 v81 /*v337*/, v63 /*v319*/, v109
	s_set_vgpr_msb 64                       ;  msbs: dst=1 src0=0 src1=0 src2=0
	v_bfe_i32 v65 /*v321*/, v87, 8, 8
	v_bfe_i32 v66 /*v322*/, v87, 16, 8
	s_set_vgpr_msb 0x55                     ;  msbs: dst=1 src0=1 src1=1 src2=1
	v_add3_u32 v48 /*v304*/, v48 /*v304*/, v49 /*v305*/, v50 /*v306*/
	s_set_vgpr_msb 0                        ;  msbs: dst=0 src0=0 src1=0 src2=0
	v_ashrrev_i32_e32 v87, 24, v87
	s_set_vgpr_msb 0x55                     ;  msbs: dst=1 src0=1 src1=1 src2=1
	v_mul_i32_i24_e32 v79 /*v335*/, v61 /*v317*/, v18 /*v274*/
	v_mul_i32_i24_e32 v80 /*v336*/, v62 /*v318*/, v19 /*v275*/
	v_mul_i32_i24_e32 v83 /*v339*/, v65 /*v321*/, v21 /*v277*/
	v_add3_u32 v48 /*v304*/, v48 /*v304*/, v77 /*v333*/, v52 /*v308*/
	s_set_vgpr_msb 64                       ;  msbs: dst=1 src0=0 src1=0 src2=0
	v_mul_i32_i24_e32 v85 /*v341*/, v87, v114
	v_bfe_i32 v67 /*v323*/, v89, 0, 8
	v_bfe_i32 v68 /*v324*/, v89, 8, 8
	v_bfe_i32 v69 /*v325*/, v89, 16, 8
	s_set_vgpr_msb 0x55                     ;  msbs: dst=1 src0=1 src1=1 src2=1
	v_add3_u32 v48 /*v304*/, v48 /*v304*/, v51 /*v307*/, v76 /*v332*/
	s_set_vgpr_msb 0                        ;  msbs: dst=0 src0=0 src1=0 src2=0
	v_ashrrev_i32_e32 v89, 24, v89
	s_set_vgpr_msb 0x55                     ;  msbs: dst=1 src0=1 src1=1 src2=1
	v_mul_i32_i24_e32 v82 /*v338*/, v64 /*v320*/, v23 /*v279*/
	v_mul_i32_i24_e32 v84 /*v340*/, v66 /*v322*/, v22 /*v278*/
	v_mul_i32_i24_e32 v86 /*v342*/, v67 /*v323*/, v30 /*v286*/
	v_add3_u32 v48 /*v304*/, v48 /*v304*/, v81 /*v337*/, v78 /*v334*/
	s_set_vgpr_msb 64                       ;  msbs: dst=1 src0=0 src1=0 src2=0
	v_mul_i32_i24_e32 v89 /*v345*/, v89, v110
	v_bfe_i32 v70 /*v326*/, v93, 0, 8
	;; [unrolled: 14-line block ×3, first 2 shown]
	s_set_vgpr_msb 0x55                     ;  msbs: dst=1 src0=1 src1=1 src2=1
	v_mul_i32_i24_e32 v90 /*v346*/, v70 /*v326*/, v33 /*v289*/
	v_mul_i32_i24_e32 v92 /*v348*/, v72 /*v328*/, v32 /*v288*/
	v_add3_u32 v48 /*v304*/, v48 /*v304*/, v82 /*v338*/, v84 /*v340*/
	s_set_vgpr_msb 64                       ;  msbs: dst=1 src0=0 src1=0 src2=0
	v_bfe_i32 v45 /*v301*/, v95, 8, 8
	v_bfe_i32 v46 /*v302*/, v95, 16, 8
	s_set_vgpr_msb 0x55                     ;  msbs: dst=1 src0=1 src1=1 src2=1
	v_mul_i32_i24_e32 v94 /*v350*/, v44 /*v300*/, v3 /*v259*/
	v_mul_i32_i24_e32 v97 /*v353*/, v47 /*v303*/, v5 /*v261*/
	v_add3_u32 v48 /*v304*/, v48 /*v304*/, v89 /*v345*/, v86 /*v342*/
	s_set_vgpr_msb 0                        ;  msbs: dst=0 src0=0 src1=0 src2=0
	v_bfe_i32 v95, v92, 8, 8
	s_set_vgpr_msb 64                       ;  msbs: dst=1 src0=0 src1=0 src2=0
	v_bfe_i32 v73 /*v329*/, v92, 0, 8
	s_set_vgpr_msb 0x45                     ;  msbs: dst=1 src0=1 src1=1 src2=0
	v_mul_i32_i24_e32 v95 /*v351*/, v45 /*v301*/, v4 /*v260*/
	s_set_vgpr_msb 0x41                     ;  msbs: dst=1 src0=1 src1=0 src2=0
	v_mul_i32_i24_e32 v96 /*v352*/, v46 /*v302*/, v250
	s_set_vgpr_msb 0x55                     ;  msbs: dst=1 src0=1 src1=1 src2=1
	v_add3_u32 v48 /*v304*/, v48 /*v304*/, v87 /*v343*/, v88 /*v344*/
	s_set_vgpr_msb 1                        ;  msbs: dst=0 src0=1 src1=0 src2=0
	v_mul_i32_i24_e32 v88, v1 /*v257*/, v95
	s_set_vgpr_msb 4                        ;  msbs: dst=0 src0=0 src1=1 src2=0
	v_mul_i32_i24_e32 v86, v253, v73 /*v329*/
	s_set_vgpr_msb 64                       ;  msbs: dst=1 src0=0 src1=0 src2=0
	v_ashrrev_i32_e32 v74 /*v330*/, 24, v92
	v_bfe_i32 v75 /*v331*/, v92, 16, 8
	s_set_vgpr_msb 0x55                     ;  msbs: dst=1 src0=1 src1=1 src2=1
	v_add3_u32 v48 /*v304*/, v48 /*v304*/, v93 /*v349*/, v91 /*v347*/
	s_set_vgpr_msb 0x41                     ;  msbs: dst=1 src0=1 src1=0 src2=0
	v_mul_i32_i24_e32 v76 /*v332*/, v57 /*v313*/, v125
	v_mul_i32_i24_e32 v78 /*v334*/, v59 /*v315*/, v127
	s_set_vgpr_msb 4                        ;  msbs: dst=0 src0=0 src1=1 src2=0
	v_mul_i32_i24_e32 v94, v251, v74 /*v330*/
	s_set_vgpr_msb 5                        ;  msbs: dst=0 src0=1 src1=1 src2=0
	v_mul_i32_i24_e32 v92, v2 /*v258*/, v75 /*v331*/
	s_set_vgpr_msb 0x55                     ;  msbs: dst=1 src0=1 src1=1 src2=1
	v_add3_u32 v48 /*v304*/, v48 /*v304*/, v90 /*v346*/, v92 /*v348*/
	s_set_vgpr_msb 0x41                     ;  msbs: dst=1 src0=1 src1=0 src2=0
	v_mul_i32_i24_e32 v52 /*v308*/, v56 /*v312*/, v124
	v_mul_i32_i24_e32 v77 /*v333*/, v58 /*v314*/, v126
	;; [unrolled: 1-line block ×4, first 2 shown]
	s_set_vgpr_msb 0x55                     ;  msbs: dst=1 src0=1 src1=1 src2=1
	v_add3_u32 v48 /*v304*/, v48 /*v304*/, v97 /*v353*/, v94 /*v350*/
	s_set_vgpr_msb 0x41                     ;  msbs: dst=1 src0=1 src1=0 src2=0
	v_mul_i32_i24_e32 v80 /*v336*/, v61 /*v317*/, v129
	v_mul_i32_i24_e32 v81 /*v337*/, v62 /*v318*/, v131
	;; [unrolled: 1-line block ×3, first 2 shown]
	s_set_vgpr_msb 64                       ;  msbs: dst=1 src0=0 src1=0 src2=0
	v_mul_i32_i24_e32 v86 /*v342*/, v87, v134
	s_set_vgpr_msb 0x55                     ;  msbs: dst=1 src0=1 src1=1 src2=1
	v_add3_u32 v48 /*v304*/, v48 /*v304*/, v95 /*v351*/, v96 /*v352*/
	s_set_vgpr_msb 0x41                     ;  msbs: dst=1 src0=1 src1=0 src2=0
	v_mul_i32_i24_e32 v83 /*v339*/, v64 /*v320*/, v133
	v_mul_i32_i24_e32 v85 /*v341*/, v66 /*v322*/, v135
	;; [unrolled: 1-line block ×3, first 2 shown]
	s_set_vgpr_msb 64                       ;  msbs: dst=1 src0=0 src1=0 src2=0
	v_mul_i32_i24_e32 v90 /*v346*/, v89, v138
	s_set_vgpr_msb 1                        ;  msbs: dst=0 src0=1 src1=0 src2=0
	v_add3_u32 v86, v48 /*v304*/, v86, v88
	s_wait_dscnt 0x0
	s_set_vgpr_msb 0                        ;  msbs: dst=0 src0=0 src1=0 src2=0
	v_pk_mul_f16 v88, v108, v90
	s_set_vgpr_msb 0x41                     ;  msbs: dst=1 src0=1 src1=0 src2=0
	v_mul_i32_i24_e32 v88 /*v344*/, v68 /*v324*/, v137
	v_mul_i32_i24_e32 v89 /*v345*/, v69 /*v325*/, v139
	;; [unrolled: 1-line block ×3, first 2 shown]
	s_set_vgpr_msb 0                        ;  msbs: dst=0 src0=0 src1=0 src2=0
	v_add3_u32 v86, v86, v92, v94
	s_set_vgpr_msb 1                        ;  msbs: dst=0 src0=1 src1=0 src2=0
	v_mul_i32_i24_e32 v92, v55 /*v311*/, v123
	s_set_vgpr_msb 64                       ;  msbs: dst=1 src0=0 src1=0 src2=0
	v_mul_i32_i24_e32 v94 /*v350*/, v93, v143
	s_set_vgpr_msb 0x41                     ;  msbs: dst=1 src0=1 src1=0 src2=0
	v_mul_i32_i24_e32 v91 /*v347*/, v70 /*v326*/, v141
	v_mul_i32_i24_e32 v93 /*v349*/, v72 /*v328*/, v142
	s_set_vgpr_msb 0                        ;  msbs: dst=0 src0=0 src1=0 src2=0
	v_cvt_f32_i32_e32 v86, v86
	s_set_vgpr_msb 0x41                     ;  msbs: dst=1 src0=1 src1=0 src2=0
	v_mul_i32_i24_e32 v95 /*v351*/, v68 /*v324*/, v198
	v_mul_i32_i24_e32 v96 /*v352*/, v69 /*v325*/, v200
	;; [unrolled: 1-line block ×3, first 2 shown]
	s_set_vgpr_msb 64                       ;  msbs: dst=1 src0=0 src1=0 src2=0
	v_mul_i32_i24_e32 v101 /*v357*/, v93, v204
	s_set_vgpr_msb 0                        ;  msbs: dst=0 src0=0 src1=0 src2=0
	v_fma_mix_f32 v94, v88, v86, v88 op_sel:[0,0,1] op_sel_hi:[1,0,1]
	s_set_vgpr_msb 1                        ;  msbs: dst=0 src0=1 src1=0 src2=0
	v_mul_i32_i24_e32 v86, v53 /*v309*/, v122
	v_mul_i32_i24_e32 v88, v54 /*v310*/, v121
	s_set_vgpr_msb 0x41                     ;  msbs: dst=1 src0=1 src1=0 src2=0
	v_mul_i32_i24_e32 v98 /*v354*/, v70 /*v326*/, v202
	v_mul_i32_i24_e32 v100 /*v356*/, v72 /*v328*/, v203
	;; [unrolled: 1-line block ×3, first 2 shown]
	s_set_vgpr_msb 0                        ;  msbs: dst=0 src0=0 src1=0 src2=0
	v_mad_i32_i24 v86, v80, v120, v86
	s_set_vgpr_msb 0x41                     ;  msbs: dst=1 src0=1 src1=0 src2=0
	v_mul_i32_i24_e32 v105 /*v361*/, v47 /*v303*/, v237
	v_mul_i32_i24_e32 v103 /*v359*/, v45 /*v301*/, v236
	;; [unrolled: 1-line block ×4, first 2 shown]
	s_set_vgpr_msb 0                        ;  msbs: dst=0 src0=0 src1=0 src2=0
	v_add3_u32 v86, v86, v88, v92
	v_pk_mul_f16 v88, v115, v90
	s_set_vgpr_msb 1                        ;  msbs: dst=0 src0=1 src1=0 src2=0
	v_mul_i32_i24_e32 v92, v73 /*v329*/, v232
	s_set_vgpr_msb 0x41                     ;  msbs: dst=1 src0=1 src1=0 src2=0
	v_mul_i32_i24_e32 v69 /*v325*/, v69 /*v325*/, v225
	v_mul_i32_i24_e32 v71 /*v327*/, v71 /*v327*/, v226
	s_set_vgpr_msb 20                       ;  msbs: dst=0 src0=0 src1=1 src2=1
	v_add3_u32 v86, v86, v78 /*v334*/, v76 /*v332*/
	s_set_vgpr_msb 64                       ;  msbs: dst=1 src0=0 src1=0 src2=0
	v_mul_i32_i24_e32 v76 /*v332*/, v95, v233
	s_set_vgpr_msb 0x41                     ;  msbs: dst=1 src0=1 src1=0 src2=0
	v_mul_i32_i24_e32 v78 /*v334*/, v74 /*v330*/, v231
	s_set_vgpr_msb 0                        ;  msbs: dst=0 src0=0 src1=0 src2=0
	v_mul_i32_i24_e32 v93, v93, v229
	s_set_vgpr_msb 0x41                     ;  msbs: dst=1 src0=1 src1=0 src2=0
	v_mul_i32_i24_e32 v70 /*v326*/, v70 /*v326*/, v227
	s_set_vgpr_msb 20                       ;  msbs: dst=0 src0=0 src1=1 src2=1
	v_add3_u32 v86, v86, v52 /*v308*/, v77 /*v333*/
	s_set_vgpr_msb 0x41                     ;  msbs: dst=1 src0=1 src1=0 src2=0
	v_mul_i32_i24_e32 v77 /*v333*/, v75 /*v331*/, v234
	v_mul_i32_i24_e32 v72 /*v328*/, v72 /*v328*/, v228
	;; [unrolled: 1-line block ×3, first 2 shown]
	s_set_vgpr_msb 64                       ;  msbs: dst=1 src0=0 src1=0 src2=0
	v_mul_i32_i24_e32 v49 /*v305*/, v95, v119
	s_set_vgpr_msb 20                       ;  msbs: dst=0 src0=0 src1=1 src2=1
	v_add3_u32 v86, v86, v82 /*v338*/, v79 /*v335*/
	s_set_vgpr_msb 0x41                     ;  msbs: dst=1 src0=1 src1=0 src2=0
	v_mul_i32_i24_e32 v79 /*v335*/, v53 /*v309*/, v147
	v_mul_i32_i24_e32 v82 /*v338*/, v56 /*v312*/, v149
	;; [unrolled: 1-line block ×4, first 2 shown]
	s_set_vgpr_msb 20                       ;  msbs: dst=0 src0=0 src1=1 src2=1
	v_add3_u32 v86, v86, v80 /*v336*/, v81 /*v337*/
	s_set_vgpr_msb 0x41                     ;  msbs: dst=1 src0=1 src1=0 src2=0
	v_mul_i32_i24_e32 v80 /*v336*/, v54 /*v310*/, v146
	v_mul_i32_i24_e32 v81 /*v337*/, v55 /*v311*/, v148
	s_set_vgpr_msb 0x50                     ;  msbs: dst=1 src0=0 src1=0 src2=1
	v_mad_i32_i24 v79 /*v335*/, v80, v145, v79 /*v335*/
	s_set_vgpr_msb 0x41                     ;  msbs: dst=1 src0=1 src1=0 src2=0
	v_mul_i32_i24_e32 v54 /*v310*/, v54 /*v310*/, v207
	s_set_vgpr_msb 20                       ;  msbs: dst=0 src0=0 src1=1 src2=1
	v_add3_u32 v86, v86, v86 /*v342*/, v84 /*v340*/
	s_set_vgpr_msb 0x41                     ;  msbs: dst=1 src0=1 src1=0 src2=0
	v_mul_i32_i24_e32 v84 /*v340*/, v58 /*v314*/, v151
	v_mul_i32_i24_e32 v86 /*v342*/, v60 /*v316*/, v153
	s_set_vgpr_msb 0x55                     ;  msbs: dst=1 src0=1 src1=1 src2=1
	v_add3_u32 v79 /*v335*/, v79 /*v335*/, v80 /*v336*/, v81 /*v337*/
	s_set_vgpr_msb 0x41                     ;  msbs: dst=1 src0=1 src1=0 src2=0
	v_mul_i32_i24_e32 v55 /*v311*/, v55 /*v311*/, v209
	s_set_vgpr_msb 20                       ;  msbs: dst=0 src0=0 src1=1 src2=1
	v_add3_u32 v86, v86, v83 /*v339*/, v85 /*v341*/
	s_set_vgpr_msb 0x41                     ;  msbs: dst=1 src0=1 src1=0 src2=0
	v_mul_i32_i24_e32 v83 /*v339*/, v57 /*v313*/, v150
	v_mul_i32_i24_e32 v85 /*v341*/, v59 /*v315*/, v152
	s_set_vgpr_msb 16                       ;  msbs: dst=0 src0=0 src1=0 src2=1
	v_mad_i32_i24 v80, v80, v206, v53 /*v309*/
	s_set_vgpr_msb 0x41                     ;  msbs: dst=1 src0=1 src1=0 src2=0
	v_mul_i32_i24_e32 v57 /*v313*/, v57 /*v313*/, v211
	s_set_vgpr_msb 20                       ;  msbs: dst=0 src0=0 src1=1 src2=1
	v_add3_u32 v86, v86, v90 /*v346*/, v87 /*v343*/
	s_set_vgpr_msb 0x41                     ;  msbs: dst=1 src0=1 src1=0 src2=0
	v_mul_i32_i24_e32 v87 /*v343*/, v61 /*v317*/, v154
	s_set_vgpr_msb 0x55                     ;  msbs: dst=1 src0=1 src1=1 src2=1
	v_add3_u32 v79 /*v335*/, v79 /*v335*/, v85 /*v341*/, v83 /*v339*/
	s_set_vgpr_msb 0x41                     ;  msbs: dst=1 src0=1 src1=0 src2=0
	v_mul_i32_i24_e32 v90 /*v346*/, v64 /*v320*/, v194
	v_mul_i32_i24_e32 v59 /*v315*/, v59 /*v315*/, v213
	s_set_vgpr_msb 20                       ;  msbs: dst=0 src0=0 src1=1 src2=1
	v_add3_u32 v86, v86, v88 /*v344*/, v89 /*v345*/
	s_set_vgpr_msb 0x41                     ;  msbs: dst=1 src0=1 src1=0 src2=0
	v_mul_i32_i24_e32 v89 /*v345*/, v63 /*v319*/, v155
	s_set_vgpr_msb 0x55                     ;  msbs: dst=1 src0=1 src1=1 src2=1
	v_add3_u32 v79 /*v335*/, v79 /*v335*/, v82 /*v338*/, v84 /*v340*/
	s_set_vgpr_msb 0x41                     ;  msbs: dst=1 src0=1 src1=0 src2=0
	v_mul_i32_i24_e32 v88 /*v344*/, v62 /*v318*/, v189
	s_set_vgpr_msb 20                       ;  msbs: dst=0 src0=0 src1=1 src2=1
	v_add3_u32 v80, v80, v54 /*v310*/, v55 /*v311*/
	v_add3_u32 v86, v86, v94 /*v350*/, v92 /*v348*/
	s_set_vgpr_msb 0x41                     ;  msbs: dst=1 src0=1 src1=0 src2=0
	v_mul_i32_i24_e32 v92 /*v348*/, v66 /*v322*/, v196
	s_set_vgpr_msb 0x55                     ;  msbs: dst=1 src0=1 src1=1 src2=1
	v_add3_u32 v79 /*v335*/, v79 /*v335*/, v89 /*v345*/, v86 /*v342*/
	s_set_vgpr_msb 0x41                     ;  msbs: dst=1 src0=1 src1=0 src2=0
	v_mul_i32_i24_e32 v94 /*v350*/, v67 /*v323*/, v197
	v_mul_i32_i24_e32 v58 /*v314*/, v58 /*v314*/, v212
	s_set_vgpr_msb 0x54                     ;  msbs: dst=1 src0=0 src1=1 src2=1
	v_add3_u32 v52 /*v308*/, v86, v91 /*v347*/, v93 /*v349*/
	s_set_vgpr_msb 0x41                     ;  msbs: dst=1 src0=1 src1=0 src2=0
	v_mul_i32_i24_e32 v91 /*v347*/, v65 /*v321*/, v193
	s_set_vgpr_msb 64                       ;  msbs: dst=1 src0=0 src1=0 src2=0
	v_mul_i32_i24_e32 v93 /*v349*/, v87, v195
	s_set_vgpr_msb 0x55                     ;  msbs: dst=1 src0=1 src1=1 src2=1
	v_add3_u32 v79 /*v335*/, v79 /*v335*/, v87 /*v343*/, v88 /*v344*/
	s_set_vgpr_msb 0                        ;  msbs: dst=0 src0=0 src1=0 src2=0
	v_cvt_f32_f16_e32 v86, v88
	v_lshrrev_b32_e32 v88, 16, v88
	s_set_vgpr_msb 64                       ;  msbs: dst=1 src0=0 src1=0 src2=0
	v_mul_i32_i24_e32 v97 /*v353*/, v89, v199
	s_set_vgpr_msb 20                       ;  msbs: dst=0 src0=0 src1=1 src2=1
	v_add3_u32 v80, v80, v59 /*v315*/, v57 /*v313*/
	s_set_vgpr_msb 0x55                     ;  msbs: dst=1 src0=1 src1=1 src2=1
	v_add3_u32 v79 /*v335*/, v79 /*v335*/, v93 /*v349*/, v91 /*v347*/
	s_set_vgpr_msb 0x41                     ;  msbs: dst=1 src0=1 src1=0 src2=0
	v_mul_i32_i24_e32 v60 /*v316*/, v60 /*v316*/, v214
	v_mul_i32_i24_e32 v63 /*v319*/, v63 /*v319*/, v216
	;; [unrolled: 1-line block ×3, first 2 shown]
	s_set_vgpr_msb 20                       ;  msbs: dst=0 src0=0 src1=1 src2=1
	v_add3_u32 v80, v80, v56 /*v312*/, v58 /*v314*/
	s_set_vgpr_msb 0x55                     ;  msbs: dst=1 src0=1 src1=1 src2=1
	v_add3_u32 v79 /*v335*/, v79 /*v335*/, v90 /*v346*/, v92 /*v348*/
	s_set_vgpr_msb 0x41                     ;  msbs: dst=1 src0=1 src1=0 src2=0
	v_mul_i32_i24_e32 v62 /*v318*/, v62 /*v318*/, v217
	v_mul_i32_i24_e32 v65 /*v321*/, v65 /*v321*/, v218
	s_set_vgpr_msb 0                        ;  msbs: dst=0 src0=0 src1=0 src2=0
	v_mul_i32_i24_e32 v87, v87, v220
	s_set_vgpr_msb 20                       ;  msbs: dst=0 src0=0 src1=1 src2=1
	v_add3_u32 v80, v80, v63 /*v319*/, v60 /*v316*/
	s_set_vgpr_msb 0x55                     ;  msbs: dst=1 src0=1 src1=1 src2=1
	v_add3_u32 v79 /*v335*/, v79 /*v335*/, v97 /*v353*/, v94 /*v350*/
	s_set_vgpr_msb 0x41                     ;  msbs: dst=1 src0=1 src1=0 src2=0
	v_mul_i32_i24_e32 v64 /*v320*/, v64 /*v320*/, v219
	v_mul_i32_i24_e32 v66 /*v322*/, v66 /*v322*/, v221
	;; [unrolled: 1-line block ×3, first 2 shown]
	s_set_vgpr_msb 20                       ;  msbs: dst=0 src0=0 src1=1 src2=1
	v_add3_u32 v80, v80, v61 /*v317*/, v62 /*v318*/
	s_set_vgpr_msb 0x55                     ;  msbs: dst=1 src0=1 src1=1 src2=1
	v_add3_u32 v79 /*v335*/, v79 /*v335*/, v95 /*v351*/, v96 /*v352*/
	s_set_vgpr_msb 0                        ;  msbs: dst=0 src0=0 src1=0 src2=0
	v_mul_i32_i24_e32 v89, v89, v224
	s_set_vgpr_msb 0x41                     ;  msbs: dst=1 src0=1 src1=0 src2=0
	v_mul_i32_i24_e32 v73 /*v329*/, v73 /*v329*/, v240
	s_set_vgpr_msb 16                       ;  msbs: dst=0 src0=0 src1=0 src2=1
	v_mul_i32_i24_e32 v95, v95, v241
	v_add3_u32 v80, v80, v87, v65 /*v321*/
	s_set_vgpr_msb 0x55                     ;  msbs: dst=1 src0=1 src1=1 src2=1
	v_add3_u32 v79 /*v335*/, v79 /*v335*/, v101 /*v357*/, v99 /*v355*/
	s_set_vgpr_msb 0x41                     ;  msbs: dst=1 src0=1 src1=0 src2=0
	v_mul_i32_i24_e32 v50 /*v306*/, v75 /*v331*/, v116
	v_mul_i32_i24_e32 v51 /*v307*/, v74 /*v330*/, v117
	;; [unrolled: 1-line block ×3, first 2 shown]
	s_set_vgpr_msb 20                       ;  msbs: dst=0 src0=0 src1=1 src2=1
	v_add3_u32 v80, v80, v64 /*v320*/, v66 /*v322*/
	s_set_vgpr_msb 0x55                     ;  msbs: dst=1 src0=1 src1=1 src2=1
	v_add3_u32 v79 /*v335*/, v79 /*v335*/, v98 /*v354*/, v100 /*v356*/
	s_set_vgpr_msb 0x41                     ;  msbs: dst=1 src0=1 src1=0 src2=0
	v_mul_i32_i24_e32 v74 /*v330*/, v74 /*v330*/, v239
	s_set_vgpr_msb 16                       ;  msbs: dst=0 src0=0 src1=0 src2=1
	v_pk_mul_f16 v87, v205, v90
	v_cvt_f32_f16_e32 v85, v85
	v_add3_u32 v80, v80, v89, v67 /*v323*/
	s_set_vgpr_msb 0x55                     ;  msbs: dst=1 src0=1 src1=1 src2=1
	v_add3_u32 v79 /*v335*/, v79 /*v335*/, v105 /*v361*/, v102 /*v358*/
	s_set_vgpr_msb 20                       ;  msbs: dst=0 src0=0 src1=1 src2=1
	v_cvt_f32_f16_e32 v88, v88
	v_add3_u32 v80, v80, v68 /*v324*/, v69 /*v325*/
	s_set_vgpr_msb 0x55                     ;  msbs: dst=1 src0=1 src1=1 src2=1
	v_add3_u32 v79 /*v335*/, v79 /*v335*/, v103 /*v359*/, v104 /*v360*/
	s_set_vgpr_msb 16                       ;  msbs: dst=0 src0=0 src1=0 src2=1
	s_delay_alu instid0(VALU_DEP_2) | instskip(SKIP_1) | instid1(VALU_DEP_2)
	v_add3_u32 v80, v80, v93, v71 /*v327*/
	s_set_vgpr_msb 17                       ;  msbs: dst=0 src0=1 src1=0 src2=1
	v_add3_u32 v92, v79 /*v335*/, v92, v76 /*v332*/
	s_set_vgpr_msb 64                       ;  msbs: dst=1 src0=0 src1=0 src2=0
	v_pk_mul_f16 v76 /*v332*/, v144, v90
	s_set_vgpr_msb 0x41                     ;  msbs: dst=1 src0=1 src1=0 src2=0
	v_mul_i32_i24_e32 v79 /*v335*/, v47 /*v303*/, v245
	s_set_vgpr_msb 20                       ;  msbs: dst=0 src0=0 src1=1 src2=1
	v_add3_u32 v80, v80, v70 /*v326*/, v72 /*v328*/
	v_add3_u32 v92, v92, v77 /*v333*/, v78 /*v334*/
	s_set_vgpr_msb 0x41                     ;  msbs: dst=1 src0=1 src1=0 src2=0
	v_mul_i32_i24_e32 v77 /*v333*/, v45 /*v301*/, v244
	v_mul_i32_i24_e32 v78 /*v334*/, v46 /*v302*/, v238
	s_set_vgpr_msb 0                        ;  msbs: dst=0 src0=0 src1=0 src2=0
	v_cvt_f32_i32_e32 v92, v92
	s_set_vgpr_msb 17                       ;  msbs: dst=0 src0=1 src1=0 src2=1
	s_delay_alu instid0(VALU_DEP_1) | instskip(SKIP_3) | instid1(VALU_DEP_1)
	v_fma_mix_f32 v92, v76 /*v332*/, v92, v76 /*v332*/ op_sel:[0,0,1] op_sel_hi:[1,0,1]
	s_set_vgpr_msb 0x41                     ;  msbs: dst=1 src0=1 src1=0 src2=0
	v_mul_i32_i24_e32 v76 /*v332*/, v44 /*v300*/, v243
	s_set_vgpr_msb 20                       ;  msbs: dst=0 src0=0 src1=1 src2=1
	v_add3_u32 v80, v80, v79 /*v335*/, v76 /*v332*/
	s_delay_alu instid0(VALU_DEP_1) | instskip(SKIP_1) | instid1(VALU_DEP_1)
	v_add3_u32 v80, v80, v77 /*v333*/, v78 /*v334*/
	s_set_vgpr_msb 4                        ;  msbs: dst=0 src0=0 src1=1 src2=0
	v_add3_u32 v80, v80, v73 /*v329*/, v95
	s_set_vgpr_msb 20                       ;  msbs: dst=0 src0=0 src1=1 src2=1
	s_delay_alu instid0(VALU_DEP_1) | instskip(NEXT) | instid1(VALU_DEP_1)
	v_add3_u32 v80, v80, v75 /*v331*/, v74 /*v330*/
	v_cvt_f32_i32_e32 v80, v80
	s_set_vgpr_msb 0                        ;  msbs: dst=0 src0=0 src1=0 src2=0
	s_delay_alu instid0(VALU_DEP_1)
	v_fma_mix_f32 v90, v87, v80, v87 op_sel:[0,0,1] op_sel_hi:[1,0,1]
	v_add_nc_u32_e32 v80, 0x1404, v97
	s_set_vgpr_msb 64                       ;  msbs: dst=1 src0=0 src1=0 src2=0
	ds_load_2addr_b32 v[54:55] /*v[310:311]*/, v80 offset1:1
	s_set_vgpr_msb 0                        ;  msbs: dst=0 src0=0 src1=0 src2=0
	v_add_nc_u32_e32 v80, 0x1414, v97
	s_set_vgpr_msb 64                       ;  msbs: dst=1 src0=0 src1=0 src2=0
	ds_load_2addr_b32 v[56:57] /*v[312:313]*/, v80 offset1:1
	s_set_vgpr_msb 0                        ;  msbs: dst=0 src0=0 src1=0 src2=0
	v_add_nc_u32_e32 v80, 0x1400, v97
	s_set_vgpr_msb 64                       ;  msbs: dst=1 src0=0 src1=0 src2=0
	ds_load_2addr_b32 v[58:59] /*v[314:315]*/, v80 offset1:3
	ds_load_2addr_b32 v[60:61] /*v[316:317]*/, v80 offset0:4 offset1:7
	s_wait_dscnt 0x3
	s_set_vgpr_msb 0x41                     ;  msbs: dst=1 src0=1 src1=0 src2=0
	v_bfe_i32 v64 /*v320*/, v54 /*v310*/, 0, 8
	v_bfe_i32 v65 /*v321*/, v54 /*v310*/, 8, 8
	;; [unrolled: 1-line block ×3, first 2 shown]
	s_set_vgpr_msb 0x44                     ;  msbs: dst=1 src0=0 src1=1 src2=0
	v_ashrrev_i32_e32 v67 /*v323*/, 24, v54 /*v310*/
	s_set_vgpr_msb 0x41                     ;  msbs: dst=1 src0=1 src1=0 src2=0
	v_bfe_i32 v72 /*v328*/, v55 /*v311*/, 0, 8
	v_bfe_i32 v73 /*v329*/, v55 /*v311*/, 8, 8
	s_wait_dscnt 0x2
	v_bfe_i32 v76 /*v332*/, v57 /*v313*/, 0, 8
	v_bfe_i32 v77 /*v333*/, v57 /*v313*/, 8, 8
	;; [unrolled: 1-line block ×3, first 2 shown]
	s_set_vgpr_msb 0x44                     ;  msbs: dst=1 src0=0 src1=1 src2=0
	v_ashrrev_i32_e32 v79 /*v335*/, 24, v57 /*v313*/
	s_set_vgpr_msb 0x41                     ;  msbs: dst=1 src0=1 src1=0 src2=0
	v_bfe_i32 v68 /*v324*/, v56 /*v312*/, 0, 8
	v_bfe_i32 v69 /*v325*/, v56 /*v312*/, 8, 8
	s_wait_dscnt 0x0
	v_bfe_i32 v62 /*v318*/, v60 /*v316*/, 8, 8
	s_set_vgpr_msb 1                        ;  msbs: dst=0 src0=1 src1=0 src2=0
	v_bfe_i32 v80, v60 /*v316*/, 0, 8
	s_set_vgpr_msb 0x41                     ;  msbs: dst=1 src0=1 src1=0 src2=0
	v_bfe_i32 v63 /*v319*/, v60 /*v316*/, 16, 8
	s_set_vgpr_msb 0x44                     ;  msbs: dst=1 src0=0 src1=1 src2=0
	v_ashrrev_i32_e32 v60 /*v316*/, 24, v60 /*v316*/
	s_set_vgpr_msb 0x45                     ;  msbs: dst=1 src0=1 src1=1 src2=0
	v_bfe_i32 v70 /*v326*/, v56 /*v312*/, 16, 8
	v_mul_i32_i24_e32 v57 /*v313*/, v13 /*v269*/, v62 /*v318*/
	v_dual_ashrrev_i32 v71 /*v327*/, 24, v56 /*v312*/ :: v_dual_ashrrev_i32 v75 /*v331*/, 24, v55 /*v311*/
	v_bfe_i32 v74 /*v330*/, v55 /*v311*/, 16, 8
	v_bfe_i32 v80 /*v336*/, v59 /*v315*/, 0, 8
	;; [unrolled: 1-line block ×4, first 2 shown]
	v_ashrrev_i32_e32 v83 /*v339*/, 24, v59 /*v315*/
	v_bfe_i32 v53 /*v309*/, v61 /*v317*/, 0, 8
	v_bfe_i32 v54 /*v310*/, v61 /*v317*/, 8, 8
	;; [unrolled: 1-line block ×3, first 2 shown]
	v_dual_ashrrev_i32 v56 /*v312*/, 24, v61 /*v317*/ :: v_dual_ashrrev_i32 v85 /*v341*/, 24, v58 /*v314*/
	v_bfe_i32 v61 /*v317*/, v58 /*v314*/, 8, 8
	v_bfe_i32 v84 /*v340*/, v58 /*v314*/, 0, 8
	;; [unrolled: 1-line block ×3, first 2 shown]
	v_mul_i32_i24_e32 v58 /*v314*/, v14 /*v270*/, v63 /*v319*/
	s_set_vgpr_msb 0x44                     ;  msbs: dst=1 src0=0 src1=1 src2=0
	v_mul_i32_i24_e32 v59 /*v315*/, v111, v60 /*v316*/
	s_set_vgpr_msb 0x51                     ;  msbs: dst=1 src0=1 src1=0 src2=1
	v_mad_i32_i24 v57 /*v313*/, v12 /*v268*/, v80, v57 /*v313*/
	s_set_vgpr_msb 0x45                     ;  msbs: dst=1 src0=1 src1=1 src2=0
	v_mul_i32_i24_e32 v88 /*v344*/, v65 /*v321*/, v15 /*v271*/
	s_set_vgpr_msb 0x41                     ;  msbs: dst=1 src0=1 src1=0 src2=0
	v_mul_i32_i24_e32 v90 /*v346*/, v67 /*v323*/, v113
	s_set_vgpr_msb 0x55                     ;  msbs: dst=1 src0=1 src1=1 src2=1
	v_mul_i32_i24_e32 v87 /*v343*/, v64 /*v320*/, v17 /*v273*/
	v_mul_i32_i24_e32 v89 /*v345*/, v66 /*v322*/, v16 /*v272*/
	v_add3_u32 v57 /*v313*/, v57 /*v313*/, v58 /*v314*/, v59 /*v315*/
	v_mul_i32_i24_e32 v91 /*v347*/, v68 /*v324*/, v20 /*v276*/
	s_set_vgpr_msb 0x41                     ;  msbs: dst=1 src0=1 src1=0 src2=0
	v_mul_i32_i24_e32 v94 /*v350*/, v71 /*v327*/, v109
	s_set_vgpr_msb 0x55                     ;  msbs: dst=1 src0=1 src1=1 src2=1
	v_mul_i32_i24_e32 v92 /*v348*/, v69 /*v325*/, v18 /*v274*/
	v_mul_i32_i24_e32 v93 /*v349*/, v70 /*v326*/, v19 /*v275*/
	v_add3_u32 v57 /*v313*/, v57 /*v313*/, v90 /*v346*/, v88 /*v344*/
	;; [unrolled: 7-line block ×5, first 2 shown]
	v_mul_i32_i24_e32 v107 /*v363*/, v53 /*v309*/, v3 /*v259*/
	v_mul_i32_i24_e32 v110 /*v366*/, v56 /*v312*/, v5 /*v261*/
	;; [unrolled: 1-line block ×3, first 2 shown]
	s_set_vgpr_msb 0x41                     ;  msbs: dst=1 src0=1 src1=0 src2=0
	v_mul_i32_i24_e32 v109 /*v365*/, v55 /*v311*/, v250
	s_set_vgpr_msb 0x55                     ;  msbs: dst=1 src0=1 src1=1 src2=1
	v_add3_u32 v57 /*v313*/, v57 /*v313*/, v98 /*v354*/, v96 /*v352*/
	s_set_vgpr_msb 4                        ;  msbs: dst=0 src0=0 src1=1 src2=0
	v_mul_i32_i24_e32 v87, v253, v84 /*v340*/
	s_set_vgpr_msb 5                        ;  msbs: dst=0 src0=1 src1=1 src2=0
	v_mul_i32_i24_e32 v89, v1 /*v257*/, v61 /*v317*/
	v_mul_i32_i24_e32 v93, v2 /*v258*/, v86 /*v342*/
	s_set_vgpr_msb 4                        ;  msbs: dst=0 src0=0 src1=1 src2=0
	v_mul_i32_i24_e32 v95, v251, v85 /*v341*/
	s_set_vgpr_msb 0x55                     ;  msbs: dst=1 src0=1 src1=1 src2=1
	v_add3_u32 v57 /*v313*/, v57 /*v313*/, v95 /*v351*/, v97 /*v353*/
	s_set_vgpr_msb 0x41                     ;  msbs: dst=1 src0=1 src1=0 src2=0
	v_mul_i32_i24_e32 v87 /*v343*/, v65 /*v321*/, v125
	v_mul_i32_i24_e32 v89 /*v345*/, v67 /*v323*/, v127
	v_mul_i32_i24_e32 v59 /*v315*/, v64 /*v320*/, v124
	v_mul_i32_i24_e32 v88 /*v344*/, v66 /*v322*/, v126
	s_set_vgpr_msb 0x55                     ;  msbs: dst=1 src0=1 src1=1 src2=1
	v_add3_u32 v57 /*v313*/, v57 /*v313*/, v102 /*v358*/, v99 /*v355*/
	s_set_vgpr_msb 0x41                     ;  msbs: dst=1 src0=1 src1=0 src2=0
	v_mul_i32_i24_e32 v90 /*v346*/, v68 /*v324*/, v128
	v_mul_i32_i24_e32 v93 /*v349*/, v71 /*v327*/, v130
	v_mul_i32_i24_e32 v91 /*v347*/, v69 /*v325*/, v129
	v_mul_i32_i24_e32 v92 /*v348*/, v70 /*v326*/, v131
	;; [unrolled: 7-line block ×7, first 2 shown]
	s_set_vgpr_msb 1                        ;  msbs: dst=0 src0=1 src1=0 src2=0
	v_add3_u32 v87, v57 /*v313*/, v87, v89
	s_set_vgpr_msb 0                        ;  msbs: dst=0 src0=0 src1=0 src2=0
	v_pk_mul_f16 v89, v108, v91
	s_set_vgpr_msb 0x41                     ;  msbs: dst=1 src0=1 src1=0 src2=0
	v_mul_i32_i24_e32 v116 /*v372*/, v56 /*v312*/, v237
	v_mul_i32_i24_e32 v114 /*v370*/, v54 /*v310*/, v236
	;; [unrolled: 1-line block ×3, first 2 shown]
	s_set_vgpr_msb 0                        ;  msbs: dst=0 src0=0 src1=0 src2=0
	v_add3_u32 v87, v87, v93, v95
	s_set_vgpr_msb 1                        ;  msbs: dst=0 src0=1 src1=0 src2=0
	v_mul_i32_i24_e32 v93, v60 /*v316*/, v123
	s_set_vgpr_msb 0x41                     ;  msbs: dst=1 src0=1 src1=0 src2=0
	v_mul_i32_i24_e32 v79 /*v335*/, v79 /*v335*/, v224
	v_mul_i32_i24_e32 v77 /*v333*/, v77 /*v333*/, v223
	;; [unrolled: 1-line block ×3, first 2 shown]
	s_set_vgpr_msb 0                        ;  msbs: dst=0 src0=0 src1=0 src2=0
	v_cvt_f32_i32_e32 v87, v87
	s_set_vgpr_msb 0x41                     ;  msbs: dst=1 src0=1 src1=0 src2=0
	v_mul_i32_i24_e32 v81 /*v337*/, v81 /*v337*/, v226
	v_mul_i32_i24_e32 v83 /*v339*/, v83 /*v339*/, v229
	;; [unrolled: 1-line block ×4, first 2 shown]
	s_set_vgpr_msb 0                        ;  msbs: dst=0 src0=0 src1=0 src2=0
	v_fma_mix_f32 v95, v89, v87, v89 op_sel:[0,0,1] op_sel_hi:[1,0,1]
	s_set_vgpr_msb 1                        ;  msbs: dst=0 src0=1 src1=0 src2=0
	v_mul_i32_i24_e32 v87, v62 /*v318*/, v122
	v_mul_i32_i24_e32 v89, v63 /*v319*/, v121
	s_set_vgpr_msb 0x41                     ;  msbs: dst=1 src0=1 src1=0 src2=0
	v_mul_i32_i24_e32 v57 /*v313*/, v85 /*v341*/, v117
	v_mul_i32_i24_e32 v58 /*v314*/, v61 /*v317*/, v119
	s_set_vgpr_msb 0                        ;  msbs: dst=0 src0=0 src1=0 src2=0
	v_pk_add_f32 v[20:21], v[20:21], v[94:95]
	v_mad_i32_i24 v87, v80, v120, v87
	s_set_vgpr_msb 1                        ;  msbs: dst=0 src0=1 src1=0 src2=0
	v_mul_i32_i24_e32 v95, v84 /*v340*/, v118
	v_mul_i32_i24_e32 v94, v86 /*v342*/, v116
	s_set_vgpr_msb 0                        ;  msbs: dst=0 src0=0 src1=0 src2=0
	v_add3_u32 v87, v87, v89, v93
	s_set_vgpr_msb 1                        ;  msbs: dst=0 src0=1 src1=0 src2=0
	v_mul_i32_i24_e32 v93, v84 /*v340*/, v232
	s_set_vgpr_msb 0                        ;  msbs: dst=0 src0=0 src1=0 src2=0
	v_pk_mul_f16 v89, v115, v91
	s_set_vgpr_msb 20                       ;  msbs: dst=0 src0=0 src1=1 src2=1
	v_add3_u32 v87, v87, v89 /*v345*/, v87 /*v343*/
	s_set_vgpr_msb 0x41                     ;  msbs: dst=1 src0=1 src1=0 src2=0
	v_mul_i32_i24_e32 v87 /*v343*/, v61 /*v317*/, v233
	v_mul_i32_i24_e32 v89 /*v345*/, v85 /*v341*/, v231
	s_set_vgpr_msb 20                       ;  msbs: dst=0 src0=0 src1=1 src2=1
	v_add3_u32 v87, v87, v59 /*v315*/, v88 /*v344*/
	s_set_vgpr_msb 0x41                     ;  msbs: dst=1 src0=1 src1=0 src2=0
	v_mul_i32_i24_e32 v88 /*v344*/, v86 /*v342*/, v234
	s_set_vgpr_msb 20                       ;  msbs: dst=0 src0=0 src1=1 src2=1
	s_delay_alu instid0(VALU_DEP_2)
	v_add3_u32 v87, v87, v93 /*v349*/, v90 /*v346*/
	s_set_vgpr_msb 0x41                     ;  msbs: dst=1 src0=1 src1=0 src2=0
	v_mul_i32_i24_e32 v90 /*v346*/, v62 /*v318*/, v147
	v_mul_i32_i24_e32 v93 /*v349*/, v64 /*v320*/, v149
	;; [unrolled: 1-line block ×4, first 2 shown]
	s_set_vgpr_msb 20                       ;  msbs: dst=0 src0=0 src1=1 src2=1
	v_add3_u32 v87, v87, v91 /*v347*/, v92 /*v348*/
	s_set_vgpr_msb 0x41                     ;  msbs: dst=1 src0=1 src1=0 src2=0
	v_mul_i32_i24_e32 v91 /*v347*/, v63 /*v319*/, v146
	v_mul_i32_i24_e32 v92 /*v348*/, v60 /*v316*/, v148
	s_set_vgpr_msb 0x50                     ;  msbs: dst=1 src0=0 src1=0 src2=1
	v_mad_i32_i24 v90 /*v346*/, v80, v145, v90 /*v346*/
	s_set_vgpr_msb 0x41                     ;  msbs: dst=1 src0=1 src1=0 src2=0
	v_mul_i32_i24_e32 v63 /*v319*/, v63 /*v319*/, v207
	s_set_vgpr_msb 20                       ;  msbs: dst=0 src0=0 src1=1 src2=1
	v_add3_u32 v87, v87, v97 /*v353*/, v95 /*v351*/
	s_set_vgpr_msb 0x41                     ;  msbs: dst=1 src0=1 src1=0 src2=0
	v_mul_i32_i24_e32 v95 /*v351*/, v66 /*v322*/, v151
	v_mul_i32_i24_e32 v97 /*v353*/, v68 /*v324*/, v153
	s_set_vgpr_msb 0x55                     ;  msbs: dst=1 src0=1 src1=1 src2=1
	v_add3_u32 v90 /*v346*/, v90 /*v346*/, v91 /*v347*/, v92 /*v348*/
	s_set_vgpr_msb 0x41                     ;  msbs: dst=1 src0=1 src1=0 src2=0
	v_mul_i32_i24_e32 v60 /*v316*/, v60 /*v316*/, v209
	s_set_vgpr_msb 20                       ;  msbs: dst=0 src0=0 src1=1 src2=1
	v_add3_u32 v87, v87, v94 /*v350*/, v96 /*v352*/
	s_set_vgpr_msb 0x41                     ;  msbs: dst=1 src0=1 src1=0 src2=0
	v_mul_i32_i24_e32 v94 /*v350*/, v65 /*v321*/, v150
	v_mul_i32_i24_e32 v96 /*v352*/, v67 /*v323*/, v152
	s_set_vgpr_msb 16                       ;  msbs: dst=0 src0=0 src1=0 src2=1
	v_mad_i32_i24 v80, v80, v206, v62 /*v318*/
	s_set_vgpr_msb 0x41                     ;  msbs: dst=1 src0=1 src1=0 src2=0
	v_mul_i32_i24_e32 v65 /*v321*/, v65 /*v321*/, v211
	s_set_vgpr_msb 20                       ;  msbs: dst=0 src0=0 src1=1 src2=1
	v_add3_u32 v87, v87, v101 /*v357*/, v98 /*v354*/
	s_set_vgpr_msb 0x41                     ;  msbs: dst=1 src0=1 src1=0 src2=0
	v_mul_i32_i24_e32 v98 /*v354*/, v69 /*v325*/, v154
	s_set_vgpr_msb 0x55                     ;  msbs: dst=1 src0=1 src1=1 src2=1
	v_add3_u32 v90 /*v346*/, v90 /*v346*/, v96 /*v352*/, v94 /*v350*/
	s_set_vgpr_msb 0x41                     ;  msbs: dst=1 src0=1 src1=0 src2=0
	v_mul_i32_i24_e32 v101 /*v357*/, v72 /*v328*/, v194
	v_mul_i32_i24_e32 v67 /*v323*/, v67 /*v323*/, v213
	s_set_vgpr_msb 20                       ;  msbs: dst=0 src0=0 src1=1 src2=1
	v_add3_u32 v87, v87, v99 /*v355*/, v100 /*v356*/
	s_set_vgpr_msb 0x41                     ;  msbs: dst=1 src0=1 src1=0 src2=0
	v_mul_i32_i24_e32 v100 /*v356*/, v71 /*v327*/, v155
	s_set_vgpr_msb 0x55                     ;  msbs: dst=1 src0=1 src1=1 src2=1
	v_add3_u32 v90 /*v346*/, v90 /*v346*/, v93 /*v349*/, v95 /*v351*/
	s_set_vgpr_msb 0x41                     ;  msbs: dst=1 src0=1 src1=0 src2=0
	v_mul_i32_i24_e32 v99 /*v355*/, v70 /*v326*/, v189
	s_set_vgpr_msb 20                       ;  msbs: dst=0 src0=0 src1=1 src2=1
	v_add3_u32 v80, v80, v63 /*v319*/, v60 /*v316*/
	v_add3_u32 v87, v87, v105 /*v361*/, v103 /*v359*/
	s_set_vgpr_msb 0x41                     ;  msbs: dst=1 src0=1 src1=0 src2=0
	v_mul_i32_i24_e32 v103 /*v359*/, v74 /*v330*/, v196
	s_set_vgpr_msb 0x55                     ;  msbs: dst=1 src0=1 src1=1 src2=1
	v_add3_u32 v90 /*v346*/, v90 /*v346*/, v100 /*v356*/, v97 /*v353*/
	s_set_vgpr_msb 0x41                     ;  msbs: dst=1 src0=1 src1=0 src2=0
	v_mul_i32_i24_e32 v105 /*v361*/, v76 /*v332*/, v197
	v_mul_i32_i24_e32 v66 /*v322*/, v66 /*v322*/, v212
	s_set_vgpr_msb 0x54                     ;  msbs: dst=1 src0=0 src1=1 src2=1
	v_add3_u32 v59 /*v315*/, v87, v102 /*v358*/, v104 /*v360*/
	s_set_vgpr_msb 0x41                     ;  msbs: dst=1 src0=1 src1=0 src2=0
	v_mul_i32_i24_e32 v102 /*v358*/, v73 /*v329*/, v193
	v_mul_i32_i24_e32 v104 /*v360*/, v75 /*v331*/, v195
	s_set_vgpr_msb 0x55                     ;  msbs: dst=1 src0=1 src1=1 src2=1
	v_add3_u32 v90 /*v346*/, v90 /*v346*/, v98 /*v354*/, v99 /*v355*/
	s_set_vgpr_msb 20                       ;  msbs: dst=0 src0=0 src1=1 src2=1
	v_add3_u32 v80, v80, v67 /*v323*/, v65 /*v321*/
	s_set_vgpr_msb 0x41                     ;  msbs: dst=1 src0=1 src1=0 src2=0
	v_mul_i32_i24_e32 v68 /*v324*/, v68 /*v324*/, v214
	v_mul_i32_i24_e32 v71 /*v327*/, v71 /*v327*/, v216
	v_mul_i32_i24_e32 v69 /*v325*/, v69 /*v325*/, v215
	s_set_vgpr_msb 0x55                     ;  msbs: dst=1 src0=1 src1=1 src2=1
	v_add3_u32 v90 /*v346*/, v90 /*v346*/, v104 /*v360*/, v102 /*v358*/
	s_set_vgpr_msb 20                       ;  msbs: dst=0 src0=0 src1=1 src2=1
	v_add3_u32 v80, v80, v64 /*v320*/, v66 /*v322*/
	s_set_vgpr_msb 0x41                     ;  msbs: dst=1 src0=1 src1=0 src2=0
	v_mul_i32_i24_e32 v70 /*v326*/, v70 /*v326*/, v217
	;; [unrolled: 8-line block ×3, first 2 shown]
	v_mul_i32_i24_e32 v74 /*v330*/, v74 /*v330*/, v221
	v_mul_i32_i24_e32 v76 /*v332*/, v76 /*v332*/, v222
	s_set_vgpr_msb 0x55                     ;  msbs: dst=1 src0=1 src1=1 src2=1
	v_add3_u32 v90 /*v346*/, v90 /*v346*/, v108 /*v364*/, v105 /*v361*/
	s_set_vgpr_msb 20                       ;  msbs: dst=0 src0=0 src1=1 src2=1
	v_add3_u32 v80, v80, v69 /*v325*/, v70 /*v326*/
	v_cvt_f32_f16_e32 v87, v89
	s_set_vgpr_msb 0                        ;  msbs: dst=0 src0=0 src1=0 src2=0
	v_lshrrev_b32_e32 v89, 16, v89
	s_set_vgpr_msb 0x55                     ;  msbs: dst=1 src0=1 src1=1 src2=1
	v_add3_u32 v90 /*v346*/, v90 /*v346*/, v106 /*v362*/, v107 /*v363*/
	s_set_vgpr_msb 20                       ;  msbs: dst=0 src0=0 src1=1 src2=1
	v_add3_u32 v80, v80, v75 /*v331*/, v73 /*v329*/
	s_set_vgpr_msb 0x55                     ;  msbs: dst=1 src0=1 src1=1 src2=1
	s_delay_alu instid0(VALU_DEP_2) | instskip(SKIP_1) | instid1(VALU_DEP_2)
	v_add3_u32 v90 /*v346*/, v90 /*v346*/, v112 /*v368*/, v110 /*v366*/
	s_set_vgpr_msb 20                       ;  msbs: dst=0 src0=0 src1=1 src2=1
	v_add3_u32 v80, v80, v72 /*v328*/, v74 /*v330*/
	s_set_vgpr_msb 0x55                     ;  msbs: dst=1 src0=1 src1=1 src2=1
	s_delay_alu instid0(VALU_DEP_2) | instskip(SKIP_1) | instid1(VALU_DEP_2)
	;; [unrolled: 5-line block ×4, first 2 shown]
	v_add3_u32 v90 /*v346*/, v90 /*v346*/, v114 /*v370*/, v115 /*v371*/
	s_set_vgpr_msb 20                       ;  msbs: dst=0 src0=0 src1=1 src2=1
	v_add3_u32 v80, v80, v83 /*v339*/, v81 /*v337*/
	s_set_vgpr_msb 17                       ;  msbs: dst=0 src0=1 src1=0 src2=1
	s_delay_alu instid0(VALU_DEP_2)
	v_add3_u32 v93, v90 /*v346*/, v93, v87 /*v343*/
	s_set_vgpr_msb 64                       ;  msbs: dst=1 src0=0 src1=0 src2=0
	v_pk_mul_f16 v87 /*v343*/, v144, v91
	s_set_vgpr_msb 20                       ;  msbs: dst=0 src0=0 src1=1 src2=1
	v_add3_u32 v80, v80, v80 /*v336*/, v82 /*v338*/
	s_set_vgpr_msb 0                        ;  msbs: dst=0 src0=0 src1=0 src2=0
	v_pk_mul_f16 v91, v205, v91
	s_set_vgpr_msb 20                       ;  msbs: dst=0 src0=0 src1=1 src2=1
	v_add3_u32 v93, v93, v88 /*v344*/, v89 /*v345*/
	s_set_vgpr_msb 0x41                     ;  msbs: dst=1 src0=1 src1=0 src2=0
	v_mul_i32_i24_e32 v88 /*v344*/, v56 /*v312*/, v245
	s_set_vgpr_msb 0                        ;  msbs: dst=0 src0=0 src1=0 src2=0
	s_delay_alu instid0(VALU_DEP_2) | instskip(SKIP_1) | instid1(VALU_DEP_1)
	v_cvt_f32_i32_e32 v93, v93
	s_set_vgpr_msb 17                       ;  msbs: dst=0 src0=1 src1=0 src2=1
	v_fma_mix_f32 v93, v87 /*v343*/, v93, v87 /*v343*/ op_sel:[0,0,1] op_sel_hi:[1,0,1]
	s_set_vgpr_msb 0x41                     ;  msbs: dst=1 src0=1 src1=0 src2=0
	v_mul_i32_i24_e32 v87 /*v343*/, v55 /*v311*/, v238
	s_set_vgpr_msb 0                        ;  msbs: dst=0 src0=0 src1=0 src2=0
	s_delay_alu instid0(VALU_DEP_2)
	v_pk_add_f32 v[16:17], v[16:17], v[92:93]
	s_set_vgpr_msb 1                        ;  msbs: dst=0 src0=1 src1=0 src2=0
	v_mul_i32_i24_e32 v92, v84 /*v340*/, v240
	s_set_vgpr_msb 0x41                     ;  msbs: dst=1 src0=1 src1=0 src2=0
	v_mul_i32_i24_e32 v84 /*v340*/, v85 /*v341*/, v239
	v_mul_i32_i24_e32 v85 /*v341*/, v53 /*v309*/, v243
	s_set_vgpr_msb 1                        ;  msbs: dst=0 src0=1 src1=0 src2=0
	v_mul_i32_i24_e32 v93, v61 /*v317*/, v241
	s_set_vgpr_msb 0x41                     ;  msbs: dst=1 src0=1 src1=0 src2=0
	v_mul_i32_i24_e32 v61 /*v317*/, v86 /*v342*/, v242
	v_mul_i32_i24_e32 v86 /*v342*/, v54 /*v310*/, v244
	s_set_vgpr_msb 20                       ;  msbs: dst=0 src0=0 src1=1 src2=1
	v_add3_u32 v80, v80, v88 /*v344*/, v85 /*v341*/
	s_delay_alu instid0(VALU_DEP_1) | instskip(SKIP_1) | instid1(VALU_DEP_1)
	v_add3_u32 v80, v80, v86 /*v342*/, v87 /*v343*/
	s_set_vgpr_msb 0                        ;  msbs: dst=0 src0=0 src1=0 src2=0
	v_add3_u32 v80, v80, v92, v93
	s_set_vgpr_msb 20                       ;  msbs: dst=0 src0=0 src1=1 src2=1
	s_delay_alu instid0(VALU_DEP_1) | instskip(NEXT) | instid1(VALU_DEP_1)
	v_add3_u32 v80, v80, v61 /*v317*/, v84 /*v340*/
	v_cvt_f32_i32_e32 v80, v80
	s_set_vgpr_msb 0                        ;  msbs: dst=0 src0=0 src1=0 src2=0
	s_delay_alu instid0(VALU_DEP_1) | instskip(SKIP_1) | instid1(VALU_DEP_2)
	v_fma_mix_f32 v91, v91, v80, v91 op_sel:[0,0,1] op_sel_hi:[1,0,1]
	v_add_nc_u32_e32 v80, 0x1800, v97
	v_pk_add_f32 v[14:15], v[14:15], v[90:91]
	v_add_nc_u32_e32 v90, 0x1804, v97
	s_set_vgpr_msb 64                       ;  msbs: dst=1 src0=0 src1=0 src2=0
	ds_load_2addr_b32 v[62:63] /*v[318:319]*/, v80 offset0:4 offset1:7
	ds_load_2addr_b32 v[64:65] /*v[320:321]*/, v90 offset1:1
	s_set_vgpr_msb 0                        ;  msbs: dst=0 src0=0 src1=0 src2=0
	v_add_nc_u32_e32 v90, 0x1814, v97
	s_set_vgpr_msb 64                       ;  msbs: dst=1 src0=0 src1=0 src2=0
	ds_load_2addr_b32 v[66:67] /*v[322:323]*/, v90 offset1:1
	ds_load_2addr_b32 v[68:69] /*v[324:325]*/, v80 offset1:3
	s_set_vgpr_msb 0                        ;  msbs: dst=0 src0=0 src1=0 src2=0
	ds_load_2addr_b32 v[90:91], v96 offset0:192 offset1:224
	v_add_nc_u32_e32 v96, 4, v96
	s_wait_dscnt 0x4
	s_set_vgpr_msb 0x41                     ;  msbs: dst=1 src0=1 src1=0 src2=0
	v_bfe_i32 v70 /*v326*/, v62 /*v318*/, 8, 8
	v_bfe_i32 v71 /*v327*/, v62 /*v318*/, 16, 8
	s_set_vgpr_msb 0x44                     ;  msbs: dst=1 src0=0 src1=1 src2=0
	v_ashrrev_i32_e32 v72 /*v328*/, 24, v62 /*v318*/
	s_set_vgpr_msb 0x45                     ;  msbs: dst=1 src0=1 src1=1 src2=0
	v_bfe_i32 v88 /*v344*/, v63 /*v319*/, 0, 8
	s_wait_dscnt 0x3
	v_bfe_i32 v73 /*v329*/, v64 /*v320*/, 0, 8
	v_mul_i32_i24_e32 v93 /*v349*/, v13 /*v269*/, v70 /*v326*/
	v_bfe_i32 v74 /*v330*/, v64 /*v320*/, 8, 8
	v_bfe_i32 v75 /*v331*/, v64 /*v320*/, 16, 8
	v_ashrrev_i32_e32 v64 /*v320*/, 24, v64 /*v320*/
	s_wait_dscnt 0x1
	v_bfe_i32 v61 /*v317*/, v68 /*v324*/, 0, 8
	v_bfe_i32 v60 /*v316*/, v68 /*v324*/, 8, 8
	s_set_vgpr_msb 1                        ;  msbs: dst=0 src0=1 src1=0 src2=0
	v_bfe_i32 v93, v68 /*v324*/, 16, 8
	s_set_vgpr_msb 4                        ;  msbs: dst=0 src0=0 src1=1 src2=0
	v_ashrrev_i32_e32 v92, 24, v68 /*v324*/
	s_set_vgpr_msb 0x45                     ;  msbs: dst=1 src0=1 src1=1 src2=0
	v_bfe_i32 v68 /*v324*/, v62 /*v318*/, 0, 8
	v_mul_i32_i24_e32 v94 /*v350*/, v14 /*v270*/, v71 /*v327*/
	s_set_vgpr_msb 0x44                     ;  msbs: dst=1 src0=0 src1=1 src2=0
	v_mul_i32_i24_e32 v95 /*v351*/, v111, v72 /*v328*/
	s_set_vgpr_msb 0x45                     ;  msbs: dst=1 src0=1 src1=1 src2=0
	v_mul_i32_i24_e32 v97 /*v353*/, v74 /*v330*/, v15 /*v271*/
	s_set_vgpr_msb 0x41                     ;  msbs: dst=1 src0=1 src1=0 src2=0
	v_mul_i32_i24_e32 v99 /*v355*/, v64 /*v320*/, v113
	s_set_vgpr_msb 0x55                     ;  msbs: dst=1 src0=1 src1=1 src2=1
	v_mad_i32_i24 v93 /*v349*/, v12 /*v268*/, v68 /*v324*/, v93 /*v349*/
	v_bfe_i32 v76 /*v332*/, v66 /*v322*/, 0, 8
	v_bfe_i32 v77 /*v333*/, v66 /*v322*/, 8, 8
	;; [unrolled: 1-line block ×3, first 2 shown]
	v_ashrrev_i32_e32 v66 /*v322*/, 24, v66 /*v322*/
	v_add3_u32 v93 /*v349*/, v93 /*v349*/, v94 /*v350*/, v95 /*v351*/
	v_mul_i32_i24_e32 v96 /*v352*/, v73 /*v329*/, v17 /*v273*/
	v_mul_i32_i24_e32 v98 /*v354*/, v75 /*v331*/, v16 /*v272*/
	v_bfe_i32 v79 /*v335*/, v65 /*v321*/, 0, 8
	v_bfe_i32 v80 /*v336*/, v65 /*v321*/, 8, 8
	v_add3_u32 v93 /*v349*/, v93 /*v349*/, v99 /*v355*/, v97 /*v353*/
	v_bfe_i32 v81 /*v337*/, v65 /*v321*/, 16, 8
	v_ashrrev_i32_e32 v65 /*v321*/, 24, v65 /*v321*/
	v_mul_i32_i24_e32 v100 /*v356*/, v76 /*v332*/, v20 /*v276*/
	s_set_vgpr_msb 0x41                     ;  msbs: dst=1 src0=1 src1=0 src2=0
	v_mul_i32_i24_e32 v103 /*v359*/, v66 /*v322*/, v109
	s_set_vgpr_msb 0x55                     ;  msbs: dst=1 src0=1 src1=1 src2=1
	v_add3_u32 v93 /*v349*/, v93 /*v349*/, v96 /*v352*/, v98 /*v354*/
	v_mul_i32_i24_e32 v101 /*v357*/, v77 /*v333*/, v18 /*v274*/
	v_mul_i32_i24_e32 v102 /*v358*/, v78 /*v334*/, v19 /*v275*/
	;; [unrolled: 1-line block ×3, first 2 shown]
	s_set_vgpr_msb 0x41                     ;  msbs: dst=1 src0=1 src1=0 src2=0
	v_mul_i32_i24_e32 v107 /*v363*/, v65 /*v321*/, v114
	s_set_vgpr_msb 0x55                     ;  msbs: dst=1 src0=1 src1=1 src2=1
	v_add3_u32 v93 /*v349*/, v93 /*v349*/, v103 /*v359*/, v100 /*v356*/
	v_bfe_i32 v82 /*v338*/, v67 /*v323*/, 0, 8
	v_bfe_i32 v83 /*v339*/, v67 /*v323*/, 8, 8
	;; [unrolled: 1-line block ×3, first 2 shown]
	v_ashrrev_i32_e32 v67 /*v323*/, 24, v67 /*v323*/
	v_add3_u32 v93 /*v349*/, v93 /*v349*/, v101 /*v357*/, v102 /*v358*/
	v_mul_i32_i24_e32 v104 /*v360*/, v79 /*v335*/, v23 /*v279*/
	v_mul_i32_i24_e32 v106 /*v362*/, v81 /*v337*/, v22 /*v278*/
	v_bfe_i32 v85 /*v341*/, v69 /*v325*/, 0, 8
	v_bfe_i32 v86 /*v342*/, v69 /*v325*/, 8, 8
	v_add3_u32 v93 /*v349*/, v93 /*v349*/, v107 /*v363*/, v105 /*v361*/
	v_bfe_i32 v87 /*v343*/, v69 /*v325*/, 16, 8
	v_ashrrev_i32_e32 v69 /*v325*/, 24, v69 /*v325*/
	v_mul_i32_i24_e32 v108 /*v364*/, v82 /*v338*/, v30 /*v286*/
	s_set_vgpr_msb 0x41                     ;  msbs: dst=1 src0=1 src1=0 src2=0
	v_mul_i32_i24_e32 v111 /*v367*/, v67 /*v323*/, v110
	s_set_vgpr_msb 0x55                     ;  msbs: dst=1 src0=1 src1=1 src2=1
	v_add3_u32 v93 /*v349*/, v93 /*v349*/, v104 /*v360*/, v106 /*v362*/
	v_mul_i32_i24_e32 v109 /*v365*/, v83 /*v339*/, v25 /*v281*/
	v_mul_i32_i24_e32 v110 /*v366*/, v84 /*v340*/, v26 /*v282*/
	v_mul_i32_i24_e32 v113 /*v369*/, v86 /*v342*/, v31 /*v287*/
	s_set_vgpr_msb 0x41                     ;  msbs: dst=1 src0=1 src1=0 src2=0
	v_mul_i32_i24_e32 v115 /*v371*/, v69 /*v325*/, v112
	s_set_vgpr_msb 0x55                     ;  msbs: dst=1 src0=1 src1=1 src2=1
	v_add3_u32 v93 /*v349*/, v93 /*v349*/, v111 /*v367*/, v108 /*v364*/
	v_bfe_i32 v89 /*v345*/, v63 /*v319*/, 8, 8
	v_bfe_i32 v62 /*v318*/, v63 /*v319*/, 16, 8
	v_ashrrev_i32_e32 v63 /*v319*/, 24, v63 /*v319*/
	v_mul_i32_i24_e32 v112 /*v368*/, v85 /*v341*/, v33 /*v289*/
	v_add3_u32 v93 /*v349*/, v93 /*v349*/, v109 /*v365*/, v110 /*v366*/
	v_mul_i32_i24_e32 v114 /*v370*/, v87 /*v343*/, v32 /*v288*/
	v_mul_i32_i24_e32 v116 /*v372*/, v88 /*v344*/, v3 /*v259*/
	;; [unrolled: 1-line block ×4, first 2 shown]
	v_add3_u32 v93 /*v349*/, v93 /*v349*/, v115 /*v371*/, v113 /*v369*/
	s_set_vgpr_msb 0x41                     ;  msbs: dst=1 src0=1 src1=0 src2=0
	v_mul_i32_i24_e32 v118 /*v374*/, v62 /*v318*/, v250
	s_set_vgpr_msb 4                        ;  msbs: dst=0 src0=0 src1=1 src2=0
	v_mul_i32_i24_e32 v80, v253, v61 /*v317*/
	s_set_vgpr_msb 0x45                     ;  msbs: dst=1 src0=1 src1=1 src2=0
	v_mul_i32_i24_e32 v90 /*v346*/, v1 /*v257*/, v60 /*v316*/
	s_set_vgpr_msb 0x41                     ;  msbs: dst=1 src0=1 src1=0 src2=0
	v_mul_i32_i24_e32 v91 /*v347*/, v2 /*v258*/, v93
	s_set_vgpr_msb 0x55                     ;  msbs: dst=1 src0=1 src1=1 src2=1
	v_add3_u32 v93 /*v349*/, v93 /*v349*/, v112 /*v368*/, v114 /*v370*/
	s_set_vgpr_msb 64                       ;  msbs: dst=1 src0=0 src1=0 src2=0
	v_mul_i32_i24_e32 v92 /*v348*/, v251, v92
	s_set_vgpr_msb 0x41                     ;  msbs: dst=1 src0=1 src1=0 src2=0
	v_mul_i32_i24_e32 v94 /*v350*/, v74 /*v330*/, v125
	v_mul_i32_i24_e32 v96 /*v352*/, v64 /*v320*/, v127
	;; [unrolled: 1-line block ×3, first 2 shown]
	s_set_vgpr_msb 0x55                     ;  msbs: dst=1 src0=1 src1=1 src2=1
	v_add3_u32 v93 /*v349*/, v93 /*v349*/, v119 /*v375*/, v116 /*v372*/
	s_set_vgpr_msb 0x41                     ;  msbs: dst=1 src0=1 src1=0 src2=0
	v_mul_i32_i24_e32 v97 /*v353*/, v76 /*v332*/, v128
	v_mul_i32_i24_e32 v100 /*v356*/, v66 /*v322*/, v130
	;; [unrolled: 1-line block ×4, first 2 shown]
	s_set_vgpr_msb 0x55                     ;  msbs: dst=1 src0=1 src1=1 src2=1
	v_add3_u32 v93 /*v349*/, v93 /*v349*/, v117 /*v373*/, v118 /*v374*/
	s_set_vgpr_msb 0x41                     ;  msbs: dst=1 src0=1 src1=0 src2=0
	v_mul_i32_i24_e32 v102 /*v358*/, v80 /*v336*/, v132
	v_mul_i32_i24_e32 v104 /*v360*/, v65 /*v321*/, v134
	;; [unrolled: 1-line block ×4, first 2 shown]
	s_set_vgpr_msb 17                       ;  msbs: dst=0 src0=1 src1=0 src2=1
	v_add3_u32 v80, v93 /*v349*/, v80, v90 /*v346*/
	s_wait_dscnt 0x0
	s_set_vgpr_msb 64                       ;  msbs: dst=1 src0=0 src1=0 src2=0
	v_pk_mul_f16 v90 /*v346*/, v108, v90
	s_set_vgpr_msb 0x41                     ;  msbs: dst=1 src0=1 src1=0 src2=0
	v_mul_i32_i24_e32 v93 /*v349*/, v73 /*v329*/, v124
	v_mul_i32_i24_e32 v105 /*v361*/, v82 /*v338*/, v136
	v_mul_i32_i24_e32 v108 /*v364*/, v67 /*v323*/, v138
	s_set_vgpr_msb 20                       ;  msbs: dst=0 src0=0 src1=1 src2=1
	v_add3_u32 v80, v80, v91 /*v347*/, v92 /*v348*/
	s_set_vgpr_msb 0x41                     ;  msbs: dst=1 src0=1 src1=0 src2=0
	v_mul_i32_i24_e32 v91 /*v347*/, v71 /*v327*/, v121
	v_mul_i32_i24_e32 v92 /*v348*/, v72 /*v328*/, v123
	;; [unrolled: 1-line block ×4, first 2 shown]
	s_set_vgpr_msb 0                        ;  msbs: dst=0 src0=0 src1=0 src2=0
	v_cvt_f32_i32_e32 v80, v80
	s_set_vgpr_msb 0x41                     ;  msbs: dst=1 src0=1 src1=0 src2=0
	v_mul_i32_i24_e32 v110 /*v366*/, v86 /*v342*/, v140
	v_mul_i32_i24_e32 v112 /*v368*/, v69 /*v325*/, v143
	;; [unrolled: 1-line block ×4, first 2 shown]
	s_set_vgpr_msb 17                       ;  msbs: dst=0 src0=1 src1=0 src2=1
	v_fma_mix_f32 v80, v90 /*v346*/, v80, v90 /*v346*/ op_sel:[0,0,1] op_sel_hi:[1,0,1]
	s_set_vgpr_msb 0x51                     ;  msbs: dst=1 src0=1 src1=0 src2=1
	v_mul_i32_i24_e32 v90 /*v346*/, v70 /*v326*/, v122
	v_mul_i32_i24_e32 v114 /*v370*/, v69 /*v325*/, v204
	;; [unrolled: 1-line block ×5, first 2 shown]
	v_mad_i32_i24 v90 /*v346*/, v68 /*v324*/, v120, v90 /*v346*/
	s_set_vgpr_msb 0                        ;  msbs: dst=0 src0=0 src1=0 src2=0
	v_pk_mul_f16 v108, v108, v91
	s_set_vgpr_msb 0x41                     ;  msbs: dst=1 src0=1 src1=0 src2=0
	v_mul_i32_i24_e32 v115 /*v371*/, v88 /*v344*/, v235
	v_mul_i32_i24_e32 v116 /*v372*/, v89 /*v345*/, v236
	s_set_vgpr_msb 0x55                     ;  msbs: dst=1 src0=1 src1=1 src2=1
	v_add3_u32 v90 /*v346*/, v90 /*v346*/, v91 /*v347*/, v92 /*v348*/
	s_set_vgpr_msb 0x41                     ;  msbs: dst=1 src0=1 src1=0 src2=0
	v_mul_i32_i24_e32 v92 /*v348*/, v70 /*v326*/, v147
	v_mul_i32_i24_e32 v70 /*v326*/, v70 /*v326*/, v208
	s_set_vgpr_msb 64                       ;  msbs: dst=1 src0=0 src1=0 src2=0
	v_pk_mul_f16 v91 /*v347*/, v115, v90
	s_set_vgpr_msb 0x55                     ;  msbs: dst=1 src0=1 src1=1 src2=1
	v_add3_u32 v90 /*v346*/, v90 /*v346*/, v96 /*v352*/, v94 /*v350*/
	s_set_vgpr_msb 0x51                     ;  msbs: dst=1 src0=1 src1=0 src2=1
	v_mul_i32_i24_e32 v94 /*v350*/, v72 /*v328*/, v148
	v_mad_i32_i24 v92 /*v348*/, v68 /*v324*/, v145, v92 /*v348*/
	v_mul_i32_i24_e32 v72 /*v328*/, v72 /*v328*/, v209
	v_mad_i32_i24 v68 /*v324*/, v68 /*v324*/, v206, v70 /*v326*/
	s_set_vgpr_msb 0x55                     ;  msbs: dst=1 src0=1 src1=1 src2=1
	v_add3_u32 v90 /*v346*/, v90 /*v346*/, v93 /*v349*/, v95 /*v351*/
	s_set_vgpr_msb 0x41                     ;  msbs: dst=1 src0=1 src1=0 src2=0
	v_mul_i32_i24_e32 v93 /*v349*/, v71 /*v327*/, v146
	v_mul_i32_i24_e32 v71 /*v327*/, v71 /*v327*/, v207
	;; [unrolled: 1-line block ×4, first 2 shown]
	s_set_vgpr_msb 0x55                     ;  msbs: dst=1 src0=1 src1=1 src2=1
	v_add3_u32 v90 /*v346*/, v90 /*v346*/, v100 /*v356*/, v97 /*v353*/
	s_set_vgpr_msb 0x41                     ;  msbs: dst=1 src0=1 src1=0 src2=0
	v_mul_i32_i24_e32 v95 /*v351*/, v73 /*v329*/, v149
	s_set_vgpr_msb 0x55                     ;  msbs: dst=1 src0=1 src1=1 src2=1
	v_add3_u32 v68 /*v324*/, v68 /*v324*/, v71 /*v327*/, v72 /*v328*/
	s_set_vgpr_msb 0x41                     ;  msbs: dst=1 src0=1 src1=0 src2=0
	v_mul_i32_i24_e32 v97 /*v353*/, v75 /*v331*/, v151
	v_mul_i32_i24_e32 v73 /*v329*/, v73 /*v329*/, v210
	s_set_vgpr_msb 0x55                     ;  msbs: dst=1 src0=1 src1=1 src2=1
	v_add3_u32 v90 /*v346*/, v90 /*v346*/, v98 /*v354*/, v99 /*v355*/
	s_set_vgpr_msb 0x41                     ;  msbs: dst=1 src0=1 src1=0 src2=0
	v_mul_i32_i24_e32 v98 /*v354*/, v64 /*v320*/, v152
	v_mul_i32_i24_e32 v64 /*v320*/, v64 /*v320*/, v213
	v_mul_i32_i24_e32 v75 /*v331*/, v75 /*v331*/, v212
	v_mul_i32_i24_e32 v99 /*v355*/, v76 /*v332*/, v153
	s_set_vgpr_msb 0x55                     ;  msbs: dst=1 src0=1 src1=1 src2=1
	v_add3_u32 v90 /*v346*/, v90 /*v346*/, v104 /*v360*/, v102 /*v358*/
	s_set_vgpr_msb 0x41                     ;  msbs: dst=1 src0=1 src1=0 src2=0
	v_mul_i32_i24_e32 v102 /*v358*/, v66 /*v322*/, v155
	s_set_vgpr_msb 0x55                     ;  msbs: dst=1 src0=1 src1=1 src2=1
	v_add3_u32 v64 /*v320*/, v68 /*v324*/, v64 /*v320*/, v74 /*v330*/
	s_set_vgpr_msb 0x41                     ;  msbs: dst=1 src0=1 src1=0 src2=0
	v_mul_i32_i24_e32 v76 /*v332*/, v76 /*v332*/, v214
	v_mul_i32_i24_e32 v66 /*v322*/, v66 /*v322*/, v216
	s_set_vgpr_msb 0x55                     ;  msbs: dst=1 src0=1 src1=1 src2=1
	v_add3_u32 v90 /*v346*/, v90 /*v346*/, v101 /*v357*/, v103 /*v359*/
	s_set_vgpr_msb 0x41                     ;  msbs: dst=1 src0=1 src1=0 src2=0
	v_mul_i32_i24_e32 v100 /*v356*/, v77 /*v333*/, v154
	s_set_vgpr_msb 0x55                     ;  msbs: dst=1 src0=1 src1=1 src2=1
	v_add3_u32 v64 /*v320*/, v64 /*v320*/, v73 /*v329*/, v75 /*v331*/
	s_set_vgpr_msb 0x41                     ;  msbs: dst=1 src0=1 src1=0 src2=0
	v_mul_i32_i24_e32 v101 /*v357*/, v78 /*v334*/, v189
	v_mul_i32_i24_e32 v77 /*v333*/, v77 /*v333*/, v215
	;; [unrolled: 9-line block ×3, first 2 shown]
	s_set_vgpr_msb 0x55                     ;  msbs: dst=1 src0=1 src1=1 src2=1
	v_add3_u32 v90 /*v346*/, v90 /*v346*/, v106 /*v362*/, v107 /*v363*/
	s_set_vgpr_msb 0x41                     ;  msbs: dst=1 src0=1 src1=0 src2=0
	v_mul_i32_i24_e32 v106 /*v362*/, v65 /*v321*/, v195
	v_mul_i32_i24_e32 v65 /*v321*/, v65 /*v321*/, v220
	s_set_vgpr_msb 0x55                     ;  msbs: dst=1 src0=1 src1=1 src2=1
	v_add3_u32 v64 /*v320*/, v64 /*v320*/, v77 /*v333*/, v78 /*v334*/
	s_set_vgpr_msb 0x41                     ;  msbs: dst=1 src0=1 src1=0 src2=0
	v_mul_i32_i24_e32 v103 /*v359*/, v79 /*v335*/, v194
	v_mul_i32_i24_e32 v105 /*v361*/, v81 /*v337*/, v196
	v_mul_i32_i24_e32 v79 /*v335*/, v79 /*v335*/, v219
	v_mul_i32_i24_e32 v81 /*v337*/, v81 /*v337*/, v221
	s_set_vgpr_msb 0x55                     ;  msbs: dst=1 src0=1 src1=1 src2=1
	v_add3_u32 v64 /*v320*/, v64 /*v320*/, v65 /*v321*/, v80 /*v336*/
	v_add3_u32 v90 /*v346*/, v90 /*v346*/, v112 /*v368*/, v110 /*v366*/
	s_set_vgpr_msb 0x41                     ;  msbs: dst=1 src0=1 src1=0 src2=0
	v_mul_i32_i24_e32 v107 /*v363*/, v82 /*v338*/, v197
	v_mul_i32_i24_e32 v110 /*v366*/, v67 /*v323*/, v199
	v_mul_i32_i24_e32 v82 /*v338*/, v82 /*v338*/, v222
	v_mul_i32_i24_e32 v67 /*v323*/, v67 /*v323*/, v224
	s_set_vgpr_msb 0x55                     ;  msbs: dst=1 src0=1 src1=1 src2=1
	v_add3_u32 v64 /*v320*/, v64 /*v320*/, v79 /*v335*/, v81 /*v337*/
	;; [unrolled: 8-line block ×3, first 2 shown]
	s_set_vgpr_msb 0x41                     ;  msbs: dst=1 src0=1 src1=0 src2=0
	v_mul_i32_i24_e32 v112 /*v368*/, v86 /*v342*/, v201
	v_mul_i32_i24_e32 v86 /*v342*/, v86 /*v342*/, v226
	;; [unrolled: 1-line block ×3, first 2 shown]
	s_set_vgpr_msb 0x55                     ;  msbs: dst=1 src0=1 src1=1 src2=1
	v_add3_u32 v92 /*v348*/, v92 /*v348*/, v93 /*v349*/, v94 /*v350*/
	v_add3_u32 v64 /*v320*/, v64 /*v320*/, v83 /*v339*/, v84 /*v340*/
	s_set_vgpr_msb 0x41                     ;  msbs: dst=1 src0=1 src1=0 src2=0
	v_mul_i32_i24_e32 v85 /*v341*/, v85 /*v341*/, v227
	v_mul_i32_i24_e32 v94 /*v350*/, v88 /*v344*/, v243
	v_add_nc_u32_e32 v66 /*v322*/, 0x1c14, v97
	s_set_vgpr_msb 0x55                     ;  msbs: dst=1 src0=1 src1=1 src2=1
	v_add3_u32 v92 /*v348*/, v92 /*v348*/, v98 /*v354*/, v96 /*v352*/
	v_add3_u32 v64 /*v320*/, v64 /*v320*/, v69 /*v325*/, v86 /*v342*/
	s_set_vgpr_msb 0x41                     ;  msbs: dst=1 src0=1 src1=0 src2=0
	v_mul_i32_i24_e32 v96 /*v352*/, v63 /*v319*/, v245
	v_add_nc_u32_e32 v70 /*v326*/, 0x1c00, v97
	ds_load_2addr_b32 v[66:67] /*v[322:323]*/, v66 /*v322*/ offset1:1
	s_set_vgpr_msb 0x55                     ;  msbs: dst=1 src0=1 src1=1 src2=1
	v_add3_u32 v92 /*v348*/, v92 /*v348*/, v95 /*v351*/, v97 /*v353*/
	v_add3_u32 v64 /*v320*/, v64 /*v320*/, v85 /*v341*/, v87 /*v343*/
	s_set_vgpr_msb 64                       ;  msbs: dst=1 src0=0 src1=0 src2=0
	v_pk_mul_f16 v93 /*v349*/, v144, v90
	s_set_vgpr_msb 0x41                     ;  msbs: dst=1 src0=1 src1=0 src2=0
	v_mul_i32_i24_e32 v95 /*v351*/, v89 /*v345*/, v244
	s_set_vgpr_msb 0                        ;  msbs: dst=0 src0=0 src1=0 src2=0
	v_pk_mul_f16 v90, v205, v90
	s_set_vgpr_msb 0x55                     ;  msbs: dst=1 src0=1 src1=1 src2=1
	v_add3_u32 v92 /*v348*/, v92 /*v348*/, v102 /*v358*/, v99 /*v355*/
	v_add3_u32 v72 /*v328*/, v64 /*v320*/, v96 /*v352*/, v94 /*v350*/
	s_set_vgpr_msb 64                       ;  msbs: dst=1 src0=0 src1=0 src2=0
	v_add_nc_u32_e32 v64 /*v320*/, 0x1c04, v97
	s_set_vgpr_msb 0                        ;  msbs: dst=0 src0=0 src1=0 src2=0
	v_add_nc_u32_e32 v97, 32, v97
	s_set_vgpr_msb 0x55                     ;  msbs: dst=1 src0=1 src1=1 src2=1
	v_add3_u32 v92 /*v348*/, v92 /*v348*/, v100 /*v356*/, v101 /*v357*/
	ds_load_2addr_b32 v[64:65] /*v[320:321]*/, v64 /*v320*/ offset1:1
	ds_load_2addr_b32 v[68:69] /*v[324:325]*/, v70 /*v326*/ offset1:3
	ds_load_2addr_b32 v[70:71] /*v[326:327]*/, v70 /*v326*/ offset0:4 offset1:7
	v_add3_u32 v92 /*v348*/, v92 /*v348*/, v106 /*v362*/, v104 /*v360*/
	s_wait_dscnt 0x3
	v_bfe_i32 v79 /*v335*/, v66 /*v322*/, 0, 8
	v_bfe_i32 v80 /*v336*/, v66 /*v322*/, 8, 8
	v_bfe_i32 v81 /*v337*/, v66 /*v322*/, 16, 8
	v_ashrrev_i32_e32 v66 /*v322*/, 24, v66 /*v322*/
	v_bfe_i32 v85 /*v341*/, v67 /*v323*/, 0, 8
	v_mul_i32_i24_e32 v20 /*v276*/, v79 /*v335*/, v20 /*v276*/
	v_mul_i32_i24_e32 v18 /*v274*/, v80 /*v336*/, v18 /*v274*/
	;; [unrolled: 1-line block ×3, first 2 shown]
	s_set_vgpr_msb 1                        ;  msbs: dst=0 src0=1 src1=0 src2=0
	v_mul_i32_i24_e32 v109, v66 /*v322*/, v109
	s_set_vgpr_msb 0x41                     ;  msbs: dst=1 src0=1 src1=0 src2=0
	v_bfe_i32 v86 /*v342*/, v67 /*v323*/, 8, 8
	v_bfe_i32 v87 /*v343*/, v67 /*v323*/, 16, 8
	s_set_vgpr_msb 0x45                     ;  msbs: dst=1 src0=1 src1=1 src2=0
	v_ashrrev_i32_e32 v67 /*v323*/, 24, v67 /*v323*/
	v_mul_i32_i24_e32 v30 /*v286*/, v85 /*v341*/, v30 /*v286*/
	s_wait_dscnt 0x2
	v_bfe_i32 v76 /*v332*/, v64 /*v320*/, 0, 8
	s_wait_dscnt 0x0
	v_bfe_i32 v74 /*v330*/, v70 /*v326*/, 8, 8
	v_bfe_i32 v73 /*v329*/, v70 /*v326*/, 0, 8
	;; [unrolled: 1-line block ×3, first 2 shown]
	v_ashrrev_i32_e32 v70 /*v326*/, 24, v70 /*v326*/
	v_bfe_i32 v77 /*v333*/, v64 /*v320*/, 8, 8
	v_mul_i32_i24_e32 v13 /*v269*/, v13 /*v269*/, v74 /*v330*/
	v_bfe_i32 v78 /*v334*/, v64 /*v320*/, 16, 8
	v_ashrrev_i32_e32 v64 /*v320*/, 24, v64 /*v320*/
	v_mul_i32_i24_e32 v14 /*v270*/, v14 /*v270*/, v75 /*v331*/
	s_set_vgpr_msb 4                        ;  msbs: dst=0 src0=0 src1=1 src2=0
	v_mul_i32_i24_e32 v111, v111, v70 /*v326*/
	s_set_vgpr_msb 0x55                     ;  msbs: dst=1 src0=1 src1=1 src2=1
	v_mad_i32_i24 v12 /*v268*/, v12 /*v268*/, v73 /*v329*/, v13 /*v269*/
	v_mul_i32_i24_e32 v15 /*v271*/, v77 /*v333*/, v15 /*v271*/
	s_set_vgpr_msb 1                        ;  msbs: dst=0 src0=1 src1=0 src2=0
	v_mul_i32_i24_e32 v113, v64 /*v320*/, v113
	s_set_vgpr_msb 0x45                     ;  msbs: dst=1 src0=1 src1=1 src2=0
	v_mul_i32_i24_e32 v17 /*v273*/, v76 /*v332*/, v17 /*v273*/
	v_mul_i32_i24_e32 v16 /*v272*/, v78 /*v334*/, v16 /*v272*/
	s_set_vgpr_msb 5                        ;  msbs: dst=0 src0=1 src1=1 src2=0
	v_add3_u32 v111, v12 /*v268*/, v14 /*v270*/, v111
	s_set_vgpr_msb 0x41                     ;  msbs: dst=1 src0=1 src1=0 src2=0
	v_bfe_i32 v82 /*v338*/, v65 /*v321*/, 0, 8
	v_bfe_i32 v83 /*v339*/, v65 /*v321*/, 8, 8
	;; [unrolled: 1-line block ×3, first 2 shown]
	s_set_vgpr_msb 0x44                     ;  msbs: dst=1 src0=0 src1=1 src2=0
	v_ashrrev_i32_e32 v65 /*v321*/, 24, v65 /*v321*/
	s_set_vgpr_msb 16                       ;  msbs: dst=0 src0=0 src1=0 src2=1
	v_add3_u32 v111, v111, v113, v15 /*v271*/
	s_set_vgpr_msb 0x45                     ;  msbs: dst=1 src0=1 src1=1 src2=0
	v_mul_i32_i24_e32 v23 /*v279*/, v82 /*v338*/, v23 /*v279*/
	v_mul_i32_i24_e32 v21 /*v277*/, v83 /*v339*/, v21 /*v277*/
	;; [unrolled: 1-line block ×3, first 2 shown]
	s_set_vgpr_msb 1                        ;  msbs: dst=0 src0=1 src1=0 src2=0
	v_mul_i32_i24_e32 v114, v65 /*v321*/, v114
	s_set_vgpr_msb 20                       ;  msbs: dst=0 src0=0 src1=1 src2=1
	v_add3_u32 v111, v111, v17 /*v273*/, v16 /*v272*/
	s_set_vgpr_msb 1                        ;  msbs: dst=0 src0=1 src1=0 src2=0
	v_mul_i32_i24_e32 v110, v67 /*v323*/, v110
	s_set_vgpr_msb 0x41                     ;  msbs: dst=1 src0=1 src1=0 src2=0
	v_bfe_i32 v94 /*v350*/, v69 /*v325*/, 0, 8
	v_bfe_i32 v96 /*v352*/, v69 /*v325*/, 8, 8
	v_bfe_i32 v97 /*v353*/, v69 /*v325*/, 16, 8
	s_set_vgpr_msb 16                       ;  msbs: dst=0 src0=0 src1=0 src2=1
	v_add3_u32 v109, v111, v109, v20 /*v276*/
	s_set_vgpr_msb 0x45                     ;  msbs: dst=1 src0=1 src1=1 src2=0
	v_ashrrev_i32_e32 v69 /*v325*/, 24, v69 /*v325*/
	v_mul_i32_i24_e32 v25 /*v281*/, v86 /*v342*/, v25 /*v281*/
	v_mul_i32_i24_e32 v26 /*v282*/, v87 /*v343*/, v26 /*v282*/
	v_bfe_i32 v98 /*v354*/, v71 /*v327*/, 0, 8
	s_set_vgpr_msb 20                       ;  msbs: dst=0 src0=0 src1=1 src2=1
	v_add3_u32 v109, v109, v18 /*v274*/, v19 /*v275*/
	s_set_vgpr_msb 0x41                     ;  msbs: dst=1 src0=1 src1=0 src2=0
	v_bfe_i32 v99 /*v355*/, v71 /*v327*/, 8, 8
	v_bfe_i32 v100 /*v356*/, v71 /*v327*/, 16, 8
	s_set_vgpr_msb 0x45                     ;  msbs: dst=1 src0=1 src1=1 src2=0
	v_ashrrev_i32_e32 v71 /*v327*/, 24, v71 /*v327*/
	v_mul_i32_i24_e32 v31 /*v287*/, v96 /*v352*/, v31 /*v287*/
	s_set_vgpr_msb 16                       ;  msbs: dst=0 src0=0 src1=0 src2=1
	v_add3_u32 v109, v109, v114, v21 /*v277*/
	s_set_vgpr_msb 1                        ;  msbs: dst=0 src0=1 src1=0 src2=0
	v_mul_i32_i24_e32 v112, v69 /*v325*/, v112
	s_set_vgpr_msb 0x45                     ;  msbs: dst=1 src0=1 src1=1 src2=0
	v_mul_i32_i24_e32 v33 /*v289*/, v94 /*v350*/, v33 /*v289*/
	v_mul_i32_i24_e32 v32 /*v288*/, v97 /*v353*/, v32 /*v288*/
	;; [unrolled: 1-line block ×3, first 2 shown]
	s_set_vgpr_msb 20                       ;  msbs: dst=0 src0=0 src1=1 src2=1
	v_add3_u32 v109, v109, v23 /*v279*/, v22 /*v278*/
	s_set_vgpr_msb 0x45                     ;  msbs: dst=1 src0=1 src1=1 src2=0
	v_mul_i32_i24_e32 v5 /*v261*/, v71 /*v327*/, v5 /*v261*/
	v_mul_i32_i24_e32 v4 /*v260*/, v99 /*v355*/, v4 /*v260*/
	s_set_vgpr_msb 1                        ;  msbs: dst=0 src0=1 src1=0 src2=0
	v_bfe_i32 v111, v68 /*v324*/, 0, 8
	v_bfe_i32 v113, v68 /*v324*/, 8, 8
	s_set_vgpr_msb 16                       ;  msbs: dst=0 src0=0 src1=0 src2=1
	v_add3_u32 v109, v109, v110, v30 /*v286*/
	v_bfe_u32 v110, v81, 4, 4
	v_lshrrev_b32_e32 v114, 28, v81
	s_set_vgpr_msb 1                        ;  msbs: dst=0 src0=1 src1=0 src2=0
	v_mul_i32_i24_e32 v250, v100 /*v356*/, v250
	s_set_vgpr_msb 0x44                     ;  msbs: dst=1 src0=0 src1=1 src2=0
	v_ashrrev_i32_e32 v12 /*v268*/, 24, v68 /*v324*/
	s_set_vgpr_msb 20                       ;  msbs: dst=0 src0=0 src1=1 src2=1
	v_add3_u32 v109, v109, v25 /*v281*/, v26 /*v282*/
	s_set_vgpr_msb 0                        ;  msbs: dst=0 src0=0 src1=0 src2=0
	v_mul_i32_i24_e32 v107, v107, v110
	v_mul_i32_i24_e32 v104, v104, v114
	s_set_vgpr_msb 0x55                     ;  msbs: dst=1 src0=1 src1=1 src2=1
	v_add3_u32 v92 /*v348*/, v92 /*v348*/, v103 /*v359*/, v105 /*v361*/
	s_set_vgpr_msb 4                        ;  msbs: dst=0 src0=0 src1=1 src2=0
	v_mul_i32_i24_e32 v251, v251, v12 /*v268*/
	s_set_vgpr_msb 16                       ;  msbs: dst=0 src0=0 src1=0 src2=1
	v_add3_u32 v109, v109, v112, v31 /*v287*/
	v_bfe_u32 v112, v81, 12, 4
	s_set_vgpr_msb 0x41                     ;  msbs: dst=1 src0=1 src1=0 src2=0
	v_mul_i32_i24_e32 v117 /*v373*/, v63 /*v319*/, v237
	s_set_vgpr_msb 0x55                     ;  msbs: dst=1 src0=1 src1=1 src2=1
	v_add3_u32 v92 /*v348*/, v92 /*v348*/, v110 /*v366*/, v107 /*v363*/
	s_set_vgpr_msb 20                       ;  msbs: dst=0 src0=0 src1=1 src2=1
	v_add3_u32 v109, v109, v33 /*v289*/, v32 /*v288*/
	s_set_vgpr_msb 0                        ;  msbs: dst=0 src0=0 src1=0 src2=0
	v_mul_i32_i24_e32 v105, v105, v112
	s_set_vgpr_msb 0x55                     ;  msbs: dst=1 src0=1 src1=1 src2=1
	v_add3_u32 v92 /*v348*/, v92 /*v348*/, v108 /*v364*/, v109 /*v365*/
	s_set_vgpr_msb 20                       ;  msbs: dst=0 src0=0 src1=1 src2=1
	v_add3_u32 v109, v109, v5 /*v261*/, v3 /*v259*/
	s_set_vgpr_msb 64                       ;  msbs: dst=1 src0=0 src1=0 src2=0
	v_bfe_u32 v3 /*v259*/, v81, 20, 4
	s_set_vgpr_msb 0x41                     ;  msbs: dst=1 src0=1 src1=0 src2=0
	v_bfe_i32 v5 /*v261*/, v68 /*v324*/, 16, 8
	s_set_vgpr_msb 0                        ;  msbs: dst=0 src0=0 src1=0 src2=0
	v_mul_i32_i24_e32 v81, v253, v111
	s_set_vgpr_msb 1                        ;  msbs: dst=0 src0=1 src1=0 src2=0
	v_mul_i32_i24_e32 v253, v1 /*v257*/, v113
	s_set_vgpr_msb 4                        ;  msbs: dst=0 src0=0 src1=1 src2=0
	v_add3_u32 v109, v109, v4 /*v260*/, v250
	v_mul_i32_i24_e32 v106, v106, v3 /*v259*/
	s_set_vgpr_msb 0                        ;  msbs: dst=0 src0=0 src1=0 src2=0
	v_add3_u32 v103, v103, v107, v105
	s_set_vgpr_msb 0x45                     ;  msbs: dst=1 src0=1 src1=1 src2=0
	v_mul_i32_i24_e32 v1 /*v257*/, v2 /*v258*/, v5 /*v261*/
	s_set_vgpr_msb 0                        ;  msbs: dst=0 src0=0 src1=0 src2=0
	v_cvt_f32_f16_e32 v105, v108
	v_add3_u32 v81, v109, v81, v253
	s_set_vgpr_msb 0x55                     ;  msbs: dst=1 src0=1 src1=1 src2=1
	v_add3_u32 v92 /*v348*/, v92 /*v348*/, v114 /*v370*/, v112 /*v368*/
	s_set_vgpr_msb 0                        ;  msbs: dst=0 src0=0 src1=0 src2=0
	v_add3_u32 v103, v103, v106, v104
	v_lshrrev_b32_e32 v106, 16, v108
	v_cvt_f32_f16_e64 v104, v191
	s_set_vgpr_msb 4                        ;  msbs: dst=0 src0=0 src1=1 src2=0
	v_add3_u32 v81, v81, v1 /*v257*/, v251
	s_set_vgpr_msb 0x55                     ;  msbs: dst=1 src0=1 src1=1 src2=1
	v_add3_u32 v92 /*v348*/, v92 /*v348*/, v111 /*v367*/, v113 /*v369*/
	s_set_vgpr_msb 0                        ;  msbs: dst=0 src0=0 src1=0 src2=0
	v_cvt_f32_i32_e32 v108, v103
	v_cvt_f32_f16_e32 v107, v106
	v_lshrrev_b32_e32 v106, 16, v191
	v_cvt_f32_i32_e32 v109, v81
	v_mul_i32_i24_e32 v81, v246, v110
	v_mul_i32_i24_e32 v103, v247, v112
	v_cvt_f32_f16_e32 v89, v89
	v_cvt_f32_f16_e32 v106, v106
	s_set_vgpr_msb 0x55                     ;  msbs: dst=1 src0=1 src1=1 src2=1
	v_add3_u32 v92 /*v348*/, v92 /*v348*/, v117 /*v373*/, v115 /*v371*/
	s_set_vgpr_msb 0                        ;  msbs: dst=0 src0=0 src1=0 src2=0
	s_delay_alu instid0(VALU_DEP_2)
	v_pk_fma_f32 v[104:105], v[104:105], v[108:109], v[106:107]
	v_mul_i32_i24_e32 v107, v249, v114
	s_set_vgpr_msb 4                        ;  msbs: dst=0 src0=0 src1=1 src2=0
	v_mul_i32_i24_e32 v106, v248, v3 /*v259*/
	s_set_vgpr_msb 1                        ;  msbs: dst=0 src0=1 src1=0 src2=0
	v_mul_i32_i24_e32 v109, v38 /*v294*/, v114
	s_set_vgpr_msb 5                        ;  msbs: dst=0 src0=1 src1=1 src2=0
	v_mul_i32_i24_e32 v108, v37 /*v293*/, v3 /*v259*/
	s_set_vgpr_msb 0                        ;  msbs: dst=0 src0=0 src1=0 src2=0
	v_pk_add_f32 v[6:7], v[6:7], v[104:105]
	s_set_vgpr_msb 1                        ;  msbs: dst=0 src0=1 src1=0 src2=0
	v_add3_u32 v81, v7 /*v263*/, v107, v81
	v_mul_i32_i24_e32 v107, v36 /*v292*/, v112
	v_mul_i32_i24_e32 v105, v83 /*v339*/, v132
	;; [unrolled: 1-line block ×3, first 2 shown]
	s_set_vgpr_msb 0                        ;  msbs: dst=0 src0=0 src1=0 src2=0
	v_add3_u32 v81, v81, v103, v106
	s_set_vgpr_msb 1                        ;  msbs: dst=0 src0=1 src1=0 src2=0
	v_mul_i32_i24_e32 v106, v11 /*v267*/, v114
	s_set_vgpr_msb 5                        ;  msbs: dst=0 src0=1 src1=1 src2=0
	v_mul_i32_i24_e32 v103, v10 /*v266*/, v3 /*v259*/
	s_set_vgpr_msb 0                        ;  msbs: dst=0 src0=0 src1=0 src2=0
	v_add3_u32 v81, v81, v252, v254
	s_set_vgpr_msb 16                       ;  msbs: dst=0 src0=0 src1=0 src2=1
	s_delay_alu instid0(VALU_DEP_1) | instskip(NEXT) | instid1(VALU_DEP_1)
	v_add3_u32 v81, v81, v255, v0 /*v256*/
	v_cvt_f32_i32_e32 v81, v81
	s_set_vgpr_msb 17                       ;  msbs: dst=0 src0=1 src1=0 src2=1
	s_delay_alu instid0(VALU_DEP_1) | instskip(SKIP_1) | instid1(VALU_DEP_1)
	v_fma_mix_f32 v81, v6 /*v262*/, v81, v6 /*v262*/ op_sel:[0,0,1] op_sel_hi:[1,0,1]
	s_set_vgpr_msb 0                        ;  msbs: dst=0 src0=0 src1=0 src2=0
	v_pk_add_f32 v[8:9], v[8:9], v[80:81]
	s_set_vgpr_msb 1                        ;  msbs: dst=0 src0=1 src1=0 src2=0
	v_mul_i32_i24_e32 v80, v8 /*v264*/, v110
	v_mul_i32_i24_e32 v81, v9 /*v265*/, v112
	s_delay_alu instid0(VALU_DEP_2) | instskip(SKIP_2) | instid1(VALU_DEP_2)
	v_add3_u32 v80, v34 /*v290*/, v106, v80
	v_mul_i32_i24_e32 v106, v35 /*v291*/, v110
	s_set_vgpr_msb 0                        ;  msbs: dst=0 src0=0 src1=0 src2=0
	v_add3_u32 v80, v80, v81, v103
	s_set_vgpr_msb 1                        ;  msbs: dst=0 src0=1 src1=0 src2=0
	s_delay_alu instid0(VALU_DEP_2)
	v_add3_u32 v106, v43 /*v299*/, v109, v106
	v_mul_i32_i24_e32 v103, v56 /*v312*/, v114
	v_mul_i32_i24_e32 v109, v86 /*v342*/, v137
	s_set_vgpr_msb 20                       ;  msbs: dst=0 src0=0 src1=1 src2=1
	v_add3_u32 v80, v80, v24 /*v280*/, v27 /*v283*/
	s_set_vgpr_msb 0                        ;  msbs: dst=0 src0=0 src1=0 src2=0
	v_add3_u32 v81, v106, v107, v108
	s_set_vgpr_msb 1                        ;  msbs: dst=0 src0=1 src1=0 src2=0
	v_mul_i32_i24_e32 v107, v65 /*v321*/, v134
	v_mul_i32_i24_e32 v106, v84 /*v340*/, v135
	;; [unrolled: 1-line block ×3, first 2 shown]
	s_set_vgpr_msb 20                       ;  msbs: dst=0 src0=0 src1=1 src2=1
	v_add3_u32 v80, v80, v28 /*v284*/, v29 /*v285*/
	v_add3_u32 v81, v81, v40 /*v296*/, v42 /*v298*/
	s_delay_alu instid0(VALU_DEP_2) | instskip(NEXT) | instid1(VALU_DEP_2)
	v_cvt_f32_i32_e32 v80, v80
	v_add3_u32 v81, v81, v39 /*v295*/, v41 /*v297*/
	s_delay_alu instid0(VALU_DEP_1) | instskip(SKIP_1) | instid1(VALU_DEP_1)
	v_cvt_f32_i32_e32 v81, v81
	s_set_vgpr_msb 0                        ;  msbs: dst=0 src0=0 src1=0 src2=0
	v_pk_fma_f32 v[80:81], v[82:83], v[80:81], v[84:85]
	s_set_vgpr_msb 1                        ;  msbs: dst=0 src0=1 src1=0 src2=0
	v_mul_i32_i24_e32 v83, v47 /*v303*/, v114
	s_set_vgpr_msb 5                        ;  msbs: dst=0 src0=1 src1=1 src2=0
	v_mul_i32_i24_e32 v82, v46 /*v302*/, v3 /*v259*/
	s_set_vgpr_msb 1                        ;  msbs: dst=0 src0=1 src1=0 src2=0
	v_mul_i32_i24_e32 v84, v54 /*v310*/, v112
	s_set_vgpr_msb 5                        ;  msbs: dst=0 src0=1 src1=1 src2=0
	v_mul_i32_i24_e32 v85, v55 /*v311*/, v3 /*v259*/
	s_set_vgpr_msb 0                        ;  msbs: dst=0 src0=0 src1=0 src2=0
	v_pk_add_f32 v[26:27], v[26:27], v[80:81]
	s_set_vgpr_msb 1                        ;  msbs: dst=0 src0=1 src1=0 src2=0
	v_mul_i32_i24_e32 v80, v44 /*v300*/, v110
	v_mul_i32_i24_e32 v81, v45 /*v301*/, v112
	s_delay_alu instid0(VALU_DEP_2) | instskip(SKIP_2) | instid1(VALU_DEP_2)
	v_add3_u32 v80, v52 /*v308*/, v83, v80
	v_mul_i32_i24_e32 v83, v53 /*v309*/, v110
	s_set_vgpr_msb 0                        ;  msbs: dst=0 src0=0 src1=0 src2=0
	v_add3_u32 v80, v80, v81, v82
	s_set_vgpr_msb 1                        ;  msbs: dst=0 src0=1 src1=0 src2=0
	s_delay_alu instid0(VALU_DEP_2)
	v_add3_u32 v83, v59 /*v315*/, v103, v83
	v_mul_i32_i24_e32 v82, v63 /*v319*/, v114
	v_mul_i32_i24_e32 v103, v66 /*v322*/, v130
	;; [unrolled: 1-line block ×3, first 2 shown]
	s_set_vgpr_msb 20                       ;  msbs: dst=0 src0=0 src1=1 src2=1
	v_add3_u32 v80, v80, v48 /*v304*/, v49 /*v305*/
	s_set_vgpr_msb 0                        ;  msbs: dst=0 src0=0 src1=0 src2=0
	v_add3_u32 v81, v83, v84, v85
	s_set_vgpr_msb 1                        ;  msbs: dst=0 src0=1 src1=0 src2=0
	v_mul_i32_i24_e32 v83, v75 /*v331*/, v121
	v_mul_i32_i24_e32 v84, v70 /*v326*/, v123
	;; [unrolled: 1-line block ×3, first 2 shown]
	s_set_vgpr_msb 20                       ;  msbs: dst=0 src0=0 src1=1 src2=1
	v_add3_u32 v80, v80, v50 /*v306*/, v51 /*v307*/
	s_set_vgpr_msb 16                       ;  msbs: dst=0 src0=0 src1=0 src2=1
	v_add3_u32 v81, v81, v95, v58 /*v314*/
	s_set_vgpr_msb 1                        ;  msbs: dst=0 src0=1 src1=0 src2=0
	v_mul_i32_i24_e32 v95, v81 /*v337*/, v131
	v_mul_i32_i24_e32 v121, v87 /*v343*/, v139
	;; [unrolled: 1-line block ×3, first 2 shown]
	s_set_vgpr_msb 16                       ;  msbs: dst=0 src0=0 src1=0 src2=1
	v_cvt_f32_i32_e32 v80, v80
	v_add3_u32 v81, v81, v94, v57 /*v313*/
	s_set_vgpr_msb 1                        ;  msbs: dst=0 src0=1 src1=0 src2=0
	v_mul_i32_i24_e32 v94, v80 /*v336*/, v129
	v_mul_i32_i24_e32 v123, v94 /*v350*/, v141
	s_set_vgpr_msb 0                        ;  msbs: dst=0 src0=0 src1=0 src2=0
	v_cvt_f32_i32_e32 v81, v81
	s_delay_alu instid0(VALU_DEP_1)
	v_pk_fma_f32 v[80:81], v[86:87], v[80:81], v[88:89]
	s_set_vgpr_msb 1                        ;  msbs: dst=0 src0=1 src1=0 src2=0
	v_mul_i32_i24_e32 v86, v77 /*v333*/, v125
	v_mul_i32_i24_e32 v88, v64 /*v320*/, v127
	;; [unrolled: 1-line block ×4, first 2 shown]
	s_set_vgpr_msb 0                        ;  msbs: dst=0 src0=0 src1=0 src2=0
	v_pk_add_f32 v[18:19], v[18:19], v[80:81]
	s_set_vgpr_msb 1                        ;  msbs: dst=0 src0=1 src1=0 src2=0
	v_mul_i32_i24_e32 v80, v88 /*v344*/, v110
	v_mul_i32_i24_e32 v126, v69 /*v325*/, v143
	;; [unrolled: 1-line block ×5, first 2 shown]
	v_add3_u32 v80, v90 /*v346*/, v82, v80
	v_mul_i32_i24_e32 v82, v74 /*v330*/, v122
	v_mul_i32_i24_e32 v122, v67 /*v323*/, v138
	;; [unrolled: 1-line block ×3, first 2 shown]
	s_delay_alu instid0(VALU_DEP_3) | instskip(SKIP_1) | instid1(VALU_DEP_1)
	v_mad_i32_i24 v82, v73 /*v329*/, v120, v82
	s_set_vgpr_msb 0                        ;  msbs: dst=0 src0=0 src1=0 src2=0
	v_add3_u32 v82, v82, v83, v84
	v_pk_mul_f16 v83, v115, v91
	s_set_vgpr_msb 1                        ;  msbs: dst=0 src0=1 src1=0 src2=0
	v_mul_i32_i24_e32 v84, v61 /*v317*/, v118
	v_mul_i32_i24_e32 v115, v69 /*v325*/, v204
	s_set_vgpr_msb 0                        ;  msbs: dst=0 src0=0 src1=0 src2=0
	v_add3_u32 v82, v82, v88, v86
	s_set_vgpr_msb 1                        ;  msbs: dst=0 src0=1 src1=0 src2=0
	v_mul_i32_i24_e32 v86, v60 /*v316*/, v119
	v_mul_i32_i24_e32 v88, v5 /*v261*/, v116
	s_set_vgpr_msb 0                        ;  msbs: dst=0 src0=0 src1=0 src2=0
	v_add3_u32 v82, v82, v85, v87
	v_mul_i32_i24_e32 v85, v111, v118
	v_mul_i32_i24_e32 v87, v113, v119
	s_set_vgpr_msb 1                        ;  msbs: dst=0 src0=1 src1=0 src2=0
	v_mul_i32_i24_e32 v118, v71 /*v327*/, v237
	s_set_vgpr_msb 0                        ;  msbs: dst=0 src0=0 src1=0 src2=0
	v_add3_u32 v82, v82, v103, v89
	s_set_vgpr_msb 5                        ;  msbs: dst=0 src0=1 src1=1 src2=0
	v_mul_i32_i24_e32 v103, v100 /*v356*/, v3 /*v259*/
	s_set_vgpr_msb 0                        ;  msbs: dst=0 src0=0 src1=0 src2=0
	v_mul_i32_i24_e32 v89, v93, v116
	s_set_vgpr_msb 1                        ;  msbs: dst=0 src0=1 src1=0 src2=0
	v_mul_i32_i24_e32 v116, v98 /*v354*/, v235
	s_set_vgpr_msb 0                        ;  msbs: dst=0 src0=0 src1=0 src2=0
	v_add3_u32 v82, v82, v94, v95
	s_set_vgpr_msb 1                        ;  msbs: dst=0 src0=1 src1=0 src2=0
	v_mul_i32_i24_e32 v94, v12 /*v268*/, v117
	s_set_vgpr_msb 0                        ;  msbs: dst=0 src0=0 src1=0 src2=0
	s_delay_alu instid0(VALU_DEP_2)
	v_add3_u32 v82, v82, v107, v105
	s_set_vgpr_msb 1                        ;  msbs: dst=0 src0=1 src1=0 src2=0
	v_mul_i32_i24_e32 v105, v65 /*v321*/, v195
	v_mul_i32_i24_e32 v107, v86 /*v342*/, v198
	s_set_vgpr_msb 0                        ;  msbs: dst=0 src0=0 src1=0 src2=0
	v_add3_u32 v82, v82, v104, v106
	s_set_vgpr_msb 5                        ;  msbs: dst=0 src0=1 src1=1 src2=0
	v_mul_i32_i24_e32 v104, v62 /*v318*/, v3 /*v259*/
	s_set_vgpr_msb 1                        ;  msbs: dst=0 src0=1 src1=0 src2=0
	v_mul_i32_i24_e32 v106, v85 /*v341*/, v197
	s_set_vgpr_msb 0                        ;  msbs: dst=0 src0=0 src1=0 src2=0
	v_add3_u32 v82, v82, v122, v108
	v_add3_u32 v80, v80, v81, v104
	s_set_vgpr_msb 1                        ;  msbs: dst=0 src0=1 src1=0 src2=0
	v_mul_i32_i24_e32 v104, v84 /*v340*/, v196
	v_mul_i32_i24_e32 v108, v87 /*v343*/, v200
	s_set_vgpr_msb 0                        ;  msbs: dst=0 src0=0 src1=0 src2=0
	v_add3_u32 v82, v82, v109, v121
	v_add3_u32 v80, v80, v84, v86
	s_set_vgpr_msb 1                        ;  msbs: dst=0 src0=1 src1=0 src2=0
	v_mul_i32_i24_e32 v86, v64 /*v320*/, v152
	v_mul_i32_i24_e32 v109, v67 /*v323*/, v199
	s_set_vgpr_msb 0                        ;  msbs: dst=0 src0=0 src1=0 src2=0
	v_add3_u32 v82, v82, v126, v124
	s_delay_alu instid0(VALU_DEP_1) | instskip(NEXT) | instid1(VALU_DEP_1)
	v_add3_u32 v82, v82, v123, v125
	v_add3_u32 v82, v82, v114, v110
	s_set_vgpr_msb 1                        ;  msbs: dst=0 src0=1 src1=0 src2=0
	v_mul_i32_i24_e32 v110, v94 /*v350*/, v202
	v_mul_i32_i24_e32 v114, v97 /*v353*/, v203
	s_set_vgpr_msb 0                        ;  msbs: dst=0 src0=0 src1=0 src2=0
	v_add3_u32 v81, v82, v112, v103
	v_lshrrev_b32_e32 v82, 16, v83
	s_set_vgpr_msb 1                        ;  msbs: dst=0 src0=1 src1=0 src2=0
	v_mul_i32_i24_e32 v103, v83 /*v339*/, v193
	v_mul_i32_i24_e32 v112, v96 /*v352*/, v201
	s_set_vgpr_msb 0                        ;  msbs: dst=0 src0=0 src1=0 src2=0
	v_add3_u32 v81, v81, v85, v87
	s_set_vgpr_msb 1                        ;  msbs: dst=0 src0=1 src1=0 src2=0
	v_mul_i32_i24_e32 v87, v79 /*v335*/, v153
	s_set_vgpr_msb 0                        ;  msbs: dst=0 src0=0 src1=0 src2=0
	s_delay_alu instid0(VALU_DEP_2)
	v_add3_u32 v85, v81, v88, v94
	v_cvt_f32_f16_e32 v81, v83
	v_cvt_f32_f16_e32 v83, v82
	s_set_vgpr_msb 4                        ;  msbs: dst=0 src0=0 src1=1 src2=0
	v_lshrrev_b32_e32 v82, 16, v91 /*v347*/
	s_set_vgpr_msb 0                        ;  msbs: dst=0 src0=0 src1=0 src2=0
	v_mul_i32_i24_e32 v95, v92, v117
	v_cvt_f32_i32_e32 v85, v85
	s_set_vgpr_msb 1                        ;  msbs: dst=0 src0=1 src1=0 src2=0
	v_mul_i32_i24_e32 v94, v66 /*v322*/, v155
	v_mul_i32_i24_e32 v88, v80 /*v336*/, v154
	s_set_vgpr_msb 0                        ;  msbs: dst=0 src0=0 src1=0 src2=0
	v_cvt_f32_f16_e32 v82, v82
	v_add3_u32 v84, v80, v89, v95
	s_set_vgpr_msb 1                        ;  msbs: dst=0 src0=1 src1=0 src2=0
	v_cvt_f32_f16_e64 v80, v91 /*v347*/
	v_mul_i32_i24_e32 v89, v81 /*v337*/, v189
	v_mul_i32_i24_e32 v95, v82 /*v338*/, v194
	;; [unrolled: 1-line block ×3, first 2 shown]
	s_set_vgpr_msb 0                        ;  msbs: dst=0 src0=0 src1=0 src2=0
	v_cvt_f32_i32_e32 v84, v84
	s_delay_alu instid0(VALU_DEP_1)
	v_pk_fma_f32 v[80:81], v[80:81], v[84:85], v[82:83]
	s_set_vgpr_msb 1                        ;  msbs: dst=0 src0=1 src1=0 src2=0
	v_mul_i32_i24_e32 v82, v70 /*v326*/, v148
	v_mul_i32_i24_e32 v84, v77 /*v333*/, v150
	;; [unrolled: 1-line block ×4, first 2 shown]
	s_set_vgpr_msb 0                        ;  msbs: dst=0 src0=0 src1=0 src2=0
	v_pk_add_f32 v[4:5], v[4:5], v[80:81]
	s_set_vgpr_msb 1                        ;  msbs: dst=0 src0=1 src1=0 src2=0
	v_mul_i32_i24_e32 v80, v74 /*v330*/, v147
	v_mul_i32_i24_e32 v81, v75 /*v331*/, v146
	s_delay_alu instid0(VALU_DEP_2) | instskip(SKIP_1) | instid1(VALU_DEP_1)
	v_mad_i32_i24 v80, v73 /*v329*/, v145, v80
	s_set_vgpr_msb 0                        ;  msbs: dst=0 src0=0 src1=0 src2=0
	v_add3_u32 v80, v80, v81, v82
	s_set_vgpr_msb 1                        ;  msbs: dst=0 src0=1 src1=0 src2=0
	v_mul_i32_i24_e32 v81, v61 /*v317*/, v232
	s_set_vgpr_msb 0                        ;  msbs: dst=0 src0=0 src1=0 src2=0
	v_pk_mul_f16 v82, v144, v91
	v_add3_u32 v80, v80, v86, v84
	s_set_vgpr_msb 1                        ;  msbs: dst=0 src0=1 src1=0 src2=0
	v_mul_i32_i24_e32 v84, v60 /*v316*/, v233
	v_mul_i32_i24_e32 v86, v5 /*v261*/, v234
	s_set_vgpr_msb 0                        ;  msbs: dst=0 src0=0 src1=0 src2=0
	v_add3_u32 v80, v80, v83, v85
	v_mul_i32_i24_e32 v83, v111, v232
	v_mul_i32_i24_e32 v85, v113, v233
	s_delay_alu instid0(VALU_DEP_3)
	v_add3_u32 v80, v80, v94, v87
	s_set_vgpr_msb 1                        ;  msbs: dst=0 src0=1 src1=0 src2=0
	v_mul_i32_i24_e32 v94, v100 /*v356*/, v230
	s_set_vgpr_msb 0                        ;  msbs: dst=0 src0=0 src1=0 src2=0
	v_mul_i32_i24_e32 v87, v93, v234
	v_add3_u32 v80, v80, v88, v89
	v_mul_i32_i24_e32 v89, v92, v231
	s_set_vgpr_msb 1                        ;  msbs: dst=0 src0=1 src1=0 src2=0
	v_mul_i32_i24_e32 v88, v12 /*v268*/, v231
	s_set_vgpr_msb 0                        ;  msbs: dst=0 src0=0 src1=0 src2=0
	v_add3_u32 v80, v80, v105, v103
	s_set_vgpr_msb 1                        ;  msbs: dst=0 src0=1 src1=0 src2=0
	v_mul_i32_i24_e32 v103, v83 /*v339*/, v218
	v_mul_i32_i24_e32 v105, v65 /*v321*/, v220
	s_set_vgpr_msb 0                        ;  msbs: dst=0 src0=0 src1=0 src2=0
	v_add3_u32 v80, v80, v95, v104
	s_set_vgpr_msb 1                        ;  msbs: dst=0 src0=1 src1=0 src2=0
	v_mul_i32_i24_e32 v95, v62 /*v318*/, v230
	v_mul_i32_i24_e32 v104, v84 /*v340*/, v221
	s_set_vgpr_msb 0                        ;  msbs: dst=0 src0=0 src1=0 src2=0
	v_add3_u32 v80, v80, v109, v106
	s_set_vgpr_msb 5                        ;  msbs: dst=0 src0=1 src1=1 src2=0
	v_add3_u32 v95, v92 /*v348*/, v116 /*v372*/, v95
	s_set_vgpr_msb 1                        ;  msbs: dst=0 src0=1 src1=0 src2=0
	v_mul_i32_i24_e32 v106, v85 /*v341*/, v222
	v_mul_i32_i24_e32 v109, v67 /*v323*/, v224
	s_set_vgpr_msb 0                        ;  msbs: dst=0 src0=0 src1=0 src2=0
	v_add3_u32 v80, v80, v107, v108
	v_add3_u32 v81, v95, v81, v84
	s_set_vgpr_msb 1                        ;  msbs: dst=0 src0=1 src1=0 src2=0
	v_mul_i32_i24_e32 v95, v82 /*v338*/, v219
	v_mul_i32_i24_e32 v107, v86 /*v342*/, v223
	;; [unrolled: 1-line block ×3, first 2 shown]
	s_set_vgpr_msb 0                        ;  msbs: dst=0 src0=0 src1=0 src2=0
	v_add3_u32 v80, v80, v115, v112
	v_add3_u32 v84, v81, v87, v89
	v_cvt_f32_f16_e32 v81, v82
	v_lshrrev_b32_e32 v82, 16, v82
	s_set_vgpr_msb 1                        ;  msbs: dst=0 src0=1 src1=0 src2=0
	v_mul_i32_i24_e32 v87, v79 /*v335*/, v214
	s_set_vgpr_msb 0                        ;  msbs: dst=0 src0=0 src1=0 src2=0
	v_add3_u32 v80, v80, v110, v114
	v_cvt_f32_i32_e32 v84, v84
	s_set_vgpr_msb 1                        ;  msbs: dst=0 src0=1 src1=0 src2=0
	v_mul_i32_i24_e32 v89, v81 /*v337*/, v217
	v_mul_i32_i24_e32 v112, v96 /*v352*/, v226
	;; [unrolled: 1-line block ×3, first 2 shown]
	s_set_vgpr_msb 0                        ;  msbs: dst=0 src0=0 src1=0 src2=0
	v_add3_u32 v80, v80, v118, v116
	s_set_vgpr_msb 1                        ;  msbs: dst=0 src0=1 src1=0 src2=0
	v_mul_i32_i24_e32 v110, v94 /*v350*/, v227
	v_mul_i32_i24_e32 v114, v97 /*v353*/, v228
	;; [unrolled: 1-line block ×4, first 2 shown]
	s_set_vgpr_msb 0                        ;  msbs: dst=0 src0=0 src1=0 src2=0
	v_add3_u32 v80, v80, v117, v94
	s_set_vgpr_msb 1                        ;  msbs: dst=0 src0=1 src1=0 src2=0
	v_mul_i32_i24_e32 v94, v66 /*v322*/, v216
	v_mul_i32_i24_e32 v117, v99 /*v355*/, v244
	s_set_vgpr_msb 0                        ;  msbs: dst=0 src0=0 src1=0 src2=0
	v_add3_u32 v80, v80, v83, v85
	v_cvt_f32_f16_e32 v83, v82
	s_set_vgpr_msb 4                        ;  msbs: dst=0 src0=0 src1=1 src2=0
	v_lshrrev_b32_e32 v82, 16, v93 /*v349*/
	s_set_vgpr_msb 0                        ;  msbs: dst=0 src0=0 src1=0 src2=0
	v_add3_u32 v85, v80, v86, v88
	s_set_vgpr_msb 1                        ;  msbs: dst=0 src0=1 src1=0 src2=0
	v_cvt_f32_f16_e64 v80, v93 /*v349*/
	s_set_vgpr_msb 0                        ;  msbs: dst=0 src0=0 src1=0 src2=0
	v_cvt_f32_f16_e32 v82, v82
	s_set_vgpr_msb 1                        ;  msbs: dst=0 src0=1 src1=0 src2=0
	v_mul_i32_i24_e32 v86, v64 /*v320*/, v213
	v_mul_i32_i24_e32 v88, v80 /*v336*/, v215
	s_set_vgpr_msb 0                        ;  msbs: dst=0 src0=0 src1=0 src2=0
	v_cvt_f32_i32_e32 v85, v85
	s_delay_alu instid0(VALU_DEP_1)
	v_pk_fma_f32 v[80:81], v[80:81], v[84:85], v[82:83]
	s_set_vgpr_msb 1                        ;  msbs: dst=0 src0=1 src1=0 src2=0
	v_mul_i32_i24_e32 v82, v70 /*v326*/, v209
	v_mul_i32_i24_e32 v84, v77 /*v333*/, v211
	;; [unrolled: 1-line block ×4, first 2 shown]
	s_set_vgpr_msb 0                        ;  msbs: dst=0 src0=0 src1=0 src2=0
	v_pk_add_f32 v[2:3], v[2:3], v[80:81]
	s_set_vgpr_msb 1                        ;  msbs: dst=0 src0=1 src1=0 src2=0
	v_mul_i32_i24_e32 v80, v74 /*v330*/, v208
	v_mul_i32_i24_e32 v81, v75 /*v331*/, v207
	s_delay_alu instid0(VALU_DEP_2) | instskip(SKIP_1) | instid1(VALU_DEP_1)
	v_mad_i32_i24 v80, v73 /*v329*/, v206, v80
	s_set_vgpr_msb 0                        ;  msbs: dst=0 src0=0 src1=0 src2=0
	v_add3_u32 v80, v80, v81, v82
	v_pk_mul_f16 v82, v205, v91
	s_set_vgpr_msb 1                        ;  msbs: dst=0 src0=1 src1=0 src2=0
	v_mul_i32_i24_e32 v81, v61 /*v317*/, v240
	v_mul_i32_i24_e32 v91, v100 /*v356*/, v238
	s_set_vgpr_msb 0                        ;  msbs: dst=0 src0=0 src1=0 src2=0
	v_add3_u32 v80, v80, v86, v84
	s_set_vgpr_msb 1                        ;  msbs: dst=0 src0=1 src1=0 src2=0
	v_mul_i32_i24_e32 v84, v60 /*v316*/, v241
	v_mul_i32_i24_e32 v86, v5 /*v261*/, v242
	s_set_vgpr_msb 0                        ;  msbs: dst=0 src0=0 src1=0 src2=0
	v_add3_u32 v80, v80, v83, v85
	v_mul_i32_i24_e32 v83, v111, v240
	v_mul_i32_i24_e32 v85, v113, v241
	s_delay_alu instid0(VALU_DEP_3) | instskip(SKIP_1) | instid1(VALU_DEP_2)
	v_add3_u32 v80, v80, v94, v87
	v_mul_i32_i24_e32 v87, v93, v242
	v_add3_u32 v80, v80, v88, v89
	v_mul_i32_i24_e32 v89, v92, v239
	s_set_vgpr_msb 1                        ;  msbs: dst=0 src0=1 src1=0 src2=0
	v_mul_i32_i24_e32 v92, v62 /*v318*/, v238
	v_mul_i32_i24_e32 v88, v12 /*v268*/, v239
	s_set_vgpr_msb 0                        ;  msbs: dst=0 src0=0 src1=0 src2=0
	v_add3_u32 v80, v80, v105, v103
	s_set_vgpr_msb 5                        ;  msbs: dst=0 src0=1 src1=1 src2=0
	v_add3_u32 v92, v72 /*v328*/, v95 /*v351*/, v92
	s_set_vgpr_msb 0                        ;  msbs: dst=0 src0=0 src1=0 src2=0
	s_delay_alu instid0(VALU_DEP_2) | instskip(NEXT) | instid1(VALU_DEP_2)
	v_add3_u32 v80, v80, v95, v104
	v_add3_u32 v81, v92, v81, v84
	s_delay_alu instid0(VALU_DEP_2) | instskip(NEXT) | instid1(VALU_DEP_2)
	v_add3_u32 v80, v80, v109, v106
	v_add3_u32 v84, v81, v87, v89
	v_cvt_f32_f16_e32 v81, v82
	v_lshrrev_b32_e32 v82, 16, v82
	s_delay_alu instid0(VALU_DEP_4) | instskip(NEXT) | instid1(VALU_DEP_4)
	v_add3_u32 v80, v80, v107, v108
	v_cvt_f32_i32_e32 v84, v84
	s_delay_alu instid0(VALU_DEP_2) | instskip(NEXT) | instid1(VALU_DEP_1)
	v_add3_u32 v80, v80, v115, v112
	v_add3_u32 v80, v80, v110, v114
	s_delay_alu instid0(VALU_DEP_1) | instskip(NEXT) | instid1(VALU_DEP_1)
	v_add3_u32 v80, v80, v118, v116
	v_add3_u32 v80, v80, v117, v91
	s_delay_alu instid0(VALU_DEP_1) | instskip(SKIP_2) | instid1(VALU_DEP_3)
	v_add3_u32 v80, v80, v83, v85
	v_cvt_f32_f16_e32 v83, v82
	v_lshrrev_b32_e32 v82, 16, v90
	v_add3_u32 v85, v80, v86, v88
	v_cvt_f32_f16_e32 v80, v90
	s_delay_alu instid0(VALU_DEP_3) | instskip(NEXT) | instid1(VALU_DEP_3)
	v_cvt_f32_f16_e32 v82, v82
	v_cvt_f32_i32_e32 v85, v85
	s_delay_alu instid0(VALU_DEP_1) | instskip(NEXT) | instid1(VALU_DEP_1)
	v_pk_fma_f32 v[80:81], v[80:81], v[84:85], v[82:83]
	v_pk_add_f32 v[0:1], v[0:1], v[80:81]
	s_cbranch_scc1 .LBB120_12
; %bb.13:                               ;   in Loop: Header=BB120_7 Depth=1
	s_barrier_signal -1
	s_barrier_wait -1
	s_branch .LBB120_6
.LBB120_14:
	v_dual_mov_b32 v10, v11 :: v_dual_mov_b32 v12, v35
	s_mov_b32 s0, exec_lo
	s_wait_xcnt 0x0
	v_cmpx_gt_u32_e64 s6, v41
	s_cbranch_execz .LBB120_3
.LBB120_15:
	v_mul_lo_u32 v34, v41, s12
	v_add_nc_u32_e32 v11, s14, v12
	s_delay_alu instid0(VALU_DEP_1)
	v_cmp_gt_u32_e32 vcc_lo, s12, v11
	s_and_saveexec_b32 s0, vcc_lo
	s_cbranch_execz .LBB120_17
; %bb.16:
	s_delay_alu instid0(VALU_DEP_3)
	v_add_nc_u32_e32 v12, v11, v34
	s_wait_kmcnt 0x0
	global_store_b32 v12, v36, s[8:9] scale_offset
.LBB120_17:
	s_wait_xcnt 0x0
	s_or_b32 exec_lo, exec_lo, s0
	v_add_nc_u32_e32 v12, 32, v11
	s_delay_alu instid0(VALU_DEP_1)
	v_cmp_gt_u32_e64 s0, s12, v12
	s_and_saveexec_b32 s1, s0
	s_cbranch_execz .LBB120_19
; %bb.18:
	v_add_nc_u32_e32 v13, v12, v34
	s_wait_kmcnt 0x0
	global_store_b32 v13, v6, s[8:9] scale_offset
.LBB120_19:
	s_wait_xcnt 0x0
	s_or_b32 exec_lo, exec_lo, s1
	v_add_nc_u32_e32 v6, 64, v11
	s_delay_alu instid0(VALU_DEP_1)
	v_cmp_gt_u32_e64 s1, s12, v6
	s_and_saveexec_b32 s2, s1
	s_cbranch_execz .LBB120_21
; %bb.20:
	v_add_nc_u32_e32 v13, v6, v34
	s_wait_kmcnt 0x0
	global_store_b32 v13, v32, s[8:9] scale_offset
.LBB120_21:
	;; [unrolled: 12-line block ×3, first 2 shown]
	s_wait_xcnt 0x0
	s_or_b32 exec_lo, exec_lo, s3
	v_add3_u32 v30, v10, s13, 8
	s_delay_alu instid0(VALU_DEP_1)
	v_cmp_gt_u32_e64 s3, s6, v30
	s_and_b32 exec_lo, exec_lo, s3
	s_cbranch_execz .LBB120_3
; %bb.24:
	v_mul_lo_u32 v30, v30, s12
	s_and_saveexec_b32 s3, vcc_lo
	s_cbranch_execnz .LBB120_64
; %bb.25:
	s_or_b32 exec_lo, exec_lo, s3
	s_and_saveexec_b32 s3, s0
	s_cbranch_execnz .LBB120_65
.LBB120_26:
	s_or_b32 exec_lo, exec_lo, s3
	s_and_saveexec_b32 s3, s1
	s_cbranch_execnz .LBB120_66
.LBB120_27:
	s_or_b32 exec_lo, exec_lo, s3
	s_and_saveexec_b32 s3, s2
	s_cbranch_execz .LBB120_29
.LBB120_28:
	v_add_nc_u32_e32 v9, v30, v13
	s_wait_kmcnt 0x0
	global_store_b32 v9, v31, s[8:9] scale_offset
.LBB120_29:
	s_wait_xcnt 0x0
	s_or_b32 exec_lo, exec_lo, s3
	v_add3_u32 v9, v10, s13, 16
	s_delay_alu instid0(VALU_DEP_1)
	v_cmp_gt_u32_e64 s3, s6, v9
	s_and_b32 exec_lo, exec_lo, s3
	s_cbranch_execz .LBB120_3
; %bb.30:
	v_mul_lo_u32 v9, v9, s12
	s_and_saveexec_b32 s3, vcc_lo
	s_cbranch_execnz .LBB120_67
; %bb.31:
	s_or_b32 exec_lo, exec_lo, s3
	s_and_saveexec_b32 s3, s0
	s_cbranch_execnz .LBB120_68
.LBB120_32:
	s_or_b32 exec_lo, exec_lo, s3
	s_and_saveexec_b32 s3, s1
	s_cbranch_execnz .LBB120_69
.LBB120_33:
	s_or_b32 exec_lo, exec_lo, s3
	s_and_saveexec_b32 s3, s2
	s_cbranch_execz .LBB120_35
.LBB120_34:
	v_add_nc_u32_e32 v9, v9, v13
	s_wait_kmcnt 0x0
	global_store_b32 v9, v22, s[8:9] scale_offset
.LBB120_35:
	s_wait_xcnt 0x0
	s_or_b32 exec_lo, exec_lo, s3
	v_add3_u32 v9, v10, s13, 24
	s_delay_alu instid0(VALU_DEP_1)
	v_cmp_gt_u32_e64 s3, s6, v9
	s_and_b32 exec_lo, exec_lo, s3
	s_cbranch_execz .LBB120_3
; %bb.36:
	v_mul_lo_u32 v9, v9, s12
	s_and_saveexec_b32 s3, vcc_lo
	s_cbranch_execnz .LBB120_70
; %bb.37:
	s_or_b32 exec_lo, exec_lo, s3
	s_and_saveexec_b32 s3, s0
	s_cbranch_execnz .LBB120_71
.LBB120_38:
	s_or_b32 exec_lo, exec_lo, s3
	s_and_saveexec_b32 s3, s1
	s_cbranch_execnz .LBB120_72
.LBB120_39:
	s_or_b32 exec_lo, exec_lo, s3
	s_and_saveexec_b32 s3, s2
	s_cbranch_execz .LBB120_41
.LBB120_40:
	v_add_nc_u32_e32 v9, v9, v13
	s_wait_kmcnt 0x0
	global_store_b32 v9, v23, s[8:9] scale_offset
.LBB120_41:
	s_wait_xcnt 0x0
	s_or_b32 exec_lo, exec_lo, s3
	v_add3_u32 v9, v10, s13, 32
	s_delay_alu instid0(VALU_DEP_1)
	v_cmp_gt_u32_e64 s3, s6, v9
	s_and_b32 exec_lo, exec_lo, s3
	s_cbranch_execz .LBB120_3
; %bb.42:
	v_mul_lo_u32 v9, v9, s12
	s_and_saveexec_b32 s3, vcc_lo
	s_cbranch_execnz .LBB120_73
; %bb.43:
	s_or_b32 exec_lo, exec_lo, s3
	s_and_saveexec_b32 s3, s0
	s_cbranch_execnz .LBB120_74
.LBB120_44:
	s_or_b32 exec_lo, exec_lo, s3
	s_and_saveexec_b32 s3, s1
	s_cbranch_execnz .LBB120_75
.LBB120_45:
	s_or_b32 exec_lo, exec_lo, s3
	s_and_saveexec_b32 s3, s2
	s_cbranch_execz .LBB120_47
.LBB120_46:
	v_add_nc_u32_e32 v9, v9, v13
	s_wait_kmcnt 0x0
	global_store_b32 v9, v14, s[8:9] scale_offset
.LBB120_47:
	s_wait_xcnt 0x0
	s_or_b32 exec_lo, exec_lo, s3
	v_add3_u32 v9, v10, s13, 40
	s_delay_alu instid0(VALU_DEP_1)
	v_cmp_gt_u32_e64 s3, s6, v9
	s_and_b32 exec_lo, exec_lo, s3
	s_cbranch_execz .LBB120_3
; %bb.48:
	v_mul_lo_u32 v9, v9, s12
	s_and_saveexec_b32 s3, vcc_lo
	s_cbranch_execnz .LBB120_76
; %bb.49:
	s_or_b32 exec_lo, exec_lo, s3
	s_and_saveexec_b32 s3, s0
	s_cbranch_execnz .LBB120_77
.LBB120_50:
	s_or_b32 exec_lo, exec_lo, s3
	s_and_saveexec_b32 s3, s1
	s_cbranch_execnz .LBB120_78
.LBB120_51:
	s_or_b32 exec_lo, exec_lo, s3
	s_and_saveexec_b32 s3, s2
	s_cbranch_execz .LBB120_53
.LBB120_52:
	v_add_nc_u32_e32 v9, v9, v13
	s_wait_kmcnt 0x0
	global_store_b32 v9, v15, s[8:9] scale_offset
.LBB120_53:
	s_wait_xcnt 0x0
	s_or_b32 exec_lo, exec_lo, s3
	v_add3_u32 v9, v10, s13, 48
	s_delay_alu instid0(VALU_DEP_1)
	v_cmp_gt_u32_e64 s3, s6, v9
	s_and_b32 exec_lo, exec_lo, s3
	s_cbranch_execz .LBB120_3
; %bb.54:
	v_mul_lo_u32 v9, v9, s12
	s_and_saveexec_b32 s3, vcc_lo
	s_cbranch_execnz .LBB120_79
; %bb.55:
	s_or_b32 exec_lo, exec_lo, s3
	s_and_saveexec_b32 s3, s0
	s_cbranch_execnz .LBB120_80
.LBB120_56:
	s_or_b32 exec_lo, exec_lo, s3
	s_and_saveexec_b32 s3, s1
	s_cbranch_execnz .LBB120_81
.LBB120_57:
	s_or_b32 exec_lo, exec_lo, s3
	s_and_saveexec_b32 s3, s2
	s_cbranch_execz .LBB120_59
.LBB120_58:
	v_add_nc_u32_e32 v2, v9, v13
	s_wait_kmcnt 0x0
	global_store_b32 v2, v0, s[8:9] scale_offset
.LBB120_59:
	s_wait_xcnt 0x0
	s_or_b32 exec_lo, exec_lo, s3
	v_add3_u32 v0, v10, s13, 56
	s_delay_alu instid0(VALU_DEP_1)
	v_cmp_gt_u32_e64 s3, s6, v0
	s_and_b32 exec_lo, exec_lo, s3
	s_cbranch_execz .LBB120_3
; %bb.60:
	v_mul_lo_u32 v0, v0, s12
	s_and_saveexec_b32 s3, vcc_lo
	s_cbranch_execnz .LBB120_82
; %bb.61:
	s_or_b32 exec_lo, exec_lo, s3
	s_and_saveexec_b32 s3, s0
	s_cbranch_execnz .LBB120_83
.LBB120_62:
	s_or_b32 exec_lo, exec_lo, s3
	s_and_saveexec_b32 s0, s1
	s_cbranch_execnz .LBB120_84
.LBB120_63:
	s_or_b32 exec_lo, exec_lo, s0
	s_delay_alu instid0(SALU_CYCLE_1)
	s_and_b32 exec_lo, exec_lo, s2
	s_cbranch_execz .LBB120_3
	s_branch .LBB120_85
.LBB120_64:
	s_delay_alu instid0(VALU_DEP_1)
	v_add_nc_u32_e32 v32, v30, v11
	s_wait_kmcnt 0x0
	global_store_b32 v32, v37, s[8:9] scale_offset
	s_wait_xcnt 0x0
	s_or_b32 exec_lo, exec_lo, s3
	s_and_saveexec_b32 s3, s0
	s_cbranch_execz .LBB120_26
.LBB120_65:
	s_delay_alu instid0(VALU_DEP_1)
	v_add_nc_u32_e32 v32, v30, v12
	s_wait_kmcnt 0x0
	global_store_b32 v32, v9, s[8:9] scale_offset
	s_wait_xcnt 0x0
	s_or_b32 exec_lo, exec_lo, s3
	s_and_saveexec_b32 s3, s1
	s_cbranch_execz .LBB120_27
.LBB120_66:
	s_delay_alu instid0(VALU_DEP_1)
	v_add_nc_u32_e32 v9, v30, v6
	s_wait_kmcnt 0x0
	global_store_b32 v9, v33, s[8:9] scale_offset
	s_wait_xcnt 0x0
	s_or_b32 exec_lo, exec_lo, s3
	s_and_saveexec_b32 s3, s2
	s_cbranch_execnz .LBB120_28
	s_branch .LBB120_29
.LBB120_67:
	s_delay_alu instid0(VALU_DEP_1)
	v_add_nc_u32_e32 v30, v9, v11
	s_wait_kmcnt 0x0
	global_store_b32 v30, v28, s[8:9] scale_offset
	s_wait_xcnt 0x0
	s_or_b32 exec_lo, exec_lo, s3
	s_and_saveexec_b32 s3, s0
	s_cbranch_execz .LBB120_32
.LBB120_68:
	s_delay_alu instid0(VALU_DEP_1)
	v_add_nc_u32_e32 v28, v9, v12
	s_wait_kmcnt 0x0
	global_store_b32 v28, v26, s[8:9] scale_offset
	s_wait_xcnt 0x0
	s_or_b32 exec_lo, exec_lo, s3
	s_and_saveexec_b32 s3, s1
	s_cbranch_execz .LBB120_33
.LBB120_69:
	s_delay_alu instid0(VALU_DEP_1)
	v_add_nc_u32_e32 v26, v9, v6
	s_wait_kmcnt 0x0
	global_store_b32 v26, v24, s[8:9] scale_offset
	s_wait_xcnt 0x0
	s_or_b32 exec_lo, exec_lo, s3
	s_and_saveexec_b32 s3, s2
	s_cbranch_execnz .LBB120_34
	s_branch .LBB120_35
.LBB120_70:
	s_delay_alu instid0(VALU_DEP_1)
	v_add_nc_u32_e32 v22, v9, v11
	s_wait_kmcnt 0x0
	global_store_b32 v22, v29, s[8:9] scale_offset
	s_wait_xcnt 0x0
	s_or_b32 exec_lo, exec_lo, s3
	s_and_saveexec_b32 s3, s0
	s_cbranch_execz .LBB120_38
.LBB120_71:
	s_delay_alu instid0(VALU_DEP_1)
	v_add_nc_u32_e32 v22, v9, v12
	s_wait_kmcnt 0x0
	global_store_b32 v22, v27, s[8:9] scale_offset
	s_wait_xcnt 0x0
	s_or_b32 exec_lo, exec_lo, s3
	s_and_saveexec_b32 s3, s1
	s_cbranch_execz .LBB120_39
.LBB120_72:
	s_delay_alu instid0(VALU_DEP_1)
	v_add_nc_u32_e32 v22, v9, v6
	s_wait_kmcnt 0x0
	global_store_b32 v22, v25, s[8:9] scale_offset
	s_wait_xcnt 0x0
	s_or_b32 exec_lo, exec_lo, s3
	s_and_saveexec_b32 s3, s2
	s_cbranch_execnz .LBB120_40
	s_branch .LBB120_41
.LBB120_73:
	s_delay_alu instid0(VALU_DEP_1)
	v_add_nc_u32_e32 v22, v9, v11
	s_wait_kmcnt 0x0
	global_store_b32 v22, v20, s[8:9] scale_offset
	s_wait_xcnt 0x0
	s_or_b32 exec_lo, exec_lo, s3
	s_and_saveexec_b32 s3, s0
	s_cbranch_execz .LBB120_44
.LBB120_74:
	s_delay_alu instid0(VALU_DEP_1)
	v_add_nc_u32_e32 v20, v9, v12
	s_wait_kmcnt 0x0
	global_store_b32 v20, v18, s[8:9] scale_offset
	s_wait_xcnt 0x0
	s_or_b32 exec_lo, exec_lo, s3
	s_and_saveexec_b32 s3, s1
	s_cbranch_execz .LBB120_45
.LBB120_75:
	s_delay_alu instid0(VALU_DEP_1)
	v_add_nc_u32_e32 v18, v9, v6
	s_wait_kmcnt 0x0
	global_store_b32 v18, v16, s[8:9] scale_offset
	s_wait_xcnt 0x0
	s_or_b32 exec_lo, exec_lo, s3
	s_and_saveexec_b32 s3, s2
	s_cbranch_execnz .LBB120_46
	s_branch .LBB120_47
.LBB120_76:
	s_delay_alu instid0(VALU_DEP_1)
	v_add_nc_u32_e32 v14, v9, v11
	s_wait_kmcnt 0x0
	global_store_b32 v14, v21, s[8:9] scale_offset
	s_wait_xcnt 0x0
	s_or_b32 exec_lo, exec_lo, s3
	s_and_saveexec_b32 s3, s0
	s_cbranch_execz .LBB120_50
.LBB120_77:
	s_delay_alu instid0(VALU_DEP_1)
	v_add_nc_u32_e32 v14, v9, v12
	s_wait_kmcnt 0x0
	global_store_b32 v14, v19, s[8:9] scale_offset
	s_wait_xcnt 0x0
	s_or_b32 exec_lo, exec_lo, s3
	s_and_saveexec_b32 s3, s1
	s_cbranch_execz .LBB120_51
.LBB120_78:
	s_delay_alu instid0(VALU_DEP_1)
	v_add_nc_u32_e32 v14, v9, v6
	s_wait_kmcnt 0x0
	global_store_b32 v14, v17, s[8:9] scale_offset
	s_wait_xcnt 0x0
	s_or_b32 exec_lo, exec_lo, s3
	s_and_saveexec_b32 s3, s2
	s_cbranch_execnz .LBB120_52
	s_branch .LBB120_53
.LBB120_79:
	s_delay_alu instid0(VALU_DEP_1)
	v_add_nc_u32_e32 v14, v9, v11
	s_wait_kmcnt 0x0
	global_store_b32 v14, v8, s[8:9] scale_offset
	s_wait_xcnt 0x0
	s_or_b32 exec_lo, exec_lo, s3
	s_and_saveexec_b32 s3, s0
	s_cbranch_execz .LBB120_56
.LBB120_80:
	s_delay_alu instid0(VALU_DEP_1)
	v_add_nc_u32_e32 v8, v9, v12
	s_wait_kmcnt 0x0
	global_store_b32 v8, v4, s[8:9] scale_offset
	s_wait_xcnt 0x0
	s_or_b32 exec_lo, exec_lo, s3
	s_and_saveexec_b32 s3, s1
	s_cbranch_execz .LBB120_57
.LBB120_81:
	s_delay_alu instid0(VALU_DEP_1)
	v_add_nc_u32_e32 v4, v9, v6
	s_wait_kmcnt 0x0
	global_store_b32 v4, v2, s[8:9] scale_offset
	s_wait_xcnt 0x0
	s_or_b32 exec_lo, exec_lo, s3
	s_and_saveexec_b32 s3, s2
	s_cbranch_execnz .LBB120_58
	s_branch .LBB120_59
.LBB120_82:
	s_delay_alu instid0(VALU_DEP_1)
	v_add_nc_u32_e32 v2, v0, v11
	s_wait_kmcnt 0x0
	global_store_b32 v2, v7, s[8:9] scale_offset
	s_wait_xcnt 0x0
	s_or_b32 exec_lo, exec_lo, s3
	s_and_saveexec_b32 s3, s0
	s_cbranch_execz .LBB120_62
.LBB120_83:
	s_delay_alu instid0(VALU_DEP_1)
	v_add_nc_u32_e32 v2, v0, v12
	s_wait_kmcnt 0x0
	global_store_b32 v2, v5, s[8:9] scale_offset
	s_wait_xcnt 0x0
	s_or_b32 exec_lo, exec_lo, s3
	s_and_saveexec_b32 s0, s1
	s_cbranch_execz .LBB120_63
.LBB120_84:
	s_delay_alu instid0(VALU_DEP_1) | instskip(SKIP_4) | instid1(SALU_CYCLE_1)
	v_add_nc_u32_e32 v2, v0, v6
	s_wait_kmcnt 0x0
	global_store_b32 v2, v3, s[8:9] scale_offset
	s_wait_xcnt 0x0
	s_or_b32 exec_lo, exec_lo, s0
	s_and_b32 exec_lo, exec_lo, s2
	s_cbranch_execz .LBB120_3
.LBB120_85:
	v_add_nc_u32_e32 v0, v0, v13
	s_wait_kmcnt 0x0
	global_store_b32 v0, v1, s[8:9] scale_offset
	s_sendmsg sendmsg(MSG_DEALLOC_VGPRS)
	s_endpgm
	.section	.rodata,"a",@progbits
	.p2align	6, 0x0
	.amdhsa_kernel _ZL12mul_mat_q4_1IfLb1EEvPKvS1_PT_iiiii
		.amdhsa_group_segment_fixed_size 30336
		.amdhsa_private_segment_fixed_size 0
		.amdhsa_kernarg_size 44
		.amdhsa_user_sgpr_count 2
		.amdhsa_user_sgpr_dispatch_ptr 0
		.amdhsa_user_sgpr_queue_ptr 0
		.amdhsa_user_sgpr_kernarg_segment_ptr 1
		.amdhsa_user_sgpr_dispatch_id 0
		.amdhsa_user_sgpr_kernarg_preload_length 0
		.amdhsa_user_sgpr_kernarg_preload_offset 0
		.amdhsa_user_sgpr_private_segment_size 0
		.amdhsa_wavefront_size32 1
		.amdhsa_uses_dynamic_stack 0
		.amdhsa_enable_private_segment 0
		.amdhsa_system_sgpr_workgroup_id_x 1
		.amdhsa_system_sgpr_workgroup_id_y 1
		.amdhsa_system_sgpr_workgroup_id_z 0
		.amdhsa_system_sgpr_workgroup_info 0
		.amdhsa_system_vgpr_workitem_id 1
		.amdhsa_next_free_vgpr 455
		.amdhsa_next_free_sgpr 16
		.amdhsa_named_barrier_count 0
		.amdhsa_reserve_vcc 1
		.amdhsa_float_round_mode_32 0
		.amdhsa_float_round_mode_16_64 0
		.amdhsa_float_denorm_mode_32 3
		.amdhsa_float_denorm_mode_16_64 3
		.amdhsa_fp16_overflow 0
		.amdhsa_memory_ordered 1
		.amdhsa_forward_progress 1
		.amdhsa_inst_pref_size 255
		.amdhsa_round_robin_scheduling 0
		.amdhsa_exception_fp_ieee_invalid_op 0
		.amdhsa_exception_fp_denorm_src 0
		.amdhsa_exception_fp_ieee_div_zero 0
		.amdhsa_exception_fp_ieee_overflow 0
		.amdhsa_exception_fp_ieee_underflow 0
		.amdhsa_exception_fp_ieee_inexact 0
		.amdhsa_exception_int_div_zero 0
	.end_amdhsa_kernel
	.section	.text._ZL12mul_mat_q4_1IfLb1EEvPKvS1_PT_iiiii,"axG",@progbits,_ZL12mul_mat_q4_1IfLb1EEvPKvS1_PT_iiiii,comdat
.Lfunc_end120:
	.size	_ZL12mul_mat_q4_1IfLb1EEvPKvS1_PT_iiiii, .Lfunc_end120-_ZL12mul_mat_q4_1IfLb1EEvPKvS1_PT_iiiii
                                        ; -- End function
	.set _ZL12mul_mat_q4_1IfLb1EEvPKvS1_PT_iiiii.num_vgpr, 455
	.set _ZL12mul_mat_q4_1IfLb1EEvPKvS1_PT_iiiii.num_agpr, 0
	.set _ZL12mul_mat_q4_1IfLb1EEvPKvS1_PT_iiiii.numbered_sgpr, 16
	.set _ZL12mul_mat_q4_1IfLb1EEvPKvS1_PT_iiiii.num_named_barrier, 0
	.set _ZL12mul_mat_q4_1IfLb1EEvPKvS1_PT_iiiii.private_seg_size, 0
	.set _ZL12mul_mat_q4_1IfLb1EEvPKvS1_PT_iiiii.uses_vcc, 1
	.set _ZL12mul_mat_q4_1IfLb1EEvPKvS1_PT_iiiii.uses_flat_scratch, 0
	.set _ZL12mul_mat_q4_1IfLb1EEvPKvS1_PT_iiiii.has_dyn_sized_stack, 0
	.set _ZL12mul_mat_q4_1IfLb1EEvPKvS1_PT_iiiii.has_recursion, 0
	.set _ZL12mul_mat_q4_1IfLb1EEvPKvS1_PT_iiiii.has_indirect_call, 0
	.section	.AMDGPU.csdata,"",@progbits
; Kernel info:
; codeLenInByte = 41696
; TotalNumSgprs: 18
; NumVgprs: 455
; ScratchSize: 0
; MemoryBound: 0
; FloatMode: 240
; IeeeMode: 1
; LDSByteSize: 30336 bytes/workgroup (compile time only)
; SGPRBlocks: 0
; VGPRBlocks: 28
; NumSGPRsForWavesPerEU: 18
; NumVGPRsForWavesPerEU: 455
; NamedBarCnt: 0
; Occupancy: 2
; WaveLimiterHint : 0
; COMPUTE_PGM_RSRC2:SCRATCH_EN: 0
; COMPUTE_PGM_RSRC2:USER_SGPR: 2
; COMPUTE_PGM_RSRC2:TRAP_HANDLER: 0
; COMPUTE_PGM_RSRC2:TGID_X_EN: 1
; COMPUTE_PGM_RSRC2:TGID_Y_EN: 1
; COMPUTE_PGM_RSRC2:TGID_Z_EN: 0
; COMPUTE_PGM_RSRC2:TIDIG_COMP_CNT: 1
	.section	.text._ZL12mul_mat_q5_0IfLb0EEvPKvS1_PT_iiiii,"axG",@progbits,_ZL12mul_mat_q5_0IfLb0EEvPKvS1_PT_iiiii,comdat
	.globl	_ZL12mul_mat_q5_0IfLb0EEvPKvS1_PT_iiiii ; -- Begin function _ZL12mul_mat_q5_0IfLb0EEvPKvS1_PT_iiiii
	.p2align	8
	.type	_ZL12mul_mat_q5_0IfLb0EEvPKvS1_PT_iiiii,@function
_ZL12mul_mat_q5_0IfLb0EEvPKvS1_PT_iiiii: ; @_ZL12mul_mat_q5_0IfLb0EEvPKvS1_PT_iiiii
; %bb.0:
	s_clause 0x1
	s_load_b32 s10, s[0:1], 0x18
	s_load_b96 s[4:6], s[0:1], 0x20
	s_bfe_u32 s2, ttmp6, 0x4000c
	s_bfe_u32 s7, ttmp6, 0x40010
	s_add_co_i32 s2, s2, 1
	s_and_b32 s3, ttmp6, 15
	s_mul_i32 s2, ttmp9, s2
	s_add_co_i32 s7, s7, 1
	s_add_co_i32 s3, s3, s2
	s_mul_i32 s2, ttmp7, s7
	s_bfe_u32 s7, ttmp6, 0x40004
	s_getreg_b32 s8, hwreg(HW_REG_IB_STS2, 6, 4)
	s_add_co_i32 s7, s7, s2
	s_cmp_eq_u32 s8, 0
	v_bfe_u32 v1, v0, 10, 10
	s_cselect_b32 s7, ttmp7, s7
	v_and_b32_e32 v27, 0x3ff, v0
	s_cselect_b32 s2, ttmp9, s3
	s_lshl_b32 s7, s7, 6
	s_mov_b32 s3, 0
	s_wait_kmcnt 0x0
	s_cmp_gt_i32 s10, 31
	s_cbranch_scc1 .LBB121_2
; %bb.1:
	v_bfe_u32 v26, v0, 10, 10
	v_and_b32_e32 v28, 0x3ff, v0
	s_delay_alu instid0(VALU_DEP_2)
	v_add_nc_u32_e32 v31, s7, v26
	s_branch .LBB121_3
.LBB121_2:
	s_mov_b32 s3, -1
                                        ; implicit-def: $vgpr26
                                        ; implicit-def: $vgpr28
                                        ; implicit-def: $vgpr31
.LBB121_3:
	s_load_b64 s[8:9], s[0:1], 0x10
	v_dual_mov_b32 v3, 0 :: v_dual_mov_b32 v2, 0
	v_dual_mov_b32 v13, 0 :: v_dual_mov_b32 v12, 0
	;; [unrolled: 1-line block ×16, first 2 shown]
	s_and_not1_b32 vcc_lo, exec_lo, s3
	s_lshl_b32 s14, s2, 7
	s_cbranch_vccnz .LBB121_14
; %bb.4:
	v_dual_add_nc_u32 v31, s7, v1 :: v_dual_bitop2_b32 v22, 3, v0 bitop3:0x40
	s_add_co_i32 s16, s4, -1
	s_ashr_i32 s11, s10, 31
	v_cvt_f64_i32_e32 v[2:3], s16
	s_delay_alu instid0(VALU_DEP_2) | instskip(SKIP_3) | instid1(VALU_DEP_4)
	v_dual_add_nc_u32 v6, 8, v31 :: v_dual_add_nc_u32 v8, 16, v31
	v_dual_add_nc_u32 v10, 24, v31 :: v_dual_add_nc_u32 v12, 32, v31
	;; [unrolled: 1-line block ×3, first 2 shown]
	v_cvt_f64_u32_e32 v[4:5], v31
	v_cvt_f64_u32_e32 v[6:7], v6
	;; [unrolled: 1-line block ×6, first 2 shown]
	s_ashr_i32 s12, s5, 31
	s_lshr_b32 s11, s11, 27
	v_bfe_u32 v26, v0, 2, 8
	v_dual_mov_b32 v29, 0 :: v_dual_lshlrev_b32 v20, 3, v27
	v_dual_lshlrev_b32 v21, 2, v27 :: v_dual_bitop2_b32 v30, 7, v0 bitop3:0x40
	v_bfe_u32 v41, v0, 3, 7
	v_dual_add_nc_u32 v18, 56, v31 :: v_dual_bitop2_b32 v23, 31, v0 bitop3:0x40
	s_lshr_b32 s12, s12, 27
	s_add_co_i32 s17, s10, s11
	s_add_co_i32 s10, s5, s12
	s_ashr_i32 s5, s17, 5
	v_cvt_f64_u32_e32 v[14:15], v14
	v_cvt_f64_u32_e32 v[18:19], v18
	v_mad_u32_u24 v43, 0x104, v1, v20
	v_lshl_add_u32 v25, v1, 2, v41
	v_dual_lshlrev_b32 v32, 2, v30 :: v_dual_bitop2_b32 v20, 28, v21 bitop3:0x40
	v_mov_b32_e32 v21, v29
	v_lshl_add_u32 v33, v1, 3, v26
	s_lshl_b32 s18, s5, 3
	v_mul_lo_u32 v40, s5, v1
	v_dual_lshlrev_b32 v24, 7, v1 :: v_dual_lshlrev_b32 v28, 2, v22
	v_min_num_f64_e32 v[4:5], v[4:5], v[2:3]
	v_min_num_f64_e32 v[6:7], v[6:7], v[2:3]
	;; [unrolled: 1-line block ×6, first 2 shown]
	s_ashr_i32 s19, s10, 5
	v_mul_lo_u32 v62, s5, v25
	v_add_nc_u32_e32 v42, s18, v40
	v_lshl_or_b32 v23, v23, 2, 0x8200
	v_add_nc_u32_e32 v34, 0x400, v24
	s_wait_xcnt 0x0
	s_load_b128 s[0:3], s[0:1], 0x0
	s_and_not1_b32 s17, s17, 31
	v_add_nc_u32_e32 v35, 0x800, v24
	s_mul_i32 s10, s5, s14
	v_add_nc_u32_e32 v172, 0x8200, v24
	s_ashr_i32 s11, s10, 31
	v_mov_b64_e32 v[38:39], 0
	s_mul_u64 s[12:13], s[10:11], 22
	s_movk_i32 s10, 0x80
	v_mov_b64_e32 v[36:37], 0
	v_add_nc_u32_e32 v45, 0x820, v43
	v_add_nc_u32_e32 v47, 0x1040, v43
	;; [unrolled: 1-line block ×10, first 2 shown]
	s_wait_kmcnt 0x0
	v_add_nc_u64_e32 v[52:53], s[2:3], v[20:21]
	v_cvt_i32_f64_e32 v4, v[4:5]
	v_cvt_i32_f64_e32 v5, v[6:7]
	;; [unrolled: 1-line block ×4, first 2 shown]
	v_dual_min_num_f64 v[14:15], v[14:15], v[2:3] :: v_dual_add_nc_u32 v12, 32, v25
	v_cvt_i32_f64_e32 v13, v[16:17]
	v_dual_min_num_f64 v[2:3], v[18:19], v[2:3] :: v_dual_bitop2_b32 v16, 63, v33 bitop3:0x40
	v_cvt_i32_f64_e32 v7, v[10:11]
	v_and_b32_e32 v9, 0x7fc, v25
	s_delay_alu instid0(VALU_DEP_3) | instskip(SKIP_2) | instid1(VALU_DEP_4)
	v_dual_lshlrev_b32 v10, 5, v25 :: v_dual_bitop2_b32 v19, s7, v16 bitop3:0x54
	v_and_b32_e32 v17, 0xffc, v12
	v_lshlrev_b32_e32 v12, 5, v12
	v_add3_u32 v9, v9, v32, 0xa200
	v_mov_b64_e32 v[20:21], 0
	v_add_nc_u32_e32 v67, 0x5960, v43
	v_add3_u32 v17, v17, v32, 0xa200
	v_add_nc_u32_e32 v69, 0x6180, v43
	v_add_nc_u32_e32 v71, 0x69a0, v43
	;; [unrolled: 1-line block ×4, first 2 shown]
	v_mul_u32_u24_e32 v178, 0x104, v27
	v_lshl_add_u32 v179, v1, 4, 0xb280
	v_mad_u32_u24 v180, 0x104, v27, s10
	s_mov_b32 s11, 0
	s_add_co_i32 s15, s5, 3
	s_add_nc_u64 s[0:1], s[0:1], s[12:13]
	s_mov_b32 s10, s11
	v_add_nc_u32_e32 v44, s18, v42
	v_add_nc_u32_e32 v156, v9, v10
	v_mul_lo_u32 v79, s19, v4
	v_mul_lo_u32 v148, s19, v5
	;; [unrolled: 1-line block ×3, first 2 shown]
	v_add_nc_u32_e32 v6, 0x60, v27
	v_add_nc_u32_e32 v46, s18, v44
	v_mul_lo_u32 v151, s19, v8
	v_mul_lo_u32 v153, s19, v13
	v_dual_add_nc_u32 v8, 32, v27 :: v_dual_lshlrev_b32 v13, 5, v27
	v_cvt_i32_f64_e32 v2, v[2:3]
	v_lshl_or_b32 v3, v16, 4, v28
	v_min_i32_e32 v16, s16, v19
	v_mul_lo_u32 v150, s19, v7
	v_add_nc_u32_e32 v7, 64, v27
	v_and_b32_e32 v6, 0x1fc, v6
	v_cvt_i32_f64_e32 v11, v[14:15]
	v_mad_u32 v77, v16, s19, v22
	v_and_b32_e32 v16, 0x1fc, v8
	v_and_b32_e32 v7, 0x1fc, v7
	v_add_nc_u32_e32 v48, s18, v46
	v_and_b32_e32 v22, 0xfc, v0
	v_add_nc_u32_e32 v75, 0xb280, v3
	v_add_nc_u32_e32 v3, 0xc00, v24
	;; [unrolled: 1-line block ×7, first 2 shown]
	v_and_b32_e32 v18, 0xffc, v14
	v_and_b32_e32 v33, 0xffc, v15
	v_dual_lshlrev_b32 v14, 5, v14 :: v_dual_lshlrev_b32 v15, 5, v15
	v_add_nc_u32_e32 v167, v23, v4
	s_delay_alu instid0(VALU_DEP_4) | instskip(NEXT) | instid1(VALU_DEP_4)
	v_add3_u32 v18, v18, v32, 0xa200
	v_add3_u32 v19, v33, v32, 0xa200
	v_mov_b64_e32 v[32:33], 0
	v_add_nc_u32_e32 v164, v23, v34
	v_mov_b64_e32 v[34:35], 0
	s_delay_alu instid0(VALU_DEP_4)
	v_dual_add_nc_u32 v160, v18, v14 :: v_dual_add_nc_u32 v162, v19, v15
	v_mov_b64_e32 v[18:19], 0
	v_mul_lo_u32 v154, s19, v2
	v_dual_add_nc_u32 v2, v13, v6 :: v_dual_add_nc_u32 v6, v13, v7
	v_add_nc_u32_e32 v0, s18, v48
	v_dual_add_nc_u32 v7, v13, v16 :: v_dual_add_nc_u32 v13, v13, v22
	v_add_nc_u32_e32 v16, 0x1c00, v24
	v_mul_lo_u32 v152, s19, v11
	s_delay_alu instid0(VALU_DEP_4)
	v_add_nc_u32_e32 v50, s18, v0
	v_lshrrev_b32_e32 v155, 3, v8
	v_add_nc_u32_e32 v11, 0x1800, v24
	v_add_nc_u32_e32 v157, 0xae00, v2
	;; [unrolled: 1-line block ×3, first 2 shown]
	v_dual_add_nc_u32 v54, s18, v50 :: v_dual_add_nc_u32 v158, v17, v12
	v_add_nc_u32_e32 v161, 0xa600, v7
	v_add_nc_u32_e32 v163, 0xa200, v13
	v_dual_add_nc_u32 v168, v23, v5 :: v_dual_add_nc_u32 v169, v23, v11
	s_delay_alu instid0(VALU_DEP_4) | instskip(SKIP_3) | instid1(VALU_DEP_4)
	v_add_nc_u32_e32 v56, s18, v54
	v_dual_add_nc_u32 v70, s17, v62 :: v_dual_add_nc_u32 v171, v23, v24
	v_add_nc_u32_e32 v173, 0xae10, v2
	v_add_nc_u32_e32 v174, 0xaa10, v6
	v_dual_add_nc_u32 v58, s18, v56 :: v_dual_add_nc_u32 v166, v23, v3
	s_delay_alu instid0(VALU_DEP_4) | instskip(SKIP_2) | instid1(VALU_DEP_4)
	v_add_nc_u32_e32 v74, s17, v70
	v_add_nc_u32_e32 v175, 0xa610, v7
	;; [unrolled: 1-line block ×4, first 2 shown]
	v_mov_b64_e32 v[8:9], 0
	v_add_nc_u32_e32 v78, s17, v74
	v_mov_b64_e32 v[6:7], 0
	v_mov_b64_e32 v[4:5], 0
	v_add_nc_u32_e32 v64, s18, v60
	v_mov_b64_e32 v[2:3], 0
	v_mov_b64_e32 v[10:11], 0
	;; [unrolled: 1-line block ×4, first 2 shown]
	v_add_nc_u32_e32 v66, s18, v64
	v_add_nc_u32_e32 v170, v23, v16
	v_mov_b64_e32 v[16:17], 0
	v_mov_b64_e32 v[22:23], 0
	;; [unrolled: 1-line block ×3, first 2 shown]
	v_add_nc_u32_e32 v68, s18, v66
	s_delay_alu instid0(VALU_DEP_1) | instskip(NEXT) | instid1(VALU_DEP_1)
	v_add_nc_u32_e32 v72, s18, v68
	v_add_nc_u32_e32 v76, s18, v72
	s_branch .LBB121_6
.LBB121_5:                              ;   in Loop: Header=BB121_6 Depth=1
	s_add_co_i32 s10, s10, 8
	s_add_co_i32 s15, s15, -8
	s_cmp_ge_i32 s10, s5
	s_cbranch_scc1 .LBB121_13
.LBB121_6:                              ; =>This Loop Header: Depth=1
                                        ;     Child Loop BB121_8 Depth 2
                                        ;     Child Loop BB121_11 Depth 2
	s_mul_u64 s[12:13], s[10:11], 22
	s_cmp_gt_u32 s15, 3
	s_add_nc_u64 s[12:13], s[0:1], s[12:13]
	s_delay_alu instid0(SALU_CYCLE_1) | instskip(NEXT) | instid1(VALU_DEP_1)
	v_mad_nc_u64_u32 v[80:81], v26, 22, s[12:13]
	v_mad_nc_u64_u32 v[82:83], v40, 22, v[80:81]
	;; [unrolled: 1-line block ×12, first 2 shown]
	v_add_nc_u64_e32 v[102:103], v[82:83], v[28:29]
	v_add_nc_u64_e32 v[104:105], v[86:87], v[28:29]
	;; [unrolled: 1-line block ×4, first 2 shown]
	s_clause 0x7
	global_load_b32 v91, v[100:101], off offset:2
	global_load_b32 v92, v[88:89], off offset:2
	;; [unrolled: 1-line block ×8, first 2 shown]
	s_wait_xcnt 0x4
	v_add_nc_u64_e32 v[82:83], v[108:109], v[28:29]
	v_add_nc_u64_e32 v[86:87], v[110:111], v[28:29]
	;; [unrolled: 1-line block ×3, first 2 shown]
	s_clause 0x6
	global_load_b32 v100, v[84:85], off offset:2
	global_load_b32 v101, v[112:113], off offset:2
	;; [unrolled: 1-line block ×7, first 2 shown]
	s_wait_xcnt 0x6
	v_add_nc_u64_e32 v[84:85], v[84:85], v[28:29]
	s_wait_xcnt 0x2
	v_mad_nc_u64_u32 v[82:83], v30, 22, s[12:13]
	v_mad_nc_u64_u32 v[110:111], v56, 22, v[80:81]
	;; [unrolled: 1-line block ×6, first 2 shown]
	global_load_b32 v144, v[84:85], off offset:6
	v_add_nc_u64_e32 v[134:135], v[116:117], v[28:29]
	v_add_nc_u64_e32 v[136:137], v[118:119], v[28:29]
	;; [unrolled: 1-line block ×3, first 2 shown]
	v_mad_nc_u64_u32 v[126:127], v62, 22, v[82:83]
	v_add_nc_u64_e32 v[128:129], v[110:111], v[28:29]
	v_add_nc_u64_e32 v[130:131], v[112:113], v[28:29]
	;; [unrolled: 1-line block ×5, first 2 shown]
	s_clause 0x10
	global_load_u16 v108, v[126:127], off
	global_load_b32 v145, v[128:129], off offset:6
	global_load_b32 v146, v[130:131], off offset:6
	;; [unrolled: 1-line block ×14, first 2 shown]
	; meta instruction
	; meta instruction
	; meta instruction
	; meta instruction
	; meta instruction
	; meta instruction
	; meta instruction
	; meta instruction
	; meta instruction
	; meta instruction
	; meta instruction
	; meta instruction
	; meta instruction
	; meta instruction
	; meta instruction
	global_load_b32 v87, v[120:121], off offset:2
	global_load_b32 v89, v[118:119], off offset:2
	s_wait_loadcnt 0x1f
	v_dual_ashrrev_i32 v91, v28, v91 :: v_dual_ashrrev_i32 v92, v28, v92
	s_wait_loadcnt 0x1d
	v_dual_ashrrev_i32 v96, v28, v96 :: v_dual_ashrrev_i32 v99, v28, v99
	s_wait_loadcnt 0x1c
	s_wait_xcnt 0x8
	v_and_b32_e32 v110, 0xf0f0f0f, v98
	v_lshrrev_b32_e32 v98, 4, v98
	s_wait_loadcnt 0x1b
	v_and_b32_e32 v111, 0xf0f0f0f, v97
	v_lshrrev_b32_e32 v97, 4, v97
	s_wait_loadcnt 0x19
	v_and_b32_e32 v113, 0xf0f0f0f, v93
	s_wait_loadcnt 0x15
	v_dual_lshrrev_b32 v93, 4, v93 :: v_dual_ashrrev_i32 v107, v28, v107
	v_dual_ashrrev_i32 v103, v28, v103 :: v_dual_ashrrev_i32 v101, v28, v101
	s_wait_loadcnt 0x12
	v_and_b32_e32 v116, 0xf0f0f0f, v102
	v_dual_lshrrev_b32 v102, 4, v102 :: v_dual_ashrrev_i32 v100, v28, v100
	s_wait_xcnt 0x0
	v_dual_lshlrev_b32 v117, 4, v99 :: v_dual_lshlrev_b32 v118, 11, v99
	v_dual_lshlrev_b32 v119, 18, v99 :: v_dual_lshlrev_b32 v120, 25, v99
	v_dual_lshrrev_b32 v121, 12, v99 :: v_dual_lshrrev_b32 v122, 5, v99
	v_dual_lshlrev_b32 v123, 2, v99 :: v_dual_lshlrev_b32 v99, 9, v99
	v_dual_lshlrev_b32 v124, 4, v96 :: v_dual_lshlrev_b32 v125, 11, v96
	v_dual_lshlrev_b32 v126, 18, v96 :: v_dual_lshlrev_b32 v127, 25, v96
	v_dual_lshrrev_b32 v128, 12, v96 :: v_dual_lshrrev_b32 v129, 5, v96
	v_dual_lshlrev_b32 v130, 2, v96 :: v_dual_lshlrev_b32 v96, 9, v96
	;; [unrolled: 4-line block ×3, first 2 shown]
	v_lshlrev_b32_e32 v197, 4, v101
	v_and_b32_e32 v114, 0xf0f0f0f, v105
	v_lshrrev_b32_e32 v105, 4, v105
	v_and_b32_e32 v115, 0xf0f0f0f, v104
	v_lshrrev_b32_e32 v104, 4, v104
	v_and_b32_e32 v93, 0xf0f0f0f, v93
	v_dual_lshlrev_b32 v183, 4, v107 :: v_dual_lshlrev_b32 v184, 11, v107
	v_dual_lshlrev_b32 v185, 18, v107 :: v_dual_lshlrev_b32 v186, 25, v107
	v_dual_lshrrev_b32 v187, 12, v107 :: v_dual_lshrrev_b32 v188, 5, v107
	v_dual_lshlrev_b32 v189, 2, v107 :: v_dual_lshlrev_b32 v107, 9, v107
	v_dual_lshlrev_b32 v190, 4, v103 :: v_dual_lshlrev_b32 v191, 11, v103
	;; [unrolled: 1-line block ×3, first 2 shown]
	v_dual_lshrrev_b32 v194, 12, v103 :: v_dual_lshrrev_b32 v195, 5, v103
	v_dual_lshlrev_b32 v196, 2, v103 :: v_dual_lshlrev_b32 v103, 9, v103
	v_and_b32_e32 v182, 0x100000, v182
	v_and_b32_e32 v91, 0x10000000, v91
	;; [unrolled: 1-line block ×3, first 2 shown]
	v_lshrrev_b32_e32 v95, 4, v95
	v_and_b32_e32 v98, 0xf0f0f0f, v98
	v_and_b32_e32 v97, 0xf0f0f0f, v97
	v_dual_lshlrev_b32 v131, 4, v92 :: v_dual_lshlrev_b32 v132, 11, v92
	v_dual_lshlrev_b32 v133, 18, v92 :: v_dual_lshlrev_b32 v134, 25, v92
	v_dual_lshrrev_b32 v135, 12, v92 :: v_dual_lshrrev_b32 v136, 5, v92
	v_dual_lshlrev_b32 v137, 2, v92 :: v_dual_lshlrev_b32 v92, 9, v92
	v_dual_lshlrev_b32 v198, 11, v101 :: v_dual_lshlrev_b32 v199, 18, v101
	v_dual_lshlrev_b32 v200, 25, v101 :: v_dual_lshrrev_b32 v201, 12, v101
	v_dual_lshrrev_b32 v202, 5, v101 :: v_dual_lshlrev_b32 v203, 2, v101
	v_dual_lshlrev_b32 v101, 9, v101 :: v_dual_bitop2_b32 v124, 16, v124 bitop3:0x40
	v_and_b32_e32 v117, 16, v117
	v_and_b32_e32 v118, 0x1000, v118
	v_and_b32_e32 v121, 16, v121
	v_and_b32_e32 v122, 0x1000, v122
	v_and_b32_e32 v123, 0x100000, v123
	v_and_b32_e32 v99, 0x10000000, v99
	v_and_b32_e32 v125, 0x1000, v125
	v_and_b32_e32 v126, 0x100000, v126
	v_and_b32_e32 v127, 0x10000000, v127
	v_and_b32_e32 v130, 0x100000, v130
	v_and_b32_e32 v96, 0x10000000, v96
	v_and_b32_e32 v105, 0xf0f0f0f, v105
	v_and_b32_e32 v104, 0xf0f0f0f, v104
	v_and_b32_e32 v187, 16, v187
	v_and_b32_e32 v188, 0x1000, v188
	v_and_b32_e32 v189, 0x100000, v189
	v_and_b32_e32 v107, 0x10000000, v107
	v_and_b32_e32 v191, 0x1000, v191
	v_and_b32_e32 v192, 0x100000, v192
	v_and_b32_e32 v193, 0x10000000, v193
	v_and_b32_e32 v196, 0x100000, v196
	v_and_b32_e32 v103, 0x10000000, v103
	v_or3_b32 v91, v93, v182, v91
	v_and_b32_e32 v190, 16, v190
	v_and_b32_e32 v95, 0xf0f0f0f, v95
	;; [unrolled: 1-line block ×10, first 2 shown]
	v_or3_b32 v117, v117, v110, v118
	v_or3_b32 v118, v121, v98, v122
	;; [unrolled: 1-line block ×5, first 2 shown]
	v_and_b32_e32 v128, 16, v128
	v_or3_b32 v96, v97, v130, v96
	v_and_b32_e32 v131, 16, v131
	v_and_b32_e32 v195, 0x1000, v195
	;; [unrolled: 1-line block ×5, first 2 shown]
	v_or3_b32 v122, v187, v105, v188
	v_or3_b32 v105, v105, v189, v107
	;; [unrolled: 1-line block ×3, first 2 shown]
	v_dual_lshrrev_b32 v91, 16, v91 :: v_dual_bitop2_b32 v197, 16, v197 bitop3:0x40
	v_or3_b32 v107, v190, v115, v191
	v_or3_b32 v115, v115, v192, v193
	v_and_b32_e32 v194, 16, v194
	v_and_b32_e32 v136, 0x1000, v136
	;; [unrolled: 1-line block ×3, first 2 shown]
	v_or3_b32 v110, v110, v119, v120
	v_or3_b32 v92, v95, v137, v92
	v_dual_lshrrev_b32 v111, 16, v111 :: v_dual_bitop2_b32 v138, 16, v138 bitop3:0x40
	v_or3_b32 v119, v128, v97, v129
	v_lshrrev_b32_e32 v96, 16, v96
	v_or3_b32 v97, v131, v112, v132
	v_or3_b32 v112, v112, v133, v134
	v_and_b32_e32 v135, 16, v135
	v_and_b32_e32 v102, 0xf0f0f0f, v102
	;; [unrolled: 1-line block ×5, first 2 shown]
	v_lshrrev_b32_e32 v115, 16, v115
	v_or3_b32 v123, v194, v104, v195
	v_lshrrev_b32_e32 v103, 16, v103
	v_or3_b32 v104, v197, v116, v198
	v_or3_b32 v116, v116, v199, v200
	v_and_b32_e32 v201, 16, v201
	v_and_b32_e32 v140, 0x100000, v140
	;; [unrolled: 1-line block ×3, first 2 shown]
	v_lshrrev_b32_e32 v112, 16, v112
	v_or3_b32 v120, v135, v95, v136
	v_lshrrev_b32_e32 v92, 16, v92
	v_or3_b32 v95, v138, v113, v139
	v_or3_b32 v101, v102, v203, v101
	v_lshlrev_b16 v125, 8, v118
	v_lshrrev_b32_e32 v116, 16, v116
	v_or3_b32 v124, v201, v102, v202
	v_lshrrev_b32_e32 v102, 16, v110
	v_and_b32_e32 v110, 0x1f00, v117
	v_lshlrev_b16 v117, 8, v117
	v_lshlrev_b16 v126, 8, v99
	;; [unrolled: 1-line block ×3, first 2 shown]
	v_and_b32_e32 v143, 0x1000, v143
	v_or3_b32 v113, v113, v140, v141
	v_and_b32_e32 v142, 16, v142
	v_lshlrev_b16 v130, 8, v95
	v_add_nc_u16 v110, 0xf000, v110
	v_add_nc_u16 v117, 0xf000, v117
	v_and_b32_e32 v138, 0x1f00, v102
	v_lshlrev_b16 v102, 8, v102
	v_add_nc_u16 v125, 0xf000, v125
	v_add_nc_u16 v126, 0xf000, v126
	;; [unrolled: 1-line block ×3, first 2 shown]
	v_lshrrev_b32_e32 v113, 16, v113
	v_or3_b32 v121, v142, v93, v143
	v_add_nc_u16 v130, 0xf000, v130
	v_lshrrev_b32_e32 v98, 16, v98
	v_perm_b32 v110, v117, v110, 0xc0c0105
	v_add_nc_u16 v117, 0xf000, v138
	v_add_nc_u16 v102, 0xf000, v102
	v_lshrrev_b16 v125, 8, v125
	v_and_b32_e32 v127, 0x1f00, v119
	v_lshlrev_b16 v119, 8, v119
	v_lshrrev_b16 v126, 8, v126
	v_and_b32_e32 v129, 0x1f00, v120
	v_lshlrev_b16 v120, 8, v120
	v_lshrrev_b16 v128, 8, v128
	v_and_b32_e32 v183, 16, v183
	v_and_b32_e32 v184, 0x1000, v184
	;; [unrolled: 1-line block ×3, first 2 shown]
	v_lshlrev_b16 v121, 8, v121
	v_lshrrev_b16 v130, 8, v130
	v_and_b32_e32 v139, 0x1f00, v98
	v_lshlrev_b16 v98, 8, v98
	v_perm_b32 v102, v102, v117, 0xc0c0105
	v_bitop3_b16 v117, v118, v125, 0x1f00 bitop3:0xec
	v_and_b32_e32 v140, 0x1f00, v111
	v_lshlrev_b16 v111, 8, v111
	v_add_nc_u16 v127, 0xf000, v127
	v_add_nc_u16 v119, 0xf000, v119
	v_and_b32_e32 v141, 0x1f00, v96
	v_lshlrev_b16 v96, 8, v96
	v_bitop3_b16 v99, v99, v126, 0x1f00 bitop3:0xec
	v_and_b32_e32 v142, 0x1f00, v112
	v_lshlrev_b16 v112, 8, v112
	v_add_nc_u16 v129, 0xf000, v129
	v_add_nc_u16 v120, 0xf000, v120
	v_and_b32_e32 v143, 0x1f00, v92
	v_lshlrev_b16 v92, 8, v92
	v_bitop3_b16 v97, v97, v128, 0x1f00 bitop3:0xec
	v_or3_b32 v93, v183, v114, v184
	v_and_b32_e32 v182, 0x1f00, v113
	v_lshlrev_b16 v113, 8, v113
	v_add_nc_u16 v131, 0xf000, v131
	v_add_nc_u16 v121, 0xf000, v121
	v_and_b32_e32 v183, 0x1f00, v91
	v_lshlrev_b16 v91, 8, v91
	v_bitop3_b16 v95, v95, v130, 0x1f00 bitop3:0xec
	v_lshlrev_b16 v137, 8, v124
	v_add_nc_u16 v138, 0xf000, v139
	v_add_nc_u16 v98, 0xf000, v98
	v_lshl_or_b32 v102, v102, 16, v110
	v_add_nc_u16 v110, 0xf000, v117
	v_add_nc_u16 v139, 0xf000, v140
	v_add_nc_u16 v111, 0xf000, v111
	v_perm_b32 v119, v119, v127, 0xc0c0105
	v_add_nc_u16 v127, 0xf000, v141
	v_add_nc_u16 v96, 0xf000, v96
	v_add_nc_u16 v99, 0xf000, v99
	v_add_nc_u16 v140, 0xf000, v142
	v_add_nc_u16 v112, 0xf000, v112
	v_perm_b32 v120, v120, v129, 0xc0c0105
	v_add_nc_u16 v129, 0xf000, v143
	v_add_nc_u16 v92, 0xf000, v92
	v_add_nc_u16 v97, 0xf000, v97
	v_add_nc_u16 v141, 0xf000, v182
	v_add_nc_u16 v113, 0xf000, v113
	v_perm_b32 v121, v121, v131, 0xc0c0105
	v_add_nc_u16 v131, 0xf000, v183
	v_add_nc_u16 v91, 0xf000, v91
	v_add_nc_u16 v95, 0xf000, v95
	v_add_nc_u16 v137, 0xf000, v137
	v_perm_b32 v98, v98, v138, 0xc0c0105
	v_and_b32_e32 v110, 0xffff, v110
	v_perm_b32 v111, v111, v139, 0xc0c0105
	v_perm_b32 v96, v96, v127, 0xc0c0105
	v_and_b32_e32 v99, 0xffff, v99
	v_perm_b32 v112, v112, v140, 0xc0c0105
	;; [unrolled: 3-line block ×3, first 2 shown]
	v_perm_b32 v91, v91, v131, 0xc0c0105
	v_and_b32_e32 v95, 0xffff, v95
	v_and_b32_e32 v135, 0x1f00, v123
	v_lshlrev_b16 v123, 8, v123
	v_lshrrev_b32_e32 v101, 16, v101
	v_lshrrev_b16 v137, 8, v137
	v_lshl_or_b32 v98, v98, 16, v110
	v_lshl_or_b32 v96, v96, 16, v119
	;; [unrolled: 1-line block ×7, first 2 shown]
	v_add_nc_u16 v135, 0xf000, v135
	v_add_nc_u16 v123, 0xf000, v123
	v_and_b32_e32 v187, 0x1f00, v103
	v_lshlrev_b16 v103, 8, v103
	v_bitop3_b16 v118, v124, v137, 0x1f00 bitop3:0xec
	ds_store_2addr_b32 v43, v102, v98 offset1:1
	ds_store_2addr_b32 v45, v99, v96 offset1:1
	;; [unrolled: 1-line block ×4, first 2 shown]
	v_lshlrev_b32_e32 v95, 4, v100
	v_and_b32_e32 v189, 0x1f00, v101
	v_lshlrev_b16 v101, 8, v101
	v_perm_b32 v123, v123, v135, 0xc0c0105
	v_add_nc_u16 v135, 0xf000, v187
	v_add_nc_u16 v103, 0xf000, v103
	;; [unrolled: 1-line block ×5, first 2 shown]
	v_dual_lshlrev_b32 v98, 11, v100 :: v_dual_bitop2_b32 v95, 16, v95 bitop3:0x40
	v_dual_lshlrev_b32 v101, 18, v100 :: v_dual_lshlrev_b32 v102, 25, v100
	v_perm_b32 v103, v103, v135, 0xc0c0105
	s_wait_loadcnt 0x11
	v_and_b32_e32 v99, 0xf0f0f0f, v144
	v_and_b32_e32 v98, 0x1000, v98
	v_perm_b32 v92, v96, v92, 0xc0c0105
	v_and_b32_e32 v96, 0xffff, v97
	v_and_b32_e32 v97, 0x100000, v101
	;; [unrolled: 1-line block ×3, first 2 shown]
	v_or3_b32 v95, v95, v99, v98
	v_lshl_or_b32 v98, v103, 16, v123
	v_lshl_or_b32 v92, v92, 16, v96
	v_lshlrev_b32_e32 v102, 2, v100
	v_or3_b32 v96, v99, v97, v101
	v_lshrrev_b32_e32 v101, 12, v100
	v_lshrrev_b32_e32 v99, 4, v144
	v_dual_lshlrev_b32 v103, 9, v100 :: v_dual_lshrrev_b32 v100, 5, v100
	v_and_b32_e32 v102, 0x100000, v102
	s_delay_alu instid0(VALU_DEP_4) | instskip(NEXT) | instid1(VALU_DEP_4)
	v_and_b32_e32 v101, 16, v101
	v_and_b32_e32 v99, 0xf0f0f0f, v99
	s_delay_alu instid0(VALU_DEP_4)
	v_and_b32_e32 v103, 0x10000000, v103
	v_and_b32_e32 v100, 0x1000, v100
	;; [unrolled: 1-line block ×3, first 2 shown]
	v_lshlrev_b16 v95, 8, v95
	v_and_b32_e32 v136, 0x1f00, v104
	v_or3_b32 v102, v99, v102, v103
	v_lshrrev_b32_e32 v96, 16, v96
	v_or3_b32 v99, v101, v99, v100
	v_lshlrev_b16 v104, 8, v104
	v_add_nc_u16 v97, 0xf000, v97
	v_lshrrev_b32_e32 v101, 16, v102
	v_and_b32_e32 v100, 0x1f00, v96
	v_lshlrev_b16 v96, 8, v96
	v_add_nc_u16 v95, 0xf000, v95
	v_add_nc_u16 v136, 0xf000, v136
	;; [unrolled: 1-line block ×5, first 2 shown]
	v_and_b32_e32 v188, 0x1f00, v116
	v_lshlrev_b16 v116, 8, v116
	v_lshlrev_b16 v102, 8, v99
	v_perm_b32 v95, v95, v97, 0xc0c0105
	v_perm_b32 v96, v96, v100, 0xc0c0105
	s_wait_loadcnt 0x8
	v_ashrrev_i32_e32 v100, v28, v181
	v_perm_b32 v104, v104, v136, 0xc0c0105
	v_add_nc_u16 v136, 0xf000, v188
	v_add_nc_u16 v116, 0xf000, v116
	v_and_b32_e32 v97, 0x1f00, v101
	v_add_nc_u16 v102, 0xf000, v102
	v_lshlrev_b16 v101, 8, v101
	v_lshl_or_b32 v95, v96, 16, v95
	v_lshlrev_b32_e32 v96, 4, v100
	v_perm_b32 v91, v116, v136, 0xc0c0105
	v_add_nc_u16 v97, 0xf000, v97
	v_lshrrev_b16 v102, 8, v102
	v_add_nc_u16 v101, 0xf000, v101
	v_and_b32_e32 v96, 16, v96
	v_lshlrev_b32_e32 v103, 11, v100
	v_lshl_or_b32 v91, v91, 16, v104
	v_bitop3_b16 v99, v99, v102, 0x1f00 bitop3:0xec
	v_perm_b32 v97, v101, v97, 0xc0c0105
	v_and_b32_e32 v101, 0xf0f0f0f, v145
	v_and_b32_e32 v102, 0x1000, v103
	v_dual_lshrrev_b32 v103, 4, v145 :: v_dual_lshrrev_b32 v104, 12, v100
	v_dual_lshrrev_b32 v110, 5, v100 :: v_dual_lshlrev_b32 v111, 25, v100
	v_lshlrev_b32_e32 v112, 2, v100
	s_delay_alu instid0(VALU_DEP_4)
	v_or3_b32 v96, v96, v101, v102
	v_lshlrev_b32_e32 v102, 18, v100
	v_and_b32_e32 v103, 0xf0f0f0f, v103
	v_and_b32_e32 v104, 16, v104
	;; [unrolled: 1-line block ×5, first 2 shown]
	v_lshlrev_b16 v132, 8, v93
	v_lshlrev_b16 v134, 8, v107
	v_and_b32_e32 v102, 0x100000, v102
	v_or3_b32 v104, v104, v103, v110
	v_and_b32_e32 v110, 0x10000000, v111
	v_or3_b32 v114, v114, v185, v186
	v_add_nc_u16 v132, 0xf000, v132
	v_add_nc_u16 v134, 0xf000, v134
	v_lshrrev_b32_e32 v105, 16, v105
	v_or3_b32 v101, v101, v102, v110
	v_and_b32_e32 v102, 0x1f00, v96
	v_lshlrev_b16 v96, 8, v96
	v_lshrrev_b32_e32 v114, 16, v114
	v_and_b32_e32 v133, 0x1f00, v122
	v_lshlrev_b16 v122, 8, v122
	v_lshrrev_b16 v132, 8, v132
	v_lshrrev_b16 v134, 8, v134
	v_lshlrev_b32_e32 v100, 9, v100
	v_add_nc_u16 v102, 0xf000, v102
	v_add_nc_u16 v96, 0xf000, v96
	v_and_b32_e32 v184, 0x1f00, v114
	v_lshlrev_b16 v114, 8, v114
	v_add_nc_u16 v133, 0xf000, v133
	v_add_nc_u16 v122, 0xf000, v122
	v_and_b32_e32 v185, 0x1f00, v105
	v_lshlrev_b16 v105, 8, v105
	v_bitop3_b16 v93, v93, v132, 0x1f00 bitop3:0xec
	v_and_b32_e32 v186, 0x1f00, v115
	v_lshlrev_b16 v115, 8, v115
	v_bitop3_b16 v107, v107, v134, 0x1f00 bitop3:0xec
	v_and_b32_e32 v111, 0x100000, v112
	v_lshlrev_b16 v112, 8, v104
	v_perm_b32 v96, v96, v102, 0xc0c0105
	v_ashrrev_i32_e32 v102, v28, v147
	v_and_b32_e32 v100, 0x10000000, v100
	v_add_nc_u16 v142, 0xf000, v184
	v_add_nc_u16 v114, 0xf000, v114
	v_perm_b32 v122, v122, v133, 0xc0c0105
	v_add_nc_u16 v133, 0xf000, v185
	v_add_nc_u16 v105, 0xf000, v105
	;; [unrolled: 1-line block ×7, first 2 shown]
	v_or3_b32 v100, v103, v111, v100
	v_add_nc_u16 v103, 0xf000, v112
	v_lshrrev_b32_e32 v101, 16, v101
	v_perm_b32 v114, v114, v142, 0xc0c0105
	v_perm_b32 v105, v105, v133, 0xc0c0105
	v_and_b32_e32 v93, 0xffff, v93
	v_perm_b32 v115, v115, v143, 0xc0c0105
	v_and_b32_e32 v107, 0xffff, v107
	v_and_b32_e32 v99, 0xffff, v99
	v_lshrrev_b16 v103, 8, v103
	v_and_b32_e32 v110, 0x1f00, v101
	v_lshlrev_b16 v101, 8, v101
	v_lshl_or_b32 v105, v105, 16, v122
	v_lshl_or_b32 v93, v114, 16, v93
	v_lshrrev_b32_e32 v100, 16, v100
	v_lshl_or_b32 v107, v115, 16, v107
	v_lshl_or_b32 v97, v97, 16, v99
	v_bitop3_b16 v103, v104, v103, 0x1f00 bitop3:0xec
	v_add_nc_u16 v104, 0xf000, v110
	v_add_nc_u16 v101, 0xf000, v101
	ds_store_2addr_b32 v51, v93, v105 offset1:1
	ds_store_2addr_b32 v55, v107, v98 offset1:1
	;; [unrolled: 1-line block ×4, first 2 shown]
	v_lshlrev_b32_e32 v92, 4, v102
	v_and_b32_e32 v111, 0x1f00, v100
	v_lshlrev_b16 v100, 8, v100
	v_perm_b32 v99, v101, v104, 0xc0c0105
	v_add_nc_u16 v103, 0xf000, v103
	v_lshlrev_b32_e32 v93, 18, v102
	v_add_nc_u16 v110, 0xf000, v111
	v_add_nc_u16 v100, 0xf000, v100
	v_lshl_or_b32 v91, v99, 16, v96
	v_lshlrev_b32_e32 v96, 25, v102
	v_and_b32_e32 v101, 0xffff, v103
	v_dual_lshlrev_b32 v97, 11, v102 :: v_dual_bitop2_b32 v92, 16, v92 bitop3:0x40
	v_perm_b32 v100, v100, v110, 0xc0c0105
	v_and_b32_e32 v98, 0xf0f0f0f, v146
	v_and_b32_e32 v93, 0x100000, v93
	;; [unrolled: 1-line block ×4, first 2 shown]
	v_lshl_or_b32 v95, v100, 16, v101
	v_dual_lshrrev_b32 v100, 12, v102 :: v_dual_lshrrev_b32 v101, 5, v102
	v_lshrrev_b32_e32 v99, 4, v146
	v_or3_b32 v93, v98, v93, v96
	v_or3_b32 v92, v92, v98, v97
	s_delay_alu instid0(VALU_DEP_4)
	v_and_b32_e32 v96, 16, v100
	v_and_b32_e32 v97, 0x1000, v101
	;; [unrolled: 1-line block ×3, first 2 shown]
	v_dual_lshrrev_b32 v99, 16, v93 :: v_dual_lshlrev_b32 v93, 2, v102
	v_lshlrev_b32_e32 v100, 9, v102
	v_and_b32_e32 v101, 0x1f00, v92
	s_delay_alu instid0(VALU_DEP_4)
	v_or3_b32 v102, v96, v98, v97
	v_lshlrev_b16 v103, 8, v92
	v_and_b32_e32 v104, 0x100000, v93
	v_mad_nc_u64_u32 v[92:93], v70, 22, v[82:83]
	v_mad_nc_u64_u32 v[96:97], v74, 22, v[82:83]
	v_and_b32_e32 v100, 0x10000000, v100
	v_lshlrev_b16 v105, 8, v102
	v_mad_nc_u64_u32 v[82:83], v78, 22, v[82:83]
	v_add_nc_u16 v101, 0xf000, v101
	v_ashrrev_i32_e32 v94, v28, v94
	v_or3_b32 v98, v98, v104, v100
	v_add_nc_u16 v100, 0xf000, v103
	v_add_nc_u16 v103, 0xf000, v105
	v_and_b32_e32 v104, 0x1f00, v99
	global_load_u16 v92, v[92:93], off
	v_lshlrev_b16 v99, 8, v99
	s_wait_loadcnt 0x1
	v_ashrrev_i32_e32 v89, v28, v89
	s_wait_xcnt 0x0
	v_lshrrev_b16 v93, 8, v103
	s_clause 0x1
	global_load_u16 v103, v[96:97], off
	global_load_u16 v105, v[82:83], off
	s_wait_xcnt 0x1
	v_add_nc_u16 v96, 0xf000, v104
	v_add_nc_u16 v97, 0xf000, v99
	ds_store_2addr_b32 v61, v91, v95 offset1:1
	v_bitop3_b16 v93, v102, v93, 0x1f00 bitop3:0xec
	v_dual_ashrrev_i32 v87, v28, v87 :: v_dual_ashrrev_i32 v85, v28, v85
	v_perm_b32 v96, v97, v96, 0xc0c0105
	v_dual_ashrrev_i32 v97, v28, v109 :: v_dual_lshrrev_b32 v98, 16, v98
	s_delay_alu instid0(VALU_DEP_4) | instskip(SKIP_1) | instid1(VALU_DEP_3)
	v_add_nc_u16 v93, 0xf000, v93
	v_ashrrev_i32_e32 v81, v28, v81
	v_lshlrev_b32_e32 v91, 4, v97
	s_wait_xcnt 0x0
	v_and_b32_e32 v82, 0x1f00, v98
	v_lshlrev_b16 v83, 8, v98
	v_perm_b32 v98, v100, v101, 0xc0c0105
	v_dual_lshlrev_b32 v95, 11, v97 :: v_dual_bitop2_b32 v91, 16, v91 bitop3:0x40
	s_delay_alu instid0(VALU_DEP_4) | instskip(NEXT) | instid1(VALU_DEP_4)
	v_add_nc_u16 v82, 0xf000, v82
	v_add_nc_u16 v83, 0xf000, v83
	s_delay_alu instid0(VALU_DEP_4) | instskip(SKIP_2) | instid1(VALU_DEP_4)
	v_lshl_or_b32 v96, v96, 16, v98
	v_dual_lshlrev_b32 v98, 18, v97 :: v_dual_lshlrev_b32 v99, 25, v97
	v_and_b32_e32 v95, 0x1000, v95
	v_perm_b32 v82, v83, v82, 0xc0c0105
	v_and_b32_e32 v83, 0xffff, v93
	v_dual_lshrrev_b32 v100, 4, v106 :: v_dual_lshrrev_b32 v101, 12, v97
	v_lshrrev_b32_e32 v102, 5, v97
	v_and_b32_e32 v98, 0x100000, v98
	s_delay_alu instid0(VALU_DEP_4) | instskip(SKIP_4) | instid1(VALU_DEP_4)
	v_lshl_or_b32 v82, v82, 16, v83
	v_and_b32_e32 v83, 0xf0f0f0f, v106
	v_and_b32_e32 v99, 0x10000000, v99
	;; [unrolled: 1-line block ×3, first 2 shown]
	v_cvt_f32_f16_e32 v93, v108
	v_or3_b32 v91, v91, v83, v95
	v_lshlrev_b32_e32 v95, 2, v97
	v_and_b32_e32 v102, 0x1000, v102
	v_lshlrev_b32_e32 v97, 9, v97
	v_or3_b32 v83, v83, v98, v99
	v_and_b32_e32 v101, 16, v101
	v_and_b32_e32 v95, 0x100000, v95
	;; [unrolled: 1-line block ×4, first 2 shown]
	v_lshrrev_b32_e32 v83, 16, v83
	v_or3_b32 v98, v101, v100, v102
	v_lshlrev_b16 v91, 8, v91
	v_add_nc_u16 v99, 0xf000, v99
	v_or3_b32 v95, v100, v95, v97
	v_and_b32_e32 v97, 0x1f00, v83
	v_lshlrev_b16 v101, 8, v98
	v_lshlrev_b16 v83, 8, v83
	v_add_nc_u16 v91, 0xf000, v91
	v_lshrrev_b32_e32 v95, 16, v95
	v_add_nc_u16 v97, 0xf000, v97
	v_add_nc_u16 v100, 0xf000, v101
	;; [unrolled: 1-line block ×3, first 2 shown]
	v_perm_b32 v91, v91, v99, 0xc0c0105
	v_and_b32_e32 v99, 0x1f00, v95
	v_lshlrev_b16 v95, 8, v95
	v_lshrrev_b16 v100, 8, v100
	v_perm_b32 v83, v83, v97, 0xc0c0105
	s_delay_alu instid0(VALU_DEP_4) | instskip(NEXT) | instid1(VALU_DEP_4)
	v_add_nc_u16 v97, 0xf000, v99
	v_add_nc_u16 v95, 0xf000, v95
	s_delay_alu instid0(VALU_DEP_4) | instskip(NEXT) | instid1(VALU_DEP_4)
	v_bitop3_b16 v98, v98, v100, 0x1f00 bitop3:0xec
	v_lshl_or_b32 v83, v83, 16, v91
	v_lshlrev_b32_e32 v91, 4, v94
	s_delay_alu instid0(VALU_DEP_4) | instskip(NEXT) | instid1(VALU_DEP_4)
	v_perm_b32 v95, v95, v97, 0xc0c0105
	v_add_nc_u16 v98, 0xf000, v98
	s_delay_alu instid0(VALU_DEP_3) | instskip(SKIP_1) | instid1(VALU_DEP_3)
	v_dual_lshlrev_b32 v99, 11, v94 :: v_dual_bitop2_b32 v91, 16, v91 bitop3:0x40
	v_dual_lshlrev_b32 v100, 18, v94 :: v_dual_lshlrev_b32 v101, 25, v94
	v_and_b32_e32 v97, 0xffff, v98
	v_and_b32_e32 v98, 0xf0f0f0f, v90
	s_delay_alu instid0(VALU_DEP_4) | instskip(NEXT) | instid1(VALU_DEP_4)
	v_and_b32_e32 v99, 0x1000, v99
	v_and_b32_e32 v100, 0x100000, v100
	;; [unrolled: 1-line block ×3, first 2 shown]
	v_lshrrev_b32_e32 v90, 4, v90
	v_dual_lshrrev_b32 v102, 12, v94 :: v_dual_lshrrev_b32 v104, 5, v94
	v_or3_b32 v91, v91, v98, v99
	s_delay_alu instid0(VALU_DEP_4)
	v_or3_b32 v98, v98, v100, v101
	v_lshl_or_b32 v95, v95, 16, v97
	v_and_b32_e32 v90, 0xf0f0f0f, v90
	v_and_b32_e32 v102, 16, v102
	v_and_b32_e32 v104, 0x1000, v104
	v_lshrrev_b32_e32 v98, 16, v98
	v_dual_lshlrev_b32 v99, 2, v94 :: v_dual_lshlrev_b32 v94, 9, v94
	v_and_b32_e32 v101, 0x1f00, v91
	v_lshlrev_b16 v91, 8, v91
	s_delay_alu instid0(VALU_DEP_4)
	v_and_b32_e32 v97, 0x1f00, v98
	v_lshlrev_b16 v98, 8, v98
	v_and_b32_e32 v99, 0x100000, v99
	v_and_b32_e32 v94, 0x10000000, v94
	v_add_nc_u16 v101, 0xf000, v101
	v_add_nc_u16 v97, 0xf000, v97
	;; [unrolled: 1-line block ×4, first 2 shown]
	ds_store_2addr_b32 v63, v96, v82 offset1:1
	ds_store_2addr_b32 v65, v83, v95 offset1:1
	v_dual_lshrrev_b32 v95, 12, v89 :: v_dual_lshrrev_b32 v96, 5, v89
	v_perm_b32 v97, v98, v97, 0xc0c0105
	v_lshlrev_b32_e32 v98, 4, v89
	v_or3_b32 v100, v102, v90, v104
	v_or3_b32 v90, v90, v99, v94
	v_perm_b32 v91, v91, v101, 0xc0c0105
	v_and_b32_e32 v95, 16, v95
	v_and_b32_e32 v98, 16, v98
	v_lshlrev_b16 v102, 8, v100
	v_lshrrev_b32_e32 v90, 16, v90
	v_lshl_or_b32 v82, v97, 16, v91
	v_lshlrev_b32_e32 v91, 18, v89
	v_and_b32_e32 v96, 0x1000, v96
	v_add_nc_u16 v94, 0xf000, v102
	v_and_b32_e32 v99, 0x1f00, v90
	v_lshlrev_b16 v90, 8, v90
	v_and_b32_e32 v91, 0x100000, v91
	v_lshlrev_b32_e32 v97, 2, v89
	v_lshrrev_b16 v94, 8, v94
	v_add_nc_u16 v99, 0xf000, v99
	v_add_nc_u16 v90, 0xf000, v90
	s_delay_alu instid0(VALU_DEP_3) | instskip(SKIP_1) | instid1(VALU_DEP_3)
	v_bitop3_b16 v94, v100, v94, 0x1f00 bitop3:0xec
	v_lshlrev_b32_e32 v100, 11, v89
	v_perm_b32 v90, v90, v99, 0xc0c0105
	v_and_b32_e32 v99, 0xf0f0f0f, v88
	v_lshrrev_b32_e32 v88, 4, v88
	v_add_nc_u16 v94, 0xf000, v94
	v_and_b32_e32 v100, 0x1000, v100
	s_delay_alu instid0(VALU_DEP_3) | instskip(NEXT) | instid1(VALU_DEP_3)
	v_and_b32_e32 v88, 0xf0f0f0f, v88
	v_and_b32_e32 v94, 0xffff, v94
	s_delay_alu instid0(VALU_DEP_2) | instskip(NEXT) | instid1(VALU_DEP_2)
	v_or3_b32 v95, v95, v88, v96
	v_lshl_or_b32 v83, v90, 16, v94
	v_lshlrev_b32_e32 v94, 25, v89
	v_or3_b32 v90, v98, v99, v100
	v_lshlrev_b32_e32 v89, 9, v89
	v_and_b32_e32 v96, 0x100000, v97
	v_lshlrev_b16 v97, 8, v95
	v_and_b32_e32 v94, 0x10000000, v94
	ds_store_2addr_b32 v67, v82, v83 offset1:1
	v_and_b32_e32 v89, 0x10000000, v89
	v_or3_b32 v91, v99, v91, v94
	v_and_b32_e32 v94, 0x1f00, v90
	v_lshlrev_b16 v90, 8, v90
	s_delay_alu instid0(VALU_DEP_4)
	v_or3_b32 v88, v88, v96, v89
	v_add_nc_u16 v96, 0xf000, v97
	v_lshrrev_b32_e32 v91, 16, v91
	v_add_nc_u16 v94, 0xf000, v94
	v_add_nc_u16 v89, 0xf000, v90
	v_lshrrev_b32_e32 v88, 16, v88
	v_and_b32_e32 v97, 0xf0f0f0f, v86
	v_and_b32_e32 v90, 0x1f00, v91
	v_lshlrev_b16 v91, 8, v91
	v_perm_b32 v89, v89, v94, 0xc0c0105
	v_lshrrev_b16 v94, 8, v96
	v_and_b32_e32 v96, 0x1f00, v88
	v_add_nc_u16 v90, 0xf000, v90
	v_add_nc_u16 v91, 0xf000, v91
	v_lshlrev_b16 v88, 8, v88
	v_bitop3_b16 v94, v95, v94, 0x1f00 bitop3:0xec
	v_dual_lshrrev_b32 v86, 4, v86 :: v_dual_lshlrev_b32 v98, 18, v87
	v_lshlrev_b32_e32 v99, 25, v87
	v_perm_b32 v90, v91, v90, 0xc0c0105
	v_add_nc_u16 v91, 0xf000, v96
	v_add_nc_u16 v88, 0xf000, v88
	v_add_nc_u16 v94, 0xf000, v94
	v_dual_lshlrev_b32 v95, 4, v87 :: v_dual_lshlrev_b32 v96, 11, v87
	v_lshl_or_b32 v82, v90, 16, v89
	s_delay_alu instid0(VALU_DEP_4) | instskip(NEXT) | instid1(VALU_DEP_4)
	v_perm_b32 v88, v88, v91, 0xc0c0105
	v_and_b32_e32 v91, 0xffff, v94
	v_and_b32_e32 v94, 0x100000, v98
	;; [unrolled: 1-line block ×5, first 2 shown]
	v_lshl_or_b32 v83, v88, 16, v91
	v_lshlrev_b32_e32 v91, 2, v87
	v_or3_b32 v88, v97, v94, v98
	v_and_b32_e32 v95, 16, v95
	v_dual_lshlrev_b32 v94, 9, v87 :: v_dual_lshlrev_b32 v98, 11, v85
	s_delay_alu instid0(VALU_DEP_4) | instskip(NEXT) | instid1(VALU_DEP_4)
	v_and_b32_e32 v91, 0x100000, v91
	v_lshrrev_b32_e32 v88, 16, v88
	s_delay_alu instid0(VALU_DEP_4) | instskip(NEXT) | instid1(VALU_DEP_4)
	v_or3_b32 v95, v95, v97, v96
	v_and_b32_e32 v94, 0x10000000, v94
	v_and_b32_e32 v96, 0xf0f0f0f, v84
	v_dual_lshlrev_b32 v97, 4, v85 :: v_dual_lshrrev_b32 v84, 4, v84
	s_delay_alu instid0(VALU_DEP_4) | instskip(SKIP_3) | instid1(VALU_DEP_4)
	v_and_b32_e32 v89, 0x1f00, v95
	v_lshlrev_b16 v90, 8, v95
	v_dual_lshrrev_b32 v95, 12, v87 :: v_dual_lshrrev_b32 v87, 5, v87
	v_or3_b32 v91, v86, v91, v94
	v_add_nc_u16 v89, 0xf000, v89
	s_delay_alu instid0(VALU_DEP_4) | instskip(NEXT) | instid1(VALU_DEP_4)
	v_add_nc_u16 v90, 0xf000, v90
	v_and_b32_e32 v95, 16, v95
	v_and_b32_e32 v87, 0x1000, v87
	v_lshrrev_b32_e32 v91, 16, v91
	v_and_b32_e32 v84, 0xf0f0f0f, v84
	v_perm_b32 v89, v90, v89, 0xc0c0105
	s_delay_alu instid0(VALU_DEP_4)
	v_or3_b32 v86, v95, v86, v87
	v_and_b32_e32 v87, 0x1f00, v88
	v_lshlrev_b16 v88, 8, v88
	v_and_b32_e32 v94, 0x1f00, v91
	v_lshlrev_b32_e32 v95, 25, v85
	v_lshlrev_b16 v90, 8, v86
	v_add_nc_u16 v87, 0xf000, v87
	v_add_nc_u16 v88, 0xf000, v88
	s_delay_alu instid0(VALU_DEP_4) | instskip(NEXT) | instid1(VALU_DEP_4)
	v_and_b32_e32 v95, 0x10000000, v95
	v_add_nc_u16 v90, 0xf000, v90
	s_delay_alu instid0(VALU_DEP_3)
	v_perm_b32 v87, v88, v87, 0xc0c0105
	v_add_nc_u16 v88, 0xf000, v94
	v_lshlrev_b32_e32 v94, 18, v85
	v_lshlrev_b16 v91, 8, v91
	v_lshrrev_b16 v90, 8, v90
	v_lshl_or_b32 v87, v87, 16, v89
	s_delay_alu instid0(VALU_DEP_4) | instskip(NEXT) | instid1(VALU_DEP_4)
	v_and_b32_e32 v94, 0x100000, v94
	v_add_nc_u16 v91, 0xf000, v91
	s_delay_alu instid0(VALU_DEP_4) | instskip(NEXT) | instid1(VALU_DEP_3)
	v_bitop3_b16 v86, v86, v90, 0x1f00 bitop3:0xec
	v_or3_b32 v89, v96, v94, v95
	s_delay_alu instid0(VALU_DEP_3) | instskip(SKIP_1) | instid1(VALU_DEP_4)
	v_perm_b32 v88, v91, v88, 0xc0c0105
	v_dual_lshlrev_b32 v91, 2, v85 :: v_dual_lshlrev_b32 v94, 9, v85
	v_add_nc_u16 v86, 0xf000, v86
	s_delay_alu instid0(VALU_DEP_2) | instskip(NEXT) | instid1(VALU_DEP_3)
	v_and_b32_e32 v91, 0x100000, v91
	v_and_b32_e32 v94, 0x10000000, v94
	s_delay_alu instid0(VALU_DEP_3) | instskip(NEXT) | instid1(VALU_DEP_2)
	v_and_b32_e32 v86, 0xffff, v86
	v_or3_b32 v91, v84, v91, v94
	v_and_b32_e32 v90, 16, v97
	v_and_b32_e32 v97, 0x1000, v98
	s_delay_alu instid0(VALU_DEP_4) | instskip(NEXT) | instid1(VALU_DEP_4)
	v_lshl_or_b32 v86, v88, 16, v86
	v_lshrrev_b32_e32 v91, 16, v91
	s_delay_alu instid0(VALU_DEP_3) | instskip(SKIP_2) | instid1(VALU_DEP_3)
	v_or3_b32 v90, v90, v96, v97
	v_dual_lshrrev_b32 v96, 12, v85 :: v_dual_lshrrev_b32 v85, 5, v85
	v_lshrrev_b32_e32 v89, 16, v89
	v_and_b32_e32 v95, 0x1f00, v90
	v_lshlrev_b16 v90, 8, v90
	s_delay_alu instid0(VALU_DEP_4)
	v_and_b32_e32 v96, 16, v96
	v_and_b32_e32 v85, 0x1000, v85
	;; [unrolled: 1-line block ×3, first 2 shown]
	v_add_nc_u16 v95, 0xf000, v95
	v_add_nc_u16 v90, 0xf000, v90
	v_lshlrev_b16 v89, 8, v89
	v_or3_b32 v84, v96, v84, v85
	s_delay_alu instid0(VALU_DEP_3) | instskip(SKIP_1) | instid1(VALU_DEP_3)
	v_perm_b32 v85, v90, v95, 0xc0c0105
	v_add_nc_u16 v90, 0xf000, v94
	v_lshlrev_b16 v95, 8, v84
	v_add_nc_u16 v89, 0xf000, v89
	v_and_b32_e32 v94, 0x1f00, v91
	v_lshlrev_b16 v91, 8, v91
	s_delay_alu instid0(VALU_DEP_4) | instskip(NEXT) | instid1(VALU_DEP_4)
	v_add_nc_u16 v95, 0xf000, v95
	v_perm_b32 v89, v89, v90, 0xc0c0105
	v_lshlrev_b32_e32 v90, 4, v81
	v_add_nc_u16 v94, 0xf000, v94
	v_add_nc_u16 v91, 0xf000, v91
	v_lshrrev_b16 v95, 8, v95
	v_lshl_or_b32 v85, v89, 16, v85
	v_dual_lshlrev_b32 v96, 11, v81 :: v_dual_bitop2_b32 v90, 16, v90 bitop3:0x40
	s_delay_alu instid0(VALU_DEP_4)
	v_perm_b32 v91, v91, v94, 0xc0c0105
	v_and_b32_e32 v94, 0xf0f0f0f, v80
	v_bitop3_b16 v84, v84, v95, 0x1f00 bitop3:0xec
	v_dual_lshrrev_b32 v80, 4, v80 :: v_dual_lshrrev_b32 v95, 12, v81
	v_and_b32_e32 v96, 0x1000, v96
	v_dual_lshrrev_b32 v97, 5, v81 :: v_dual_lshlrev_b32 v98, 25, v81
	s_delay_alu instid0(VALU_DEP_3) | instskip(NEXT) | instid1(VALU_DEP_4)
	v_and_b32_e32 v80, 0xf0f0f0f, v80
	v_and_b32_e32 v95, 16, v95
	s_delay_alu instid0(VALU_DEP_4) | instskip(SKIP_4) | instid1(VALU_DEP_4)
	v_or3_b32 v90, v90, v94, v96
	v_lshlrev_b32_e32 v96, 18, v81
	v_and_b32_e32 v97, 0x1000, v97
	v_dual_lshlrev_b32 v99, 2, v81 :: v_dual_lshlrev_b32 v81, 9, v81
	v_add_nc_u16 v84, 0xf000, v84
	v_and_b32_e32 v96, 0x100000, v96
	s_delay_alu instid0(VALU_DEP_4)
	v_or3_b32 v95, v95, v80, v97
	v_and_b32_e32 v97, 0x10000000, v98
	v_and_b32_e32 v98, 0x100000, v99
	;; [unrolled: 1-line block ×4, first 2 shown]
	v_lshlrev_b16 v99, 8, v95
	v_or3_b32 v94, v94, v96, v97
	v_and_b32_e32 v96, 0x1f00, v90
	v_or3_b32 v80, v80, v98, v81
	v_lshlrev_b16 v81, 8, v90
	v_add_nc_u16 v90, 0xf000, v99
	v_lshrrev_b32_e32 v94, 16, v94
	v_add_nc_u16 v96, 0xf000, v96
	v_lshrrev_b32_e32 v80, 16, v80
	v_add_nc_u16 v81, 0xf000, v81
	v_lshrrev_b16 v90, 8, v90
	v_and_b32_e32 v97, 0x1f00, v94
	v_lshlrev_b16 v94, 8, v94
	v_and_b32_e32 v98, 0x1f00, v80
	v_lshlrev_b16 v80, 8, v80
	v_bitop3_b16 v90, v95, v90, 0x1f00 bitop3:0xec
	v_add_nc_u16 v95, 0xf000, v97
	v_add_nc_u16 v94, 0xf000, v94
	;; [unrolled: 1-line block ×5, first 2 shown]
	v_perm_b32 v81, v81, v96, 0xc0c0105
	v_perm_b32 v94, v94, v95, 0xc0c0105
	v_lshl_or_b32 v84, v91, 16, v84
	v_perm_b32 v80, v80, v97, 0xc0c0105
	v_and_b32_e32 v90, 0xffff, v90
	ds_store_2addr_b32 v69, v82, v83 offset1:1
	ds_store_2addr_b32 v71, v87, v86 offset1:1
	ds_store_2addr_b32 v73, v85, v84 offset1:1
	v_lshl_or_b32 v81, v94, 16, v81
	s_wait_loadcnt 0x2
	v_cvt_f32_f16_e32 v82, v92
	v_lshl_or_b32 v80, v80, 16, v90
	ds_store_2addr_b32 v177, v81, v80 offset1:1
	s_wait_loadcnt 0x1
	v_cvt_f32_f16_e32 v80, v103
	s_wait_loadcnt 0x0
	v_cvt_f32_f16_e32 v81, v105
	ds_store_b32 v156, v93
	ds_store_b32 v158, v82
	;; [unrolled: 1-line block ×4, first 2 shown]
	s_cbranch_scc0 .LBB121_5
; %bb.7:                                ;   in Loop: Header=BB121_6 Depth=1
	v_dual_mov_b32 v101, v172 :: v_dual_add_nc_u32 v82, s10, v41
	v_dual_mov_b32 v134, v178 :: v_dual_add_nc_u32 v97, s10, v77
	s_mov_b32 s12, -4
	s_delay_alu instid0(VALU_DEP_2) | instskip(SKIP_2) | instid1(VALU_DEP_3)
	v_dual_mov_b32 v135, v179 :: v_dual_add_nc_u32 v80, v82, v79
	v_dual_mov_b32 v136, v163 :: v_dual_mov_b32 v137, v161
	v_mov_b32_e32 v138, v159
	v_mad_nc_i64_i32 v[80:81], v80, 36, v[52:53]
	v_mov_b32_e32 v139, v157
	global_load_b32 v80, v[80:81], off offset:4
	s_wait_loadcnt 0x0
	ds_store_b32 v171, v80
	v_add_nc_u32_e32 v80, v82, v148
	s_delay_alu instid0(VALU_DEP_1) | instskip(SKIP_4) | instid1(VALU_DEP_1)
	v_mad_nc_i64_i32 v[80:81], v80, 36, v[52:53]
	global_load_b32 v80, v[80:81], off offset:4
	s_wait_loadcnt 0x0
	ds_store_b32 v164, v80
	v_add_nc_u32_e32 v80, v82, v149
	v_mad_nc_i64_i32 v[80:81], v80, 36, v[52:53]
	global_load_b32 v80, v[80:81], off offset:4
	s_wait_loadcnt 0x0
	ds_store_b32 v165, v80
	v_add_nc_u32_e32 v80, v82, v150
	s_delay_alu instid0(VALU_DEP_1) | instskip(SKIP_4) | instid1(VALU_DEP_1)
	v_mad_nc_i64_i32 v[80:81], v80, 36, v[52:53]
	global_load_b32 v80, v[80:81], off offset:4
	s_wait_loadcnt 0x0
	ds_store_b32 v166, v80
	v_add_nc_u32_e32 v80, v82, v151
	v_mad_nc_i64_i32 v[80:81], v80, 36, v[52:53]
	;; [unrolled: 11-line block ×3, first 2 shown]
	global_load_b32 v80, v[80:81], off offset:4
	s_wait_loadcnt 0x0
	ds_store_b32 v169, v80
	v_add_nc_u32_e32 v80, v82, v154
	s_delay_alu instid0(VALU_DEP_1)
	v_mad_nc_i64_i32 v[80:81], v80, 36, v[52:53]
	global_load_b32 v80, v[80:81], off offset:4
	s_wait_loadcnt 0x0
	ds_store_b32 v170, v80
	v_mad_nc_u64_u32 v[80:81], v97, 36, s[2:3]
	global_load_b32 v80, v[80:81], off
	s_wait_loadcnt 0x0
	v_cvt_f32_f16_e32 v80, v80
	ds_store_b32 v75, v80
	s_wait_dscnt 0x0
	s_barrier_signal -1
	s_barrier_wait -1
.LBB121_8:                              ;   Parent Loop BB121_6 Depth=1
                                        ; =>  This Inner Loop Header: Depth=2
	ds_load_2addr_b32 v[88:89], v101 offset0:3 offset1:4
	ds_load_2addr_b32 v[98:99], v101 offset0:1 offset1:2
	;; [unrolled: 1-line block ×3, first 2 shown]
	ds_load_2addr_b32 v[90:91], v101 offset1:7
	ds_load_2addr_b32 v[80:81], v135 offset1:32
	v_add_nc_u32_e32 v84, 0x2080, v134
	ds_load_b32 v82, v136
	ds_load_2addr_b32 v[86:87], v134 offset1:1
	ds_load_2addr_b32 v[110:111], v134 offset0:2 offset1:3
	ds_load_2addr_b32 v[112:113], v134 offset0:4 offset1:5
	;; [unrolled: 1-line block ×3, first 2 shown]
	s_add_co_i32 s12, s12, 4
	ds_load_b32 v83, v137
	ds_load_2addr_b32 v[84:85], v84 offset1:1
	s_cmp_lt_u32 s12, 12
	v_dual_add_nc_u32 v137, 4, v137 :: v_dual_add_nc_u32 v136, 4, v136
	s_wait_dscnt 0xb
	v_dual_lshlrev_b32 v96, 16, v89 :: v_dual_lshlrev_b32 v100, 8, v89
	s_wait_dscnt 0xa
	v_dual_lshlrev_b32 v104, 16, v98 :: v_dual_lshlrev_b32 v105, 8, v98
	s_wait_dscnt 0x8
	v_bfe_i32 v132, v90, 0, 8
	v_bfe_i32 v133, v90, 8, 8
	v_perm_b32 v206, v96, v89, 0x7000c0c
	v_dual_lshlrev_b32 v106, 16, v102 :: v_dual_lshlrev_b32 v107, 8, v102
	s_wait_dscnt 0x0
	v_bfe_i32 v92, v84, 0, 8
	v_bfe_i32 v93, v84, 8, 8
	v_perm_b32 v96, v84, v84, 0xc0c0302
	v_ashrrev_i32_e32 v205, 24, v85
	v_perm_b32 v122, v85, v90, 0x5040302
	v_mul_i32_i24_e32 v92, v92, v132
	v_perm_b32 v89, v89, v100, 0xc0c0703
	v_or_b32_e32 v96, v206, v96
	v_perm_b32 v100, v104, v98, 0x7000c0c
	v_perm_b32 v98, v98, v105, 0xc0c0703
	v_mad_i32_i24 v121, v93, v133, v92
	v_add_nc_u32_e32 v92, 0x2088, v134
	v_dual_lshlrev_b32 v108, 16, v99 :: v_dual_lshlrev_b32 v109, 8, v99
	v_or_b32_e32 v207, v100, v89
	s_delay_alu instid0(VALU_DEP_4)
	v_dot4_i32_iu8 v96, v96, v122, v121 neg_lo:[1,1,0]
	ds_load_2addr_b32 v[118:119], v92 offset1:1
	v_add_nc_u32_e32 v92, 0x2090, v134
	v_perm_b32 v100, v106, v102, 0x7000c0c
	v_perm_b32 v209, v102, v107, 0xc0c0703
	;; [unrolled: 1-line block ×3, first 2 shown]
	v_dual_lshlrev_b32 v116, 16, v103 :: v_dual_lshlrev_b32 v117, 8, v103
	ds_load_2addr_b32 v[114:115], v92 offset1:1
	v_or_b32_e32 v208, v100, v98
	v_add_nc_u32_e32 v92, 0x2098, v134
	v_perm_b32 v211, v99, v109, 0xc0c0703
	v_perm_b32 v212, v116, v103, 0xc0c0700
	v_dual_lshlrev_b32 v120, 16, v88 :: v_dual_lshlrev_b32 v142, 8, v88
	ds_load_2addr_b32 v[92:93], v92 offset1:1
	v_perm_b32 v213, v103, v117, 0xc0c0703
	v_add_nc_u32_e32 v100, 0x4108, v134
	v_perm_b32 v214, v120, v88, 0xc0c0700
	v_add_nc_u32_e32 v98, 0x4100, v134
	v_add_nc_u32_e32 v106, 0x6188, v134
	s_wait_dscnt 0x2
	v_perm_b32 v121, v118, v85, 0x5040302
	v_add_nc_u32_e32 v102, 0x6180, v134
	v_perm_b32 v196, v87, v87, 0x2010003
	v_perm_b32 v197, v110, v110, 0x2010003
	;; [unrolled: 1-line block ×3, first 2 shown]
	v_dot4_i32_iu8 v89, v207, v121, v96 neg_lo:[1,1,0]
	v_perm_b32 v96, v119, v118, 0x5040302
	v_perm_b32 v199, v112, v112, 0x2010003
	;; [unrolled: 1-line block ×4, first 2 shown]
	v_dual_lshlrev_b32 v140, 16, v91 :: v_dual_lshlrev_b32 v141, 8, v91
	v_dot4_i32_iu8 v89, v208, v96, v89 neg_lo:[1,1,0]
	v_perm_b32 v96, v119, v119, 0xc0c0302
	v_perm_b32 v142, v88, v142, 0xc0c0703
	s_wait_dscnt 0x0
	v_perm_b32 v88, v92, v92, 0xc0c0302
	s_delay_alu instid0(VALU_DEP_3) | instskip(SKIP_1) | instid1(VALU_DEP_1)
	v_dot4_i32_iu8 v89, v209, v96, v89 neg_lo:[1,1,0]
	v_perm_b32 v96, v114, v114, 0xc0c0100
	v_dot4_i32_iu8 v89, v210, v96, v89 neg_lo:[1,1,0]
	v_perm_b32 v96, v114, v114, 0xc0c0302
	s_delay_alu instid0(VALU_DEP_1) | instskip(SKIP_1) | instid1(VALU_DEP_1)
	v_dot4_i32_iu8 v89, v211, v96, v89 neg_lo:[1,1,0]
	v_perm_b32 v96, v115, v115, 0xc0c0100
	v_dot4_i32_iu8 v89, v212, v96, v89 neg_lo:[1,1,0]
	v_perm_b32 v96, v115, v115, 0xc0c0302
	s_delay_alu instid0(VALU_DEP_1) | instskip(SKIP_1) | instid1(VALU_DEP_1)
	v_dot4_i32_iu8 v89, v213, v96, v89 neg_lo:[1,1,0]
	v_perm_b32 v96, v92, v92, 0xc0c0100
	v_dot4_i32_iu8 v89, v214, v96, v89 neg_lo:[1,1,0]
	ds_load_b32 v96, v138
	ds_load_2addr_b32 v[98:99], v98 offset1:1
	ds_load_2addr_b32 v[116:117], v100 offset1:1
	v_add_nc_u32_e32 v100, 0x4110, v134
	v_add_nc_u32_e32 v138, 4, v138
	v_dot4_i32_iu8 v88, v142, v88, v89 neg_lo:[1,1,0]
	v_perm_b32 v89, v91, v141, 0x7030c04
	v_perm_b32 v91, v140, v140, 0xc0c030c
	ds_load_2addr_b32 v[120:121], v100 offset1:1
	v_add_nc_u32_e32 v100, 0x4118, v134
	v_dual_mov_b32 v89, v80 :: v_dual_bitop2_b32 v91, v89, v91 bitop3:0x54
	ds_load_2addr_b32 v[104:105], v100 offset1:1
	ds_load_b32 v100, v139
	ds_load_2addr_b32 v[102:103], v102 offset1:1
	ds_load_2addr_b32 v[122:123], v106 offset1:1
	v_add_nc_u32_e32 v106, 0x6190, v134
	v_add_nc_u32_e32 v139, 4, v139
	s_wait_dscnt 0x6
	v_perm_b32 v189, v99, v90, 0x5040302
	ds_load_2addr_b32 v[124:125], v106 offset1:1
	v_add_nc_u32_e32 v106, 0x6198, v134
	v_add_nc_u32_e32 v134, 32, v134
	ds_load_2addr_b32 v[108:109], v106 offset1:1
	v_add_nc_u32_e32 v106, 0x40c, v101
	ds_load_2addr_b32 v[126:127], v106 offset1:1
	v_add_nc_u32_e32 v106, 0x404, v101
	s_wait_dscnt 0x3
	v_perm_b32 v190, v123, v123, 0x6010007
	ds_load_2addr_b32 v[128:129], v106 offset1:1
	v_add_nc_u32_e32 v106, 0x414, v101
	s_wait_dscnt 0x3
	v_perm_b32 v191, v124, v124, 0x2010003
	v_perm_b32 v192, v125, v125, 0x2010003
	ds_load_2addr_b32 v[130:131], v106 offset1:1
	v_add_nc_u32_e32 v106, 0x400, v101
	s_wait_dscnt 0x3
	v_perm_b32 v193, v108, v108, 0x2010003
	ds_load_2addr_b32 v[106:107], v106 offset1:7
	s_wait_dscnt 0x3
	v_dual_lshlrev_b32 v144, 16, v127 :: v_dual_lshlrev_b32 v145, 8, v127
	v_perm_b32 v127, v127, v127, 0xc0c0003
	v_dual_lshlrev_b32 v187, 16, v126 :: v_dual_lshlrev_b32 v188, 8, v126
	v_perm_b32 v126, v126, v126, 0xc0c0003
	s_wait_dscnt 0x2
	v_dual_lshlrev_b32 v146, 16, v128 :: v_dual_lshlrev_b32 v147, 8, v128
	v_perm_b32 v144, v145, v144, 0x7030c0c
	v_perm_b32 v128, v128, v128, 0xc0c0003
	v_dual_lshlrev_b32 v183, 16, v129 :: v_dual_lshlrev_b32 v184, 8, v129
	s_wait_dscnt 0x1
	v_dual_lshlrev_b32 v181, 16, v130 :: v_dual_lshlrev_b32 v182, 8, v130
	v_or_b32_e32 v127, v144, v127
	v_perm_b32 v145, v147, v146, 0x7030c0c
	v_perm_b32 v130, v130, v130, 0xc0c0003
	v_dual_lshlrev_b32 v185, 16, v131 :: v_dual_lshlrev_b32 v186, 8, v131
	s_wait_dscnt 0x0
	s_delay_alu instid0(VALU_DEP_3)
	v_dual_lshlrev_b32 v143, 16, v107 :: v_dual_bitop2_b32 v128, v145, v128 bitop3:0x54
	v_dot4_i32_iu8 v144, v127, v196, 0 neg_lo:[1,1,0]
	v_perm_b32 v145, v182, v181, 0x7030c0c
	v_perm_b32 v129, v129, v129, 0xc0c0003
	;; [unrolled: 1-line block ×4, first 2 shown]
	v_dot4_i32_iu8 v144, v128, v197, v144 neg_lo:[1,1,0]
	v_or_b32_e32 v130, v145, v130
	v_perm_b32 v145, v184, v183, 0x7030c0c
	v_perm_b32 v182, v85, v85, 0x2010003
	v_or_b32_e32 v146, v206, v146
	v_perm_b32 v183, v118, v118, 0x2010003
	v_dot4_i32_iu8 v144, v130, v198, v144 neg_lo:[1,1,0]
	v_or_b32_e32 v129, v145, v129
	v_perm_b32 v145, v186, v185, 0x7030c0c
	v_perm_b32 v184, v119, v119, 0x6010007
	;; [unrolled: 1-line block ×4, first 2 shown]
	v_dot4_i32_iu8 v144, v129, v199, v144 neg_lo:[1,1,0]
	v_or_b32_e32 v131, v145, v131
	v_perm_b32 v145, v188, v187, 0x7030c0c
	v_perm_b32 v187, v92, v92, 0x2010003
	;; [unrolled: 1-line block ×4, first 2 shown]
	v_dot4_i32_iu8 v144, v131, v200, v144 neg_lo:[1,1,0]
	v_or_b32_e32 v126, v145, v126
	v_bfe_i32 v145, v86, 8, 8
	s_delay_alu instid0(VALU_DEP_2) | instskip(SKIP_1) | instid1(VALU_DEP_1)
	v_dot4_i32_iu8 v188, v126, v201, v144 neg_lo:[1,1,0]
	v_bfe_i32 v144, v86, 0, 8
	v_mul_i32_i24_e32 v144, v144, v132
	s_delay_alu instid0(VALU_DEP_1) | instskip(SKIP_4) | instid1(VALU_DEP_4)
	v_mad_i32_i24 v144, v145, v133, v144
	v_perm_b32 v145, v87, v90, 0x5040302
	v_perm_b32 v87, v110, v87, 0x5040302
	;; [unrolled: 1-line block ×4, first 2 shown]
	v_dot4_i32_iu8 v144, v146, v145, v144 neg_lo:[1,1,0]
	v_perm_b32 v145, v117, v117, 0x6010007
	v_perm_b32 v146, v120, v120, 0x2010003
	s_delay_alu instid0(VALU_DEP_3) | instskip(SKIP_1) | instid1(VALU_DEP_2)
	v_dot4_i32_iu8 v87, v207, v87, v144 neg_lo:[1,1,0]
	v_perm_b32 v144, v116, v116, 0x2010003
	v_dot4_i32_iu8 v87, v208, v110, v87 neg_lo:[1,1,0]
	v_perm_b32 v110, v111, v111, 0xc0c0302
	s_delay_alu instid0(VALU_DEP_1) | instskip(SKIP_1) | instid1(VALU_DEP_1)
	v_dot4_i32_iu8 v87, v209, v110, v87 neg_lo:[1,1,0]
	v_perm_b32 v110, v112, v112, 0xc0c0100
	v_dot4_i32_iu8 v87, v210, v110, v87 neg_lo:[1,1,0]
	v_perm_b32 v110, v112, v112, 0xc0c0302
	s_delay_alu instid0(VALU_DEP_1) | instskip(SKIP_1) | instid1(VALU_DEP_1)
	v_dot4_i32_iu8 v87, v211, v110, v87 neg_lo:[1,1,0]
	v_perm_b32 v110, v113, v113, 0xc0c0100
	v_dot4_i32_iu8 v87, v212, v110, v87 neg_lo:[1,1,0]
	v_perm_b32 v110, v113, v113, 0xc0c0302
	v_bfe_i32 v113, v98, 8, 8
	s_delay_alu instid0(VALU_DEP_2) | instskip(SKIP_2) | instid1(VALU_DEP_2)
	v_dot4_i32_iu8 v87, v213, v110, v87 neg_lo:[1,1,0]
	v_perm_b32 v110, v94, v94, 0xc0c0100
	v_perm_b32 v94, v94, v94, 0xc0c0302
	v_dot4_i32_iu8 v195, v214, v110, v87 neg_lo:[1,1,0]
	v_dot4_i32_iu8 v87, v127, v182, 0 neg_lo:[1,1,0]
	v_pk_mul_f32 v[110:111], v[82:83], v[80:81] op_sel_hi:[0,1]
	s_delay_alu instid0(VALU_DEP_3) | instskip(NEXT) | instid1(VALU_DEP_3)
	v_dot4_i32_iu8 v94, v142, v94, v195 neg_lo:[1,1,0]
	v_dot4_i32_iu8 v87, v128, v183, v87 neg_lo:[1,1,0]
	s_delay_alu instid0(VALU_DEP_2) | instskip(NEXT) | instid1(VALU_DEP_2)
	v_dot4_i32_iu8 v94, v91, v95, v94 neg_lo:[1,1,0]
	v_dot4_i32_iu8 v87, v130, v184, v87 neg_lo:[1,1,0]
	s_delay_alu instid0(VALU_DEP_2) | instskip(NEXT) | instid1(VALU_DEP_2)
	v_cvt_f32_i32_e32 v94, v94
	v_dot4_i32_iu8 v87, v129, v185, v87 neg_lo:[1,1,0]
	s_delay_alu instid0(VALU_DEP_1) | instskip(NEXT) | instid1(VALU_DEP_1)
	v_dot4_i32_iu8 v87, v131, v186, v87 neg_lo:[1,1,0]
	v_dot4_i32_iu8 v194, v126, v187, v87 neg_lo:[1,1,0]
	v_perm_b32 v87, v99, v99, 0x2010003
	v_perm_b32 v99, v116, v99, 0x5040302
	s_delay_alu instid0(VALU_DEP_2) | instskip(NEXT) | instid1(VALU_DEP_1)
	v_dot4_i32_iu8 v112, v127, v87, 0 neg_lo:[1,1,0]
	v_dot4_i32_iu8 v112, v128, v144, v112 neg_lo:[1,1,0]
	s_delay_alu instid0(VALU_DEP_1) | instskip(NEXT) | instid1(VALU_DEP_1)
	v_dot4_i32_iu8 v112, v130, v145, v112 neg_lo:[1,1,0]
	v_dot4_i32_iu8 v112, v129, v146, v112 neg_lo:[1,1,0]
	s_delay_alu instid0(VALU_DEP_1) | instskip(NEXT) | instid1(VALU_DEP_1)
	v_dot4_i32_iu8 v112, v131, v147, v112 neg_lo:[1,1,0]
	v_dot4_i32_iu8 v202, v126, v181, v112 neg_lo:[1,1,0]
	v_bfe_i32 v112, v98, 0, 8
	s_delay_alu instid0(VALU_DEP_1) | instskip(NEXT) | instid1(VALU_DEP_1)
	v_mul_i32_i24_e32 v112, v112, v132
	v_mad_i32_i24 v112, v113, v133, v112
	v_perm_b32 v113, v98, v98, 0xc0c0302
	s_delay_alu instid0(VALU_DEP_1) | instskip(NEXT) | instid1(VALU_DEP_1)
	v_or_b32_e32 v113, v206, v113
	v_dot4_i32_iu8 v112, v113, v189, v112 neg_lo:[1,1,0]
	v_perm_b32 v189, v122, v122, 0x2010003
	s_delay_alu instid0(VALU_DEP_2) | instskip(SKIP_1) | instid1(VALU_DEP_1)
	v_dot4_i32_iu8 v99, v207, v99, v112 neg_lo:[1,1,0]
	v_perm_b32 v112, v117, v116, 0x5040302
	v_dot4_i32_iu8 v99, v208, v112, v99 neg_lo:[1,1,0]
	v_perm_b32 v112, v117, v117, 0xc0c0302
	v_bfe_i32 v117, v102, 8, 8
	s_delay_alu instid0(VALU_DEP_2) | instskip(SKIP_1) | instid1(VALU_DEP_1)
	v_dot4_i32_iu8 v99, v209, v112, v99 neg_lo:[1,1,0]
	v_perm_b32 v112, v120, v120, 0xc0c0100
	v_dot4_i32_iu8 v99, v210, v112, v99 neg_lo:[1,1,0]
	v_perm_b32 v112, v120, v120, 0xc0c0302
	s_delay_alu instid0(VALU_DEP_1) | instskip(SKIP_1) | instid1(VALU_DEP_1)
	v_dot4_i32_iu8 v99, v211, v112, v99 neg_lo:[1,1,0]
	v_perm_b32 v112, v121, v121, 0xc0c0100
	v_dot4_i32_iu8 v99, v212, v112, v99 neg_lo:[1,1,0]
	v_perm_b32 v112, v121, v121, 0xc0c0302
	s_delay_alu instid0(VALU_DEP_1) | instskip(SKIP_1) | instid1(VALU_DEP_1)
	v_dot4_i32_iu8 v99, v213, v112, v99 neg_lo:[1,1,0]
	v_perm_b32 v112, v104, v104, 0xc0c0100
	v_dot4_i32_iu8 v203, v214, v112, v99 neg_lo:[1,1,0]
	v_perm_b32 v99, v103, v103, 0x2010003
	v_perm_b32 v103, v122, v103, 0x5040302
	v_pk_mul_f32 v[112:113], v[96:97], v[80:81] op_sel_hi:[0,1]
	s_delay_alu instid0(VALU_DEP_3) | instskip(NEXT) | instid1(VALU_DEP_1)
	v_dot4_i32_iu8 v116, v127, v99, 0 neg_lo:[1,1,0]
	v_dot4_i32_iu8 v116, v128, v189, v116 neg_lo:[1,1,0]
	s_delay_alu instid0(VALU_DEP_1) | instskip(NEXT) | instid1(VALU_DEP_1)
	v_dot4_i32_iu8 v116, v130, v190, v116 neg_lo:[1,1,0]
	v_dot4_i32_iu8 v116, v129, v191, v116 neg_lo:[1,1,0]
	s_delay_alu instid0(VALU_DEP_1) | instskip(NEXT) | instid1(VALU_DEP_1)
	v_dot4_i32_iu8 v116, v131, v192, v116 neg_lo:[1,1,0]
	v_dot4_i32_iu8 v204, v126, v193, v116 neg_lo:[1,1,0]
	v_bfe_i32 v116, v102, 0, 8
	s_delay_alu instid0(VALU_DEP_1) | instskip(NEXT) | instid1(VALU_DEP_1)
	v_mul_i32_i24_e32 v116, v116, v132
	v_mad_i32_i24 v116, v117, v133, v116
	v_perm_b32 v117, v102, v102, 0xc0c0302
	s_delay_alu instid0(VALU_DEP_1) | instskip(NEXT) | instid1(VALU_DEP_1)
	v_or_b32_e32 v117, v206, v117
	v_dot4_i32_iu8 v90, v117, v90, v116 neg_lo:[1,1,0]
	v_pk_mul_f32 v[116:117], v[100:101], v[80:81] op_sel_hi:[0,1]
	s_delay_alu instid0(VALU_DEP_2) | instskip(SKIP_1) | instid1(VALU_DEP_1)
	v_dot4_i32_iu8 v90, v207, v103, v90 neg_lo:[1,1,0]
	v_perm_b32 v103, v123, v122, 0x5040302
	v_dot4_i32_iu8 v90, v208, v103, v90 neg_lo:[1,1,0]
	v_perm_b32 v103, v123, v123, 0xc0c0302
	s_delay_alu instid0(VALU_DEP_1) | instskip(SKIP_1) | instid1(VALU_DEP_1)
	v_dot4_i32_iu8 v90, v209, v103, v90 neg_lo:[1,1,0]
	v_perm_b32 v103, v124, v124, 0xc0c0100
	v_dot4_i32_iu8 v90, v210, v103, v90 neg_lo:[1,1,0]
	v_perm_b32 v103, v124, v124, 0xc0c0302
	s_delay_alu instid0(VALU_DEP_1) | instskip(SKIP_1) | instid1(VALU_DEP_1)
	;; [unrolled: 5-line block ×3, first 2 shown]
	v_dot4_i32_iu8 v90, v213, v103, v90 neg_lo:[1,1,0]
	v_perm_b32 v103, v108, v108, 0xc0c0100
	v_dot4_i32_iu8 v90, v214, v103, v90 neg_lo:[1,1,0]
	v_add_nc_u32_e32 v103, 0x80c, v101
	ds_load_2addr_b32 v[124:125], v103 offset1:1
	v_add_nc_u32_e32 v103, 0x804, v101
	ds_load_2addr_b32 v[126:127], v103 offset1:1
	;; [unrolled: 2-line block ×4, first 2 shown]
	ds_load_2addr_b32 v[122:123], v135 offset0:64 offset1:96
	s_wait_dscnt 0x4
	v_dual_lshlrev_b32 v103, 16, v125 :: v_dual_lshlrev_b32 v130, 8, v125
	v_perm_b32 v125, v125, v125, 0xc0c0003
	v_dual_lshlrev_b32 v211, 16, v124 :: v_dual_lshlrev_b32 v212, 8, v124
	v_perm_b32 v124, v124, v124, 0xc0c0003
	s_wait_dscnt 0x3
	v_dual_lshlrev_b32 v131, 16, v126 :: v_dual_lshlrev_b32 v132, 8, v126
	v_perm_b32 v103, v130, v103, 0x7030c0c
	v_perm_b32 v126, v126, v126, 0xc0c0003
	v_dual_lshlrev_b32 v207, 16, v127 :: v_dual_lshlrev_b32 v208, 8, v127
	s_wait_dscnt 0x2
	v_dual_lshlrev_b32 v133, 16, v128 :: v_dual_lshlrev_b32 v206, 8, v128
	v_or_b32_e32 v125, v103, v125
	v_perm_b32 v130, v132, v131, 0x7030c0c
	v_perm_b32 v128, v128, v128, 0xc0c0003
	s_wait_dscnt 0x1
	v_lshlrev_b32_e32 v213, 16, v121
	v_dual_lshlrev_b32 v209, 16, v129 :: v_dual_lshlrev_b32 v210, 8, v129
	v_dot4_i32_iu8 v103, v125, v196, 0 neg_lo:[1,1,0]
	v_or_b32_e32 v126, v130, v126
	v_perm_b32 v130, v206, v133, 0x7030c0c
	v_perm_b32 v127, v127, v127, 0xc0c0003
	;; [unrolled: 1-line block ×3, first 2 shown]
	s_delay_alu instid0(VALU_DEP_4) | instskip(NEXT) | instid1(VALU_DEP_4)
	v_dot4_i32_iu8 v103, v126, v197, v103 neg_lo:[1,1,0]
	v_or_b32_e32 v128, v130, v128
	v_perm_b32 v130, v208, v207, 0x7030c0c
	s_delay_alu instid0(VALU_DEP_2) | instskip(NEXT) | instid1(VALU_DEP_2)
	v_dot4_i32_iu8 v103, v128, v198, v103 neg_lo:[1,1,0]
	v_or_b32_e32 v127, v130, v127
	v_perm_b32 v130, v210, v209, 0x7030c0c
	s_delay_alu instid0(VALU_DEP_2) | instskip(NEXT) | instid1(VALU_DEP_2)
	;; [unrolled: 4-line block ×3, first 2 shown]
	v_dot4_i32_iu8 v103, v129, v200, v103 neg_lo:[1,1,0]
	v_or_b32_e32 v124, v130, v124
	v_dot4_i32_iu8 v130, v125, v87, 0 neg_lo:[1,1,0]
	s_delay_alu instid0(VALU_DEP_2) | instskip(SKIP_2) | instid1(VALU_DEP_4)
	v_dot4_i32_iu8 v132, v124, v201, v103 neg_lo:[1,1,0]
	v_dot4_i32_iu8 v103, v125, v182, 0 neg_lo:[1,1,0]
	;; [unrolled: 1-line block ×4, first 2 shown]
	s_delay_alu instid0(VALU_DEP_3) | instskip(NEXT) | instid1(VALU_DEP_3)
	v_dot4_i32_iu8 v103, v126, v183, v103 neg_lo:[1,1,0]
	v_dot4_i32_iu8 v125, v126, v189, v125 neg_lo:[1,1,0]
	s_delay_alu instid0(VALU_DEP_3) | instskip(NEXT) | instid1(VALU_DEP_3)
	v_dot4_i32_iu8 v130, v128, v145, v130 neg_lo:[1,1,0]
	v_dot4_i32_iu8 v103, v128, v184, v103 neg_lo:[1,1,0]
	;; [unrolled: 3-line block ×7, first 2 shown]
	v_add_nc_u32_e32 v124, 0xc0c, v101
	ds_load_2addr_b32 v[126:127], v124 offset1:1
	v_add_nc_u32_e32 v124, 0xc04, v101
	ds_load_2addr_b32 v[128:129], v124 offset1:1
	;; [unrolled: 2-line block ×4, first 2 shown]
	s_wait_dscnt 0x3
	v_dual_lshlrev_b32 v206, 16, v127 :: v_dual_lshlrev_b32 v207, 8, v127
	v_perm_b32 v127, v127, v127, 0xc0c0003
	v_dual_lshlrev_b32 v218, 16, v126 :: v_dual_lshlrev_b32 v219, 8, v126
	v_perm_b32 v126, v126, v126, 0xc0c0003
	s_wait_dscnt 0x2
	v_dual_lshlrev_b32 v208, 16, v128 :: v_dual_lshlrev_b32 v209, 8, v128
	v_perm_b32 v206, v207, v206, 0x7030c0c
	v_perm_b32 v128, v128, v128, 0xc0c0003
	v_dual_lshlrev_b32 v214, 16, v129 :: v_dual_lshlrev_b32 v215, 8, v129
	s_wait_dscnt 0x1
	v_dual_lshlrev_b32 v216, 16, v131 :: v_dual_lshlrev_b32 v211, 16, v130
	v_dual_lshlrev_b32 v212, 8, v130 :: v_dual_bitop2_b32 v221, v206, v127 bitop3:0x54
	v_perm_b32 v206, v209, v208, 0x7030c0c
	v_perm_b32 v130, v130, v130, 0xc0c0003
	v_lshlrev_b32_e32 v217, 8, v131
	v_perm_b32 v129, v129, v129, 0xc0c0003
	s_wait_dscnt 0x0
	v_dual_lshlrev_b32 v220, 16, v125 :: v_dual_bitop2_b32 v222, v206, v128 bitop3:0x54
	v_perm_b32 v128, v212, v211, 0x7030c0c
	v_dot4_i32_iu8 v127, v221, v196, 0 neg_lo:[1,1,0]
	v_perm_b32 v206, v95, v95, 0x2010003
	s_delay_alu instid0(VALU_DEP_3) | instskip(SKIP_1) | instid1(VALU_DEP_1)
	v_or_b32_e32 v130, v128, v130
	v_perm_b32 v128, v215, v214, 0x7030c0c
	v_or_b32_e32 v211, v128, v129
	v_perm_b32 v128, v217, v216, 0x7030c0c
	v_perm_b32 v129, v131, v131, 0xc0c0003
	s_delay_alu instid0(VALU_DEP_1) | instskip(SKIP_1) | instid1(VALU_DEP_1)
	v_or_b32_e32 v131, v128, v129
	v_perm_b32 v128, v219, v218, 0x7030c0c
	v_dual_lshlrev_b32 v128, 8, v125 :: v_dual_bitop2_b32 v212, v128, v126 bitop3:0x54
	v_dot4_i32_iu8 v127, v222, v197, v127 neg_lo:[1,1,0]
	v_perm_b32 v125, v125, v125, 0xc0c0003
	s_delay_alu instid0(VALU_DEP_3) | instskip(NEXT) | instid1(VALU_DEP_3)
	v_perm_b32 v128, v128, v220, 0x7030c0c
	v_dot4_i32_iu8 v127, v130, v198, v127 neg_lo:[1,1,0]
	s_delay_alu instid0(VALU_DEP_2) | instskip(NEXT) | instid1(VALU_DEP_2)
	v_or_b32_e32 v207, v128, v125
	v_dot4_i32_iu8 v127, v211, v199, v127 neg_lo:[1,1,0]
	s_delay_alu instid0(VALU_DEP_1) | instskip(NEXT) | instid1(VALU_DEP_1)
	v_dot4_i32_iu8 v127, v131, v200, v127 neg_lo:[1,1,0]
	v_dot4_i32_iu8 v126, v212, v201, v127 neg_lo:[1,1,0]
	v_lshlrev_b32_e32 v127, 8, v121
	v_perm_b32 v121, v121, v121, 0xc0c0003
	s_delay_alu instid0(VALU_DEP_3) | instskip(NEXT) | instid1(VALU_DEP_3)
	v_dot4_i32_iu8 v125, v207, v206, v126 neg_lo:[1,1,0]
	v_perm_b32 v126, v127, v213, 0x7030c0c
	s_delay_alu instid0(VALU_DEP_2) | instskip(NEXT) | instid1(VALU_DEP_2)
	v_dot4_i32_iu8 v125, v86, v124, v125 neg_lo:[1,1,0]
	v_or_b32_e32 v208, v126, v121
	v_pk_mul_f32 v[126:127], v[82:83], v[122:123] op_sel_hi:[0,1]
	s_delay_alu instid0(VALU_DEP_3) | instskip(NEXT) | instid1(VALU_DEP_3)
	v_cvt_f32_i32_e32 v129, v125
	v_dot4_i32_iu8 v121, v208, v206, v132 neg_lo:[1,1,0]
	s_delay_alu instid0(VALU_DEP_1) | instskip(NEXT) | instid1(VALU_DEP_1)
	v_dot4_i32_iu8 v121, v86, v120, v121 neg_lo:[1,1,0]
	v_cvt_f32_i32_e32 v128, v121
	v_dot4_i32_iu8 v121, v221, v182, 0 neg_lo:[1,1,0]
	s_delay_alu instid0(VALU_DEP_2) | instskip(NEXT) | instid1(VALU_DEP_2)
	v_pk_fma_f32 v[32:33], v[126:127], v[128:129], v[32:33]
	v_dot4_i32_iu8 v121, v222, v183, v121 neg_lo:[1,1,0]
	s_delay_alu instid0(VALU_DEP_1) | instskip(NEXT) | instid1(VALU_DEP_1)
	v_dot4_i32_iu8 v121, v130, v184, v121 neg_lo:[1,1,0]
	v_dot4_i32_iu8 v121, v211, v185, v121 neg_lo:[1,1,0]
	s_delay_alu instid0(VALU_DEP_1) | instskip(NEXT) | instid1(VALU_DEP_1)
	v_dot4_i32_iu8 v121, v131, v186, v121 neg_lo:[1,1,0]
	v_dot4_i32_iu8 v209, v212, v187, v121 neg_lo:[1,1,0]
	;; [unrolled: 1-line block ×3, first 2 shown]
	s_delay_alu instid0(VALU_DEP_1) | instskip(NEXT) | instid1(VALU_DEP_1)
	v_dot4_i32_iu8 v121, v222, v144, v121 neg_lo:[1,1,0]
	v_dot4_i32_iu8 v121, v130, v145, v121 neg_lo:[1,1,0]
	s_delay_alu instid0(VALU_DEP_1) | instskip(NEXT) | instid1(VALU_DEP_1)
	v_dot4_i32_iu8 v121, v211, v146, v121 neg_lo:[1,1,0]
	v_dot4_i32_iu8 v121, v131, v147, v121 neg_lo:[1,1,0]
	s_delay_alu instid0(VALU_DEP_1) | instskip(SKIP_1) | instid1(VALU_DEP_1)
	v_dot4_i32_iu8 v125, v212, v181, v121 neg_lo:[1,1,0]
	v_perm_b32 v121, v105, v105, 0x2010003
	v_dot4_i32_iu8 v125, v207, v121, v125 neg_lo:[1,1,0]
	v_dot4_i32_iu8 v126, v208, v121, v133 neg_lo:[1,1,0]
	s_delay_alu instid0(VALU_DEP_2) | instskip(NEXT) | instid1(VALU_DEP_2)
	v_dot4_i32_iu8 v125, v98, v124, v125 neg_lo:[1,1,0]
	v_dot4_i32_iu8 v128, v98, v120, v126 neg_lo:[1,1,0]
	v_pk_mul_f32 v[126:127], v[96:97], v[122:123] op_sel_hi:[0,1]
	s_delay_alu instid0(VALU_DEP_3) | instskip(SKIP_1) | instid1(VALU_DEP_4)
	v_cvt_f32_i32_e32 v129, v125
	v_dot4_i32_iu8 v125, v221, v99, 0 neg_lo:[1,1,0]
	v_cvt_f32_i32_e32 v128, v128
	s_delay_alu instid0(VALU_DEP_2) | instskip(NEXT) | instid1(VALU_DEP_2)
	v_dot4_i32_iu8 v125, v222, v189, v125 neg_lo:[1,1,0]
	v_pk_fma_f32 v[22:23], v[126:127], v[128:129], v[22:23]
	s_delay_alu instid0(VALU_DEP_2) | instskip(NEXT) | instid1(VALU_DEP_1)
	v_dot4_i32_iu8 v125, v130, v190, v125 neg_lo:[1,1,0]
	v_dot4_i32_iu8 v125, v211, v191, v125 neg_lo:[1,1,0]
	s_delay_alu instid0(VALU_DEP_1) | instskip(NEXT) | instid1(VALU_DEP_1)
	v_dot4_i32_iu8 v125, v131, v192, v125 neg_lo:[1,1,0]
	v_dot4_i32_iu8 v126, v212, v193, v125 neg_lo:[1,1,0]
	v_perm_b32 v125, v109, v109, 0x2010003
	s_delay_alu instid0(VALU_DEP_1) | instskip(SKIP_1) | instid1(VALU_DEP_2)
	v_dot4_i32_iu8 v126, v207, v125, v126 neg_lo:[1,1,0]
	v_dot4_i32_iu8 v127, v208, v125, v210 neg_lo:[1,1,0]
	;; [unrolled: 1-line block ×3, first 2 shown]
	s_delay_alu instid0(VALU_DEP_2) | instskip(SKIP_1) | instid1(VALU_DEP_3)
	v_dot4_i32_iu8 v128, v102, v120, v127 neg_lo:[1,1,0]
	v_pk_mul_f32 v[126:127], v[100:101], v[122:123] op_sel_hi:[0,1]
	v_cvt_f32_i32_e32 v129, v129
	s_delay_alu instid0(VALU_DEP_3) | instskip(NEXT) | instid1(VALU_DEP_1)
	v_cvt_f32_i32_e32 v128, v128
	v_pk_fma_f32 v[20:21], v[126:127], v[128:129], v[20:21]
	v_add_nc_u32_e32 v126, 0x100c, v101
	ds_load_2addr_b32 v[130:131], v126 offset1:1
	v_add_nc_u32_e32 v126, 0x1004, v101
	ds_load_2addr_b32 v[132:133], v126 offset1:1
	;; [unrolled: 2-line block ×4, first 2 shown]
	ds_load_2addr_b32 v[128:129], v135 offset0:128 offset1:160
	s_wait_dscnt 0x4
	v_dual_lshlrev_b32 v212, 16, v131 :: v_dual_lshlrev_b32 v213, 8, v131
	v_perm_b32 v131, v131, v131, 0xc0c0003
	v_dual_lshlrev_b32 v222, 16, v130 :: v_dual_lshlrev_b32 v223, 8, v130
	v_perm_b32 v130, v130, v130, 0xc0c0003
	s_wait_dscnt 0x3
	v_dual_lshlrev_b32 v214, 16, v132 :: v_dual_lshlrev_b32 v215, 8, v132
	v_perm_b32 v212, v213, v212, 0x7030c0c
	v_perm_b32 v132, v132, v132, 0xc0c0003
	v_dual_lshlrev_b32 v218, 16, v133 :: v_dual_lshlrev_b32 v219, 8, v133
	s_wait_dscnt 0x2
	v_dual_lshlrev_b32 v216, 16, v210 :: v_dual_lshlrev_b32 v217, 8, v210
	v_or_b32_e32 v131, v212, v131
	v_perm_b32 v213, v215, v214, 0x7030c0c
	v_perm_b32 v210, v210, v210, 0xc0c0003
	s_wait_dscnt 0x1
	v_lshlrev_b32_e32 v224, 16, v127
	v_dual_lshlrev_b32 v220, 16, v211 :: v_dual_lshlrev_b32 v221, 8, v211
	v_dot4_i32_iu8 v212, v131, v196, 0 neg_lo:[1,1,0]
	v_or_b32_e32 v132, v213, v132
	v_perm_b32 v213, v217, v216, 0x7030c0c
	v_perm_b32 v133, v133, v133, 0xc0c0003
	;; [unrolled: 1-line block ×3, first 2 shown]
	s_delay_alu instid0(VALU_DEP_4) | instskip(NEXT) | instid1(VALU_DEP_4)
	v_dot4_i32_iu8 v212, v132, v197, v212 neg_lo:[1,1,0]
	v_or_b32_e32 v210, v213, v210
	v_perm_b32 v213, v219, v218, 0x7030c0c
	s_delay_alu instid0(VALU_DEP_2) | instskip(NEXT) | instid1(VALU_DEP_2)
	v_dot4_i32_iu8 v212, v210, v198, v212 neg_lo:[1,1,0]
	v_or_b32_e32 v133, v213, v133
	v_perm_b32 v213, v221, v220, 0x7030c0c
	s_delay_alu instid0(VALU_DEP_2) | instskip(NEXT) | instid1(VALU_DEP_2)
	;; [unrolled: 4-line block ×3, first 2 shown]
	v_dot4_i32_iu8 v212, v211, v200, v212 neg_lo:[1,1,0]
	v_or_b32_e32 v130, v213, v130
	s_delay_alu instid0(VALU_DEP_1) | instskip(SKIP_1) | instid1(VALU_DEP_1)
	v_dot4_i32_iu8 v214, v130, v201, v212 neg_lo:[1,1,0]
	v_dot4_i32_iu8 v212, v131, v182, 0 neg_lo:[1,1,0]
	;; [unrolled: 1-line block ×3, first 2 shown]
	s_delay_alu instid0(VALU_DEP_1) | instskip(NEXT) | instid1(VALU_DEP_1)
	v_dot4_i32_iu8 v212, v210, v184, v212 neg_lo:[1,1,0]
	v_dot4_i32_iu8 v212, v133, v185, v212 neg_lo:[1,1,0]
	s_delay_alu instid0(VALU_DEP_1) | instskip(NEXT) | instid1(VALU_DEP_1)
	v_dot4_i32_iu8 v212, v211, v186, v212 neg_lo:[1,1,0]
	v_dot4_i32_iu8 v218, v130, v187, v212 neg_lo:[1,1,0]
	;; [unrolled: 1-line block ×4, first 2 shown]
	s_delay_alu instid0(VALU_DEP_2) | instskip(NEXT) | instid1(VALU_DEP_2)
	v_dot4_i32_iu8 v212, v132, v144, v212 neg_lo:[1,1,0]
	v_dot4_i32_iu8 v131, v132, v189, v131 neg_lo:[1,1,0]
	s_delay_alu instid0(VALU_DEP_2) | instskip(NEXT) | instid1(VALU_DEP_2)
	v_dot4_i32_iu8 v212, v210, v145, v212 neg_lo:[1,1,0]
	v_dot4_i32_iu8 v131, v210, v190, v131 neg_lo:[1,1,0]
	;; [unrolled: 3-line block ×5, first 2 shown]
	v_add_nc_u32_e32 v130, 0x140c, v101
	ds_load_2addr_b32 v[132:133], v130 offset1:1
	v_add_nc_u32_e32 v130, 0x1404, v101
	ds_load_2addr_b32 v[210:211], v130 offset1:1
	;; [unrolled: 2-line block ×4, first 2 shown]
	s_wait_dscnt 0x3
	v_dual_lshlrev_b32 v217, 16, v133 :: v_dual_lshlrev_b32 v219, 8, v133
	v_perm_b32 v133, v133, v133, 0xc0c0003
	v_dual_lshlrev_b32 v229, 16, v132 :: v_dual_lshlrev_b32 v230, 8, v132
	v_perm_b32 v132, v132, v132, 0xc0c0003
	s_wait_dscnt 0x2
	v_dual_lshlrev_b32 v220, 16, v210 :: v_dual_lshlrev_b32 v221, 8, v210
	v_perm_b32 v217, v219, v217, 0x7030c0c
	v_perm_b32 v210, v210, v210, 0xc0c0003
	v_dual_lshlrev_b32 v225, 16, v211 :: v_dual_lshlrev_b32 v226, 8, v211
	s_wait_dscnt 0x1
	v_dual_lshlrev_b32 v227, 16, v213 :: v_dual_lshlrev_b32 v222, 16, v212
	v_lshlrev_b32_e32 v223, 8, v212
	v_perm_b32 v219, v221, v220, 0x7030c0c
	v_perm_b32 v212, v212, v212, 0xc0c0003
	v_lshlrev_b32_e32 v228, 8, v213
	v_perm_b32 v211, v211, v211, 0xc0c0003
	v_or_b32_e32 v217, v217, v133
	v_or_b32_e32 v219, v219, v210
	v_perm_b32 v210, v223, v222, 0x7030c0c
	s_wait_dscnt 0x0
	v_lshlrev_b32_e32 v231, 16, v131
	v_dot4_i32_iu8 v133, v217, v196, 0 neg_lo:[1,1,0]
	s_delay_alu instid0(VALU_DEP_3) | instskip(SKIP_1) | instid1(VALU_DEP_1)
	v_or_b32_e32 v212, v210, v212
	v_perm_b32 v210, v226, v225, 0x7030c0c
	v_or_b32_e32 v220, v210, v211
	v_perm_b32 v210, v228, v227, 0x7030c0c
	v_perm_b32 v211, v213, v213, 0xc0c0003
	s_delay_alu instid0(VALU_DEP_1) | instskip(SKIP_1) | instid1(VALU_DEP_1)
	v_or_b32_e32 v213, v210, v211
	v_perm_b32 v210, v230, v229, 0x7030c0c
	v_dual_lshlrev_b32 v210, 8, v131 :: v_dual_bitop2_b32 v221, v210, v132 bitop3:0x54
	v_dot4_i32_iu8 v133, v219, v197, v133 neg_lo:[1,1,0]
	v_perm_b32 v131, v131, v131, 0xc0c0003
	s_delay_alu instid0(VALU_DEP_3) | instskip(NEXT) | instid1(VALU_DEP_3)
	v_perm_b32 v210, v210, v231, 0x7030c0c
	v_dot4_i32_iu8 v133, v212, v198, v133 neg_lo:[1,1,0]
	s_delay_alu instid0(VALU_DEP_2) | instskip(NEXT) | instid1(VALU_DEP_2)
	v_or_b32_e32 v131, v210, v131
	v_dot4_i32_iu8 v133, v220, v199, v133 neg_lo:[1,1,0]
	s_delay_alu instid0(VALU_DEP_1) | instskip(NEXT) | instid1(VALU_DEP_1)
	v_dot4_i32_iu8 v133, v213, v200, v133 neg_lo:[1,1,0]
	v_dot4_i32_iu8 v132, v221, v201, v133 neg_lo:[1,1,0]
	v_lshlrev_b32_e32 v133, 8, v127
	v_perm_b32 v127, v127, v127, 0xc0c0003
	s_delay_alu instid0(VALU_DEP_3) | instskip(NEXT) | instid1(VALU_DEP_3)
	v_dot4_i32_iu8 v132, v131, v206, v132 neg_lo:[1,1,0]
	v_perm_b32 v133, v133, v224, 0x7030c0c
	s_delay_alu instid0(VALU_DEP_2) | instskip(NEXT) | instid1(VALU_DEP_2)
	v_dot4_i32_iu8 v211, v86, v130, v132 neg_lo:[1,1,0]
	v_or_b32_e32 v127, v133, v127
	s_delay_alu instid0(VALU_DEP_2) | instskip(NEXT) | instid1(VALU_DEP_2)
	v_cvt_f32_i32_e32 v211, v211
	v_dot4_i32_iu8 v133, v127, v206, v214 neg_lo:[1,1,0]
	s_delay_alu instid0(VALU_DEP_1) | instskip(SKIP_1) | instid1(VALU_DEP_2)
	v_dot4_i32_iu8 v210, v86, v126, v133 neg_lo:[1,1,0]
	v_pk_mul_f32 v[132:133], v[82:83], v[128:129] op_sel_hi:[0,1]
	v_cvt_f32_i32_e32 v210, v210
	s_delay_alu instid0(VALU_DEP_1) | instskip(SKIP_2) | instid1(VALU_DEP_2)
	v_pk_fma_f32 v[18:19], v[132:133], v[210:211], v[18:19]
	v_dot4_i32_iu8 v132, v217, v182, 0 neg_lo:[1,1,0]
	v_dot4_i32_iu8 v133, v127, v121, v215 neg_lo:[1,1,0]
	;; [unrolled: 1-line block ×3, first 2 shown]
	s_delay_alu instid0(VALU_DEP_2) | instskip(NEXT) | instid1(VALU_DEP_2)
	v_dot4_i32_iu8 v210, v98, v126, v133 neg_lo:[1,1,0]
	v_dot4_i32_iu8 v132, v212, v184, v132 neg_lo:[1,1,0]
	s_delay_alu instid0(VALU_DEP_2) | instskip(NEXT) | instid1(VALU_DEP_2)
	v_cvt_f32_i32_e32 v210, v210
	v_dot4_i32_iu8 v132, v220, v185, v132 neg_lo:[1,1,0]
	s_delay_alu instid0(VALU_DEP_1) | instskip(NEXT) | instid1(VALU_DEP_1)
	v_dot4_i32_iu8 v132, v213, v186, v132 neg_lo:[1,1,0]
	v_dot4_i32_iu8 v222, v221, v187, v132 neg_lo:[1,1,0]
	;; [unrolled: 1-line block ×3, first 2 shown]
	s_delay_alu instid0(VALU_DEP_1) | instskip(NEXT) | instid1(VALU_DEP_1)
	v_dot4_i32_iu8 v132, v219, v144, v132 neg_lo:[1,1,0]
	v_dot4_i32_iu8 v132, v212, v145, v132 neg_lo:[1,1,0]
	s_delay_alu instid0(VALU_DEP_1) | instskip(NEXT) | instid1(VALU_DEP_1)
	v_dot4_i32_iu8 v132, v220, v146, v132 neg_lo:[1,1,0]
	v_dot4_i32_iu8 v132, v213, v147, v132 neg_lo:[1,1,0]
	;; [unrolled: 3-line block ×3, first 2 shown]
	s_delay_alu instid0(VALU_DEP_1) | instskip(SKIP_1) | instid1(VALU_DEP_2)
	v_dot4_i32_iu8 v211, v98, v130, v132 neg_lo:[1,1,0]
	v_pk_mul_f32 v[132:133], v[96:97], v[128:129] op_sel_hi:[0,1]
	v_cvt_f32_i32_e32 v211, v211
	s_delay_alu instid0(VALU_DEP_1) | instskip(SKIP_2) | instid1(VALU_DEP_2)
	v_pk_fma_f32 v[14:15], v[132:133], v[210:211], v[14:15]
	v_dot4_i32_iu8 v132, v217, v99, 0 neg_lo:[1,1,0]
	v_dot4_i32_iu8 v133, v127, v125, v216 neg_lo:[1,1,0]
	;; [unrolled: 1-line block ×3, first 2 shown]
	s_delay_alu instid0(VALU_DEP_2) | instskip(NEXT) | instid1(VALU_DEP_2)
	v_dot4_i32_iu8 v210, v102, v126, v133 neg_lo:[1,1,0]
	v_dot4_i32_iu8 v132, v212, v190, v132 neg_lo:[1,1,0]
	s_delay_alu instid0(VALU_DEP_2) | instskip(NEXT) | instid1(VALU_DEP_2)
	v_cvt_f32_i32_e32 v210, v210
	v_dot4_i32_iu8 v132, v220, v191, v132 neg_lo:[1,1,0]
	s_delay_alu instid0(VALU_DEP_1) | instskip(NEXT) | instid1(VALU_DEP_1)
	v_dot4_i32_iu8 v132, v213, v192, v132 neg_lo:[1,1,0]
	v_dot4_i32_iu8 v132, v221, v193, v132 neg_lo:[1,1,0]
	s_delay_alu instid0(VALU_DEP_1) | instskip(NEXT) | instid1(VALU_DEP_1)
	v_dot4_i32_iu8 v132, v131, v125, v132 neg_lo:[1,1,0]
	v_dot4_i32_iu8 v211, v102, v130, v132 neg_lo:[1,1,0]
	v_pk_mul_f32 v[132:133], v[100:101], v[128:129] op_sel_hi:[0,1]
	s_delay_alu instid0(VALU_DEP_2) | instskip(NEXT) | instid1(VALU_DEP_1)
	v_cvt_f32_i32_e32 v211, v211
	v_pk_fma_f32 v[12:13], v[132:133], v[210:211], v[12:13]
	v_add_nc_u32_e32 v132, 0x180c, v101
	ds_load_2addr_b32 v[210:211], v132 offset1:1
	v_add_nc_u32_e32 v132, 0x1804, v101
	ds_load_2addr_b32 v[212:213], v132 offset1:1
	;; [unrolled: 2-line block ×4, first 2 shown]
	ds_load_2addr_b32 v[216:217], v135 offset0:192 offset1:224
	v_add_nc_u32_e32 v135, 4, v135
	s_wait_dscnt 0x4
	v_dual_lshlrev_b32 v219, 16, v211 :: v_dual_lshlrev_b32 v220, 8, v211
	v_ashrrev_i32_e32 v221, 24, v211
	v_perm_b32 v235, v211, v211, 0xc0c0003
	v_lshlrev_b32_e32 v231, 16, v210
	s_delay_alu instid0(VALU_DEP_4)
	v_perm_b32 v211, v219, v211, 0xc0c0700
	s_wait_dscnt 0x3
	v_lshlrev_b32_e32 v223, 16, v212
	v_perm_b32 v234, v220, v219, 0x7030c0c
	v_mul_i32_i24_e32 v205, v221, v205
	v_perm_b32 v219, v85, v85, 0xc0c0100
	v_lshlrev_b32_e32 v224, 8, v212
	v_perm_b32 v237, v212, v212, 0xc0c0003
	v_perm_b32 v85, v118, v85, 0x5040702
	s_wait_dscnt 0x2
	v_lshlrev_b32_e32 v225, 16, v214
	v_dot4_i32_iu8 v205, v211, v219, v205 neg_lo:[1,1,0]
	v_perm_b32 v211, v223, v212, 0x700030c
	v_perm_b32 v212, v220, v220, 0xc0c0c03
	;; [unrolled: 1-line block ×3, first 2 shown]
	v_dual_lshlrev_b32 v226, 8, v214 :: v_dual_lshlrev_b32 v227, 16, v213
	v_dual_lshlrev_b32 v228, 8, v213 :: v_dual_lshlrev_b32 v229, 16, v215
	s_delay_alu instid0(VALU_DEP_4) | instskip(SKIP_3) | instid1(VALU_DEP_4)
	v_dual_lshlrev_b32 v230, 8, v215 :: v_dual_bitop2_b32 v211, v211, v212 bitop3:0x54
	v_or_b32_e32 v234, v234, v235
	v_perm_b32 v236, v224, v223, 0x7030c0c
	v_perm_b32 v238, v214, v214, 0xc0c0003
	v_dot4_i32_iu8 v85, v211, v85, v205 neg_lo:[1,1,0]
	v_perm_b32 v205, v119, v119, 0x504030c
	v_perm_b32 v211, v224, v224, 0xc0c0c03
	v_or_b32_e32 v236, v236, v237
	v_perm_b32 v237, v226, v225, 0x7030c0c
	v_perm_b32 v239, v213, v213, 0xc0c0003
	v_or_b32_e32 v118, v205, v118
	v_perm_b32 v205, v225, v214, 0x700030c
	s_wait_dscnt 0x1
	v_dual_lshlrev_b32 v232, 8, v210 :: v_dual_lshlrev_b32 v233, 16, v133
	v_or_b32_e32 v237, v237, v238
	v_perm_b32 v238, v228, v227, 0x7030c0c
	v_or_b32_e32 v205, v205, v211
	v_perm_b32 v240, v215, v215, 0xc0c0003
	v_perm_b32 v241, v210, v210, 0xc0c0003
	v_add_nc_u32_e32 v212, 0x1c00, v101
	v_or_b32_e32 v238, v238, v239
	v_dot4_i32_iu8 v85, v205, v118, v85 neg_lo:[1,1,0]
	v_perm_b32 v118, v114, v119, 0x5040702
	v_perm_b32 v119, v227, v213, 0x700030c
	;; [unrolled: 1-line block ×5, first 2 shown]
	s_delay_alu instid0(VALU_DEP_3) | instskip(NEXT) | instid1(VALU_DEP_2)
	v_or_b32_e32 v119, v119, v205
	v_or_b32_e32 v239, v239, v240
	v_perm_b32 v240, v232, v231, 0x7030c0c
	s_delay_alu instid0(VALU_DEP_3) | instskip(SKIP_2) | instid1(VALU_DEP_4)
	v_dot4_i32_iu8 v85, v119, v118, v85 neg_lo:[1,1,0]
	v_perm_b32 v118, v229, v215, 0x700030c
	v_perm_b32 v119, v228, v228, 0xc0c0c03
	v_or_b32_e32 v240, v240, v241
	s_delay_alu instid0(VALU_DEP_2) | instskip(NEXT) | instid1(VALU_DEP_1)
	v_or_b32_e32 v118, v118, v119
	v_dot4_i32_iu8 v85, v118, v114, v85 neg_lo:[1,1,0]
	v_perm_b32 v114, v92, v115, 0x5040702
	v_perm_b32 v115, v231, v210, 0x700030c
	;; [unrolled: 1-line block ×3, first 2 shown]
	v_add_nc_u32_e32 v210, 0x1c14, v101
	s_delay_alu instid0(VALU_DEP_2) | instskip(SKIP_1) | instid1(VALU_DEP_2)
	v_or_b32_e32 v115, v115, v118
	v_add_nc_u32_e32 v118, 0x1c04, v101
	v_dot4_i32_iu8 v85, v115, v114, v85 neg_lo:[1,1,0]
	v_dot4_i32_iu8 v114, v234, v87, 0 neg_lo:[1,1,0]
	s_delay_alu instid0(VALU_DEP_1) | instskip(NEXT) | instid1(VALU_DEP_1)
	v_dot4_i32_iu8 v114, v236, v144, v114 neg_lo:[1,1,0]
	v_dot4_i32_iu8 v114, v237, v145, v114 neg_lo:[1,1,0]
	s_delay_alu instid0(VALU_DEP_1) | instskip(NEXT) | instid1(VALU_DEP_1)
	v_dot4_i32_iu8 v114, v238, v146, v114 neg_lo:[1,1,0]
	v_dot4_i32_iu8 v114, v239, v147, v114 neg_lo:[1,1,0]
	s_delay_alu instid0(VALU_DEP_1) | instskip(SKIP_1) | instid1(VALU_DEP_1)
	v_dot4_i32_iu8 v205, v240, v181, v114 neg_lo:[1,1,0]
	v_dot4_i32_iu8 v114, v234, v99, 0 neg_lo:[1,1,0]
	;; [unrolled: 1-line block ×3, first 2 shown]
	s_delay_alu instid0(VALU_DEP_1) | instskip(NEXT) | instid1(VALU_DEP_1)
	v_dot4_i32_iu8 v114, v237, v190, v114 neg_lo:[1,1,0]
	v_dot4_i32_iu8 v114, v238, v191, v114 neg_lo:[1,1,0]
	s_delay_alu instid0(VALU_DEP_1) | instskip(NEXT) | instid1(VALU_DEP_1)
	v_dot4_i32_iu8 v114, v239, v192, v114 neg_lo:[1,1,0]
	v_dot4_i32_iu8 v214, v240, v193, v114 neg_lo:[1,1,0]
	v_add_nc_u32_e32 v114, 0x1c0c, v101
	ds_load_2addr_b32 v[114:115], v114 offset1:1
	ds_load_2addr_b32 v[118:119], v118 offset1:1
	;; [unrolled: 1-line block ×4, first 2 shown]
	s_wait_dscnt 0x3
	v_dual_lshlrev_b32 v215, 16, v115 :: v_dual_lshlrev_b32 v219, 8, v115
	v_perm_b32 v115, v115, v115, 0xc0c0003
	s_wait_dscnt 0x2
	v_dual_lshlrev_b32 v220, 16, v118 :: v_dual_lshlrev_b32 v221, 8, v118
	v_dot4_i32_iu8 v235, v234, v196, 0 neg_lo:[1,1,0]
	v_perm_b32 v215, v219, v215, 0x7030c0c
	v_perm_b32 v118, v118, v118, 0xc0c0003
	s_wait_dscnt 0x1
	v_dual_lshlrev_b32 v223, 16, v210 :: v_dual_lshlrev_b32 v224, 8, v210
	v_dot4_i32_iu8 v235, v236, v197, v235 neg_lo:[1,1,0]
	v_or_b32_e32 v215, v215, v115
	v_dual_lshlrev_b32 v225, 16, v119 :: v_dual_lshlrev_b32 v226, 8, v119
	v_dual_lshlrev_b32 v227, 16, v211 :: v_dual_lshlrev_b32 v228, 8, v211
	s_delay_alu instid0(VALU_DEP_3)
	v_dot4_i32_iu8 v115, v215, v196, 0 neg_lo:[1,1,0]
	v_perm_b32 v196, v221, v220, 0x7030c0c
	v_perm_b32 v119, v119, v119, 0xc0c0003
	v_dot4_i32_iu8 v235, v237, v198, v235 neg_lo:[1,1,0]
	v_dual_lshlrev_b32 v229, 16, v114 :: v_dual_lshlrev_b32 v230, 8, v114
	s_wait_dscnt 0x0
	v_dual_lshlrev_b32 v234, 8, v213 :: v_dual_bitop2_b32 v196, v196, v118 bitop3:0x54
	v_perm_b32 v118, v224, v223, 0x7030c0c
	v_dot4_i32_iu8 v235, v238, v199, v235 neg_lo:[1,1,0]
	v_perm_b32 v114, v114, v114, 0xc0c0003
	v_lshlrev_b32_e32 v231, 16, v213
	v_dot4_i32_iu8 v115, v196, v197, v115 neg_lo:[1,1,0]
	v_perm_b32 v197, v210, v210, 0xc0c0003
	v_dot4_i32_iu8 v235, v239, v200, v235 neg_lo:[1,1,0]
	s_delay_alu instid0(VALU_DEP_2) | instskip(SKIP_1) | instid1(VALU_DEP_3)
	v_or_b32_e32 v197, v118, v197
	v_perm_b32 v118, v226, v225, 0x7030c0c
	v_dot4_i32_iu8 v235, v240, v201, v235 neg_lo:[1,1,0]
	s_delay_alu instid0(VALU_DEP_3) | instskip(NEXT) | instid1(VALU_DEP_3)
	v_dot4_i32_iu8 v115, v197, v198, v115 neg_lo:[1,1,0]
	v_or_b32_e32 v119, v118, v119
	v_perm_b32 v118, v228, v227, 0x7030c0c
	v_perm_b32 v198, v211, v211, 0xc0c0003
	s_delay_alu instid0(VALU_DEP_3) | instskip(NEXT) | instid1(VALU_DEP_2)
	v_dot4_i32_iu8 v115, v119, v199, v115 neg_lo:[1,1,0]
	v_or_b32_e32 v198, v118, v198
	v_perm_b32 v118, v230, v229, 0x7030c0c
	s_delay_alu instid0(VALU_DEP_2) | instskip(NEXT) | instid1(VALU_DEP_2)
	v_dot4_i32_iu8 v115, v198, v200, v115 neg_lo:[1,1,0]
	v_or_b32_e32 v199, v118, v114
	v_perm_b32 v118, v213, v213, 0xc0c0003
	s_delay_alu instid0(VALU_DEP_2) | instskip(SKIP_2) | instid1(VALU_DEP_2)
	v_dot4_i32_iu8 v114, v199, v201, v115 neg_lo:[1,1,0]
	v_perm_b32 v201, v93, v93, 0x2010003
	v_perm_b32 v115, v234, v231, 0x7030c0c
	v_dot4_i32_iu8 v80, v207, v201, v209 neg_lo:[1,1,0]
	v_dot4_i32_iu8 v103, v208, v201, v103 neg_lo:[1,1,0]
	s_delay_alu instid0(VALU_DEP_3)
	v_or_b32_e32 v200, v115, v118
	v_dot4_i32_iu8 v115, v91, v93, v88 neg_lo:[1,1,0]
	v_mov_b32_e32 v88, v217
	v_dot4_i32_iu8 v80, v84, v124, v80 neg_lo:[1,1,0]
	v_dot4_i32_iu8 v103, v84, v120, v103 neg_lo:[1,1,0]
	v_mov_b32_e32 v118, v83
	v_dot4_i32_iu8 v114, v200, v206, v114 neg_lo:[1,1,0]
	v_pk_mul_f32 v[88:89], v[88:89], v[82:83]
	v_cvt_f32_i32_e32 v141, v80
	v_dot4_i32_iu8 v80, v131, v201, v222 neg_lo:[1,1,0]
	v_cvt_f32_i32_e32 v140, v103
	v_dot4_i32_iu8 v103, v127, v201, v218 neg_lo:[1,1,0]
	v_dot4_i32_iu8 v114, v86, v212, v114 neg_lo:[1,1,0]
	v_pk_mul_f32 v[122:123], v[118:119], v[122:123] op_sel_hi:[0,1]
	v_dot4_i32_iu8 v80, v84, v130, v80 neg_lo:[1,1,0]
	v_cvt_f32_i32_e32 v115, v115
	v_dot4_i32_iu8 v103, v84, v126, v103 neg_lo:[1,1,0]
	v_cvt_f32_i32_e32 v114, v114
	v_pk_fma_f32 v[24:25], v[122:123], v[140:141], v[24:25]
	v_cvt_f32_i32_e32 v127, v80
	v_lshlrev_b32_e32 v80, 8, v107
	v_perm_b32 v107, v107, v107, 0xc0c0003
	v_cvt_f32_i32_e32 v126, v103
	v_lshlrev_b32_e32 v103, 8, v133
	v_pk_mul_f32 v[122:123], v[118:119], v[128:129] op_sel_hi:[0,1]
	v_perm_b32 v80, v80, v143, 0x7030c0c
	v_pk_fma_f32 v[8:9], v[88:89], v[114:115], v[8:9]
	s_delay_alu instid0(VALU_DEP_3) | instskip(NEXT) | instid1(VALU_DEP_3)
	v_pk_fma_f32 v[16:17], v[122:123], v[126:127], v[16:17]
	v_or_b32_e32 v107, v80, v107
	s_delay_alu instid0(VALU_DEP_1) | instskip(NEXT) | instid1(VALU_DEP_1)
	v_dot4_i32_iu8 v80, v107, v206, v188 neg_lo:[1,1,0]
	v_dot4_i32_iu8 v80, v106, v86, v80 neg_lo:[1,1,0]
	s_delay_alu instid0(VALU_DEP_1) | instskip(SKIP_1) | instid1(VALU_DEP_2)
	v_cvt_f32_i32_e32 v95, v80
	v_dot4_i32_iu8 v80, v107, v121, v202 neg_lo:[1,1,0]
	v_pk_fma_f32 v[38:39], v[110:111], v[94:95], v[38:39]
	v_perm_b32 v94, v104, v104, 0xc0c0302
	s_delay_alu instid0(VALU_DEP_3) | instskip(NEXT) | instid1(VALU_DEP_2)
	v_dot4_i32_iu8 v80, v106, v98, v80 neg_lo:[1,1,0]
	v_dot4_i32_iu8 v94, v142, v94, v203 neg_lo:[1,1,0]
	s_delay_alu instid0(VALU_DEP_2) | instskip(SKIP_1) | instid1(VALU_DEP_3)
	v_cvt_f32_i32_e32 v95, v80
	v_dot4_i32_iu8 v80, v107, v125, v204 neg_lo:[1,1,0]
	v_dot4_i32_iu8 v94, v91, v105, v94 neg_lo:[1,1,0]
	s_delay_alu instid0(VALU_DEP_2) | instskip(NEXT) | instid1(VALU_DEP_2)
	v_dot4_i32_iu8 v80, v106, v102, v80 neg_lo:[1,1,0]
	v_cvt_f32_i32_e32 v94, v94
	s_delay_alu instid0(VALU_DEP_1) | instskip(SKIP_1) | instid1(VALU_DEP_1)
	v_pk_fma_f32 v[36:37], v[112:113], v[94:95], v[36:37]
	v_perm_b32 v94, v108, v108, 0xc0c0302
	v_dot4_i32_iu8 v90, v142, v94, v90 neg_lo:[1,1,0]
	s_delay_alu instid0(VALU_DEP_1) | instskip(SKIP_2) | instid1(VALU_DEP_3)
	v_dot4_i32_iu8 v90, v91, v109, v90 neg_lo:[1,1,0]
	v_cvt_f32_i32_e32 v91, v80
	v_mov_b32_e32 v80, v216
	v_cvt_f32_i32_e32 v90, v90
	s_delay_alu instid0(VALU_DEP_2) | instskip(SKIP_2) | instid1(VALU_DEP_4)
	v_pk_mul_f32 v[80:81], v[82:83], v[80:81]
	v_perm_b32 v83, v103, v233, 0x7030c0c
	v_dot4_i32_iu8 v82, v107, v201, v194 neg_lo:[1,1,0]
	v_pk_fma_f32 v[34:35], v[116:117], v[90:91], v[34:35]
	v_perm_b32 v90, v133, v133, 0xc0c0003
	s_delay_alu instid0(VALU_DEP_3) | instskip(NEXT) | instid1(VALU_DEP_2)
	v_dot4_i32_iu8 v82, v84, v106, v82 neg_lo:[1,1,0]
	v_or_b32_e32 v90, v83, v90
	s_delay_alu instid0(VALU_DEP_1) | instskip(NEXT) | instid1(VALU_DEP_1)
	v_dot4_i32_iu8 v83, v90, v206, v235 neg_lo:[1,1,0]
	v_dot4_i32_iu8 v86, v86, v132, v83 neg_lo:[1,1,0]
	s_delay_alu instid0(VALU_DEP_4) | instskip(NEXT) | instid1(VALU_DEP_2)
	v_cvt_f32_i32_e32 v83, v82
	v_cvt_f32_i32_e32 v82, v86
	s_delay_alu instid0(VALU_DEP_1) | instskip(SKIP_4) | instid1(VALU_DEP_4)
	v_pk_fma_f32 v[10:11], v[80:81], v[82:83], v[10:11]
	v_dot4_i32_iu8 v80, v215, v182, 0 neg_lo:[1,1,0]
	v_perm_b32 v82, v233, v133, 0x700030c
	v_perm_b32 v83, v232, v232, 0xc0c0c03
	;; [unrolled: 1-line block ×3, first 2 shown]
	v_dot4_i32_iu8 v80, v196, v183, v80 neg_lo:[1,1,0]
	s_delay_alu instid0(VALU_DEP_3) | instskip(SKIP_1) | instid1(VALU_DEP_3)
	v_or_b32_e32 v82, v82, v83
	v_perm_b32 v83, v132, v103, 0xc0c0403
	v_dot4_i32_iu8 v80, v197, v184, v80 neg_lo:[1,1,0]
	s_delay_alu instid0(VALU_DEP_3) | instskip(SKIP_1) | instid1(VALU_DEP_3)
	v_dot4_i32_iu8 v81, v82, v81, v85 neg_lo:[1,1,0]
	v_perm_b32 v82, v84, v93, 0xc0c0402
	v_dot4_i32_iu8 v80, v119, v185, v80 neg_lo:[1,1,0]
	s_delay_alu instid0(VALU_DEP_2) | instskip(SKIP_1) | instid1(VALU_DEP_3)
	v_dot4_i32_iu8 v81, v83, v82, v81 neg_lo:[1,1,0]
	v_perm_b32 v82, v132, v132, 0xc030201
	v_dot4_i32_iu8 v80, v198, v186, v80 neg_lo:[1,1,0]
	v_perm_b32 v83, v84, v84, 0xc030201
	s_delay_alu instid0(VALU_DEP_2) | instskip(NEXT) | instid1(VALU_DEP_2)
	v_dot4_i32_iu8 v80, v199, v187, v80 neg_lo:[1,1,0]
	v_dot4_i32_iu8 v82, v82, v83, v81 neg_lo:[1,1,0]
	s_delay_alu instid0(VALU_DEP_2) | instskip(NEXT) | instid1(VALU_DEP_2)
	v_dot4_i32_iu8 v80, v200, v201, v80 neg_lo:[1,1,0]
	v_cvt_f32_i32_e32 v82, v82
	s_delay_alu instid0(VALU_DEP_2) | instskip(SKIP_1) | instid1(VALU_DEP_2)
	v_dot4_i32_iu8 v83, v212, v84, v80 neg_lo:[1,1,0]
	v_pk_mul_f32 v[80:81], v[118:119], v[216:217] op_sel_hi:[0,1]
	v_cvt_f32_i32_e32 v83, v83
	s_delay_alu instid0(VALU_DEP_1) | instskip(SKIP_2) | instid1(VALU_DEP_2)
	v_pk_fma_f32 v[6:7], v[80:81], v[82:83], v[6:7]
	v_dot4_i32_iu8 v80, v215, v87, 0 neg_lo:[1,1,0]
	v_dot4_i32_iu8 v81, v90, v121, v205 neg_lo:[1,1,0]
	;; [unrolled: 1-line block ×3, first 2 shown]
	s_delay_alu instid0(VALU_DEP_2) | instskip(NEXT) | instid1(VALU_DEP_2)
	v_dot4_i32_iu8 v82, v132, v98, v81 neg_lo:[1,1,0]
	v_dot4_i32_iu8 v80, v197, v145, v80 neg_lo:[1,1,0]
	s_delay_alu instid0(VALU_DEP_2) | instskip(NEXT) | instid1(VALU_DEP_2)
	v_cvt_f32_i32_e32 v82, v82
	v_dot4_i32_iu8 v80, v119, v146, v80 neg_lo:[1,1,0]
	s_delay_alu instid0(VALU_DEP_1) | instskip(NEXT) | instid1(VALU_DEP_1)
	v_dot4_i32_iu8 v80, v198, v147, v80 neg_lo:[1,1,0]
	v_dot4_i32_iu8 v80, v199, v181, v80 neg_lo:[1,1,0]
	s_delay_alu instid0(VALU_DEP_1) | instskip(NEXT) | instid1(VALU_DEP_1)
	v_dot4_i32_iu8 v80, v200, v121, v80 neg_lo:[1,1,0]
	v_dot4_i32_iu8 v83, v212, v98, v80 neg_lo:[1,1,0]
	v_pk_mul_f32 v[80:81], v[96:97], v[216:217] op_sel_hi:[0,1]
	s_delay_alu instid0(VALU_DEP_2) | instskip(NEXT) | instid1(VALU_DEP_1)
	v_cvt_f32_i32_e32 v83, v83
	v_pk_fma_f32 v[4:5], v[80:81], v[82:83], v[4:5]
	v_dot4_i32_iu8 v80, v215, v99, 0 neg_lo:[1,1,0]
	v_dot4_i32_iu8 v81, v90, v125, v214 neg_lo:[1,1,0]
	s_delay_alu instid0(VALU_DEP_2) | instskip(NEXT) | instid1(VALU_DEP_2)
	v_dot4_i32_iu8 v80, v196, v189, v80 neg_lo:[1,1,0]
	v_dot4_i32_iu8 v82, v132, v102, v81 neg_lo:[1,1,0]
	s_delay_alu instid0(VALU_DEP_2) | instskip(NEXT) | instid1(VALU_DEP_2)
	v_dot4_i32_iu8 v80, v197, v190, v80 neg_lo:[1,1,0]
	v_cvt_f32_i32_e32 v82, v82
	s_delay_alu instid0(VALU_DEP_2) | instskip(NEXT) | instid1(VALU_DEP_1)
	v_dot4_i32_iu8 v80, v119, v191, v80 neg_lo:[1,1,0]
	v_dot4_i32_iu8 v80, v198, v192, v80 neg_lo:[1,1,0]
	s_delay_alu instid0(VALU_DEP_1) | instskip(NEXT) | instid1(VALU_DEP_1)
	v_dot4_i32_iu8 v80, v199, v193, v80 neg_lo:[1,1,0]
	v_dot4_i32_iu8 v80, v200, v125, v80 neg_lo:[1,1,0]
	s_delay_alu instid0(VALU_DEP_1) | instskip(SKIP_2) | instid1(VALU_DEP_3)
	v_dot4_i32_iu8 v83, v212, v102, v80 neg_lo:[1,1,0]
	v_pk_mul_f32 v[80:81], v[100:101], v[216:217] op_sel_hi:[0,1]
	v_add_nc_u32_e32 v101, 32, v101
	v_cvt_f32_i32_e32 v83, v83
	s_delay_alu instid0(VALU_DEP_1)
	v_pk_fma_f32 v[2:3], v[80:81], v[82:83], v[2:3]
	s_cbranch_scc1 .LBB121_8
; %bb.9:                                ;   in Loop: Header=BB121_6 Depth=1
	s_and_b32 s12, s15, -4
	s_delay_alu instid0(SALU_CYCLE_1)
	s_cmp_eq_u32 s12, 4
	s_barrier_signal -1
	s_barrier_wait -1
	s_cbranch_scc1 .LBB121_5
; %bb.10:                               ;   in Loop: Header=BB121_6 Depth=1
	v_dual_add_nc_u32 v88, s10, v155 :: v_dual_add_nc_u32 v80, 4, v97
	v_dual_mov_b32 v181, v179 :: v_dual_mov_b32 v182, v172
	v_dual_mov_b32 v183, v180 :: v_dual_mov_b32 v184, v176
	s_delay_alu instid0(VALU_DEP_3) | instskip(SKIP_3) | instid1(VALU_DEP_4)
	v_dual_add_nc_u32 v86, v88, v154 :: v_dual_add_nc_u32 v92, v88, v151
	v_dual_add_nc_u32 v82, v88, v79 :: v_dual_add_nc_u32 v84, v88, v148
	;; [unrolled: 1-line block ×3, first 2 shown]
	v_mad_nc_u64_u32 v[80:81], v80, 36, s[2:3]
	v_mad_nc_i64_i32 v[86:87], v86, 36, v[52:53]
	s_delay_alu instid0(VALU_DEP_4)
	v_mad_nc_i64_i32 v[82:83], v82, 36, v[52:53]
	v_dual_add_nc_u32 v94, v88, v152 :: v_dual_add_nc_u32 v96, v88, v153
	v_mad_nc_i64_i32 v[84:85], v84, 36, v[52:53]
	v_mad_nc_i64_i32 v[88:89], v89, 36, v[52:53]
	v_mad_nc_i64_i32 v[90:91], v90, 36, v[52:53]
	v_mad_nc_i64_i32 v[92:93], v92, 36, v[52:53]
	v_mad_nc_i64_i32 v[94:95], v94, 36, v[52:53]
	v_mad_nc_i64_i32 v[96:97], v96, 36, v[52:53]
	s_clause 0x8
	global_load_b32 v98, v[80:81], off
	global_load_b32 v99, v[86:87], off offset:4
	global_load_b32 v100, v[82:83], off offset:4
	;; [unrolled: 1-line block ×8, first 2 shown]
	v_dual_mov_b32 v185, v175 :: v_dual_mov_b32 v186, v174
	v_mov_b32_e32 v187, v173
	s_mov_b32 s12, 12
	s_wait_loadcnt 0x8
	s_wait_xcnt 0x8
	v_cvt_f32_f16_e32 v80, v98
	s_wait_loadcnt 0x7
	ds_store_b32 v170, v99
	s_wait_loadcnt 0x6
	ds_store_b32 v171, v100
	s_wait_loadcnt 0x5
	ds_store_b32 v164, v101
	s_wait_loadcnt 0x4
	ds_store_b32 v165, v102
	s_wait_loadcnt 0x3
	ds_store_b32 v166, v103
	s_wait_loadcnt 0x2
	ds_store_b32 v167, v104
	s_wait_loadcnt 0x1
	ds_store_b32 v168, v105
	s_wait_loadcnt 0x0
	ds_store_b32 v169, v106
	ds_store_b32 v75, v80
	s_wait_dscnt 0x0
	s_barrier_signal -1
	s_barrier_wait -1
.LBB121_11:                             ;   Parent Loop BB121_6 Depth=1
                                        ; =>  This Inner Loop Header: Depth=2
	ds_load_2addr_b32 v[122:123], v182 offset0:3 offset1:4
	ds_load_2addr_b32 v[124:125], v182 offset0:5 offset1:6
	;; [unrolled: 1-line block ×3, first 2 shown]
	ds_load_2addr_b32 v[118:119], v182 offset1:7
	ds_load_2addr_b32 v[120:121], v181 offset1:32
	;; [unrolled: 1-line block ×3, first 2 shown]
	ds_load_2addr_b32 v[128:129], v183 offset0:2 offset1:3
	ds_load_2addr_b32 v[100:101], v183 offset0:4 offset1:5
	;; [unrolled: 1-line block ×3, first 2 shown]
	ds_load_b32 v130, v184
	ds_load_b32 v131, v185
	;; [unrolled: 1-line block ×4, first 2 shown]
	ds_load_2addr_b32 v[220:221], v181 offset0:192 offset1:224
	ds_load_2addr_b32 v[134:135], v181 offset0:64 offset1:96
	;; [unrolled: 1-line block ×3, first 2 shown]
	v_add_nc_u32_e32 v84, 0x2080, v183
	v_add_nc_u32_e32 v85, 0x2088, v183
	;; [unrolled: 1-line block ×34, first 2 shown]
	s_wait_dscnt 0x2
	v_dual_mov_b32 v230, v221 :: v_dual_mov_b32 v231, v120
	v_mov_b32_e32 v232, v131
	ds_load_2addr_b32 v[86:87], v84 offset1:1
	ds_load_2addr_b32 v[222:223], v85 offset1:1
	;; [unrolled: 1-line block ×15, first 2 shown]
	s_set_vgpr_msb 64                       ;  msbs: dst=1 src0=0 src1=0 src2=0
	ds_load_2addr_b32 v[0:1] /*v[256:257]*/, v108 offset1:1
	ds_load_2addr_b32 v[2:3] /*v[258:259]*/, v109 offset1:1
	s_set_vgpr_msb 0                        ;  msbs: dst=0 src0=0 src1=0 src2=0
	ds_load_2addr_b32 v[140:141], v110 offset1:1
	s_set_vgpr_msb 64                       ;  msbs: dst=1 src0=0 src1=0 src2=0
	ds_load_2addr_b32 v[4:5] /*v[260:261]*/, v111 offset1:1
	ds_load_2addr_b32 v[6:7] /*v[262:263]*/, v112 offset1:1
	s_set_vgpr_msb 0                        ;  msbs: dst=0 src0=0 src1=0 src2=0
	ds_load_2addr_b32 v[138:139], v113 offset1:1
	;; [unrolled: 5-line block ×4, first 2 shown]
	ds_load_2addr_b32 v[116:117], v190 offset1:7
	s_set_vgpr_msb 64                       ;  msbs: dst=1 src0=0 src1=0 src2=0
	ds_load_2addr_b32 v[10:11] /*v[266:267]*/, v193 offset1:1
	ds_load_2addr_b32 v[20:21] /*v[276:277]*/, v188 offset1:1
	;; [unrolled: 1-line block ×5, first 2 shown]
	s_set_vgpr_msb 0                        ;  msbs: dst=0 src0=0 src1=0 src2=0
	ds_load_2addr_b32 v[142:143], v194 offset1:7
	v_dual_lshlrev_b32 v190, 16, v123 :: v_dual_lshlrev_b32 v191, 8, v123
	v_add_nc_u32_e32 v133, 0x800, v182
	v_dual_lshlrev_b32 v195, 16, v126 :: v_dual_lshlrev_b32 v196, 8, v126
	v_dual_lshlrev_b32 v198, 16, v124 :: v_dual_lshlrev_b32 v200, 8, v124
	;; [unrolled: 1-line block ×4, first 2 shown]
	v_perm_b32 v233, v83, v83, 0x2010003
	v_perm_b32 v247, v123, v191, 0x7030c04
	v_perm_b32 v248, v190, v190, 0xc0c030c
	v_dual_lshlrev_b32 v209, 16, v122 :: v_dual_lshlrev_b32 v210, 8, v122
	v_pk_mul_f32 v[88:89], v[130:131], v[120:121] op_sel_hi:[0,1]
	v_pk_mul_f32 v[90:91], v[102:103], v[120:121] op_sel_hi:[0,1]
	;; [unrolled: 1-line block ×3, first 2 shown]
	s_wait_dscnt 0x23
	v_pk_mul_f32 v[104:105], v[130:131], v[134:135] op_sel_hi:[0,1]
	v_pk_mul_f32 v[106:107], v[102:103], v[134:135] op_sel_hi:[0,1]
	;; [unrolled: 1-line block ×3, first 2 shown]
	s_wait_dscnt 0x22
	v_pk_mul_f32 v[110:111], v[130:131], v[218:219] op_sel_hi:[0,1]
	v_pk_mul_f32 v[112:113], v[102:103], v[218:219] op_sel_hi:[0,1]
	;; [unrolled: 1-line block ×3, first 2 shown]
	v_mov_b32_e32 v120, v220
	v_perm_b32 v249, v126, v196, 0x7030c04
	v_perm_b32 v250, v195, v195, 0xc0c030c
	s_set_vgpr_msb 64                       ;  msbs: dst=1 src0=0 src1=0 src2=0
	v_perm_b32 v12 /*v268*/, v198, v124, 0xc0c0700
	v_perm_b32 v24 /*v280*/, v124, v200, 0xc0c0703
	;; [unrolled: 1-line block ×3, first 2 shown]
	s_set_vgpr_msb 0                        ;  msbs: dst=0 src0=0 src1=0 src2=0
	v_perm_b32 v201, v127, v203, 0xc0c0703
	v_perm_b32 v195, v204, v125, 0xc0c0700
	;; [unrolled: 1-line block ×3, first 2 shown]
	s_wait_dscnt 0x1d
	s_set_vgpr_msb 64                       ;  msbs: dst=1 src0=0 src1=0 src2=0
	v_dot4_i32_iu8 v51 /*v307*/, v94, v118, 0 neg_lo:[1,1,0]
	s_wait_dscnt 0x1a
	v_dot4_i32_iu8 v57 /*v313*/, v96, v118, 0 neg_lo:[1,1,0]
	s_set_vgpr_msb 0                        ;  msbs: dst=0 src0=0 src1=0 src2=0
	v_pk_mul_f32 v[124:125], v[232:233], v[134:135] op_sel_hi:[0,1]
	v_pk_mul_f32 v[126:127], v[232:233], v[218:219] op_sel_hi:[0,1]
	s_wait_dscnt 0xa
	v_dual_lshlrev_b32 v135, 16, v137 :: v_dual_bitop2_b32 v218, v247, v248 bitop3:0x54
	v_dual_lshlrev_b32 v215, 8, v119 :: v_dual_lshlrev_b32 v216, 8, v146
	v_ashrrev_i32_e32 v217, 24, v83
	v_perm_b32 v235, v129, v129, 0x2010003
	v_perm_b32 v197, v100, v100, 0x2010003
	;; [unrolled: 1-line block ×3, first 2 shown]
	v_dot4_i32_iu8 v236, v82, v118, 0 neg_lo:[1,1,0]
	v_perm_b32 v237, v129, v129, 0xc0c0100
	v_perm_b32 v238, v129, v129, 0xc0c0302
	;; [unrolled: 1-line block ×10, first 2 shown]
	v_pk_mul_f32 v[100:101], v[102:103], v[220:221] op_sel_hi:[0,1]
	v_pk_mul_f32 v[102:103], v[132:133], v[220:221] op_sel_hi:[0,1]
	v_ashrrev_i32_e32 v245, 24, v87
	s_set_vgpr_msb 64                       ;  msbs: dst=1 src0=0 src1=0 src2=0
	v_dual_lshlrev_b32 v27 /*v283*/, 16, v147 :: v_dual_lshlrev_b32 v28 /*v284*/, 8, v147
	v_perm_b32 v44 /*v300*/, v122, v210, 0x7030c04
	v_perm_b32 v45 /*v301*/, v209, v209, 0xc0c030c
	;; [unrolled: 1-line block ×3, first 2 shown]
	s_set_vgpr_msb 0                        ;  msbs: dst=0 src0=0 src1=0 src2=0
	v_perm_b32 v210, v206, v206, 0x2010003
	v_perm_b32 v203, v207, v207, 0x2010003
	s_set_vgpr_msb 64                       ;  msbs: dst=1 src0=0 src1=0 src2=0
	v_perm_b32 v53 /*v309*/, v206, v206, 0xc0c0100
	s_set_vgpr_msb 0                        ;  msbs: dst=0 src0=0 src1=0 src2=0
	v_perm_b32 v209, v206, v206, 0xc0c0302
	v_perm_b32 v204, v207, v207, 0xc0c0100
	;; [unrolled: 1-line block ×3, first 2 shown]
	s_set_vgpr_msb 64                       ;  msbs: dst=1 src0=0 src1=0 src2=0
	v_perm_b32 v54 /*v310*/, v97, v97, 0x2010003
	s_set_vgpr_msb 0                        ;  msbs: dst=0 src0=0 src1=0 src2=0
	v_perm_b32 v214, v228, v228, 0x2010003
	v_perm_b32 v206, v229, v229, 0x2010003
	s_set_vgpr_msb 64                       ;  msbs: dst=1 src0=0 src1=0 src2=0
	v_perm_b32 v61 /*v317*/, v228, v228, 0xc0c0100
	s_set_vgpr_msb 16                       ;  msbs: dst=0 src0=0 src1=0 src2=1
	v_perm_b32 v213, v228, v228, 0xc0c0302
	v_perm_b32 v207, v229, v229, 0xc0c0100
	v_perm_b32 v200, v229, v229, 0xc0c0302
	v_dual_lshlrev_b32 v228, 16, v145 :: v_dual_lshlrev_b32 v229, 8, v145
	v_pk_mul_f32 v[122:123], v[130:131], v[120:121]
	v_pk_mul_f32 v[120:121], v[232:233], v[220:221] op_sel_hi:[0,1]
	v_dual_lshlrev_b32 v219, 8, v137 :: v_dual_bitop2_b32 v220, v249, v250 bitop3:0x54
	v_dot4_i32_iu8 v95, v218, v95, v51 /*v307*/ neg_lo:[1,1,0]
	v_dot4_i32_iu8 v97, v218, v97, v57 /*v313*/ neg_lo:[1,1,0]
	s_set_vgpr_msb 64                       ;  msbs: dst=1 src0=0 src1=0 src2=0
	v_dual_lshlrev_b32 v66 /*v322*/, 16, v119 :: v_dual_lshlrev_b32 v30 /*v286*/, 16, v252
	s_set_vgpr_msb 0                        ;  msbs: dst=0 src0=0 src1=0 src2=0
	v_perm_b32 v244, v128, v83, 0x7020100
	v_dot4_i32_iu8 v132, v86, v118, 0 neg_lo:[1,1,0]
	s_set_vgpr_msb 64                       ;  msbs: dst=1 src0=0 src1=0 src2=0
	v_dual_ashrrev_i32 v29 /*v285*/, 24, v147 :: v_dual_lshlrev_b32 v31 /*v287*/, 8, v252
	v_dual_lshlrev_b32 v67 /*v323*/, 16, v146 :: v_dual_ashrrev_i32 v62 /*v318*/, 24, v145
	v_perm_b32 v38 /*v294*/, v147, v147, 0xc0c0003
	v_perm_b32 v49 /*v305*/, v224, v224, 0x2010003
	;; [unrolled: 1-line block ×3, first 2 shown]
	v_dual_lshlrev_b32 v71 /*v327*/, 16, v141 :: v_dual_ashrrev_i32 v73 /*v329*/, 24, v141
	v_perm_b32 v72 /*v328*/, v119, v215, 0x7030c04
	s_set_vgpr_msb 0                        ;  msbs: dst=0 src0=0 src1=0 src2=0
	v_lshlrev_b32_e32 v215, 8, v141
	v_pk_mul_f32 v[118:119], v[230:231], v[130:131]
	v_dual_lshlrev_b32 v130, 16, v139 :: v_dual_lshlrev_b32 v131, 8, v139
	v_dual_ashrrev_i32 v134, 24, v139 :: v_dual_ashrrev_i32 v221, 24, v137
	v_dot4_i32_iu8 v83, v218, v83, v236 neg_lo:[1,1,0]
	s_set_vgpr_msb 1                        ;  msbs: dst=0 src0=1 src1=0 src2=0
	v_perm_b32 v147, v27 /*v283*/, v147, 0xc0c0700
	s_set_vgpr_msb 0                        ;  msbs: dst=0 src0=0 src1=0 src2=0
	v_dot4_i32_iu8 v95, v220, v224, v95 neg_lo:[1,1,0]
	s_set_vgpr_msb 4                        ;  msbs: dst=0 src0=0 src1=1 src2=0
	v_perm_b32 v224, v252, v28 /*v284*/, 0x7030c0c
	s_set_vgpr_msb 0                        ;  msbs: dst=0 src0=0 src1=0 src2=0
	v_perm_b32 v232, v228, v145, 0xc0c0700
	v_dot4_i32_iu8 v97, v220, v226, v97 neg_lo:[1,1,0]
	s_set_vgpr_msb 1                        ;  msbs: dst=0 src0=1 src1=0 src2=0
	v_perm_b32 v226, v0 /*v256*/, v229, 0x7030c0c
	s_set_vgpr_msb 0                        ;  msbs: dst=0 src0=0 src1=0 src2=0
	v_perm_b32 v234, v128, v128, 0x2010003
	v_dot4_i32_iu8 v83, v220, v128, v83 neg_lo:[1,1,0]
	s_wait_dscnt 0x7
	v_lshlrev_b32_e32 v128, 16, v243
	s_set_vgpr_msb 1                        ;  msbs: dst=0 src0=1 src1=0 src2=0
	v_mul_i32_i24_e32 v230, v29 /*v285*/, v245
	v_mul_i32_i24_e32 v231, v62 /*v318*/, v245
	;; [unrolled: 1-line block ×3, first 2 shown]
	v_perm_b32 v247, v71 /*v327*/, v141, 0xc0c0700
	s_set_vgpr_msb 0                        ;  msbs: dst=0 src0=0 src1=0 src2=0
	v_mul_i32_i24_e32 v134, v134, v245
	v_mul_i32_i24_e32 v221, v221, v245
	s_set_vgpr_msb 1                        ;  msbs: dst=0 src0=1 src1=0 src2=0
	v_perm_b32 v245, v4 /*v260*/, v215, 0x7030c0c
	s_set_vgpr_msb 0                        ;  msbs: dst=0 src0=0 src1=0 src2=0
	v_or_b32_e32 v147, v224, v147
	v_perm_b32 v224, v130, v139, 0xc0c0700
	v_or_b32_e32 v226, v226, v232
	s_set_vgpr_msb 1                        ;  msbs: dst=0 src0=1 src1=0 src2=0
	v_perm_b32 v232, v8 /*v264*/, v131, 0x7030c0c
	s_set_vgpr_msb 0                        ;  msbs: dst=0 src0=0 src1=0 src2=0
	v_or_b32_e32 v245, v245, v247
	v_perm_b32 v247, v135, v137, 0xc0c0700
	s_set_vgpr_msb 64                       ;  msbs: dst=1 src0=0 src1=0 src2=0
	v_perm_b32 v41 /*v297*/, v222, v87, 0x7020100
	v_perm_b32 v39 /*v295*/, v252, v252, 0xc0c0003
	s_set_vgpr_msb 0                        ;  msbs: dst=0 src0=0 src1=0 src2=0
	v_or_b32_e32 v224, v232, v224
	s_set_vgpr_msb 1                        ;  msbs: dst=0 src0=1 src1=0 src2=0
	v_perm_b32 v232, v16 /*v272*/, v219, 0x7030c0c
	s_set_vgpr_msb 4                        ;  msbs: dst=0 src0=0 src1=1 src2=0
	v_lshlrev_b32_e32 v249, 8, v4 /*v260*/
	v_dot4_i32_iu8 v147, v147, v41 /*v297*/, v230 neg_lo:[1,1,0]
	s_set_vgpr_msb 0                        ;  msbs: dst=0 src0=0 src1=0 src2=0
	v_ashrrev_i32_e32 v230, 24, v243
	s_set_vgpr_msb 4                        ;  msbs: dst=0 src0=0 src1=1 src2=0
	v_dot4_i32_iu8 v236, v245, v41 /*v297*/, v236 neg_lo:[1,1,0]
	s_set_vgpr_msb 0                        ;  msbs: dst=0 src0=0 src1=0 src2=0
	v_or_b32_e32 v232, v232, v247
	v_lshlrev_b32_e32 v247, 8, v243
	s_set_vgpr_msb 4                        ;  msbs: dst=0 src0=0 src1=1 src2=0
	v_dot4_i32_iu8 v226, v226, v41 /*v297*/, v231 neg_lo:[1,1,0]
	s_wait_dscnt 0x5
	v_dual_lshlrev_b32 v231, 16, v11 /*v267*/ :: v_dual_lshlrev_b32 v245, 8, v11 /*v267*/
	v_dot4_i32_iu8 v134, v224, v41 /*v297*/, v134 neg_lo:[1,1,0]
	v_ashrrev_i32_e32 v224, 24, v11 /*v267*/
	v_dot4_i32_iu8 v221, v232, v41 /*v297*/, v221 neg_lo:[1,1,0]
	s_set_vgpr_msb 0                        ;  msbs: dst=0 src0=0 src1=0 src2=0
	v_perm_b32 v232, v128, v243, 0xc0c0700
	s_wait_dscnt 0x4
	s_set_vgpr_msb 1                        ;  msbs: dst=0 src0=1 src1=0 src2=0
	v_perm_b32 v248, v20 /*v276*/, v247, 0x7030c0c
	s_set_vgpr_msb 0                        ;  msbs: dst=0 src0=0 src1=0 src2=0
	v_mul_i32_i24_e32 v230, v230, v217
	v_mul_i32_i24_e32 v217, v224, v217
	s_set_vgpr_msb 4                        ;  msbs: dst=0 src0=0 src1=1 src2=0
	v_perm_b32 v224, v231, v11 /*v267*/, 0xc0c0700
	s_set_vgpr_msb 0                        ;  msbs: dst=0 src0=0 src1=0 src2=0
	v_perm_b32 v141, v141, v141, 0xc0c0003
	v_or_b32_e32 v232, v248, v232
	s_wait_dscnt 0x2
	s_set_vgpr_msb 1                        ;  msbs: dst=0 src0=1 src1=0 src2=0
	v_perm_b32 v248, v32 /*v288*/, v245, 0x7030c0c
	s_set_vgpr_msb 4                        ;  msbs: dst=0 src0=0 src1=1 src2=0
	v_perm_b32 v215, v215, v71 /*v327*/, 0x7030c0c
	s_set_vgpr_msb 0                        ;  msbs: dst=0 src0=0 src1=0 src2=0
	v_perm_b32 v130, v131, v130, 0x7030c0c
	s_set_vgpr_msb 4                        ;  msbs: dst=0 src0=0 src1=1 src2=0
	v_lshlrev_b32_e32 v131, 16, v8 /*v264*/
	s_set_vgpr_msb 0                        ;  msbs: dst=0 src0=0 src1=0 src2=0
	v_dot4_i32_iu8 v230, v232, v244, v230 neg_lo:[1,1,0]
	v_or_b32_e32 v224, v248, v224
	s_set_vgpr_msb 4                        ;  msbs: dst=0 src0=0 src1=1 src2=0
	v_lshlrev_b32_e32 v232, 16, v4 /*v260*/
	s_set_vgpr_msb 0                        ;  msbs: dst=0 src0=0 src1=0 src2=0
	v_perm_b32 v135, v219, v135, 0x7030c0c
	s_set_vgpr_msb 4                        ;  msbs: dst=0 src0=0 src1=1 src2=0
	v_lshlrev_b32_e32 v219, 8, v8 /*v264*/
	s_set_vgpr_msb 0                        ;  msbs: dst=0 src0=0 src1=0 src2=0
	v_perm_b32 v128, v247, v128, 0x7030c0c
	v_perm_b32 v139, v139, v139, 0xc0c0003
	s_set_vgpr_msb 5                        ;  msbs: dst=0 src0=1 src1=1 src2=0
	v_perm_b32 v247, v31 /*v287*/, v30 /*v286*/, 0x7030c0c
	s_set_vgpr_msb 0                        ;  msbs: dst=0 src0=0 src1=0 src2=0
	v_dot4_i32_iu8 v217, v224, v244, v217 neg_lo:[1,1,0]
	s_set_vgpr_msb 5                        ;  msbs: dst=0 src0=1 src1=1 src2=0
	v_perm_b32 v244, v28 /*v284*/, v27 /*v283*/, 0x7030c0c
	s_set_vgpr_msb 0                        ;  msbs: dst=0 src0=0 src1=0 src2=0
	v_perm_b32 v231, v245, v231, 0x7030c0c
	s_set_vgpr_msb 5                        ;  msbs: dst=0 src0=1 src1=1 src2=0
	v_perm_b32 v245, v8 /*v264*/, v8 /*v264*/, 0xc0c0003
	s_set_vgpr_msb 0                        ;  msbs: dst=0 src0=0 src1=0 src2=0
	v_dot4_i32_iu8 v132, v218, v87, v132 neg_lo:[1,1,0]
	s_set_vgpr_msb 4                        ;  msbs: dst=0 src0=0 src1=1 src2=0
	v_dual_lshlrev_b32 v218, 16, v16 /*v272*/ :: v_dual_bitop2_b32 v244, v244, v38 /*v294*/ bitop3:0x54
	v_dual_lshlrev_b32 v250, 8, v16 /*v272*/ :: v_dual_bitop2_b32 v247, v247, v39 /*v295*/ bitop3:0x54
	s_set_vgpr_msb 0                        ;  msbs: dst=0 src0=0 src1=0 src2=0
	v_perm_b32 v137, v137, v137, 0xc0c0003
	v_or_b32_e32 v141, v215, v141
	v_perm_b32 v215, v249, v232, 0x7030c0c
	s_set_vgpr_msb 4                        ;  msbs: dst=0 src0=0 src1=1 src2=0
	v_perm_b32 v232, v232, v4 /*v260*/, 0xc0c0700
	s_set_vgpr_msb 1                        ;  msbs: dst=0 src0=1 src1=0 src2=0
	v_perm_b32 v249, v6 /*v262*/, v249, 0x7030c0c
	s_set_vgpr_msb 0                        ;  msbs: dst=0 src0=0 src1=0 src2=0
	v_dual_add_nc_u32 v184, 4, v184 :: v_dual_bitop2_b32 v139, v130, v139 bitop3:0x54
	v_perm_b32 v130, v219, v131, 0x7030c0c
	s_set_vgpr_msb 0x44                     ;  msbs: dst=1 src0=0 src1=1 src2=0
	v_dual_lshlrev_b32 v63 /*v319*/, 16, v0 /*v256*/ :: v_dual_lshlrev_b32 v64 /*v320*/, 8, v0 /*v256*/
	s_set_vgpr_msb 0                        ;  msbs: dst=0 src0=0 src1=0 src2=0
	v_perm_b32 v145, v145, v145, 0xc0c0003
	v_perm_b32 v228, v229, v228, 0x7030c0c
	s_set_vgpr_msb 1                        ;  msbs: dst=0 src0=1 src1=0 src2=0
	v_perm_b32 v252, v30 /*v286*/, v252, 0xc0c0700
	s_set_vgpr_msb 0x44                     ;  msbs: dst=1 src0=0 src1=1 src2=0
	v_perm_b32 v27 /*v283*/, v254, v31 /*v287*/, 0x7030c0c
	s_set_vgpr_msb 0                        ;  msbs: dst=0 src0=0 src1=0 src2=0
	v_dual_add_nc_u32 v185, 4, v185 :: v_dual_bitop2_b32 v232, v249, v232 bitop3:0x54
	v_or_b32_e32 v249, v130, v245
	v_or_b32_e32 v135, v135, v137
	v_perm_b32 v137, v250, v218, 0x7030c0c
	s_set_vgpr_msb 4                        ;  msbs: dst=0 src0=0 src1=1 src2=0
	v_perm_b32 v218, v218, v16 /*v272*/, 0xc0c0700
	s_set_vgpr_msb 1                        ;  msbs: dst=0 src0=1 src1=0 src2=0
	v_perm_b32 v245, v18 /*v274*/, v250, 0x7030c0c
	s_set_vgpr_msb 64                       ;  msbs: dst=1 src0=0 src1=0 src2=0
	v_perm_b32 v42 /*v298*/, v223, v222, 0x7020100
	s_set_vgpr_msb 5                        ;  msbs: dst=0 src0=1 src1=1 src2=0
	v_perm_b32 v224, v0 /*v256*/, v0 /*v256*/, 0xc0c0003
	v_perm_b32 v229, v4 /*v260*/, v4 /*v260*/, 0xc0c0003
	s_set_vgpr_msb 1                        ;  msbs: dst=0 src0=1 src1=0 src2=0
	v_dual_add_nc_u32 v187, 4, v187 :: v_dual_bitop2_b32 v252, v27 /*v283*/, v252 bitop3:0x54
	s_set_vgpr_msb 0                        ;  msbs: dst=0 src0=0 src1=0 src2=0
	v_or_b32_e32 v145, v228, v145
	s_set_vgpr_msb 5                        ;  msbs: dst=0 src0=1 src1=1 src2=0
	v_perm_b32 v228, v64 /*v320*/, v63 /*v319*/, 0x7030c0c
	s_set_vgpr_msb 0x45                     ;  msbs: dst=1 src0=1 src1=1 src2=0
	v_perm_b32 v0 /*v256*/, v63 /*v319*/, v0 /*v256*/, 0xc0c0700
	v_perm_b32 v27 /*v283*/, v2 /*v258*/, v64 /*v320*/, 0x7030c0c
	s_set_vgpr_msb 0                        ;  msbs: dst=0 src0=0 src1=0 src2=0
	v_or_b32_e32 v218, v245, v218
	s_set_vgpr_msb 0x44                     ;  msbs: dst=1 src0=0 src1=1 src2=0
	v_lshlrev_b32_e32 v65 /*v321*/, 16, v2 /*v258*/
	s_set_vgpr_msb 0                        ;  msbs: dst=0 src0=0 src1=0 src2=0
	v_dual_add_nc_u32 v186, 4, v186 :: v_dual_bitop2_b32 v224, v228, v224 bitop3:0x54
	s_set_vgpr_msb 5                        ;  msbs: dst=0 src0=1 src1=1 src2=0
	v_perm_b32 v228, v16 /*v272*/, v16 /*v272*/, 0xc0c0003
	s_set_vgpr_msb 0x45                     ;  msbs: dst=1 src0=1 src1=1 src2=0
	v_or_b32_e32 v0 /*v256*/, v27 /*v283*/, v0 /*v256*/
	v_dual_lshlrev_b32 v27 /*v283*/, 16, v20 /*v276*/ :: v_dual_lshlrev_b32 v4 /*v260*/, 16, v1 /*v257*/
	s_set_vgpr_msb 0                        ;  msbs: dst=0 src0=0 src1=0 src2=0
	v_or_b32_e32 v215, v215, v229
	s_set_vgpr_msb 4                        ;  msbs: dst=0 src0=0 src1=1 src2=0
	v_lshlrev_b32_e32 v229, 8, v20 /*v276*/
	v_perm_b32 v131, v131, v8 /*v264*/, 0xc0c0700
	s_set_vgpr_msb 1                        ;  msbs: dst=0 src0=1 src1=0 src2=0
	v_perm_b32 v219, v14 /*v270*/, v219, 0x7030c0c
	s_set_vgpr_msb 4                        ;  msbs: dst=0 src0=0 src1=1 src2=0
	v_dot4_i32_iu8 v218, v218, v42 /*v298*/, v221 neg_lo:[1,1,0]
	s_set_vgpr_msb 0                        ;  msbs: dst=0 src0=0 src1=0 src2=0
	v_dot4_i32_iu8 v221, v139, v233, 0 neg_lo:[1,1,0]
	v_add_nc_u32_e32 v211, 0x4118, v183
	v_add_nc_u32_e32 v208, 0x6198, v183
	s_set_vgpr_msb 5                        ;  msbs: dst=0 src0=1 src1=1 src2=0
	v_perm_b32 v130, v20 /*v276*/, v20 /*v276*/, 0xc0c0003
	s_set_vgpr_msb 0                        ;  msbs: dst=0 src0=0 src1=0 src2=0
	v_dual_add_nc_u32 v181, 4, v181 :: v_dual_bitop2_b32 v131, v219, v131 bitop3:0x54
	s_set_vgpr_msb 4                        ;  msbs: dst=0 src0=0 src1=1 src2=0
	v_lshlrev_b32_e32 v219, 16, v32 /*v288*/
	s_set_vgpr_msb 0                        ;  msbs: dst=0 src0=0 src1=0 src2=0
	v_or_b32_e32 v137, v137, v228
	s_set_vgpr_msb 5                        ;  msbs: dst=0 src0=1 src1=1 src2=0
	v_lshlrev_b32_e32 v228, 8, v32 /*v288*/
	v_perm_b32 v245, v27 /*v283*/, v20 /*v276*/, 0xc0c0700
	s_set_vgpr_msb 0                        ;  msbs: dst=0 src0=0 src1=0 src2=0
	v_add_nc_u32_e32 v183, 32, v183
	s_set_vgpr_msb 64                       ;  msbs: dst=1 src0=0 src1=0 src2=0
	v_dot4_i32_iu8 v30 /*v286*/, v249, v234, v221 neg_lo:[1,1,0]
	s_set_vgpr_msb 4                        ;  msbs: dst=0 src0=0 src1=1 src2=0
	v_lshlrev_b32_e32 v221, 16, v6 /*v262*/
	v_perm_b32 v250, v229, v27 /*v283*/, 0x7030c0c
	s_set_vgpr_msb 1                        ;  msbs: dst=0 src0=1 src1=0 src2=0
	v_perm_b32 v229, v22 /*v278*/, v229, 0x7030c0c
	s_set_vgpr_msb 0                        ;  msbs: dst=0 src0=0 src1=0 src2=0
	v_perm_b32 v243, v243, v243, 0xc0c0003
	v_perm_b32 v251, v223, v223, 0xc0c0100
	s_set_vgpr_msb 64                       ;  msbs: dst=1 src0=0 src1=0 src2=0
	v_perm_b32 v52 /*v308*/, v225, v225, 0xc0c0100
	s_set_vgpr_msb 0                        ;  msbs: dst=0 src0=0 src1=0 src2=0
	v_or_b32_e32 v250, v250, v130
	v_or_b32_e32 v229, v229, v245
	s_set_vgpr_msb 5                        ;  msbs: dst=0 src0=1 src1=1 src2=0
	v_perm_b32 v245, v11 /*v267*/, v11 /*v267*/, 0xc0c0003
	s_set_vgpr_msb 4                        ;  msbs: dst=0 src0=0 src1=1 src2=0
	v_perm_b32 v130, v219, v32 /*v288*/, 0xc0c0700
	s_set_vgpr_msb 0                        ;  msbs: dst=0 src0=0 src1=0 src2=0
	v_perm_b32 v219, v228, v219, 0x7030c0c
	s_wait_dscnt 0x1
	s_set_vgpr_msb 1                        ;  msbs: dst=0 src0=1 src1=0 src2=0
	v_perm_b32 v228, v46 /*v302*/, v228, 0x7030c0c
	s_set_vgpr_msb 0                        ;  msbs: dst=0 src0=0 src1=0 src2=0
	v_or_b32_e32 v128, v128, v243
	s_set_vgpr_msb 5                        ;  msbs: dst=0 src0=1 src1=1 src2=0
	v_perm_b32 v243, v32 /*v288*/, v32 /*v288*/, 0xc0c0003
	s_set_vgpr_msb 0                        ;  msbs: dst=0 src0=0 src1=0 src2=0
	v_or_b32_e32 v231, v231, v245
	v_perm_b32 v87, v87, v87, 0x2010003
	v_or_b32_e32 v228, v228, v130
	v_dot4_i32_iu8 v130, v220, v222, v132 neg_lo:[1,1,0]
	s_set_vgpr_msb 4                        ;  msbs: dst=0 src0=0 src1=1 src2=0
	v_dot4_i32_iu8 v147, v252, v42 /*v298*/, v147 neg_lo:[1,1,0]
	s_set_vgpr_msb 5                        ;  msbs: dst=0 src0=1 src1=1 src2=0
	v_dot4_i32_iu8 v226, v0 /*v256*/, v42 /*v298*/, v226 neg_lo:[1,1,0]
	s_set_vgpr_msb 4                        ;  msbs: dst=0 src0=0 src1=1 src2=0
	v_dot4_i32_iu8 v232, v232, v42 /*v298*/, v236 neg_lo:[1,1,0]
	s_set_vgpr_msb 0                        ;  msbs: dst=0 src0=0 src1=0 src2=0
	v_dot4_i32_iu8 v236, v141, v233, 0 neg_lo:[1,1,0]
	s_set_vgpr_msb 4                        ;  msbs: dst=0 src0=0 src1=1 src2=0
	v_dot4_i32_iu8 v252, v131, v42 /*v298*/, v134 neg_lo:[1,1,0]
	v_dot4_i32_iu8 v134, v141, v48 /*v304*/, 0 neg_lo:[1,1,0]
	v_dot4_i32_iu8 v141, v141, v54 /*v310*/, 0 neg_lo:[1,1,0]
	s_set_vgpr_msb 0x44                     ;  msbs: dst=1 src0=0 src1=1 src2=0
	v_dot4_i32_iu8 v0 /*v256*/, v139, v48 /*v304*/, 0 neg_lo:[1,1,0]
	s_set_vgpr_msb 4                        ;  msbs: dst=0 src0=0 src1=1 src2=0
	v_dot4_i32_iu8 v139, v139, v54 /*v310*/, 0 neg_lo:[1,1,0]
	s_set_vgpr_msb 64                       ;  msbs: dst=1 src0=0 src1=0 src2=0
	v_dual_lshlrev_b32 v34 /*v290*/, 16, v254 :: v_dual_lshlrev_b32 v35 /*v291*/, 8, v254
	v_perm_b32 v50 /*v306*/, v225, v225, 0x2010003
	s_set_vgpr_msb 0                        ;  msbs: dst=0 src0=0 src1=0 src2=0
	v_perm_b32 v225, v225, v225, 0xc0c0302
	s_set_vgpr_msb 64                       ;  msbs: dst=1 src0=0 src1=0 src2=0
	v_perm_b32 v60 /*v316*/, v227, v227, 0xc0c0100
	s_set_vgpr_msb 4                        ;  msbs: dst=0 src0=0 src1=1 src2=0
	v_lshlrev_b32_e32 v248, 8, v2 /*v258*/
	s_set_vgpr_msb 0                        ;  msbs: dst=0 src0=0 src1=0 src2=0
	v_or_b32_e32 v219, v219, v243
	s_set_vgpr_msb 1                        ;  msbs: dst=0 src0=1 src1=0 src2=0
	v_dot4_i32_iu8 v220, v12 /*v268*/, v251, v130 neg_lo:[1,1,0]
	v_dot4_i32_iu8 v83, v12 /*v268*/, v237, v83 neg_lo:[1,1,0]
	s_set_vgpr_msb 5                        ;  msbs: dst=0 src0=1 src1=1 src2=0
	v_dot4_i32_iu8 v95, v12 /*v268*/, v52 /*v308*/, v95 neg_lo:[1,1,0]
	s_set_vgpr_msb 0                        ;  msbs: dst=0 src0=0 src1=0 src2=0
	v_dot4_i32_iu8 v132, v244, v233, 0 neg_lo:[1,1,0]
	s_set_vgpr_msb 4                        ;  msbs: dst=0 src0=0 src1=1 src2=0
	v_dot4_i32_iu8 v237, v244, v48 /*v304*/, 0 neg_lo:[1,1,0]
	v_dot4_i32_iu8 v243, v244, v54 /*v310*/, 0 neg_lo:[1,1,0]
	s_set_vgpr_msb 0                        ;  msbs: dst=0 src0=0 src1=0 src2=0
	v_dot4_i32_iu8 v229, v229, v246, v230 neg_lo:[1,1,0]
	s_set_vgpr_msb 4                        ;  msbs: dst=0 src0=0 src1=1 src2=0
	v_dot4_i32_iu8 v230, v135, v48 /*v304*/, 0 neg_lo:[1,1,0]
	s_set_vgpr_msb 0                        ;  msbs: dst=0 src0=0 src1=0 src2=0
	v_dot4_i32_iu8 v217, v228, v246, v217 neg_lo:[1,1,0]
	v_dot4_i32_iu8 v228, v128, v87, 0 neg_lo:[1,1,0]
	;; [unrolled: 1-line block ×3, first 2 shown]
	s_set_vgpr_msb 0x44                     ;  msbs: dst=1 src0=0 src1=1 src2=0
	v_dot4_i32_iu8 v29 /*v285*/, v215, v55 /*v311*/, v141 neg_lo:[1,1,0]
	s_set_vgpr_msb 0x54                     ;  msbs: dst=1 src0=0 src1=1 src2=1
	v_dot4_i32_iu8 v0 /*v256*/, v249, v49 /*v305*/, v0 /*v256*/ neg_lo:[1,1,0]
	s_set_vgpr_msb 4                        ;  msbs: dst=0 src0=0 src1=1 src2=0
	v_dot4_i32_iu8 v139, v249, v55 /*v311*/, v139 neg_lo:[1,1,0]
	s_set_vgpr_msb 0                        ;  msbs: dst=0 src0=0 src1=0 src2=0
	v_perm_b32 v141, v222, v222, 0x2010003
	v_lshlrev_b32_e32 v249, 8, v140
	v_dot4_i32_iu8 v244, v145, v233, 0 neg_lo:[1,1,0]
	s_set_vgpr_msb 4                        ;  msbs: dst=0 src0=0 src1=1 src2=0
	v_dot4_i32_iu8 v251, v145, v48 /*v304*/, 0 neg_lo:[1,1,0]
	v_dot4_i32_iu8 v145, v145, v54 /*v310*/, 0 neg_lo:[1,1,0]
	s_set_vgpr_msb 0                        ;  msbs: dst=0 src0=0 src1=0 src2=0
	v_dot4_i32_iu8 v233, v135, v233, 0 neg_lo:[1,1,0]
	s_set_vgpr_msb 4                        ;  msbs: dst=0 src0=0 src1=1 src2=0
	v_dot4_i32_iu8 v135, v135, v54 /*v310*/, 0 neg_lo:[1,1,0]
	s_set_vgpr_msb 5                        ;  msbs: dst=0 src0=1 src1=1 src2=0
	v_dot4_i32_iu8 v97, v12 /*v268*/, v60 /*v316*/, v97 neg_lo:[1,1,0]
	s_set_vgpr_msb 0x45                     ;  msbs: dst=1 src0=1 src1=1 src2=0
	v_perm_b32 v12 /*v268*/, v2 /*v258*/, v2 /*v258*/, 0xc0c0003
	s_set_vgpr_msb 64                       ;  msbs: dst=1 src0=0 src1=0 src2=0
	v_dot4_i32_iu8 v16 /*v272*/, v247, v234, v132 neg_lo:[1,1,0]
	v_dot4_i32_iu8 v27 /*v283*/, v224, v234, v244 neg_lo:[1,1,0]
	s_set_vgpr_msb 4                        ;  msbs: dst=0 src0=0 src1=1 src2=0
	v_dot4_i32_iu8 v251, v224, v49 /*v305*/, v251 neg_lo:[1,1,0]
	v_dot4_i32_iu8 v224, v224, v55 /*v311*/, v145 neg_lo:[1,1,0]
	s_set_vgpr_msb 0                        ;  msbs: dst=0 src0=0 src1=0 src2=0
	v_dot4_i32_iu8 v236, v215, v234, v236 neg_lo:[1,1,0]
	v_dot4_i32_iu8 v233, v137, v234, v233 neg_lo:[1,1,0]
	s_set_vgpr_msb 4                        ;  msbs: dst=0 src0=0 src1=1 src2=0
	v_dot4_i32_iu8 v230, v137, v49 /*v305*/, v230 neg_lo:[1,1,0]
	v_dot4_i32_iu8 v234, v137, v55 /*v311*/, v135 neg_lo:[1,1,0]
	s_set_vgpr_msb 64                       ;  msbs: dst=1 src0=0 src1=0 src2=0
	v_dot4_i32_iu8 v31 /*v287*/, v250, v141, v228 neg_lo:[1,1,0]
	s_set_vgpr_msb 4                        ;  msbs: dst=0 src0=0 src1=1 src2=0
	v_dual_lshlrev_b32 v222, 16, v14 /*v270*/ :: v_dual_lshlrev_b32 v228, 8, v14 /*v270*/
	s_set_vgpr_msb 0                        ;  msbs: dst=0 src0=0 src1=0 src2=0
	v_dot4_i32_iu8 v87, v219, v141, v87 neg_lo:[1,1,0]
	s_set_vgpr_msb 1                        ;  msbs: dst=0 src0=1 src1=0 src2=0
	v_perm_b32 v137, v34 /*v290*/, v254, 0xc0c0700
	s_set_vgpr_msb 4                        ;  msbs: dst=0 src0=0 src1=1 src2=0
	v_perm_b32 v141, v253, v35 /*v291*/, 0x7030c0c
	s_set_vgpr_msb 5                        ;  msbs: dst=0 src0=1 src1=1 src2=0
	v_perm_b32 v145, v65 /*v321*/, v2 /*v258*/, 0xc0c0700
	s_set_vgpr_msb 0x41                     ;  msbs: dst=1 src0=1 src1=0 src2=0
	v_dot4_i32_iu8 v2 /*v258*/, v24 /*v280*/, v225, v95 neg_lo:[1,1,0]
	s_set_vgpr_msb 1                        ;  msbs: dst=0 src0=1 src1=0 src2=0
	v_perm_b32 v95, v1 /*v257*/, v248, 0x7030c0c
	s_set_vgpr_msb 64                       ;  msbs: dst=1 src0=0 src1=0 src2=0
	v_perm_b32 v13 /*v269*/, v223, v223, 0xc0c0302
	s_set_vgpr_msb 0                        ;  msbs: dst=0 src0=0 src1=0 src2=0
	v_or_b32_e32 v137, v141, v137
	s_set_vgpr_msb 4                        ;  msbs: dst=0 src0=0 src1=1 src2=0
	v_perm_b32 v141, v222, v14 /*v270*/, 0xc0c0700
	s_set_vgpr_msb 64                       ;  msbs: dst=1 src0=0 src1=0 src2=0
	v_perm_b32 v43 /*v299*/, v240, v223, 0x7020100
	s_set_vgpr_msb 0                        ;  msbs: dst=0 src0=0 src1=0 src2=0
	v_or_b32_e32 v95, v95, v145
	s_set_vgpr_msb 1                        ;  msbs: dst=0 src0=1 src1=0 src2=0
	v_perm_b32 v145, v9 /*v265*/, v228, 0x7030c0c
	s_set_vgpr_msb 4                        ;  msbs: dst=0 src0=0 src1=1 src2=0
	v_dot4_i32_iu8 v246, v128, v48 /*v304*/, 0 neg_lo:[1,1,0]
	s_set_vgpr_msb 0x44                     ;  msbs: dst=1 src0=0 src1=1 src2=0
	v_dot4_i32_iu8 v11 /*v267*/, v231, v48 /*v304*/, 0 neg_lo:[1,1,0]
	s_set_vgpr_msb 4                        ;  msbs: dst=0 src0=0 src1=1 src2=0
	v_dot4_i32_iu8 v231, v231, v54 /*v310*/, 0 neg_lo:[1,1,0]
	v_lshlrev_b32_e32 v135, 8, v6 /*v262*/
	s_set_vgpr_msb 0                        ;  msbs: dst=0 src0=0 src1=0 src2=0
	v_or_b32_e32 v141, v145, v141
	s_set_vgpr_msb 64                       ;  msbs: dst=1 src0=0 src1=0 src2=0
	v_perm_b32 v40 /*v296*/, v254, v254, 0xc0c0003
	s_set_vgpr_msb 0x44                     ;  msbs: dst=1 src0=0 src1=1 src2=0
	v_dot4_i32_iu8 v28 /*v284*/, v215, v49 /*v305*/, v134 neg_lo:[1,1,0]
	v_dot4_i32_iu8 v32 /*v288*/, v250, v49 /*v305*/, v246 neg_lo:[1,1,0]
	s_set_vgpr_msb 0x54                     ;  msbs: dst=1 src0=0 src1=1 src2=1
	v_dot4_i32_iu8 v11 /*v267*/, v219, v49 /*v305*/, v11 /*v267*/ neg_lo:[1,1,0]
	s_set_vgpr_msb 4                        ;  msbs: dst=0 src0=0 src1=1 src2=0
	v_lshlrev_b32_e32 v246, 16, v18 /*v274*/
	s_set_vgpr_msb 0x44                     ;  msbs: dst=1 src0=0 src1=1 src2=0
	v_dot4_i32_iu8 v48 /*v304*/, v219, v55 /*v311*/, v231 neg_lo:[1,1,0]
	s_set_vgpr_msb 5                        ;  msbs: dst=0 src0=1 src1=1 src2=0
	v_lshlrev_b32_e32 v219, 8, v18 /*v274*/
	v_dot4_i32_iu8 v254, v24 /*v280*/, v13 /*v269*/, v220 neg_lo:[1,1,0]
	s_set_vgpr_msb 4                        ;  msbs: dst=0 src0=0 src1=1 src2=0
	v_perm_b32 v215, v221, v6 /*v262*/, 0xc0c0700
	v_dot4_i32_iu8 v141, v141, v43 /*v299*/, v252 neg_lo:[1,1,0]
	v_lshlrev_b32_e32 v252, 16, v5 /*v261*/
	s_set_vgpr_msb 1                        ;  msbs: dst=0 src0=1 src1=0 src2=0
	v_perm_b32 v220, v5 /*v261*/, v135, 0x7030c0c
	v_perm_b32 v145, v17 /*v273*/, v219, 0x7030c0c
	s_set_vgpr_msb 64                       ;  msbs: dst=1 src0=0 src1=0 src2=0
	v_perm_b32 v56 /*v312*/, v227, v227, 0x2010003
	s_set_vgpr_msb 0                        ;  msbs: dst=0 src0=0 src1=0 src2=0
	v_perm_b32 v227, v227, v227, 0xc0c0302
	s_set_vgpr_msb 4                        ;  msbs: dst=0 src0=0 src1=1 src2=0
	v_lshlrev_b32_e32 v225, 8, v22 /*v278*/
	s_set_vgpr_msb 0                        ;  msbs: dst=0 src0=0 src1=0 src2=0
	v_or_b32_e32 v215, v220, v215
	s_set_vgpr_msb 4                        ;  msbs: dst=0 src0=0 src1=1 src2=0
	v_perm_b32 v220, v246, v18 /*v274*/, 0xc0c0700
	s_set_vgpr_msb 0x44                     ;  msbs: dst=1 src0=0 src1=1 src2=0
	v_dot4_i32_iu8 v20 /*v276*/, v247, v55 /*v311*/, v243 neg_lo:[1,1,0]
	s_set_vgpr_msb 1                        ;  msbs: dst=0 src0=1 src1=0 src2=0
	v_dot4_i32_iu8 v97, v24 /*v280*/, v227, v97 neg_lo:[1,1,0]
	s_set_vgpr_msb 4                        ;  msbs: dst=0 src0=0 src1=1 src2=0
	v_dot4_i32_iu8 v244, v137, v43 /*v299*/, v147 neg_lo:[1,1,0]
	v_dot4_i32_iu8 v243, v95, v43 /*v299*/, v226 neg_lo:[1,1,0]
	s_set_vgpr_msb 0                        ;  msbs: dst=0 src0=0 src1=0 src2=0
	v_or_b32_e32 v145, v145, v220
	s_set_vgpr_msb 4                        ;  msbs: dst=0 src0=0 src1=1 src2=0
	v_lshlrev_b32_e32 v220, 16, v22 /*v278*/
	v_dual_lshlrev_b32 v226, 16, v46 /*v302*/ :: v_dual_lshlrev_b32 v227, 8, v46 /*v302*/
	v_dot4_i32_iu8 v147, v215, v43 /*v299*/, v232 neg_lo:[1,1,0]
	v_dot4_i32_iu8 v95, v145, v43 /*v299*/, v218 neg_lo:[1,1,0]
	s_delay_alu instid0(VALU_DEP_4)
	v_perm_b32 v137, v220, v22 /*v278*/, 0xc0c0700
	s_set_vgpr_msb 1                        ;  msbs: dst=0 src0=1 src1=0 src2=0
	v_perm_b32 v145, v21 /*v277*/, v225, 0x7030c0c
	s_set_vgpr_msb 4                        ;  msbs: dst=0 src0=0 src1=1 src2=0
	v_perm_b32 v215, v226, v46 /*v302*/, 0xc0c0700
	v_perm_b32 v218, v248, v65 /*v321*/, 0x7030c0c
	s_set_vgpr_msb 0                        ;  msbs: dst=0 src0=0 src1=0 src2=0
	v_perm_b32 v135, v135, v221, 0x7030c0c
	v_perm_b32 v221, v228, v222, 0x7030c0c
	v_or_b32_e32 v137, v145, v137
	s_set_vgpr_msb 1                        ;  msbs: dst=0 src0=1 src1=0 src2=0
	v_perm_b32 v145, v33 /*v289*/, v227, 0x7030c0c
	s_set_vgpr_msb 0                        ;  msbs: dst=0 src0=0 src1=0 src2=0
	v_perm_b32 v220, v225, v220, 0x7030c0c
	s_set_vgpr_msb 5                        ;  msbs: dst=0 src0=1 src1=1 src2=0
	v_perm_b32 v225, v14 /*v270*/, v14 /*v270*/, 0xc0c0003
	s_set_vgpr_msb 4                        ;  msbs: dst=0 src0=0 src1=1 src2=0
	v_dot4_i32_iu8 v128, v128, v54 /*v310*/, 0 neg_lo:[1,1,0]
	s_set_vgpr_msb 0                        ;  msbs: dst=0 src0=0 src1=0 src2=0
	v_perm_b32 v219, v219, v246, 0x7030c0c
	v_or_b32_e32 v145, v145, v215
	v_dot4_i32_iu8 v215, v137, v129, v229 neg_lo:[1,1,0]
	v_perm_b32 v222, v227, v226, 0x7030c0c
	s_set_vgpr_msb 4                        ;  msbs: dst=0 src0=0 src1=1 src2=0
	v_or_b32_e32 v226, v218, v12 /*v268*/
	s_set_vgpr_msb 5                        ;  msbs: dst=0 src0=1 src1=1 src2=0
	v_perm_b32 v218, v18 /*v274*/, v18 /*v274*/, 0xc0c0003
	s_set_vgpr_msb 0                        ;  msbs: dst=0 src0=0 src1=0 src2=0
	v_dot4_i32_iu8 v145, v145, v129, v217 neg_lo:[1,1,0]
	v_perm_b32 v129, v223, v223, 0x2010003
	s_set_vgpr_msb 5                        ;  msbs: dst=0 src0=1 src1=1 src2=0
	v_perm_b32 v223, v6 /*v262*/, v6 /*v262*/, 0xc0c0003
	v_perm_b32 v217, v35 /*v291*/, v34 /*v290*/, 0x7030c0c
	s_set_vgpr_msb 0                        ;  msbs: dst=0 src0=0 src1=0 src2=0
	v_or_b32_e32 v227, v221, v225
	s_set_vgpr_msb 5                        ;  msbs: dst=0 src0=1 src1=1 src2=0
	v_perm_b32 v221, v46 /*v302*/, v46 /*v302*/, 0xc0c0003
	s_set_vgpr_msb 64                       ;  msbs: dst=1 src0=0 src1=0 src2=0
	v_dual_lshlrev_b32 v36 /*v292*/, 16, v253 :: v_dual_lshlrev_b32 v37 /*v293*/, 8, v253
	s_set_vgpr_msb 0                        ;  msbs: dst=0 src0=0 src1=0 src2=0
	v_or_b32_e32 v223, v135, v223
	s_set_vgpr_msb 5                        ;  msbs: dst=0 src0=1 src1=1 src2=0
	v_perm_b32 v135, v22 /*v278*/, v22 /*v278*/, 0xc0c0003
	s_set_vgpr_msb 4                        ;  msbs: dst=0 src0=0 src1=1 src2=0
	v_dot4_i32_iu8 v237, v247, v49 /*v305*/, v237 neg_lo:[1,1,0]
	v_dot4_i32_iu8 v128, v250, v55 /*v311*/, v128 neg_lo:[1,1,0]
	s_set_vgpr_msb 1                        ;  msbs: dst=0 src0=1 src1=0 src2=0
	v_dot4_i32_iu8 v83, v24 /*v280*/, v238, v83 neg_lo:[1,1,0]
	s_set_vgpr_msb 4                        ;  msbs: dst=0 src0=0 src1=1 src2=0
	v_or_b32_e32 v217, v217, v40 /*v296*/
	s_set_vgpr_msb 16                       ;  msbs: dst=0 src0=0 src1=0 src2=1
	v_or_b32_e32 v229, v219, v218
	v_or_b32_e32 v232, v220, v135
	;; [unrolled: 1-line block ×3, first 2 shown]
	v_perm_b32 v196, v241, v241, 0xc0c0100
	v_perm_b32 v191, v241, v241, 0xc0c0302
	;; [unrolled: 1-line block ×4, first 2 shown]
	v_dot4_i32_iu8 v218, v226, v235, v27 /*v283*/ neg_lo:[1,1,0]
	s_set_vgpr_msb 4                        ;  msbs: dst=0 src0=0 src1=1 src2=0
	v_dot4_i32_iu8 v219, v226, v50 /*v306*/, v251 neg_lo:[1,1,0]
	v_dot4_i32_iu8 v220, v226, v56 /*v312*/, v224 neg_lo:[1,1,0]
	s_set_vgpr_msb 0                        ;  msbs: dst=0 src0=0 src1=0 src2=0
	v_dot4_i32_iu8 v225, v223, v235, v236 neg_lo:[1,1,0]
	s_set_vgpr_msb 20                       ;  msbs: dst=0 src0=0 src1=1 src2=1
	v_dot4_i32_iu8 v221, v223, v50 /*v306*/, v28 /*v284*/ neg_lo:[1,1,0]
	v_dot4_i32_iu8 v222, v223, v56 /*v312*/, v29 /*v285*/ neg_lo:[1,1,0]
	s_set_vgpr_msb 16                       ;  msbs: dst=0 src0=0 src1=0 src2=1
	v_dot4_i32_iu8 v226, v227, v235, v30 /*v286*/ neg_lo:[1,1,0]
	s_set_vgpr_msb 20                       ;  msbs: dst=0 src0=0 src1=1 src2=1
	v_dot4_i32_iu8 v223, v227, v50 /*v306*/, v0 /*v256*/ neg_lo:[1,1,0]
	s_set_vgpr_msb 4                        ;  msbs: dst=0 src0=0 src1=1 src2=0
	v_dot4_i32_iu8 v224, v227, v56 /*v312*/, v139 neg_lo:[1,1,0]
	s_set_vgpr_msb 0                        ;  msbs: dst=0 src0=0 src1=0 src2=0
	v_dot4_i32_iu8 v227, v229, v235, v233 neg_lo:[1,1,0]
	s_set_vgpr_msb 4                        ;  msbs: dst=0 src0=0 src1=1 src2=0
	v_dot4_i32_iu8 v228, v229, v50 /*v306*/, v230 neg_lo:[1,1,0]
	s_set_vgpr_msb 16                       ;  msbs: dst=0 src0=0 src1=0 src2=1
	v_dot4_i32_iu8 v230, v232, v129, v31 /*v287*/ neg_lo:[1,1,0]
	s_set_vgpr_msb 20                       ;  msbs: dst=0 src0=0 src1=1 src2=1
	v_dot4_i32_iu8 v231, v232, v50 /*v306*/, v32 /*v288*/ neg_lo:[1,1,0]
	s_set_vgpr_msb 4                        ;  msbs: dst=0 src0=0 src1=1 src2=0
	v_dot4_i32_iu8 v232, v232, v56 /*v312*/, v128 neg_lo:[1,1,0]
	s_set_vgpr_msb 0                        ;  msbs: dst=0 src0=0 src1=0 src2=0
	v_dot4_i32_iu8 v233, v238, v129, v87 neg_lo:[1,1,0]
	s_set_vgpr_msb 4                        ;  msbs: dst=0 src0=0 src1=1 src2=0
	v_lshlrev_b32_e32 v87, 8, v19 /*v275*/
	s_set_vgpr_msb 16                       ;  msbs: dst=0 src0=0 src1=0 src2=1
	v_dot4_i32_iu8 v246, v217, v235, v16 /*v272*/ neg_lo:[1,1,0]
	s_set_vgpr_msb 4                        ;  msbs: dst=0 src0=0 src1=1 src2=0
	v_dot4_i32_iu8 v247, v217, v50 /*v306*/, v237 neg_lo:[1,1,0]
	s_set_vgpr_msb 20                       ;  msbs: dst=0 src0=0 src1=1 src2=1
	v_dot4_i32_iu8 v248, v217, v56 /*v312*/, v20 /*v276*/ neg_lo:[1,1,0]
	s_set_vgpr_msb 5                        ;  msbs: dst=0 src0=1 src1=1 src2=0
	v_dot4_i32_iu8 v237, v26 /*v282*/, v61 /*v317*/, v97 neg_lo:[1,1,0]
	v_lshlrev_b32_e32 v97, 16, v23 /*v279*/
	s_set_vgpr_msb 0                        ;  msbs: dst=0 src0=0 src1=0 src2=0
	v_perm_b32 v217, v241, v241, 0x2010003
	s_set_vgpr_msb 4                        ;  msbs: dst=0 src0=0 src1=1 src2=0
	v_lshlrev_b32_e32 v241, 8, v23 /*v279*/
	s_set_vgpr_msb 1                        ;  msbs: dst=0 src0=1 src1=0 src2=0
	v_perm_b32 v128, v36 /*v292*/, v253, 0xc0c0700
	s_set_vgpr_msb 4                        ;  msbs: dst=0 src0=0 src1=1 src2=0
	v_perm_b32 v129, v255, v37 /*v293*/, 0x7030c0c
	s_set_vgpr_msb 0x44                     ;  msbs: dst=1 src0=0 src1=1 src2=0
	v_dual_lshlrev_b32 v8 /*v264*/, 8, v1 /*v257*/ :: v_dual_lshlrev_b32 v62 /*v318*/, 16, v3 /*v259*/
	v_perm_b32 v28 /*v284*/, v97, v23 /*v279*/, 0xc0c0700
	s_set_vgpr_msb 64                       ;  msbs: dst=1 src0=0 src1=0 src2=0
	v_perm_b32 v22 /*v278*/, v241, v97, 0x7030c0c
	s_set_vgpr_msb 5                        ;  msbs: dst=0 src0=1 src1=1 src2=0
	v_perm_b32 v97, v66 /*v322*/, v66 /*v322*/, 0xc0c030c
	s_set_vgpr_msb 64                       ;  msbs: dst=1 src0=0 src1=0 src2=0
	v_or_b32_e32 v66 /*v322*/, v129, v128
	s_set_vgpr_msb 0                        ;  msbs: dst=0 src0=0 src1=0 src2=0
	ds_load_2addr_b32 v[128:129], v133 offset1:7
	s_set_vgpr_msb 64                       ;  msbs: dst=1 src0=0 src1=0 src2=0
	v_perm_b32 v25 /*v281*/, v240, v240, 0xc0c0100
	v_dual_lshlrev_b32 v58 /*v314*/, 16, v255 :: v_dual_lshlrev_b32 v59 /*v315*/, 8, v255
	s_set_vgpr_msb 0x44                     ;  msbs: dst=1 src0=0 src1=1 src2=0
	v_dual_lshlrev_b32 v63 /*v319*/, 8, v3 /*v259*/ :: v_dual_lshlrev_b32 v24 /*v280*/, 8, v5 /*v261*/
	s_set_vgpr_msb 5                        ;  msbs: dst=0 src0=1 src1=1 src2=0
	v_perm_b32 v132, v3 /*v259*/, v3 /*v259*/, 0xc0c0003
	s_set_vgpr_msb 0x44                     ;  msbs: dst=1 src0=0 src1=1 src2=0
	v_dual_lshlrev_b32 v6 /*v262*/, 16, v9 /*v265*/ :: v_dual_lshlrev_b32 v49 /*v305*/, 8, v9 /*v265*/
	v_dual_lshlrev_b32 v0 /*v256*/, 16, v17 /*v273*/ :: v_dual_lshlrev_b32 v14 /*v270*/, 8, v17 /*v273*/
	s_set_vgpr_msb 4                        ;  msbs: dst=0 src0=0 src1=1 src2=0
	v_dot4_i32_iu8 v229, v229, v56 /*v312*/, v234 neg_lo:[1,1,0]
	s_set_vgpr_msb 0                        ;  msbs: dst=0 src0=0 src1=0 src2=0
	v_lshlrev_b32_e32 v139, 16, v136
	s_set_vgpr_msb 20                       ;  msbs: dst=0 src0=0 src1=1 src2=1
	v_dot4_i32_iu8 v235, v238, v56 /*v312*/, v48 /*v304*/ neg_lo:[1,1,0]
	s_set_vgpr_msb 0x45                     ;  msbs: dst=1 src0=1 src1=1 src2=0
	v_perm_b32 v56 /*v312*/, v3 /*v259*/, v8 /*v264*/, 0x7030c0c
	v_perm_b32 v55 /*v311*/, v62 /*v318*/, v3 /*v259*/, 0xc0c0700
	v_lshlrev_b32_e32 v3 /*v259*/, 16, v33 /*v289*/
	s_set_vgpr_msb 64                       ;  msbs: dst=1 src0=0 src1=0 src2=0
	v_perm_b32 v68 /*v324*/, v253, v253, 0xc0c0003
	v_perm_b32 v70 /*v326*/, v146, v146, 0xc0c0003
	s_set_vgpr_msb 0                        ;  msbs: dst=0 src0=0 src1=0 src2=0
	v_lshlrev_b32_e32 v130, 16, v144
	s_set_vgpr_msb 5                        ;  msbs: dst=0 src0=1 src1=1 src2=0
	v_perm_b32 v131, v1 /*v257*/, v1 /*v257*/, 0xc0c0003
	s_set_vgpr_msb 0x44                     ;  msbs: dst=1 src0=0 src1=1 src2=0
	v_dual_lshlrev_b32 v71 /*v327*/, 16, v7 /*v263*/ :: v_dual_lshlrev_b32 v73 /*v329*/, 8, v7 /*v263*/
	s_set_vgpr_msb 0                        ;  msbs: dst=0 src0=0 src1=0 src2=0
	v_lshlrev_b32_e32 v137, 16, v140
	s_set_vgpr_msb 0x45                     ;  msbs: dst=1 src0=1 src1=1 src2=0
	v_perm_b32 v41 /*v297*/, v5 /*v261*/, v5 /*v261*/, 0xc0c0003
	v_dual_lshlrev_b32 v74 /*v330*/, 16, v15 /*v271*/ :: v_dual_lshlrev_b32 v75 /*v331*/, 8, v15 /*v271*/
	s_set_vgpr_msb 0                        ;  msbs: dst=0 src0=0 src1=0 src2=0
	v_lshlrev_b32_e32 v135, 16, v138
	s_set_vgpr_msb 0x45                     ;  msbs: dst=1 src0=1 src1=1 src2=0
	v_perm_b32 v38 /*v294*/, v9 /*v265*/, v9 /*v265*/, 0xc0c0003
	v_lshlrev_b32_e32 v76 /*v332*/, 16, v19 /*v275*/
	s_set_vgpr_msb 20                       ;  msbs: dst=0 src0=0 src1=1 src2=1
	v_dot4_i32_iu8 v234, v238, v50 /*v306*/, v11 /*v267*/ neg_lo:[1,1,0]
	s_set_vgpr_msb 0                        ;  msbs: dst=0 src0=0 src1=0 src2=0
	v_lshlrev_b32_e32 v251, 8, v136
	s_set_vgpr_msb 5                        ;  msbs: dst=0 src0=1 src1=1 src2=0
	v_dot4_i32_iu8 v238, v26 /*v282*/, v25 /*v281*/, v254 neg_lo:[1,1,0]
	s_set_vgpr_msb 1                        ;  msbs: dst=0 src0=1 src1=0 src2=0
	v_dot4_i32_iu8 v239, v26 /*v282*/, v239, v83 neg_lo:[1,1,0]
	s_set_vgpr_msb 21                       ;  msbs: dst=0 src0=1 src1=1 src2=1
	v_lshlrev_b32_e32 v254, 16, v21 /*v277*/
	v_dot4_i32_iu8 v236, v26 /*v282*/, v53 /*v309*/, v2 /*v258*/ neg_lo:[1,1,0]
	s_set_vgpr_msb 0x44                     ;  msbs: dst=1 src0=0 src1=1 src2=0
	v_lshlrev_b32_e32 v2 /*v258*/, 8, v21 /*v277*/
	s_set_vgpr_msb 5                        ;  msbs: dst=0 src0=1 src1=1 src2=0
	v_or_b32_e32 v83, v44 /*v300*/, v45 /*v301*/
	v_perm_b32 v253, v37 /*v293*/, v36 /*v292*/, 0x7030c0c
	s_set_vgpr_msb 0x45                     ;  msbs: dst=1 src0=1 src1=1 src2=0
	v_perm_b32 v54 /*v310*/, v4 /*v260*/, v1 /*v257*/, 0xc0c0700
	v_perm_b32 v61 /*v317*/, v8 /*v264*/, v4 /*v260*/, 0x7030c0c
	s_set_vgpr_msb 0x44                     ;  msbs: dst=1 src0=0 src1=1 src2=0
	v_perm_b32 v50 /*v306*/, v252, v5 /*v261*/, 0xc0c0700
	s_set_vgpr_msb 0x41                     ;  msbs: dst=1 src0=1 src1=0 src2=0
	v_perm_b32 v57 /*v313*/, v24 /*v280*/, v252, 0x7030c0c
	s_set_vgpr_msb 0x45                     ;  msbs: dst=1 src0=1 src1=1 src2=0
	v_perm_b32 v52 /*v308*/, v7 /*v263*/, v24 /*v280*/, 0x7030c0c
	v_lshlrev_b32_e32 v4 /*v260*/, 8, v33 /*v289*/
	v_perm_b32 v48 /*v304*/, v6 /*v262*/, v9 /*v265*/, 0xc0c0700
	v_lshlrev_b32_e32 v5 /*v261*/, 16, v47 /*v303*/
	;; [unrolled: 2-line block ×3, first 2 shown]
	v_perm_b32 v36 /*v292*/, v0 /*v256*/, v17 /*v273*/, 0xc0c0700
	v_dual_lshlrev_b32 v24 /*v280*/, 16, v10 /*v266*/ :: v_dual_lshlrev_b32 v77 /*v333*/, 8, v10 /*v266*/
	v_perm_b32 v45 /*v301*/, v14 /*v270*/, v0 /*v256*/, 0x7030c0c
	v_perm_b32 v0 /*v256*/, v33 /*v289*/, v33 /*v289*/, 0xc0c0003
	v_perm_b32 v20 /*v276*/, v3 /*v259*/, v33 /*v289*/, 0xc0c0700
	s_set_vgpr_msb 64                       ;  msbs: dst=1 src0=0 src1=0 src2=0
	v_perm_b32 v46 /*v302*/, v136, v136, 0xc0c0003
	s_set_vgpr_msb 0x44                     ;  msbs: dst=1 src0=0 src1=1 src2=0
	v_perm_b32 v65 /*v321*/, v146, v59 /*v315*/, 0x7030c0c
	s_set_vgpr_msb 0x41                     ;  msbs: dst=1 src0=1 src1=0 src2=0
	v_perm_b32 v16 /*v272*/, v67 /*v323*/, v146, 0xc0c0700
	s_wait_dscnt 0x1
	v_lshlrev_b32_e32 v1 /*v257*/, 16, v143
	s_set_vgpr_msb 0                        ;  msbs: dst=0 src0=0 src1=0 src2=0
	v_perm_b32 v146, v142, v81, 0x4020c00
	s_set_vgpr_msb 64                       ;  msbs: dst=1 src0=0 src1=0 src2=0
	v_perm_b32 v33 /*v289*/, v136, v87, 0x7030c0c
	v_perm_b32 v9 /*v265*/, v139, v136, 0xc0c0700
	s_set_vgpr_msb 0                        ;  msbs: dst=0 src0=0 src1=0 src2=0
	v_perm_b32 v136, v81, v81, 0xc0c010c
	s_set_vgpr_msb 64                       ;  msbs: dst=1 src0=0 src1=0 src2=0
	v_perm_b32 v69 /*v325*/, v255, v255, 0xc0c0003
	s_set_vgpr_msb 0                        ;  msbs: dst=0 src0=0 src1=0 src2=0
	v_lshlrev_b32_e32 v245, 8, v144
	v_perm_b32 v134, v144, v144, 0xc0c0003
	s_set_vgpr_msb 0x45                     ;  msbs: dst=1 src0=1 src1=1 src2=0
	v_perm_b32 v42 /*v298*/, v7 /*v263*/, v7 /*v263*/, 0xc0c0003
	s_set_vgpr_msb 64                       ;  msbs: dst=1 src0=0 src1=0 src2=0
	v_perm_b32 v39 /*v295*/, v140, v140, 0xc0c0003
	s_set_vgpr_msb 0                        ;  msbs: dst=0 src0=0 src1=0 src2=0
	v_lshlrev_b32_e32 v250, 8, v138
	s_set_vgpr_msb 0x45                     ;  msbs: dst=1 src0=1 src1=1 src2=0
	v_perm_b32 v40 /*v296*/, v15 /*v271*/, v15 /*v271*/, 0xc0c0003
	s_set_vgpr_msb 64                       ;  msbs: dst=1 src0=0 src1=0 src2=0
	v_perm_b32 v43 /*v299*/, v138, v138, 0xc0c0003
	s_set_vgpr_msb 0x45                     ;  msbs: dst=1 src0=1 src1=1 src2=0
	v_perm_b32 v34 /*v290*/, v17 /*v273*/, v17 /*v273*/, 0xc0c0003
	v_perm_b32 v35 /*v291*/, v19 /*v275*/, v19 /*v275*/, 0xc0c0003
	s_set_vgpr_msb 0x41                     ;  msbs: dst=1 src0=1 src1=0 src2=0
	v_dual_lshlrev_b32 v25 /*v281*/, 16, v242 :: v_dual_lshlrev_b32 v26 /*v282*/, 8, v242
	v_perm_b32 v60 /*v316*/, v58 /*v314*/, v255, 0xc0c0700
	s_set_vgpr_msb 0x45                     ;  msbs: dst=1 src0=1 src1=1 src2=0
	v_perm_b32 v13 /*v269*/, v21 /*v277*/, v21 /*v277*/, 0xc0c0003
	v_perm_b32 v11 /*v267*/, v23 /*v279*/, v23 /*v279*/, 0xc0c0003
	;; [unrolled: 1-line block ×7, first 2 shown]
	s_set_vgpr_msb 0x44                     ;  msbs: dst=1 src0=0 src1=1 src2=0
	v_perm_b32 v30 /*v286*/, v254, v21 /*v277*/, 0xc0c0700
	s_set_vgpr_msb 0x45                     ;  msbs: dst=1 src0=1 src1=1 src2=0
	v_perm_b32 v31 /*v287*/, v23 /*v279*/, v2 /*v258*/, 0x7030c0c
	s_set_vgpr_msb 64                       ;  msbs: dst=1 src0=0 src1=0 src2=0
	v_perm_b32 v29 /*v285*/, v242, v241, 0x7030c0c
	s_set_vgpr_msb 0x41                     ;  msbs: dst=1 src0=1 src1=0 src2=0
	v_perm_b32 v23 /*v279*/, v2 /*v258*/, v254, 0x7030c0c
	s_set_vgpr_msb 5                        ;  msbs: dst=0 src0=1 src1=1 src2=0
	v_perm_b32 v255, v47 /*v303*/, v47 /*v303*/, 0xc0c0003
	v_perm_b32 v254, v10 /*v266*/, v10 /*v266*/, 0xc0c0003
	s_set_vgpr_msb 0x45                     ;  msbs: dst=1 src0=1 src1=1 src2=0
	v_perm_b32 v21 /*v277*/, v47 /*v303*/, v4 /*v260*/, 0x7030c0c
	v_perm_b32 v18 /*v274*/, v5 /*v261*/, v47 /*v303*/, 0xc0c0700
	;; [unrolled: 1-line block ×4, first 2 shown]
	s_set_vgpr_msb 5                        ;  msbs: dst=0 src0=1 src1=1 src2=0
	v_perm_b32 v241, v59 /*v315*/, v58 /*v314*/, 0x7030c0c
	s_set_vgpr_msb 0x45                     ;  msbs: dst=1 src0=1 src1=1 src2=0
	v_perm_b32 v64 /*v320*/, v63 /*v319*/, v62 /*v318*/, 0x7030c0c
	s_set_vgpr_msb 0x44                     ;  msbs: dst=1 src0=0 src1=1 src2=0
	v_perm_b32 v63 /*v319*/, v144, v63 /*v319*/, 0x7030c0c
	s_set_vgpr_msb 64                       ;  msbs: dst=1 src0=0 src1=0 src2=0
	v_perm_b32 v15 /*v271*/, v130, v144, 0xc0c0700
	v_lshlrev_b32_e32 v2 /*v258*/, 8, v143
	s_set_vgpr_msb 0x44                     ;  msbs: dst=1 src0=0 src1=1 src2=0
	v_perm_b32 v59 /*v315*/, v140, v73 /*v329*/, 0x7030c0c
	s_set_vgpr_msb 64                       ;  msbs: dst=1 src0=0 src1=0 src2=0
	v_perm_b32 v14 /*v270*/, v137, v140, 0xc0c0700
	s_set_vgpr_msb 0x44                     ;  msbs: dst=1 src0=0 src1=1 src2=0
	v_perm_b32 v47 /*v303*/, v138, v75 /*v331*/, 0x7030c0c
	s_set_vgpr_msb 64                       ;  msbs: dst=1 src0=0 src1=0 src2=0
	v_perm_b32 v10 /*v266*/, v135, v138, 0xc0c0700
	s_set_vgpr_msb 0                        ;  msbs: dst=0 src0=0 src1=0 src2=0
	v_perm_b32 v144, v142, v142, 0xc030201
	s_set_vgpr_msb 4                        ;  msbs: dst=0 src0=0 src1=1 src2=0
	v_perm_b32 v138, v87, v76 /*v332*/, 0x7030c0c
	s_set_vgpr_msb 0                        ;  msbs: dst=0 src0=0 src1=0 src2=0
	v_perm_b32 v252, v143, v143, 0xc0c0003
	s_set_vgpr_msb 0x45                     ;  msbs: dst=1 src0=1 src1=1 src2=0
	v_perm_b32 v8 /*v264*/, v4 /*v260*/, v3 /*v259*/, 0x7030c0c
	s_set_vgpr_msb 0                        ;  msbs: dst=0 src0=0 src1=0 src2=0
	v_perm_b32 v140, v142, v142, 0xc0c0100
	s_set_vgpr_msb 0x45                     ;  msbs: dst=1 src0=1 src1=1 src2=0
	v_perm_b32 v7 /*v263*/, v6 /*v262*/, v5 /*v261*/, 0x7030c0c
	;; [unrolled: 4-line block ×3, first 2 shown]
	s_set_vgpr_msb 0x44                     ;  msbs: dst=1 src0=0 src1=1 src2=0
	v_perm_b32 v24 /*v280*/, v143, v77 /*v333*/, 0x7030c0c
	s_set_vgpr_msb 0x41                     ;  msbs: dst=1 src0=1 src1=0 src2=0
	v_perm_b32 v5 /*v261*/, v1 /*v257*/, v143, 0xc0c0700
	s_set_vgpr_msb 0                        ;  msbs: dst=0 src0=0 src1=0 src2=0
	v_perm_b32 v142, v116, v81, 0x4020c00
	v_or_b32_e32 v143, v146, v136
	s_set_vgpr_msb 64                       ;  msbs: dst=1 src0=0 src1=0 src2=0
	v_dual_lshlrev_b32 v3 /*v259*/, 16, v99 :: v_dual_lshlrev_b32 v4 /*v260*/, 8, v99
	s_set_vgpr_msb 4                        ;  msbs: dst=0 src0=0 src1=1 src2=0
	v_perm_b32 v146, v216, v67 /*v323*/, 0x7030c0c
	s_set_vgpr_msb 64                       ;  msbs: dst=1 src0=0 src1=0 src2=0
	v_perm_b32 v12 /*v268*/, v242, v242, 0xc0c0003
	s_set_vgpr_msb 0x41                     ;  msbs: dst=1 src0=1 src1=0 src2=0
	v_perm_b32 v27 /*v283*/, v25 /*v281*/, v242, 0xc0c0700
	s_set_vgpr_msb 0                        ;  msbs: dst=0 src0=0 src1=0 src2=0
	v_or_b32_e32 v142, v142, v136
	s_set_vgpr_msb 4                        ;  msbs: dst=0 src0=0 src1=1 src2=0
	v_or_b32_e32 v242, v241, v69 /*v325*/
	s_set_vgpr_msb 0                        ;  msbs: dst=0 src0=0 src1=0 src2=0
	v_perm_b32 v136, v99, v99, 0xc0c0003
	s_set_vgpr_msb 4                        ;  msbs: dst=0 src0=0 src1=1 src2=0
	v_or_b32_e32 v241, v146, v70 /*v326*/
	s_set_vgpr_msb 5                        ;  msbs: dst=0 src0=1 src1=1 src2=0
	v_perm_b32 v146, v4 /*v260*/, v3 /*v259*/, 0x7030c0c
	s_set_vgpr_msb 0x45                     ;  msbs: dst=1 src0=1 src1=1 src2=0
	v_or_b32_e32 v60 /*v316*/, v65 /*v321*/, v60 /*v316*/
	s_wait_dscnt 0x0
	s_set_vgpr_msb 0x41                     ;  msbs: dst=1 src0=1 src1=0 src2=0
	v_dual_lshlrev_b32 v65 /*v321*/, 16, v129 :: v_dual_bitop2_b32 v61 /*v317*/, v61 /*v317*/, v131 bitop3:0x54
	v_lshlrev_b32_e32 v67 /*v323*/, 8, v129
	s_set_vgpr_msb 0                        ;  msbs: dst=0 src0=0 src1=0 src2=0
	v_perm_b32 v130, v245, v130, 0x7030c0c
	s_set_vgpr_msb 4                        ;  msbs: dst=0 src0=0 src1=1 src2=0
	v_or_b32_e32 v253, v253, v68 /*v324*/
	s_set_vgpr_msb 0                        ;  msbs: dst=0 src0=0 src1=0 src2=0
	v_or_b32_e32 v146, v146, v136
	v_add_nc_u32_e32 v136, 0xc00, v182
	v_perm_b32 v131, v129, v129, 0xc0c0003
	s_set_vgpr_msb 64                       ;  msbs: dst=1 src0=0 src1=0 src2=0
	v_or_b32_e32 v68 /*v324*/, v130, v134
	s_set_vgpr_msb 5                        ;  msbs: dst=0 src0=1 src1=1 src2=0
	v_perm_b32 v130, v67 /*v323*/, v65 /*v321*/, 0x7030c0c
	s_set_vgpr_msb 0x45                     ;  msbs: dst=1 src0=1 src1=1 src2=0
	v_or_b32_e32 v54 /*v310*/, v56 /*v312*/, v54 /*v310*/
	v_or_b32_e32 v41 /*v297*/, v57 /*v313*/, v41 /*v297*/
	s_set_vgpr_msb 0                        ;  msbs: dst=0 src0=0 src1=0 src2=0
	v_perm_b32 v134, v249, v137, 0x7030c0c
	s_set_vgpr_msb 0x45                     ;  msbs: dst=1 src0=1 src1=1 src2=0
	v_perm_b32 v62 /*v318*/, v73 /*v329*/, v71 /*v327*/, 0x7030c0c
	s_set_vgpr_msb 64                       ;  msbs: dst=1 src0=0 src1=0 src2=0
	v_or_b32_e32 v69 /*v325*/, v130, v131
	s_set_vgpr_msb 0                        ;  msbs: dst=0 src0=0 src1=0 src2=0
	ds_load_2addr_b32 v[130:131], v136 offset1:7
	s_set_vgpr_msb 0x41                     ;  msbs: dst=1 src0=1 src1=0 src2=0
	v_or_b32_e32 v64 /*v320*/, v64 /*v320*/, v132
	s_set_vgpr_msb 0                        ;  msbs: dst=0 src0=0 src1=0 src2=0
	v_add_nc_u32_e32 v132, 0x1000, v182
	s_set_vgpr_msb 0x44                     ;  msbs: dst=1 src0=0 src1=1 src2=0
	v_or_b32_e32 v39 /*v295*/, v134, v39 /*v295*/
	s_set_vgpr_msb 0x45                     ;  msbs: dst=1 src0=1 src1=1 src2=0
	v_or_b32_e32 v42 /*v298*/, v62 /*v318*/, v42 /*v298*/
	v_or_b32_e32 v50 /*v306*/, v52 /*v308*/, v50 /*v306*/
	;; [unrolled: 1-line block ×3, first 2 shown]
	s_set_vgpr_msb 0                        ;  msbs: dst=0 src0=0 src1=0 src2=0
	v_perm_b32 v135, v250, v135, 0x7030c0c
	s_set_vgpr_msb 0x45                     ;  msbs: dst=1 src0=1 src1=1 src2=0
	v_perm_b32 v58 /*v314*/, v75 /*v331*/, v74 /*v330*/, 0x7030c0c
	v_or_b32_e32 v34 /*v290*/, v45 /*v301*/, v34 /*v290*/
	s_set_vgpr_msb 0x44                     ;  msbs: dst=1 src0=0 src1=1 src2=0
	v_or_b32_e32 v35 /*v291*/, v138, v35 /*v291*/
	s_set_vgpr_msb 0                        ;  msbs: dst=0 src0=0 src1=0 src2=0
	v_perm_b32 v139, v251, v139, 0x7030c0c
	s_set_vgpr_msb 0x44                     ;  msbs: dst=1 src0=0 src1=1 src2=0
	v_or_b32_e32 v43 /*v299*/, v135, v43 /*v299*/
	s_set_vgpr_msb 0x45                     ;  msbs: dst=1 src0=1 src1=1 src2=0
	v_or_b32_e32 v40 /*v296*/, v58 /*v314*/, v40 /*v296*/
	s_set_vgpr_msb 0                        ;  msbs: dst=0 src0=0 src1=0 src2=0
	v_perm_b32 v202, v240, v240, 0xc0c0302
	v_perm_b32 v240, v240, v240, 0x2010003
	s_set_vgpr_msb 0x44                     ;  msbs: dst=1 src0=0 src1=1 src2=0
	v_or_b32_e32 v46 /*v302*/, v139, v46 /*v302*/
	s_set_vgpr_msb 0x45                     ;  msbs: dst=1 src0=1 src1=1 src2=0
	v_or_b32_e32 v48 /*v304*/, v49 /*v305*/, v48 /*v304*/
	v_or_b32_e32 v30 /*v286*/, v31 /*v287*/, v30 /*v286*/
	;; [unrolled: 1-line block ×3, first 2 shown]
	s_wait_dscnt 0x0
	s_set_vgpr_msb 64                       ;  msbs: dst=1 src0=0 src1=0 src2=0
	v_dual_lshlrev_b32 v56 /*v312*/, 16, v131 :: v_dual_lshlrev_b32 v57 /*v313*/, 8, v131
	s_set_vgpr_msb 0                        ;  msbs: dst=0 src0=0 src1=0 src2=0
	v_perm_b32 v133, v131, v131, 0xc0c0003
	s_set_vgpr_msb 0x45                     ;  msbs: dst=1 src0=1 src1=1 src2=0
	v_or_b32_e32 v20 /*v276*/, v21 /*v277*/, v20 /*v276*/
	v_or_b32_e32 v0 /*v256*/, v8 /*v264*/, v0 /*v256*/
	;; [unrolled: 1-line block ×3, first 2 shown]
	s_set_vgpr_msb 5                        ;  msbs: dst=0 src0=1 src1=1 src2=0
	v_perm_b32 v134, v57 /*v313*/, v56 /*v312*/, 0x7030c0c
	s_set_vgpr_msb 0x45                     ;  msbs: dst=1 src0=1 src1=1 src2=0
	v_or_b32_e32 v51 /*v307*/, v59 /*v315*/, v51 /*v307*/
	v_or_b32_e32 v32 /*v288*/, v33 /*v289*/, v32 /*v288*/
	;; [unrolled: 1-line block ×3, first 2 shown]
	v_perm_b32 v25 /*v281*/, v26 /*v282*/, v25 /*v281*/, 0x7030c0c
	s_set_vgpr_msb 64                       ;  msbs: dst=1 src0=0 src1=0 src2=0
	v_or_b32_e32 v62 /*v318*/, v134, v133
	s_set_vgpr_msb 0                        ;  msbs: dst=0 src0=0 src1=0 src2=0
	ds_load_2addr_b32 v[132:133], v132 offset1:7
	v_add_nc_u32_e32 v134, 0x1400, v182
	s_set_vgpr_msb 0x44                     ;  msbs: dst=1 src0=0 src1=1 src2=0
	v_perm_b32 v26 /*v282*/, v117, v26 /*v282*/, 0x7030c0c
	s_set_vgpr_msb 0x45                     ;  msbs: dst=1 src0=1 src1=1 src2=0
	v_or_b32_e32 v11 /*v267*/, v22 /*v278*/, v11 /*v267*/
	s_set_vgpr_msb 64                       ;  msbs: dst=1 src0=0 src1=0 src2=0
	v_lshlrev_b32_e32 v21 /*v277*/, 16, v117
	s_set_vgpr_msb 0x45                     ;  msbs: dst=1 src0=1 src1=1 src2=0
	v_or_b32_e32 v18 /*v274*/, v19 /*v275*/, v18 /*v274*/
	s_set_vgpr_msb 0                        ;  msbs: dst=0 src0=0 src1=0 src2=0
	v_perm_b32 v216, v99, v216, 0x7030c0c
	v_perm_b32 v249, v131, v249, 0x7030c0c
	s_set_vgpr_msb 1                        ;  msbs: dst=0 src0=1 src1=0 src2=0
	v_or_b32_e32 v255, v7 /*v263*/, v255
	v_perm_b32 v99, v3 /*v259*/, v99, 0xc0c0700
	s_set_vgpr_msb 0x44                     ;  msbs: dst=1 src0=0 src1=1 src2=0
	v_perm_b32 v3 /*v259*/, v98, v4 /*v260*/, 0x4030c0c
	s_set_vgpr_msb 1                        ;  msbs: dst=0 src0=1 src1=0 src2=0
	v_dot4_i32_iu8 v244, v66 /*v322*/, v212, v244 neg_lo:[1,1,0]
	s_set_vgpr_msb 0                        ;  msbs: dst=0 src0=0 src1=0 src2=0
	v_dot4_i32_iu8 v246, v253, v197, v246 neg_lo:[1,1,0]
	v_dot4_i32_iu8 v247, v253, v210, v247 neg_lo:[1,1,0]
	;; [unrolled: 1-line block ×3, first 2 shown]
	s_set_vgpr_msb 1                        ;  msbs: dst=0 src0=1 src1=0 src2=0
	v_dot4_i32_iu8 v243, v54 /*v310*/, v212, v243 neg_lo:[1,1,0]
	v_dot4_i32_iu8 v218, v61 /*v317*/, v197, v218 neg_lo:[1,1,0]
	v_dot4_i32_iu8 v219, v61 /*v317*/, v210, v219 neg_lo:[1,1,0]
	v_dot4_i32_iu8 v220, v61 /*v317*/, v214, v220 neg_lo:[1,1,0]
	v_dot4_i32_iu8 v225, v41 /*v297*/, v197, v225 neg_lo:[1,1,0]
	s_wait_dscnt 0x0
	s_set_vgpr_msb 64                       ;  msbs: dst=1 src0=0 src1=0 src2=0
	v_dual_lshlrev_b32 v52 /*v308*/, 16, v133 :: v_dual_lshlrev_b32 v53 /*v309*/, 8, v133
	s_set_vgpr_msb 0                        ;  msbs: dst=0 src0=0 src1=0 src2=0
	v_perm_b32 v136, v133, v133, 0xc0c0003
	v_perm_b32 v250, v133, v250, 0x7030c0c
	s_set_vgpr_msb 1                        ;  msbs: dst=0 src0=1 src1=0 src2=0
	v_dot4_i32_iu8 v147, v50 /*v306*/, v212, v147 neg_lo:[1,1,0]
	v_dot4_i32_iu8 v221, v41 /*v297*/, v210, v221 neg_lo:[1,1,0]
	s_set_vgpr_msb 5                        ;  msbs: dst=0 src0=1 src1=1 src2=0
	v_perm_b32 v135, v53 /*v309*/, v52 /*v308*/, 0x7030c0c
	s_set_vgpr_msb 1                        ;  msbs: dst=0 src0=1 src1=0 src2=0
	v_dot4_i32_iu8 v222, v41 /*v297*/, v214, v222 neg_lo:[1,1,0]
	v_dot4_i32_iu8 v226, v38 /*v294*/, v197, v226 neg_lo:[1,1,0]
	;; [unrolled: 1-line block ×4, first 2 shown]
	s_set_vgpr_msb 64                       ;  msbs: dst=1 src0=0 src1=0 src2=0
	v_or_b32_e32 v58 /*v314*/, v135, v136
	s_set_vgpr_msb 0                        ;  msbs: dst=0 src0=0 src1=0 src2=0
	ds_load_2addr_b32 v[134:135], v134 offset1:7
	ds_load_2addr_b32 v[136:137], v211 offset1:1
	s_set_vgpr_msb 5                        ;  msbs: dst=0 src0=1 src1=1 src2=0
	v_or_b32_e32 v211, v47 /*v303*/, v44 /*v300*/
	s_set_vgpr_msb 1                        ;  msbs: dst=0 src0=1 src1=0 src2=0
	v_dot4_i32_iu8 v224, v38 /*v294*/, v214, v224 neg_lo:[1,1,0]
	v_dot4_i32_iu8 v197, v34 /*v290*/, v197, v227 neg_lo:[1,1,0]
	;; [unrolled: 1-line block ×6, first 2 shown]
	s_set_vgpr_msb 64                       ;  msbs: dst=1 src0=0 src1=0 src2=0
	v_perm_b32 v31 /*v287*/, v81, v80, 0x7020100
	s_set_vgpr_msb 0x45                     ;  msbs: dst=1 src0=1 src1=1 src2=0
	v_or_b32_e32 v26 /*v282*/, v26 /*v282*/, v27 /*v283*/
	v_or_b32_e32 v12 /*v268*/, v25 /*v281*/, v12 /*v268*/
	s_set_vgpr_msb 64                       ;  msbs: dst=1 src0=0 src1=0 src2=0
	v_perm_b32 v19 /*v275*/, v84, v84, 0x2010003
	s_set_vgpr_msb 0x45                     ;  msbs: dst=1 src0=1 src1=1 src2=0
	v_or_b32_e32 v17 /*v273*/, v24 /*v280*/, v17 /*v273*/
	s_set_vgpr_msb 64                       ;  msbs: dst=1 src0=0 src1=0 src2=0
	v_perm_b32 v24 /*v280*/, v85, v84, 0x7020100
	s_set_vgpr_msb 0                        ;  msbs: dst=0 src0=0 src1=0 src2=0
	v_perm_b32 v245, v129, v245, 0x7030c0c
	s_set_vgpr_msb 4                        ;  msbs: dst=0 src0=0 src1=1 src2=0
	v_or_b32_e32 v249, v249, v14 /*v270*/
	s_set_vgpr_msb 1                        ;  msbs: dst=0 src0=1 src1=0 src2=0
	v_perm_b32 v131, v56 /*v312*/, v131, 0xc0c0700
	s_set_vgpr_msb 4                        ;  msbs: dst=0 src0=0 src1=1 src2=0
	v_or_b32_e32 v250, v250, v10 /*v266*/
	s_set_vgpr_msb 1                        ;  msbs: dst=0 src0=1 src1=0 src2=0
	v_perm_b32 v133, v52 /*v308*/, v133, 0xc0c0700
	s_wait_dscnt 0x1
	s_set_vgpr_msb 64                       ;  msbs: dst=1 src0=0 src1=0 src2=0
	v_lshlrev_b32_e32 v44 /*v300*/, 16, v135
	s_set_vgpr_msb 0                        ;  msbs: dst=0 src0=0 src1=0 src2=0
	v_perm_b32 v138, v135, v135, 0xc0c0003
	s_set_vgpr_msb 64                       ;  msbs: dst=1 src0=0 src1=0 src2=0
	v_lshlrev_b32_e32 v45 /*v301*/, 8, v135
	s_set_vgpr_msb 0                        ;  msbs: dst=0 src0=0 src1=0 src2=0
	v_perm_b32 v251, v135, v251, 0x7030c0c
	s_wait_dscnt 0x0
	s_set_vgpr_msb 64                       ;  msbs: dst=1 src0=0 src1=0 src2=0
	v_perm_b32 v27 /*v283*/, v136, v136, 0x2010003
	s_set_vgpr_msb 1                        ;  msbs: dst=0 src0=1 src1=0 src2=0
	v_perm_b32 v135, v44 /*v300*/, v135, 0xc0c0700
	s_set_vgpr_msb 64                       ;  msbs: dst=1 src0=0 src1=0 src2=0
	v_perm_b32 v8 /*v264*/, v117, v117, 0xc0c0003
	s_set_vgpr_msb 5                        ;  msbs: dst=0 src0=1 src1=1 src2=0
	v_perm_b32 v139, v45 /*v301*/, v44 /*v300*/, 0x7030c0c
	s_set_vgpr_msb 4                        ;  msbs: dst=0 src0=0 src1=1 src2=0
	v_or_b32_e32 v251, v251, v9 /*v265*/
	s_set_vgpr_msb 64                       ;  msbs: dst=1 src0=0 src1=0 src2=0
	v_lshlrev_b32_e32 v9 /*v265*/, 8, v117
	s_set_vgpr_msb 1                        ;  msbs: dst=0 src0=1 src1=0 src2=0
	v_or_b32_e32 v254, v6 /*v262*/, v254
	s_set_vgpr_msb 0x45                     ;  msbs: dst=1 src0=1 src1=1 src2=0
	v_perm_b32 v1 /*v257*/, v2 /*v258*/, v1 /*v257*/, 0x7030c0c
	s_set_vgpr_msb 64                       ;  msbs: dst=1 src0=0 src1=0 src2=0
	v_or_b32_e32 v47 /*v303*/, v139, v138
	s_set_vgpr_msb 0                        ;  msbs: dst=0 src0=0 src1=0 src2=0
	ds_load_2addr_b32 v[138:139], v208 offset1:1
	s_set_vgpr_msb 5                        ;  msbs: dst=0 src0=1 src1=1 src2=0
	v_or_b32_e32 v208, v37 /*v293*/, v36 /*v292*/
	s_set_vgpr_msb 64                       ;  msbs: dst=1 src0=0 src1=0 src2=0
	v_perm_b32 v36 /*v292*/, v80, v80, 0x2010003
	s_set_vgpr_msb 0x44                     ;  msbs: dst=1 src0=0 src1=1 src2=0
	v_perm_b32 v37 /*v293*/, v130, v57 /*v313*/, 0x4030c0c
	v_perm_b32 v44 /*v300*/, v134, v45 /*v301*/, 0x4030c0c
	;; [unrolled: 1-line block ×3, first 2 shown]
	s_set_vgpr_msb 0                        ;  msbs: dst=0 src0=0 src1=0 src2=0
	v_dot4_i32_iu8 v95, v208, v212, v95 neg_lo:[1,1,0]
	s_set_vgpr_msb 1                        ;  msbs: dst=0 src0=1 src1=0 src2=0
	v_dot4_i32_iu8 v208, v34 /*v290*/, v210, v228 neg_lo:[1,1,0]
	v_dot4_i32_iu8 v212, v34 /*v290*/, v214, v229 neg_lo:[1,1,0]
	;; [unrolled: 1-line block ×6, first 2 shown]
	s_set_vgpr_msb 0x44                     ;  msbs: dst=1 src0=0 src1=1 src2=0
	v_perm_b32 v2 /*v258*/, v82, v2 /*v258*/, 0x4030c0c
	s_set_vgpr_msb 1                        ;  msbs: dst=0 src0=1 src1=0 src2=0
	v_or_b32_e32 v99, v3 /*v259*/, v99
	v_perm_b32 v117, v21 /*v277*/, v117, 0xc0c0700
	s_set_vgpr_msb 0x45                     ;  msbs: dst=1 src0=1 src1=1 src2=0
	v_perm_b32 v3 /*v259*/, v9 /*v265*/, v21 /*v277*/, 0x7030c0c
	s_set_vgpr_msb 0x44                     ;  msbs: dst=1 src0=0 src1=1 src2=0
	v_perm_b32 v4 /*v260*/, v82, v9 /*v265*/, 0x4030c0c
	s_set_vgpr_msb 0                        ;  msbs: dst=0 src0=0 src1=0 src2=0
	v_dot4_i32_iu8 v202, v201, v202, v238 neg_lo:[1,1,0]
	v_dot4_i32_iu8 v230, v242, v192, v246 neg_lo:[1,1,0]
	s_wait_dscnt 0x0
	s_set_vgpr_msb 64                       ;  msbs: dst=1 src0=0 src1=0 src2=0
	v_perm_b32 v22 /*v278*/, v138, v138, 0x2010003
	s_set_vgpr_msb 0                        ;  msbs: dst=0 src0=0 src1=0 src2=0
	v_dot4_i32_iu8 v194, v201, v194, v239 neg_lo:[1,1,0]
	s_set_vgpr_msb 1                        ;  msbs: dst=0 src0=1 src1=0 src2=0
	v_dot4_i32_iu8 v231, v60 /*v316*/, v205, v244 neg_lo:[1,1,0]
	s_set_vgpr_msb 0                        ;  msbs: dst=0 src0=0 src1=0 src2=0
	v_dot4_i32_iu8 v232, v242, v203, v247 neg_lo:[1,1,0]
	v_dot4_i32_iu8 v209, v201, v209, v236 neg_lo:[1,1,0]
	;; [unrolled: 1-line block ×4, first 2 shown]
	s_set_vgpr_msb 1                        ;  msbs: dst=0 src0=1 src1=0 src2=0
	v_dot4_i32_iu8 v213, v64 /*v320*/, v192, v218 neg_lo:[1,1,0]
	v_dot4_i32_iu8 v218, v55 /*v311*/, v205, v243 neg_lo:[1,1,0]
	;; [unrolled: 1-line block ×8, first 2 shown]
	s_set_vgpr_msb 0                        ;  msbs: dst=0 src0=0 src1=0 src2=0
	v_dot4_i32_iu8 v141, v211, v205, v141 neg_lo:[1,1,0]
	s_set_vgpr_msb 1                        ;  msbs: dst=0 src0=1 src1=0 src2=0
	v_dot4_i32_iu8 v211, v40 /*v296*/, v203, v223 neg_lo:[1,1,0]
	v_dot4_i32_iu8 v223, v40 /*v296*/, v206, v224 neg_lo:[1,1,0]
	;; [unrolled: 1-line block ×11, first 2 shown]
	s_set_vgpr_msb 0                        ;  msbs: dst=0 src0=0 src1=0 src2=0
	v_dot4_i32_iu8 v193, v255, v217, v199 neg_lo:[1,1,0]
	v_dot4_i32_iu8 v199, v255, v203, v210 neg_lo:[1,1,0]
	;; [unrolled: 1-line block ×3, first 2 shown]
	s_set_vgpr_msb 64                       ;  msbs: dst=1 src0=0 src1=0 src2=0
	v_perm_b32 v33 /*v289*/, v81, v81, 0x6010407
	v_perm_b32 v23 /*v279*/, v137, v137, 0x6010407
	;; [unrolled: 1-line block ×3, first 2 shown]
	s_set_vgpr_msb 4                        ;  msbs: dst=0 src0=0 src1=1 src2=0
	v_or_b32_e32 v216, v216, v16 /*v272*/
	s_set_vgpr_msb 64                       ;  msbs: dst=1 src0=0 src1=0 src2=0
	v_perm_b32 v16 /*v272*/, v86, v85, 0x4020100
	s_set_vgpr_msb 4                        ;  msbs: dst=0 src0=0 src1=1 src2=0
	v_or_b32_e32 v245, v245, v15 /*v271*/
	s_set_vgpr_msb 1                        ;  msbs: dst=0 src0=1 src1=0 src2=0
	v_or_b32_e32 v131, v37 /*v293*/, v131
	v_perm_b32 v129, v65 /*v321*/, v129, 0xc0c0700
	s_set_vgpr_msb 0x44                     ;  msbs: dst=1 src0=0 src1=1 src2=0
	v_perm_b32 v49 /*v305*/, v128, v67 /*v323*/, 0x4030c0c
	s_set_vgpr_msb 1                        ;  msbs: dst=0 src0=1 src1=0 src2=0
	v_or_b32_e32 v135, v44 /*v300*/, v135
	v_or_b32_e32 v133, v45 /*v301*/, v133
	s_set_vgpr_msb 64                       ;  msbs: dst=1 src0=0 src1=0 src2=0
	v_perm_b32 v7 /*v263*/, v85, v85, 0x2010003
	s_set_vgpr_msb 0x45                     ;  msbs: dst=1 src0=1 src1=1 src2=0
	v_or_b32_e32 v2 /*v258*/, v2 /*v258*/, v5 /*v261*/
	s_set_vgpr_msb 1                        ;  msbs: dst=0 src0=1 src1=0 src2=0
	v_or_b32_e32 v117, v4 /*v260*/, v117
	s_set_vgpr_msb 0x45                     ;  msbs: dst=1 src0=1 src1=1 src2=0
	v_or_b32_e32 v3 /*v259*/, v3 /*v259*/, v8 /*v264*/
	s_set_vgpr_msb 1                        ;  msbs: dst=0 src0=1 src1=0 src2=0
	v_or_b32_e32 v252, v1 /*v257*/, v252
	v_dot4_i32_iu8 v222, v42 /*v298*/, v206, v222 neg_lo:[1,1,0]
	s_set_vgpr_msb 0                        ;  msbs: dst=0 src0=0 src1=0 src2=0
	v_dot4_i32_iu8 v196, v195, v196, v202 neg_lo:[1,1,0]
	v_dot4_i32_iu8 v189, v195, v189, v194 neg_lo:[1,1,0]
	s_set_vgpr_msb 4                        ;  msbs: dst=0 src0=0 src1=1 src2=0
	v_dot4_i32_iu8 v194, v241, v36 /*v292*/, v230 neg_lo:[1,1,0]
	s_set_vgpr_msb 0                        ;  msbs: dst=0 src0=0 src1=0 src2=0
	v_dot4_i32_iu8 v202, v195, v204, v209 neg_lo:[1,1,0]
	s_set_vgpr_msb 4                        ;  msbs: dst=0 src0=0 src1=1 src2=0
	v_dot4_i32_iu8 v204, v241, v27 /*v283*/, v232 neg_lo:[1,1,0]
	s_set_vgpr_msb 0                        ;  msbs: dst=0 src0=0 src1=0 src2=0
	;; [unrolled: 4-line block ×3, first 2 shown]
	v_dot4_i32_iu8 v206, v68 /*v324*/, v36 /*v292*/, v213 neg_lo:[1,1,0]
	v_dot4_i32_iu8 v207, v68 /*v324*/, v27 /*v283*/, v219 neg_lo:[1,1,0]
	v_dot4_i32_iu8 v209, v68 /*v324*/, v22 /*v278*/, v220 neg_lo:[1,1,0]
	v_dot4_i32_iu8 v210, v39 /*v295*/, v36 /*v292*/, v225 neg_lo:[1,1,0]
	v_dot4_i32_iu8 v213, v39 /*v295*/, v27 /*v283*/, v221 neg_lo:[1,1,0]
	v_dot4_i32_iu8 v208, v26 /*v282*/, v31 /*v287*/, v208 neg_lo:[1,1,0]
	v_dot4_i32_iu8 v212, v12 /*v268*/, v19 /*v275*/, v212 neg_lo:[1,1,0]
	v_dot4_i32_iu8 v215, v12 /*v268*/, v27 /*v283*/, v215 neg_lo:[1,1,0]
	v_dot4_i32_iu8 v220, v12 /*v268*/, v22 /*v278*/, v224 neg_lo:[1,1,0]
	v_dot4_i32_iu8 v145, v17 /*v273*/, v31 /*v287*/, v145 neg_lo:[1,1,0]
	s_set_vgpr_msb 4                        ;  msbs: dst=0 src0=0 src1=1 src2=0
	v_dot4_i32_iu8 v147, v249, v24 /*v280*/, v147 neg_lo:[1,1,0]
	v_dot4_i32_iu8 v141, v250, v24 /*v280*/, v141 neg_lo:[1,1,0]
	;; [unrolled: 1-line block ×6, first 2 shown]
	s_set_vgpr_msb 64                       ;  msbs: dst=1 src0=0 src1=0 src2=0
	v_perm_b32 v29 /*v285*/, v82, v82, 0xc030201
	s_set_vgpr_msb 1                        ;  msbs: dst=0 src0=1 src1=0 src2=0
	v_or_b32_e32 v129, v49 /*v305*/, v129
	s_set_vgpr_msb 64                       ;  msbs: dst=1 src0=0 src1=0 src2=0
	v_perm_b32 v6 /*v262*/, v86, v86, 0xc0c0100
	v_perm_b32 v4 /*v260*/, v94, v94, 0xc0c0100
	;; [unrolled: 1-line block ×3, first 2 shown]
	s_set_vgpr_msb 0                        ;  msbs: dst=0 src0=0 src1=0 src2=0
	v_perm_b32 v253, v96, v96, 0xc0c0100
	s_set_vgpr_msb 5                        ;  msbs: dst=0 src0=1 src1=1 src2=0
	v_dot4_i32_iu8 v214, v39 /*v295*/, v22 /*v278*/, v222 neg_lo:[1,1,0]
	v_dot4_i32_iu8 v217, v43 /*v299*/, v36 /*v292*/, v226 neg_lo:[1,1,0]
	;; [unrolled: 1-line block ×7, first 2 shown]
	s_set_vgpr_msb 4                        ;  msbs: dst=0 src0=0 src1=1 src2=0
	v_dot4_i32_iu8 v216, v216, v24 /*v280*/, v231 neg_lo:[1,1,0]
	v_dot4_i32_iu8 v218, v245, v24 /*v280*/, v218 neg_lo:[1,1,0]
	s_set_vgpr_msb 0                        ;  msbs: dst=0 src0=0 src1=0 src2=0
	v_dot4_i32_iu8 v191, v190, v191, v196 neg_lo:[1,1,0]
	v_dot4_i32_iu8 v188, v190, v188, v189 neg_lo:[1,1,0]
	s_set_vgpr_msb 4                        ;  msbs: dst=0 src0=0 src1=1 src2=0
	v_dot4_i32_iu8 v189, v146, v33 /*v289*/, v194 neg_lo:[1,1,0]
	s_set_vgpr_msb 0                        ;  msbs: dst=0 src0=0 src1=0 src2=0
	v_dot4_i32_iu8 v194, v190, v198, v202 neg_lo:[1,1,0]
	s_set_vgpr_msb 4                        ;  msbs: dst=0 src0=0 src1=1 src2=0
	v_dot4_i32_iu8 v196, v146, v23 /*v279*/, v204 neg_lo:[1,1,0]
	s_set_vgpr_msb 0                        ;  msbs: dst=0 src0=0 src1=0 src2=0
	;; [unrolled: 4-line block ×3, first 2 shown]
	v_dot4_i32_iu8 v195, v69 /*v325*/, v33 /*v289*/, v206 neg_lo:[1,1,0]
	v_dot4_i32_iu8 v198, v69 /*v325*/, v23 /*v279*/, v207 neg_lo:[1,1,0]
	;; [unrolled: 1-line block ×4, first 2 shown]
	s_set_vgpr_msb 4                        ;  msbs: dst=0 src0=0 src1=1 src2=0
	v_dot4_i32_iu8 v131, v131, v16 /*v272*/, v147 neg_lo:[1,1,0]
	v_dot4_i32_iu8 v95, v135, v16 /*v272*/, v95 neg_lo:[1,1,0]
	;; [unrolled: 1-line block ×3, first 2 shown]
	s_set_vgpr_msb 1                        ;  msbs: dst=0 src0=1 src1=0 src2=0
	v_dot4_i32_iu8 v135, v2 /*v258*/, v143, v145 neg_lo:[1,1,0]
	s_set_vgpr_msb 0                        ;  msbs: dst=0 src0=0 src1=0 src2=0
	v_dot4_i32_iu8 v117, v117, v142, v208 neg_lo:[1,1,0]
	s_set_vgpr_msb 5                        ;  msbs: dst=0 src0=1 src1=1 src2=0
	v_dot4_i32_iu8 v141, v3 /*v259*/, v7 /*v263*/, v212 neg_lo:[1,1,0]
	s_set_vgpr_msb 4                        ;  msbs: dst=0 src0=0 src1=1 src2=0
	v_dot4_i32_iu8 v142, v252, v7 /*v263*/, v193 neg_lo:[1,1,0]
	s_set_vgpr_msb 5                        ;  msbs: dst=0 src0=1 src1=1 src2=0
	v_dot4_i32_iu8 v143, v3 /*v259*/, v23 /*v279*/, v215 neg_lo:[1,1,0]
	s_set_vgpr_msb 4                        ;  msbs: dst=0 src0=0 src1=1 src2=0
	v_dot4_i32_iu8 v145, v252, v23 /*v279*/, v199 neg_lo:[1,1,0]
	;; [unrolled: 4-line block ×3, first 2 shown]
	s_set_vgpr_msb 1                        ;  msbs: dst=0 src0=1 src1=0 src2=0
	v_or_b32_e32 v97, v72 /*v328*/, v97
	s_set_vgpr_msb 64                       ;  msbs: dst=1 src0=0 src1=0 src2=0
	v_perm_b32 v15 /*v271*/, v128, v128, 0xc030201
	v_perm_b32 v14 /*v270*/, v86, v86, 0xc030201
	;; [unrolled: 1-line block ×11, first 2 shown]
	s_set_vgpr_msb 5                        ;  msbs: dst=0 src0=1 src1=1 src2=0
	v_dot4_i32_iu8 v200, v69 /*v325*/, v25 /*v281*/, v209 neg_lo:[1,1,0]
	v_dot4_i32_iu8 v204, v62 /*v318*/, v25 /*v281*/, v214 neg_lo:[1,1,0]
	;; [unrolled: 1-line block ×8, first 2 shown]
	s_set_vgpr_msb 4                        ;  msbs: dst=0 src0=0 src1=1 src2=0
	v_dot4_i32_iu8 v129, v129, v16 /*v272*/, v218 neg_lo:[1,1,0]
	v_dot4_i32_iu8 v99, v99, v16 /*v272*/, v216 neg_lo:[1,1,0]
	s_set_vgpr_msb 0                        ;  msbs: dst=0 src0=0 src1=0 src2=0
	v_dot4_i32_iu8 v188, v83, v80, v188 neg_lo:[1,1,0]
	v_dot4_i32_iu8 v136, v83, v136, v194 neg_lo:[1,1,0]
	;; [unrolled: 1-line block ×8, first 2 shown]
	s_set_vgpr_msb 1                        ;  msbs: dst=0 src0=1 src1=0 src2=0
	v_dot4_i32_iu8 v144, v29 /*v285*/, v144, v135 neg_lo:[1,1,0]
	s_set_vgpr_msb 4                        ;  msbs: dst=0 src0=0 src1=1 src2=0
	v_dot4_i32_iu8 v142, v140, v6 /*v262*/, v142 neg_lo:[1,1,0]
	s_set_vgpr_msb 0                        ;  msbs: dst=0 src0=0 src1=0 src2=0
	v_dot4_i32_iu8 v86, v116, v86, v141 neg_lo:[1,1,0]
	s_set_vgpr_msb 4                        ;  msbs: dst=0 src0=0 src1=1 src2=0
	v_dot4_i32_iu8 v141, v140, v4 /*v260*/, v145 neg_lo:[1,1,0]
	s_set_vgpr_msb 5                        ;  msbs: dst=0 src0=1 src1=1 src2=0
	v_dot4_i32_iu8 v143, v8 /*v264*/, v4 /*v260*/, v143 neg_lo:[1,1,0]
	s_set_vgpr_msb 0                        ;  msbs: dst=0 src0=0 src1=0 src2=0
	v_dot4_i32_iu8 v140, v140, v253, v193 neg_lo:[1,1,0]
	s_set_vgpr_msb 1                        ;  msbs: dst=0 src0=1 src1=0 src2=0
	v_dot4_i32_iu8 v145, v8 /*v264*/, v253, v147 neg_lo:[1,1,0]
	s_set_vgpr_msb 0                        ;  msbs: dst=0 src0=0 src1=0 src2=0
	v_dot4_i32_iu8 v128, v96, v128, v200 neg_lo:[1,1,0]
	v_dot4_i32_iu8 v130, v96, v130, v204 neg_lo:[1,1,0]
	;; [unrolled: 1-line block ×8, first 2 shown]
	s_set_vgpr_msb 5                        ;  msbs: dst=0 src0=1 src1=1 src2=0
	v_dot4_i32_iu8 v200, v14 /*v270*/, v15 /*v271*/, v129 neg_lo:[1,1,0]
	v_dot4_i32_iu8 v201, v14 /*v270*/, v37 /*v293*/, v131 neg_lo:[1,1,0]
	v_dot4_i32_iu8 v202, v14 /*v270*/, v49 /*v305*/, v133 neg_lo:[1,1,0]
	v_dot4_i32_iu8 v203, v14 /*v270*/, v10 /*v266*/, v95 neg_lo:[1,1,0]
	s_set_vgpr_msb 0                        ;  msbs: dst=0 src0=0 src1=0 src2=0
	v_dot4_i32_iu8 v189, v98, v82, v189 neg_lo:[1,1,0]
	v_dot4_i32_iu8 v191, v98, v94, v196 neg_lo:[1,1,0]
	;; [unrolled: 1-line block ×3, first 2 shown]
	s_set_vgpr_msb 5                        ;  msbs: dst=0 src0=1 src1=1 src2=0
	v_dot4_i32_iu8 v146, v29 /*v285*/, v44 /*v300*/, v117 neg_lo:[1,1,0]
	v_dot4_i32_iu8 v196, v14 /*v270*/, v45 /*v301*/, v99 neg_lo:[1,1,0]
	s_set_vgpr_msb 0                        ;  msbs: dst=0 src0=0 src1=0 src2=0
	v_cvt_f32_i32_e32 v83, v190
	v_cvt_f32_i32_e32 v82, v80
	;; [unrolled: 1-line block ×4, first 2 shown]
	v_dot4_i32_iu8 v84, v97, v85, v84 neg_lo:[1,1,0]
	v_cvt_f32_i32_e32 v80, v144
	v_dot4_i32_iu8 v144, v97, v81, v188 neg_lo:[1,1,0]
	v_dot4_i32_iu8 v136, v97, v137, v136 neg_lo:[1,1,0]
	;; [unrolled: 1-line block ×3, first 2 shown]
	s_set_vgpr_msb 4                        ;  msbs: dst=0 src0=0 src1=1 src2=0
	v_dot4_i32_iu8 v142, v87, v5 /*v261*/, v142 neg_lo:[1,1,0]
	s_set_vgpr_msb 5                        ;  msbs: dst=0 src0=1 src1=1 src2=0
	v_dot4_i32_iu8 v143, v1 /*v257*/, v9 /*v265*/, v143 neg_lo:[1,1,0]
	s_set_vgpr_msb 4                        ;  msbs: dst=0 src0=0 src1=1 src2=0
	v_dot4_i32_iu8 v141, v87, v9 /*v265*/, v141 neg_lo:[1,1,0]
	s_set_vgpr_msb 5                        ;  msbs: dst=0 src0=1 src1=1 src2=0
	v_dot4_i32_iu8 v145, v1 /*v257*/, v21 /*v277*/, v145 neg_lo:[1,1,0]
	s_set_vgpr_msb 4                        ;  msbs: dst=0 src0=0 src1=1 src2=0
	v_dot4_i32_iu8 v140, v87, v21 /*v277*/, v140 neg_lo:[1,1,0]
	v_cvt_f32_i32_e32 v99, v130
	v_cvt_f32_i32_e32 v98, v128
	;; [unrolled: 1-line block ×18, first 2 shown]
	s_set_vgpr_msb 0                        ;  msbs: dst=0 src0=0 src1=0 src2=0
	v_pk_fma_f32 v[32:33], v[104:105], v[82:83], v[32:33]
	v_pk_fma_f32 v[22:23], v[106:107], v[94:95], v[22:23]
	v_cvt_f32_i32_e32 v81, v84
	v_cvt_f32_i32_e32 v84, v144
	v_cvt_f32_i32_e32 v136, v136
	v_cvt_f32_i32_e32 v96, v147
	v_cvt_f32_i32_e32 v87, v142
	v_cvt_f32_i32_e32 v83, v141
	v_cvt_f32_i32_e32 v82, v143
	v_cvt_f32_i32_e32 v95, v140
	v_cvt_f32_i32_e32 v94, v145
	v_add_nc_u32_e32 v182, 32, v182
	v_pk_fma_f32 v[20:21], v[108:109], v[98:99], v[20:21]
	v_pk_fma_f32 v[18:19], v[110:111], v[116:117], v[18:19]
	;; [unrolled: 1-line block ×14, first 2 shown]
	s_add_co_i32 s12, s12, 4
	s_delay_alu instid0(SALU_CYCLE_1)
	s_cmp_lt_u32 s12, 28
	s_cbranch_scc1 .LBB121_11
; %bb.12:                               ;   in Loop: Header=BB121_6 Depth=1
	s_barrier_signal -1
	s_barrier_wait -1
	s_branch .LBB121_5
.LBB121_13:
	v_dual_mov_b32 v26, v1 :: v_dual_mov_b32 v28, v27
.LBB121_14:
	s_wait_xcnt 0x0
	s_mov_b32 s0, exec_lo
	v_cmpx_gt_u32_e64 s4, v31
	s_cbranch_execz .LBB121_65
; %bb.15:
	v_mul_lo_u32 v29, v31, s6
	v_add_nc_u32_e32 v0, s14, v28
	s_delay_alu instid0(VALU_DEP_1)
	v_cmp_gt_u32_e32 vcc_lo, s6, v0
	s_and_saveexec_b32 s0, vcc_lo
	s_cbranch_execz .LBB121_17
; %bb.16:
	s_delay_alu instid0(VALU_DEP_3)
	v_add_nc_u32_e32 v1, v0, v29
	s_wait_kmcnt 0x0
	global_store_b32 v1, v38, s[8:9] scale_offset
.LBB121_17:
	s_wait_xcnt 0x0
	s_or_b32 exec_lo, exec_lo, s0
	v_add_nc_u32_e32 v1, 32, v0
	s_delay_alu instid0(VALU_DEP_1)
	v_cmp_gt_u32_e64 s0, s6, v1
	s_and_saveexec_b32 s1, s0
	s_cbranch_execz .LBB121_19
; %bb.18:
	v_add_nc_u32_e32 v27, v1, v29
	s_wait_kmcnt 0x0
	global_store_b32 v27, v9, s[8:9] scale_offset
.LBB121_19:
	s_wait_xcnt 0x0
	s_or_b32 exec_lo, exec_lo, s1
	v_add_nc_u32_e32 v9, 64, v0
	s_delay_alu instid0(VALU_DEP_1)
	v_cmp_gt_u32_e64 s1, s6, v9
	s_and_saveexec_b32 s2, s1
	s_cbranch_execz .LBB121_21
; %bb.20:
	v_add_nc_u32_e32 v27, v9, v29
	s_wait_kmcnt 0x0
	global_store_b32 v27, v36, s[8:9] scale_offset
.LBB121_21:
	s_wait_xcnt 0x0
	s_or_b32 exec_lo, exec_lo, s2
	v_add_nc_u32_e32 v27, 0x60, v0
	s_delay_alu instid0(VALU_DEP_1)
	v_cmp_gt_u32_e64 s2, s6, v27
	s_and_saveexec_b32 s3, s2
	s_cbranch_execz .LBB121_23
; %bb.22:
	v_add_nc_u32_e32 v28, v27, v29
	s_wait_kmcnt 0x0
	global_store_b32 v28, v34, s[8:9] scale_offset
.LBB121_23:
	s_wait_xcnt 0x0
	s_or_b32 exec_lo, exec_lo, s3
	v_add3_u32 v28, v26, s7, 8
	s_delay_alu instid0(VALU_DEP_1)
	v_cmp_gt_u32_e64 s3, s4, v28
	s_and_b32 exec_lo, exec_lo, s3
	s_cbranch_execz .LBB121_65
; %bb.24:
	v_mul_lo_u32 v28, v28, s6
	s_and_saveexec_b32 s3, vcc_lo
	s_cbranch_execnz .LBB121_66
; %bb.25:
	s_or_b32 exec_lo, exec_lo, s3
	s_and_saveexec_b32 s3, s0
	s_cbranch_execnz .LBB121_67
.LBB121_26:
	s_or_b32 exec_lo, exec_lo, s3
	s_and_saveexec_b32 s3, s1
	s_cbranch_execnz .LBB121_68
.LBB121_27:
	s_or_b32 exec_lo, exec_lo, s3
	s_and_saveexec_b32 s3, s2
	s_cbranch_execz .LBB121_29
.LBB121_28:
	v_add_nc_u32_e32 v11, v28, v27
	s_wait_kmcnt 0x0
	global_store_b32 v11, v35, s[8:9] scale_offset
.LBB121_29:
	s_wait_xcnt 0x0
	s_or_b32 exec_lo, exec_lo, s3
	v_add3_u32 v11, v26, s7, 16
	s_delay_alu instid0(VALU_DEP_1)
	v_cmp_gt_u32_e64 s3, s4, v11
	s_and_b32 exec_lo, exec_lo, s3
	s_cbranch_execz .LBB121_65
; %bb.30:
	v_mul_lo_u32 v11, v11, s6
	s_and_saveexec_b32 s3, vcc_lo
	s_cbranch_execnz .LBB121_69
; %bb.31:
	s_or_b32 exec_lo, exec_lo, s3
	s_and_saveexec_b32 s3, s0
	s_cbranch_execnz .LBB121_70
.LBB121_32:
	s_or_b32 exec_lo, exec_lo, s3
	s_and_saveexec_b32 s3, s1
	s_cbranch_execnz .LBB121_71
.LBB121_33:
	s_or_b32 exec_lo, exec_lo, s3
	s_and_saveexec_b32 s3, s2
	s_cbranch_execz .LBB121_35
.LBB121_34:
	v_add_nc_u32_e32 v11, v11, v27
	s_wait_kmcnt 0x0
	global_store_b32 v11, v20, s[8:9] scale_offset
.LBB121_35:
	s_wait_xcnt 0x0
	s_or_b32 exec_lo, exec_lo, s3
	v_add3_u32 v11, v26, s7, 24
	s_delay_alu instid0(VALU_DEP_1)
	v_cmp_gt_u32_e64 s3, s4, v11
	s_and_b32 exec_lo, exec_lo, s3
	s_cbranch_execz .LBB121_65
; %bb.36:
	v_mul_lo_u32 v11, v11, s6
	s_and_saveexec_b32 s3, vcc_lo
	s_cbranch_execnz .LBB121_72
; %bb.37:
	s_or_b32 exec_lo, exec_lo, s3
	s_and_saveexec_b32 s3, s0
	s_cbranch_execnz .LBB121_73
.LBB121_38:
	s_or_b32 exec_lo, exec_lo, s3
	s_and_saveexec_b32 s3, s1
	s_cbranch_execnz .LBB121_74
.LBB121_39:
	s_or_b32 exec_lo, exec_lo, s3
	s_and_saveexec_b32 s3, s2
	s_cbranch_execz .LBB121_41
.LBB121_40:
	v_add_nc_u32_e32 v11, v11, v27
	s_wait_kmcnt 0x0
	global_store_b32 v11, v21, s[8:9] scale_offset
.LBB121_41:
	s_wait_xcnt 0x0
	s_or_b32 exec_lo, exec_lo, s3
	v_add3_u32 v11, v26, s7, 32
	s_delay_alu instid0(VALU_DEP_1)
	v_cmp_gt_u32_e64 s3, s4, v11
	s_and_b32 exec_lo, exec_lo, s3
	s_cbranch_execz .LBB121_65
; %bb.42:
	v_mul_lo_u32 v11, v11, s6
	s_and_saveexec_b32 s3, vcc_lo
	s_cbranch_execnz .LBB121_75
; %bb.43:
	s_or_b32 exec_lo, exec_lo, s3
	s_and_saveexec_b32 s3, s0
	s_cbranch_execnz .LBB121_76
.LBB121_44:
	s_or_b32 exec_lo, exec_lo, s3
	s_and_saveexec_b32 s3, s1
	s_cbranch_execnz .LBB121_77
.LBB121_45:
	s_or_b32 exec_lo, exec_lo, s3
	s_and_saveexec_b32 s3, s2
	s_cbranch_execz .LBB121_47
.LBB121_46:
	v_add_nc_u32_e32 v11, v11, v27
	s_wait_kmcnt 0x0
	global_store_b32 v11, v12, s[8:9] scale_offset
.LBB121_47:
	s_wait_xcnt 0x0
	s_or_b32 exec_lo, exec_lo, s3
	v_add3_u32 v11, v26, s7, 40
	s_delay_alu instid0(VALU_DEP_1)
	v_cmp_gt_u32_e64 s3, s4, v11
	s_and_b32 exec_lo, exec_lo, s3
	s_cbranch_execz .LBB121_65
; %bb.48:
	v_mul_lo_u32 v11, v11, s6
	s_and_saveexec_b32 s3, vcc_lo
	s_cbranch_execnz .LBB121_78
; %bb.49:
	s_or_b32 exec_lo, exec_lo, s3
	s_and_saveexec_b32 s3, s0
	s_cbranch_execnz .LBB121_79
.LBB121_50:
	s_or_b32 exec_lo, exec_lo, s3
	s_and_saveexec_b32 s3, s1
	s_cbranch_execnz .LBB121_80
.LBB121_51:
	s_or_b32 exec_lo, exec_lo, s3
	s_and_saveexec_b32 s3, s2
	s_cbranch_execz .LBB121_53
.LBB121_52:
	v_add_nc_u32_e32 v11, v11, v27
	s_wait_kmcnt 0x0
	global_store_b32 v11, v13, s[8:9] scale_offset
.LBB121_53:
	s_wait_xcnt 0x0
	s_or_b32 exec_lo, exec_lo, s3
	v_add3_u32 v11, v26, s7, 48
	s_delay_alu instid0(VALU_DEP_1)
	v_cmp_gt_u32_e64 s3, s4, v11
	s_and_b32 exec_lo, exec_lo, s3
	s_cbranch_execz .LBB121_65
; %bb.54:
	v_mul_lo_u32 v11, v11, s6
	s_and_saveexec_b32 s3, vcc_lo
	s_cbranch_execnz .LBB121_81
; %bb.55:
	s_or_b32 exec_lo, exec_lo, s3
	s_and_saveexec_b32 s3, s0
	s_cbranch_execnz .LBB121_82
.LBB121_56:
	s_or_b32 exec_lo, exec_lo, s3
	s_and_saveexec_b32 s3, s1
	s_cbranch_execnz .LBB121_83
.LBB121_57:
	s_or_b32 exec_lo, exec_lo, s3
	s_and_saveexec_b32 s3, s2
	s_cbranch_execz .LBB121_59
.LBB121_58:
	v_add_nc_u32_e32 v4, v11, v27
	s_wait_kmcnt 0x0
	global_store_b32 v4, v2, s[8:9] scale_offset
.LBB121_59:
	s_wait_xcnt 0x0
	s_or_b32 exec_lo, exec_lo, s3
	v_add3_u32 v2, v26, s7, 56
	s_delay_alu instid0(VALU_DEP_1)
	v_cmp_gt_u32_e64 s3, s4, v2
	s_and_b32 exec_lo, exec_lo, s3
	s_cbranch_execz .LBB121_65
; %bb.60:
	v_mul_lo_u32 v2, v2, s6
	s_and_saveexec_b32 s3, vcc_lo
	s_cbranch_execnz .LBB121_84
; %bb.61:
	s_or_b32 exec_lo, exec_lo, s3
	s_and_saveexec_b32 s3, s0
	s_cbranch_execnz .LBB121_85
.LBB121_62:
	s_or_b32 exec_lo, exec_lo, s3
	s_and_saveexec_b32 s0, s1
	s_cbranch_execnz .LBB121_86
.LBB121_63:
	s_or_b32 exec_lo, exec_lo, s0
	s_delay_alu instid0(SALU_CYCLE_1)
	s_and_b32 exec_lo, exec_lo, s2
	s_cbranch_execz .LBB121_65
.LBB121_64:
	v_add_nc_u32_e32 v0, v2, v27
	s_wait_kmcnt 0x0
	global_store_b32 v0, v3, s[8:9] scale_offset
.LBB121_65:
	s_sendmsg sendmsg(MSG_DEALLOC_VGPRS)
	s_endpgm
.LBB121_66:
	s_delay_alu instid0(VALU_DEP_1)
	v_add_nc_u32_e32 v29, v28, v0
	s_wait_kmcnt 0x0
	global_store_b32 v29, v39, s[8:9] scale_offset
	s_wait_xcnt 0x0
	s_or_b32 exec_lo, exec_lo, s3
	s_and_saveexec_b32 s3, s0
	s_cbranch_execz .LBB121_26
.LBB121_67:
	s_delay_alu instid0(VALU_DEP_1)
	v_add_nc_u32_e32 v29, v28, v1
	s_wait_kmcnt 0x0
	global_store_b32 v29, v11, s[8:9] scale_offset
	s_wait_xcnt 0x0
	s_or_b32 exec_lo, exec_lo, s3
	s_and_saveexec_b32 s3, s1
	s_cbranch_execz .LBB121_27
.LBB121_68:
	s_delay_alu instid0(VALU_DEP_1)
	v_add_nc_u32_e32 v11, v28, v9
	s_wait_kmcnt 0x0
	global_store_b32 v11, v37, s[8:9] scale_offset
	s_wait_xcnt 0x0
	s_or_b32 exec_lo, exec_lo, s3
	s_and_saveexec_b32 s3, s2
	s_cbranch_execnz .LBB121_28
	s_branch .LBB121_29
.LBB121_69:
	s_delay_alu instid0(VALU_DEP_1)
	v_add_nc_u32_e32 v28, v11, v0
	s_wait_kmcnt 0x0
	global_store_b32 v28, v32, s[8:9] scale_offset
	s_wait_xcnt 0x0
	s_or_b32 exec_lo, exec_lo, s3
	s_and_saveexec_b32 s3, s0
	s_cbranch_execz .LBB121_32
.LBB121_70:
	s_delay_alu instid0(VALU_DEP_1)
	v_add_nc_u32_e32 v28, v11, v1
	s_wait_kmcnt 0x0
	global_store_b32 v28, v24, s[8:9] scale_offset
	s_wait_xcnt 0x0
	s_or_b32 exec_lo, exec_lo, s3
	s_and_saveexec_b32 s3, s1
	s_cbranch_execz .LBB121_33
.LBB121_71:
	s_delay_alu instid0(VALU_DEP_1)
	v_add_nc_u32_e32 v24, v11, v9
	s_wait_kmcnt 0x0
	global_store_b32 v24, v22, s[8:9] scale_offset
	s_wait_xcnt 0x0
	s_or_b32 exec_lo, exec_lo, s3
	s_and_saveexec_b32 s3, s2
	s_cbranch_execnz .LBB121_34
	s_branch .LBB121_35
.LBB121_72:
	s_delay_alu instid0(VALU_DEP_1)
	v_add_nc_u32_e32 v20, v11, v0
	s_wait_kmcnt 0x0
	global_store_b32 v20, v33, s[8:9] scale_offset
	s_wait_xcnt 0x0
	s_or_b32 exec_lo, exec_lo, s3
	s_and_saveexec_b32 s3, s0
	s_cbranch_execz .LBB121_38
.LBB121_73:
	s_delay_alu instid0(VALU_DEP_1)
	v_add_nc_u32_e32 v20, v11, v1
	s_wait_kmcnt 0x0
	global_store_b32 v20, v25, s[8:9] scale_offset
	s_wait_xcnt 0x0
	s_or_b32 exec_lo, exec_lo, s3
	s_and_saveexec_b32 s3, s1
	s_cbranch_execz .LBB121_39
.LBB121_74:
	s_delay_alu instid0(VALU_DEP_1)
	v_add_nc_u32_e32 v20, v11, v9
	s_wait_kmcnt 0x0
	global_store_b32 v20, v23, s[8:9] scale_offset
	s_wait_xcnt 0x0
	s_or_b32 exec_lo, exec_lo, s3
	s_and_saveexec_b32 s3, s2
	s_cbranch_execnz .LBB121_40
	s_branch .LBB121_41
.LBB121_75:
	s_delay_alu instid0(VALU_DEP_1)
	v_add_nc_u32_e32 v20, v11, v0
	s_wait_kmcnt 0x0
	global_store_b32 v20, v18, s[8:9] scale_offset
	s_wait_xcnt 0x0
	s_or_b32 exec_lo, exec_lo, s3
	s_and_saveexec_b32 s3, s0
	s_cbranch_execz .LBB121_44
.LBB121_76:
	s_delay_alu instid0(VALU_DEP_1)
	v_add_nc_u32_e32 v18, v11, v1
	s_wait_kmcnt 0x0
	global_store_b32 v18, v16, s[8:9] scale_offset
	s_wait_xcnt 0x0
	s_or_b32 exec_lo, exec_lo, s3
	s_and_saveexec_b32 s3, s1
	s_cbranch_execz .LBB121_45
.LBB121_77:
	s_delay_alu instid0(VALU_DEP_1)
	v_add_nc_u32_e32 v16, v11, v9
	s_wait_kmcnt 0x0
	global_store_b32 v16, v14, s[8:9] scale_offset
	s_wait_xcnt 0x0
	s_or_b32 exec_lo, exec_lo, s3
	s_and_saveexec_b32 s3, s2
	s_cbranch_execnz .LBB121_46
	s_branch .LBB121_47
.LBB121_78:
	s_delay_alu instid0(VALU_DEP_1)
	v_add_nc_u32_e32 v12, v11, v0
	s_wait_kmcnt 0x0
	global_store_b32 v12, v19, s[8:9] scale_offset
	s_wait_xcnt 0x0
	s_or_b32 exec_lo, exec_lo, s3
	s_and_saveexec_b32 s3, s0
	s_cbranch_execz .LBB121_50
.LBB121_79:
	s_delay_alu instid0(VALU_DEP_1)
	v_add_nc_u32_e32 v12, v11, v1
	s_wait_kmcnt 0x0
	global_store_b32 v12, v17, s[8:9] scale_offset
	s_wait_xcnt 0x0
	s_or_b32 exec_lo, exec_lo, s3
	s_and_saveexec_b32 s3, s1
	s_cbranch_execz .LBB121_51
.LBB121_80:
	s_delay_alu instid0(VALU_DEP_1)
	v_add_nc_u32_e32 v12, v11, v9
	s_wait_kmcnt 0x0
	global_store_b32 v12, v15, s[8:9] scale_offset
	s_wait_xcnt 0x0
	s_or_b32 exec_lo, exec_lo, s3
	s_and_saveexec_b32 s3, s2
	s_cbranch_execnz .LBB121_52
	s_branch .LBB121_53
.LBB121_81:
	s_delay_alu instid0(VALU_DEP_1)
	v_add_nc_u32_e32 v12, v11, v0
	s_wait_kmcnt 0x0
	global_store_b32 v12, v10, s[8:9] scale_offset
	s_wait_xcnt 0x0
	s_or_b32 exec_lo, exec_lo, s3
	s_and_saveexec_b32 s3, s0
	s_cbranch_execz .LBB121_56
.LBB121_82:
	s_delay_alu instid0(VALU_DEP_1)
	v_add_nc_u32_e32 v10, v11, v1
	s_wait_kmcnt 0x0
	global_store_b32 v10, v6, s[8:9] scale_offset
	s_wait_xcnt 0x0
	s_or_b32 exec_lo, exec_lo, s3
	s_and_saveexec_b32 s3, s1
	s_cbranch_execz .LBB121_57
.LBB121_83:
	s_delay_alu instid0(VALU_DEP_1)
	v_add_nc_u32_e32 v6, v11, v9
	s_wait_kmcnt 0x0
	global_store_b32 v6, v4, s[8:9] scale_offset
	s_wait_xcnt 0x0
	s_or_b32 exec_lo, exec_lo, s3
	s_and_saveexec_b32 s3, s2
	s_cbranch_execnz .LBB121_58
	s_branch .LBB121_59
.LBB121_84:
	s_delay_alu instid0(VALU_DEP_1)
	v_add_nc_u32_e32 v0, v2, v0
	s_wait_kmcnt 0x0
	global_store_b32 v0, v8, s[8:9] scale_offset
	s_wait_xcnt 0x0
	s_or_b32 exec_lo, exec_lo, s3
	s_and_saveexec_b32 s3, s0
	s_cbranch_execz .LBB121_62
.LBB121_85:
	s_delay_alu instid0(VALU_DEP_1)
	v_add_nc_u32_e32 v0, v2, v1
	s_wait_kmcnt 0x0
	global_store_b32 v0, v7, s[8:9] scale_offset
	s_wait_xcnt 0x0
	s_or_b32 exec_lo, exec_lo, s3
	s_and_saveexec_b32 s0, s1
	s_cbranch_execz .LBB121_63
.LBB121_86:
	s_delay_alu instid0(VALU_DEP_1) | instskip(SKIP_4) | instid1(SALU_CYCLE_1)
	v_add_nc_u32_e32 v0, v2, v9
	s_wait_kmcnt 0x0
	global_store_b32 v0, v5, s[8:9] scale_offset
	s_wait_xcnt 0x0
	s_or_b32 exec_lo, exec_lo, s0
	s_and_b32 exec_lo, exec_lo, s2
	s_cbranch_execnz .LBB121_64
	s_branch .LBB121_65
	.section	.rodata,"a",@progbits
	.p2align	6, 0x0
	.amdhsa_kernel _ZL12mul_mat_q5_0IfLb0EEvPKvS1_PT_iiiii
		.amdhsa_group_segment_fixed_size 46720
		.amdhsa_private_segment_fixed_size 0
		.amdhsa_kernarg_size 44
		.amdhsa_user_sgpr_count 2
		.amdhsa_user_sgpr_dispatch_ptr 0
		.amdhsa_user_sgpr_queue_ptr 0
		.amdhsa_user_sgpr_kernarg_segment_ptr 1
		.amdhsa_user_sgpr_dispatch_id 0
		.amdhsa_user_sgpr_kernarg_preload_length 0
		.amdhsa_user_sgpr_kernarg_preload_offset 0
		.amdhsa_user_sgpr_private_segment_size 0
		.amdhsa_wavefront_size32 1
		.amdhsa_uses_dynamic_stack 0
		.amdhsa_enable_private_segment 0
		.amdhsa_system_sgpr_workgroup_id_x 1
		.amdhsa_system_sgpr_workgroup_id_y 1
		.amdhsa_system_sgpr_workgroup_id_z 0
		.amdhsa_system_sgpr_workgroup_info 0
		.amdhsa_system_vgpr_workitem_id 1
		.amdhsa_next_free_vgpr 334
		.amdhsa_next_free_sgpr 20
		.amdhsa_named_barrier_count 0
		.amdhsa_reserve_vcc 1
		.amdhsa_float_round_mode_32 0
		.amdhsa_float_round_mode_16_64 0
		.amdhsa_float_denorm_mode_32 3
		.amdhsa_float_denorm_mode_16_64 3
		.amdhsa_fp16_overflow 0
		.amdhsa_memory_ordered 1
		.amdhsa_forward_progress 1
		.amdhsa_inst_pref_size 231
		.amdhsa_round_robin_scheduling 0
		.amdhsa_exception_fp_ieee_invalid_op 0
		.amdhsa_exception_fp_denorm_src 0
		.amdhsa_exception_fp_ieee_div_zero 0
		.amdhsa_exception_fp_ieee_overflow 0
		.amdhsa_exception_fp_ieee_underflow 0
		.amdhsa_exception_fp_ieee_inexact 0
		.amdhsa_exception_int_div_zero 0
	.end_amdhsa_kernel
	.section	.text._ZL12mul_mat_q5_0IfLb0EEvPKvS1_PT_iiiii,"axG",@progbits,_ZL12mul_mat_q5_0IfLb0EEvPKvS1_PT_iiiii,comdat
.Lfunc_end121:
	.size	_ZL12mul_mat_q5_0IfLb0EEvPKvS1_PT_iiiii, .Lfunc_end121-_ZL12mul_mat_q5_0IfLb0EEvPKvS1_PT_iiiii
                                        ; -- End function
	.set _ZL12mul_mat_q5_0IfLb0EEvPKvS1_PT_iiiii.num_vgpr, 334
	.set _ZL12mul_mat_q5_0IfLb0EEvPKvS1_PT_iiiii.num_agpr, 0
	.set _ZL12mul_mat_q5_0IfLb0EEvPKvS1_PT_iiiii.numbered_sgpr, 20
	.set _ZL12mul_mat_q5_0IfLb0EEvPKvS1_PT_iiiii.num_named_barrier, 0
	.set _ZL12mul_mat_q5_0IfLb0EEvPKvS1_PT_iiiii.private_seg_size, 0
	.set _ZL12mul_mat_q5_0IfLb0EEvPKvS1_PT_iiiii.uses_vcc, 1
	.set _ZL12mul_mat_q5_0IfLb0EEvPKvS1_PT_iiiii.uses_flat_scratch, 0
	.set _ZL12mul_mat_q5_0IfLb0EEvPKvS1_PT_iiiii.has_dyn_sized_stack, 0
	.set _ZL12mul_mat_q5_0IfLb0EEvPKvS1_PT_iiiii.has_recursion, 0
	.set _ZL12mul_mat_q5_0IfLb0EEvPKvS1_PT_iiiii.has_indirect_call, 0
	.section	.AMDGPU.csdata,"",@progbits
; Kernel info:
; codeLenInByte = 29472
; TotalNumSgprs: 22
; NumVgprs: 334
; ScratchSize: 0
; MemoryBound: 0
; FloatMode: 240
; IeeeMode: 1
; LDSByteSize: 46720 bytes/workgroup (compile time only)
; SGPRBlocks: 0
; VGPRBlocks: 20
; NumSGPRsForWavesPerEU: 22
; NumVGPRsForWavesPerEU: 334
; NamedBarCnt: 0
; Occupancy: 3
; WaveLimiterHint : 0
; COMPUTE_PGM_RSRC2:SCRATCH_EN: 0
; COMPUTE_PGM_RSRC2:USER_SGPR: 2
; COMPUTE_PGM_RSRC2:TRAP_HANDLER: 0
; COMPUTE_PGM_RSRC2:TGID_X_EN: 1
; COMPUTE_PGM_RSRC2:TGID_Y_EN: 1
; COMPUTE_PGM_RSRC2:TGID_Z_EN: 0
; COMPUTE_PGM_RSRC2:TIDIG_COMP_CNT: 1
	.section	.text._ZL12mul_mat_q5_0IfLb1EEvPKvS1_PT_iiiii,"axG",@progbits,_ZL12mul_mat_q5_0IfLb1EEvPKvS1_PT_iiiii,comdat
	.globl	_ZL12mul_mat_q5_0IfLb1EEvPKvS1_PT_iiiii ; -- Begin function _ZL12mul_mat_q5_0IfLb1EEvPKvS1_PT_iiiii
	.p2align	8
	.type	_ZL12mul_mat_q5_0IfLb1EEvPKvS1_PT_iiiii,@function
_ZL12mul_mat_q5_0IfLb1EEvPKvS1_PT_iiiii: ; @_ZL12mul_mat_q5_0IfLb1EEvPKvS1_PT_iiiii
; %bb.0:
	s_clause 0x1
	s_load_b128 s[4:7], s[0:1], 0x18
	s_load_b32 s12, s[0:1], 0x28
	s_bfe_u32 s2, ttmp6, 0x4000c
	s_bfe_u32 s8, ttmp6, 0x40010
	s_add_co_i32 s2, s2, 1
	s_and_b32 s3, ttmp6, 15
	s_mul_i32 s2, ttmp9, s2
	s_add_co_i32 s8, s8, 1
	s_add_co_i32 s3, s3, s2
	s_mul_i32 s2, ttmp7, s8
	s_bfe_u32 s8, ttmp6, 0x40004
	s_getreg_b32 s9, hwreg(HW_REG_IB_STS2, 6, 4)
	s_add_co_i32 s8, s8, s2
	s_cmp_eq_u32 s9, 0
	v_bfe_u32 v17, v0, 10, 10
	s_cselect_b32 s8, ttmp7, s8
	v_and_b32_e32 v39, 0x3ff, v0
	s_cselect_b32 s2, ttmp9, s3
	s_lshl_b32 s13, s8, 6
	s_mov_b32 s3, 0
	s_wait_kmcnt 0x0
	s_cmp_gt_i32 s4, 31
	s_cbranch_scc1 .LBB122_2
; %bb.1:
	v_bfe_u32 v1, v0, 10, 10
	v_and_b32_e32 v16, 0x3ff, v0
	s_delay_alu instid0(VALU_DEP_2)
	v_add_nc_u32_e32 v41, s13, v1
	s_branch .LBB122_3
.LBB122_2:
	s_mov_b32 s3, -1
                                        ; implicit-def: $vgpr1
                                        ; implicit-def: $vgpr16
                                        ; implicit-def: $vgpr41
.LBB122_3:
	s_load_b64 s[8:9], s[0:1], 0x10
	v_dual_mov_b32 v3, 0 :: v_dual_mov_b32 v2, 0
	v_dual_mov_b32 v13, 0 :: v_dual_mov_b32 v12, 0
	;; [unrolled: 1-line block ×16, first 2 shown]
	s_and_not1_b32 vcc_lo, exec_lo, s3
	s_lshl_b32 s14, s2, 7
	s_cbranch_vccnz .LBB122_14
; %bb.4:
	v_dual_add_nc_u32 v41, s13, v17 :: v_dual_add_nc_u32 v30, 24, v17
	s_ashr_i32 s10, s4, 31
	s_ashr_i32 s11, s7, 31
	s_lshr_b32 s10, s10, 27
	s_delay_alu instid0(VALU_DEP_1)
	v_dual_add_nc_u32 v6, 8, v41 :: v_dual_add_nc_u32 v8, 16, v41
	s_add_co_i32 s4, s4, s10
	s_lshr_b32 s11, s11, 27
	s_ashr_i32 s15, s4, 5
	s_add_co_i32 s4, s7, s11
	s_add_co_i32 s7, s6, -1
	v_cvt_f64_u32_e32 v[4:5], v41
	v_cvt_f64_i32_e32 v[2:3], s7
	v_cvt_f64_u32_e32 v[6:7], v6
	v_dual_add_nc_u32 v10, 24, v41 :: v_dual_add_nc_u32 v12, 32, v41
	v_cvt_f64_u32_e32 v[8:9], v8
	v_bfe_u32 v47, v0, 3, 7
	s_not_b32 s16, s14
	s_delay_alu instid0(VALU_DEP_3)
	v_cvt_f64_u32_e32 v[10:11], v10
	v_cvt_f64_u32_e32 v[12:13], v12
	s_add_co_i32 s5, s5, s16
	v_lshl_add_u32 v31, v17, 2, v47
	v_dual_add_nc_u32 v14, 40, v41 :: v_dual_add_nc_u32 v20, 48, v41
	v_dual_add_nc_u32 v22, 56, v41 :: v_dual_min_i32 v35, s5, v30
	v_add_nc_u32_e32 v40, 48, v17
	s_delay_alu instid0(VALU_DEP_4) | instskip(NEXT) | instid1(VALU_DEP_4)
	v_add_min_i32_e64 v76, v31, 64, s5
	v_cvt_f64_u32_e32 v[14:15], v14
	v_cvt_f64_u32_e32 v[20:21], v20
	v_min_i32_e32 v34, s5, v31
	v_cvt_f64_u32_e32 v[22:23], v22
	v_ashrrev_i32_e32 v48, 31, v76
	v_dual_add_nc_u32 v44, 56, v17 :: v_dual_min_i32 v52, s5, v40
	v_dual_lshlrev_b32 v24, 3, v39 :: v_dual_add_nc_u32 v25, 8, v17
	v_bfe_u32 v16, v0, 2, 8
	v_dual_add_nc_u32 v32, 32, v17 :: v_dual_add_nc_u32 v33, 40, v17
	s_delay_alu instid0(VALU_DEP_3) | instskip(SKIP_2) | instid1(VALU_DEP_4)
	v_dual_ashrrev_i32 v38, 31, v34 :: v_dual_min_i32 v27, s5, v25
	v_add_min_i32_e64 v74, v31, 32, s5
	v_min_num_f64_e32 v[4:5], v[4:5], v[2:3]
	v_dual_min_num_f64 v[6:7], v[6:7], v[2:3] :: v_dual_min_i32 v36, s5, v32
	s_delay_alu instid0(VALU_DEP_4)
	v_lshrrev_b32_e32 v42, 30, v38
	v_min_num_f64_e32 v[8:9], v[8:9], v[2:3]
	v_add_min_i32_e64 v31, 0x60, v31, s5
	v_lshl_add_u32 v54, v17, 3, v16
	v_dual_min_num_f64 v[10:11], v[10:11], v[2:3] :: v_dual_min_i32 v56, s5, v44
	v_dual_min_num_f64 v[12:13], v[12:13], v[2:3] :: v_dual_min_i32 v37, s5, v33
	v_dual_add_nc_u32 v42, v34, v42 :: v_dual_bitop2_b32 v38, 7, v0 bitop3:0x40
	v_dual_ashrrev_i32 v46, 31, v74 :: v_dual_ashrrev_i32 v50, 31, v31
	v_dual_mov_b32 v19, 0 :: v_dual_bitop2_b32 v1, 3, v0 bitop3:0x40
	v_min_num_f64_e32 v[14:15], v[14:15], v[2:3]
	v_min_num_f64_e32 v[20:21], v[20:21], v[2:3]
	s_delay_alu instid0(VALU_DEP_4)
	v_lshrrev_b32_e32 v46, 30, v46
	v_dual_min_num_f64 v[2:3], v[22:23], v[2:3] :: v_dual_lshrrev_b32 v22, 30, v48
	v_and_b32_e32 v48, 63, v54
	v_lshrrev_b32_e32 v23, 30, v50
	s_ashr_i32 s4, s4, 5
	v_dual_add_nc_u32 v28, 16, v17 :: v_dual_min_i32 v26, s5, v17
	s_delay_alu instid0(VALU_DEP_3)
	v_dual_lshlrev_b32 v18, 2, v1 :: v_dual_bitop2_b32 v54, s13, v48 bitop3:0x54
	v_add_nc_u32_e32 v22, v76, v22
	s_wait_xcnt 0x0
	s_load_b128 s[0:3], s[0:1], 0x0
	v_min_i32_e32 v29, s5, v28
	v_cvt_i32_f64_e32 v4, v[4:5]
	v_cvt_i32_f64_e32 v5, v[6:7]
	v_add_min_i32_e64 v58, v17, 64, s5
	v_add_min_i32_e64 v68, 0x70, v17, s5
	v_cvt_i32_f64_e32 v6, v[8:9]
	v_add_min_i32_e64 v70, 0x78, v17, s5
	v_mad_u32 v43, 0x104, v26, v24
	v_cvt_i32_f64_e32 v7, v[10:11]
	v_add_nc_u32_e32 v11, 0x60, v39
	v_cvt_i32_f64_e32 v8, v[12:13]
	v_dual_add_nc_u32 v12, 64, v39 :: v_dual_bitop2_b32 v42, -4, v42 bitop3:0x40
	v_add_nc_u32_e32 v23, v31, v23
	s_delay_alu instid0(VALU_DEP_4)
	v_and_b32_e32 v11, 0x1fc, v11
	v_lshlrev_b32_e32 v50, 2, v38
	v_add_nc_u32_e32 v46, v74, v46
	v_and_b32_e32 v12, 0x1fc, v12
	v_and_b32_e32 v23, -4, v23
	v_add_nc_u32_e32 v13, 32, v39
	v_add3_u32 v42, v42, v50, 0xa200
	v_min_i32_e32 v54, s7, v54
	v_mad_u32 v45, 0x104, v27, v24
	v_add3_u32 v23, v23, v50, 0xa200
	v_mad_u32 v49, 0x104, v29, v24
	v_mad_u32 v51, 0x104, v35, v24
	v_mad_u32 v57, v54, s4, v1
	v_lshlrev_b32_e32 v1, 5, v34
	v_mad_u32 v53, 0x104, v36, v24
	v_mad_u32 v55, 0x104, v37, v24
	v_mad_u32 v67, 0x104, v52, v24
	v_mad_u32 v69, 0x104, v56, v24
	v_dual_add_nc_u32 v59, v42, v1 :: v_dual_lshlrev_b32 v1, 5, v31
	v_mul_lo_u32 v153, s4, v5
	v_lshlrev_b32_e32 v5, 7, v28
	v_and_b32_e32 v42, 31, v0
	v_cvt_i32_f64_e32 v9, v[14:15]
	v_dual_add_nc_u32 v65, v23, v1 :: v_dual_lshlrev_b32 v1, 2, v39
	v_and_b32_e32 v15, 0xfc, v0
	v_and_b32_e32 v14, 0x1fc, v13
	v_add_min_i32_e64 v23, 0x68, v17, s5
	v_mad_u32 v71, 0x104, v58, v24
	v_and_b32_e32 v0, 28, v1
	v_cvt_i32_f64_e32 v2, v[2:3]
	v_dual_lshlrev_b32 v3, 5, v39 :: v_dual_bitop2_b32 v46, -4, v46 bitop3:0x40
	v_mov_b32_e32 v1, v19
	v_mad_u32 v148, 0x104, v23, v24
	v_mad_u32 v149, 0x104, v68, v24
	s_delay_alu instid0(VALU_DEP_4)
	v_add_nc_u32_e32 v12, v3, v12
	v_cvt_i32_f64_e32 v10, v[20:21]
	v_dual_lshlrev_b32 v20, 5, v74 :: v_dual_add_nc_u32 v11, v3, v11
	v_dual_add_nc_u32 v14, v3, v14 :: v_dual_add_nc_u32 v3, v3, v15
	v_add3_u32 v46, v46, v50, 0xa200
	v_dual_lshlrev_b32 v15, 5, v76 :: v_dual_bitop2_b32 v22, -4, v22 bitop3:0x40
	v_add_min_i32_e64 v21, 0x58, v17, s5
	v_mad_u32 v150, 0x104, v70, v24
	s_delay_alu instid0(VALU_DEP_4) | instskip(NEXT) | instid1(VALU_DEP_4)
	v_add_nc_u32_e32 v61, v46, v20
	v_add3_u32 v22, v22, v50, 0xa200
	v_add_min_i32_e64 v20, 0x48, v17, s5
	v_mad_u32 v77, 0x104, v21, v24
	v_mul_lo_u32 v152, s4, v4
	s_delay_alu instid0(VALU_DEP_4)
	v_dual_lshlrev_b32 v4, 7, v25 :: v_dual_add_nc_u32 v63, v22, v15
	v_add_min_i32_e64 v15, 0x50, v17, s5
	v_add_min_i32_e64 v22, 0x60, v17, s5
	v_mad_u32 v73, 0x104, v20, v24
	v_mul_lo_u32 v154, s4, v6
	v_lshlrev_b32_e32 v6, 7, v30
	v_mad_u32 v75, 0x104, v15, v24
	v_mad_u32 v79, 0x104, v22, v24
	v_lshl_or_b32 v24, v42, 2, 0x8200
	v_lshl_or_b32 v46, v48, 4, v18
	v_mul_lo_u32 v155, s4, v7
	v_mul_lo_u32 v156, s4, v8
	v_lshlrev_b32_e32 v7, 7, v32
	v_mul_lo_u32 v157, s4, v9
	v_dual_lshlrev_b32 v8, 7, v33 :: v_dual_lshlrev_b32 v9, 7, v40
	v_mul_lo_u32 v159, s4, v2
	v_dual_lshlrev_b32 v2, 7, v44 :: v_dual_lshrrev_b32 v160, 3, v13
	v_dual_add_nc_u32 v161, v24, v4 :: v_dual_add_nc_u32 v162, v24, v5
	v_dual_add_nc_u32 v163, v24, v6 :: v_dual_lshlrev_b32 v4, 7, v17
	v_add_nc_u32_e32 v151, 0xb280, v46
	v_mul_lo_u32 v158, s4, v10
	v_mul_lo_u32 v40, v26, s15
	;; [unrolled: 1-line block ×21, first 2 shown]
	s_mul_i32 s10, s15, s14
	s_wait_kmcnt 0x0
	v_add_nc_u64_e32 v[0:1], s[2:3], v[0:1]
	v_dual_add_nc_u32 v164, v24, v7 :: v_dual_add_nc_u32 v165, v24, v8
	v_dual_add_nc_u32 v166, v24, v9 :: v_dual_add_nc_u32 v167, v24, v2
	v_add_nc_u32_e32 v168, v24, v4
	v_add_nc_u32_e32 v169, 0x8200, v4
	;; [unrolled: 1-line block ×10, first 2 shown]
	s_movk_i32 s4, 0x80
	v_mov_b64_e32 v[36:37], 0
	v_mov_b64_e32 v[8:9], 0
	;; [unrolled: 1-line block ×16, first 2 shown]
	s_ashr_i32 s11, s10, 31
	v_mul_u32_u24_e32 v178, 0x104, v39
	v_lshl_add_u32 v179, v17, 4, 0xb280
	v_mad_u32_u24 v180, 0x104, v39, s4
	s_mul_u64 s[10:11], s[10:11], 22
	s_mov_b32 s5, 0
	s_add_nc_u64 s[0:1], s[0:1], s[10:11]
	s_add_co_i32 s7, s15, 3
	s_mov_b32 s4, s5
	s_branch .LBB122_6
.LBB122_5:                              ;   in Loop: Header=BB122_6 Depth=1
	s_add_co_i32 s4, s4, 8
	s_add_co_i32 s7, s7, -8
	s_cmp_ge_i32 s4, s15
	s_cbranch_scc1 .LBB122_13
.LBB122_6:                              ; =>This Loop Header: Depth=1
                                        ;     Child Loop BB122_8 Depth 2
                                        ;     Child Loop BB122_11 Depth 2
	s_mul_u64 s[10:11], s[4:5], 22
	s_cmp_gt_u32 s7, 3
	s_add_nc_u64 s[10:11], s[0:1], s[10:11]
	s_delay_alu instid0(SALU_CYCLE_1) | instskip(SKIP_1) | instid1(VALU_DEP_2)
	v_mad_nc_u64_u32 v[80:81], v16, 22, s[10:11]
	v_mad_nc_u64_u32 v[82:83], v38, 22, s[10:11]
	v_mad_nc_i64_i32 v[84:85], v40, 22, v[80:81]
	v_mad_nc_i64_i32 v[86:87], v42, 22, v[80:81]
	;; [unrolled: 1-line block ×12, first 2 shown]
	v_add_nc_u64_e32 v[106:107], v[84:85], v[18:19]
	v_add_nc_u64_e32 v[108:109], v[86:87], v[18:19]
	;; [unrolled: 1-line block ×4, first 2 shown]
	s_clause 0xb
	global_load_u16 v114, v[94:95], off
	global_load_u16 v115, v[96:97], off
	;; [unrolled: 1-line block ×4, first 2 shown]
	global_load_b32 v118, v[90:91], off offset:2
	global_load_b32 v119, v[88:89], off offset:2
	;; [unrolled: 1-line block ×8, first 2 shown]
	s_wait_xcnt 0x8
	v_add_nc_u64_e32 v[82:83], v[92:93], v[18:19]
	s_wait_xcnt 0x6
	v_mad_nc_i64_i32 v[88:89], v62, 22, v[80:81]
	v_mad_nc_i64_i32 v[94:95], v66, 22, v[80:81]
	s_wait_xcnt 0x4
	v_add_nc_u64_e32 v[84:85], v[100:101], v[18:19]
	v_add_nc_u64_e32 v[86:87], v[102:103], v[18:19]
	s_clause 0x6
	global_load_b32 v112, v[104:105], off offset:2
	global_load_b32 v113, v[102:103], off offset:2
	;; [unrolled: 1-line block ×7, first 2 shown]
	v_add_nc_u64_e32 v[90:91], v[104:105], v[18:19]
	s_wait_xcnt 0x2
	v_mad_nc_i64_i32 v[82:83], v56, 22, v[80:81]
	s_wait_xcnt 0x1
	v_mad_nc_i64_i32 v[84:85], v58, 22, v[80:81]
	;; [unrolled: 2-line block ×3, first 2 shown]
	v_mad_nc_i64_i32 v[92:93], v64, 22, v[80:81]
	v_mad_nc_i64_i32 v[96:97], v68, 22, v[80:81]
	;; [unrolled: 1-line block ×3, first 2 shown]
	global_load_b32 v131, v[90:91], off offset:6
	v_add_nc_u64_e32 v[102:103], v[88:89], v[18:19]
	v_add_nc_u64_e32 v[106:107], v[94:95], v[18:19]
	s_wait_xcnt 0x0
	v_add_nc_u64_e32 v[90:91], v[82:83], v[18:19]
	v_add_nc_u64_e32 v[98:99], v[84:85], v[18:19]
	;; [unrolled: 1-line block ×6, first 2 shown]
	s_clause 0xf
	global_load_b32 v132, v[90:91], off offset:6
	global_load_b32 v133, v[98:99], off offset:6
	;; [unrolled: 1-line block ×15, first 2 shown]
	; meta instruction
	; meta instruction
	;; [unrolled: 1-line block ×15, first 2 shown]
	global_load_b32 v81, v[92:93], off offset:2
	s_wait_loadcnt 0x23
	v_cvt_f32_f16_e32 v82, v114
	s_wait_loadcnt 0x22
	v_cvt_f32_f16_e32 v83, v115
	;; [unrolled: 2-line block ×4, first 2 shown]
	s_wait_loadcnt 0x1e
	s_wait_xcnt 0x1
	v_dual_ashrrev_i32 v94, v18, v118 :: v_dual_ashrrev_i32 v91, v18, v119
	s_wait_loadcnt 0x1c
	v_dual_ashrrev_i32 v88, v18, v120 :: v_dual_ashrrev_i32 v85, v18, v121
	s_wait_loadcnt 0x1a
	v_dual_lshrrev_b32 v87, 4, v122 :: v_dual_lshrrev_b32 v90, 4, v123
	v_and_b32_e32 v86, 0xf0f0f0f, v122
	s_delay_alu instid0(VALU_DEP_3)
	v_dual_lshlrev_b32 v114, 4, v88 :: v_dual_lshlrev_b32 v115, 11, v88
	s_wait_loadcnt 0x16
	v_ashrrev_i32_e32 v103, v18, v113
	v_dual_lshlrev_b32 v106, 4, v85 :: v_dual_lshlrev_b32 v107, 11, v85
	v_dual_lshlrev_b32 v108, 18, v85 :: v_dual_lshlrev_b32 v109, 25, v85
	v_dual_lshrrev_b32 v110, 12, v85 :: v_dual_lshrrev_b32 v111, 5, v85
	v_dual_lshlrev_b32 v113, 2, v85 :: v_dual_lshlrev_b32 v85, 9, v85
	s_wait_loadcnt 0x13
	v_dual_ashrrev_i32 v97, v18, v127 :: v_dual_lshrrev_b32 v99, 4, v128
	s_wait_loadcnt 0x12
	v_dual_ashrrev_i32 v100, v18, v126 :: v_dual_lshrrev_b32 v102, 4, v129
	v_dual_lshlrev_b32 v116, 18, v88 :: v_dual_lshlrev_b32 v117, 25, v88
	v_dual_lshrrev_b32 v118, 12, v88 :: v_dual_lshrrev_b32 v119, 5, v88
	v_dual_lshlrev_b32 v120, 2, v88 :: v_dual_lshlrev_b32 v88, 9, v88
	v_and_b32_e32 v87, 0xf0f0f0f, v87
	v_and_b32_e32 v113, 0x100000, v113
	;; [unrolled: 1-line block ×4, first 2 shown]
	s_wait_xcnt 0x0
	v_and_b32_e32 v92, 0xf0f0f0f, v124
	v_lshrrev_b32_e32 v93, 4, v124
	v_and_b32_e32 v95, 0xf0f0f0f, v125
	v_lshrrev_b32_e32 v96, 4, v125
	v_and_b32_e32 v98, 0xf0f0f0f, v128
	v_and_b32_e32 v101, 0xf0f0f0f, v129
	s_wait_loadcnt 0x11
	v_and_b32_e32 v104, 0xf0f0f0f, v130
	v_dual_lshrrev_b32 v105, 4, v130 :: v_dual_lshlrev_b32 v121, 4, v91
	v_dual_lshlrev_b32 v122, 11, v91 :: v_dual_lshlrev_b32 v123, 18, v91
	v_dual_lshlrev_b32 v124, 25, v91 :: v_dual_lshrrev_b32 v125, 12, v91
	v_dual_lshrrev_b32 v126, 5, v91 :: v_dual_lshlrev_b32 v127, 2, v91
	v_dual_lshlrev_b32 v91, 9, v91 :: v_dual_lshlrev_b32 v128, 4, v94
	v_dual_lshlrev_b32 v129, 11, v94 :: v_dual_lshlrev_b32 v130, 18, v94
	v_dual_lshlrev_b32 v147, 25, v94 :: v_dual_lshrrev_b32 v181, 12, v94
	v_dual_lshrrev_b32 v182, 5, v94 :: v_dual_lshlrev_b32 v183, 2, v94
	v_dual_lshlrev_b32 v94, 9, v94 :: v_dual_lshlrev_b32 v184, 4, v97
	;; [unrolled: 4-line block ×3, first 2 shown]
	v_dual_lshlrev_b32 v192, 11, v100 :: v_dual_lshlrev_b32 v193, 18, v100
	v_dual_lshlrev_b32 v194, 25, v100 :: v_dual_lshrrev_b32 v195, 12, v100
	v_dual_lshrrev_b32 v196, 5, v100 :: v_dual_lshlrev_b32 v197, 2, v100
	v_lshlrev_b32_e32 v100, 9, v100
	v_and_b32_e32 v90, 0xf0f0f0f, v90
	v_and_b32_e32 v120, 0x100000, v120
	;; [unrolled: 1-line block ×6, first 2 shown]
	v_or3_b32 v85, v87, v113, v85
	v_and_b32_e32 v106, 16, v106
	v_and_b32_e32 v93, 0xf0f0f0f, v93
	;; [unrolled: 1-line block ×16, first 2 shown]
	v_or3_b32 v88, v90, v120, v88
	v_and_b32_e32 v114, 16, v114
	v_and_b32_e32 v118, 16, v118
	;; [unrolled: 1-line block ×4, first 2 shown]
	v_lshrrev_b32_e32 v85, 16, v85
	v_or3_b32 v106, v106, v86, v107
	v_or3_b32 v86, v86, v108, v109
	v_and_b32_e32 v121, 16, v121
	v_and_b32_e32 v126, 0x1000, v126
	v_and_b32_e32 v128, 16, v128
	v_and_b32_e32 v129, 0x1000, v129
	v_and_b32_e32 v182, 0x1000, v182
	v_and_b32_e32 v184, 16, v184
	v_and_b32_e32 v185, 0x1000, v185
	v_and_b32_e32 v189, 0x1000, v189
	v_and_b32_e32 v191, 16, v191
	v_and_b32_e32 v192, 0x1000, v192
	v_and_b32_e32 v193, 0x100000, v193
	v_and_b32_e32 v194, 0x10000000, v194
	v_and_b32_e32 v196, 0x1000, v196
	v_or3_b32 v107, v110, v87, v111
	v_or3_b32 v91, v93, v127, v91
	v_and_b32_e32 v125, 16, v125
	v_or3_b32 v94, v96, v183, v94
	v_and_b32_e32 v181, 16, v181
	;; [unrolled: 2-line block ×4, first 2 shown]
	v_and_b32_e32 v116, 0x100000, v116
	v_and_b32_e32 v117, 0x10000000, v117
	v_lshrrev_b32_e32 v88, 16, v88
	v_or3_b32 v87, v114, v89, v115
	v_or3_b32 v108, v118, v90, v119
	v_lshrrev_b32_e32 v86, 16, v86
	v_or3_b32 v90, v121, v92, v122
	v_and_b32_e32 v123, 0x100000, v123
	v_and_b32_e32 v124, 0x10000000, v124
	;; [unrolled: 1-line block ×3, first 2 shown]
	v_lshlrev_b16 v106, 8, v106
	v_lshlrev_b16 v115, 8, v107
	v_lshrrev_b32_e32 v91, 16, v91
	v_or3_b32 v109, v125, v93, v126
	v_or3_b32 v93, v128, v95, v129
	v_lshrrev_b32_e32 v94, 16, v94
	v_or3_b32 v110, v181, v96, v182
	v_or3_b32 v96, v184, v98, v185
	;; [unrolled: 3-line block ×3, first 2 shown]
	v_or3_b32 v101, v101, v193, v194
	v_lshrrev_b32_e32 v100, 16, v100
	v_or3_b32 v113, v195, v102, v196
	v_or3_b32 v89, v89, v116, v117
	v_lshlrev_b16 v116, 8, v87
	v_lshlrev_b16 v118, 8, v90
	v_and_b32_e32 v130, 0x100000, v130
	v_and_b32_e32 v147, 0x10000000, v147
	;; [unrolled: 1-line block ×4, first 2 shown]
	v_or3_b32 v92, v92, v123, v124
	v_lshlrev_b16 v120, 8, v93
	v_lshlrev_b16 v122, 8, v96
	v_lshrrev_b32_e32 v101, 16, v101
	v_and_b32_e32 v124, 0x1f00, v99
	v_lshlrev_b16 v99, 8, v99
	v_lshlrev_b16 v125, 8, v113
	v_add_nc_u16 v114, 0xf000, v114
	v_add_nc_u16 v106, 0xf000, v106
	v_and_b32_e32 v127, 0x1f00, v86
	v_lshlrev_b16 v86, 8, v86
	v_add_nc_u16 v115, 0xf000, v115
	v_add_nc_u16 v116, 0xf000, v116
	;; [unrolled: 1-line block ×3, first 2 shown]
	v_or3_b32 v95, v95, v130, v147
	v_or3_b32 v98, v98, v186, v187
	v_add_nc_u16 v120, 0xf000, v120
	v_add_nc_u16 v122, 0xf000, v122
	;; [unrolled: 1-line block ×4, first 2 shown]
	v_and_b32_e32 v186, 0x1f00, v101
	v_lshlrev_b16 v101, 8, v101
	v_add_nc_u16 v125, 0xf000, v125
	v_perm_b32 v106, v106, v114, 0xc0c0105
	v_add_nc_u16 v114, 0xf000, v127
	v_add_nc_u16 v86, 0xf000, v86
	v_lshrrev_b16 v115, 8, v115
	v_lshrrev_b32_e32 v89, 16, v89
	v_and_b32_e32 v117, 0x1f00, v108
	v_lshlrev_b16 v108, 8, v108
	v_lshrrev_b16 v116, 8, v116
	v_lshrrev_b32_e32 v92, 16, v92
	v_and_b32_e32 v119, 0x1f00, v109
	v_lshlrev_b16 v109, 8, v109
	v_lshrrev_b16 v118, 8, v118
	v_dual_lshlrev_b32 v198, 4, v103 :: v_dual_lshlrev_b32 v199, 11, v103
	v_dual_lshlrev_b32 v200, 18, v103 :: v_dual_lshlrev_b32 v201, 25, v103
	v_lshrrev_b32_e32 v95, 16, v95
	v_and_b32_e32 v121, 0x1f00, v110
	v_lshlrev_b16 v110, 8, v110
	v_lshrrev_b32_e32 v98, 16, v98
	v_and_b32_e32 v123, 0x1f00, v111
	v_lshlrev_b16 v111, 8, v111
	v_and_b32_e32 v128, 0x1f00, v85
	v_lshlrev_b16 v85, 8, v85
	v_lshrrev_b16 v120, 8, v120
	v_lshrrev_b16 v122, 8, v122
	v_perm_b32 v99, v99, v124, 0xc0c0105
	v_add_nc_u16 v124, 0xf000, v186
	v_add_nc_u16 v101, 0xf000, v101
	v_lshrrev_b16 v125, 8, v125
	v_perm_b32 v86, v86, v114, 0xc0c0105
	v_bitop3_b16 v107, v107, v115, 0x1f00 bitop3:0xec
	v_and_b32_e32 v129, 0x1f00, v89
	v_lshlrev_b16 v89, 8, v89
	v_add_nc_u16 v117, 0xf000, v117
	v_add_nc_u16 v108, 0xf000, v108
	v_and_b32_e32 v130, 0x1f00, v88
	v_lshlrev_b16 v88, 8, v88
	v_bitop3_b16 v87, v87, v116, 0x1f00 bitop3:0xec
	v_and_b32_e32 v147, 0x1f00, v92
	v_lshlrev_b16 v92, 8, v92
	v_add_nc_u16 v119, 0xf000, v119
	v_add_nc_u16 v109, 0xf000, v109
	v_and_b32_e32 v181, 0x1f00, v91
	v_lshlrev_b16 v91, 8, v91
	v_bitop3_b16 v90, v90, v118, 0x1f00 bitop3:0xec
	v_and_b32_e32 v198, 16, v198
	v_and_b32_e32 v199, 0x1000, v199
	;; [unrolled: 1-line block ×5, first 2 shown]
	v_lshlrev_b16 v95, 8, v95
	v_add_nc_u16 v121, 0xf000, v121
	v_add_nc_u16 v110, 0xf000, v110
	v_and_b32_e32 v183, 0x1f00, v94
	v_lshlrev_b16 v94, 8, v94
	v_and_b32_e32 v184, 0x1f00, v98
	v_lshlrev_b16 v98, 8, v98
	v_add_nc_u16 v123, 0xf000, v123
	v_add_nc_u16 v111, 0xf000, v111
	v_and_b32_e32 v185, 0x1f00, v97
	v_lshlrev_b16 v97, 8, v97
	v_and_b32_e32 v187, 0x1f00, v100
	v_lshlrev_b16 v100, 8, v100
	v_add_nc_u16 v127, 0xf000, v128
	v_add_nc_u16 v85, 0xf000, v85
	v_bitop3_b16 v93, v93, v120, 0x1f00 bitop3:0xec
	v_bitop3_b16 v96, v96, v122, 0x1f00 bitop3:0xec
	v_perm_b32 v101, v101, v124, 0xc0c0105
	v_bitop3_b16 v113, v113, v125, 0x1f00 bitop3:0xec
	v_lshl_or_b32 v86, v86, 16, v106
	v_add_nc_u16 v106, 0xf000, v107
	v_add_nc_u16 v128, 0xf000, v129
	;; [unrolled: 1-line block ×3, first 2 shown]
	v_perm_b32 v108, v108, v117, 0xc0c0105
	v_add_nc_u16 v117, 0xf000, v130
	v_add_nc_u16 v88, 0xf000, v88
	;; [unrolled: 1-line block ×5, first 2 shown]
	v_perm_b32 v109, v109, v119, 0xc0c0105
	v_add_nc_u16 v119, 0xf000, v181
	v_add_nc_u16 v91, 0xf000, v91
	;; [unrolled: 1-line block ×3, first 2 shown]
	v_or3_b32 v102, v198, v104, v199
	v_or3_b32 v104, v104, v200, v201
	v_add_nc_u16 v130, 0xf000, v182
	v_add_nc_u16 v95, 0xf000, v95
	v_perm_b32 v110, v110, v121, 0xc0c0105
	v_add_nc_u16 v121, 0xf000, v183
	v_add_nc_u16 v94, 0xf000, v94
	v_add_nc_u16 v147, 0xf000, v184
	v_add_nc_u16 v98, 0xf000, v98
	v_perm_b32 v111, v111, v123, 0xc0c0105
	v_add_nc_u16 v123, 0xf000, v185
	v_add_nc_u16 v97, 0xf000, v97
	;; [unrolled: 5-line block ×3, first 2 shown]
	v_lshl_or_b32 v99, v101, 16, v99
	v_add_nc_u16 v101, 0xf000, v113
	v_and_b32_e32 v106, 0xffff, v106
	v_perm_b32 v89, v89, v128, 0xc0c0105
	v_perm_b32 v88, v88, v117, 0xc0c0105
	v_and_b32_e32 v87, 0xffff, v87
	v_perm_b32 v92, v92, v129, 0xc0c0105
	v_perm_b32 v91, v91, v119, 0xc0c0105
	v_and_b32_e32 v90, 0xffff, v90
	v_lshrrev_b32_e32 v104, 16, v104
	v_perm_b32 v95, v95, v130, 0xc0c0105
	v_perm_b32 v94, v94, v121, 0xc0c0105
	;; [unrolled: 1-line block ×5, first 2 shown]
	v_and_b32_e32 v93, 0xffff, v93
	v_and_b32_e32 v96, 0xffff, v96
	;; [unrolled: 1-line block ×3, first 2 shown]
	v_lshl_or_b32 v85, v85, 16, v106
	v_lshl_or_b32 v88, v88, 16, v108
	v_lshl_or_b32 v87, v89, 16, v87
	v_lshl_or_b32 v91, v91, 16, v109
	v_lshl_or_b32 v89, v92, 16, v90
	v_dual_lshrrev_b32 v202, 12, v103 :: v_dual_lshrrev_b32 v203, 5, v103
	v_dual_lshlrev_b32 v204, 2, v103 :: v_dual_lshlrev_b32 v103, 9, v103
	v_lshl_or_b32 v94, v94, 16, v110
	v_lshl_or_b32 v97, v97, 16, v111
	;; [unrolled: 1-line block ×5, first 2 shown]
	ds_store_2addr_b32 v43, v86, v85 offset1:1
	ds_store_b32 v59, v82
	ds_store_2addr_b32 v45, v87, v88 offset1:1
	ds_store_b32 v61, v83
	;; [unrolled: 2-line block ×3, first 2 shown]
	ds_store_2addr_b32 v51, v90, v94 offset1:1
	ds_store_2addr_b32 v53, v92, v97 offset1:1
	;; [unrolled: 1-line block ×3, first 2 shown]
	v_and_b32_e32 v84, 0x1f00, v104
	v_lshlrev_b16 v85, 8, v104
	v_and_b32_e32 v105, 0xf0f0f0f, v105
	v_and_b32_e32 v202, 16, v202
	;; [unrolled: 1-line block ×6, first 2 shown]
	v_lshlrev_b16 v102, 8, v102
	v_add_nc_u16 v84, 0xf000, v84
	v_add_nc_u16 v85, 0xf000, v85
	v_or3_b32 v82, v105, v204, v103
	v_add_nc_u16 v126, 0xf000, v126
	v_add_nc_u16 v86, 0xf000, v102
	s_wait_loadcnt 0x0
	v_ashrrev_i32_e32 v81, v18, v81
	v_perm_b32 v84, v85, v84, 0xc0c0105
	v_ashrrev_i32_e32 v85, v18, v112
	v_or3_b32 v83, v202, v105, v203
	v_lshrrev_b32_e32 v82, 16, v82
	v_perm_b32 v86, v86, v126, 0xc0c0105
	s_delay_alu instid0(VALU_DEP_4) | instskip(NEXT) | instid1(VALU_DEP_4)
	v_lshrrev_b32_e32 v90, 12, v85
	v_lshlrev_b16 v87, 8, v83
	v_lshrrev_b32_e32 v91, 5, v85
	s_delay_alu instid0(VALU_DEP_4) | instskip(SKIP_4) | instid1(VALU_DEP_4)
	v_lshl_or_b32 v84, v84, 16, v86
	v_lshlrev_b32_e32 v86, 4, v85
	v_and_b32_e32 v88, 0x1f00, v82
	v_add_nc_u16 v87, 0xf000, v87
	v_lshlrev_b16 v82, 8, v82
	v_dual_lshlrev_b32 v89, 11, v85 :: v_dual_bitop2_b32 v86, 16, v86 bitop3:0x40
	s_delay_alu instid0(VALU_DEP_4) | instskip(NEXT) | instid1(VALU_DEP_4)
	v_add_nc_u16 v88, 0xf000, v88
	v_lshrrev_b16 v87, 8, v87
	s_delay_alu instid0(VALU_DEP_4) | instskip(SKIP_2) | instid1(VALU_DEP_4)
	v_add_nc_u16 v82, 0xf000, v82
	v_dual_lshlrev_b32 v92, 25, v85 :: v_dual_bitop2_b32 v90, 16, v90 bitop3:0x40
	v_lshlrev_b32_e32 v93, 2, v85
	v_bitop3_b16 v83, v83, v87, 0x1f00 bitop3:0xec
	s_delay_alu instid0(VALU_DEP_4) | instskip(SKIP_4) | instid1(VALU_DEP_3)
	v_perm_b32 v82, v82, v88, 0xc0c0105
	v_and_b32_e32 v87, 0xf0f0f0f, v131
	v_and_b32_e32 v88, 0x1000, v89
	v_lshrrev_b32_e32 v89, 4, v131
	v_add_nc_u16 v83, 0xf000, v83
	v_or3_b32 v86, v86, v87, v88
	v_lshlrev_b32_e32 v88, 18, v85
	s_delay_alu instid0(VALU_DEP_4) | instskip(SKIP_4) | instid1(VALU_DEP_4)
	v_and_b32_e32 v89, 0xf0f0f0f, v89
	v_and_b32_e32 v91, 0x1000, v91
	v_lshlrev_b32_e32 v85, 9, v85
	v_and_b32_e32 v83, 0xffff, v83
	v_and_b32_e32 v88, 0x100000, v88
	v_or3_b32 v90, v90, v89, v91
	v_and_b32_e32 v91, 0x10000000, v92
	v_and_b32_e32 v92, 0x100000, v93
	;; [unrolled: 1-line block ×3, first 2 shown]
	v_lshl_or_b32 v82, v82, 16, v83
	v_lshlrev_b16 v93, 8, v90
	v_or3_b32 v87, v87, v88, v91
	v_and_b32_e32 v88, 0x1f00, v86
	v_or3_b32 v85, v89, v92, v85
	v_lshlrev_b16 v86, 8, v86
	v_add_nc_u16 v89, 0xf000, v93
	v_lshrrev_b32_e32 v87, 16, v87
	v_add_nc_u16 v88, 0xf000, v88
	v_lshrrev_b32_e32 v85, 16, v85
	v_add_nc_u16 v86, 0xf000, v86
	v_lshrrev_b16 v89, 8, v89
	v_and_b32_e32 v91, 0x1f00, v87
	v_lshlrev_b16 v87, 8, v87
	v_and_b32_e32 v92, 0x1f00, v85
	v_lshlrev_b16 v85, 8, v85
	v_bitop3_b16 v89, v90, v89, 0x1f00 bitop3:0xec
	v_add_nc_u16 v90, 0xf000, v91
	v_add_nc_u16 v87, 0xf000, v87
	;; [unrolled: 1-line block ×5, first 2 shown]
	v_perm_b32 v86, v86, v88, 0xc0c0105
	v_perm_b32 v87, v87, v90, 0xc0c0105
	v_ashrrev_i32_e32 v88, v18, v139
	v_perm_b32 v85, v85, v91, 0xc0c0105
	v_and_b32_e32 v89, 0xffff, v89
	s_delay_alu instid0(VALU_DEP_4) | instskip(SKIP_1) | instid1(VALU_DEP_3)
	v_lshl_or_b32 v86, v87, 16, v86
	v_and_b32_e32 v87, 0xf0f0f0f, v132
	v_lshl_or_b32 v85, v85, 16, v89
	ds_store_2addr_b32 v67, v84, v82 offset1:1
	ds_store_2addr_b32 v69, v86, v85 offset1:1
	v_lshrrev_b32_e32 v85, 4, v132
	v_dual_lshlrev_b32 v83, 4, v88 :: v_dual_lshlrev_b32 v90, 11, v88
	v_dual_lshlrev_b32 v82, 18, v88 :: v_dual_lshlrev_b32 v84, 25, v88
	s_delay_alu instid0(VALU_DEP_2) | instskip(NEXT) | instid1(VALU_DEP_3)
	v_dual_lshrrev_b32 v86, 12, v88 :: v_dual_bitop2_b32 v83, 16, v83 bitop3:0x40
	v_and_b32_e32 v89, 0x1000, v90
	s_delay_alu instid0(VALU_DEP_3) | instskip(NEXT) | instid1(VALU_DEP_4)
	v_and_b32_e32 v82, 0x100000, v82
	v_and_b32_e32 v84, 0x10000000, v84
	v_lshlrev_b32_e32 v90, 2, v88
	v_and_b32_e32 v85, 0xf0f0f0f, v85
	v_or3_b32 v83, v83, v87, v89
	v_dual_lshrrev_b32 v89, 5, v88 :: v_dual_bitop2_b32 v86, 16, v86 bitop3:0x40
	v_lshlrev_b32_e32 v88, 9, v88
	v_or3_b32 v82, v87, v82, v84
	v_and_b32_e32 v87, 0x100000, v90
	s_delay_alu instid0(VALU_DEP_4) | instskip(SKIP_3) | instid1(VALU_DEP_4)
	v_and_b32_e32 v89, 0x1000, v89
	v_and_b32_e32 v84, 0x1f00, v83
	;; [unrolled: 1-line block ×3, first 2 shown]
	v_lshlrev_b16 v83, 8, v83
	v_or3_b32 v86, v86, v85, v89
	s_delay_alu instid0(VALU_DEP_4) | instskip(NEXT) | instid1(VALU_DEP_4)
	v_add_nc_u16 v84, 0xf000, v84
	v_or3_b32 v85, v85, v87, v88
	v_lshrrev_b32_e32 v82, 16, v82
	v_add_nc_u16 v83, 0xf000, v83
	v_lshlrev_b16 v87, 8, v86
	s_delay_alu instid0(VALU_DEP_4) | instskip(NEXT) | instid1(VALU_DEP_4)
	v_lshrrev_b32_e32 v85, 16, v85
	v_and_b32_e32 v88, 0x1f00, v82
	v_lshlrev_b16 v82, 8, v82
	s_delay_alu instid0(VALU_DEP_4)
	v_add_nc_u16 v87, 0xf000, v87
	v_perm_b32 v83, v83, v84, 0xc0c0105
	v_and_b32_e32 v84, 0x1f00, v85
	v_add_nc_u16 v88, 0xf000, v88
	v_add_nc_u16 v82, 0xf000, v82
	v_lshrrev_b16 v87, 8, v87
	v_lshlrev_b16 v85, 8, v85
	v_add_nc_u16 v84, 0xf000, v84
	s_delay_alu instid0(VALU_DEP_4) | instskip(SKIP_3) | instid1(VALU_DEP_4)
	v_perm_b32 v82, v82, v88, 0xc0c0105
	v_ashrrev_i32_e32 v88, v18, v138
	v_bitop3_b16 v86, v86, v87, 0x1f00 bitop3:0xec
	v_add_nc_u16 v85, 0xf000, v85
	v_lshl_or_b32 v82, v82, 16, v83
	s_delay_alu instid0(VALU_DEP_4) | instskip(NEXT) | instid1(VALU_DEP_4)
	v_lshlrev_b32_e32 v83, 4, v88
	v_add_nc_u16 v86, 0xf000, v86
	s_delay_alu instid0(VALU_DEP_4) | instskip(SKIP_1) | instid1(VALU_DEP_4)
	v_perm_b32 v84, v85, v84, 0xc0c0105
	v_and_b32_e32 v85, 0xf0f0f0f, v133
	v_dual_lshlrev_b32 v87, 11, v88 :: v_dual_bitop2_b32 v83, 16, v83 bitop3:0x40
	v_dual_lshrrev_b32 v89, 4, v133 :: v_dual_lshrrev_b32 v90, 12, v88
	v_lshrrev_b32_e32 v91, 5, v88
	v_and_b32_e32 v86, 0xffff, v86
	s_delay_alu instid0(VALU_DEP_4) | instskip(NEXT) | instid1(VALU_DEP_4)
	v_and_b32_e32 v87, 0x1000, v87
	v_and_b32_e32 v89, 0xf0f0f0f, v89
	v_dual_lshlrev_b32 v92, 25, v88 :: v_dual_bitop2_b32 v90, 16, v90 bitop3:0x40
	v_lshlrev_b32_e32 v93, 2, v88
	s_delay_alu instid0(VALU_DEP_4) | instskip(SKIP_4) | instid1(VALU_DEP_4)
	v_or3_b32 v83, v83, v85, v87
	v_lshlrev_b32_e32 v87, 18, v88
	v_and_b32_e32 v91, 0x1000, v91
	v_lshlrev_b32_e32 v88, 9, v88
	v_lshl_or_b32 v84, v84, 16, v86
	v_and_b32_e32 v87, 0x100000, v87
	s_delay_alu instid0(VALU_DEP_4)
	v_or3_b32 v90, v90, v89, v91
	v_and_b32_e32 v91, 0x10000000, v92
	v_and_b32_e32 v92, 0x100000, v93
	;; [unrolled: 1-line block ×3, first 2 shown]
	ds_store_2addr_b32 v71, v82, v84 offset1:1
	v_lshlrev_b16 v86, 8, v90
	v_or3_b32 v85, v85, v87, v91
	v_and_b32_e32 v87, 0x1f00, v83
	v_or3_b32 v88, v89, v92, v88
	v_lshlrev_b16 v83, 8, v83
	v_add_nc_u16 v86, 0xf000, v86
	v_lshrrev_b32_e32 v85, 16, v85
	v_add_nc_u16 v87, 0xf000, v87
	v_lshrrev_b32_e32 v88, 16, v88
	v_add_nc_u16 v83, 0xf000, v83
	v_lshrrev_b16 v86, 8, v86
	v_and_b32_e32 v89, 0x1f00, v85
	v_lshlrev_b16 v85, 8, v85
	v_and_b32_e32 v91, 0x1f00, v88
	v_lshlrev_b16 v88, 8, v88
	v_bitop3_b16 v86, v90, v86, 0x1f00 bitop3:0xec
	v_add_nc_u16 v89, 0xf000, v89
	v_add_nc_u16 v85, 0xf000, v85
	v_add_nc_u16 v90, 0xf000, v91
	v_add_nc_u16 v88, 0xf000, v88
	v_add_nc_u16 v86, 0xf000, v86
	v_perm_b32 v83, v83, v87, 0xc0c0105
	v_ashrrev_i32_e32 v87, v18, v137
	v_perm_b32 v85, v85, v89, 0xc0c0105
	v_perm_b32 v88, v88, v90, 0xc0c0105
	v_and_b32_e32 v86, 0xffff, v86
	s_delay_alu instid0(VALU_DEP_4) | instskip(NEXT) | instid1(VALU_DEP_4)
	v_lshlrev_b32_e32 v82, 4, v87
	v_lshl_or_b32 v83, v85, 16, v83
	s_delay_alu instid0(VALU_DEP_3) | instskip(SKIP_1) | instid1(VALU_DEP_4)
	v_lshl_or_b32 v85, v88, 16, v86
	v_and_b32_e32 v86, 0xf0f0f0f, v134
	v_dual_lshlrev_b32 v84, 11, v87 :: v_dual_bitop2_b32 v82, 16, v82 bitop3:0x40
	v_dual_lshlrev_b32 v88, 18, v87 :: v_dual_lshlrev_b32 v89, 25, v87
	v_dual_lshrrev_b32 v90, 4, v134 :: v_dual_lshrrev_b32 v91, 12, v87
	s_delay_alu instid0(VALU_DEP_3) | instskip(NEXT) | instid1(VALU_DEP_3)
	v_and_b32_e32 v84, 0x1000, v84
	v_and_b32_e32 v88, 0x100000, v88
	s_delay_alu instid0(VALU_DEP_4)
	v_and_b32_e32 v89, 0x10000000, v89
	v_lshrrev_b32_e32 v92, 5, v87
	v_and_b32_e32 v90, 0xf0f0f0f, v90
	v_or3_b32 v82, v82, v86, v84
	v_dual_lshlrev_b32 v84, 2, v87 :: v_dual_lshlrev_b32 v87, 9, v87
	v_or3_b32 v86, v86, v88, v89
	v_and_b32_e32 v91, 16, v91
	v_and_b32_e32 v92, 0x1000, v92
	s_delay_alu instid0(VALU_DEP_4)
	v_and_b32_e32 v84, 0x100000, v84
	v_and_b32_e32 v87, 0x10000000, v87
	v_lshrrev_b32_e32 v86, 16, v86
	v_and_b32_e32 v89, 0x1f00, v82
	v_or3_b32 v88, v91, v90, v92
	v_lshlrev_b16 v82, 8, v82
	v_or3_b32 v84, v90, v84, v87
	v_and_b32_e32 v87, 0x1f00, v86
	v_lshlrev_b16 v86, 8, v86
	v_lshlrev_b16 v91, 8, v88
	v_add_nc_u16 v89, 0xf000, v89
	v_add_nc_u16 v82, 0xf000, v82
	;; [unrolled: 1-line block ×5, first 2 shown]
	v_lshrrev_b32_e32 v84, 16, v84
	v_perm_b32 v82, v82, v89, 0xc0c0105
	s_delay_alu instid0(VALU_DEP_4)
	v_perm_b32 v86, v86, v87, 0xc0c0105
	v_ashrrev_i32_e32 v87, v18, v136
	v_lshrrev_b16 v90, 8, v90
	v_and_b32_e32 v89, 0x1f00, v84
	v_lshlrev_b16 v84, 8, v84
	v_lshl_or_b32 v82, v86, 16, v82
	v_lshlrev_b32_e32 v86, 4, v87
	v_bitop3_b16 v88, v88, v90, 0x1f00 bitop3:0xec
	v_add_nc_u16 v89, 0xf000, v89
	v_add_nc_u16 v84, 0xf000, v84
	s_delay_alu instid0(VALU_DEP_4)
	v_dual_lshlrev_b32 v90, 11, v87 :: v_dual_bitop2_b32 v86, 16, v86 bitop3:0x40
	v_dual_lshlrev_b32 v91, 18, v87 :: v_dual_lshlrev_b32 v92, 25, v87
	v_dual_lshrrev_b32 v94, 12, v87 :: v_dual_lshrrev_b32 v95, 5, v87
	v_lshrrev_b32_e32 v93, 4, v135
	v_perm_b32 v84, v84, v89, 0xc0c0105
	v_and_b32_e32 v89, 0xf0f0f0f, v135
	v_and_b32_e32 v90, 0x1000, v90
	;; [unrolled: 1-line block ×7, first 2 shown]
	v_or3_b32 v86, v86, v89, v90
	v_dual_lshlrev_b32 v90, 2, v87 :: v_dual_lshlrev_b32 v87, 9, v87
	v_or3_b32 v89, v89, v91, v92
	s_delay_alu instid0(VALU_DEP_4) | instskip(NEXT) | instid1(VALU_DEP_4)
	v_or3_b32 v91, v94, v93, v95
	v_and_b32_e32 v92, 0x1f00, v86
	s_delay_alu instid0(VALU_DEP_4)
	v_and_b32_e32 v90, 0x100000, v90
	v_and_b32_e32 v87, 0x10000000, v87
	v_lshlrev_b16 v86, 8, v86
	v_lshlrev_b16 v94, 8, v91
	v_add_nc_u16 v88, 0xf000, v88
	v_add_nc_u16 v92, 0xf000, v92
	v_or3_b32 v87, v93, v90, v87
	v_lshrrev_b32_e32 v89, 16, v89
	v_add_nc_u16 v90, 0xf000, v94
	v_add_nc_u16 v86, 0xf000, v86
	v_and_b32_e32 v88, 0xffff, v88
	v_lshrrev_b32_e32 v87, 16, v87
	s_delay_alu instid0(VALU_DEP_4) | instskip(NEXT) | instid1(VALU_DEP_4)
	v_lshrrev_b16 v90, 8, v90
	v_perm_b32 v86, v86, v92, 0xc0c0105
	s_delay_alu instid0(VALU_DEP_4) | instskip(NEXT) | instid1(VALU_DEP_4)
	v_lshl_or_b32 v84, v84, 16, v88
	v_and_b32_e32 v92, 0x1f00, v87
	v_lshlrev_b16 v87, 8, v87
	v_bitop3_b16 v90, v91, v90, 0x1f00 bitop3:0xec
	v_and_b32_e32 v88, 0x1f00, v89
	v_lshlrev_b16 v89, 8, v89
	v_add_nc_u16 v91, 0xf000, v92
	v_add_nc_u16 v87, 0xf000, v87
	;; [unrolled: 1-line block ×5, first 2 shown]
	ds_store_2addr_b32 v73, v83, v85 offset1:1
	ds_store_2addr_b32 v75, v82, v84 offset1:1
	v_perm_b32 v87, v87, v91, 0xc0c0105
	v_and_b32_e32 v90, 0xffff, v90
	v_and_b32_e32 v91, 0xf0f0f0f, v140
	v_perm_b32 v88, v89, v88, 0xc0c0105
	s_delay_alu instid0(VALU_DEP_3) | instskip(SKIP_2) | instid1(VALU_DEP_4)
	v_lshl_or_b32 v83, v87, 16, v90
	v_dual_lshrrev_b32 v87, 4, v140 :: v_dual_lshlrev_b32 v89, 4, v81
	v_lshlrev_b32_e32 v92, 11, v81
	v_lshl_or_b32 v82, v88, 16, v86
	v_dual_lshrrev_b32 v88, 12, v81 :: v_dual_lshlrev_b32 v85, 18, v81
	v_lshlrev_b32_e32 v86, 25, v81
	v_and_b32_e32 v89, 16, v89
	v_and_b32_e32 v92, 0x1000, v92
	;; [unrolled: 1-line block ×5, first 2 shown]
	v_lshlrev_b32_e32 v90, 2, v81
	v_or3_b32 v84, v89, v91, v92
	v_dual_lshrrev_b32 v89, 5, v81 :: v_dual_bitop2_b32 v88, 16, v88 bitop3:0x40
	v_lshlrev_b32_e32 v81, 9, v81
	v_or3_b32 v85, v91, v85, v86
	s_delay_alu instid0(VALU_DEP_4) | instskip(NEXT) | instid1(VALU_DEP_4)
	v_and_b32_e32 v86, 0x1f00, v84
	v_and_b32_e32 v89, 0x1000, v89
	v_lshlrev_b16 v84, 8, v84
	v_and_b32_e32 v81, 0x10000000, v81
	v_and_b32_e32 v91, 0xf0f0f0f, v141
	v_add_nc_u16 v86, 0xf000, v86
	v_or3_b32 v88, v88, v87, v89
	v_and_b32_e32 v89, 0x100000, v90
	v_add_nc_u16 v84, 0xf000, v84
	ds_store_2addr_b32 v77, v82, v83 offset1:1
	v_lshlrev_b16 v90, 8, v88
	v_or3_b32 v81, v87, v89, v81
	v_perm_b32 v84, v84, v86, 0xc0c0105
	s_delay_alu instid0(VALU_DEP_3) | instskip(SKIP_1) | instid1(VALU_DEP_1)
	v_add_nc_u16 v89, 0xf000, v90
	v_dual_ashrrev_i32 v90, v18, v146 :: v_dual_lshrrev_b32 v85, 16, v85
	v_dual_lshlrev_b32 v92, 18, v90 :: v_dual_lshlrev_b32 v93, 25, v90
	s_delay_alu instid0(VALU_DEP_2) | instskip(SKIP_1) | instid1(VALU_DEP_2)
	v_and_b32_e32 v87, 0x1f00, v85
	v_lshlrev_b16 v85, 8, v85
	v_add_nc_u16 v86, 0xf000, v87
	v_lshrrev_b16 v87, 8, v89
	s_delay_alu instid0(VALU_DEP_3) | instskip(NEXT) | instid1(VALU_DEP_2)
	v_add_nc_u16 v85, 0xf000, v85
	v_bitop3_b16 v87, v88, v87, 0x1f00 bitop3:0xec
	v_dual_lshlrev_b32 v88, 4, v90 :: v_dual_lshrrev_b32 v81, 16, v81
	s_delay_alu instid0(VALU_DEP_3) | instskip(NEXT) | instid1(VALU_DEP_3)
	v_perm_b32 v85, v85, v86, 0xc0c0105
	v_add_nc_u16 v87, 0xf000, v87
	s_delay_alu instid0(VALU_DEP_3) | instskip(NEXT) | instid1(VALU_DEP_4)
	v_and_b32_e32 v88, 16, v88
	v_and_b32_e32 v89, 0x1f00, v81
	v_lshlrev_b16 v81, 8, v81
	v_lshl_or_b32 v82, v85, 16, v84
	s_delay_alu instid0(VALU_DEP_3) | instskip(SKIP_1) | instid1(VALU_DEP_4)
	v_add_nc_u16 v86, 0xf000, v89
	v_lshlrev_b32_e32 v89, 11, v90
	v_add_nc_u16 v81, 0xf000, v81
	s_delay_alu instid0(VALU_DEP_2) | instskip(NEXT) | instid1(VALU_DEP_2)
	v_and_b32_e32 v89, 0x1000, v89
	v_perm_b32 v81, v81, v86, 0xc0c0105
	v_and_b32_e32 v86, 0xffff, v87
	v_and_b32_e32 v87, 0x100000, v92
	;; [unrolled: 1-line block ×3, first 2 shown]
	v_or3_b32 v88, v88, v91, v89
	v_lshrrev_b32_e32 v89, 12, v90
	v_lshl_or_b32 v81, v81, 16, v86
	v_lshrrev_b32_e32 v86, 4, v141
	v_or3_b32 v83, v91, v87, v92
	v_and_b32_e32 v84, 0x1f00, v88
	v_lshlrev_b16 v85, 8, v88
	v_dual_lshlrev_b32 v87, 2, v90 :: v_dual_lshlrev_b32 v88, 9, v90
	v_dual_lshrrev_b32 v90, 5, v90 :: v_dual_bitop2_b32 v89, 16, v89 bitop3:0x40
	v_and_b32_e32 v86, 0xf0f0f0f, v86
	s_delay_alu instid0(VALU_DEP_3) | instskip(NEXT) | instid1(VALU_DEP_4)
	v_and_b32_e32 v87, 0x100000, v87
	v_and_b32_e32 v88, 0x10000000, v88
	s_delay_alu instid0(VALU_DEP_4)
	v_and_b32_e32 v90, 0x1000, v90
	v_lshrrev_b32_e32 v83, 16, v83
	v_add_nc_u16 v84, 0xf000, v84
	v_add_nc_u16 v85, 0xf000, v85
	v_or3_b32 v87, v86, v87, v88
	v_or3_b32 v86, v89, v86, v90
	v_ashrrev_i32_e32 v90, v18, v145
	v_and_b32_e32 v88, 0x1f00, v83
	v_lshlrev_b16 v83, 8, v83
	v_lshrrev_b32_e32 v87, 16, v87
	v_perm_b32 v84, v85, v84, 0xc0c0105
	v_lshlrev_b16 v85, 8, v86
	v_add_nc_u16 v88, 0xf000, v88
	v_add_nc_u16 v83, 0xf000, v83
	v_and_b32_e32 v89, 0x1f00, v87
	v_dual_lshlrev_b32 v91, 25, v90 :: v_dual_lshlrev_b32 v93, 4, v90
	v_add_nc_u16 v85, 0xf000, v85
	s_delay_alu instid0(VALU_DEP_4) | instskip(NEXT) | instid1(VALU_DEP_4)
	v_perm_b32 v83, v83, v88, 0xc0c0105
	v_add_nc_u16 v88, 0xf000, v89
	v_lshlrev_b32_e32 v89, 18, v90
	v_lshlrev_b16 v87, 8, v87
	v_lshrrev_b16 v85, 8, v85
	v_lshlrev_b32_e32 v94, 11, v90
	v_and_b32_e32 v92, 0xf0f0f0f, v142
	v_and_b32_e32 v89, 0x100000, v89
	v_add_nc_u16 v87, 0xf000, v87
	v_and_b32_e32 v91, 0x10000000, v91
	v_bitop3_b16 v85, v86, v85, 0x1f00 bitop3:0xec
	v_and_b32_e32 v86, 16, v93
	v_and_b32_e32 v93, 0x1000, v94
	v_lshl_or_b32 v83, v83, 16, v84
	v_or3_b32 v84, v92, v89, v91
	v_perm_b32 v87, v87, v88, 0xc0c0105
	v_lshrrev_b32_e32 v88, 4, v142
	v_or3_b32 v86, v86, v92, v93
	v_dual_lshlrev_b32 v89, 2, v90 :: v_dual_lshlrev_b32 v91, 9, v90
	v_dual_lshrrev_b32 v93, 12, v90 :: v_dual_lshrrev_b32 v90, 5, v90
	v_lshrrev_b32_e32 v84, 16, v84
	s_delay_alu instid0(VALU_DEP_4)
	v_and_b32_e32 v92, 0x1f00, v86
	v_and_b32_e32 v88, 0xf0f0f0f, v88
	;; [unrolled: 1-line block ×4, first 2 shown]
	v_lshlrev_b16 v86, 8, v86
	v_and_b32_e32 v93, 16, v93
	v_and_b32_e32 v90, 0x1000, v90
	v_add_nc_u16 v92, 0xf000, v92
	v_or3_b32 v89, v88, v89, v91
	v_add_nc_u16 v86, 0xf000, v86
	v_and_b32_e32 v91, 0x1f00, v84
	v_or3_b32 v88, v93, v88, v90
	v_lshlrev_b16 v84, 8, v84
	v_dual_lshrrev_b32 v89, 16, v89 :: v_dual_ashrrev_i32 v93, v18, v144
	v_perm_b32 v86, v86, v92, 0xc0c0105
	s_delay_alu instid0(VALU_DEP_4) | instskip(SKIP_1) | instid1(VALU_DEP_4)
	v_lshlrev_b16 v92, 8, v88
	v_add_nc_u16 v90, 0xf000, v91
	v_and_b32_e32 v91, 0x1f00, v89
	v_lshlrev_b16 v89, 8, v89
	v_add_nc_u16 v84, 0xf000, v84
	v_add_nc_u16 v92, 0xf000, v92
	v_lshlrev_b32_e32 v94, 11, v93
	v_add_nc_u16 v91, 0xf000, v91
	v_add_nc_u16 v89, 0xf000, v89
	v_perm_b32 v84, v84, v90, 0xc0c0105
	v_lshlrev_b32_e32 v90, 4, v93
	v_lshrrev_b16 v92, 8, v92
	v_and_b32_e32 v94, 0x1000, v94
	v_perm_b32 v89, v89, v91, 0xc0c0105
	v_and_b32_e32 v91, 0xf0f0f0f, v143
	v_dual_lshrrev_b32 v95, 12, v93 :: v_dual_bitop2_b32 v90, 16, v90 bitop3:0x40
	v_bitop3_b16 v88, v88, v92, 0x1f00 bitop3:0xec
	v_dual_lshrrev_b32 v92, 4, v143 :: v_dual_lshrrev_b32 v96, 5, v93
	s_delay_alu instid0(VALU_DEP_3) | instskip(NEXT) | instid1(VALU_DEP_4)
	v_or3_b32 v90, v90, v91, v94
	v_dual_lshlrev_b32 v94, 18, v93 :: v_dual_bitop2_b32 v95, 16, v95 bitop3:0x40
	v_lshlrev_b32_e32 v97, 25, v93
	s_delay_alu instid0(VALU_DEP_4) | instskip(SKIP_4) | instid1(VALU_DEP_4)
	v_and_b32_e32 v92, 0xf0f0f0f, v92
	v_and_b32_e32 v96, 0x1000, v96
	v_dual_lshlrev_b32 v98, 2, v93 :: v_dual_lshlrev_b32 v93, 9, v93
	v_and_b32_e32 v94, 0x100000, v94
	v_add_nc_u16 v85, 0xf000, v85
	v_or3_b32 v95, v95, v92, v96
	v_and_b32_e32 v96, 0x10000000, v97
	v_and_b32_e32 v97, 0x100000, v98
	;; [unrolled: 1-line block ×3, first 2 shown]
	v_add_nc_u16 v88, 0xf000, v88
	v_lshlrev_b16 v98, 8, v95
	v_or3_b32 v91, v91, v94, v96
	v_and_b32_e32 v94, 0x1f00, v90
	v_or3_b32 v92, v92, v97, v93
	v_lshlrev_b16 v90, 8, v90
	v_add_nc_u16 v93, 0xf000, v98
	v_lshrrev_b32_e32 v91, 16, v91
	v_add_nc_u16 v94, 0xf000, v94
	v_lshrrev_b32_e32 v92, 16, v92
	v_add_nc_u16 v90, 0xf000, v90
	v_lshrrev_b16 v93, 8, v93
	v_and_b32_e32 v96, 0x1f00, v91
	v_lshlrev_b16 v91, 8, v91
	v_and_b32_e32 v97, 0x1f00, v92
	v_lshlrev_b16 v92, 8, v92
	v_bitop3_b16 v93, v95, v93, 0x1f00 bitop3:0xec
	v_add_nc_u16 v95, 0xf000, v96
	v_add_nc_u16 v91, 0xf000, v91
	;; [unrolled: 1-line block ×5, first 2 shown]
	v_and_b32_e32 v85, 0xffff, v85
	v_and_b32_e32 v88, 0xffff, v88
	v_perm_b32 v90, v90, v94, 0xc0c0105
	v_perm_b32 v91, v91, v95, 0xc0c0105
	;; [unrolled: 1-line block ×3, first 2 shown]
	v_and_b32_e32 v93, 0xffff, v93
	v_lshl_or_b32 v85, v87, 16, v85
	v_lshl_or_b32 v84, v84, 16, v86
	;; [unrolled: 1-line block ×5, first 2 shown]
	ds_store_2addr_b32 v79, v82, v81 offset1:1
	ds_store_2addr_b32 v148, v83, v85 offset1:1
	;; [unrolled: 1-line block ×4, first 2 shown]
	ds_store_b32 v65, v80
	s_cbranch_scc0 .LBB122_5
; %bb.7:                                ;   in Loop: Header=BB122_6 Depth=1
	v_dual_add_nc_u32 v97, s4, v57 :: v_dual_add_nc_u32 v82, s4, v47
	v_dual_mov_b32 v134, v178 :: v_dual_mov_b32 v137, v174
	v_dual_mov_b32 v139, v170 :: v_dual_mov_b32 v101, v169
	s_delay_alu instid0(VALU_DEP_3) | instskip(SKIP_3) | instid1(VALU_DEP_3)
	v_add_nc_u32_e32 v80, v82, v152
	s_mov_b32 s10, -4
	v_dual_mov_b32 v135, v179 :: v_dual_mov_b32 v136, v176
	v_mov_b32_e32 v138, v172
	v_mad_nc_i64_i32 v[80:81], v80, 36, v[0:1]
	global_load_b32 v80, v[80:81], off offset:4
	s_wait_loadcnt 0x0
	ds_store_b32 v168, v80
	v_add_nc_u32_e32 v80, v82, v153
	s_delay_alu instid0(VALU_DEP_1) | instskip(SKIP_4) | instid1(VALU_DEP_1)
	v_mad_nc_i64_i32 v[80:81], v80, 36, v[0:1]
	global_load_b32 v80, v[80:81], off offset:4
	s_wait_loadcnt 0x0
	ds_store_b32 v161, v80
	v_add_nc_u32_e32 v80, v82, v154
	v_mad_nc_i64_i32 v[80:81], v80, 36, v[0:1]
	global_load_b32 v80, v[80:81], off offset:4
	s_wait_loadcnt 0x0
	ds_store_b32 v162, v80
	v_add_nc_u32_e32 v80, v82, v155
	s_delay_alu instid0(VALU_DEP_1) | instskip(SKIP_4) | instid1(VALU_DEP_1)
	v_mad_nc_i64_i32 v[80:81], v80, 36, v[0:1]
	global_load_b32 v80, v[80:81], off offset:4
	s_wait_loadcnt 0x0
	ds_store_b32 v163, v80
	v_add_nc_u32_e32 v80, v82, v156
	;; [unrolled: 11-line block ×3, first 2 shown]
	v_mad_nc_i64_i32 v[80:81], v80, 36, v[0:1]
	global_load_b32 v80, v[80:81], off offset:4
	s_wait_loadcnt 0x0
	ds_store_b32 v166, v80
	v_add_nc_u32_e32 v80, v82, v159
	s_delay_alu instid0(VALU_DEP_1)
	v_mad_nc_i64_i32 v[80:81], v80, 36, v[0:1]
	global_load_b32 v80, v[80:81], off offset:4
	s_wait_loadcnt 0x0
	ds_store_b32 v167, v80
	v_mad_nc_u64_u32 v[80:81], v97, 36, s[2:3]
	global_load_b32 v80, v[80:81], off
	s_wait_loadcnt 0x0
	v_cvt_f32_f16_e32 v80, v80
	ds_store_b32 v151, v80
	s_wait_dscnt 0x0
	s_barrier_signal -1
	s_barrier_wait -1
.LBB122_8:                              ;   Parent Loop BB122_6 Depth=1
                                        ; =>  This Inner Loop Header: Depth=2
	ds_load_2addr_b32 v[88:89], v101 offset0:3 offset1:4
	ds_load_2addr_b32 v[98:99], v101 offset0:1 offset1:2
	;; [unrolled: 1-line block ×3, first 2 shown]
	ds_load_2addr_b32 v[90:91], v101 offset1:7
	ds_load_2addr_b32 v[80:81], v135 offset1:32
	v_add_nc_u32_e32 v84, 0x2080, v134
	ds_load_b32 v82, v136
	ds_load_2addr_b32 v[86:87], v134 offset1:1
	ds_load_2addr_b32 v[110:111], v134 offset0:2 offset1:3
	ds_load_2addr_b32 v[112:113], v134 offset0:4 offset1:5
	;; [unrolled: 1-line block ×3, first 2 shown]
	s_add_co_i32 s10, s10, 4
	ds_load_b32 v83, v137
	ds_load_2addr_b32 v[84:85], v84 offset1:1
	s_cmp_lt_u32 s10, 12
	v_dual_add_nc_u32 v137, 4, v137 :: v_dual_add_nc_u32 v136, 4, v136
	s_wait_dscnt 0xb
	v_dual_lshlrev_b32 v96, 16, v89 :: v_dual_lshlrev_b32 v100, 8, v89
	s_wait_dscnt 0xa
	v_dual_lshlrev_b32 v104, 16, v98 :: v_dual_lshlrev_b32 v105, 8, v98
	s_wait_dscnt 0x8
	v_bfe_i32 v132, v90, 0, 8
	v_bfe_i32 v133, v90, 8, 8
	v_perm_b32 v206, v96, v89, 0x7000c0c
	v_dual_lshlrev_b32 v106, 16, v102 :: v_dual_lshlrev_b32 v107, 8, v102
	s_wait_dscnt 0x0
	v_bfe_i32 v92, v84, 0, 8
	v_bfe_i32 v93, v84, 8, 8
	v_perm_b32 v96, v84, v84, 0xc0c0302
	v_ashrrev_i32_e32 v205, 24, v85
	v_perm_b32 v122, v85, v90, 0x5040302
	v_mul_i32_i24_e32 v92, v92, v132
	v_perm_b32 v89, v89, v100, 0xc0c0703
	v_or_b32_e32 v96, v206, v96
	v_perm_b32 v100, v104, v98, 0x7000c0c
	v_perm_b32 v98, v98, v105, 0xc0c0703
	v_mad_i32_i24 v121, v93, v133, v92
	v_add_nc_u32_e32 v92, 0x2088, v134
	v_dual_lshlrev_b32 v108, 16, v99 :: v_dual_lshlrev_b32 v109, 8, v99
	v_or_b32_e32 v207, v100, v89
	s_delay_alu instid0(VALU_DEP_4)
	v_dot4_i32_iu8 v96, v96, v122, v121 neg_lo:[1,1,0]
	ds_load_2addr_b32 v[118:119], v92 offset1:1
	v_add_nc_u32_e32 v92, 0x2090, v134
	v_perm_b32 v100, v106, v102, 0x7000c0c
	v_perm_b32 v209, v102, v107, 0xc0c0703
	;; [unrolled: 1-line block ×3, first 2 shown]
	v_dual_lshlrev_b32 v116, 16, v103 :: v_dual_lshlrev_b32 v117, 8, v103
	ds_load_2addr_b32 v[114:115], v92 offset1:1
	v_or_b32_e32 v208, v100, v98
	v_add_nc_u32_e32 v92, 0x2098, v134
	v_perm_b32 v211, v99, v109, 0xc0c0703
	v_perm_b32 v212, v116, v103, 0xc0c0700
	v_dual_lshlrev_b32 v120, 16, v88 :: v_dual_lshlrev_b32 v142, 8, v88
	ds_load_2addr_b32 v[92:93], v92 offset1:1
	v_perm_b32 v213, v103, v117, 0xc0c0703
	v_add_nc_u32_e32 v100, 0x4108, v134
	v_perm_b32 v214, v120, v88, 0xc0c0700
	v_add_nc_u32_e32 v98, 0x4100, v134
	v_add_nc_u32_e32 v106, 0x6188, v134
	s_wait_dscnt 0x2
	v_perm_b32 v121, v118, v85, 0x5040302
	v_add_nc_u32_e32 v102, 0x6180, v134
	v_perm_b32 v196, v87, v87, 0x2010003
	v_perm_b32 v197, v110, v110, 0x2010003
	;; [unrolled: 1-line block ×3, first 2 shown]
	v_dot4_i32_iu8 v89, v207, v121, v96 neg_lo:[1,1,0]
	v_perm_b32 v96, v119, v118, 0x5040302
	v_perm_b32 v199, v112, v112, 0x2010003
	;; [unrolled: 1-line block ×4, first 2 shown]
	v_dual_lshlrev_b32 v140, 16, v91 :: v_dual_lshlrev_b32 v141, 8, v91
	v_dot4_i32_iu8 v89, v208, v96, v89 neg_lo:[1,1,0]
	v_perm_b32 v96, v119, v119, 0xc0c0302
	v_perm_b32 v142, v88, v142, 0xc0c0703
	s_wait_dscnt 0x0
	v_perm_b32 v88, v92, v92, 0xc0c0302
	s_delay_alu instid0(VALU_DEP_3) | instskip(SKIP_1) | instid1(VALU_DEP_1)
	v_dot4_i32_iu8 v89, v209, v96, v89 neg_lo:[1,1,0]
	v_perm_b32 v96, v114, v114, 0xc0c0100
	v_dot4_i32_iu8 v89, v210, v96, v89 neg_lo:[1,1,0]
	v_perm_b32 v96, v114, v114, 0xc0c0302
	s_delay_alu instid0(VALU_DEP_1) | instskip(SKIP_1) | instid1(VALU_DEP_1)
	v_dot4_i32_iu8 v89, v211, v96, v89 neg_lo:[1,1,0]
	v_perm_b32 v96, v115, v115, 0xc0c0100
	v_dot4_i32_iu8 v89, v212, v96, v89 neg_lo:[1,1,0]
	v_perm_b32 v96, v115, v115, 0xc0c0302
	s_delay_alu instid0(VALU_DEP_1) | instskip(SKIP_1) | instid1(VALU_DEP_1)
	v_dot4_i32_iu8 v89, v213, v96, v89 neg_lo:[1,1,0]
	v_perm_b32 v96, v92, v92, 0xc0c0100
	v_dot4_i32_iu8 v89, v214, v96, v89 neg_lo:[1,1,0]
	ds_load_b32 v96, v138
	ds_load_2addr_b32 v[98:99], v98 offset1:1
	ds_load_2addr_b32 v[116:117], v100 offset1:1
	v_add_nc_u32_e32 v100, 0x4110, v134
	v_add_nc_u32_e32 v138, 4, v138
	v_dot4_i32_iu8 v88, v142, v88, v89 neg_lo:[1,1,0]
	v_perm_b32 v89, v91, v141, 0x7030c04
	v_perm_b32 v91, v140, v140, 0xc0c030c
	ds_load_2addr_b32 v[120:121], v100 offset1:1
	v_add_nc_u32_e32 v100, 0x4118, v134
	v_dual_mov_b32 v89, v80 :: v_dual_bitop2_b32 v91, v89, v91 bitop3:0x54
	ds_load_2addr_b32 v[104:105], v100 offset1:1
	ds_load_b32 v100, v139
	ds_load_2addr_b32 v[102:103], v102 offset1:1
	ds_load_2addr_b32 v[122:123], v106 offset1:1
	v_add_nc_u32_e32 v106, 0x6190, v134
	v_add_nc_u32_e32 v139, 4, v139
	s_wait_dscnt 0x6
	v_perm_b32 v189, v99, v90, 0x5040302
	ds_load_2addr_b32 v[124:125], v106 offset1:1
	v_add_nc_u32_e32 v106, 0x6198, v134
	v_add_nc_u32_e32 v134, 32, v134
	ds_load_2addr_b32 v[108:109], v106 offset1:1
	v_add_nc_u32_e32 v106, 0x40c, v101
	ds_load_2addr_b32 v[126:127], v106 offset1:1
	v_add_nc_u32_e32 v106, 0x404, v101
	s_wait_dscnt 0x3
	v_perm_b32 v190, v123, v123, 0x6010007
	ds_load_2addr_b32 v[128:129], v106 offset1:1
	v_add_nc_u32_e32 v106, 0x414, v101
	s_wait_dscnt 0x3
	v_perm_b32 v191, v124, v124, 0x2010003
	v_perm_b32 v192, v125, v125, 0x2010003
	ds_load_2addr_b32 v[130:131], v106 offset1:1
	v_add_nc_u32_e32 v106, 0x400, v101
	s_wait_dscnt 0x3
	v_perm_b32 v193, v108, v108, 0x2010003
	ds_load_2addr_b32 v[106:107], v106 offset1:7
	s_wait_dscnt 0x3
	v_dual_lshlrev_b32 v144, 16, v127 :: v_dual_lshlrev_b32 v145, 8, v127
	v_perm_b32 v127, v127, v127, 0xc0c0003
	v_dual_lshlrev_b32 v187, 16, v126 :: v_dual_lshlrev_b32 v188, 8, v126
	v_perm_b32 v126, v126, v126, 0xc0c0003
	s_wait_dscnt 0x2
	v_dual_lshlrev_b32 v146, 16, v128 :: v_dual_lshlrev_b32 v147, 8, v128
	v_perm_b32 v144, v145, v144, 0x7030c0c
	v_perm_b32 v128, v128, v128, 0xc0c0003
	v_dual_lshlrev_b32 v183, 16, v129 :: v_dual_lshlrev_b32 v184, 8, v129
	s_wait_dscnt 0x1
	v_dual_lshlrev_b32 v181, 16, v130 :: v_dual_lshlrev_b32 v182, 8, v130
	v_or_b32_e32 v127, v144, v127
	v_perm_b32 v145, v147, v146, 0x7030c0c
	v_perm_b32 v130, v130, v130, 0xc0c0003
	v_dual_lshlrev_b32 v185, 16, v131 :: v_dual_lshlrev_b32 v186, 8, v131
	s_wait_dscnt 0x0
	s_delay_alu instid0(VALU_DEP_3)
	v_dual_lshlrev_b32 v143, 16, v107 :: v_dual_bitop2_b32 v128, v145, v128 bitop3:0x54
	v_dot4_i32_iu8 v144, v127, v196, 0 neg_lo:[1,1,0]
	v_perm_b32 v145, v182, v181, 0x7030c0c
	v_perm_b32 v129, v129, v129, 0xc0c0003
	;; [unrolled: 1-line block ×4, first 2 shown]
	v_dot4_i32_iu8 v144, v128, v197, v144 neg_lo:[1,1,0]
	v_or_b32_e32 v130, v145, v130
	v_perm_b32 v145, v184, v183, 0x7030c0c
	v_perm_b32 v182, v85, v85, 0x2010003
	v_or_b32_e32 v146, v206, v146
	v_perm_b32 v183, v118, v118, 0x2010003
	v_dot4_i32_iu8 v144, v130, v198, v144 neg_lo:[1,1,0]
	v_or_b32_e32 v129, v145, v129
	v_perm_b32 v145, v186, v185, 0x7030c0c
	v_perm_b32 v184, v119, v119, 0x6010007
	;; [unrolled: 1-line block ×4, first 2 shown]
	v_dot4_i32_iu8 v144, v129, v199, v144 neg_lo:[1,1,0]
	v_or_b32_e32 v131, v145, v131
	v_perm_b32 v145, v188, v187, 0x7030c0c
	v_perm_b32 v187, v92, v92, 0x2010003
	;; [unrolled: 1-line block ×4, first 2 shown]
	v_dot4_i32_iu8 v144, v131, v200, v144 neg_lo:[1,1,0]
	v_or_b32_e32 v126, v145, v126
	v_bfe_i32 v145, v86, 8, 8
	s_delay_alu instid0(VALU_DEP_2) | instskip(SKIP_1) | instid1(VALU_DEP_1)
	v_dot4_i32_iu8 v188, v126, v201, v144 neg_lo:[1,1,0]
	v_bfe_i32 v144, v86, 0, 8
	v_mul_i32_i24_e32 v144, v144, v132
	s_delay_alu instid0(VALU_DEP_1) | instskip(SKIP_4) | instid1(VALU_DEP_4)
	v_mad_i32_i24 v144, v145, v133, v144
	v_perm_b32 v145, v87, v90, 0x5040302
	v_perm_b32 v87, v110, v87, 0x5040302
	;; [unrolled: 1-line block ×4, first 2 shown]
	v_dot4_i32_iu8 v144, v146, v145, v144 neg_lo:[1,1,0]
	v_perm_b32 v145, v117, v117, 0x6010007
	v_perm_b32 v146, v120, v120, 0x2010003
	s_delay_alu instid0(VALU_DEP_3) | instskip(SKIP_1) | instid1(VALU_DEP_2)
	v_dot4_i32_iu8 v87, v207, v87, v144 neg_lo:[1,1,0]
	v_perm_b32 v144, v116, v116, 0x2010003
	v_dot4_i32_iu8 v87, v208, v110, v87 neg_lo:[1,1,0]
	v_perm_b32 v110, v111, v111, 0xc0c0302
	s_delay_alu instid0(VALU_DEP_1) | instskip(SKIP_1) | instid1(VALU_DEP_1)
	v_dot4_i32_iu8 v87, v209, v110, v87 neg_lo:[1,1,0]
	v_perm_b32 v110, v112, v112, 0xc0c0100
	v_dot4_i32_iu8 v87, v210, v110, v87 neg_lo:[1,1,0]
	v_perm_b32 v110, v112, v112, 0xc0c0302
	s_delay_alu instid0(VALU_DEP_1) | instskip(SKIP_1) | instid1(VALU_DEP_1)
	v_dot4_i32_iu8 v87, v211, v110, v87 neg_lo:[1,1,0]
	v_perm_b32 v110, v113, v113, 0xc0c0100
	v_dot4_i32_iu8 v87, v212, v110, v87 neg_lo:[1,1,0]
	v_perm_b32 v110, v113, v113, 0xc0c0302
	v_bfe_i32 v113, v98, 8, 8
	s_delay_alu instid0(VALU_DEP_2) | instskip(SKIP_2) | instid1(VALU_DEP_2)
	v_dot4_i32_iu8 v87, v213, v110, v87 neg_lo:[1,1,0]
	v_perm_b32 v110, v94, v94, 0xc0c0100
	v_perm_b32 v94, v94, v94, 0xc0c0302
	v_dot4_i32_iu8 v195, v214, v110, v87 neg_lo:[1,1,0]
	v_dot4_i32_iu8 v87, v127, v182, 0 neg_lo:[1,1,0]
	v_pk_mul_f32 v[110:111], v[82:83], v[80:81] op_sel_hi:[0,1]
	s_delay_alu instid0(VALU_DEP_3) | instskip(NEXT) | instid1(VALU_DEP_3)
	v_dot4_i32_iu8 v94, v142, v94, v195 neg_lo:[1,1,0]
	v_dot4_i32_iu8 v87, v128, v183, v87 neg_lo:[1,1,0]
	s_delay_alu instid0(VALU_DEP_2) | instskip(NEXT) | instid1(VALU_DEP_2)
	v_dot4_i32_iu8 v94, v91, v95, v94 neg_lo:[1,1,0]
	v_dot4_i32_iu8 v87, v130, v184, v87 neg_lo:[1,1,0]
	s_delay_alu instid0(VALU_DEP_2) | instskip(NEXT) | instid1(VALU_DEP_2)
	v_cvt_f32_i32_e32 v94, v94
	v_dot4_i32_iu8 v87, v129, v185, v87 neg_lo:[1,1,0]
	s_delay_alu instid0(VALU_DEP_1) | instskip(NEXT) | instid1(VALU_DEP_1)
	v_dot4_i32_iu8 v87, v131, v186, v87 neg_lo:[1,1,0]
	v_dot4_i32_iu8 v194, v126, v187, v87 neg_lo:[1,1,0]
	v_perm_b32 v87, v99, v99, 0x2010003
	v_perm_b32 v99, v116, v99, 0x5040302
	s_delay_alu instid0(VALU_DEP_2) | instskip(NEXT) | instid1(VALU_DEP_1)
	v_dot4_i32_iu8 v112, v127, v87, 0 neg_lo:[1,1,0]
	v_dot4_i32_iu8 v112, v128, v144, v112 neg_lo:[1,1,0]
	s_delay_alu instid0(VALU_DEP_1) | instskip(NEXT) | instid1(VALU_DEP_1)
	v_dot4_i32_iu8 v112, v130, v145, v112 neg_lo:[1,1,0]
	v_dot4_i32_iu8 v112, v129, v146, v112 neg_lo:[1,1,0]
	s_delay_alu instid0(VALU_DEP_1) | instskip(NEXT) | instid1(VALU_DEP_1)
	v_dot4_i32_iu8 v112, v131, v147, v112 neg_lo:[1,1,0]
	v_dot4_i32_iu8 v202, v126, v181, v112 neg_lo:[1,1,0]
	v_bfe_i32 v112, v98, 0, 8
	s_delay_alu instid0(VALU_DEP_1) | instskip(NEXT) | instid1(VALU_DEP_1)
	v_mul_i32_i24_e32 v112, v112, v132
	v_mad_i32_i24 v112, v113, v133, v112
	v_perm_b32 v113, v98, v98, 0xc0c0302
	s_delay_alu instid0(VALU_DEP_1) | instskip(NEXT) | instid1(VALU_DEP_1)
	v_or_b32_e32 v113, v206, v113
	v_dot4_i32_iu8 v112, v113, v189, v112 neg_lo:[1,1,0]
	v_perm_b32 v189, v122, v122, 0x2010003
	s_delay_alu instid0(VALU_DEP_2) | instskip(SKIP_1) | instid1(VALU_DEP_1)
	v_dot4_i32_iu8 v99, v207, v99, v112 neg_lo:[1,1,0]
	v_perm_b32 v112, v117, v116, 0x5040302
	v_dot4_i32_iu8 v99, v208, v112, v99 neg_lo:[1,1,0]
	v_perm_b32 v112, v117, v117, 0xc0c0302
	v_bfe_i32 v117, v102, 8, 8
	s_delay_alu instid0(VALU_DEP_2) | instskip(SKIP_1) | instid1(VALU_DEP_1)
	v_dot4_i32_iu8 v99, v209, v112, v99 neg_lo:[1,1,0]
	v_perm_b32 v112, v120, v120, 0xc0c0100
	v_dot4_i32_iu8 v99, v210, v112, v99 neg_lo:[1,1,0]
	v_perm_b32 v112, v120, v120, 0xc0c0302
	s_delay_alu instid0(VALU_DEP_1) | instskip(SKIP_1) | instid1(VALU_DEP_1)
	v_dot4_i32_iu8 v99, v211, v112, v99 neg_lo:[1,1,0]
	v_perm_b32 v112, v121, v121, 0xc0c0100
	v_dot4_i32_iu8 v99, v212, v112, v99 neg_lo:[1,1,0]
	v_perm_b32 v112, v121, v121, 0xc0c0302
	s_delay_alu instid0(VALU_DEP_1) | instskip(SKIP_1) | instid1(VALU_DEP_1)
	v_dot4_i32_iu8 v99, v213, v112, v99 neg_lo:[1,1,0]
	v_perm_b32 v112, v104, v104, 0xc0c0100
	v_dot4_i32_iu8 v203, v214, v112, v99 neg_lo:[1,1,0]
	v_perm_b32 v99, v103, v103, 0x2010003
	v_perm_b32 v103, v122, v103, 0x5040302
	v_pk_mul_f32 v[112:113], v[96:97], v[80:81] op_sel_hi:[0,1]
	s_delay_alu instid0(VALU_DEP_3) | instskip(NEXT) | instid1(VALU_DEP_1)
	v_dot4_i32_iu8 v116, v127, v99, 0 neg_lo:[1,1,0]
	v_dot4_i32_iu8 v116, v128, v189, v116 neg_lo:[1,1,0]
	s_delay_alu instid0(VALU_DEP_1) | instskip(NEXT) | instid1(VALU_DEP_1)
	v_dot4_i32_iu8 v116, v130, v190, v116 neg_lo:[1,1,0]
	v_dot4_i32_iu8 v116, v129, v191, v116 neg_lo:[1,1,0]
	s_delay_alu instid0(VALU_DEP_1) | instskip(NEXT) | instid1(VALU_DEP_1)
	v_dot4_i32_iu8 v116, v131, v192, v116 neg_lo:[1,1,0]
	v_dot4_i32_iu8 v204, v126, v193, v116 neg_lo:[1,1,0]
	v_bfe_i32 v116, v102, 0, 8
	s_delay_alu instid0(VALU_DEP_1) | instskip(NEXT) | instid1(VALU_DEP_1)
	v_mul_i32_i24_e32 v116, v116, v132
	v_mad_i32_i24 v116, v117, v133, v116
	v_perm_b32 v117, v102, v102, 0xc0c0302
	s_delay_alu instid0(VALU_DEP_1) | instskip(NEXT) | instid1(VALU_DEP_1)
	v_or_b32_e32 v117, v206, v117
	v_dot4_i32_iu8 v90, v117, v90, v116 neg_lo:[1,1,0]
	v_pk_mul_f32 v[116:117], v[100:101], v[80:81] op_sel_hi:[0,1]
	s_delay_alu instid0(VALU_DEP_2) | instskip(SKIP_1) | instid1(VALU_DEP_1)
	v_dot4_i32_iu8 v90, v207, v103, v90 neg_lo:[1,1,0]
	v_perm_b32 v103, v123, v122, 0x5040302
	v_dot4_i32_iu8 v90, v208, v103, v90 neg_lo:[1,1,0]
	v_perm_b32 v103, v123, v123, 0xc0c0302
	s_delay_alu instid0(VALU_DEP_1) | instskip(SKIP_1) | instid1(VALU_DEP_1)
	v_dot4_i32_iu8 v90, v209, v103, v90 neg_lo:[1,1,0]
	v_perm_b32 v103, v124, v124, 0xc0c0100
	v_dot4_i32_iu8 v90, v210, v103, v90 neg_lo:[1,1,0]
	v_perm_b32 v103, v124, v124, 0xc0c0302
	s_delay_alu instid0(VALU_DEP_1) | instskip(SKIP_1) | instid1(VALU_DEP_1)
	;; [unrolled: 5-line block ×3, first 2 shown]
	v_dot4_i32_iu8 v90, v213, v103, v90 neg_lo:[1,1,0]
	v_perm_b32 v103, v108, v108, 0xc0c0100
	v_dot4_i32_iu8 v90, v214, v103, v90 neg_lo:[1,1,0]
	v_add_nc_u32_e32 v103, 0x80c, v101
	ds_load_2addr_b32 v[124:125], v103 offset1:1
	v_add_nc_u32_e32 v103, 0x804, v101
	ds_load_2addr_b32 v[126:127], v103 offset1:1
	;; [unrolled: 2-line block ×4, first 2 shown]
	ds_load_2addr_b32 v[122:123], v135 offset0:64 offset1:96
	s_wait_dscnt 0x4
	v_dual_lshlrev_b32 v103, 16, v125 :: v_dual_lshlrev_b32 v130, 8, v125
	v_perm_b32 v125, v125, v125, 0xc0c0003
	v_dual_lshlrev_b32 v211, 16, v124 :: v_dual_lshlrev_b32 v212, 8, v124
	v_perm_b32 v124, v124, v124, 0xc0c0003
	s_wait_dscnt 0x3
	v_dual_lshlrev_b32 v131, 16, v126 :: v_dual_lshlrev_b32 v132, 8, v126
	v_perm_b32 v103, v130, v103, 0x7030c0c
	v_perm_b32 v126, v126, v126, 0xc0c0003
	v_dual_lshlrev_b32 v207, 16, v127 :: v_dual_lshlrev_b32 v208, 8, v127
	s_wait_dscnt 0x2
	v_dual_lshlrev_b32 v133, 16, v128 :: v_dual_lshlrev_b32 v206, 8, v128
	v_or_b32_e32 v125, v103, v125
	v_perm_b32 v130, v132, v131, 0x7030c0c
	v_perm_b32 v128, v128, v128, 0xc0c0003
	s_wait_dscnt 0x1
	v_lshlrev_b32_e32 v213, 16, v121
	v_dual_lshlrev_b32 v209, 16, v129 :: v_dual_lshlrev_b32 v210, 8, v129
	v_dot4_i32_iu8 v103, v125, v196, 0 neg_lo:[1,1,0]
	v_or_b32_e32 v126, v130, v126
	v_perm_b32 v130, v206, v133, 0x7030c0c
	v_perm_b32 v127, v127, v127, 0xc0c0003
	;; [unrolled: 1-line block ×3, first 2 shown]
	s_delay_alu instid0(VALU_DEP_4) | instskip(NEXT) | instid1(VALU_DEP_4)
	v_dot4_i32_iu8 v103, v126, v197, v103 neg_lo:[1,1,0]
	v_or_b32_e32 v128, v130, v128
	v_perm_b32 v130, v208, v207, 0x7030c0c
	s_delay_alu instid0(VALU_DEP_2) | instskip(NEXT) | instid1(VALU_DEP_2)
	v_dot4_i32_iu8 v103, v128, v198, v103 neg_lo:[1,1,0]
	v_or_b32_e32 v127, v130, v127
	v_perm_b32 v130, v210, v209, 0x7030c0c
	s_delay_alu instid0(VALU_DEP_2) | instskip(NEXT) | instid1(VALU_DEP_2)
	;; [unrolled: 4-line block ×3, first 2 shown]
	v_dot4_i32_iu8 v103, v129, v200, v103 neg_lo:[1,1,0]
	v_or_b32_e32 v124, v130, v124
	v_dot4_i32_iu8 v130, v125, v87, 0 neg_lo:[1,1,0]
	s_delay_alu instid0(VALU_DEP_2) | instskip(SKIP_2) | instid1(VALU_DEP_4)
	v_dot4_i32_iu8 v132, v124, v201, v103 neg_lo:[1,1,0]
	v_dot4_i32_iu8 v103, v125, v182, 0 neg_lo:[1,1,0]
	;; [unrolled: 1-line block ×4, first 2 shown]
	s_delay_alu instid0(VALU_DEP_3) | instskip(NEXT) | instid1(VALU_DEP_3)
	v_dot4_i32_iu8 v103, v126, v183, v103 neg_lo:[1,1,0]
	v_dot4_i32_iu8 v125, v126, v189, v125 neg_lo:[1,1,0]
	s_delay_alu instid0(VALU_DEP_3) | instskip(NEXT) | instid1(VALU_DEP_3)
	v_dot4_i32_iu8 v130, v128, v145, v130 neg_lo:[1,1,0]
	v_dot4_i32_iu8 v103, v128, v184, v103 neg_lo:[1,1,0]
	;; [unrolled: 3-line block ×7, first 2 shown]
	v_add_nc_u32_e32 v124, 0xc0c, v101
	ds_load_2addr_b32 v[126:127], v124 offset1:1
	v_add_nc_u32_e32 v124, 0xc04, v101
	ds_load_2addr_b32 v[128:129], v124 offset1:1
	;; [unrolled: 2-line block ×4, first 2 shown]
	s_wait_dscnt 0x3
	v_dual_lshlrev_b32 v206, 16, v127 :: v_dual_lshlrev_b32 v207, 8, v127
	v_perm_b32 v127, v127, v127, 0xc0c0003
	v_dual_lshlrev_b32 v218, 16, v126 :: v_dual_lshlrev_b32 v219, 8, v126
	v_perm_b32 v126, v126, v126, 0xc0c0003
	s_wait_dscnt 0x2
	v_dual_lshlrev_b32 v208, 16, v128 :: v_dual_lshlrev_b32 v209, 8, v128
	v_perm_b32 v206, v207, v206, 0x7030c0c
	v_perm_b32 v128, v128, v128, 0xc0c0003
	v_dual_lshlrev_b32 v214, 16, v129 :: v_dual_lshlrev_b32 v215, 8, v129
	s_wait_dscnt 0x1
	v_dual_lshlrev_b32 v216, 16, v131 :: v_dual_lshlrev_b32 v211, 16, v130
	v_dual_lshlrev_b32 v212, 8, v130 :: v_dual_bitop2_b32 v221, v206, v127 bitop3:0x54
	v_perm_b32 v206, v209, v208, 0x7030c0c
	v_perm_b32 v130, v130, v130, 0xc0c0003
	v_lshlrev_b32_e32 v217, 8, v131
	v_perm_b32 v129, v129, v129, 0xc0c0003
	s_wait_dscnt 0x0
	v_dual_lshlrev_b32 v220, 16, v125 :: v_dual_bitop2_b32 v222, v206, v128 bitop3:0x54
	v_perm_b32 v128, v212, v211, 0x7030c0c
	v_dot4_i32_iu8 v127, v221, v196, 0 neg_lo:[1,1,0]
	v_perm_b32 v206, v95, v95, 0x2010003
	s_delay_alu instid0(VALU_DEP_3) | instskip(SKIP_1) | instid1(VALU_DEP_1)
	v_or_b32_e32 v130, v128, v130
	v_perm_b32 v128, v215, v214, 0x7030c0c
	v_or_b32_e32 v211, v128, v129
	v_perm_b32 v128, v217, v216, 0x7030c0c
	v_perm_b32 v129, v131, v131, 0xc0c0003
	s_delay_alu instid0(VALU_DEP_1) | instskip(SKIP_1) | instid1(VALU_DEP_1)
	v_or_b32_e32 v131, v128, v129
	v_perm_b32 v128, v219, v218, 0x7030c0c
	v_dual_lshlrev_b32 v128, 8, v125 :: v_dual_bitop2_b32 v212, v128, v126 bitop3:0x54
	v_dot4_i32_iu8 v127, v222, v197, v127 neg_lo:[1,1,0]
	v_perm_b32 v125, v125, v125, 0xc0c0003
	s_delay_alu instid0(VALU_DEP_3) | instskip(NEXT) | instid1(VALU_DEP_3)
	v_perm_b32 v128, v128, v220, 0x7030c0c
	v_dot4_i32_iu8 v127, v130, v198, v127 neg_lo:[1,1,0]
	s_delay_alu instid0(VALU_DEP_2) | instskip(NEXT) | instid1(VALU_DEP_2)
	v_or_b32_e32 v207, v128, v125
	v_dot4_i32_iu8 v127, v211, v199, v127 neg_lo:[1,1,0]
	s_delay_alu instid0(VALU_DEP_1) | instskip(NEXT) | instid1(VALU_DEP_1)
	v_dot4_i32_iu8 v127, v131, v200, v127 neg_lo:[1,1,0]
	v_dot4_i32_iu8 v126, v212, v201, v127 neg_lo:[1,1,0]
	v_lshlrev_b32_e32 v127, 8, v121
	v_perm_b32 v121, v121, v121, 0xc0c0003
	s_delay_alu instid0(VALU_DEP_3) | instskip(NEXT) | instid1(VALU_DEP_3)
	v_dot4_i32_iu8 v125, v207, v206, v126 neg_lo:[1,1,0]
	v_perm_b32 v126, v127, v213, 0x7030c0c
	s_delay_alu instid0(VALU_DEP_2) | instskip(NEXT) | instid1(VALU_DEP_2)
	v_dot4_i32_iu8 v125, v86, v124, v125 neg_lo:[1,1,0]
	v_or_b32_e32 v208, v126, v121
	v_pk_mul_f32 v[126:127], v[82:83], v[122:123] op_sel_hi:[0,1]
	s_delay_alu instid0(VALU_DEP_3) | instskip(NEXT) | instid1(VALU_DEP_3)
	v_cvt_f32_i32_e32 v129, v125
	v_dot4_i32_iu8 v121, v208, v206, v132 neg_lo:[1,1,0]
	s_delay_alu instid0(VALU_DEP_1) | instskip(NEXT) | instid1(VALU_DEP_1)
	v_dot4_i32_iu8 v121, v86, v120, v121 neg_lo:[1,1,0]
	v_cvt_f32_i32_e32 v128, v121
	v_dot4_i32_iu8 v121, v221, v182, 0 neg_lo:[1,1,0]
	s_delay_alu instid0(VALU_DEP_2) | instskip(NEXT) | instid1(VALU_DEP_2)
	v_pk_fma_f32 v[30:31], v[126:127], v[128:129], v[30:31]
	v_dot4_i32_iu8 v121, v222, v183, v121 neg_lo:[1,1,0]
	s_delay_alu instid0(VALU_DEP_1) | instskip(NEXT) | instid1(VALU_DEP_1)
	v_dot4_i32_iu8 v121, v130, v184, v121 neg_lo:[1,1,0]
	v_dot4_i32_iu8 v121, v211, v185, v121 neg_lo:[1,1,0]
	s_delay_alu instid0(VALU_DEP_1) | instskip(NEXT) | instid1(VALU_DEP_1)
	v_dot4_i32_iu8 v121, v131, v186, v121 neg_lo:[1,1,0]
	v_dot4_i32_iu8 v209, v212, v187, v121 neg_lo:[1,1,0]
	;; [unrolled: 1-line block ×3, first 2 shown]
	s_delay_alu instid0(VALU_DEP_1) | instskip(NEXT) | instid1(VALU_DEP_1)
	v_dot4_i32_iu8 v121, v222, v144, v121 neg_lo:[1,1,0]
	v_dot4_i32_iu8 v121, v130, v145, v121 neg_lo:[1,1,0]
	s_delay_alu instid0(VALU_DEP_1) | instskip(NEXT) | instid1(VALU_DEP_1)
	v_dot4_i32_iu8 v121, v211, v146, v121 neg_lo:[1,1,0]
	v_dot4_i32_iu8 v121, v131, v147, v121 neg_lo:[1,1,0]
	s_delay_alu instid0(VALU_DEP_1) | instskip(SKIP_1) | instid1(VALU_DEP_1)
	v_dot4_i32_iu8 v125, v212, v181, v121 neg_lo:[1,1,0]
	v_perm_b32 v121, v105, v105, 0x2010003
	v_dot4_i32_iu8 v125, v207, v121, v125 neg_lo:[1,1,0]
	v_dot4_i32_iu8 v126, v208, v121, v133 neg_lo:[1,1,0]
	s_delay_alu instid0(VALU_DEP_2) | instskip(NEXT) | instid1(VALU_DEP_2)
	v_dot4_i32_iu8 v125, v98, v124, v125 neg_lo:[1,1,0]
	v_dot4_i32_iu8 v128, v98, v120, v126 neg_lo:[1,1,0]
	v_pk_mul_f32 v[126:127], v[96:97], v[122:123] op_sel_hi:[0,1]
	s_delay_alu instid0(VALU_DEP_3) | instskip(SKIP_1) | instid1(VALU_DEP_4)
	v_cvt_f32_i32_e32 v129, v125
	v_dot4_i32_iu8 v125, v221, v99, 0 neg_lo:[1,1,0]
	v_cvt_f32_i32_e32 v128, v128
	s_delay_alu instid0(VALU_DEP_2) | instskip(NEXT) | instid1(VALU_DEP_2)
	v_dot4_i32_iu8 v125, v222, v189, v125 neg_lo:[1,1,0]
	v_pk_fma_f32 v[26:27], v[126:127], v[128:129], v[26:27]
	s_delay_alu instid0(VALU_DEP_2) | instskip(NEXT) | instid1(VALU_DEP_1)
	v_dot4_i32_iu8 v125, v130, v190, v125 neg_lo:[1,1,0]
	v_dot4_i32_iu8 v125, v211, v191, v125 neg_lo:[1,1,0]
	s_delay_alu instid0(VALU_DEP_1) | instskip(NEXT) | instid1(VALU_DEP_1)
	v_dot4_i32_iu8 v125, v131, v192, v125 neg_lo:[1,1,0]
	v_dot4_i32_iu8 v126, v212, v193, v125 neg_lo:[1,1,0]
	v_perm_b32 v125, v109, v109, 0x2010003
	s_delay_alu instid0(VALU_DEP_1) | instskip(SKIP_1) | instid1(VALU_DEP_2)
	v_dot4_i32_iu8 v126, v207, v125, v126 neg_lo:[1,1,0]
	v_dot4_i32_iu8 v127, v208, v125, v210 neg_lo:[1,1,0]
	;; [unrolled: 1-line block ×3, first 2 shown]
	s_delay_alu instid0(VALU_DEP_2) | instskip(SKIP_1) | instid1(VALU_DEP_3)
	v_dot4_i32_iu8 v128, v102, v120, v127 neg_lo:[1,1,0]
	v_pk_mul_f32 v[126:127], v[100:101], v[122:123] op_sel_hi:[0,1]
	v_cvt_f32_i32_e32 v129, v129
	s_delay_alu instid0(VALU_DEP_3) | instskip(NEXT) | instid1(VALU_DEP_1)
	v_cvt_f32_i32_e32 v128, v128
	v_pk_fma_f32 v[24:25], v[126:127], v[128:129], v[24:25]
	v_add_nc_u32_e32 v126, 0x100c, v101
	ds_load_2addr_b32 v[130:131], v126 offset1:1
	v_add_nc_u32_e32 v126, 0x1004, v101
	ds_load_2addr_b32 v[132:133], v126 offset1:1
	;; [unrolled: 2-line block ×4, first 2 shown]
	ds_load_2addr_b32 v[128:129], v135 offset0:128 offset1:160
	s_wait_dscnt 0x4
	v_dual_lshlrev_b32 v212, 16, v131 :: v_dual_lshlrev_b32 v213, 8, v131
	v_perm_b32 v131, v131, v131, 0xc0c0003
	v_dual_lshlrev_b32 v222, 16, v130 :: v_dual_lshlrev_b32 v223, 8, v130
	v_perm_b32 v130, v130, v130, 0xc0c0003
	s_wait_dscnt 0x3
	v_dual_lshlrev_b32 v214, 16, v132 :: v_dual_lshlrev_b32 v215, 8, v132
	v_perm_b32 v212, v213, v212, 0x7030c0c
	v_perm_b32 v132, v132, v132, 0xc0c0003
	v_dual_lshlrev_b32 v218, 16, v133 :: v_dual_lshlrev_b32 v219, 8, v133
	s_wait_dscnt 0x2
	v_dual_lshlrev_b32 v216, 16, v210 :: v_dual_lshlrev_b32 v217, 8, v210
	v_or_b32_e32 v131, v212, v131
	v_perm_b32 v213, v215, v214, 0x7030c0c
	v_perm_b32 v210, v210, v210, 0xc0c0003
	s_wait_dscnt 0x1
	v_lshlrev_b32_e32 v224, 16, v127
	v_dual_lshlrev_b32 v220, 16, v211 :: v_dual_lshlrev_b32 v221, 8, v211
	v_dot4_i32_iu8 v212, v131, v196, 0 neg_lo:[1,1,0]
	v_or_b32_e32 v132, v213, v132
	v_perm_b32 v213, v217, v216, 0x7030c0c
	v_perm_b32 v133, v133, v133, 0xc0c0003
	;; [unrolled: 1-line block ×3, first 2 shown]
	s_delay_alu instid0(VALU_DEP_4) | instskip(NEXT) | instid1(VALU_DEP_4)
	v_dot4_i32_iu8 v212, v132, v197, v212 neg_lo:[1,1,0]
	v_or_b32_e32 v210, v213, v210
	v_perm_b32 v213, v219, v218, 0x7030c0c
	s_delay_alu instid0(VALU_DEP_2) | instskip(NEXT) | instid1(VALU_DEP_2)
	v_dot4_i32_iu8 v212, v210, v198, v212 neg_lo:[1,1,0]
	v_or_b32_e32 v133, v213, v133
	v_perm_b32 v213, v221, v220, 0x7030c0c
	s_delay_alu instid0(VALU_DEP_2) | instskip(NEXT) | instid1(VALU_DEP_2)
	;; [unrolled: 4-line block ×3, first 2 shown]
	v_dot4_i32_iu8 v212, v211, v200, v212 neg_lo:[1,1,0]
	v_or_b32_e32 v130, v213, v130
	s_delay_alu instid0(VALU_DEP_1) | instskip(SKIP_1) | instid1(VALU_DEP_1)
	v_dot4_i32_iu8 v214, v130, v201, v212 neg_lo:[1,1,0]
	v_dot4_i32_iu8 v212, v131, v182, 0 neg_lo:[1,1,0]
	;; [unrolled: 1-line block ×3, first 2 shown]
	s_delay_alu instid0(VALU_DEP_1) | instskip(NEXT) | instid1(VALU_DEP_1)
	v_dot4_i32_iu8 v212, v210, v184, v212 neg_lo:[1,1,0]
	v_dot4_i32_iu8 v212, v133, v185, v212 neg_lo:[1,1,0]
	s_delay_alu instid0(VALU_DEP_1) | instskip(NEXT) | instid1(VALU_DEP_1)
	v_dot4_i32_iu8 v212, v211, v186, v212 neg_lo:[1,1,0]
	v_dot4_i32_iu8 v218, v130, v187, v212 neg_lo:[1,1,0]
	;; [unrolled: 1-line block ×4, first 2 shown]
	s_delay_alu instid0(VALU_DEP_2) | instskip(NEXT) | instid1(VALU_DEP_2)
	v_dot4_i32_iu8 v212, v132, v144, v212 neg_lo:[1,1,0]
	v_dot4_i32_iu8 v131, v132, v189, v131 neg_lo:[1,1,0]
	s_delay_alu instid0(VALU_DEP_2) | instskip(NEXT) | instid1(VALU_DEP_2)
	v_dot4_i32_iu8 v212, v210, v145, v212 neg_lo:[1,1,0]
	v_dot4_i32_iu8 v131, v210, v190, v131 neg_lo:[1,1,0]
	;; [unrolled: 3-line block ×5, first 2 shown]
	v_add_nc_u32_e32 v130, 0x140c, v101
	ds_load_2addr_b32 v[132:133], v130 offset1:1
	v_add_nc_u32_e32 v130, 0x1404, v101
	ds_load_2addr_b32 v[210:211], v130 offset1:1
	;; [unrolled: 2-line block ×4, first 2 shown]
	s_wait_dscnt 0x3
	v_dual_lshlrev_b32 v217, 16, v133 :: v_dual_lshlrev_b32 v219, 8, v133
	v_perm_b32 v133, v133, v133, 0xc0c0003
	v_dual_lshlrev_b32 v229, 16, v132 :: v_dual_lshlrev_b32 v230, 8, v132
	v_perm_b32 v132, v132, v132, 0xc0c0003
	s_wait_dscnt 0x2
	v_dual_lshlrev_b32 v220, 16, v210 :: v_dual_lshlrev_b32 v221, 8, v210
	v_perm_b32 v217, v219, v217, 0x7030c0c
	v_perm_b32 v210, v210, v210, 0xc0c0003
	v_dual_lshlrev_b32 v225, 16, v211 :: v_dual_lshlrev_b32 v226, 8, v211
	s_wait_dscnt 0x1
	v_dual_lshlrev_b32 v227, 16, v213 :: v_dual_lshlrev_b32 v222, 16, v212
	v_lshlrev_b32_e32 v223, 8, v212
	v_perm_b32 v219, v221, v220, 0x7030c0c
	v_perm_b32 v212, v212, v212, 0xc0c0003
	v_lshlrev_b32_e32 v228, 8, v213
	v_perm_b32 v211, v211, v211, 0xc0c0003
	v_or_b32_e32 v217, v217, v133
	v_or_b32_e32 v219, v219, v210
	v_perm_b32 v210, v223, v222, 0x7030c0c
	s_wait_dscnt 0x0
	v_lshlrev_b32_e32 v231, 16, v131
	v_dot4_i32_iu8 v133, v217, v196, 0 neg_lo:[1,1,0]
	s_delay_alu instid0(VALU_DEP_3) | instskip(SKIP_1) | instid1(VALU_DEP_1)
	v_or_b32_e32 v212, v210, v212
	v_perm_b32 v210, v226, v225, 0x7030c0c
	v_or_b32_e32 v220, v210, v211
	v_perm_b32 v210, v228, v227, 0x7030c0c
	v_perm_b32 v211, v213, v213, 0xc0c0003
	s_delay_alu instid0(VALU_DEP_1) | instskip(SKIP_1) | instid1(VALU_DEP_1)
	v_or_b32_e32 v213, v210, v211
	v_perm_b32 v210, v230, v229, 0x7030c0c
	v_dual_lshlrev_b32 v210, 8, v131 :: v_dual_bitop2_b32 v221, v210, v132 bitop3:0x54
	v_dot4_i32_iu8 v133, v219, v197, v133 neg_lo:[1,1,0]
	v_perm_b32 v131, v131, v131, 0xc0c0003
	s_delay_alu instid0(VALU_DEP_3) | instskip(NEXT) | instid1(VALU_DEP_3)
	v_perm_b32 v210, v210, v231, 0x7030c0c
	v_dot4_i32_iu8 v133, v212, v198, v133 neg_lo:[1,1,0]
	s_delay_alu instid0(VALU_DEP_2) | instskip(NEXT) | instid1(VALU_DEP_2)
	v_or_b32_e32 v131, v210, v131
	v_dot4_i32_iu8 v133, v220, v199, v133 neg_lo:[1,1,0]
	s_delay_alu instid0(VALU_DEP_1) | instskip(NEXT) | instid1(VALU_DEP_1)
	v_dot4_i32_iu8 v133, v213, v200, v133 neg_lo:[1,1,0]
	v_dot4_i32_iu8 v132, v221, v201, v133 neg_lo:[1,1,0]
	v_lshlrev_b32_e32 v133, 8, v127
	v_perm_b32 v127, v127, v127, 0xc0c0003
	s_delay_alu instid0(VALU_DEP_3) | instskip(NEXT) | instid1(VALU_DEP_3)
	v_dot4_i32_iu8 v132, v131, v206, v132 neg_lo:[1,1,0]
	v_perm_b32 v133, v133, v224, 0x7030c0c
	s_delay_alu instid0(VALU_DEP_2) | instskip(NEXT) | instid1(VALU_DEP_2)
	v_dot4_i32_iu8 v211, v86, v130, v132 neg_lo:[1,1,0]
	v_or_b32_e32 v127, v133, v127
	s_delay_alu instid0(VALU_DEP_2) | instskip(NEXT) | instid1(VALU_DEP_2)
	v_cvt_f32_i32_e32 v211, v211
	v_dot4_i32_iu8 v133, v127, v206, v214 neg_lo:[1,1,0]
	s_delay_alu instid0(VALU_DEP_1) | instskip(SKIP_1) | instid1(VALU_DEP_2)
	v_dot4_i32_iu8 v210, v86, v126, v133 neg_lo:[1,1,0]
	v_pk_mul_f32 v[132:133], v[82:83], v[128:129] op_sel_hi:[0,1]
	v_cvt_f32_i32_e32 v210, v210
	s_delay_alu instid0(VALU_DEP_1) | instskip(SKIP_2) | instid1(VALU_DEP_2)
	v_pk_fma_f32 v[22:23], v[132:133], v[210:211], v[22:23]
	v_dot4_i32_iu8 v132, v217, v182, 0 neg_lo:[1,1,0]
	v_dot4_i32_iu8 v133, v127, v121, v215 neg_lo:[1,1,0]
	;; [unrolled: 1-line block ×3, first 2 shown]
	s_delay_alu instid0(VALU_DEP_2) | instskip(NEXT) | instid1(VALU_DEP_2)
	v_dot4_i32_iu8 v210, v98, v126, v133 neg_lo:[1,1,0]
	v_dot4_i32_iu8 v132, v212, v184, v132 neg_lo:[1,1,0]
	s_delay_alu instid0(VALU_DEP_2) | instskip(NEXT) | instid1(VALU_DEP_2)
	v_cvt_f32_i32_e32 v210, v210
	v_dot4_i32_iu8 v132, v220, v185, v132 neg_lo:[1,1,0]
	s_delay_alu instid0(VALU_DEP_1) | instskip(NEXT) | instid1(VALU_DEP_1)
	v_dot4_i32_iu8 v132, v213, v186, v132 neg_lo:[1,1,0]
	v_dot4_i32_iu8 v222, v221, v187, v132 neg_lo:[1,1,0]
	;; [unrolled: 1-line block ×3, first 2 shown]
	s_delay_alu instid0(VALU_DEP_1) | instskip(NEXT) | instid1(VALU_DEP_1)
	v_dot4_i32_iu8 v132, v219, v144, v132 neg_lo:[1,1,0]
	v_dot4_i32_iu8 v132, v212, v145, v132 neg_lo:[1,1,0]
	s_delay_alu instid0(VALU_DEP_1) | instskip(NEXT) | instid1(VALU_DEP_1)
	v_dot4_i32_iu8 v132, v220, v146, v132 neg_lo:[1,1,0]
	v_dot4_i32_iu8 v132, v213, v147, v132 neg_lo:[1,1,0]
	;; [unrolled: 3-line block ×3, first 2 shown]
	s_delay_alu instid0(VALU_DEP_1) | instskip(SKIP_1) | instid1(VALU_DEP_2)
	v_dot4_i32_iu8 v211, v98, v130, v132 neg_lo:[1,1,0]
	v_pk_mul_f32 v[132:133], v[96:97], v[128:129] op_sel_hi:[0,1]
	v_cvt_f32_i32_e32 v211, v211
	s_delay_alu instid0(VALU_DEP_1) | instskip(SKIP_2) | instid1(VALU_DEP_2)
	v_pk_fma_f32 v[14:15], v[132:133], v[210:211], v[14:15]
	v_dot4_i32_iu8 v132, v217, v99, 0 neg_lo:[1,1,0]
	v_dot4_i32_iu8 v133, v127, v125, v216 neg_lo:[1,1,0]
	v_dot4_i32_iu8 v132, v219, v189, v132 neg_lo:[1,1,0]
	s_delay_alu instid0(VALU_DEP_2) | instskip(NEXT) | instid1(VALU_DEP_2)
	v_dot4_i32_iu8 v210, v102, v126, v133 neg_lo:[1,1,0]
	v_dot4_i32_iu8 v132, v212, v190, v132 neg_lo:[1,1,0]
	s_delay_alu instid0(VALU_DEP_2) | instskip(NEXT) | instid1(VALU_DEP_2)
	v_cvt_f32_i32_e32 v210, v210
	v_dot4_i32_iu8 v132, v220, v191, v132 neg_lo:[1,1,0]
	s_delay_alu instid0(VALU_DEP_1) | instskip(NEXT) | instid1(VALU_DEP_1)
	v_dot4_i32_iu8 v132, v213, v192, v132 neg_lo:[1,1,0]
	v_dot4_i32_iu8 v132, v221, v193, v132 neg_lo:[1,1,0]
	s_delay_alu instid0(VALU_DEP_1) | instskip(NEXT) | instid1(VALU_DEP_1)
	v_dot4_i32_iu8 v132, v131, v125, v132 neg_lo:[1,1,0]
	v_dot4_i32_iu8 v211, v102, v130, v132 neg_lo:[1,1,0]
	v_pk_mul_f32 v[132:133], v[100:101], v[128:129] op_sel_hi:[0,1]
	s_delay_alu instid0(VALU_DEP_2) | instskip(NEXT) | instid1(VALU_DEP_1)
	v_cvt_f32_i32_e32 v211, v211
	v_pk_fma_f32 v[12:13], v[132:133], v[210:211], v[12:13]
	v_add_nc_u32_e32 v132, 0x180c, v101
	ds_load_2addr_b32 v[210:211], v132 offset1:1
	v_add_nc_u32_e32 v132, 0x1804, v101
	ds_load_2addr_b32 v[212:213], v132 offset1:1
	v_add_nc_u32_e32 v132, 0x1814, v101
	ds_load_2addr_b32 v[214:215], v132 offset1:1
	v_add_nc_u32_e32 v132, 0x1800, v101
	ds_load_2addr_b32 v[132:133], v132 offset1:7
	ds_load_2addr_b32 v[216:217], v135 offset0:192 offset1:224
	v_add_nc_u32_e32 v135, 4, v135
	s_wait_dscnt 0x4
	v_dual_lshlrev_b32 v219, 16, v211 :: v_dual_lshlrev_b32 v220, 8, v211
	v_ashrrev_i32_e32 v221, 24, v211
	v_perm_b32 v235, v211, v211, 0xc0c0003
	v_lshlrev_b32_e32 v231, 16, v210
	s_delay_alu instid0(VALU_DEP_4)
	v_perm_b32 v211, v219, v211, 0xc0c0700
	s_wait_dscnt 0x3
	v_lshlrev_b32_e32 v223, 16, v212
	v_perm_b32 v234, v220, v219, 0x7030c0c
	v_mul_i32_i24_e32 v205, v221, v205
	v_perm_b32 v219, v85, v85, 0xc0c0100
	v_lshlrev_b32_e32 v224, 8, v212
	v_perm_b32 v237, v212, v212, 0xc0c0003
	v_perm_b32 v85, v118, v85, 0x5040702
	s_wait_dscnt 0x2
	v_lshlrev_b32_e32 v225, 16, v214
	v_dot4_i32_iu8 v205, v211, v219, v205 neg_lo:[1,1,0]
	v_perm_b32 v211, v223, v212, 0x700030c
	v_perm_b32 v212, v220, v220, 0xc0c0c03
	;; [unrolled: 1-line block ×3, first 2 shown]
	v_dual_lshlrev_b32 v226, 8, v214 :: v_dual_lshlrev_b32 v227, 16, v213
	v_dual_lshlrev_b32 v228, 8, v213 :: v_dual_lshlrev_b32 v229, 16, v215
	s_delay_alu instid0(VALU_DEP_4) | instskip(SKIP_3) | instid1(VALU_DEP_4)
	v_dual_lshlrev_b32 v230, 8, v215 :: v_dual_bitop2_b32 v211, v211, v212 bitop3:0x54
	v_or_b32_e32 v234, v234, v235
	v_perm_b32 v236, v224, v223, 0x7030c0c
	v_perm_b32 v238, v214, v214, 0xc0c0003
	v_dot4_i32_iu8 v85, v211, v85, v205 neg_lo:[1,1,0]
	v_perm_b32 v205, v119, v119, 0x504030c
	v_perm_b32 v211, v224, v224, 0xc0c0c03
	v_or_b32_e32 v236, v236, v237
	v_perm_b32 v237, v226, v225, 0x7030c0c
	v_perm_b32 v239, v213, v213, 0xc0c0003
	v_or_b32_e32 v118, v205, v118
	v_perm_b32 v205, v225, v214, 0x700030c
	s_wait_dscnt 0x1
	v_dual_lshlrev_b32 v232, 8, v210 :: v_dual_lshlrev_b32 v233, 16, v133
	v_or_b32_e32 v237, v237, v238
	v_perm_b32 v238, v228, v227, 0x7030c0c
	v_or_b32_e32 v205, v205, v211
	v_perm_b32 v240, v215, v215, 0xc0c0003
	v_perm_b32 v241, v210, v210, 0xc0c0003
	v_add_nc_u32_e32 v212, 0x1c00, v101
	v_or_b32_e32 v238, v238, v239
	v_dot4_i32_iu8 v85, v205, v118, v85 neg_lo:[1,1,0]
	v_perm_b32 v118, v114, v119, 0x5040702
	v_perm_b32 v119, v227, v213, 0x700030c
	;; [unrolled: 1-line block ×5, first 2 shown]
	s_delay_alu instid0(VALU_DEP_3) | instskip(NEXT) | instid1(VALU_DEP_2)
	v_or_b32_e32 v119, v119, v205
	v_or_b32_e32 v239, v239, v240
	v_perm_b32 v240, v232, v231, 0x7030c0c
	s_delay_alu instid0(VALU_DEP_3) | instskip(SKIP_2) | instid1(VALU_DEP_4)
	v_dot4_i32_iu8 v85, v119, v118, v85 neg_lo:[1,1,0]
	v_perm_b32 v118, v229, v215, 0x700030c
	v_perm_b32 v119, v228, v228, 0xc0c0c03
	v_or_b32_e32 v240, v240, v241
	s_delay_alu instid0(VALU_DEP_2) | instskip(NEXT) | instid1(VALU_DEP_1)
	v_or_b32_e32 v118, v118, v119
	v_dot4_i32_iu8 v85, v118, v114, v85 neg_lo:[1,1,0]
	v_perm_b32 v114, v92, v115, 0x5040702
	v_perm_b32 v115, v231, v210, 0x700030c
	;; [unrolled: 1-line block ×3, first 2 shown]
	v_add_nc_u32_e32 v210, 0x1c14, v101
	s_delay_alu instid0(VALU_DEP_2) | instskip(SKIP_1) | instid1(VALU_DEP_2)
	v_or_b32_e32 v115, v115, v118
	v_add_nc_u32_e32 v118, 0x1c04, v101
	v_dot4_i32_iu8 v85, v115, v114, v85 neg_lo:[1,1,0]
	v_dot4_i32_iu8 v114, v234, v87, 0 neg_lo:[1,1,0]
	s_delay_alu instid0(VALU_DEP_1) | instskip(NEXT) | instid1(VALU_DEP_1)
	v_dot4_i32_iu8 v114, v236, v144, v114 neg_lo:[1,1,0]
	v_dot4_i32_iu8 v114, v237, v145, v114 neg_lo:[1,1,0]
	s_delay_alu instid0(VALU_DEP_1) | instskip(NEXT) | instid1(VALU_DEP_1)
	v_dot4_i32_iu8 v114, v238, v146, v114 neg_lo:[1,1,0]
	v_dot4_i32_iu8 v114, v239, v147, v114 neg_lo:[1,1,0]
	s_delay_alu instid0(VALU_DEP_1) | instskip(SKIP_1) | instid1(VALU_DEP_1)
	v_dot4_i32_iu8 v205, v240, v181, v114 neg_lo:[1,1,0]
	v_dot4_i32_iu8 v114, v234, v99, 0 neg_lo:[1,1,0]
	;; [unrolled: 1-line block ×3, first 2 shown]
	s_delay_alu instid0(VALU_DEP_1) | instskip(NEXT) | instid1(VALU_DEP_1)
	v_dot4_i32_iu8 v114, v237, v190, v114 neg_lo:[1,1,0]
	v_dot4_i32_iu8 v114, v238, v191, v114 neg_lo:[1,1,0]
	s_delay_alu instid0(VALU_DEP_1) | instskip(NEXT) | instid1(VALU_DEP_1)
	v_dot4_i32_iu8 v114, v239, v192, v114 neg_lo:[1,1,0]
	v_dot4_i32_iu8 v214, v240, v193, v114 neg_lo:[1,1,0]
	v_add_nc_u32_e32 v114, 0x1c0c, v101
	ds_load_2addr_b32 v[114:115], v114 offset1:1
	ds_load_2addr_b32 v[118:119], v118 offset1:1
	;; [unrolled: 1-line block ×4, first 2 shown]
	s_wait_dscnt 0x3
	v_dual_lshlrev_b32 v215, 16, v115 :: v_dual_lshlrev_b32 v219, 8, v115
	v_perm_b32 v115, v115, v115, 0xc0c0003
	s_wait_dscnt 0x2
	v_dual_lshlrev_b32 v220, 16, v118 :: v_dual_lshlrev_b32 v221, 8, v118
	v_dot4_i32_iu8 v235, v234, v196, 0 neg_lo:[1,1,0]
	v_perm_b32 v215, v219, v215, 0x7030c0c
	v_perm_b32 v118, v118, v118, 0xc0c0003
	s_wait_dscnt 0x1
	v_dual_lshlrev_b32 v223, 16, v210 :: v_dual_lshlrev_b32 v224, 8, v210
	v_dot4_i32_iu8 v235, v236, v197, v235 neg_lo:[1,1,0]
	v_or_b32_e32 v215, v215, v115
	v_dual_lshlrev_b32 v225, 16, v119 :: v_dual_lshlrev_b32 v226, 8, v119
	v_dual_lshlrev_b32 v227, 16, v211 :: v_dual_lshlrev_b32 v228, 8, v211
	s_delay_alu instid0(VALU_DEP_3)
	v_dot4_i32_iu8 v115, v215, v196, 0 neg_lo:[1,1,0]
	v_perm_b32 v196, v221, v220, 0x7030c0c
	v_perm_b32 v119, v119, v119, 0xc0c0003
	v_dot4_i32_iu8 v235, v237, v198, v235 neg_lo:[1,1,0]
	v_dual_lshlrev_b32 v229, 16, v114 :: v_dual_lshlrev_b32 v230, 8, v114
	s_wait_dscnt 0x0
	v_dual_lshlrev_b32 v234, 8, v213 :: v_dual_bitop2_b32 v196, v196, v118 bitop3:0x54
	v_perm_b32 v118, v224, v223, 0x7030c0c
	v_dot4_i32_iu8 v235, v238, v199, v235 neg_lo:[1,1,0]
	v_perm_b32 v114, v114, v114, 0xc0c0003
	v_lshlrev_b32_e32 v231, 16, v213
	v_dot4_i32_iu8 v115, v196, v197, v115 neg_lo:[1,1,0]
	v_perm_b32 v197, v210, v210, 0xc0c0003
	v_dot4_i32_iu8 v235, v239, v200, v235 neg_lo:[1,1,0]
	s_delay_alu instid0(VALU_DEP_2) | instskip(SKIP_1) | instid1(VALU_DEP_3)
	v_or_b32_e32 v197, v118, v197
	v_perm_b32 v118, v226, v225, 0x7030c0c
	v_dot4_i32_iu8 v235, v240, v201, v235 neg_lo:[1,1,0]
	s_delay_alu instid0(VALU_DEP_3) | instskip(NEXT) | instid1(VALU_DEP_3)
	v_dot4_i32_iu8 v115, v197, v198, v115 neg_lo:[1,1,0]
	v_or_b32_e32 v119, v118, v119
	v_perm_b32 v118, v228, v227, 0x7030c0c
	v_perm_b32 v198, v211, v211, 0xc0c0003
	s_delay_alu instid0(VALU_DEP_3) | instskip(NEXT) | instid1(VALU_DEP_2)
	v_dot4_i32_iu8 v115, v119, v199, v115 neg_lo:[1,1,0]
	v_or_b32_e32 v198, v118, v198
	v_perm_b32 v118, v230, v229, 0x7030c0c
	s_delay_alu instid0(VALU_DEP_2) | instskip(NEXT) | instid1(VALU_DEP_2)
	v_dot4_i32_iu8 v115, v198, v200, v115 neg_lo:[1,1,0]
	v_or_b32_e32 v199, v118, v114
	v_perm_b32 v118, v213, v213, 0xc0c0003
	s_delay_alu instid0(VALU_DEP_2) | instskip(SKIP_2) | instid1(VALU_DEP_2)
	v_dot4_i32_iu8 v114, v199, v201, v115 neg_lo:[1,1,0]
	v_perm_b32 v201, v93, v93, 0x2010003
	v_perm_b32 v115, v234, v231, 0x7030c0c
	v_dot4_i32_iu8 v80, v207, v201, v209 neg_lo:[1,1,0]
	v_dot4_i32_iu8 v103, v208, v201, v103 neg_lo:[1,1,0]
	s_delay_alu instid0(VALU_DEP_3)
	v_or_b32_e32 v200, v115, v118
	v_dot4_i32_iu8 v115, v91, v93, v88 neg_lo:[1,1,0]
	v_mov_b32_e32 v88, v217
	v_dot4_i32_iu8 v80, v84, v124, v80 neg_lo:[1,1,0]
	v_dot4_i32_iu8 v103, v84, v120, v103 neg_lo:[1,1,0]
	v_mov_b32_e32 v118, v83
	v_dot4_i32_iu8 v114, v200, v206, v114 neg_lo:[1,1,0]
	v_pk_mul_f32 v[88:89], v[88:89], v[82:83]
	v_cvt_f32_i32_e32 v141, v80
	v_dot4_i32_iu8 v80, v131, v201, v222 neg_lo:[1,1,0]
	v_cvt_f32_i32_e32 v140, v103
	v_dot4_i32_iu8 v103, v127, v201, v218 neg_lo:[1,1,0]
	v_dot4_i32_iu8 v114, v86, v212, v114 neg_lo:[1,1,0]
	v_pk_mul_f32 v[122:123], v[118:119], v[122:123] op_sel_hi:[0,1]
	v_dot4_i32_iu8 v80, v84, v130, v80 neg_lo:[1,1,0]
	v_cvt_f32_i32_e32 v115, v115
	v_dot4_i32_iu8 v103, v84, v126, v103 neg_lo:[1,1,0]
	v_cvt_f32_i32_e32 v114, v114
	v_pk_fma_f32 v[28:29], v[122:123], v[140:141], v[28:29]
	v_cvt_f32_i32_e32 v127, v80
	v_lshlrev_b32_e32 v80, 8, v107
	v_perm_b32 v107, v107, v107, 0xc0c0003
	v_cvt_f32_i32_e32 v126, v103
	v_lshlrev_b32_e32 v103, 8, v133
	v_pk_mul_f32 v[122:123], v[118:119], v[128:129] op_sel_hi:[0,1]
	v_perm_b32 v80, v80, v143, 0x7030c0c
	v_pk_fma_f32 v[8:9], v[88:89], v[114:115], v[8:9]
	s_delay_alu instid0(VALU_DEP_3) | instskip(NEXT) | instid1(VALU_DEP_3)
	v_pk_fma_f32 v[20:21], v[122:123], v[126:127], v[20:21]
	v_or_b32_e32 v107, v80, v107
	s_delay_alu instid0(VALU_DEP_1) | instskip(NEXT) | instid1(VALU_DEP_1)
	v_dot4_i32_iu8 v80, v107, v206, v188 neg_lo:[1,1,0]
	v_dot4_i32_iu8 v80, v106, v86, v80 neg_lo:[1,1,0]
	s_delay_alu instid0(VALU_DEP_1) | instskip(SKIP_1) | instid1(VALU_DEP_2)
	v_cvt_f32_i32_e32 v95, v80
	v_dot4_i32_iu8 v80, v107, v121, v202 neg_lo:[1,1,0]
	v_pk_fma_f32 v[36:37], v[110:111], v[94:95], v[36:37]
	v_perm_b32 v94, v104, v104, 0xc0c0302
	s_delay_alu instid0(VALU_DEP_3) | instskip(NEXT) | instid1(VALU_DEP_2)
	v_dot4_i32_iu8 v80, v106, v98, v80 neg_lo:[1,1,0]
	v_dot4_i32_iu8 v94, v142, v94, v203 neg_lo:[1,1,0]
	s_delay_alu instid0(VALU_DEP_2) | instskip(SKIP_1) | instid1(VALU_DEP_3)
	v_cvt_f32_i32_e32 v95, v80
	v_dot4_i32_iu8 v80, v107, v125, v204 neg_lo:[1,1,0]
	v_dot4_i32_iu8 v94, v91, v105, v94 neg_lo:[1,1,0]
	s_delay_alu instid0(VALU_DEP_2) | instskip(NEXT) | instid1(VALU_DEP_2)
	v_dot4_i32_iu8 v80, v106, v102, v80 neg_lo:[1,1,0]
	v_cvt_f32_i32_e32 v94, v94
	s_delay_alu instid0(VALU_DEP_1) | instskip(SKIP_1) | instid1(VALU_DEP_1)
	v_pk_fma_f32 v[34:35], v[112:113], v[94:95], v[34:35]
	v_perm_b32 v94, v108, v108, 0xc0c0302
	v_dot4_i32_iu8 v90, v142, v94, v90 neg_lo:[1,1,0]
	s_delay_alu instid0(VALU_DEP_1) | instskip(SKIP_2) | instid1(VALU_DEP_3)
	v_dot4_i32_iu8 v90, v91, v109, v90 neg_lo:[1,1,0]
	v_cvt_f32_i32_e32 v91, v80
	v_mov_b32_e32 v80, v216
	v_cvt_f32_i32_e32 v90, v90
	s_delay_alu instid0(VALU_DEP_2) | instskip(SKIP_2) | instid1(VALU_DEP_4)
	v_pk_mul_f32 v[80:81], v[82:83], v[80:81]
	v_perm_b32 v83, v103, v233, 0x7030c0c
	v_dot4_i32_iu8 v82, v107, v201, v194 neg_lo:[1,1,0]
	v_pk_fma_f32 v[32:33], v[116:117], v[90:91], v[32:33]
	v_perm_b32 v90, v133, v133, 0xc0c0003
	s_delay_alu instid0(VALU_DEP_3) | instskip(NEXT) | instid1(VALU_DEP_2)
	v_dot4_i32_iu8 v82, v84, v106, v82 neg_lo:[1,1,0]
	v_or_b32_e32 v90, v83, v90
	s_delay_alu instid0(VALU_DEP_1) | instskip(NEXT) | instid1(VALU_DEP_1)
	v_dot4_i32_iu8 v83, v90, v206, v235 neg_lo:[1,1,0]
	v_dot4_i32_iu8 v86, v86, v132, v83 neg_lo:[1,1,0]
	s_delay_alu instid0(VALU_DEP_4) | instskip(NEXT) | instid1(VALU_DEP_2)
	v_cvt_f32_i32_e32 v83, v82
	v_cvt_f32_i32_e32 v82, v86
	s_delay_alu instid0(VALU_DEP_1) | instskip(SKIP_4) | instid1(VALU_DEP_4)
	v_pk_fma_f32 v[10:11], v[80:81], v[82:83], v[10:11]
	v_dot4_i32_iu8 v80, v215, v182, 0 neg_lo:[1,1,0]
	v_perm_b32 v82, v233, v133, 0x700030c
	v_perm_b32 v83, v232, v232, 0xc0c0c03
	;; [unrolled: 1-line block ×3, first 2 shown]
	v_dot4_i32_iu8 v80, v196, v183, v80 neg_lo:[1,1,0]
	s_delay_alu instid0(VALU_DEP_3) | instskip(SKIP_1) | instid1(VALU_DEP_3)
	v_or_b32_e32 v82, v82, v83
	v_perm_b32 v83, v132, v103, 0xc0c0403
	v_dot4_i32_iu8 v80, v197, v184, v80 neg_lo:[1,1,0]
	s_delay_alu instid0(VALU_DEP_3) | instskip(SKIP_1) | instid1(VALU_DEP_3)
	v_dot4_i32_iu8 v81, v82, v81, v85 neg_lo:[1,1,0]
	v_perm_b32 v82, v84, v93, 0xc0c0402
	v_dot4_i32_iu8 v80, v119, v185, v80 neg_lo:[1,1,0]
	s_delay_alu instid0(VALU_DEP_2) | instskip(SKIP_1) | instid1(VALU_DEP_3)
	v_dot4_i32_iu8 v81, v83, v82, v81 neg_lo:[1,1,0]
	v_perm_b32 v82, v132, v132, 0xc030201
	v_dot4_i32_iu8 v80, v198, v186, v80 neg_lo:[1,1,0]
	v_perm_b32 v83, v84, v84, 0xc030201
	s_delay_alu instid0(VALU_DEP_2) | instskip(NEXT) | instid1(VALU_DEP_2)
	v_dot4_i32_iu8 v80, v199, v187, v80 neg_lo:[1,1,0]
	v_dot4_i32_iu8 v82, v82, v83, v81 neg_lo:[1,1,0]
	s_delay_alu instid0(VALU_DEP_2) | instskip(NEXT) | instid1(VALU_DEP_2)
	v_dot4_i32_iu8 v80, v200, v201, v80 neg_lo:[1,1,0]
	v_cvt_f32_i32_e32 v82, v82
	s_delay_alu instid0(VALU_DEP_2) | instskip(SKIP_1) | instid1(VALU_DEP_2)
	v_dot4_i32_iu8 v83, v212, v84, v80 neg_lo:[1,1,0]
	v_pk_mul_f32 v[80:81], v[118:119], v[216:217] op_sel_hi:[0,1]
	v_cvt_f32_i32_e32 v83, v83
	s_delay_alu instid0(VALU_DEP_1) | instskip(SKIP_2) | instid1(VALU_DEP_2)
	v_pk_fma_f32 v[6:7], v[80:81], v[82:83], v[6:7]
	v_dot4_i32_iu8 v80, v215, v87, 0 neg_lo:[1,1,0]
	v_dot4_i32_iu8 v81, v90, v121, v205 neg_lo:[1,1,0]
	;; [unrolled: 1-line block ×3, first 2 shown]
	s_delay_alu instid0(VALU_DEP_2) | instskip(NEXT) | instid1(VALU_DEP_2)
	v_dot4_i32_iu8 v82, v132, v98, v81 neg_lo:[1,1,0]
	v_dot4_i32_iu8 v80, v197, v145, v80 neg_lo:[1,1,0]
	s_delay_alu instid0(VALU_DEP_2) | instskip(NEXT) | instid1(VALU_DEP_2)
	v_cvt_f32_i32_e32 v82, v82
	v_dot4_i32_iu8 v80, v119, v146, v80 neg_lo:[1,1,0]
	s_delay_alu instid0(VALU_DEP_1) | instskip(NEXT) | instid1(VALU_DEP_1)
	v_dot4_i32_iu8 v80, v198, v147, v80 neg_lo:[1,1,0]
	v_dot4_i32_iu8 v80, v199, v181, v80 neg_lo:[1,1,0]
	s_delay_alu instid0(VALU_DEP_1) | instskip(NEXT) | instid1(VALU_DEP_1)
	v_dot4_i32_iu8 v80, v200, v121, v80 neg_lo:[1,1,0]
	v_dot4_i32_iu8 v83, v212, v98, v80 neg_lo:[1,1,0]
	v_pk_mul_f32 v[80:81], v[96:97], v[216:217] op_sel_hi:[0,1]
	s_delay_alu instid0(VALU_DEP_2) | instskip(NEXT) | instid1(VALU_DEP_1)
	v_cvt_f32_i32_e32 v83, v83
	v_pk_fma_f32 v[4:5], v[80:81], v[82:83], v[4:5]
	v_dot4_i32_iu8 v80, v215, v99, 0 neg_lo:[1,1,0]
	v_dot4_i32_iu8 v81, v90, v125, v214 neg_lo:[1,1,0]
	s_delay_alu instid0(VALU_DEP_2) | instskip(NEXT) | instid1(VALU_DEP_2)
	v_dot4_i32_iu8 v80, v196, v189, v80 neg_lo:[1,1,0]
	v_dot4_i32_iu8 v82, v132, v102, v81 neg_lo:[1,1,0]
	s_delay_alu instid0(VALU_DEP_2) | instskip(NEXT) | instid1(VALU_DEP_2)
	v_dot4_i32_iu8 v80, v197, v190, v80 neg_lo:[1,1,0]
	v_cvt_f32_i32_e32 v82, v82
	s_delay_alu instid0(VALU_DEP_2) | instskip(NEXT) | instid1(VALU_DEP_1)
	v_dot4_i32_iu8 v80, v119, v191, v80 neg_lo:[1,1,0]
	v_dot4_i32_iu8 v80, v198, v192, v80 neg_lo:[1,1,0]
	s_delay_alu instid0(VALU_DEP_1) | instskip(NEXT) | instid1(VALU_DEP_1)
	v_dot4_i32_iu8 v80, v199, v193, v80 neg_lo:[1,1,0]
	v_dot4_i32_iu8 v80, v200, v125, v80 neg_lo:[1,1,0]
	s_delay_alu instid0(VALU_DEP_1) | instskip(SKIP_2) | instid1(VALU_DEP_3)
	v_dot4_i32_iu8 v83, v212, v102, v80 neg_lo:[1,1,0]
	v_pk_mul_f32 v[80:81], v[100:101], v[216:217] op_sel_hi:[0,1]
	v_add_nc_u32_e32 v101, 32, v101
	v_cvt_f32_i32_e32 v83, v83
	s_delay_alu instid0(VALU_DEP_1)
	v_pk_fma_f32 v[2:3], v[80:81], v[82:83], v[2:3]
	s_cbranch_scc1 .LBB122_8
; %bb.9:                                ;   in Loop: Header=BB122_6 Depth=1
	s_and_b32 s10, s7, -4
	s_delay_alu instid0(SALU_CYCLE_1)
	s_cmp_eq_u32 s10, 4
	s_barrier_signal -1
	s_barrier_wait -1
	s_cbranch_scc1 .LBB122_5
; %bb.10:                               ;   in Loop: Header=BB122_6 Depth=1
	v_dual_add_nc_u32 v88, s4, v160 :: v_dual_add_nc_u32 v80, 4, v97
	v_dual_mov_b32 v181, v179 :: v_dual_mov_b32 v182, v169
	v_dual_mov_b32 v183, v180 :: v_dual_mov_b32 v184, v177
	s_delay_alu instid0(VALU_DEP_3) | instskip(SKIP_3) | instid1(VALU_DEP_4)
	v_dual_add_nc_u32 v86, v88, v159 :: v_dual_add_nc_u32 v92, v88, v156
	v_dual_add_nc_u32 v82, v88, v152 :: v_dual_add_nc_u32 v84, v88, v153
	;; [unrolled: 1-line block ×3, first 2 shown]
	v_mad_nc_u64_u32 v[80:81], v80, 36, s[2:3]
	v_mad_nc_i64_i32 v[86:87], v86, 36, v[0:1]
	s_delay_alu instid0(VALU_DEP_4)
	v_mad_nc_i64_i32 v[82:83], v82, 36, v[0:1]
	v_dual_add_nc_u32 v94, v88, v157 :: v_dual_add_nc_u32 v96, v88, v158
	v_mad_nc_i64_i32 v[84:85], v84, 36, v[0:1]
	v_mad_nc_i64_i32 v[88:89], v89, 36, v[0:1]
	;; [unrolled: 1-line block ×6, first 2 shown]
	s_clause 0x8
	global_load_b32 v98, v[80:81], off
	global_load_b32 v99, v[86:87], off offset:4
	global_load_b32 v100, v[82:83], off offset:4
	;; [unrolled: 1-line block ×8, first 2 shown]
	v_dual_mov_b32 v185, v175 :: v_dual_mov_b32 v186, v173
	v_mov_b32_e32 v187, v171
	s_mov_b32 s10, 12
	s_wait_loadcnt 0x8
	s_wait_xcnt 0x8
	v_cvt_f32_f16_e32 v80, v98
	s_wait_loadcnt 0x7
	ds_store_b32 v167, v99
	s_wait_loadcnt 0x6
	ds_store_b32 v168, v100
	;; [unrolled: 2-line block ×8, first 2 shown]
	ds_store_b32 v151, v80
	s_wait_dscnt 0x0
	s_barrier_signal -1
	s_barrier_wait -1
.LBB122_11:                             ;   Parent Loop BB122_6 Depth=1
                                        ; =>  This Inner Loop Header: Depth=2
	ds_load_2addr_b32 v[122:123], v182 offset0:3 offset1:4
	ds_load_2addr_b32 v[124:125], v182 offset0:5 offset1:6
	;; [unrolled: 1-line block ×3, first 2 shown]
	ds_load_2addr_b32 v[118:119], v182 offset1:7
	ds_load_2addr_b32 v[120:121], v181 offset1:32
	;; [unrolled: 1-line block ×3, first 2 shown]
	ds_load_2addr_b32 v[128:129], v183 offset0:2 offset1:3
	ds_load_2addr_b32 v[100:101], v183 offset0:4 offset1:5
	;; [unrolled: 1-line block ×3, first 2 shown]
	ds_load_b32 v130, v184
	ds_load_b32 v131, v185
	;; [unrolled: 1-line block ×4, first 2 shown]
	ds_load_2addr_b32 v[220:221], v181 offset0:192 offset1:224
	ds_load_2addr_b32 v[134:135], v181 offset0:64 offset1:96
	;; [unrolled: 1-line block ×3, first 2 shown]
	v_add_nc_u32_e32 v84, 0x2080, v183
	v_add_nc_u32_e32 v85, 0x2088, v183
	;; [unrolled: 1-line block ×34, first 2 shown]
	s_wait_dscnt 0x2
	v_dual_mov_b32 v230, v221 :: v_dual_mov_b32 v231, v120
	v_mov_b32_e32 v232, v131
	ds_load_2addr_b32 v[86:87], v84 offset1:1
	ds_load_2addr_b32 v[222:223], v85 offset1:1
	;; [unrolled: 1-line block ×15, first 2 shown]
	s_set_vgpr_msb 64                       ;  msbs: dst=1 src0=0 src1=0 src2=0
	ds_load_2addr_b32 v[0:1] /*v[256:257]*/, v108 offset1:1
	ds_load_2addr_b32 v[2:3] /*v[258:259]*/, v109 offset1:1
	s_set_vgpr_msb 0                        ;  msbs: dst=0 src0=0 src1=0 src2=0
	ds_load_2addr_b32 v[140:141], v110 offset1:1
	s_set_vgpr_msb 64                       ;  msbs: dst=1 src0=0 src1=0 src2=0
	ds_load_2addr_b32 v[4:5] /*v[260:261]*/, v111 offset1:1
	ds_load_2addr_b32 v[6:7] /*v[262:263]*/, v112 offset1:1
	s_set_vgpr_msb 0                        ;  msbs: dst=0 src0=0 src1=0 src2=0
	ds_load_2addr_b32 v[138:139], v113 offset1:1
	;; [unrolled: 5-line block ×4, first 2 shown]
	ds_load_2addr_b32 v[116:117], v190 offset1:7
	s_set_vgpr_msb 64                       ;  msbs: dst=1 src0=0 src1=0 src2=0
	ds_load_2addr_b32 v[10:11] /*v[266:267]*/, v193 offset1:1
	ds_load_2addr_b32 v[20:21] /*v[276:277]*/, v188 offset1:1
	;; [unrolled: 1-line block ×5, first 2 shown]
	s_set_vgpr_msb 0                        ;  msbs: dst=0 src0=0 src1=0 src2=0
	ds_load_2addr_b32 v[142:143], v194 offset1:7
	v_dual_lshlrev_b32 v190, 16, v123 :: v_dual_lshlrev_b32 v191, 8, v123
	v_add_nc_u32_e32 v133, 0x800, v182
	v_dual_lshlrev_b32 v195, 16, v126 :: v_dual_lshlrev_b32 v196, 8, v126
	v_dual_lshlrev_b32 v198, 16, v124 :: v_dual_lshlrev_b32 v200, 8, v124
	;; [unrolled: 1-line block ×4, first 2 shown]
	v_perm_b32 v233, v83, v83, 0x2010003
	v_perm_b32 v247, v123, v191, 0x7030c04
	v_perm_b32 v248, v190, v190, 0xc0c030c
	v_dual_lshlrev_b32 v209, 16, v122 :: v_dual_lshlrev_b32 v210, 8, v122
	v_pk_mul_f32 v[88:89], v[130:131], v[120:121] op_sel_hi:[0,1]
	v_pk_mul_f32 v[90:91], v[102:103], v[120:121] op_sel_hi:[0,1]
	;; [unrolled: 1-line block ×3, first 2 shown]
	s_wait_dscnt 0x23
	v_pk_mul_f32 v[104:105], v[130:131], v[134:135] op_sel_hi:[0,1]
	v_pk_mul_f32 v[106:107], v[102:103], v[134:135] op_sel_hi:[0,1]
	;; [unrolled: 1-line block ×3, first 2 shown]
	s_wait_dscnt 0x22
	v_pk_mul_f32 v[110:111], v[130:131], v[218:219] op_sel_hi:[0,1]
	v_pk_mul_f32 v[112:113], v[102:103], v[218:219] op_sel_hi:[0,1]
	;; [unrolled: 1-line block ×3, first 2 shown]
	v_mov_b32_e32 v120, v220
	v_perm_b32 v249, v126, v196, 0x7030c04
	v_perm_b32 v250, v195, v195, 0xc0c030c
	s_set_vgpr_msb 64                       ;  msbs: dst=1 src0=0 src1=0 src2=0
	v_perm_b32 v12 /*v268*/, v198, v124, 0xc0c0700
	v_perm_b32 v24 /*v280*/, v124, v200, 0xc0c0703
	;; [unrolled: 1-line block ×3, first 2 shown]
	s_set_vgpr_msb 0                        ;  msbs: dst=0 src0=0 src1=0 src2=0
	v_perm_b32 v201, v127, v203, 0xc0c0703
	v_perm_b32 v195, v204, v125, 0xc0c0700
	;; [unrolled: 1-line block ×3, first 2 shown]
	s_wait_dscnt 0x1d
	s_set_vgpr_msb 64                       ;  msbs: dst=1 src0=0 src1=0 src2=0
	v_dot4_i32_iu8 v51 /*v307*/, v94, v118, 0 neg_lo:[1,1,0]
	s_wait_dscnt 0x1a
	v_dot4_i32_iu8 v57 /*v313*/, v96, v118, 0 neg_lo:[1,1,0]
	s_set_vgpr_msb 0                        ;  msbs: dst=0 src0=0 src1=0 src2=0
	v_pk_mul_f32 v[124:125], v[232:233], v[134:135] op_sel_hi:[0,1]
	v_pk_mul_f32 v[126:127], v[232:233], v[218:219] op_sel_hi:[0,1]
	s_wait_dscnt 0xa
	v_dual_lshlrev_b32 v135, 16, v137 :: v_dual_bitop2_b32 v218, v247, v248 bitop3:0x54
	v_dual_lshlrev_b32 v215, 8, v119 :: v_dual_lshlrev_b32 v216, 8, v146
	v_ashrrev_i32_e32 v217, 24, v83
	v_perm_b32 v235, v129, v129, 0x2010003
	v_perm_b32 v197, v100, v100, 0x2010003
	;; [unrolled: 1-line block ×3, first 2 shown]
	v_dot4_i32_iu8 v236, v82, v118, 0 neg_lo:[1,1,0]
	v_perm_b32 v237, v129, v129, 0xc0c0100
	v_perm_b32 v238, v129, v129, 0xc0c0302
	;; [unrolled: 1-line block ×10, first 2 shown]
	v_pk_mul_f32 v[100:101], v[102:103], v[220:221] op_sel_hi:[0,1]
	v_pk_mul_f32 v[102:103], v[132:133], v[220:221] op_sel_hi:[0,1]
	v_ashrrev_i32_e32 v245, 24, v87
	s_set_vgpr_msb 64                       ;  msbs: dst=1 src0=0 src1=0 src2=0
	v_dual_lshlrev_b32 v27 /*v283*/, 16, v147 :: v_dual_lshlrev_b32 v28 /*v284*/, 8, v147
	v_perm_b32 v44 /*v300*/, v122, v210, 0x7030c04
	v_perm_b32 v45 /*v301*/, v209, v209, 0xc0c030c
	;; [unrolled: 1-line block ×3, first 2 shown]
	s_set_vgpr_msb 0                        ;  msbs: dst=0 src0=0 src1=0 src2=0
	v_perm_b32 v210, v206, v206, 0x2010003
	v_perm_b32 v203, v207, v207, 0x2010003
	s_set_vgpr_msb 64                       ;  msbs: dst=1 src0=0 src1=0 src2=0
	v_perm_b32 v53 /*v309*/, v206, v206, 0xc0c0100
	s_set_vgpr_msb 0                        ;  msbs: dst=0 src0=0 src1=0 src2=0
	v_perm_b32 v209, v206, v206, 0xc0c0302
	v_perm_b32 v204, v207, v207, 0xc0c0100
	;; [unrolled: 1-line block ×3, first 2 shown]
	s_set_vgpr_msb 64                       ;  msbs: dst=1 src0=0 src1=0 src2=0
	v_perm_b32 v54 /*v310*/, v97, v97, 0x2010003
	s_set_vgpr_msb 0                        ;  msbs: dst=0 src0=0 src1=0 src2=0
	v_perm_b32 v214, v228, v228, 0x2010003
	v_perm_b32 v206, v229, v229, 0x2010003
	s_set_vgpr_msb 64                       ;  msbs: dst=1 src0=0 src1=0 src2=0
	v_perm_b32 v61 /*v317*/, v228, v228, 0xc0c0100
	s_set_vgpr_msb 16                       ;  msbs: dst=0 src0=0 src1=0 src2=1
	v_perm_b32 v213, v228, v228, 0xc0c0302
	v_perm_b32 v207, v229, v229, 0xc0c0100
	;; [unrolled: 1-line block ×3, first 2 shown]
	v_dual_lshlrev_b32 v228, 16, v145 :: v_dual_lshlrev_b32 v229, 8, v145
	v_pk_mul_f32 v[122:123], v[130:131], v[120:121]
	v_pk_mul_f32 v[120:121], v[232:233], v[220:221] op_sel_hi:[0,1]
	v_dual_lshlrev_b32 v219, 8, v137 :: v_dual_bitop2_b32 v220, v249, v250 bitop3:0x54
	v_dot4_i32_iu8 v95, v218, v95, v51 /*v307*/ neg_lo:[1,1,0]
	v_dot4_i32_iu8 v97, v218, v97, v57 /*v313*/ neg_lo:[1,1,0]
	s_set_vgpr_msb 64                       ;  msbs: dst=1 src0=0 src1=0 src2=0
	v_dual_lshlrev_b32 v66 /*v322*/, 16, v119 :: v_dual_lshlrev_b32 v30 /*v286*/, 16, v252
	s_set_vgpr_msb 0                        ;  msbs: dst=0 src0=0 src1=0 src2=0
	v_perm_b32 v244, v128, v83, 0x7020100
	v_dot4_i32_iu8 v132, v86, v118, 0 neg_lo:[1,1,0]
	s_set_vgpr_msb 64                       ;  msbs: dst=1 src0=0 src1=0 src2=0
	v_dual_ashrrev_i32 v29 /*v285*/, 24, v147 :: v_dual_lshlrev_b32 v31 /*v287*/, 8, v252
	v_dual_lshlrev_b32 v67 /*v323*/, 16, v146 :: v_dual_ashrrev_i32 v62 /*v318*/, 24, v145
	v_perm_b32 v38 /*v294*/, v147, v147, 0xc0c0003
	v_perm_b32 v49 /*v305*/, v224, v224, 0x2010003
	v_perm_b32 v55 /*v311*/, v226, v226, 0x2010003
	v_dual_lshlrev_b32 v71 /*v327*/, 16, v141 :: v_dual_ashrrev_i32 v73 /*v329*/, 24, v141
	v_perm_b32 v72 /*v328*/, v119, v215, 0x7030c04
	s_set_vgpr_msb 0                        ;  msbs: dst=0 src0=0 src1=0 src2=0
	v_lshlrev_b32_e32 v215, 8, v141
	v_pk_mul_f32 v[118:119], v[230:231], v[130:131]
	v_dual_lshlrev_b32 v130, 16, v139 :: v_dual_lshlrev_b32 v131, 8, v139
	v_dual_ashrrev_i32 v134, 24, v139 :: v_dual_ashrrev_i32 v221, 24, v137
	v_dot4_i32_iu8 v83, v218, v83, v236 neg_lo:[1,1,0]
	s_set_vgpr_msb 1                        ;  msbs: dst=0 src0=1 src1=0 src2=0
	v_perm_b32 v147, v27 /*v283*/, v147, 0xc0c0700
	s_set_vgpr_msb 0                        ;  msbs: dst=0 src0=0 src1=0 src2=0
	v_dot4_i32_iu8 v95, v220, v224, v95 neg_lo:[1,1,0]
	s_set_vgpr_msb 4                        ;  msbs: dst=0 src0=0 src1=1 src2=0
	v_perm_b32 v224, v252, v28 /*v284*/, 0x7030c0c
	s_set_vgpr_msb 0                        ;  msbs: dst=0 src0=0 src1=0 src2=0
	v_perm_b32 v232, v228, v145, 0xc0c0700
	v_dot4_i32_iu8 v97, v220, v226, v97 neg_lo:[1,1,0]
	s_set_vgpr_msb 1                        ;  msbs: dst=0 src0=1 src1=0 src2=0
	v_perm_b32 v226, v0 /*v256*/, v229, 0x7030c0c
	s_set_vgpr_msb 0                        ;  msbs: dst=0 src0=0 src1=0 src2=0
	v_perm_b32 v234, v128, v128, 0x2010003
	v_dot4_i32_iu8 v83, v220, v128, v83 neg_lo:[1,1,0]
	s_wait_dscnt 0x7
	v_lshlrev_b32_e32 v128, 16, v243
	s_set_vgpr_msb 1                        ;  msbs: dst=0 src0=1 src1=0 src2=0
	v_mul_i32_i24_e32 v230, v29 /*v285*/, v245
	v_mul_i32_i24_e32 v231, v62 /*v318*/, v245
	;; [unrolled: 1-line block ×3, first 2 shown]
	v_perm_b32 v247, v71 /*v327*/, v141, 0xc0c0700
	s_set_vgpr_msb 0                        ;  msbs: dst=0 src0=0 src1=0 src2=0
	v_mul_i32_i24_e32 v134, v134, v245
	v_mul_i32_i24_e32 v221, v221, v245
	s_set_vgpr_msb 1                        ;  msbs: dst=0 src0=1 src1=0 src2=0
	v_perm_b32 v245, v4 /*v260*/, v215, 0x7030c0c
	s_set_vgpr_msb 0                        ;  msbs: dst=0 src0=0 src1=0 src2=0
	v_or_b32_e32 v147, v224, v147
	v_perm_b32 v224, v130, v139, 0xc0c0700
	v_or_b32_e32 v226, v226, v232
	s_set_vgpr_msb 1                        ;  msbs: dst=0 src0=1 src1=0 src2=0
	v_perm_b32 v232, v8 /*v264*/, v131, 0x7030c0c
	s_set_vgpr_msb 0                        ;  msbs: dst=0 src0=0 src1=0 src2=0
	v_or_b32_e32 v245, v245, v247
	v_perm_b32 v247, v135, v137, 0xc0c0700
	s_set_vgpr_msb 64                       ;  msbs: dst=1 src0=0 src1=0 src2=0
	v_perm_b32 v41 /*v297*/, v222, v87, 0x7020100
	v_perm_b32 v39 /*v295*/, v252, v252, 0xc0c0003
	s_set_vgpr_msb 0                        ;  msbs: dst=0 src0=0 src1=0 src2=0
	v_or_b32_e32 v224, v232, v224
	s_set_vgpr_msb 1                        ;  msbs: dst=0 src0=1 src1=0 src2=0
	v_perm_b32 v232, v16 /*v272*/, v219, 0x7030c0c
	s_set_vgpr_msb 4                        ;  msbs: dst=0 src0=0 src1=1 src2=0
	v_lshlrev_b32_e32 v249, 8, v4 /*v260*/
	v_dot4_i32_iu8 v147, v147, v41 /*v297*/, v230 neg_lo:[1,1,0]
	s_set_vgpr_msb 0                        ;  msbs: dst=0 src0=0 src1=0 src2=0
	v_ashrrev_i32_e32 v230, 24, v243
	s_set_vgpr_msb 4                        ;  msbs: dst=0 src0=0 src1=1 src2=0
	v_dot4_i32_iu8 v236, v245, v41 /*v297*/, v236 neg_lo:[1,1,0]
	s_set_vgpr_msb 0                        ;  msbs: dst=0 src0=0 src1=0 src2=0
	v_or_b32_e32 v232, v232, v247
	v_lshlrev_b32_e32 v247, 8, v243
	s_set_vgpr_msb 4                        ;  msbs: dst=0 src0=0 src1=1 src2=0
	v_dot4_i32_iu8 v226, v226, v41 /*v297*/, v231 neg_lo:[1,1,0]
	s_wait_dscnt 0x5
	v_dual_lshlrev_b32 v231, 16, v11 /*v267*/ :: v_dual_lshlrev_b32 v245, 8, v11 /*v267*/
	v_dot4_i32_iu8 v134, v224, v41 /*v297*/, v134 neg_lo:[1,1,0]
	v_ashrrev_i32_e32 v224, 24, v11 /*v267*/
	v_dot4_i32_iu8 v221, v232, v41 /*v297*/, v221 neg_lo:[1,1,0]
	s_set_vgpr_msb 0                        ;  msbs: dst=0 src0=0 src1=0 src2=0
	v_perm_b32 v232, v128, v243, 0xc0c0700
	s_wait_dscnt 0x4
	s_set_vgpr_msb 1                        ;  msbs: dst=0 src0=1 src1=0 src2=0
	v_perm_b32 v248, v20 /*v276*/, v247, 0x7030c0c
	s_set_vgpr_msb 0                        ;  msbs: dst=0 src0=0 src1=0 src2=0
	v_mul_i32_i24_e32 v230, v230, v217
	v_mul_i32_i24_e32 v217, v224, v217
	s_set_vgpr_msb 4                        ;  msbs: dst=0 src0=0 src1=1 src2=0
	v_perm_b32 v224, v231, v11 /*v267*/, 0xc0c0700
	s_set_vgpr_msb 0                        ;  msbs: dst=0 src0=0 src1=0 src2=0
	v_perm_b32 v141, v141, v141, 0xc0c0003
	v_or_b32_e32 v232, v248, v232
	s_wait_dscnt 0x2
	s_set_vgpr_msb 1                        ;  msbs: dst=0 src0=1 src1=0 src2=0
	v_perm_b32 v248, v32 /*v288*/, v245, 0x7030c0c
	s_set_vgpr_msb 4                        ;  msbs: dst=0 src0=0 src1=1 src2=0
	v_perm_b32 v215, v215, v71 /*v327*/, 0x7030c0c
	s_set_vgpr_msb 0                        ;  msbs: dst=0 src0=0 src1=0 src2=0
	v_perm_b32 v130, v131, v130, 0x7030c0c
	s_set_vgpr_msb 4                        ;  msbs: dst=0 src0=0 src1=1 src2=0
	v_lshlrev_b32_e32 v131, 16, v8 /*v264*/
	s_set_vgpr_msb 0                        ;  msbs: dst=0 src0=0 src1=0 src2=0
	v_dot4_i32_iu8 v230, v232, v244, v230 neg_lo:[1,1,0]
	v_or_b32_e32 v224, v248, v224
	s_set_vgpr_msb 4                        ;  msbs: dst=0 src0=0 src1=1 src2=0
	v_lshlrev_b32_e32 v232, 16, v4 /*v260*/
	s_set_vgpr_msb 0                        ;  msbs: dst=0 src0=0 src1=0 src2=0
	v_perm_b32 v135, v219, v135, 0x7030c0c
	s_set_vgpr_msb 4                        ;  msbs: dst=0 src0=0 src1=1 src2=0
	v_lshlrev_b32_e32 v219, 8, v8 /*v264*/
	s_set_vgpr_msb 0                        ;  msbs: dst=0 src0=0 src1=0 src2=0
	v_perm_b32 v128, v247, v128, 0x7030c0c
	v_perm_b32 v139, v139, v139, 0xc0c0003
	s_set_vgpr_msb 5                        ;  msbs: dst=0 src0=1 src1=1 src2=0
	v_perm_b32 v247, v31 /*v287*/, v30 /*v286*/, 0x7030c0c
	s_set_vgpr_msb 0                        ;  msbs: dst=0 src0=0 src1=0 src2=0
	v_dot4_i32_iu8 v217, v224, v244, v217 neg_lo:[1,1,0]
	s_set_vgpr_msb 5                        ;  msbs: dst=0 src0=1 src1=1 src2=0
	v_perm_b32 v244, v28 /*v284*/, v27 /*v283*/, 0x7030c0c
	s_set_vgpr_msb 0                        ;  msbs: dst=0 src0=0 src1=0 src2=0
	v_perm_b32 v231, v245, v231, 0x7030c0c
	s_set_vgpr_msb 5                        ;  msbs: dst=0 src0=1 src1=1 src2=0
	v_perm_b32 v245, v8 /*v264*/, v8 /*v264*/, 0xc0c0003
	s_set_vgpr_msb 0                        ;  msbs: dst=0 src0=0 src1=0 src2=0
	v_dot4_i32_iu8 v132, v218, v87, v132 neg_lo:[1,1,0]
	s_set_vgpr_msb 4                        ;  msbs: dst=0 src0=0 src1=1 src2=0
	v_dual_lshlrev_b32 v218, 16, v16 /*v272*/ :: v_dual_bitop2_b32 v244, v244, v38 /*v294*/ bitop3:0x54
	v_dual_lshlrev_b32 v250, 8, v16 /*v272*/ :: v_dual_bitop2_b32 v247, v247, v39 /*v295*/ bitop3:0x54
	s_set_vgpr_msb 0                        ;  msbs: dst=0 src0=0 src1=0 src2=0
	v_perm_b32 v137, v137, v137, 0xc0c0003
	v_or_b32_e32 v141, v215, v141
	v_perm_b32 v215, v249, v232, 0x7030c0c
	s_set_vgpr_msb 4                        ;  msbs: dst=0 src0=0 src1=1 src2=0
	v_perm_b32 v232, v232, v4 /*v260*/, 0xc0c0700
	s_set_vgpr_msb 1                        ;  msbs: dst=0 src0=1 src1=0 src2=0
	v_perm_b32 v249, v6 /*v262*/, v249, 0x7030c0c
	s_set_vgpr_msb 0                        ;  msbs: dst=0 src0=0 src1=0 src2=0
	v_dual_add_nc_u32 v184, 4, v184 :: v_dual_bitop2_b32 v139, v130, v139 bitop3:0x54
	v_perm_b32 v130, v219, v131, 0x7030c0c
	s_set_vgpr_msb 0x44                     ;  msbs: dst=1 src0=0 src1=1 src2=0
	v_dual_lshlrev_b32 v63 /*v319*/, 16, v0 /*v256*/ :: v_dual_lshlrev_b32 v64 /*v320*/, 8, v0 /*v256*/
	s_set_vgpr_msb 0                        ;  msbs: dst=0 src0=0 src1=0 src2=0
	v_perm_b32 v145, v145, v145, 0xc0c0003
	v_perm_b32 v228, v229, v228, 0x7030c0c
	s_set_vgpr_msb 1                        ;  msbs: dst=0 src0=1 src1=0 src2=0
	v_perm_b32 v252, v30 /*v286*/, v252, 0xc0c0700
	s_set_vgpr_msb 0x44                     ;  msbs: dst=1 src0=0 src1=1 src2=0
	v_perm_b32 v27 /*v283*/, v254, v31 /*v287*/, 0x7030c0c
	s_set_vgpr_msb 0                        ;  msbs: dst=0 src0=0 src1=0 src2=0
	v_dual_add_nc_u32 v185, 4, v185 :: v_dual_bitop2_b32 v232, v249, v232 bitop3:0x54
	v_or_b32_e32 v249, v130, v245
	v_or_b32_e32 v135, v135, v137
	v_perm_b32 v137, v250, v218, 0x7030c0c
	s_set_vgpr_msb 4                        ;  msbs: dst=0 src0=0 src1=1 src2=0
	v_perm_b32 v218, v218, v16 /*v272*/, 0xc0c0700
	s_set_vgpr_msb 1                        ;  msbs: dst=0 src0=1 src1=0 src2=0
	v_perm_b32 v245, v18 /*v274*/, v250, 0x7030c0c
	s_set_vgpr_msb 64                       ;  msbs: dst=1 src0=0 src1=0 src2=0
	v_perm_b32 v42 /*v298*/, v223, v222, 0x7020100
	s_set_vgpr_msb 5                        ;  msbs: dst=0 src0=1 src1=1 src2=0
	v_perm_b32 v224, v0 /*v256*/, v0 /*v256*/, 0xc0c0003
	v_perm_b32 v229, v4 /*v260*/, v4 /*v260*/, 0xc0c0003
	s_set_vgpr_msb 1                        ;  msbs: dst=0 src0=1 src1=0 src2=0
	v_dual_add_nc_u32 v187, 4, v187 :: v_dual_bitop2_b32 v252, v27 /*v283*/, v252 bitop3:0x54
	s_set_vgpr_msb 0                        ;  msbs: dst=0 src0=0 src1=0 src2=0
	v_or_b32_e32 v145, v228, v145
	s_set_vgpr_msb 5                        ;  msbs: dst=0 src0=1 src1=1 src2=0
	v_perm_b32 v228, v64 /*v320*/, v63 /*v319*/, 0x7030c0c
	s_set_vgpr_msb 0x45                     ;  msbs: dst=1 src0=1 src1=1 src2=0
	v_perm_b32 v0 /*v256*/, v63 /*v319*/, v0 /*v256*/, 0xc0c0700
	v_perm_b32 v27 /*v283*/, v2 /*v258*/, v64 /*v320*/, 0x7030c0c
	s_set_vgpr_msb 0                        ;  msbs: dst=0 src0=0 src1=0 src2=0
	v_or_b32_e32 v218, v245, v218
	s_set_vgpr_msb 0x44                     ;  msbs: dst=1 src0=0 src1=1 src2=0
	v_lshlrev_b32_e32 v65 /*v321*/, 16, v2 /*v258*/
	s_set_vgpr_msb 0                        ;  msbs: dst=0 src0=0 src1=0 src2=0
	v_dual_add_nc_u32 v186, 4, v186 :: v_dual_bitop2_b32 v224, v228, v224 bitop3:0x54
	s_set_vgpr_msb 5                        ;  msbs: dst=0 src0=1 src1=1 src2=0
	v_perm_b32 v228, v16 /*v272*/, v16 /*v272*/, 0xc0c0003
	s_set_vgpr_msb 0x45                     ;  msbs: dst=1 src0=1 src1=1 src2=0
	v_or_b32_e32 v0 /*v256*/, v27 /*v283*/, v0 /*v256*/
	v_dual_lshlrev_b32 v27 /*v283*/, 16, v20 /*v276*/ :: v_dual_lshlrev_b32 v4 /*v260*/, 16, v1 /*v257*/
	s_set_vgpr_msb 0                        ;  msbs: dst=0 src0=0 src1=0 src2=0
	v_or_b32_e32 v215, v215, v229
	s_set_vgpr_msb 4                        ;  msbs: dst=0 src0=0 src1=1 src2=0
	v_lshlrev_b32_e32 v229, 8, v20 /*v276*/
	v_perm_b32 v131, v131, v8 /*v264*/, 0xc0c0700
	s_set_vgpr_msb 1                        ;  msbs: dst=0 src0=1 src1=0 src2=0
	v_perm_b32 v219, v14 /*v270*/, v219, 0x7030c0c
	s_set_vgpr_msb 4                        ;  msbs: dst=0 src0=0 src1=1 src2=0
	v_dot4_i32_iu8 v218, v218, v42 /*v298*/, v221 neg_lo:[1,1,0]
	s_set_vgpr_msb 0                        ;  msbs: dst=0 src0=0 src1=0 src2=0
	v_dot4_i32_iu8 v221, v139, v233, 0 neg_lo:[1,1,0]
	v_add_nc_u32_e32 v211, 0x4118, v183
	v_add_nc_u32_e32 v208, 0x6198, v183
	s_set_vgpr_msb 5                        ;  msbs: dst=0 src0=1 src1=1 src2=0
	v_perm_b32 v130, v20 /*v276*/, v20 /*v276*/, 0xc0c0003
	s_set_vgpr_msb 0                        ;  msbs: dst=0 src0=0 src1=0 src2=0
	v_dual_add_nc_u32 v181, 4, v181 :: v_dual_bitop2_b32 v131, v219, v131 bitop3:0x54
	s_set_vgpr_msb 4                        ;  msbs: dst=0 src0=0 src1=1 src2=0
	v_lshlrev_b32_e32 v219, 16, v32 /*v288*/
	s_set_vgpr_msb 0                        ;  msbs: dst=0 src0=0 src1=0 src2=0
	v_or_b32_e32 v137, v137, v228
	s_set_vgpr_msb 5                        ;  msbs: dst=0 src0=1 src1=1 src2=0
	v_lshlrev_b32_e32 v228, 8, v32 /*v288*/
	v_perm_b32 v245, v27 /*v283*/, v20 /*v276*/, 0xc0c0700
	s_set_vgpr_msb 0                        ;  msbs: dst=0 src0=0 src1=0 src2=0
	v_add_nc_u32_e32 v183, 32, v183
	s_set_vgpr_msb 64                       ;  msbs: dst=1 src0=0 src1=0 src2=0
	v_dot4_i32_iu8 v30 /*v286*/, v249, v234, v221 neg_lo:[1,1,0]
	s_set_vgpr_msb 4                        ;  msbs: dst=0 src0=0 src1=1 src2=0
	v_lshlrev_b32_e32 v221, 16, v6 /*v262*/
	v_perm_b32 v250, v229, v27 /*v283*/, 0x7030c0c
	s_set_vgpr_msb 1                        ;  msbs: dst=0 src0=1 src1=0 src2=0
	v_perm_b32 v229, v22 /*v278*/, v229, 0x7030c0c
	s_set_vgpr_msb 0                        ;  msbs: dst=0 src0=0 src1=0 src2=0
	v_perm_b32 v243, v243, v243, 0xc0c0003
	v_perm_b32 v251, v223, v223, 0xc0c0100
	s_set_vgpr_msb 64                       ;  msbs: dst=1 src0=0 src1=0 src2=0
	v_perm_b32 v52 /*v308*/, v225, v225, 0xc0c0100
	s_set_vgpr_msb 0                        ;  msbs: dst=0 src0=0 src1=0 src2=0
	v_or_b32_e32 v250, v250, v130
	v_or_b32_e32 v229, v229, v245
	s_set_vgpr_msb 5                        ;  msbs: dst=0 src0=1 src1=1 src2=0
	v_perm_b32 v245, v11 /*v267*/, v11 /*v267*/, 0xc0c0003
	s_set_vgpr_msb 4                        ;  msbs: dst=0 src0=0 src1=1 src2=0
	v_perm_b32 v130, v219, v32 /*v288*/, 0xc0c0700
	s_set_vgpr_msb 0                        ;  msbs: dst=0 src0=0 src1=0 src2=0
	v_perm_b32 v219, v228, v219, 0x7030c0c
	s_wait_dscnt 0x1
	s_set_vgpr_msb 1                        ;  msbs: dst=0 src0=1 src1=0 src2=0
	v_perm_b32 v228, v46 /*v302*/, v228, 0x7030c0c
	s_set_vgpr_msb 0                        ;  msbs: dst=0 src0=0 src1=0 src2=0
	v_or_b32_e32 v128, v128, v243
	s_set_vgpr_msb 5                        ;  msbs: dst=0 src0=1 src1=1 src2=0
	v_perm_b32 v243, v32 /*v288*/, v32 /*v288*/, 0xc0c0003
	s_set_vgpr_msb 0                        ;  msbs: dst=0 src0=0 src1=0 src2=0
	v_or_b32_e32 v231, v231, v245
	v_perm_b32 v87, v87, v87, 0x2010003
	v_or_b32_e32 v228, v228, v130
	v_dot4_i32_iu8 v130, v220, v222, v132 neg_lo:[1,1,0]
	s_set_vgpr_msb 4                        ;  msbs: dst=0 src0=0 src1=1 src2=0
	v_dot4_i32_iu8 v147, v252, v42 /*v298*/, v147 neg_lo:[1,1,0]
	s_set_vgpr_msb 5                        ;  msbs: dst=0 src0=1 src1=1 src2=0
	v_dot4_i32_iu8 v226, v0 /*v256*/, v42 /*v298*/, v226 neg_lo:[1,1,0]
	s_set_vgpr_msb 4                        ;  msbs: dst=0 src0=0 src1=1 src2=0
	v_dot4_i32_iu8 v232, v232, v42 /*v298*/, v236 neg_lo:[1,1,0]
	s_set_vgpr_msb 0                        ;  msbs: dst=0 src0=0 src1=0 src2=0
	v_dot4_i32_iu8 v236, v141, v233, 0 neg_lo:[1,1,0]
	s_set_vgpr_msb 4                        ;  msbs: dst=0 src0=0 src1=1 src2=0
	v_dot4_i32_iu8 v252, v131, v42 /*v298*/, v134 neg_lo:[1,1,0]
	v_dot4_i32_iu8 v134, v141, v48 /*v304*/, 0 neg_lo:[1,1,0]
	;; [unrolled: 1-line block ×3, first 2 shown]
	s_set_vgpr_msb 0x44                     ;  msbs: dst=1 src0=0 src1=1 src2=0
	v_dot4_i32_iu8 v0 /*v256*/, v139, v48 /*v304*/, 0 neg_lo:[1,1,0]
	s_set_vgpr_msb 4                        ;  msbs: dst=0 src0=0 src1=1 src2=0
	v_dot4_i32_iu8 v139, v139, v54 /*v310*/, 0 neg_lo:[1,1,0]
	s_set_vgpr_msb 64                       ;  msbs: dst=1 src0=0 src1=0 src2=0
	v_dual_lshlrev_b32 v34 /*v290*/, 16, v254 :: v_dual_lshlrev_b32 v35 /*v291*/, 8, v254
	v_perm_b32 v50 /*v306*/, v225, v225, 0x2010003
	s_set_vgpr_msb 0                        ;  msbs: dst=0 src0=0 src1=0 src2=0
	v_perm_b32 v225, v225, v225, 0xc0c0302
	s_set_vgpr_msb 64                       ;  msbs: dst=1 src0=0 src1=0 src2=0
	v_perm_b32 v60 /*v316*/, v227, v227, 0xc0c0100
	s_set_vgpr_msb 4                        ;  msbs: dst=0 src0=0 src1=1 src2=0
	v_lshlrev_b32_e32 v248, 8, v2 /*v258*/
	s_set_vgpr_msb 0                        ;  msbs: dst=0 src0=0 src1=0 src2=0
	v_or_b32_e32 v219, v219, v243
	s_set_vgpr_msb 1                        ;  msbs: dst=0 src0=1 src1=0 src2=0
	v_dot4_i32_iu8 v220, v12 /*v268*/, v251, v130 neg_lo:[1,1,0]
	v_dot4_i32_iu8 v83, v12 /*v268*/, v237, v83 neg_lo:[1,1,0]
	s_set_vgpr_msb 5                        ;  msbs: dst=0 src0=1 src1=1 src2=0
	v_dot4_i32_iu8 v95, v12 /*v268*/, v52 /*v308*/, v95 neg_lo:[1,1,0]
	s_set_vgpr_msb 0                        ;  msbs: dst=0 src0=0 src1=0 src2=0
	v_dot4_i32_iu8 v132, v244, v233, 0 neg_lo:[1,1,0]
	s_set_vgpr_msb 4                        ;  msbs: dst=0 src0=0 src1=1 src2=0
	v_dot4_i32_iu8 v237, v244, v48 /*v304*/, 0 neg_lo:[1,1,0]
	v_dot4_i32_iu8 v243, v244, v54 /*v310*/, 0 neg_lo:[1,1,0]
	s_set_vgpr_msb 0                        ;  msbs: dst=0 src0=0 src1=0 src2=0
	v_dot4_i32_iu8 v229, v229, v246, v230 neg_lo:[1,1,0]
	s_set_vgpr_msb 4                        ;  msbs: dst=0 src0=0 src1=1 src2=0
	v_dot4_i32_iu8 v230, v135, v48 /*v304*/, 0 neg_lo:[1,1,0]
	s_set_vgpr_msb 0                        ;  msbs: dst=0 src0=0 src1=0 src2=0
	v_dot4_i32_iu8 v217, v228, v246, v217 neg_lo:[1,1,0]
	v_dot4_i32_iu8 v228, v128, v87, 0 neg_lo:[1,1,0]
	;; [unrolled: 1-line block ×3, first 2 shown]
	s_set_vgpr_msb 0x44                     ;  msbs: dst=1 src0=0 src1=1 src2=0
	v_dot4_i32_iu8 v29 /*v285*/, v215, v55 /*v311*/, v141 neg_lo:[1,1,0]
	s_set_vgpr_msb 0x54                     ;  msbs: dst=1 src0=0 src1=1 src2=1
	v_dot4_i32_iu8 v0 /*v256*/, v249, v49 /*v305*/, v0 /*v256*/ neg_lo:[1,1,0]
	s_set_vgpr_msb 4                        ;  msbs: dst=0 src0=0 src1=1 src2=0
	v_dot4_i32_iu8 v139, v249, v55 /*v311*/, v139 neg_lo:[1,1,0]
	s_set_vgpr_msb 0                        ;  msbs: dst=0 src0=0 src1=0 src2=0
	v_perm_b32 v141, v222, v222, 0x2010003
	v_lshlrev_b32_e32 v249, 8, v140
	v_dot4_i32_iu8 v244, v145, v233, 0 neg_lo:[1,1,0]
	s_set_vgpr_msb 4                        ;  msbs: dst=0 src0=0 src1=1 src2=0
	v_dot4_i32_iu8 v251, v145, v48 /*v304*/, 0 neg_lo:[1,1,0]
	v_dot4_i32_iu8 v145, v145, v54 /*v310*/, 0 neg_lo:[1,1,0]
	s_set_vgpr_msb 0                        ;  msbs: dst=0 src0=0 src1=0 src2=0
	v_dot4_i32_iu8 v233, v135, v233, 0 neg_lo:[1,1,0]
	s_set_vgpr_msb 4                        ;  msbs: dst=0 src0=0 src1=1 src2=0
	v_dot4_i32_iu8 v135, v135, v54 /*v310*/, 0 neg_lo:[1,1,0]
	s_set_vgpr_msb 5                        ;  msbs: dst=0 src0=1 src1=1 src2=0
	v_dot4_i32_iu8 v97, v12 /*v268*/, v60 /*v316*/, v97 neg_lo:[1,1,0]
	s_set_vgpr_msb 0x45                     ;  msbs: dst=1 src0=1 src1=1 src2=0
	v_perm_b32 v12 /*v268*/, v2 /*v258*/, v2 /*v258*/, 0xc0c0003
	s_set_vgpr_msb 64                       ;  msbs: dst=1 src0=0 src1=0 src2=0
	v_dot4_i32_iu8 v16 /*v272*/, v247, v234, v132 neg_lo:[1,1,0]
	v_dot4_i32_iu8 v27 /*v283*/, v224, v234, v244 neg_lo:[1,1,0]
	s_set_vgpr_msb 4                        ;  msbs: dst=0 src0=0 src1=1 src2=0
	v_dot4_i32_iu8 v251, v224, v49 /*v305*/, v251 neg_lo:[1,1,0]
	v_dot4_i32_iu8 v224, v224, v55 /*v311*/, v145 neg_lo:[1,1,0]
	s_set_vgpr_msb 0                        ;  msbs: dst=0 src0=0 src1=0 src2=0
	v_dot4_i32_iu8 v236, v215, v234, v236 neg_lo:[1,1,0]
	v_dot4_i32_iu8 v233, v137, v234, v233 neg_lo:[1,1,0]
	s_set_vgpr_msb 4                        ;  msbs: dst=0 src0=0 src1=1 src2=0
	v_dot4_i32_iu8 v230, v137, v49 /*v305*/, v230 neg_lo:[1,1,0]
	v_dot4_i32_iu8 v234, v137, v55 /*v311*/, v135 neg_lo:[1,1,0]
	s_set_vgpr_msb 64                       ;  msbs: dst=1 src0=0 src1=0 src2=0
	v_dot4_i32_iu8 v31 /*v287*/, v250, v141, v228 neg_lo:[1,1,0]
	s_set_vgpr_msb 4                        ;  msbs: dst=0 src0=0 src1=1 src2=0
	v_dual_lshlrev_b32 v222, 16, v14 /*v270*/ :: v_dual_lshlrev_b32 v228, 8, v14 /*v270*/
	s_set_vgpr_msb 0                        ;  msbs: dst=0 src0=0 src1=0 src2=0
	v_dot4_i32_iu8 v87, v219, v141, v87 neg_lo:[1,1,0]
	s_set_vgpr_msb 1                        ;  msbs: dst=0 src0=1 src1=0 src2=0
	v_perm_b32 v137, v34 /*v290*/, v254, 0xc0c0700
	s_set_vgpr_msb 4                        ;  msbs: dst=0 src0=0 src1=1 src2=0
	v_perm_b32 v141, v253, v35 /*v291*/, 0x7030c0c
	s_set_vgpr_msb 5                        ;  msbs: dst=0 src0=1 src1=1 src2=0
	v_perm_b32 v145, v65 /*v321*/, v2 /*v258*/, 0xc0c0700
	s_set_vgpr_msb 0x41                     ;  msbs: dst=1 src0=1 src1=0 src2=0
	v_dot4_i32_iu8 v2 /*v258*/, v24 /*v280*/, v225, v95 neg_lo:[1,1,0]
	s_set_vgpr_msb 1                        ;  msbs: dst=0 src0=1 src1=0 src2=0
	v_perm_b32 v95, v1 /*v257*/, v248, 0x7030c0c
	s_set_vgpr_msb 64                       ;  msbs: dst=1 src0=0 src1=0 src2=0
	v_perm_b32 v13 /*v269*/, v223, v223, 0xc0c0302
	s_set_vgpr_msb 0                        ;  msbs: dst=0 src0=0 src1=0 src2=0
	v_or_b32_e32 v137, v141, v137
	s_set_vgpr_msb 4                        ;  msbs: dst=0 src0=0 src1=1 src2=0
	v_perm_b32 v141, v222, v14 /*v270*/, 0xc0c0700
	s_set_vgpr_msb 64                       ;  msbs: dst=1 src0=0 src1=0 src2=0
	v_perm_b32 v43 /*v299*/, v240, v223, 0x7020100
	s_set_vgpr_msb 0                        ;  msbs: dst=0 src0=0 src1=0 src2=0
	v_or_b32_e32 v95, v95, v145
	s_set_vgpr_msb 1                        ;  msbs: dst=0 src0=1 src1=0 src2=0
	v_perm_b32 v145, v9 /*v265*/, v228, 0x7030c0c
	s_set_vgpr_msb 4                        ;  msbs: dst=0 src0=0 src1=1 src2=0
	v_dot4_i32_iu8 v246, v128, v48 /*v304*/, 0 neg_lo:[1,1,0]
	s_set_vgpr_msb 0x44                     ;  msbs: dst=1 src0=0 src1=1 src2=0
	v_dot4_i32_iu8 v11 /*v267*/, v231, v48 /*v304*/, 0 neg_lo:[1,1,0]
	s_set_vgpr_msb 4                        ;  msbs: dst=0 src0=0 src1=1 src2=0
	v_dot4_i32_iu8 v231, v231, v54 /*v310*/, 0 neg_lo:[1,1,0]
	v_lshlrev_b32_e32 v135, 8, v6 /*v262*/
	s_set_vgpr_msb 0                        ;  msbs: dst=0 src0=0 src1=0 src2=0
	v_or_b32_e32 v141, v145, v141
	s_set_vgpr_msb 64                       ;  msbs: dst=1 src0=0 src1=0 src2=0
	v_perm_b32 v40 /*v296*/, v254, v254, 0xc0c0003
	s_set_vgpr_msb 0x44                     ;  msbs: dst=1 src0=0 src1=1 src2=0
	v_dot4_i32_iu8 v28 /*v284*/, v215, v49 /*v305*/, v134 neg_lo:[1,1,0]
	v_dot4_i32_iu8 v32 /*v288*/, v250, v49 /*v305*/, v246 neg_lo:[1,1,0]
	s_set_vgpr_msb 0x54                     ;  msbs: dst=1 src0=0 src1=1 src2=1
	v_dot4_i32_iu8 v11 /*v267*/, v219, v49 /*v305*/, v11 /*v267*/ neg_lo:[1,1,0]
	s_set_vgpr_msb 4                        ;  msbs: dst=0 src0=0 src1=1 src2=0
	v_lshlrev_b32_e32 v246, 16, v18 /*v274*/
	s_set_vgpr_msb 0x44                     ;  msbs: dst=1 src0=0 src1=1 src2=0
	v_dot4_i32_iu8 v48 /*v304*/, v219, v55 /*v311*/, v231 neg_lo:[1,1,0]
	s_set_vgpr_msb 5                        ;  msbs: dst=0 src0=1 src1=1 src2=0
	v_lshlrev_b32_e32 v219, 8, v18 /*v274*/
	v_dot4_i32_iu8 v254, v24 /*v280*/, v13 /*v269*/, v220 neg_lo:[1,1,0]
	s_set_vgpr_msb 4                        ;  msbs: dst=0 src0=0 src1=1 src2=0
	v_perm_b32 v215, v221, v6 /*v262*/, 0xc0c0700
	v_dot4_i32_iu8 v141, v141, v43 /*v299*/, v252 neg_lo:[1,1,0]
	v_lshlrev_b32_e32 v252, 16, v5 /*v261*/
	s_set_vgpr_msb 1                        ;  msbs: dst=0 src0=1 src1=0 src2=0
	v_perm_b32 v220, v5 /*v261*/, v135, 0x7030c0c
	v_perm_b32 v145, v17 /*v273*/, v219, 0x7030c0c
	s_set_vgpr_msb 64                       ;  msbs: dst=1 src0=0 src1=0 src2=0
	v_perm_b32 v56 /*v312*/, v227, v227, 0x2010003
	s_set_vgpr_msb 0                        ;  msbs: dst=0 src0=0 src1=0 src2=0
	v_perm_b32 v227, v227, v227, 0xc0c0302
	s_set_vgpr_msb 4                        ;  msbs: dst=0 src0=0 src1=1 src2=0
	v_lshlrev_b32_e32 v225, 8, v22 /*v278*/
	s_set_vgpr_msb 0                        ;  msbs: dst=0 src0=0 src1=0 src2=0
	v_or_b32_e32 v215, v220, v215
	s_set_vgpr_msb 4                        ;  msbs: dst=0 src0=0 src1=1 src2=0
	v_perm_b32 v220, v246, v18 /*v274*/, 0xc0c0700
	s_set_vgpr_msb 0x44                     ;  msbs: dst=1 src0=0 src1=1 src2=0
	v_dot4_i32_iu8 v20 /*v276*/, v247, v55 /*v311*/, v243 neg_lo:[1,1,0]
	s_set_vgpr_msb 1                        ;  msbs: dst=0 src0=1 src1=0 src2=0
	v_dot4_i32_iu8 v97, v24 /*v280*/, v227, v97 neg_lo:[1,1,0]
	s_set_vgpr_msb 4                        ;  msbs: dst=0 src0=0 src1=1 src2=0
	v_dot4_i32_iu8 v244, v137, v43 /*v299*/, v147 neg_lo:[1,1,0]
	v_dot4_i32_iu8 v243, v95, v43 /*v299*/, v226 neg_lo:[1,1,0]
	s_set_vgpr_msb 0                        ;  msbs: dst=0 src0=0 src1=0 src2=0
	v_or_b32_e32 v145, v145, v220
	s_set_vgpr_msb 4                        ;  msbs: dst=0 src0=0 src1=1 src2=0
	v_lshlrev_b32_e32 v220, 16, v22 /*v278*/
	v_dual_lshlrev_b32 v226, 16, v46 /*v302*/ :: v_dual_lshlrev_b32 v227, 8, v46 /*v302*/
	v_dot4_i32_iu8 v147, v215, v43 /*v299*/, v232 neg_lo:[1,1,0]
	v_dot4_i32_iu8 v95, v145, v43 /*v299*/, v218 neg_lo:[1,1,0]
	s_delay_alu instid0(VALU_DEP_4)
	v_perm_b32 v137, v220, v22 /*v278*/, 0xc0c0700
	s_set_vgpr_msb 1                        ;  msbs: dst=0 src0=1 src1=0 src2=0
	v_perm_b32 v145, v21 /*v277*/, v225, 0x7030c0c
	s_set_vgpr_msb 4                        ;  msbs: dst=0 src0=0 src1=1 src2=0
	v_perm_b32 v215, v226, v46 /*v302*/, 0xc0c0700
	v_perm_b32 v218, v248, v65 /*v321*/, 0x7030c0c
	s_set_vgpr_msb 0                        ;  msbs: dst=0 src0=0 src1=0 src2=0
	v_perm_b32 v135, v135, v221, 0x7030c0c
	v_perm_b32 v221, v228, v222, 0x7030c0c
	v_or_b32_e32 v137, v145, v137
	s_set_vgpr_msb 1                        ;  msbs: dst=0 src0=1 src1=0 src2=0
	v_perm_b32 v145, v33 /*v289*/, v227, 0x7030c0c
	s_set_vgpr_msb 0                        ;  msbs: dst=0 src0=0 src1=0 src2=0
	v_perm_b32 v220, v225, v220, 0x7030c0c
	s_set_vgpr_msb 5                        ;  msbs: dst=0 src0=1 src1=1 src2=0
	v_perm_b32 v225, v14 /*v270*/, v14 /*v270*/, 0xc0c0003
	s_set_vgpr_msb 4                        ;  msbs: dst=0 src0=0 src1=1 src2=0
	v_dot4_i32_iu8 v128, v128, v54 /*v310*/, 0 neg_lo:[1,1,0]
	s_set_vgpr_msb 0                        ;  msbs: dst=0 src0=0 src1=0 src2=0
	v_perm_b32 v219, v219, v246, 0x7030c0c
	v_or_b32_e32 v145, v145, v215
	v_dot4_i32_iu8 v215, v137, v129, v229 neg_lo:[1,1,0]
	v_perm_b32 v222, v227, v226, 0x7030c0c
	s_set_vgpr_msb 4                        ;  msbs: dst=0 src0=0 src1=1 src2=0
	v_or_b32_e32 v226, v218, v12 /*v268*/
	s_set_vgpr_msb 5                        ;  msbs: dst=0 src0=1 src1=1 src2=0
	v_perm_b32 v218, v18 /*v274*/, v18 /*v274*/, 0xc0c0003
	s_set_vgpr_msb 0                        ;  msbs: dst=0 src0=0 src1=0 src2=0
	v_dot4_i32_iu8 v145, v145, v129, v217 neg_lo:[1,1,0]
	v_perm_b32 v129, v223, v223, 0x2010003
	s_set_vgpr_msb 5                        ;  msbs: dst=0 src0=1 src1=1 src2=0
	v_perm_b32 v223, v6 /*v262*/, v6 /*v262*/, 0xc0c0003
	v_perm_b32 v217, v35 /*v291*/, v34 /*v290*/, 0x7030c0c
	s_set_vgpr_msb 0                        ;  msbs: dst=0 src0=0 src1=0 src2=0
	v_or_b32_e32 v227, v221, v225
	s_set_vgpr_msb 5                        ;  msbs: dst=0 src0=1 src1=1 src2=0
	v_perm_b32 v221, v46 /*v302*/, v46 /*v302*/, 0xc0c0003
	s_set_vgpr_msb 64                       ;  msbs: dst=1 src0=0 src1=0 src2=0
	v_dual_lshlrev_b32 v36 /*v292*/, 16, v253 :: v_dual_lshlrev_b32 v37 /*v293*/, 8, v253
	s_set_vgpr_msb 0                        ;  msbs: dst=0 src0=0 src1=0 src2=0
	v_or_b32_e32 v223, v135, v223
	s_set_vgpr_msb 5                        ;  msbs: dst=0 src0=1 src1=1 src2=0
	v_perm_b32 v135, v22 /*v278*/, v22 /*v278*/, 0xc0c0003
	s_set_vgpr_msb 4                        ;  msbs: dst=0 src0=0 src1=1 src2=0
	v_dot4_i32_iu8 v237, v247, v49 /*v305*/, v237 neg_lo:[1,1,0]
	v_dot4_i32_iu8 v128, v250, v55 /*v311*/, v128 neg_lo:[1,1,0]
	s_set_vgpr_msb 1                        ;  msbs: dst=0 src0=1 src1=0 src2=0
	v_dot4_i32_iu8 v83, v24 /*v280*/, v238, v83 neg_lo:[1,1,0]
	s_set_vgpr_msb 4                        ;  msbs: dst=0 src0=0 src1=1 src2=0
	v_or_b32_e32 v217, v217, v40 /*v296*/
	s_set_vgpr_msb 16                       ;  msbs: dst=0 src0=0 src1=0 src2=1
	v_or_b32_e32 v229, v219, v218
	v_or_b32_e32 v232, v220, v135
	;; [unrolled: 1-line block ×3, first 2 shown]
	v_perm_b32 v196, v241, v241, 0xc0c0100
	v_perm_b32 v191, v241, v241, 0xc0c0302
	;; [unrolled: 1-line block ×4, first 2 shown]
	v_dot4_i32_iu8 v218, v226, v235, v27 /*v283*/ neg_lo:[1,1,0]
	s_set_vgpr_msb 4                        ;  msbs: dst=0 src0=0 src1=1 src2=0
	v_dot4_i32_iu8 v219, v226, v50 /*v306*/, v251 neg_lo:[1,1,0]
	v_dot4_i32_iu8 v220, v226, v56 /*v312*/, v224 neg_lo:[1,1,0]
	s_set_vgpr_msb 0                        ;  msbs: dst=0 src0=0 src1=0 src2=0
	v_dot4_i32_iu8 v225, v223, v235, v236 neg_lo:[1,1,0]
	s_set_vgpr_msb 20                       ;  msbs: dst=0 src0=0 src1=1 src2=1
	v_dot4_i32_iu8 v221, v223, v50 /*v306*/, v28 /*v284*/ neg_lo:[1,1,0]
	v_dot4_i32_iu8 v222, v223, v56 /*v312*/, v29 /*v285*/ neg_lo:[1,1,0]
	s_set_vgpr_msb 16                       ;  msbs: dst=0 src0=0 src1=0 src2=1
	v_dot4_i32_iu8 v226, v227, v235, v30 /*v286*/ neg_lo:[1,1,0]
	s_set_vgpr_msb 20                       ;  msbs: dst=0 src0=0 src1=1 src2=1
	v_dot4_i32_iu8 v223, v227, v50 /*v306*/, v0 /*v256*/ neg_lo:[1,1,0]
	s_set_vgpr_msb 4                        ;  msbs: dst=0 src0=0 src1=1 src2=0
	v_dot4_i32_iu8 v224, v227, v56 /*v312*/, v139 neg_lo:[1,1,0]
	s_set_vgpr_msb 0                        ;  msbs: dst=0 src0=0 src1=0 src2=0
	v_dot4_i32_iu8 v227, v229, v235, v233 neg_lo:[1,1,0]
	s_set_vgpr_msb 4                        ;  msbs: dst=0 src0=0 src1=1 src2=0
	v_dot4_i32_iu8 v228, v229, v50 /*v306*/, v230 neg_lo:[1,1,0]
	s_set_vgpr_msb 16                       ;  msbs: dst=0 src0=0 src1=0 src2=1
	v_dot4_i32_iu8 v230, v232, v129, v31 /*v287*/ neg_lo:[1,1,0]
	s_set_vgpr_msb 20                       ;  msbs: dst=0 src0=0 src1=1 src2=1
	v_dot4_i32_iu8 v231, v232, v50 /*v306*/, v32 /*v288*/ neg_lo:[1,1,0]
	s_set_vgpr_msb 4                        ;  msbs: dst=0 src0=0 src1=1 src2=0
	v_dot4_i32_iu8 v232, v232, v56 /*v312*/, v128 neg_lo:[1,1,0]
	s_set_vgpr_msb 0                        ;  msbs: dst=0 src0=0 src1=0 src2=0
	v_dot4_i32_iu8 v233, v238, v129, v87 neg_lo:[1,1,0]
	s_set_vgpr_msb 4                        ;  msbs: dst=0 src0=0 src1=1 src2=0
	v_lshlrev_b32_e32 v87, 8, v19 /*v275*/
	s_set_vgpr_msb 16                       ;  msbs: dst=0 src0=0 src1=0 src2=1
	v_dot4_i32_iu8 v246, v217, v235, v16 /*v272*/ neg_lo:[1,1,0]
	s_set_vgpr_msb 4                        ;  msbs: dst=0 src0=0 src1=1 src2=0
	v_dot4_i32_iu8 v247, v217, v50 /*v306*/, v237 neg_lo:[1,1,0]
	s_set_vgpr_msb 20                       ;  msbs: dst=0 src0=0 src1=1 src2=1
	v_dot4_i32_iu8 v248, v217, v56 /*v312*/, v20 /*v276*/ neg_lo:[1,1,0]
	s_set_vgpr_msb 5                        ;  msbs: dst=0 src0=1 src1=1 src2=0
	v_dot4_i32_iu8 v237, v26 /*v282*/, v61 /*v317*/, v97 neg_lo:[1,1,0]
	v_lshlrev_b32_e32 v97, 16, v23 /*v279*/
	s_set_vgpr_msb 0                        ;  msbs: dst=0 src0=0 src1=0 src2=0
	v_perm_b32 v217, v241, v241, 0x2010003
	s_set_vgpr_msb 4                        ;  msbs: dst=0 src0=0 src1=1 src2=0
	v_lshlrev_b32_e32 v241, 8, v23 /*v279*/
	s_set_vgpr_msb 1                        ;  msbs: dst=0 src0=1 src1=0 src2=0
	v_perm_b32 v128, v36 /*v292*/, v253, 0xc0c0700
	s_set_vgpr_msb 4                        ;  msbs: dst=0 src0=0 src1=1 src2=0
	v_perm_b32 v129, v255, v37 /*v293*/, 0x7030c0c
	s_set_vgpr_msb 0x44                     ;  msbs: dst=1 src0=0 src1=1 src2=0
	v_dual_lshlrev_b32 v8 /*v264*/, 8, v1 /*v257*/ :: v_dual_lshlrev_b32 v62 /*v318*/, 16, v3 /*v259*/
	v_perm_b32 v28 /*v284*/, v97, v23 /*v279*/, 0xc0c0700
	s_set_vgpr_msb 64                       ;  msbs: dst=1 src0=0 src1=0 src2=0
	v_perm_b32 v22 /*v278*/, v241, v97, 0x7030c0c
	s_set_vgpr_msb 5                        ;  msbs: dst=0 src0=1 src1=1 src2=0
	v_perm_b32 v97, v66 /*v322*/, v66 /*v322*/, 0xc0c030c
	s_set_vgpr_msb 64                       ;  msbs: dst=1 src0=0 src1=0 src2=0
	v_or_b32_e32 v66 /*v322*/, v129, v128
	s_set_vgpr_msb 0                        ;  msbs: dst=0 src0=0 src1=0 src2=0
	ds_load_2addr_b32 v[128:129], v133 offset1:7
	s_set_vgpr_msb 64                       ;  msbs: dst=1 src0=0 src1=0 src2=0
	v_perm_b32 v25 /*v281*/, v240, v240, 0xc0c0100
	v_dual_lshlrev_b32 v58 /*v314*/, 16, v255 :: v_dual_lshlrev_b32 v59 /*v315*/, 8, v255
	s_set_vgpr_msb 0x44                     ;  msbs: dst=1 src0=0 src1=1 src2=0
	v_dual_lshlrev_b32 v63 /*v319*/, 8, v3 /*v259*/ :: v_dual_lshlrev_b32 v24 /*v280*/, 8, v5 /*v261*/
	s_set_vgpr_msb 5                        ;  msbs: dst=0 src0=1 src1=1 src2=0
	v_perm_b32 v132, v3 /*v259*/, v3 /*v259*/, 0xc0c0003
	s_set_vgpr_msb 0x44                     ;  msbs: dst=1 src0=0 src1=1 src2=0
	v_dual_lshlrev_b32 v6 /*v262*/, 16, v9 /*v265*/ :: v_dual_lshlrev_b32 v49 /*v305*/, 8, v9 /*v265*/
	v_dual_lshlrev_b32 v0 /*v256*/, 16, v17 /*v273*/ :: v_dual_lshlrev_b32 v14 /*v270*/, 8, v17 /*v273*/
	s_set_vgpr_msb 4                        ;  msbs: dst=0 src0=0 src1=1 src2=0
	v_dot4_i32_iu8 v229, v229, v56 /*v312*/, v234 neg_lo:[1,1,0]
	s_set_vgpr_msb 0                        ;  msbs: dst=0 src0=0 src1=0 src2=0
	v_lshlrev_b32_e32 v139, 16, v136
	s_set_vgpr_msb 20                       ;  msbs: dst=0 src0=0 src1=1 src2=1
	v_dot4_i32_iu8 v235, v238, v56 /*v312*/, v48 /*v304*/ neg_lo:[1,1,0]
	s_set_vgpr_msb 0x45                     ;  msbs: dst=1 src0=1 src1=1 src2=0
	v_perm_b32 v56 /*v312*/, v3 /*v259*/, v8 /*v264*/, 0x7030c0c
	v_perm_b32 v55 /*v311*/, v62 /*v318*/, v3 /*v259*/, 0xc0c0700
	v_lshlrev_b32_e32 v3 /*v259*/, 16, v33 /*v289*/
	s_set_vgpr_msb 64                       ;  msbs: dst=1 src0=0 src1=0 src2=0
	v_perm_b32 v68 /*v324*/, v253, v253, 0xc0c0003
	v_perm_b32 v70 /*v326*/, v146, v146, 0xc0c0003
	s_set_vgpr_msb 0                        ;  msbs: dst=0 src0=0 src1=0 src2=0
	v_lshlrev_b32_e32 v130, 16, v144
	s_set_vgpr_msb 5                        ;  msbs: dst=0 src0=1 src1=1 src2=0
	v_perm_b32 v131, v1 /*v257*/, v1 /*v257*/, 0xc0c0003
	s_set_vgpr_msb 0x44                     ;  msbs: dst=1 src0=0 src1=1 src2=0
	v_dual_lshlrev_b32 v71 /*v327*/, 16, v7 /*v263*/ :: v_dual_lshlrev_b32 v73 /*v329*/, 8, v7 /*v263*/
	s_set_vgpr_msb 0                        ;  msbs: dst=0 src0=0 src1=0 src2=0
	v_lshlrev_b32_e32 v137, 16, v140
	s_set_vgpr_msb 0x45                     ;  msbs: dst=1 src0=1 src1=1 src2=0
	v_perm_b32 v41 /*v297*/, v5 /*v261*/, v5 /*v261*/, 0xc0c0003
	v_dual_lshlrev_b32 v74 /*v330*/, 16, v15 /*v271*/ :: v_dual_lshlrev_b32 v75 /*v331*/, 8, v15 /*v271*/
	s_set_vgpr_msb 0                        ;  msbs: dst=0 src0=0 src1=0 src2=0
	v_lshlrev_b32_e32 v135, 16, v138
	s_set_vgpr_msb 0x45                     ;  msbs: dst=1 src0=1 src1=1 src2=0
	v_perm_b32 v38 /*v294*/, v9 /*v265*/, v9 /*v265*/, 0xc0c0003
	v_lshlrev_b32_e32 v76 /*v332*/, 16, v19 /*v275*/
	s_set_vgpr_msb 20                       ;  msbs: dst=0 src0=0 src1=1 src2=1
	v_dot4_i32_iu8 v234, v238, v50 /*v306*/, v11 /*v267*/ neg_lo:[1,1,0]
	s_set_vgpr_msb 0                        ;  msbs: dst=0 src0=0 src1=0 src2=0
	v_lshlrev_b32_e32 v251, 8, v136
	s_set_vgpr_msb 5                        ;  msbs: dst=0 src0=1 src1=1 src2=0
	v_dot4_i32_iu8 v238, v26 /*v282*/, v25 /*v281*/, v254 neg_lo:[1,1,0]
	s_set_vgpr_msb 1                        ;  msbs: dst=0 src0=1 src1=0 src2=0
	v_dot4_i32_iu8 v239, v26 /*v282*/, v239, v83 neg_lo:[1,1,0]
	s_set_vgpr_msb 21                       ;  msbs: dst=0 src0=1 src1=1 src2=1
	v_lshlrev_b32_e32 v254, 16, v21 /*v277*/
	v_dot4_i32_iu8 v236, v26 /*v282*/, v53 /*v309*/, v2 /*v258*/ neg_lo:[1,1,0]
	s_set_vgpr_msb 0x44                     ;  msbs: dst=1 src0=0 src1=1 src2=0
	v_lshlrev_b32_e32 v2 /*v258*/, 8, v21 /*v277*/
	s_set_vgpr_msb 5                        ;  msbs: dst=0 src0=1 src1=1 src2=0
	v_or_b32_e32 v83, v44 /*v300*/, v45 /*v301*/
	v_perm_b32 v253, v37 /*v293*/, v36 /*v292*/, 0x7030c0c
	s_set_vgpr_msb 0x45                     ;  msbs: dst=1 src0=1 src1=1 src2=0
	v_perm_b32 v54 /*v310*/, v4 /*v260*/, v1 /*v257*/, 0xc0c0700
	v_perm_b32 v61 /*v317*/, v8 /*v264*/, v4 /*v260*/, 0x7030c0c
	s_set_vgpr_msb 0x44                     ;  msbs: dst=1 src0=0 src1=1 src2=0
	v_perm_b32 v50 /*v306*/, v252, v5 /*v261*/, 0xc0c0700
	s_set_vgpr_msb 0x41                     ;  msbs: dst=1 src0=1 src1=0 src2=0
	v_perm_b32 v57 /*v313*/, v24 /*v280*/, v252, 0x7030c0c
	s_set_vgpr_msb 0x45                     ;  msbs: dst=1 src0=1 src1=1 src2=0
	v_perm_b32 v52 /*v308*/, v7 /*v263*/, v24 /*v280*/, 0x7030c0c
	v_lshlrev_b32_e32 v4 /*v260*/, 8, v33 /*v289*/
	v_perm_b32 v48 /*v304*/, v6 /*v262*/, v9 /*v265*/, 0xc0c0700
	v_lshlrev_b32_e32 v5 /*v261*/, 16, v47 /*v303*/
	;; [unrolled: 2-line block ×3, first 2 shown]
	v_perm_b32 v36 /*v292*/, v0 /*v256*/, v17 /*v273*/, 0xc0c0700
	v_dual_lshlrev_b32 v24 /*v280*/, 16, v10 /*v266*/ :: v_dual_lshlrev_b32 v77 /*v333*/, 8, v10 /*v266*/
	v_perm_b32 v45 /*v301*/, v14 /*v270*/, v0 /*v256*/, 0x7030c0c
	v_perm_b32 v0 /*v256*/, v33 /*v289*/, v33 /*v289*/, 0xc0c0003
	;; [unrolled: 1-line block ×3, first 2 shown]
	s_set_vgpr_msb 64                       ;  msbs: dst=1 src0=0 src1=0 src2=0
	v_perm_b32 v46 /*v302*/, v136, v136, 0xc0c0003
	s_set_vgpr_msb 0x44                     ;  msbs: dst=1 src0=0 src1=1 src2=0
	v_perm_b32 v65 /*v321*/, v146, v59 /*v315*/, 0x7030c0c
	s_set_vgpr_msb 0x41                     ;  msbs: dst=1 src0=1 src1=0 src2=0
	v_perm_b32 v16 /*v272*/, v67 /*v323*/, v146, 0xc0c0700
	s_wait_dscnt 0x1
	v_lshlrev_b32_e32 v1 /*v257*/, 16, v143
	s_set_vgpr_msb 0                        ;  msbs: dst=0 src0=0 src1=0 src2=0
	v_perm_b32 v146, v142, v81, 0x4020c00
	s_set_vgpr_msb 64                       ;  msbs: dst=1 src0=0 src1=0 src2=0
	v_perm_b32 v33 /*v289*/, v136, v87, 0x7030c0c
	v_perm_b32 v9 /*v265*/, v139, v136, 0xc0c0700
	s_set_vgpr_msb 0                        ;  msbs: dst=0 src0=0 src1=0 src2=0
	v_perm_b32 v136, v81, v81, 0xc0c010c
	s_set_vgpr_msb 64                       ;  msbs: dst=1 src0=0 src1=0 src2=0
	v_perm_b32 v69 /*v325*/, v255, v255, 0xc0c0003
	s_set_vgpr_msb 0                        ;  msbs: dst=0 src0=0 src1=0 src2=0
	v_lshlrev_b32_e32 v245, 8, v144
	v_perm_b32 v134, v144, v144, 0xc0c0003
	s_set_vgpr_msb 0x45                     ;  msbs: dst=1 src0=1 src1=1 src2=0
	v_perm_b32 v42 /*v298*/, v7 /*v263*/, v7 /*v263*/, 0xc0c0003
	s_set_vgpr_msb 64                       ;  msbs: dst=1 src0=0 src1=0 src2=0
	v_perm_b32 v39 /*v295*/, v140, v140, 0xc0c0003
	s_set_vgpr_msb 0                        ;  msbs: dst=0 src0=0 src1=0 src2=0
	v_lshlrev_b32_e32 v250, 8, v138
	s_set_vgpr_msb 0x45                     ;  msbs: dst=1 src0=1 src1=1 src2=0
	v_perm_b32 v40 /*v296*/, v15 /*v271*/, v15 /*v271*/, 0xc0c0003
	s_set_vgpr_msb 64                       ;  msbs: dst=1 src0=0 src1=0 src2=0
	v_perm_b32 v43 /*v299*/, v138, v138, 0xc0c0003
	s_set_vgpr_msb 0x45                     ;  msbs: dst=1 src0=1 src1=1 src2=0
	v_perm_b32 v34 /*v290*/, v17 /*v273*/, v17 /*v273*/, 0xc0c0003
	v_perm_b32 v35 /*v291*/, v19 /*v275*/, v19 /*v275*/, 0xc0c0003
	s_set_vgpr_msb 0x41                     ;  msbs: dst=1 src0=1 src1=0 src2=0
	v_dual_lshlrev_b32 v25 /*v281*/, 16, v242 :: v_dual_lshlrev_b32 v26 /*v282*/, 8, v242
	v_perm_b32 v60 /*v316*/, v58 /*v314*/, v255, 0xc0c0700
	s_set_vgpr_msb 0x45                     ;  msbs: dst=1 src0=1 src1=1 src2=0
	v_perm_b32 v13 /*v269*/, v21 /*v277*/, v21 /*v277*/, 0xc0c0003
	v_perm_b32 v11 /*v267*/, v23 /*v279*/, v23 /*v279*/, 0xc0c0003
	v_perm_b32 v51 /*v307*/, v71 /*v327*/, v7 /*v263*/, 0xc0c0700
	v_perm_b32 v49 /*v305*/, v15 /*v271*/, v49 /*v305*/, 0x7030c0c
	v_perm_b32 v44 /*v300*/, v74 /*v330*/, v15 /*v271*/, 0xc0c0700
	v_perm_b32 v37 /*v293*/, v19 /*v275*/, v14 /*v270*/, 0x7030c0c
	v_perm_b32 v32 /*v288*/, v76 /*v332*/, v19 /*v275*/, 0xc0c0700
	s_set_vgpr_msb 0x44                     ;  msbs: dst=1 src0=0 src1=1 src2=0
	v_perm_b32 v30 /*v286*/, v254, v21 /*v277*/, 0xc0c0700
	s_set_vgpr_msb 0x45                     ;  msbs: dst=1 src0=1 src1=1 src2=0
	v_perm_b32 v31 /*v287*/, v23 /*v279*/, v2 /*v258*/, 0x7030c0c
	s_set_vgpr_msb 64                       ;  msbs: dst=1 src0=0 src1=0 src2=0
	v_perm_b32 v29 /*v285*/, v242, v241, 0x7030c0c
	s_set_vgpr_msb 0x41                     ;  msbs: dst=1 src0=1 src1=0 src2=0
	v_perm_b32 v23 /*v279*/, v2 /*v258*/, v254, 0x7030c0c
	s_set_vgpr_msb 5                        ;  msbs: dst=0 src0=1 src1=1 src2=0
	v_perm_b32 v255, v47 /*v303*/, v47 /*v303*/, 0xc0c0003
	v_perm_b32 v254, v10 /*v266*/, v10 /*v266*/, 0xc0c0003
	s_set_vgpr_msb 0x45                     ;  msbs: dst=1 src0=1 src1=1 src2=0
	v_perm_b32 v21 /*v277*/, v47 /*v303*/, v4 /*v260*/, 0x7030c0c
	v_perm_b32 v18 /*v274*/, v5 /*v261*/, v47 /*v303*/, 0xc0c0700
	;; [unrolled: 1-line block ×4, first 2 shown]
	s_set_vgpr_msb 5                        ;  msbs: dst=0 src0=1 src1=1 src2=0
	v_perm_b32 v241, v59 /*v315*/, v58 /*v314*/, 0x7030c0c
	s_set_vgpr_msb 0x45                     ;  msbs: dst=1 src0=1 src1=1 src2=0
	v_perm_b32 v64 /*v320*/, v63 /*v319*/, v62 /*v318*/, 0x7030c0c
	s_set_vgpr_msb 0x44                     ;  msbs: dst=1 src0=0 src1=1 src2=0
	v_perm_b32 v63 /*v319*/, v144, v63 /*v319*/, 0x7030c0c
	s_set_vgpr_msb 64                       ;  msbs: dst=1 src0=0 src1=0 src2=0
	v_perm_b32 v15 /*v271*/, v130, v144, 0xc0c0700
	v_lshlrev_b32_e32 v2 /*v258*/, 8, v143
	s_set_vgpr_msb 0x44                     ;  msbs: dst=1 src0=0 src1=1 src2=0
	v_perm_b32 v59 /*v315*/, v140, v73 /*v329*/, 0x7030c0c
	s_set_vgpr_msb 64                       ;  msbs: dst=1 src0=0 src1=0 src2=0
	v_perm_b32 v14 /*v270*/, v137, v140, 0xc0c0700
	s_set_vgpr_msb 0x44                     ;  msbs: dst=1 src0=0 src1=1 src2=0
	v_perm_b32 v47 /*v303*/, v138, v75 /*v331*/, 0x7030c0c
	s_set_vgpr_msb 64                       ;  msbs: dst=1 src0=0 src1=0 src2=0
	v_perm_b32 v10 /*v266*/, v135, v138, 0xc0c0700
	s_set_vgpr_msb 0                        ;  msbs: dst=0 src0=0 src1=0 src2=0
	v_perm_b32 v144, v142, v142, 0xc030201
	s_set_vgpr_msb 4                        ;  msbs: dst=0 src0=0 src1=1 src2=0
	v_perm_b32 v138, v87, v76 /*v332*/, 0x7030c0c
	s_set_vgpr_msb 0                        ;  msbs: dst=0 src0=0 src1=0 src2=0
	v_perm_b32 v252, v143, v143, 0xc0c0003
	s_set_vgpr_msb 0x45                     ;  msbs: dst=1 src0=1 src1=1 src2=0
	v_perm_b32 v8 /*v264*/, v4 /*v260*/, v3 /*v259*/, 0x7030c0c
	s_set_vgpr_msb 0                        ;  msbs: dst=0 src0=0 src1=0 src2=0
	v_perm_b32 v140, v142, v142, 0xc0c0100
	s_set_vgpr_msb 0x45                     ;  msbs: dst=1 src0=1 src1=1 src2=0
	v_perm_b32 v7 /*v263*/, v6 /*v262*/, v5 /*v261*/, 0x7030c0c
	;; [unrolled: 4-line block ×3, first 2 shown]
	s_set_vgpr_msb 0x44                     ;  msbs: dst=1 src0=0 src1=1 src2=0
	v_perm_b32 v24 /*v280*/, v143, v77 /*v333*/, 0x7030c0c
	s_set_vgpr_msb 0x41                     ;  msbs: dst=1 src0=1 src1=0 src2=0
	v_perm_b32 v5 /*v261*/, v1 /*v257*/, v143, 0xc0c0700
	s_set_vgpr_msb 0                        ;  msbs: dst=0 src0=0 src1=0 src2=0
	v_perm_b32 v142, v116, v81, 0x4020c00
	v_or_b32_e32 v143, v146, v136
	s_set_vgpr_msb 64                       ;  msbs: dst=1 src0=0 src1=0 src2=0
	v_dual_lshlrev_b32 v3 /*v259*/, 16, v99 :: v_dual_lshlrev_b32 v4 /*v260*/, 8, v99
	s_set_vgpr_msb 4                        ;  msbs: dst=0 src0=0 src1=1 src2=0
	v_perm_b32 v146, v216, v67 /*v323*/, 0x7030c0c
	s_set_vgpr_msb 64                       ;  msbs: dst=1 src0=0 src1=0 src2=0
	v_perm_b32 v12 /*v268*/, v242, v242, 0xc0c0003
	s_set_vgpr_msb 0x41                     ;  msbs: dst=1 src0=1 src1=0 src2=0
	v_perm_b32 v27 /*v283*/, v25 /*v281*/, v242, 0xc0c0700
	s_set_vgpr_msb 0                        ;  msbs: dst=0 src0=0 src1=0 src2=0
	v_or_b32_e32 v142, v142, v136
	s_set_vgpr_msb 4                        ;  msbs: dst=0 src0=0 src1=1 src2=0
	v_or_b32_e32 v242, v241, v69 /*v325*/
	s_set_vgpr_msb 0                        ;  msbs: dst=0 src0=0 src1=0 src2=0
	v_perm_b32 v136, v99, v99, 0xc0c0003
	s_set_vgpr_msb 4                        ;  msbs: dst=0 src0=0 src1=1 src2=0
	v_or_b32_e32 v241, v146, v70 /*v326*/
	s_set_vgpr_msb 5                        ;  msbs: dst=0 src0=1 src1=1 src2=0
	v_perm_b32 v146, v4 /*v260*/, v3 /*v259*/, 0x7030c0c
	s_set_vgpr_msb 0x45                     ;  msbs: dst=1 src0=1 src1=1 src2=0
	v_or_b32_e32 v60 /*v316*/, v65 /*v321*/, v60 /*v316*/
	s_wait_dscnt 0x0
	s_set_vgpr_msb 0x41                     ;  msbs: dst=1 src0=1 src1=0 src2=0
	v_dual_lshlrev_b32 v65 /*v321*/, 16, v129 :: v_dual_bitop2_b32 v61 /*v317*/, v61 /*v317*/, v131 bitop3:0x54
	v_lshlrev_b32_e32 v67 /*v323*/, 8, v129
	s_set_vgpr_msb 0                        ;  msbs: dst=0 src0=0 src1=0 src2=0
	v_perm_b32 v130, v245, v130, 0x7030c0c
	s_set_vgpr_msb 4                        ;  msbs: dst=0 src0=0 src1=1 src2=0
	v_or_b32_e32 v253, v253, v68 /*v324*/
	s_set_vgpr_msb 0                        ;  msbs: dst=0 src0=0 src1=0 src2=0
	v_or_b32_e32 v146, v146, v136
	v_add_nc_u32_e32 v136, 0xc00, v182
	v_perm_b32 v131, v129, v129, 0xc0c0003
	s_set_vgpr_msb 64                       ;  msbs: dst=1 src0=0 src1=0 src2=0
	v_or_b32_e32 v68 /*v324*/, v130, v134
	s_set_vgpr_msb 5                        ;  msbs: dst=0 src0=1 src1=1 src2=0
	v_perm_b32 v130, v67 /*v323*/, v65 /*v321*/, 0x7030c0c
	s_set_vgpr_msb 0x45                     ;  msbs: dst=1 src0=1 src1=1 src2=0
	v_or_b32_e32 v54 /*v310*/, v56 /*v312*/, v54 /*v310*/
	v_or_b32_e32 v41 /*v297*/, v57 /*v313*/, v41 /*v297*/
	s_set_vgpr_msb 0                        ;  msbs: dst=0 src0=0 src1=0 src2=0
	v_perm_b32 v134, v249, v137, 0x7030c0c
	s_set_vgpr_msb 0x45                     ;  msbs: dst=1 src0=1 src1=1 src2=0
	v_perm_b32 v62 /*v318*/, v73 /*v329*/, v71 /*v327*/, 0x7030c0c
	s_set_vgpr_msb 64                       ;  msbs: dst=1 src0=0 src1=0 src2=0
	v_or_b32_e32 v69 /*v325*/, v130, v131
	s_set_vgpr_msb 0                        ;  msbs: dst=0 src0=0 src1=0 src2=0
	ds_load_2addr_b32 v[130:131], v136 offset1:7
	s_set_vgpr_msb 0x41                     ;  msbs: dst=1 src0=1 src1=0 src2=0
	v_or_b32_e32 v64 /*v320*/, v64 /*v320*/, v132
	s_set_vgpr_msb 0                        ;  msbs: dst=0 src0=0 src1=0 src2=0
	v_add_nc_u32_e32 v132, 0x1000, v182
	s_set_vgpr_msb 0x44                     ;  msbs: dst=1 src0=0 src1=1 src2=0
	v_or_b32_e32 v39 /*v295*/, v134, v39 /*v295*/
	s_set_vgpr_msb 0x45                     ;  msbs: dst=1 src0=1 src1=1 src2=0
	v_or_b32_e32 v42 /*v298*/, v62 /*v318*/, v42 /*v298*/
	v_or_b32_e32 v50 /*v306*/, v52 /*v308*/, v50 /*v306*/
	;; [unrolled: 1-line block ×3, first 2 shown]
	s_set_vgpr_msb 0                        ;  msbs: dst=0 src0=0 src1=0 src2=0
	v_perm_b32 v135, v250, v135, 0x7030c0c
	s_set_vgpr_msb 0x45                     ;  msbs: dst=1 src0=1 src1=1 src2=0
	v_perm_b32 v58 /*v314*/, v75 /*v331*/, v74 /*v330*/, 0x7030c0c
	v_or_b32_e32 v34 /*v290*/, v45 /*v301*/, v34 /*v290*/
	s_set_vgpr_msb 0x44                     ;  msbs: dst=1 src0=0 src1=1 src2=0
	v_or_b32_e32 v35 /*v291*/, v138, v35 /*v291*/
	s_set_vgpr_msb 0                        ;  msbs: dst=0 src0=0 src1=0 src2=0
	v_perm_b32 v139, v251, v139, 0x7030c0c
	s_set_vgpr_msb 0x44                     ;  msbs: dst=1 src0=0 src1=1 src2=0
	v_or_b32_e32 v43 /*v299*/, v135, v43 /*v299*/
	s_set_vgpr_msb 0x45                     ;  msbs: dst=1 src0=1 src1=1 src2=0
	v_or_b32_e32 v40 /*v296*/, v58 /*v314*/, v40 /*v296*/
	s_set_vgpr_msb 0                        ;  msbs: dst=0 src0=0 src1=0 src2=0
	v_perm_b32 v202, v240, v240, 0xc0c0302
	v_perm_b32 v240, v240, v240, 0x2010003
	s_set_vgpr_msb 0x44                     ;  msbs: dst=1 src0=0 src1=1 src2=0
	v_or_b32_e32 v46 /*v302*/, v139, v46 /*v302*/
	s_set_vgpr_msb 0x45                     ;  msbs: dst=1 src0=1 src1=1 src2=0
	v_or_b32_e32 v48 /*v304*/, v49 /*v305*/, v48 /*v304*/
	v_or_b32_e32 v30 /*v286*/, v31 /*v287*/, v30 /*v286*/
	;; [unrolled: 1-line block ×3, first 2 shown]
	s_wait_dscnt 0x0
	s_set_vgpr_msb 64                       ;  msbs: dst=1 src0=0 src1=0 src2=0
	v_dual_lshlrev_b32 v56 /*v312*/, 16, v131 :: v_dual_lshlrev_b32 v57 /*v313*/, 8, v131
	s_set_vgpr_msb 0                        ;  msbs: dst=0 src0=0 src1=0 src2=0
	v_perm_b32 v133, v131, v131, 0xc0c0003
	s_set_vgpr_msb 0x45                     ;  msbs: dst=1 src0=1 src1=1 src2=0
	v_or_b32_e32 v20 /*v276*/, v21 /*v277*/, v20 /*v276*/
	v_or_b32_e32 v0 /*v256*/, v8 /*v264*/, v0 /*v256*/
	;; [unrolled: 1-line block ×3, first 2 shown]
	s_set_vgpr_msb 5                        ;  msbs: dst=0 src0=1 src1=1 src2=0
	v_perm_b32 v134, v57 /*v313*/, v56 /*v312*/, 0x7030c0c
	s_set_vgpr_msb 0x45                     ;  msbs: dst=1 src0=1 src1=1 src2=0
	v_or_b32_e32 v51 /*v307*/, v59 /*v315*/, v51 /*v307*/
	v_or_b32_e32 v32 /*v288*/, v33 /*v289*/, v32 /*v288*/
	;; [unrolled: 1-line block ×3, first 2 shown]
	v_perm_b32 v25 /*v281*/, v26 /*v282*/, v25 /*v281*/, 0x7030c0c
	s_set_vgpr_msb 64                       ;  msbs: dst=1 src0=0 src1=0 src2=0
	v_or_b32_e32 v62 /*v318*/, v134, v133
	s_set_vgpr_msb 0                        ;  msbs: dst=0 src0=0 src1=0 src2=0
	ds_load_2addr_b32 v[132:133], v132 offset1:7
	v_add_nc_u32_e32 v134, 0x1400, v182
	s_set_vgpr_msb 0x44                     ;  msbs: dst=1 src0=0 src1=1 src2=0
	v_perm_b32 v26 /*v282*/, v117, v26 /*v282*/, 0x7030c0c
	s_set_vgpr_msb 0x45                     ;  msbs: dst=1 src0=1 src1=1 src2=0
	v_or_b32_e32 v11 /*v267*/, v22 /*v278*/, v11 /*v267*/
	s_set_vgpr_msb 64                       ;  msbs: dst=1 src0=0 src1=0 src2=0
	v_lshlrev_b32_e32 v21 /*v277*/, 16, v117
	s_set_vgpr_msb 0x45                     ;  msbs: dst=1 src0=1 src1=1 src2=0
	v_or_b32_e32 v18 /*v274*/, v19 /*v275*/, v18 /*v274*/
	s_set_vgpr_msb 0                        ;  msbs: dst=0 src0=0 src1=0 src2=0
	v_perm_b32 v216, v99, v216, 0x7030c0c
	v_perm_b32 v249, v131, v249, 0x7030c0c
	s_set_vgpr_msb 1                        ;  msbs: dst=0 src0=1 src1=0 src2=0
	v_or_b32_e32 v255, v7 /*v263*/, v255
	v_perm_b32 v99, v3 /*v259*/, v99, 0xc0c0700
	s_set_vgpr_msb 0x44                     ;  msbs: dst=1 src0=0 src1=1 src2=0
	v_perm_b32 v3 /*v259*/, v98, v4 /*v260*/, 0x4030c0c
	s_set_vgpr_msb 1                        ;  msbs: dst=0 src0=1 src1=0 src2=0
	v_dot4_i32_iu8 v244, v66 /*v322*/, v212, v244 neg_lo:[1,1,0]
	s_set_vgpr_msb 0                        ;  msbs: dst=0 src0=0 src1=0 src2=0
	v_dot4_i32_iu8 v246, v253, v197, v246 neg_lo:[1,1,0]
	v_dot4_i32_iu8 v247, v253, v210, v247 neg_lo:[1,1,0]
	;; [unrolled: 1-line block ×3, first 2 shown]
	s_set_vgpr_msb 1                        ;  msbs: dst=0 src0=1 src1=0 src2=0
	v_dot4_i32_iu8 v243, v54 /*v310*/, v212, v243 neg_lo:[1,1,0]
	v_dot4_i32_iu8 v218, v61 /*v317*/, v197, v218 neg_lo:[1,1,0]
	;; [unrolled: 1-line block ×5, first 2 shown]
	s_wait_dscnt 0x0
	s_set_vgpr_msb 64                       ;  msbs: dst=1 src0=0 src1=0 src2=0
	v_dual_lshlrev_b32 v52 /*v308*/, 16, v133 :: v_dual_lshlrev_b32 v53 /*v309*/, 8, v133
	s_set_vgpr_msb 0                        ;  msbs: dst=0 src0=0 src1=0 src2=0
	v_perm_b32 v136, v133, v133, 0xc0c0003
	v_perm_b32 v250, v133, v250, 0x7030c0c
	s_set_vgpr_msb 1                        ;  msbs: dst=0 src0=1 src1=0 src2=0
	v_dot4_i32_iu8 v147, v50 /*v306*/, v212, v147 neg_lo:[1,1,0]
	v_dot4_i32_iu8 v221, v41 /*v297*/, v210, v221 neg_lo:[1,1,0]
	s_set_vgpr_msb 5                        ;  msbs: dst=0 src0=1 src1=1 src2=0
	v_perm_b32 v135, v53 /*v309*/, v52 /*v308*/, 0x7030c0c
	s_set_vgpr_msb 1                        ;  msbs: dst=0 src0=1 src1=0 src2=0
	v_dot4_i32_iu8 v222, v41 /*v297*/, v214, v222 neg_lo:[1,1,0]
	v_dot4_i32_iu8 v226, v38 /*v294*/, v197, v226 neg_lo:[1,1,0]
	;; [unrolled: 1-line block ×4, first 2 shown]
	s_set_vgpr_msb 64                       ;  msbs: dst=1 src0=0 src1=0 src2=0
	v_or_b32_e32 v58 /*v314*/, v135, v136
	s_set_vgpr_msb 0                        ;  msbs: dst=0 src0=0 src1=0 src2=0
	ds_load_2addr_b32 v[134:135], v134 offset1:7
	ds_load_2addr_b32 v[136:137], v211 offset1:1
	s_set_vgpr_msb 5                        ;  msbs: dst=0 src0=1 src1=1 src2=0
	v_or_b32_e32 v211, v47 /*v303*/, v44 /*v300*/
	s_set_vgpr_msb 1                        ;  msbs: dst=0 src0=1 src1=0 src2=0
	v_dot4_i32_iu8 v224, v38 /*v294*/, v214, v224 neg_lo:[1,1,0]
	v_dot4_i32_iu8 v197, v34 /*v290*/, v197, v227 neg_lo:[1,1,0]
	;; [unrolled: 1-line block ×6, first 2 shown]
	s_set_vgpr_msb 64                       ;  msbs: dst=1 src0=0 src1=0 src2=0
	v_perm_b32 v31 /*v287*/, v81, v80, 0x7020100
	s_set_vgpr_msb 0x45                     ;  msbs: dst=1 src0=1 src1=1 src2=0
	v_or_b32_e32 v26 /*v282*/, v26 /*v282*/, v27 /*v283*/
	v_or_b32_e32 v12 /*v268*/, v25 /*v281*/, v12 /*v268*/
	s_set_vgpr_msb 64                       ;  msbs: dst=1 src0=0 src1=0 src2=0
	v_perm_b32 v19 /*v275*/, v84, v84, 0x2010003
	s_set_vgpr_msb 0x45                     ;  msbs: dst=1 src0=1 src1=1 src2=0
	v_or_b32_e32 v17 /*v273*/, v24 /*v280*/, v17 /*v273*/
	s_set_vgpr_msb 64                       ;  msbs: dst=1 src0=0 src1=0 src2=0
	v_perm_b32 v24 /*v280*/, v85, v84, 0x7020100
	s_set_vgpr_msb 0                        ;  msbs: dst=0 src0=0 src1=0 src2=0
	v_perm_b32 v245, v129, v245, 0x7030c0c
	s_set_vgpr_msb 4                        ;  msbs: dst=0 src0=0 src1=1 src2=0
	v_or_b32_e32 v249, v249, v14 /*v270*/
	s_set_vgpr_msb 1                        ;  msbs: dst=0 src0=1 src1=0 src2=0
	v_perm_b32 v131, v56 /*v312*/, v131, 0xc0c0700
	s_set_vgpr_msb 4                        ;  msbs: dst=0 src0=0 src1=1 src2=0
	v_or_b32_e32 v250, v250, v10 /*v266*/
	s_set_vgpr_msb 1                        ;  msbs: dst=0 src0=1 src1=0 src2=0
	v_perm_b32 v133, v52 /*v308*/, v133, 0xc0c0700
	s_wait_dscnt 0x1
	s_set_vgpr_msb 64                       ;  msbs: dst=1 src0=0 src1=0 src2=0
	v_lshlrev_b32_e32 v44 /*v300*/, 16, v135
	s_set_vgpr_msb 0                        ;  msbs: dst=0 src0=0 src1=0 src2=0
	v_perm_b32 v138, v135, v135, 0xc0c0003
	s_set_vgpr_msb 64                       ;  msbs: dst=1 src0=0 src1=0 src2=0
	v_lshlrev_b32_e32 v45 /*v301*/, 8, v135
	s_set_vgpr_msb 0                        ;  msbs: dst=0 src0=0 src1=0 src2=0
	v_perm_b32 v251, v135, v251, 0x7030c0c
	s_wait_dscnt 0x0
	s_set_vgpr_msb 64                       ;  msbs: dst=1 src0=0 src1=0 src2=0
	v_perm_b32 v27 /*v283*/, v136, v136, 0x2010003
	s_set_vgpr_msb 1                        ;  msbs: dst=0 src0=1 src1=0 src2=0
	v_perm_b32 v135, v44 /*v300*/, v135, 0xc0c0700
	s_set_vgpr_msb 64                       ;  msbs: dst=1 src0=0 src1=0 src2=0
	v_perm_b32 v8 /*v264*/, v117, v117, 0xc0c0003
	s_set_vgpr_msb 5                        ;  msbs: dst=0 src0=1 src1=1 src2=0
	v_perm_b32 v139, v45 /*v301*/, v44 /*v300*/, 0x7030c0c
	s_set_vgpr_msb 4                        ;  msbs: dst=0 src0=0 src1=1 src2=0
	v_or_b32_e32 v251, v251, v9 /*v265*/
	s_set_vgpr_msb 64                       ;  msbs: dst=1 src0=0 src1=0 src2=0
	v_lshlrev_b32_e32 v9 /*v265*/, 8, v117
	s_set_vgpr_msb 1                        ;  msbs: dst=0 src0=1 src1=0 src2=0
	v_or_b32_e32 v254, v6 /*v262*/, v254
	s_set_vgpr_msb 0x45                     ;  msbs: dst=1 src0=1 src1=1 src2=0
	v_perm_b32 v1 /*v257*/, v2 /*v258*/, v1 /*v257*/, 0x7030c0c
	s_set_vgpr_msb 64                       ;  msbs: dst=1 src0=0 src1=0 src2=0
	v_or_b32_e32 v47 /*v303*/, v139, v138
	s_set_vgpr_msb 0                        ;  msbs: dst=0 src0=0 src1=0 src2=0
	ds_load_2addr_b32 v[138:139], v208 offset1:1
	s_set_vgpr_msb 5                        ;  msbs: dst=0 src0=1 src1=1 src2=0
	v_or_b32_e32 v208, v37 /*v293*/, v36 /*v292*/
	s_set_vgpr_msb 64                       ;  msbs: dst=1 src0=0 src1=0 src2=0
	v_perm_b32 v36 /*v292*/, v80, v80, 0x2010003
	s_set_vgpr_msb 0x44                     ;  msbs: dst=1 src0=0 src1=1 src2=0
	v_perm_b32 v37 /*v293*/, v130, v57 /*v313*/, 0x4030c0c
	v_perm_b32 v44 /*v300*/, v134, v45 /*v301*/, 0x4030c0c
	;; [unrolled: 1-line block ×3, first 2 shown]
	s_set_vgpr_msb 0                        ;  msbs: dst=0 src0=0 src1=0 src2=0
	v_dot4_i32_iu8 v95, v208, v212, v95 neg_lo:[1,1,0]
	s_set_vgpr_msb 1                        ;  msbs: dst=0 src0=1 src1=0 src2=0
	v_dot4_i32_iu8 v208, v34 /*v290*/, v210, v228 neg_lo:[1,1,0]
	v_dot4_i32_iu8 v212, v34 /*v290*/, v214, v229 neg_lo:[1,1,0]
	;; [unrolled: 1-line block ×6, first 2 shown]
	s_set_vgpr_msb 0x44                     ;  msbs: dst=1 src0=0 src1=1 src2=0
	v_perm_b32 v2 /*v258*/, v82, v2 /*v258*/, 0x4030c0c
	s_set_vgpr_msb 1                        ;  msbs: dst=0 src0=1 src1=0 src2=0
	v_or_b32_e32 v99, v3 /*v259*/, v99
	v_perm_b32 v117, v21 /*v277*/, v117, 0xc0c0700
	s_set_vgpr_msb 0x45                     ;  msbs: dst=1 src0=1 src1=1 src2=0
	v_perm_b32 v3 /*v259*/, v9 /*v265*/, v21 /*v277*/, 0x7030c0c
	s_set_vgpr_msb 0x44                     ;  msbs: dst=1 src0=0 src1=1 src2=0
	v_perm_b32 v4 /*v260*/, v82, v9 /*v265*/, 0x4030c0c
	s_set_vgpr_msb 0                        ;  msbs: dst=0 src0=0 src1=0 src2=0
	v_dot4_i32_iu8 v202, v201, v202, v238 neg_lo:[1,1,0]
	v_dot4_i32_iu8 v230, v242, v192, v246 neg_lo:[1,1,0]
	s_wait_dscnt 0x0
	s_set_vgpr_msb 64                       ;  msbs: dst=1 src0=0 src1=0 src2=0
	v_perm_b32 v22 /*v278*/, v138, v138, 0x2010003
	s_set_vgpr_msb 0                        ;  msbs: dst=0 src0=0 src1=0 src2=0
	v_dot4_i32_iu8 v194, v201, v194, v239 neg_lo:[1,1,0]
	s_set_vgpr_msb 1                        ;  msbs: dst=0 src0=1 src1=0 src2=0
	v_dot4_i32_iu8 v231, v60 /*v316*/, v205, v244 neg_lo:[1,1,0]
	s_set_vgpr_msb 0                        ;  msbs: dst=0 src0=0 src1=0 src2=0
	v_dot4_i32_iu8 v232, v242, v203, v247 neg_lo:[1,1,0]
	v_dot4_i32_iu8 v209, v201, v209, v236 neg_lo:[1,1,0]
	;; [unrolled: 1-line block ×4, first 2 shown]
	s_set_vgpr_msb 1                        ;  msbs: dst=0 src0=1 src1=0 src2=0
	v_dot4_i32_iu8 v213, v64 /*v320*/, v192, v218 neg_lo:[1,1,0]
	v_dot4_i32_iu8 v218, v55 /*v311*/, v205, v243 neg_lo:[1,1,0]
	;; [unrolled: 1-line block ×8, first 2 shown]
	s_set_vgpr_msb 0                        ;  msbs: dst=0 src0=0 src1=0 src2=0
	v_dot4_i32_iu8 v141, v211, v205, v141 neg_lo:[1,1,0]
	s_set_vgpr_msb 1                        ;  msbs: dst=0 src0=1 src1=0 src2=0
	v_dot4_i32_iu8 v211, v40 /*v296*/, v203, v223 neg_lo:[1,1,0]
	v_dot4_i32_iu8 v223, v40 /*v296*/, v206, v224 neg_lo:[1,1,0]
	;; [unrolled: 1-line block ×11, first 2 shown]
	s_set_vgpr_msb 0                        ;  msbs: dst=0 src0=0 src1=0 src2=0
	v_dot4_i32_iu8 v193, v255, v217, v199 neg_lo:[1,1,0]
	v_dot4_i32_iu8 v199, v255, v203, v210 neg_lo:[1,1,0]
	;; [unrolled: 1-line block ×3, first 2 shown]
	s_set_vgpr_msb 64                       ;  msbs: dst=1 src0=0 src1=0 src2=0
	v_perm_b32 v33 /*v289*/, v81, v81, 0x6010407
	v_perm_b32 v23 /*v279*/, v137, v137, 0x6010407
	v_perm_b32 v25 /*v281*/, v139, v139, 0x6010407
	s_set_vgpr_msb 4                        ;  msbs: dst=0 src0=0 src1=1 src2=0
	v_or_b32_e32 v216, v216, v16 /*v272*/
	s_set_vgpr_msb 64                       ;  msbs: dst=1 src0=0 src1=0 src2=0
	v_perm_b32 v16 /*v272*/, v86, v85, 0x4020100
	s_set_vgpr_msb 4                        ;  msbs: dst=0 src0=0 src1=1 src2=0
	v_or_b32_e32 v245, v245, v15 /*v271*/
	s_set_vgpr_msb 1                        ;  msbs: dst=0 src0=1 src1=0 src2=0
	v_or_b32_e32 v131, v37 /*v293*/, v131
	v_perm_b32 v129, v65 /*v321*/, v129, 0xc0c0700
	s_set_vgpr_msb 0x44                     ;  msbs: dst=1 src0=0 src1=1 src2=0
	v_perm_b32 v49 /*v305*/, v128, v67 /*v323*/, 0x4030c0c
	s_set_vgpr_msb 1                        ;  msbs: dst=0 src0=1 src1=0 src2=0
	v_or_b32_e32 v135, v44 /*v300*/, v135
	v_or_b32_e32 v133, v45 /*v301*/, v133
	s_set_vgpr_msb 64                       ;  msbs: dst=1 src0=0 src1=0 src2=0
	v_perm_b32 v7 /*v263*/, v85, v85, 0x2010003
	s_set_vgpr_msb 0x45                     ;  msbs: dst=1 src0=1 src1=1 src2=0
	v_or_b32_e32 v2 /*v258*/, v2 /*v258*/, v5 /*v261*/
	s_set_vgpr_msb 1                        ;  msbs: dst=0 src0=1 src1=0 src2=0
	v_or_b32_e32 v117, v4 /*v260*/, v117
	s_set_vgpr_msb 0x45                     ;  msbs: dst=1 src0=1 src1=1 src2=0
	v_or_b32_e32 v3 /*v259*/, v3 /*v259*/, v8 /*v264*/
	s_set_vgpr_msb 1                        ;  msbs: dst=0 src0=1 src1=0 src2=0
	v_or_b32_e32 v252, v1 /*v257*/, v252
	v_dot4_i32_iu8 v222, v42 /*v298*/, v206, v222 neg_lo:[1,1,0]
	s_set_vgpr_msb 0                        ;  msbs: dst=0 src0=0 src1=0 src2=0
	v_dot4_i32_iu8 v196, v195, v196, v202 neg_lo:[1,1,0]
	v_dot4_i32_iu8 v189, v195, v189, v194 neg_lo:[1,1,0]
	s_set_vgpr_msb 4                        ;  msbs: dst=0 src0=0 src1=1 src2=0
	v_dot4_i32_iu8 v194, v241, v36 /*v292*/, v230 neg_lo:[1,1,0]
	s_set_vgpr_msb 0                        ;  msbs: dst=0 src0=0 src1=0 src2=0
	v_dot4_i32_iu8 v202, v195, v204, v209 neg_lo:[1,1,0]
	s_set_vgpr_msb 4                        ;  msbs: dst=0 src0=0 src1=1 src2=0
	v_dot4_i32_iu8 v204, v241, v27 /*v283*/, v232 neg_lo:[1,1,0]
	s_set_vgpr_msb 0                        ;  msbs: dst=0 src0=0 src1=0 src2=0
	;; [unrolled: 4-line block ×3, first 2 shown]
	v_dot4_i32_iu8 v206, v68 /*v324*/, v36 /*v292*/, v213 neg_lo:[1,1,0]
	v_dot4_i32_iu8 v207, v68 /*v324*/, v27 /*v283*/, v219 neg_lo:[1,1,0]
	;; [unrolled: 1-line block ×10, first 2 shown]
	s_set_vgpr_msb 4                        ;  msbs: dst=0 src0=0 src1=1 src2=0
	v_dot4_i32_iu8 v147, v249, v24 /*v280*/, v147 neg_lo:[1,1,0]
	v_dot4_i32_iu8 v141, v250, v24 /*v280*/, v141 neg_lo:[1,1,0]
	;; [unrolled: 1-line block ×6, first 2 shown]
	s_set_vgpr_msb 64                       ;  msbs: dst=1 src0=0 src1=0 src2=0
	v_perm_b32 v29 /*v285*/, v82, v82, 0xc030201
	s_set_vgpr_msb 1                        ;  msbs: dst=0 src0=1 src1=0 src2=0
	v_or_b32_e32 v129, v49 /*v305*/, v129
	s_set_vgpr_msb 64                       ;  msbs: dst=1 src0=0 src1=0 src2=0
	v_perm_b32 v6 /*v262*/, v86, v86, 0xc0c0100
	v_perm_b32 v4 /*v260*/, v94, v94, 0xc0c0100
	;; [unrolled: 1-line block ×3, first 2 shown]
	s_set_vgpr_msb 0                        ;  msbs: dst=0 src0=0 src1=0 src2=0
	v_perm_b32 v253, v96, v96, 0xc0c0100
	s_set_vgpr_msb 5                        ;  msbs: dst=0 src0=1 src1=1 src2=0
	v_dot4_i32_iu8 v214, v39 /*v295*/, v22 /*v278*/, v222 neg_lo:[1,1,0]
	v_dot4_i32_iu8 v217, v43 /*v299*/, v36 /*v292*/, v226 neg_lo:[1,1,0]
	v_dot4_i32_iu8 v211, v43 /*v299*/, v27 /*v283*/, v211 neg_lo:[1,1,0]
	v_dot4_i32_iu8 v219, v43 /*v299*/, v22 /*v278*/, v223 neg_lo:[1,1,0]
	v_dot4_i32_iu8 v192, v46 /*v302*/, v36 /*v292*/, v192 neg_lo:[1,1,0]
	v_dot4_i32_iu8 v197, v46 /*v302*/, v27 /*v283*/, v197 neg_lo:[1,1,0]
	v_dot4_i32_iu8 v205, v46 /*v302*/, v22 /*v278*/, v205 neg_lo:[1,1,0]
	s_set_vgpr_msb 4                        ;  msbs: dst=0 src0=0 src1=1 src2=0
	v_dot4_i32_iu8 v216, v216, v24 /*v280*/, v231 neg_lo:[1,1,0]
	v_dot4_i32_iu8 v218, v245, v24 /*v280*/, v218 neg_lo:[1,1,0]
	s_set_vgpr_msb 0                        ;  msbs: dst=0 src0=0 src1=0 src2=0
	v_dot4_i32_iu8 v191, v190, v191, v196 neg_lo:[1,1,0]
	v_dot4_i32_iu8 v188, v190, v188, v189 neg_lo:[1,1,0]
	s_set_vgpr_msb 4                        ;  msbs: dst=0 src0=0 src1=1 src2=0
	v_dot4_i32_iu8 v189, v146, v33 /*v289*/, v194 neg_lo:[1,1,0]
	s_set_vgpr_msb 0                        ;  msbs: dst=0 src0=0 src1=0 src2=0
	v_dot4_i32_iu8 v194, v190, v198, v202 neg_lo:[1,1,0]
	s_set_vgpr_msb 4                        ;  msbs: dst=0 src0=0 src1=1 src2=0
	v_dot4_i32_iu8 v196, v146, v23 /*v279*/, v204 neg_lo:[1,1,0]
	s_set_vgpr_msb 0                        ;  msbs: dst=0 src0=0 src1=0 src2=0
	;; [unrolled: 4-line block ×3, first 2 shown]
	v_dot4_i32_iu8 v195, v69 /*v325*/, v33 /*v289*/, v206 neg_lo:[1,1,0]
	v_dot4_i32_iu8 v198, v69 /*v325*/, v23 /*v279*/, v207 neg_lo:[1,1,0]
	v_dot4_i32_iu8 v201, v62 /*v318*/, v33 /*v289*/, v210 neg_lo:[1,1,0]
	v_dot4_i32_iu8 v202, v62 /*v318*/, v23 /*v279*/, v213 neg_lo:[1,1,0]
	s_set_vgpr_msb 4                        ;  msbs: dst=0 src0=0 src1=1 src2=0
	v_dot4_i32_iu8 v131, v131, v16 /*v272*/, v147 neg_lo:[1,1,0]
	v_dot4_i32_iu8 v95, v135, v16 /*v272*/, v95 neg_lo:[1,1,0]
	;; [unrolled: 1-line block ×3, first 2 shown]
	s_set_vgpr_msb 1                        ;  msbs: dst=0 src0=1 src1=0 src2=0
	v_dot4_i32_iu8 v135, v2 /*v258*/, v143, v145 neg_lo:[1,1,0]
	s_set_vgpr_msb 0                        ;  msbs: dst=0 src0=0 src1=0 src2=0
	v_dot4_i32_iu8 v117, v117, v142, v208 neg_lo:[1,1,0]
	s_set_vgpr_msb 5                        ;  msbs: dst=0 src0=1 src1=1 src2=0
	v_dot4_i32_iu8 v141, v3 /*v259*/, v7 /*v263*/, v212 neg_lo:[1,1,0]
	s_set_vgpr_msb 4                        ;  msbs: dst=0 src0=0 src1=1 src2=0
	v_dot4_i32_iu8 v142, v252, v7 /*v263*/, v193 neg_lo:[1,1,0]
	s_set_vgpr_msb 5                        ;  msbs: dst=0 src0=1 src1=1 src2=0
	v_dot4_i32_iu8 v143, v3 /*v259*/, v23 /*v279*/, v215 neg_lo:[1,1,0]
	s_set_vgpr_msb 4                        ;  msbs: dst=0 src0=0 src1=1 src2=0
	v_dot4_i32_iu8 v145, v252, v23 /*v279*/, v199 neg_lo:[1,1,0]
	;; [unrolled: 4-line block ×3, first 2 shown]
	s_set_vgpr_msb 1                        ;  msbs: dst=0 src0=1 src1=0 src2=0
	v_or_b32_e32 v97, v72 /*v328*/, v97
	s_set_vgpr_msb 64                       ;  msbs: dst=1 src0=0 src1=0 src2=0
	v_perm_b32 v15 /*v271*/, v128, v128, 0xc030201
	v_perm_b32 v14 /*v270*/, v86, v86, 0xc030201
	;; [unrolled: 1-line block ×11, first 2 shown]
	s_set_vgpr_msb 5                        ;  msbs: dst=0 src0=1 src1=1 src2=0
	v_dot4_i32_iu8 v200, v69 /*v325*/, v25 /*v281*/, v209 neg_lo:[1,1,0]
	v_dot4_i32_iu8 v204, v62 /*v318*/, v25 /*v281*/, v214 neg_lo:[1,1,0]
	;; [unrolled: 1-line block ×8, first 2 shown]
	s_set_vgpr_msb 4                        ;  msbs: dst=0 src0=0 src1=1 src2=0
	v_dot4_i32_iu8 v129, v129, v16 /*v272*/, v218 neg_lo:[1,1,0]
	v_dot4_i32_iu8 v99, v99, v16 /*v272*/, v216 neg_lo:[1,1,0]
	s_set_vgpr_msb 0                        ;  msbs: dst=0 src0=0 src1=0 src2=0
	v_dot4_i32_iu8 v188, v83, v80, v188 neg_lo:[1,1,0]
	v_dot4_i32_iu8 v136, v83, v136, v194 neg_lo:[1,1,0]
	;; [unrolled: 1-line block ×8, first 2 shown]
	s_set_vgpr_msb 1                        ;  msbs: dst=0 src0=1 src1=0 src2=0
	v_dot4_i32_iu8 v144, v29 /*v285*/, v144, v135 neg_lo:[1,1,0]
	s_set_vgpr_msb 4                        ;  msbs: dst=0 src0=0 src1=1 src2=0
	v_dot4_i32_iu8 v142, v140, v6 /*v262*/, v142 neg_lo:[1,1,0]
	s_set_vgpr_msb 0                        ;  msbs: dst=0 src0=0 src1=0 src2=0
	v_dot4_i32_iu8 v86, v116, v86, v141 neg_lo:[1,1,0]
	s_set_vgpr_msb 4                        ;  msbs: dst=0 src0=0 src1=1 src2=0
	v_dot4_i32_iu8 v141, v140, v4 /*v260*/, v145 neg_lo:[1,1,0]
	s_set_vgpr_msb 5                        ;  msbs: dst=0 src0=1 src1=1 src2=0
	v_dot4_i32_iu8 v143, v8 /*v264*/, v4 /*v260*/, v143 neg_lo:[1,1,0]
	s_set_vgpr_msb 0                        ;  msbs: dst=0 src0=0 src1=0 src2=0
	v_dot4_i32_iu8 v140, v140, v253, v193 neg_lo:[1,1,0]
	s_set_vgpr_msb 1                        ;  msbs: dst=0 src0=1 src1=0 src2=0
	v_dot4_i32_iu8 v145, v8 /*v264*/, v253, v147 neg_lo:[1,1,0]
	s_set_vgpr_msb 0                        ;  msbs: dst=0 src0=0 src1=0 src2=0
	v_dot4_i32_iu8 v128, v96, v128, v200 neg_lo:[1,1,0]
	v_dot4_i32_iu8 v130, v96, v130, v204 neg_lo:[1,1,0]
	;; [unrolled: 1-line block ×8, first 2 shown]
	s_set_vgpr_msb 5                        ;  msbs: dst=0 src0=1 src1=1 src2=0
	v_dot4_i32_iu8 v200, v14 /*v270*/, v15 /*v271*/, v129 neg_lo:[1,1,0]
	v_dot4_i32_iu8 v201, v14 /*v270*/, v37 /*v293*/, v131 neg_lo:[1,1,0]
	v_dot4_i32_iu8 v202, v14 /*v270*/, v49 /*v305*/, v133 neg_lo:[1,1,0]
	v_dot4_i32_iu8 v203, v14 /*v270*/, v10 /*v266*/, v95 neg_lo:[1,1,0]
	s_set_vgpr_msb 0                        ;  msbs: dst=0 src0=0 src1=0 src2=0
	v_dot4_i32_iu8 v189, v98, v82, v189 neg_lo:[1,1,0]
	v_dot4_i32_iu8 v191, v98, v94, v196 neg_lo:[1,1,0]
	;; [unrolled: 1-line block ×3, first 2 shown]
	s_set_vgpr_msb 5                        ;  msbs: dst=0 src0=1 src1=1 src2=0
	v_dot4_i32_iu8 v146, v29 /*v285*/, v44 /*v300*/, v117 neg_lo:[1,1,0]
	v_dot4_i32_iu8 v196, v14 /*v270*/, v45 /*v301*/, v99 neg_lo:[1,1,0]
	s_set_vgpr_msb 0                        ;  msbs: dst=0 src0=0 src1=0 src2=0
	v_cvt_f32_i32_e32 v83, v190
	v_cvt_f32_i32_e32 v82, v80
	;; [unrolled: 1-line block ×4, first 2 shown]
	v_dot4_i32_iu8 v84, v97, v85, v84 neg_lo:[1,1,0]
	v_cvt_f32_i32_e32 v80, v144
	v_dot4_i32_iu8 v144, v97, v81, v188 neg_lo:[1,1,0]
	v_dot4_i32_iu8 v136, v97, v137, v136 neg_lo:[1,1,0]
	;; [unrolled: 1-line block ×3, first 2 shown]
	s_set_vgpr_msb 4                        ;  msbs: dst=0 src0=0 src1=1 src2=0
	v_dot4_i32_iu8 v142, v87, v5 /*v261*/, v142 neg_lo:[1,1,0]
	s_set_vgpr_msb 5                        ;  msbs: dst=0 src0=1 src1=1 src2=0
	v_dot4_i32_iu8 v143, v1 /*v257*/, v9 /*v265*/, v143 neg_lo:[1,1,0]
	s_set_vgpr_msb 4                        ;  msbs: dst=0 src0=0 src1=1 src2=0
	v_dot4_i32_iu8 v141, v87, v9 /*v265*/, v141 neg_lo:[1,1,0]
	s_set_vgpr_msb 5                        ;  msbs: dst=0 src0=1 src1=1 src2=0
	v_dot4_i32_iu8 v145, v1 /*v257*/, v21 /*v277*/, v145 neg_lo:[1,1,0]
	s_set_vgpr_msb 4                        ;  msbs: dst=0 src0=0 src1=1 src2=0
	v_dot4_i32_iu8 v140, v87, v21 /*v277*/, v140 neg_lo:[1,1,0]
	v_cvt_f32_i32_e32 v99, v130
	v_cvt_f32_i32_e32 v98, v128
	;; [unrolled: 1-line block ×18, first 2 shown]
	s_set_vgpr_msb 0                        ;  msbs: dst=0 src0=0 src1=0 src2=0
	v_pk_fma_f32 v[30:31], v[104:105], v[82:83], v[30:31]
	v_pk_fma_f32 v[26:27], v[106:107], v[94:95], v[26:27]
	v_cvt_f32_i32_e32 v81, v84
	v_cvt_f32_i32_e32 v84, v144
	;; [unrolled: 1-line block ×9, first 2 shown]
	v_add_nc_u32_e32 v182, 32, v182
	v_pk_fma_f32 v[24:25], v[108:109], v[98:99], v[24:25]
	v_pk_fma_f32 v[22:23], v[110:111], v[116:117], v[22:23]
	;; [unrolled: 1-line block ×14, first 2 shown]
	s_add_co_i32 s10, s10, 4
	s_delay_alu instid0(SALU_CYCLE_1)
	s_cmp_lt_u32 s10, 28
	s_cbranch_scc1 .LBB122_11
; %bb.12:                               ;   in Loop: Header=BB122_6 Depth=1
	s_barrier_signal -1
	s_barrier_wait -1
	s_branch .LBB122_5
.LBB122_13:
	v_dual_mov_b32 v1, v17 :: v_dual_mov_b32 v16, v39
.LBB122_14:
	s_wait_xcnt 0x0
	s_mov_b32 s0, exec_lo
	v_cmpx_gt_u32_e64 s6, v41
	s_cbranch_execz .LBB122_65
; %bb.15:
	v_mul_lo_u32 v18, v41, s12
	v_add_nc_u32_e32 v0, s14, v16
	s_delay_alu instid0(VALU_DEP_1)
	v_cmp_gt_u32_e32 vcc_lo, s12, v0
	s_and_saveexec_b32 s0, vcc_lo
	s_cbranch_execz .LBB122_17
; %bb.16:
	s_delay_alu instid0(VALU_DEP_3)
	v_add_nc_u32_e32 v16, v0, v18
	s_wait_kmcnt 0x0
	global_store_b32 v16, v36, s[8:9] scale_offset
.LBB122_17:
	s_wait_xcnt 0x0
	s_or_b32 exec_lo, exec_lo, s0
	v_add_nc_u32_e32 v16, 32, v0
	s_delay_alu instid0(VALU_DEP_1)
	v_cmp_gt_u32_e64 s0, s12, v16
	s_and_saveexec_b32 s1, s0
	s_cbranch_execz .LBB122_19
; %bb.18:
	v_add_nc_u32_e32 v17, v16, v18
	s_wait_kmcnt 0x0
	global_store_b32 v17, v9, s[8:9] scale_offset
.LBB122_19:
	s_wait_xcnt 0x0
	s_or_b32 exec_lo, exec_lo, s1
	v_add_nc_u32_e32 v9, 64, v0
	s_delay_alu instid0(VALU_DEP_1)
	v_cmp_gt_u32_e64 s1, s12, v9
	s_and_saveexec_b32 s2, s1
	s_cbranch_execz .LBB122_21
; %bb.20:
	v_add_nc_u32_e32 v17, v9, v18
	s_wait_kmcnt 0x0
	global_store_b32 v17, v34, s[8:9] scale_offset
.LBB122_21:
	s_wait_xcnt 0x0
	s_or_b32 exec_lo, exec_lo, s2
	v_add_nc_u32_e32 v17, 0x60, v0
	s_delay_alu instid0(VALU_DEP_1)
	v_cmp_gt_u32_e64 s2, s12, v17
	s_and_saveexec_b32 s3, s2
	s_cbranch_execz .LBB122_23
; %bb.22:
	v_add_nc_u32_e32 v18, v17, v18
	s_wait_kmcnt 0x0
	global_store_b32 v18, v32, s[8:9] scale_offset
.LBB122_23:
	s_wait_xcnt 0x0
	s_or_b32 exec_lo, exec_lo, s3
	v_add3_u32 v18, v1, s13, 8
	s_delay_alu instid0(VALU_DEP_1)
	v_cmp_gt_u32_e64 s3, s6, v18
	s_and_b32 exec_lo, exec_lo, s3
	s_cbranch_execz .LBB122_65
; %bb.24:
	v_mul_lo_u32 v18, v18, s12
	s_and_saveexec_b32 s3, vcc_lo
	s_cbranch_execnz .LBB122_66
; %bb.25:
	s_or_b32 exec_lo, exec_lo, s3
	s_and_saveexec_b32 s3, s0
	s_cbranch_execnz .LBB122_67
.LBB122_26:
	s_or_b32 exec_lo, exec_lo, s3
	s_and_saveexec_b32 s3, s1
	s_cbranch_execnz .LBB122_68
.LBB122_27:
	s_or_b32 exec_lo, exec_lo, s3
	s_and_saveexec_b32 s3, s2
	s_cbranch_execz .LBB122_29
.LBB122_28:
	v_add_nc_u32_e32 v11, v18, v17
	s_wait_kmcnt 0x0
	global_store_b32 v11, v33, s[8:9] scale_offset
.LBB122_29:
	s_wait_xcnt 0x0
	s_or_b32 exec_lo, exec_lo, s3
	v_add3_u32 v11, v1, s13, 16
	s_delay_alu instid0(VALU_DEP_1)
	v_cmp_gt_u32_e64 s3, s6, v11
	s_and_b32 exec_lo, exec_lo, s3
	s_cbranch_execz .LBB122_65
; %bb.30:
	v_mul_lo_u32 v11, v11, s12
	s_and_saveexec_b32 s3, vcc_lo
	s_cbranch_execnz .LBB122_69
; %bb.31:
	s_or_b32 exec_lo, exec_lo, s3
	s_and_saveexec_b32 s3, s0
	s_cbranch_execnz .LBB122_70
.LBB122_32:
	s_or_b32 exec_lo, exec_lo, s3
	s_and_saveexec_b32 s3, s1
	s_cbranch_execnz .LBB122_71
.LBB122_33:
	s_or_b32 exec_lo, exec_lo, s3
	s_and_saveexec_b32 s3, s2
	s_cbranch_execz .LBB122_35
.LBB122_34:
	v_add_nc_u32_e32 v11, v11, v17
	s_wait_kmcnt 0x0
	global_store_b32 v11, v24, s[8:9] scale_offset
.LBB122_35:
	s_wait_xcnt 0x0
	s_or_b32 exec_lo, exec_lo, s3
	v_add3_u32 v11, v1, s13, 24
	s_delay_alu instid0(VALU_DEP_1)
	v_cmp_gt_u32_e64 s3, s6, v11
	s_and_b32 exec_lo, exec_lo, s3
	s_cbranch_execz .LBB122_65
; %bb.36:
	v_mul_lo_u32 v11, v11, s12
	s_and_saveexec_b32 s3, vcc_lo
	s_cbranch_execnz .LBB122_72
; %bb.37:
	s_or_b32 exec_lo, exec_lo, s3
	s_and_saveexec_b32 s3, s0
	s_cbranch_execnz .LBB122_73
.LBB122_38:
	s_or_b32 exec_lo, exec_lo, s3
	s_and_saveexec_b32 s3, s1
	s_cbranch_execnz .LBB122_74
.LBB122_39:
	s_or_b32 exec_lo, exec_lo, s3
	s_and_saveexec_b32 s3, s2
	s_cbranch_execz .LBB122_41
.LBB122_40:
	v_add_nc_u32_e32 v11, v11, v17
	s_wait_kmcnt 0x0
	global_store_b32 v11, v25, s[8:9] scale_offset
.LBB122_41:
	s_wait_xcnt 0x0
	s_or_b32 exec_lo, exec_lo, s3
	v_add3_u32 v11, v1, s13, 32
	s_delay_alu instid0(VALU_DEP_1)
	v_cmp_gt_u32_e64 s3, s6, v11
	s_and_b32 exec_lo, exec_lo, s3
	s_cbranch_execz .LBB122_65
; %bb.42:
	v_mul_lo_u32 v11, v11, s12
	s_and_saveexec_b32 s3, vcc_lo
	s_cbranch_execnz .LBB122_75
; %bb.43:
	s_or_b32 exec_lo, exec_lo, s3
	s_and_saveexec_b32 s3, s0
	s_cbranch_execnz .LBB122_76
.LBB122_44:
	s_or_b32 exec_lo, exec_lo, s3
	s_and_saveexec_b32 s3, s1
	s_cbranch_execnz .LBB122_77
.LBB122_45:
	s_or_b32 exec_lo, exec_lo, s3
	s_and_saveexec_b32 s3, s2
	s_cbranch_execz .LBB122_47
.LBB122_46:
	v_add_nc_u32_e32 v11, v11, v17
	s_wait_kmcnt 0x0
	global_store_b32 v11, v12, s[8:9] scale_offset
.LBB122_47:
	s_wait_xcnt 0x0
	s_or_b32 exec_lo, exec_lo, s3
	v_add3_u32 v11, v1, s13, 40
	s_delay_alu instid0(VALU_DEP_1)
	v_cmp_gt_u32_e64 s3, s6, v11
	s_and_b32 exec_lo, exec_lo, s3
	s_cbranch_execz .LBB122_65
; %bb.48:
	v_mul_lo_u32 v11, v11, s12
	s_and_saveexec_b32 s3, vcc_lo
	s_cbranch_execnz .LBB122_78
; %bb.49:
	s_or_b32 exec_lo, exec_lo, s3
	s_and_saveexec_b32 s3, s0
	s_cbranch_execnz .LBB122_79
.LBB122_50:
	s_or_b32 exec_lo, exec_lo, s3
	s_and_saveexec_b32 s3, s1
	s_cbranch_execnz .LBB122_80
.LBB122_51:
	s_or_b32 exec_lo, exec_lo, s3
	s_and_saveexec_b32 s3, s2
	s_cbranch_execz .LBB122_53
.LBB122_52:
	v_add_nc_u32_e32 v11, v11, v17
	s_wait_kmcnt 0x0
	global_store_b32 v11, v13, s[8:9] scale_offset
.LBB122_53:
	s_wait_xcnt 0x0
	s_or_b32 exec_lo, exec_lo, s3
	v_add3_u32 v11, v1, s13, 48
	s_delay_alu instid0(VALU_DEP_1)
	v_cmp_gt_u32_e64 s3, s6, v11
	s_and_b32 exec_lo, exec_lo, s3
	s_cbranch_execz .LBB122_65
; %bb.54:
	v_mul_lo_u32 v11, v11, s12
	s_and_saveexec_b32 s3, vcc_lo
	s_cbranch_execnz .LBB122_81
; %bb.55:
	s_or_b32 exec_lo, exec_lo, s3
	s_and_saveexec_b32 s3, s0
	s_cbranch_execnz .LBB122_82
.LBB122_56:
	s_or_b32 exec_lo, exec_lo, s3
	s_and_saveexec_b32 s3, s1
	s_cbranch_execnz .LBB122_83
.LBB122_57:
	s_or_b32 exec_lo, exec_lo, s3
	s_and_saveexec_b32 s3, s2
	s_cbranch_execz .LBB122_59
.LBB122_58:
	v_add_nc_u32_e32 v4, v11, v17
	s_wait_kmcnt 0x0
	global_store_b32 v4, v2, s[8:9] scale_offset
.LBB122_59:
	s_wait_xcnt 0x0
	s_or_b32 exec_lo, exec_lo, s3
	v_add3_u32 v1, v1, s13, 56
	s_delay_alu instid0(VALU_DEP_1)
	v_cmp_gt_u32_e64 s3, s6, v1
	s_and_b32 exec_lo, exec_lo, s3
	s_cbranch_execz .LBB122_65
; %bb.60:
	v_mul_lo_u32 v1, v1, s12
	s_and_saveexec_b32 s3, vcc_lo
	s_cbranch_execnz .LBB122_84
; %bb.61:
	s_or_b32 exec_lo, exec_lo, s3
	s_and_saveexec_b32 s3, s0
	s_cbranch_execnz .LBB122_85
.LBB122_62:
	s_or_b32 exec_lo, exec_lo, s3
	s_and_saveexec_b32 s0, s1
	s_cbranch_execnz .LBB122_86
.LBB122_63:
	s_or_b32 exec_lo, exec_lo, s0
	s_delay_alu instid0(SALU_CYCLE_1)
	s_and_b32 exec_lo, exec_lo, s2
	s_cbranch_execz .LBB122_65
.LBB122_64:
	v_add_nc_u32_e32 v0, v1, v17
	s_wait_kmcnt 0x0
	global_store_b32 v0, v3, s[8:9] scale_offset
.LBB122_65:
	s_sendmsg sendmsg(MSG_DEALLOC_VGPRS)
	s_endpgm
.LBB122_66:
	s_delay_alu instid0(VALU_DEP_1)
	v_add_nc_u32_e32 v19, v18, v0
	s_wait_kmcnt 0x0
	global_store_b32 v19, v37, s[8:9] scale_offset
	s_wait_xcnt 0x0
	s_or_b32 exec_lo, exec_lo, s3
	s_and_saveexec_b32 s3, s0
	s_cbranch_execz .LBB122_26
.LBB122_67:
	s_delay_alu instid0(VALU_DEP_1)
	v_add_nc_u32_e32 v19, v18, v16
	s_wait_kmcnt 0x0
	global_store_b32 v19, v11, s[8:9] scale_offset
	s_wait_xcnt 0x0
	s_or_b32 exec_lo, exec_lo, s3
	s_and_saveexec_b32 s3, s1
	s_cbranch_execz .LBB122_27
.LBB122_68:
	s_delay_alu instid0(VALU_DEP_1)
	v_add_nc_u32_e32 v11, v18, v9
	s_wait_kmcnt 0x0
	global_store_b32 v11, v35, s[8:9] scale_offset
	s_wait_xcnt 0x0
	s_or_b32 exec_lo, exec_lo, s3
	s_and_saveexec_b32 s3, s2
	s_cbranch_execnz .LBB122_28
	s_branch .LBB122_29
.LBB122_69:
	s_delay_alu instid0(VALU_DEP_1)
	v_add_nc_u32_e32 v18, v11, v0
	s_wait_kmcnt 0x0
	global_store_b32 v18, v30, s[8:9] scale_offset
	s_wait_xcnt 0x0
	s_or_b32 exec_lo, exec_lo, s3
	s_and_saveexec_b32 s3, s0
	s_cbranch_execz .LBB122_32
.LBB122_70:
	s_delay_alu instid0(VALU_DEP_1)
	v_add_nc_u32_e32 v18, v11, v16
	s_wait_kmcnt 0x0
	global_store_b32 v18, v28, s[8:9] scale_offset
	s_wait_xcnt 0x0
	s_or_b32 exec_lo, exec_lo, s3
	s_and_saveexec_b32 s3, s1
	s_cbranch_execz .LBB122_33
.LBB122_71:
	s_delay_alu instid0(VALU_DEP_1)
	v_add_nc_u32_e32 v18, v11, v9
	s_wait_kmcnt 0x0
	global_store_b32 v18, v26, s[8:9] scale_offset
	s_wait_xcnt 0x0
	s_or_b32 exec_lo, exec_lo, s3
	s_and_saveexec_b32 s3, s2
	s_cbranch_execnz .LBB122_34
	s_branch .LBB122_35
.LBB122_72:
	s_delay_alu instid0(VALU_DEP_1)
	v_add_nc_u32_e32 v18, v11, v0
	s_wait_kmcnt 0x0
	global_store_b32 v18, v31, s[8:9] scale_offset
	s_wait_xcnt 0x0
	s_or_b32 exec_lo, exec_lo, s3
	s_and_saveexec_b32 s3, s0
	s_cbranch_execz .LBB122_38
.LBB122_73:
	s_delay_alu instid0(VALU_DEP_1)
	v_add_nc_u32_e32 v18, v11, v16
	s_wait_kmcnt 0x0
	global_store_b32 v18, v29, s[8:9] scale_offset
	s_wait_xcnt 0x0
	s_or_b32 exec_lo, exec_lo, s3
	s_and_saveexec_b32 s3, s1
	s_cbranch_execz .LBB122_39
.LBB122_74:
	s_delay_alu instid0(VALU_DEP_1)
	v_add_nc_u32_e32 v18, v11, v9
	s_wait_kmcnt 0x0
	global_store_b32 v18, v27, s[8:9] scale_offset
	s_wait_xcnt 0x0
	s_or_b32 exec_lo, exec_lo, s3
	s_and_saveexec_b32 s3, s2
	s_cbranch_execnz .LBB122_40
	s_branch .LBB122_41
.LBB122_75:
	s_delay_alu instid0(VALU_DEP_1)
	v_add_nc_u32_e32 v18, v11, v0
	s_wait_kmcnt 0x0
	global_store_b32 v18, v22, s[8:9] scale_offset
	s_wait_xcnt 0x0
	s_or_b32 exec_lo, exec_lo, s3
	s_and_saveexec_b32 s3, s0
	s_cbranch_execz .LBB122_44
.LBB122_76:
	s_delay_alu instid0(VALU_DEP_1)
	v_add_nc_u32_e32 v18, v11, v16
	s_wait_kmcnt 0x0
	global_store_b32 v18, v20, s[8:9] scale_offset
	s_wait_xcnt 0x0
	s_or_b32 exec_lo, exec_lo, s3
	s_and_saveexec_b32 s3, s1
	s_cbranch_execz .LBB122_45
.LBB122_77:
	s_delay_alu instid0(VALU_DEP_1)
	v_add_nc_u32_e32 v18, v11, v9
	s_wait_kmcnt 0x0
	global_store_b32 v18, v14, s[8:9] scale_offset
	s_wait_xcnt 0x0
	s_or_b32 exec_lo, exec_lo, s3
	s_and_saveexec_b32 s3, s2
	s_cbranch_execnz .LBB122_46
	s_branch .LBB122_47
.LBB122_78:
	s_delay_alu instid0(VALU_DEP_1)
	v_add_nc_u32_e32 v12, v11, v0
	s_wait_kmcnt 0x0
	global_store_b32 v12, v23, s[8:9] scale_offset
	s_wait_xcnt 0x0
	s_or_b32 exec_lo, exec_lo, s3
	s_and_saveexec_b32 s3, s0
	s_cbranch_execz .LBB122_50
.LBB122_79:
	s_delay_alu instid0(VALU_DEP_1)
	v_add_nc_u32_e32 v12, v11, v16
	s_wait_kmcnt 0x0
	global_store_b32 v12, v21, s[8:9] scale_offset
	s_wait_xcnt 0x0
	s_or_b32 exec_lo, exec_lo, s3
	s_and_saveexec_b32 s3, s1
	s_cbranch_execz .LBB122_51
.LBB122_80:
	s_delay_alu instid0(VALU_DEP_1)
	v_add_nc_u32_e32 v12, v11, v9
	s_wait_kmcnt 0x0
	global_store_b32 v12, v15, s[8:9] scale_offset
	s_wait_xcnt 0x0
	s_or_b32 exec_lo, exec_lo, s3
	s_and_saveexec_b32 s3, s2
	s_cbranch_execnz .LBB122_52
	s_branch .LBB122_53
.LBB122_81:
	s_delay_alu instid0(VALU_DEP_1)
	v_add_nc_u32_e32 v12, v11, v0
	s_wait_kmcnt 0x0
	global_store_b32 v12, v10, s[8:9] scale_offset
	s_wait_xcnt 0x0
	s_or_b32 exec_lo, exec_lo, s3
	s_and_saveexec_b32 s3, s0
	s_cbranch_execz .LBB122_56
.LBB122_82:
	s_delay_alu instid0(VALU_DEP_1)
	v_add_nc_u32_e32 v10, v11, v16
	s_wait_kmcnt 0x0
	global_store_b32 v10, v6, s[8:9] scale_offset
	s_wait_xcnt 0x0
	s_or_b32 exec_lo, exec_lo, s3
	s_and_saveexec_b32 s3, s1
	s_cbranch_execz .LBB122_57
.LBB122_83:
	s_delay_alu instid0(VALU_DEP_1)
	v_add_nc_u32_e32 v6, v11, v9
	s_wait_kmcnt 0x0
	global_store_b32 v6, v4, s[8:9] scale_offset
	s_wait_xcnt 0x0
	s_or_b32 exec_lo, exec_lo, s3
	s_and_saveexec_b32 s3, s2
	s_cbranch_execnz .LBB122_58
	s_branch .LBB122_59
.LBB122_84:
	s_delay_alu instid0(VALU_DEP_1)
	v_add_nc_u32_e32 v0, v1, v0
	s_wait_kmcnt 0x0
	global_store_b32 v0, v8, s[8:9] scale_offset
	s_wait_xcnt 0x0
	s_or_b32 exec_lo, exec_lo, s3
	s_and_saveexec_b32 s3, s0
	s_cbranch_execz .LBB122_62
.LBB122_85:
	s_delay_alu instid0(VALU_DEP_1)
	v_add_nc_u32_e32 v0, v1, v16
	s_wait_kmcnt 0x0
	global_store_b32 v0, v7, s[8:9] scale_offset
	s_wait_xcnt 0x0
	s_or_b32 exec_lo, exec_lo, s3
	s_and_saveexec_b32 s0, s1
	s_cbranch_execz .LBB122_63
.LBB122_86:
	s_delay_alu instid0(VALU_DEP_1) | instskip(SKIP_4) | instid1(SALU_CYCLE_1)
	v_add_nc_u32_e32 v0, v1, v9
	s_wait_kmcnt 0x0
	global_store_b32 v0, v5, s[8:9] scale_offset
	s_wait_xcnt 0x0
	s_or_b32 exec_lo, exec_lo, s0
	s_and_b32 exec_lo, exec_lo, s2
	s_cbranch_execnz .LBB122_64
	s_branch .LBB122_65
	.section	.rodata,"a",@progbits
	.p2align	6, 0x0
	.amdhsa_kernel _ZL12mul_mat_q5_0IfLb1EEvPKvS1_PT_iiiii
		.amdhsa_group_segment_fixed_size 46720
		.amdhsa_private_segment_fixed_size 0
		.amdhsa_kernarg_size 44
		.amdhsa_user_sgpr_count 2
		.amdhsa_user_sgpr_dispatch_ptr 0
		.amdhsa_user_sgpr_queue_ptr 0
		.amdhsa_user_sgpr_kernarg_segment_ptr 1
		.amdhsa_user_sgpr_dispatch_id 0
		.amdhsa_user_sgpr_kernarg_preload_length 0
		.amdhsa_user_sgpr_kernarg_preload_offset 0
		.amdhsa_user_sgpr_private_segment_size 0
		.amdhsa_wavefront_size32 1
		.amdhsa_uses_dynamic_stack 0
		.amdhsa_enable_private_segment 0
		.amdhsa_system_sgpr_workgroup_id_x 1
		.amdhsa_system_sgpr_workgroup_id_y 1
		.amdhsa_system_sgpr_workgroup_id_z 0
		.amdhsa_system_sgpr_workgroup_info 0
		.amdhsa_system_vgpr_workitem_id 1
		.amdhsa_next_free_vgpr 334
		.amdhsa_next_free_sgpr 17
		.amdhsa_named_barrier_count 0
		.amdhsa_reserve_vcc 1
		.amdhsa_float_round_mode_32 0
		.amdhsa_float_round_mode_16_64 0
		.amdhsa_float_denorm_mode_32 3
		.amdhsa_float_denorm_mode_16_64 3
		.amdhsa_fp16_overflow 0
		.amdhsa_memory_ordered 1
		.amdhsa_forward_progress 1
		.amdhsa_inst_pref_size 234
		.amdhsa_round_robin_scheduling 0
		.amdhsa_exception_fp_ieee_invalid_op 0
		.amdhsa_exception_fp_denorm_src 0
		.amdhsa_exception_fp_ieee_div_zero 0
		.amdhsa_exception_fp_ieee_overflow 0
		.amdhsa_exception_fp_ieee_underflow 0
		.amdhsa_exception_fp_ieee_inexact 0
		.amdhsa_exception_int_div_zero 0
	.end_amdhsa_kernel
	.section	.text._ZL12mul_mat_q5_0IfLb1EEvPKvS1_PT_iiiii,"axG",@progbits,_ZL12mul_mat_q5_0IfLb1EEvPKvS1_PT_iiiii,comdat
.Lfunc_end122:
	.size	_ZL12mul_mat_q5_0IfLb1EEvPKvS1_PT_iiiii, .Lfunc_end122-_ZL12mul_mat_q5_0IfLb1EEvPKvS1_PT_iiiii
                                        ; -- End function
	.set _ZL12mul_mat_q5_0IfLb1EEvPKvS1_PT_iiiii.num_vgpr, 334
	.set _ZL12mul_mat_q5_0IfLb1EEvPKvS1_PT_iiiii.num_agpr, 0
	.set _ZL12mul_mat_q5_0IfLb1EEvPKvS1_PT_iiiii.numbered_sgpr, 17
	.set _ZL12mul_mat_q5_0IfLb1EEvPKvS1_PT_iiiii.num_named_barrier, 0
	.set _ZL12mul_mat_q5_0IfLb1EEvPKvS1_PT_iiiii.private_seg_size, 0
	.set _ZL12mul_mat_q5_0IfLb1EEvPKvS1_PT_iiiii.uses_vcc, 1
	.set _ZL12mul_mat_q5_0IfLb1EEvPKvS1_PT_iiiii.uses_flat_scratch, 0
	.set _ZL12mul_mat_q5_0IfLb1EEvPKvS1_PT_iiiii.has_dyn_sized_stack, 0
	.set _ZL12mul_mat_q5_0IfLb1EEvPKvS1_PT_iiiii.has_recursion, 0
	.set _ZL12mul_mat_q5_0IfLb1EEvPKvS1_PT_iiiii.has_indirect_call, 0
	.section	.AMDGPU.csdata,"",@progbits
; Kernel info:
; codeLenInByte = 29864
; TotalNumSgprs: 19
; NumVgprs: 334
; ScratchSize: 0
; MemoryBound: 0
; FloatMode: 240
; IeeeMode: 1
; LDSByteSize: 46720 bytes/workgroup (compile time only)
; SGPRBlocks: 0
; VGPRBlocks: 20
; NumSGPRsForWavesPerEU: 19
; NumVGPRsForWavesPerEU: 334
; NamedBarCnt: 0
; Occupancy: 3
; WaveLimiterHint : 0
; COMPUTE_PGM_RSRC2:SCRATCH_EN: 0
; COMPUTE_PGM_RSRC2:USER_SGPR: 2
; COMPUTE_PGM_RSRC2:TRAP_HANDLER: 0
; COMPUTE_PGM_RSRC2:TGID_X_EN: 1
; COMPUTE_PGM_RSRC2:TGID_Y_EN: 1
; COMPUTE_PGM_RSRC2:TGID_Z_EN: 0
; COMPUTE_PGM_RSRC2:TIDIG_COMP_CNT: 1
	.section	.text._ZL12mul_mat_q5_1IfLb0EEvPKvS1_PT_iiiii,"axG",@progbits,_ZL12mul_mat_q5_1IfLb0EEvPKvS1_PT_iiiii,comdat
	.globl	_ZL12mul_mat_q5_1IfLb0EEvPKvS1_PT_iiiii ; -- Begin function _ZL12mul_mat_q5_1IfLb0EEvPKvS1_PT_iiiii
	.p2align	8
	.type	_ZL12mul_mat_q5_1IfLb0EEvPKvS1_PT_iiiii,@function
_ZL12mul_mat_q5_1IfLb0EEvPKvS1_PT_iiiii: ; @_ZL12mul_mat_q5_1IfLb0EEvPKvS1_PT_iiiii
; %bb.0:
	s_clause 0x1
	s_load_b32 s10, s[0:1], 0x18
	s_load_b96 s[4:6], s[0:1], 0x20
	s_bfe_u32 s2, ttmp6, 0x4000c
	s_bfe_u32 s7, ttmp6, 0x40010
	s_add_co_i32 s2, s2, 1
	s_and_b32 s3, ttmp6, 15
	s_mul_i32 s2, ttmp9, s2
	s_add_co_i32 s7, s7, 1
	s_add_co_i32 s3, s3, s2
	s_mul_i32 s2, ttmp7, s7
	s_bfe_u32 s7, ttmp6, 0x40004
	s_getreg_b32 s8, hwreg(HW_REG_IB_STS2, 6, 4)
	s_add_co_i32 s7, s7, s2
	s_cmp_eq_u32 s8, 0
	v_bfe_u32 v23, v0, 10, 10
	s_cselect_b32 s7, ttmp7, s7
	v_and_b32_e32 v27, 0x3ff, v0
	s_cselect_b32 s2, ttmp9, s3
	s_lshl_b32 s7, s7, 6
	s_mov_b32 s3, 0
	s_wait_kmcnt 0x0
	s_cmp_gt_i32 s10, 31
	s_cbranch_scc1 .LBB123_4
; %bb.1:
	v_bfe_u32 v22, v0, 10, 10
	v_and_b32_e32 v24, 0x3ff, v0
	s_delay_alu instid0(VALU_DEP_2)
	v_add_nc_u32_e32 v39, s7, v22
	s_load_b64 s[8:9], s[0:1], 0x10
	s_and_not1_b32 vcc_lo, exec_lo, s3
	s_lshl_b32 s14, s2, 7
	s_cbranch_vccz .LBB123_5
; %bb.2:
	v_dual_mov_b32 v9, 0 :: v_dual_mov_b32 v17, 0
	v_mov_b64_e32 v[0:1], 0
	v_mov_b64_e32 v[32:33], 0
	;; [unrolled: 1-line block ×7, first 2 shown]
	v_dual_mov_b32 v16, 0 :: v_dual_mov_b32 v11, 0
	v_dual_mov_b32 v10, 0 :: v_dual_mov_b32 v19, 0
	;; [unrolled: 1-line block ×8, first 2 shown]
	s_wait_xcnt 0x0
	s_mov_b32 s0, exec_lo
	v_cmpx_gt_u32_e64 s4, v39
	s_cbranch_execnz .LBB123_15
.LBB123_3:
	s_sendmsg sendmsg(MSG_DEALLOC_VGPRS)
	s_endpgm
.LBB123_4:
                                        ; implicit-def: $vgpr22
                                        ; implicit-def: $vgpr24
                                        ; implicit-def: $vgpr39
	s_load_b64 s[8:9], s[0:1], 0x10
	s_lshl_b32 s14, s2, 7
.LBB123_5:
	v_add_nc_u32_e32 v39, s7, v23
	s_add_co_i32 s16, s4, -1
	v_bfe_u32 v22, v0, 2, 8
	v_cvt_f64_i32_e32 v[2:3], s16
	v_dual_mov_b32 v25, 0 :: v_dual_lshlrev_b32 v20, 3, v27
	v_dual_add_nc_u32 v1, 8, v39 :: v_dual_bitop2_b32 v26, 7, v0 bitop3:0x40
	v_lshlrev_b32_e32 v21, 2, v27
	v_lshl_add_u32 v32, v23, 3, v22
	s_delay_alu instid0(VALU_DEP_4) | instskip(NEXT) | instid1(VALU_DEP_4)
	v_mad_u32_u24 v43, 0x104, v23, v20
	v_cvt_f64_u32_e32 v[6:7], v1
	v_dual_add_nc_u32 v1, 40, v39 :: v_dual_lshlrev_b32 v31, 2, v26
	v_dual_mov_b32 v21, v25 :: v_dual_bitop2_b32 v20, 28, v21 bitop3:0x40
	s_ashr_i32 s11, s10, 31
	s_delay_alu instid0(VALU_DEP_2) | instskip(SKIP_4) | instid1(VALU_DEP_4)
	v_cvt_f64_u32_e32 v[14:15], v1
	v_dual_add_nc_u32 v8, 16, v39 :: v_dual_bitop2_b32 v1, 3, v0 bitop3:0x40
	v_cvt_f64_u32_e32 v[4:5], v39
	v_dual_add_nc_u32 v10, 24, v39 :: v_dual_add_nc_u32 v12, 32, v39
	v_add_nc_u32_e32 v16, 48, v39
	v_cvt_f64_u32_e32 v[8:9], v8
	s_ashr_i32 s12, s5, 31
	s_lshr_b32 s11, s11, 27
	v_cvt_f64_u32_e32 v[12:13], v12
	v_cvt_f64_u32_e32 v[16:17], v16
	s_lshr_b32 s12, s12, 27
	s_add_co_i32 s17, s10, s11
	s_add_co_i32 s10, s5, s12
	s_ashr_i32 s5, s17, 5
	s_ashr_i32 s19, s10, 5
	v_mul_lo_u32 v38, s5, v23
	s_lshl_b32 s18, s5, 3
	v_cvt_f64_u32_e32 v[10:11], v10
	v_dual_add_nc_u32 v18, 56, v39 :: v_dual_bitop2_b32 v28, 31, v0 bitop3:0x40
	v_bfe_u32 v41, v0, 3, 7
	v_dual_lshlrev_b32 v29, 7, v23 :: v_dual_lshlrev_b32 v24, 2, v1
	s_delay_alu instid0(VALU_DEP_3)
	v_lshl_or_b32 v28, v28, 2, 0x8200
	v_min_num_f64_e32 v[6:7], v[6:7], v[2:3]
	v_cvt_f64_u32_e32 v[18:19], v18
	v_add_nc_u32_e32 v40, s18, v38
	v_lshl_add_u32 v30, v23, 2, v41
	v_add_nc_u32_e32 v33, 0x400, v29
	s_wait_xcnt 0x0
	s_load_b128 s[0:3], s[0:1], 0x0
	s_and_not1_b32 s17, s17, 31
	v_and_b32_e32 v0, 0xfc, v0
	v_mul_lo_u32 v62, s5, v30
	v_min_num_f64_e32 v[4:5], v[4:5], v[2:3]
	v_add_nc_u32_e32 v34, 0x800, v29
	s_mul_i32 s10, s5, s14
	v_add_nc_u32_e32 v208, 0x8200, v29
	v_min_num_f64_e32 v[8:9], v[8:9], v[2:3]
	s_ashr_i32 s11, s10, 31
	v_mov_b64_e32 v[36:37], 0
	s_mul_u64 s[12:13], s[10:11], 24
	s_movk_i32 s10, 0x80
	v_add_nc_u32_e32 v45, 0x820, v43
	v_add_nc_u32_e32 v47, 0x1040, v43
	;; [unrolled: 1-line block ×7, first 2 shown]
	s_wait_kmcnt 0x0
	v_add_nc_u64_e32 v[52:53], s[2:3], v[20:21]
	v_mov_b64_e32 v[20:21], 0
	v_add_nc_u32_e32 v61, 0x4100, v43
	v_add_nc_u32_e32 v63, 0x4920, v43
	;; [unrolled: 1-line block ×8, first 2 shown]
	v_mul_u32_u24_e32 v214, 0x104, v27
	v_lshl_add_u32 v215, v23, 4, 0xb280
	v_mad_u32_u24 v216, 0x104, v27, s10
	s_mov_b32 s11, 0
	s_add_co_i32 s15, s5, 3
	s_add_nc_u64 s[0:1], s[0:1], s[12:13]
	v_cvt_i32_f64_e32 v4, v[4:5]
	v_cvt_i32_f64_e32 v5, v[6:7]
	s_mov_b32 s10, s11
	v_add_nc_u32_e32 v207, v28, v29
	v_cvt_i32_f64_e32 v6, v[8:9]
	v_and_b32_e32 v9, 0x7fc, v30
	v_dual_add_nc_u32 v200, v28, v33 :: v_dual_add_nc_u32 v70, s17, v62
	s_delay_alu instid0(VALU_DEP_2) | instskip(NEXT) | instid1(VALU_DEP_2)
	v_add3_u32 v9, v9, v31, 0xa200
	v_add_nc_u32_e32 v74, s17, v70
	s_delay_alu instid0(VALU_DEP_1)
	v_add_nc_u32_e32 v78, s17, v74
	v_mul_lo_u32 v79, s19, v4
	v_mul_lo_u32 v184, s19, v5
	v_add_nc_u32_e32 v5, 0x60, v27
	v_add_nc_u32_e32 v4, 0x1400, v29
	v_mul_lo_u32 v185, s19, v6
	v_add_nc_u32_e32 v6, 64, v27
	v_dual_min_num_f64 v[12:13], v[12:13], v[2:3] :: v_dual_add_nc_u32 v42, s18, v40
	v_and_b32_e32 v5, 0x1fc, v5
	v_min_num_f64_e32 v[16:17], v[16:17], v[2:3]
	s_delay_alu instid0(VALU_DEP_4) | instskip(NEXT) | instid1(VALU_DEP_4)
	v_and_b32_e32 v6, 0x1fc, v6
	v_add_nc_u32_e32 v44, s18, v42
	s_delay_alu instid0(VALU_DEP_1) | instskip(NEXT) | instid1(VALU_DEP_1)
	v_dual_min_num_f64 v[14:15], v[14:15], v[2:3] :: v_dual_add_nc_u32 v46, s18, v44
	v_add_nc_u32_e32 v48, s18, v46
	s_delay_alu instid0(VALU_DEP_1) | instskip(NEXT) | instid1(VALU_DEP_1)
	v_add_nc_u32_e32 v50, s18, v48
	v_add_nc_u32_e32 v54, s18, v50
	s_delay_alu instid0(VALU_DEP_1)
	v_add_nc_u32_e32 v56, s18, v54
	v_cvt_i32_f64_e32 v8, v[12:13]
	v_add_nc_u32_e32 v12, 32, v30
	v_cvt_i32_f64_e32 v13, v[16:17]
	v_dual_min_num_f64 v[10:11], v[10:11], v[2:3] :: v_dual_bitop2_b32 v16, 63, v32 bitop3:0x40
	v_min_num_f64_e32 v[2:3], v[18:19], v[2:3]
	s_delay_alu instid0(VALU_DEP_4) | instskip(SKIP_1) | instid1(VALU_DEP_4)
	v_and_b32_e32 v17, 0xffc, v12
	v_lshlrev_b32_e32 v12, 5, v12
	v_or_b32_e32 v19, s7, v16
	v_add_nc_u32_e32 v58, s18, v56
	s_delay_alu instid0(VALU_DEP_4) | instskip(NEXT) | instid1(VALU_DEP_1)
	v_add3_u32 v17, v17, v31, 0xa200
	v_dual_add_nc_u32 v60, s18, v58 :: v_dual_add_nc_u32 v194, v17, v12
	s_delay_alu instid0(VALU_DEP_1) | instskip(NEXT) | instid1(VALU_DEP_1)
	v_add_nc_u32_e32 v64, s18, v60
	v_add_nc_u32_e32 v66, s18, v64
	s_delay_alu instid0(VALU_DEP_1) | instskip(SKIP_3) | instid1(VALU_DEP_4)
	v_add_nc_u32_e32 v68, s18, v66
	v_mul_lo_u32 v187, s19, v8
	v_add_nc_u32_e32 v8, 0x1800, v29
	v_mul_lo_u32 v189, s19, v13
	v_add_nc_u32_e32 v72, s18, v68
	v_cvt_i32_f64_e32 v7, v[10:11]
	v_cvt_i32_f64_e32 v11, v[14:15]
	v_lshlrev_b32_e32 v10, 5, v30
	v_cvt_i32_f64_e32 v2, v[2:3]
	v_lshl_or_b32 v3, v16, 4, v24
	v_add_nc_u32_e32 v15, 0x60, v30
	v_dual_add_nc_u32 v14, 64, v30 :: v_dual_min_i32 v16, s16, v19
	v_add_nc_u32_e32 v192, v9, v10
	s_delay_alu instid0(VALU_DEP_4) | instskip(SKIP_4) | instid1(VALU_DEP_4)
	v_add_nc_u32_e32 v75, 0xb280, v3
	v_add_nc_u32_e32 v3, 0x1000, v29
	v_and_b32_e32 v32, 0xffc, v15
	v_lshlrev_b32_e32 v15, 5, v15
	v_and_b32_e32 v18, 0xffc, v14
	v_dual_lshlrev_b32 v14, 5, v14 :: v_dual_add_nc_u32 v203, v28, v3
	s_delay_alu instid0(VALU_DEP_4) | instskip(SKIP_1) | instid1(VALU_DEP_4)
	v_add3_u32 v19, v32, v31, 0xa200
	v_mad_u32 v77, v16, s19, v1
	v_add3_u32 v18, v18, v31, 0xa200
	v_add_nc_u32_e32 v1, 0xc00, v29
	s_delay_alu instid0(VALU_DEP_4) | instskip(NEXT) | instid1(VALU_DEP_3)
	v_dual_add_nc_u32 v201, v28, v34 :: v_dual_add_nc_u32 v198, v19, v15
	v_dual_add_nc_u32 v205, v28, v8 :: v_dual_add_nc_u32 v196, v18, v14
	s_delay_alu instid0(VALU_DEP_3)
	v_add_nc_u32_e32 v202, v28, v1
	v_mov_b64_e32 v[34:35], 0
	v_mov_b64_e32 v[32:33], 0
	;; [unrolled: 1-line block ×7, first 2 shown]
	v_mul_lo_u32 v186, s19, v7
	v_mul_lo_u32 v188, s19, v11
	v_dual_lshlrev_b32 v11, 5, v27 :: v_dual_add_nc_u32 v7, 32, v27
	v_mul_lo_u32 v190, s19, v2
	s_delay_alu instid0(VALU_DEP_2) | instskip(NEXT) | instid1(VALU_DEP_3)
	v_dual_add_nc_u32 v76, s18, v72 :: v_dual_add_nc_u32 v2, v11, v5
	v_and_b32_e32 v13, 0x1fc, v7
	v_dual_add_nc_u32 v5, v11, v6 :: v_dual_add_nc_u32 v0, v11, v0
	v_lshrrev_b32_e32 v191, 3, v7
	s_delay_alu instid0(VALU_DEP_4) | instskip(NEXT) | instid1(VALU_DEP_4)
	v_add_nc_u32_e32 v193, 0xae00, v2
	v_add_nc_u32_e32 v6, v11, v13
	;; [unrolled: 1-line block ×12, first 2 shown]
	v_mov_b64_e32 v[6:7], 0
	v_mov_b64_e32 v[4:5], 0
	;; [unrolled: 1-line block ×7, first 2 shown]
	s_branch .LBB123_7
.LBB123_6:                              ;   in Loop: Header=BB123_7 Depth=1
	s_add_co_i32 s10, s10, 8
	s_add_co_i32 s15, s15, -8
	s_cmp_ge_i32 s10, s5
	s_cbranch_scc1 .LBB123_14
.LBB123_7:                              ; =>This Loop Header: Depth=1
                                        ;     Child Loop BB123_9 Depth 2
                                        ;     Child Loop BB123_12 Depth 2
	s_mul_u64 s[12:13], s[10:11], 24
	s_cmp_gt_u32 s15, 3
	s_add_nc_u64 s[12:13], s[0:1], s[12:13]
	s_delay_alu instid0(SALU_CYCLE_1) | instskip(NEXT) | instid1(VALU_DEP_1)
	v_mad_nc_u64_u32 v[80:81], v22, 24, s[12:13]
	v_mad_nc_u64_u32 v[82:83], v38, 24, v[80:81]
	;; [unrolled: 1-line block ×9, first 2 shown]
	v_add_nc_u64_e32 v[92:93], v[82:83], v[24:25]
	v_add_nc_u64_e32 v[94:95], v[84:85], v[24:25]
	;; [unrolled: 1-line block ×4, first 2 shown]
	s_clause 0x7
	global_load_b32 v106, v[92:93], off offset:8
	global_load_b32 v107, v[94:95], off offset:8
	;; [unrolled: 1-line block ×8, first 2 shown]
	s_wait_xcnt 0x0
	v_mad_nc_u64_u32 v[82:83], v56, 24, v[80:81]
	v_mad_nc_u64_u32 v[84:85], v58, 24, v[80:81]
	;; [unrolled: 1-line block ×4, first 2 shown]
	v_add_nc_u64_e32 v[92:93], v[90:91], v[24:25]
	v_add_nc_u64_e32 v[94:95], v[100:101], v[24:25]
	;; [unrolled: 1-line block ×4, first 2 shown]
	s_clause 0x7
	global_load_b32 v114, v[104:105], off offset:4
	global_load_b32 v115, v[102:103], off offset:4
	;; [unrolled: 1-line block ×8, first 2 shown]
	s_wait_xcnt 0x4
	v_add_nc_u64_e32 v[90:91], v[82:83], v[24:25]
	s_wait_xcnt 0x3
	v_add_nc_u64_e32 v[92:93], v[84:85], v[24:25]
	;; [unrolled: 2-line block ×3, first 2 shown]
	s_clause 0x6
	global_load_b32 v104, v[88:89], off offset:4
	global_load_b32 v105, v[86:87], off offset:4
	;; [unrolled: 1-line block ×7, first 2 shown]
	s_wait_xcnt 0x3
	v_mad_nc_u64_u32 v[82:83], v26, 24, s[12:13]
	v_add_nc_u64_e32 v[88:89], v[88:89], v[24:25]
	v_mad_nc_u64_u32 v[84:85], v66, 24, v[80:81]
	v_mad_nc_u64_u32 v[86:87], v68, 24, v[80:81]
	s_wait_xcnt 0x2
	v_mad_nc_u64_u32 v[90:91], v72, 24, v[80:81]
	v_mad_nc_u64_u32 v[80:81], v76, 24, v[80:81]
	global_load_b32 v127, v[88:89], off offset:8
	s_wait_xcnt 0x2
	v_mad_nc_u64_u32 v[92:93], v62, 24, v[82:83]
	s_wait_xcnt 0x1
	v_mad_nc_u64_u32 v[94:95], v70, 24, v[82:83]
	v_mad_nc_u64_u32 v[96:97], v74, 24, v[82:83]
	;; [unrolled: 1-line block ×3, first 2 shown]
	s_wait_xcnt 0x0
	v_add_nc_u64_e32 v[88:89], v[84:85], v[24:25]
	v_add_nc_u64_e32 v[98:99], v[86:87], v[24:25]
	;; [unrolled: 1-line block ×4, first 2 shown]
	s_clause 0xb
	global_load_b32 v128, v[92:93], off
	global_load_b32 v129, v[94:95], off
	;; [unrolled: 1-line block ×4, first 2 shown]
	global_load_b32 v132, v[88:89], off offset:8
	global_load_b32 v133, v[98:99], off offset:8
	;; [unrolled: 1-line block ×8, first 2 shown]
	s_wait_loadcnt 0x23
	s_wait_xcnt 0x8
	v_and_b32_e32 v82, 0xf0f0f0f, v106
	s_wait_loadcnt 0x22
	s_wait_xcnt 0x0
	v_and_b32_e32 v85, 0xf0f0f0f, v107
	s_wait_loadcnt 0x21
	v_and_b32_e32 v88, 0xf0f0f0f, v108
	s_wait_loadcnt 0x20
	;; [unrolled: 2-line block ×3, first 2 shown]
	v_dual_ashrrev_i32 v89, v24, v110 :: v_dual_lshrrev_b32 v90, 4, v109
	s_wait_loadcnt 0x1d
	v_dual_ashrrev_i32 v83, v24, v112 :: v_dual_lshrrev_b32 v84, 4, v107
	s_wait_loadcnt 0x1c
	v_dual_ashrrev_i32 v80, v24, v113 :: v_dual_lshrrev_b32 v81, 4, v106
	v_dual_ashrrev_i32 v86, v24, v111 :: v_dual_lshrrev_b32 v87, 4, v108
	s_wait_loadcnt 0x17
	v_dual_ashrrev_i32 v92, v24, v117 :: v_dual_lshrrev_b32 v93, 4, v118
	s_wait_loadcnt 0x16
	;; [unrolled: 2-line block ×7, first 2 shown]
	v_dual_ashrrev_i32 v105, v24, v105 :: v_dual_lshrrev_b32 v112, 4, v126
	v_dual_lshlrev_b32 v114, 4, v80 :: v_dual_lshlrev_b32 v115, 11, v80
	v_dual_lshrrev_b32 v116, 12, v80 :: v_dual_lshrrev_b32 v117, 5, v80
	v_and_b32_e32 v103, 0xf0f0f0f, v121
	v_dual_ashrrev_i32 v104, v24, v104 :: v_dual_lshlrev_b32 v121, 4, v83
	v_dual_lshlrev_b32 v122, 11, v83 :: v_dual_lshrrev_b32 v123, 12, v83
	v_and_b32_e32 v108, 0xf0f0f0f, v124
	v_and_b32_e32 v111, 0xf0f0f0f, v125
	;; [unrolled: 1-line block ×3, first 2 shown]
	v_dual_lshrrev_b32 v124, 5, v83 :: v_dual_lshlrev_b32 v125, 2, v83
	v_dual_lshlrev_b32 v126, 18, v83 :: v_dual_lshlrev_b32 v140, 9, v83
	v_dual_lshlrev_b32 v83, 25, v83 :: v_dual_lshlrev_b32 v141, 4, v86
	v_dual_lshlrev_b32 v142, 11, v86 :: v_dual_lshrrev_b32 v143, 12, v86
	v_dual_lshrrev_b32 v144, 5, v86 :: v_dual_lshlrev_b32 v145, 2, v86
	v_dual_lshlrev_b32 v146, 18, v86 :: v_dual_lshlrev_b32 v147, 9, v86
	v_dual_lshlrev_b32 v86, 25, v86 :: v_dual_lshlrev_b32 v148, 4, v89
	v_dual_lshlrev_b32 v149, 11, v89 :: v_dual_lshrrev_b32 v150, 12, v89
	;; [unrolled: 4-line block ×3, first 2 shown]
	v_and_b32_e32 v81, 0xf0f0f0f, v81
	v_dual_lshrrev_b32 v158, 5, v92 :: v_dual_lshlrev_b32 v159, 2, v92
	v_dual_lshlrev_b32 v160, 18, v92 :: v_dual_lshlrev_b32 v161, 9, v92
	v_dual_lshlrev_b32 v92, 25, v92 :: v_dual_lshlrev_b32 v162, 4, v95
	v_dual_lshlrev_b32 v163, 11, v95 :: v_dual_lshrrev_b32 v164, 12, v95
	v_dual_lshrrev_b32 v165, 5, v95 :: v_dual_lshlrev_b32 v166, 2, v95
	v_dual_lshlrev_b32 v167, 18, v95 :: v_dual_lshlrev_b32 v168, 9, v95
	v_dual_lshlrev_b32 v95, 25, v95 :: v_dual_lshlrev_b32 v169, 4, v98
	v_dual_lshlrev_b32 v170, 11, v98 :: v_dual_lshrrev_b32 v171, 12, v98
	;; [unrolled: 4-line block ×5, first 2 shown]
	v_dual_lshrrev_b32 v226, 5, v109 :: v_dual_lshlrev_b32 v227, 2, v109
	v_dual_lshlrev_b32 v228, 18, v109 :: v_dual_lshlrev_b32 v229, 9, v109
	v_dual_lshlrev_b32 v109, 25, v109 :: v_dual_bitop2_b32 v116, 16, v116 bitop3:0x40
	v_dual_lshlrev_b32 v236, 9, v105 :: v_dual_bitop2_b32 v114, 16, v114 bitop3:0x40
	v_and_b32_e32 v84, 0xf0f0f0f, v84
	v_and_b32_e32 v123, 16, v123
	;; [unrolled: 1-line block ×15, first 2 shown]
	v_dual_lshlrev_b32 v118, 2, v80 :: v_dual_lshlrev_b32 v119, 18, v80
	v_and_b32_e32 v96, 0xf0f0f0f, v96
	v_and_b32_e32 v99, 0xf0f0f0f, v99
	;; [unrolled: 1-line block ×14, first 2 shown]
	v_or_b32_e32 v81, v116, v81
	v_or_b32_e32 v82, v114, v82
	v_and_b32_e32 v124, 0x1000, v124
	v_and_b32_e32 v122, 0x1000, v122
	v_or_b32_e32 v84, v123, v84
	v_or_b32_e32 v85, v121, v85
	v_and_b32_e32 v144, 0x1000, v144
	v_and_b32_e32 v142, 0x1000, v142
	v_or_b32_e32 v87, v143, v87
	v_or_b32_e32 v88, v141, v88
	v_and_b32_e32 v151, 0x1000, v151
	v_and_b32_e32 v149, 0x1000, v149
	v_or_b32_e32 v90, v150, v90
	v_or_b32_e32 v91, v148, v91
	v_and_b32_e32 v158, 0x1000, v158
	v_and_b32_e32 v156, 0x1000, v156
	v_or_b32_e32 v93, v157, v93
	v_dual_lshlrev_b32 v120, 9, v80 :: v_dual_bitop2_b32 v94, v155, v94 bitop3:0x54
	v_lshlrev_b32_e32 v80, 25, v80
	v_and_b32_e32 v118, 0x100000, v118
	v_and_b32_e32 v119, 0x100000, v119
	v_and_b32_e32 v165, 0x1000, v165
	v_and_b32_e32 v163, 0x1000, v163
	v_and_b32_e32 v172, 0x1000, v172
	v_and_b32_e32 v170, 0x1000, v170
	v_and_b32_e32 v179, 0x1000, v179
	v_and_b32_e32 v177, 0x1000, v177
	v_and_b32_e32 v219, 0x1000, v219
	v_and_b32_e32 v217, 0x1000, v217
	v_or_b32_e32 v96, v164, v96
	v_or_b32_e32 v97, v162, v97
	v_or_b32_e32 v99, v171, v99
	v_or_b32_e32 v100, v169, v100
	v_or_b32_e32 v102, v178, v102
	v_or_b32_e32 v103, v176, v103
	v_or_b32_e32 v107, v218, v107
	v_or_b32_e32 v108, v183, v108
	v_or_b32_e32 v81, v81, v117
	v_dual_lshlrev_b32 v230, 4, v105 :: v_dual_bitop2_b32 v82, v82, v115 bitop3:0x54
	v_dual_lshlrev_b32 v231, 11, v105 :: v_dual_lshrrev_b32 v232, 12, v105
	v_lshrrev_b32_e32 v233, 5, v105
	v_and_b32_e32 v125, 0x100000, v125
	v_and_b32_e32 v126, 0x100000, v126
	v_or_b32_e32 v84, v84, v124
	v_or_b32_e32 v85, v85, v122
	v_and_b32_e32 v145, 0x100000, v145
	v_and_b32_e32 v146, 0x100000, v146
	v_or_b32_e32 v87, v87, v144
	v_or_b32_e32 v88, v88, v142
	;; [unrolled: 4-line block ×4, first 2 shown]
	v_and_b32_e32 v110, 0xf0f0f0f, v110
	v_and_b32_e32 v120, 0x10000000, v120
	;; [unrolled: 1-line block ×13, first 2 shown]
	v_or_b32_e32 v96, v96, v165
	v_or_b32_e32 v97, v97, v163
	;; [unrolled: 1-line block ×10, first 2 shown]
	v_and_b32_e32 v112, 0xf0f0f0f, v112
	v_and_b32_e32 v140, 0x10000000, v140
	v_and_b32_e32 v83, 0x10000000, v83
	v_and_b32_e32 v232, 16, v232
	v_and_b32_e32 v230, 16, v230
	v_or_b32_e32 v84, v84, v125
	v_or_b32_e32 v85, v85, v126
	v_and_b32_e32 v147, 0x10000000, v147
	v_and_b32_e32 v86, 0x10000000, v86
	v_or_b32_e32 v87, v87, v145
	v_or_b32_e32 v88, v88, v146
	v_and_b32_e32 v154, 0x10000000, v154
	v_and_b32_e32 v89, 0x10000000, v89
	;; [unrolled: 4-line block ×4, first 2 shown]
	v_and_b32_e32 v175, 0x10000000, v175
	v_and_b32_e32 v98, 0x10000000, v98
	;; [unrolled: 1-line block ×8, first 2 shown]
	v_or_b32_e32 v110, v225, v110
	v_or_b32_e32 v111, v223, v111
	;; [unrolled: 1-line block ×11, first 2 shown]
	v_dual_lshlrev_b32 v234, 2, v105 :: v_dual_bitop2_b32 v80, v82, v80 bitop3:0x54
	v_lshlrev_b32_e32 v235, 18, v105
	v_and_b32_e32 v233, 0x1000, v233
	v_and_b32_e32 v231, 0x1000, v231
	v_or_b32_e32 v112, v232, v112
	v_or_b32_e32 v113, v230, v113
	;; [unrolled: 1-line block ×10, first 2 shown]
	v_and_b32_e32 v227, 0x100000, v227
	v_and_b32_e32 v228, 0x100000, v228
	v_or_b32_e32 v110, v110, v226
	v_or_b32_e32 v111, v111, v224
	;; [unrolled: 1-line block ×10, first 2 shown]
	ds_store_2addr_b32 v43, v80, v81 offset1:1
	ds_store_2addr_b32 v45, v83, v82 offset1:1
	;; [unrolled: 1-line block ×9, first 2 shown]
	s_wait_loadcnt 0xc
	v_dual_lshrrev_b32 v81, 4, v127 :: v_dual_lshrrev_b32 v83, 12, v104
	v_lshlrev_b32_e32 v84, 4, v104
	v_and_b32_e32 v234, 0x100000, v234
	v_and_b32_e32 v235, 0x100000, v235
	v_or_b32_e32 v112, v112, v233
	v_dual_lshlrev_b32 v80, 25, v105 :: v_dual_bitop2_b32 v113, v113, v231 bitop3:0x54
	v_and_b32_e32 v229, 0x10000000, v229
	v_and_b32_e32 v109, 0x10000000, v109
	v_or_b32_e32 v110, v110, v227
	v_or_b32_e32 v111, v111, v228
	v_and_b32_e32 v81, 0xf0f0f0f, v81
	v_and_b32_e32 v85, 0xf0f0f0f, v127
	;; [unrolled: 1-line block ×4, first 2 shown]
	v_dual_lshlrev_b32 v87, 11, v104 :: v_dual_bitop2_b32 v112, v112, v234 bitop3:0x54
	v_or_b32_e32 v113, v113, v235
	v_and_b32_e32 v82, 0x10000000, v236
	v_and_b32_e32 v80, 0x10000000, v80
	v_or_b32_e32 v98, v110, v229
	v_dual_lshrrev_b32 v86, 5, v104 :: v_dual_bitop2_b32 v99, v111, v109 bitop3:0x54
	v_or_b32_e32 v81, v83, v81
	v_or_b32_e32 v83, v84, v85
	v_and_b32_e32 v85, 0x1000, v87
	v_dual_lshlrev_b32 v87, 18, v104 :: v_dual_bitop2_b32 v82, v112, v82 bitop3:0x54
	v_or_b32_e32 v80, v113, v80
	v_and_b32_e32 v84, 0x1000, v86
	s_delay_alu instid0(VALU_DEP_4) | instskip(NEXT) | instid1(VALU_DEP_4)
	v_dual_lshlrev_b32 v86, 2, v104 :: v_dual_bitop2_b32 v83, v83, v85 bitop3:0x54
	v_and_b32_e32 v85, 0x100000, v87
	ds_store_2addr_b32 v63, v99, v98 offset1:1
	ds_store_2addr_b32 v65, v80, v82 offset1:1
	s_wait_loadcnt 0x0
	v_dual_ashrrev_i32 v80, v24, v139 :: v_dual_bitop2_b32 v81, v81, v84 bitop3:0x54
	v_and_b32_e32 v84, 0x100000, v86
	v_dual_lshrrev_b32 v83, 4, v132 :: v_dual_bitop2_b32 v82, v83, v85 bitop3:0x54
	s_delay_alu instid0(VALU_DEP_3) | instskip(NEXT) | instid1(VALU_DEP_3)
	v_dual_lshrrev_b32 v85, 12, v80 :: v_dual_lshlrev_b32 v86, 4, v80
	v_or_b32_e32 v81, v81, v84
	v_lshlrev_b32_e32 v84, 9, v104
	s_delay_alu instid0(VALU_DEP_4)
	v_and_b32_e32 v83, 0xf0f0f0f, v83
	v_and_b32_e32 v88, 0xf0f0f0f, v132
	;; [unrolled: 1-line block ×3, first 2 shown]
	v_dual_lshrrev_b32 v89, 5, v80 :: v_dual_bitop2_b32 v86, 16, v86 bitop3:0x40
	v_lshlrev_b32_e32 v90, 11, v80
	v_and_b32_e32 v84, 0x10000000, v84
	s_delay_alu instid0(VALU_DEP_4) | instskip(NEXT) | instid1(VALU_DEP_4)
	v_or_b32_e32 v83, v85, v83
	v_or_b32_e32 v85, v86, v88
	v_and_b32_e32 v86, 0x1000, v89
	v_and_b32_e32 v88, 0x1000, v90
	v_dual_lshlrev_b32 v89, 2, v80 :: v_dual_lshlrev_b32 v90, 18, v80
	s_delay_alu instid0(VALU_DEP_3) | instskip(NEXT) | instid1(VALU_DEP_3)
	v_dual_lshlrev_b32 v87, 25, v104 :: v_dual_bitop2_b32 v83, v83, v86 bitop3:0x54
	v_or_b32_e32 v85, v85, v88
	s_delay_alu instid0(VALU_DEP_3) | instskip(NEXT) | instid1(VALU_DEP_4)
	v_and_b32_e32 v86, 0x100000, v89
	v_and_b32_e32 v88, 0x100000, v90
	v_dual_ashrrev_i32 v84, v24, v138 :: v_dual_bitop2_b32 v81, v81, v84 bitop3:0x54
	v_and_b32_e32 v87, 0x10000000, v87
	s_delay_alu instid0(VALU_DEP_4) | instskip(NEXT) | instid1(VALU_DEP_4)
	v_or_b32_e32 v83, v83, v86
	v_dual_lshrrev_b32 v86, 4, v133 :: v_dual_bitop2_b32 v85, v85, v88 bitop3:0x54
	s_delay_alu instid0(VALU_DEP_4) | instskip(NEXT) | instid1(VALU_DEP_4)
	v_dual_lshrrev_b32 v88, 12, v84 :: v_dual_lshlrev_b32 v89, 4, v84
	v_dual_lshlrev_b32 v87, 9, v80 :: v_dual_bitop2_b32 v82, v82, v87 bitop3:0x54
	v_lshlrev_b32_e32 v80, 25, v80
	s_delay_alu instid0(VALU_DEP_4)
	v_and_b32_e32 v86, 0xf0f0f0f, v86
	v_and_b32_e32 v90, 0xf0f0f0f, v133
	;; [unrolled: 1-line block ×3, first 2 shown]
	v_dual_lshlrev_b32 v92, 11, v84 :: v_dual_bitop2_b32 v89, 16, v89 bitop3:0x40
	v_lshrrev_b32_e32 v91, 5, v84
	v_and_b32_e32 v80, 0x10000000, v80
	s_delay_alu instid0(VALU_DEP_4) | instskip(NEXT) | instid1(VALU_DEP_4)
	v_or_b32_e32 v86, v88, v86
	v_or_b32_e32 v88, v89, v90
	v_and_b32_e32 v90, 0x1000, v92
	v_lshlrev_b32_e32 v92, 18, v84
	v_and_b32_e32 v87, 0x10000000, v87
	v_and_b32_e32 v89, 0x1000, v91
	s_delay_alu instid0(VALU_DEP_4) | instskip(NEXT) | instid1(VALU_DEP_4)
	v_dual_lshlrev_b32 v91, 2, v84 :: v_dual_bitop2_b32 v88, v88, v90 bitop3:0x54
	v_and_b32_e32 v90, 0x100000, v92
	v_dual_ashrrev_i32 v85, v24, v137 :: v_dual_bitop2_b32 v80, v85, v80 bitop3:0x54
	s_delay_alu instid0(VALU_DEP_4) | instskip(NEXT) | instid1(VALU_DEP_4)
	v_or_b32_e32 v86, v86, v89
	v_and_b32_e32 v89, 0x100000, v91
	v_or_b32_e32 v83, v83, v87
	v_or_b32_e32 v87, v88, v90
	v_dual_lshrrev_b32 v88, 4, v134 :: v_dual_lshrrev_b32 v90, 12, v85
	v_lshlrev_b32_e32 v91, 4, v85
	v_and_b32_e32 v92, 0xf0f0f0f, v134
	v_lshrrev_b32_e32 v93, 5, v85
	s_delay_alu instid0(VALU_DEP_4) | instskip(SKIP_3) | instid1(VALU_DEP_3)
	v_and_b32_e32 v88, 0xf0f0f0f, v88
	v_and_b32_e32 v90, 16, v90
	v_dual_lshlrev_b32 v94, 11, v85 :: v_dual_bitop2_b32 v91, 16, v91 bitop3:0x40
	v_dual_lshlrev_b32 v89, 9, v84 :: v_dual_bitop2_b32 v86, v86, v89 bitop3:0x54
	v_or_b32_e32 v88, v90, v88
	s_delay_alu instid0(VALU_DEP_3)
	v_or_b32_e32 v90, v91, v92
	v_and_b32_e32 v91, 0x1000, v93
	v_lshlrev_b32_e32 v92, 2, v85
	v_and_b32_e32 v93, 0x1000, v94
	v_lshlrev_b32_e32 v94, 18, v85
	v_and_b32_e32 v89, 0x10000000, v89
	v_or_b32_e32 v88, v88, v91
	v_and_b32_e32 v91, 0x100000, v92
	v_or_b32_e32 v90, v90, v93
	v_and_b32_e32 v92, 0x100000, v94
	v_dual_ashrrev_i32 v93, v24, v136 :: v_dual_bitop2_b32 v86, v86, v89 bitop3:0x54
	s_delay_alu instid0(VALU_DEP_4) | instskip(NEXT) | instid1(VALU_DEP_3)
	v_or_b32_e32 v88, v88, v91
	v_dual_lshrrev_b32 v89, 4, v135 :: v_dual_bitop2_b32 v90, v90, v92 bitop3:0x54
	s_delay_alu instid0(VALU_DEP_3) | instskip(SKIP_1) | instid1(VALU_DEP_3)
	v_dual_lshrrev_b32 v91, 12, v93 :: v_dual_lshlrev_b32 v92, 4, v93
	v_and_b32_e32 v95, 0xf0f0f0f, v135
	v_and_b32_e32 v89, 0xf0f0f0f, v89
	s_delay_alu instid0(VALU_DEP_3) | instskip(NEXT) | instid1(VALU_DEP_4)
	v_dual_lshrrev_b32 v96, 5, v93 :: v_dual_bitop2_b32 v91, 16, v91 bitop3:0x40
	v_dual_lshlrev_b32 v97, 11, v93 :: v_dual_bitop2_b32 v92, 16, v92 bitop3:0x40
	v_dual_lshlrev_b32 v84, 25, v84 :: v_dual_lshlrev_b32 v94, 9, v85
	s_delay_alu instid0(VALU_DEP_3) | instskip(NEXT) | instid1(VALU_DEP_3)
	v_or_b32_e32 v89, v91, v89
	v_or_b32_e32 v91, v92, v95
	v_and_b32_e32 v92, 0x1000, v96
	v_and_b32_e32 v95, 0x1000, v97
	v_dual_lshlrev_b32 v96, 2, v93 :: v_dual_lshlrev_b32 v97, 18, v93
	s_delay_alu instid0(VALU_DEP_3) | instskip(NEXT) | instid1(VALU_DEP_3)
	v_dual_lshlrev_b32 v85, 25, v85 :: v_dual_bitop2_b32 v89, v89, v92 bitop3:0x54
	v_or_b32_e32 v91, v91, v95
	s_delay_alu instid0(VALU_DEP_3) | instskip(NEXT) | instid1(VALU_DEP_4)
	v_and_b32_e32 v92, 0x100000, v96
	v_and_b32_e32 v95, 0x100000, v97
	v_dual_lshlrev_b32 v96, 9, v93 :: v_dual_lshlrev_b32 v93, 25, v93
	v_and_b32_e32 v84, 0x10000000, v84
	v_and_b32_e32 v94, 0x10000000, v94
	v_and_b32_e32 v85, 0x10000000, v85
	v_or_b32_e32 v89, v89, v92
	v_or_b32_e32 v91, v91, v95
	v_and_b32_e32 v92, 0x10000000, v96
	v_and_b32_e32 v93, 0x10000000, v93
	v_or_b32_e32 v84, v87, v84
	v_or_b32_e32 v87, v88, v94
	;; [unrolled: 1-line block ×5, first 2 shown]
	ds_store_2addr_b32 v67, v82, v81 offset1:1
	ds_store_2addr_b32 v69, v80, v83 offset1:1
	;; [unrolled: 1-line block ×5, first 2 shown]
	ds_store_b32 v192, v128
	ds_store_b32 v194, v129
	;; [unrolled: 1-line block ×4, first 2 shown]
	s_cbranch_scc0 .LBB123_6
; %bb.8:                                ;   in Loop: Header=BB123_7 Depth=1
	v_dual_add_nc_u32 v82, s10, v41 :: v_dual_mov_b32 v218, v208
	v_dual_add_nc_u32 v217, s10, v77 :: v_dual_mov_b32 v219, v214
	s_mov_b32 s12, -4
	s_delay_alu instid0(VALU_DEP_2) | instskip(SKIP_2) | instid1(VALU_DEP_3)
	v_dual_add_nc_u32 v80, v82, v79 :: v_dual_mov_b32 v220, v215
	v_dual_mov_b32 v221, v199 :: v_dual_mov_b32 v222, v197
	v_mov_b32_e32 v223, v195
	v_mad_nc_i64_i32 v[80:81], v80, 36, v[52:53]
	v_mov_b32_e32 v224, v193
	global_load_b32 v80, v[80:81], off offset:4
	s_wait_loadcnt 0x0
	ds_store_b32 v207, v80
	v_add_nc_u32_e32 v80, v82, v184
	s_delay_alu instid0(VALU_DEP_1) | instskip(SKIP_4) | instid1(VALU_DEP_1)
	v_mad_nc_i64_i32 v[80:81], v80, 36, v[52:53]
	global_load_b32 v80, v[80:81], off offset:4
	s_wait_loadcnt 0x0
	ds_store_b32 v200, v80
	v_add_nc_u32_e32 v80, v82, v185
	v_mad_nc_i64_i32 v[80:81], v80, 36, v[52:53]
	global_load_b32 v80, v[80:81], off offset:4
	s_wait_loadcnt 0x0
	ds_store_b32 v201, v80
	v_add_nc_u32_e32 v80, v82, v186
	s_delay_alu instid0(VALU_DEP_1) | instskip(SKIP_4) | instid1(VALU_DEP_1)
	v_mad_nc_i64_i32 v[80:81], v80, 36, v[52:53]
	global_load_b32 v80, v[80:81], off offset:4
	s_wait_loadcnt 0x0
	ds_store_b32 v202, v80
	v_add_nc_u32_e32 v80, v82, v187
	v_mad_nc_i64_i32 v[80:81], v80, 36, v[52:53]
	;; [unrolled: 11-line block ×3, first 2 shown]
	global_load_b32 v80, v[80:81], off offset:4
	s_wait_loadcnt 0x0
	ds_store_b32 v205, v80
	v_add_nc_u32_e32 v80, v82, v190
	s_delay_alu instid0(VALU_DEP_1)
	v_mad_nc_i64_i32 v[80:81], v80, 36, v[52:53]
	global_load_b32 v80, v[80:81], off offset:4
	s_wait_loadcnt 0x0
	ds_store_b32 v206, v80
	v_mad_nc_u64_u32 v[80:81], v217, 36, s[2:3]
	global_load_b32 v80, v[80:81], off
	s_wait_loadcnt 0x0
	ds_store_b32 v75, v80
	s_wait_dscnt 0x0
	s_barrier_signal -1
	s_barrier_wait -1
.LBB123_9:                              ;   Parent Loop BB123_7 Depth=1
                                        ; =>  This Inner Loop Header: Depth=2
	ds_load_b32 v226, v223
	ds_load_b32 v225, v224
	ds_load_2addr_b32 v[82:83], v220 offset0:64 offset1:96
	ds_load_2addr_b32 v[104:105], v220 offset0:128 offset1:160
	ds_load_b32 v233, v222
	ds_load_2addr_b32 v[116:117], v220 offset1:32
	ds_load_b32 v234, v221
	ds_load_2addr_b32 v[126:127], v220 offset0:192 offset1:224
	ds_load_2addr_b32 v[80:81], v219 offset1:1
	ds_load_2addr_b32 v[106:107], v219 offset0:2 offset1:3
	ds_load_2addr_b32 v[136:137], v219 offset0:4 offset1:5
	;; [unrolled: 1-line block ×6, first 2 shown]
	ds_load_2addr_b32 v[112:113], v218 offset1:7
	v_add_nc_u32_e32 v84, 0x6180, v219
	v_add_nc_u32_e32 v91, 0x80c, v218
	;; [unrolled: 1-line block ×40, first 2 shown]
	ds_load_2addr_b32 v[84:85], v84 offset1:1
	ds_load_2addr_b32 v[118:119], v91 offset1:1
	;; [unrolled: 1-line block ×40, first 2 shown]
	s_wait_dscnt 0x2a
	s_set_vgpr_msb 64                       ;  msbs: dst=1 src0=0 src1=0 src2=0
	v_dual_lshlrev_b32 v23 /*v279*/, 8, v158 :: v_dual_lshlrev_b32 v24 /*v280*/, 16, v159
	v_dual_lshlrev_b32 v25 /*v281*/, 8, v159 :: v_dual_lshlrev_b32 v26 /*v282*/, 16, v158
	s_wait_dscnt 0x26
	v_dual_ashrrev_i32 v38 /*v294*/, 24, v85 :: v_dual_lshlrev_b32 v41 /*v297*/, 8, v119
	s_wait_dscnt 0x24
	v_dual_ashrrev_i32 v42 /*v298*/, 24, v119 :: v_dual_lshlrev_b32 v43 /*v299*/, 16, v166
	v_dual_lshlrev_b32 v15 /*v271*/, 8, v165 :: v_dual_lshlrev_b32 v16 /*v272*/, 16, v164
	v_dual_lshlrev_b32 v17 /*v273*/, 8, v164 :: v_dual_lshlrev_b32 v18 /*v274*/, 16, v165
	v_bfe_i32 v37 /*v293*/, v85, 0, 8
	v_bfe_i32 v39 /*v295*/, v119, 0, 8
	s_wait_dscnt 0x1a
	v_dual_lshlrev_b32 v55 /*v311*/, 16, v171 :: v_dual_ashrrev_i32 v59 /*v315*/, 24, v121
	s_wait_dscnt 0x13
	v_dual_ashrrev_i32 v58 /*v314*/, 24, v91 :: v_dual_ashrrev_i32 v64 /*v320*/, 24, v89
	s_set_vgpr_msb 0x44                     ;  msbs: dst=1 src0=0 src1=1 src2=0
	v_perm_b32 v23 /*v279*/, v158, v23 /*v279*/, 0x7030c04
	s_set_vgpr_msb 4                        ;  msbs: dst=0 src0=0 src1=1 src2=0
	v_perm_b32 v158, v159, v25 /*v281*/, 0xc0c0703
	s_set_vgpr_msb 0x45                     ;  msbs: dst=1 src0=1 src1=1 src2=0
	v_mul_i32_i24_e32 v25 /*v281*/, v42 /*v298*/, v38 /*v294*/
	s_set_vgpr_msb 64                       ;  msbs: dst=1 src0=0 src1=0 src2=0
	v_dual_lshlrev_b32 v19 /*v275*/, 8, v160 :: v_dual_lshlrev_b32 v20 /*v276*/, 16, v161
	v_bfe_i32 v60 /*v316*/, v91, 0, 8
	v_bfe_i32 v61 /*v317*/, v121, 0, 8
	s_wait_dscnt 0x10
	v_dual_ashrrev_i32 v67 /*v323*/, 24, v125 :: v_dual_lshlrev_b32 v69 /*v325*/, 8, v125
	v_dual_lshlrev_b32 v70 /*v326*/, 16, v125 :: v_dual_ashrrev_i32 v71 /*v327*/, 24, v115
	s_set_vgpr_msb 0x44                     ;  msbs: dst=1 src0=0 src1=1 src2=0
	v_perm_b32 v15 /*v271*/, v165, v15 /*v271*/, 0x7030c04
	s_set_vgpr_msb 1                        ;  msbs: dst=0 src0=1 src1=0 src2=0
	v_perm_b32 v165, v16 /*v272*/, v164, 0xc0c0700
	s_set_vgpr_msb 4                        ;  msbs: dst=0 src0=0 src1=1 src2=0
	v_perm_b32 v164, v164, v17 /*v273*/, 0xc0c0703
	s_wait_dscnt 0xc
	s_set_vgpr_msb 64                       ;  msbs: dst=1 src0=0 src1=0 src2=0
	v_ashrrev_i32_e32 v17 /*v273*/, 24, v123
	s_set_vgpr_msb 0x55                     ;  msbs: dst=1 src0=1 src1=1 src2=1
	v_mad_i32_i24 v25 /*v281*/, v39 /*v295*/, v37 /*v293*/, v25 /*v281*/
	v_mul_i32_i24_e32 v37 /*v293*/, v59 /*v315*/, v58 /*v314*/
	v_mul_i32_i24_e32 v38 /*v294*/, v42 /*v298*/, v58 /*v314*/
	s_set_vgpr_msb 64                       ;  msbs: dst=1 src0=0 src1=0 src2=0
	v_pk_mul_f16 v12 /*v268*/, v225, v82
	v_pk_mul_f16 v6 /*v262*/, v116, v234
	;; [unrolled: 1-line block ×5, first 2 shown]
	s_set_vgpr_msb 0                        ;  msbs: dst=0 src0=0 src1=0 src2=0
	v_pk_mul_f16 v227, v234, v82
	v_pk_mul_f16 v230, v234, v83
	;; [unrolled: 1-line block ×8, first 2 shown]
	s_set_vgpr_msb 64                       ;  msbs: dst=1 src0=0 src1=0 src2=0
	v_pk_mul_f16 v0 /*v256*/, v234, v127
	s_set_vgpr_msb 0                        ;  msbs: dst=0 src0=0 src1=0 src2=0
	v_pk_mul_f16 v245, v225, v126
	v_pk_mul_f16 v246, v225, v127
	s_set_vgpr_msb 64                       ;  msbs: dst=1 src0=0 src1=0 src2=0
	v_dual_lshlrev_b32 v21 /*v277*/, 8, v161 :: v_dual_lshlrev_b32 v22 /*v278*/, 16, v160
	s_set_vgpr_msb 0                        ;  msbs: dst=0 src0=0 src1=0 src2=0
	v_perm_b32 v241, v135, v134, 0x7020100
	s_set_vgpr_msb 64                       ;  msbs: dst=1 src0=0 src1=0 src2=0
	v_perm_b32 v34 /*v290*/, v80, v135, 0x4020c0c
	v_perm_b32 v35 /*v291*/, v135, v135, 0xc0c0100
	s_set_vgpr_msb 0                        ;  msbs: dst=0 src0=0 src1=0 src2=0
	v_perm_b32 v238, v135, v135, 0x6010007
	s_set_vgpr_msb 64                       ;  msbs: dst=1 src0=0 src1=0 src2=0
	v_dual_lshlrev_b32 v36 /*v292*/, 8, v113 :: v_dual_lshlrev_b32 v40 /*v296*/, 16, v119
	s_set_vgpr_msb 0                        ;  msbs: dst=0 src0=0 src1=0 src2=0
	v_bfe_i32 v234, v135, 0, 8
	v_perm_b32 v225, v135, v135, 0xc070601
	s_set_vgpr_msb 64                       ;  msbs: dst=1 src0=0 src1=0 src2=0
	v_dual_lshlrev_b32 v48 /*v304*/, 8, v167 :: v_dual_lshlrev_b32 v49 /*v305*/, 16, v121
	v_dual_lshlrev_b32 v11 /*v267*/, 8, v147 :: v_dual_lshlrev_b32 v50 /*v306*/, 8, v121
	v_bfe_i32 v65 /*v321*/, v89, 0, 8
	v_bfe_i32 v68 /*v324*/, v125, 0, 8
	;; [unrolled: 1-line block ×3, first 2 shown]
	s_set_vgpr_msb 4                        ;  msbs: dst=0 src0=0 src1=1 src2=0
	v_perm_b32 v160, v160, v19 /*v275*/, 0x7030c04
	s_set_vgpr_msb 0x41                     ;  msbs: dst=1 src0=1 src1=0 src2=0
	v_perm_b32 v19 /*v275*/, v20 /*v276*/, v161, 0xc0c0700
	s_set_vgpr_msb 64                       ;  msbs: dst=1 src0=0 src1=0 src2=0
	v_bfe_i32 v20 /*v276*/, v123, 0, 8
	s_set_vgpr_msb 1                        ;  msbs: dst=0 src0=1 src1=0 src2=0
	v_perm_b32 v135, v24 /*v280*/, v159, 0xc0c0700
	s_set_vgpr_msb 64                       ;  msbs: dst=1 src0=0 src1=0 src2=0
	v_lshlrev_b32_e32 v24 /*v280*/, 8, v123
	s_set_vgpr_msb 0x55                     ;  msbs: dst=1 src0=1 src1=1 src2=1
	v_mad_i32_i24 v37 /*v293*/, v61 /*v317*/, v60 /*v316*/, v37 /*v293*/
	v_mad_i32_i24 v38 /*v294*/, v39 /*v295*/, v60 /*v316*/, v38 /*v294*/
	v_mul_i32_i24_e32 v42 /*v298*/, v42 /*v298*/, v64 /*v320*/
	v_mul_i32_i24_e32 v60 /*v316*/, v67 /*v323*/, v64 /*v320*/
	;; [unrolled: 1-line block ×5, first 2 shown]
	s_set_vgpr_msb 0                        ;  msbs: dst=0 src0=0 src1=0 src2=0
	v_add_nc_u32_e32 v218, 32, v218
	s_set_vgpr_msb 64                       ;  msbs: dst=1 src0=0 src1=0 src2=0
	v_pk_mul_f16 v10 /*v266*/, v233, v82
	s_set_vgpr_msb 0                        ;  msbs: dst=0 src0=0 src1=0 src2=0
	v_pk_mul_f16 v252, v116, v233
	s_set_vgpr_msb 64                       ;  msbs: dst=1 src0=0 src1=0 src2=0
	v_pk_mul_f16 v2 /*v258*/, v116, v226
	s_set_vgpr_msb 0                        ;  msbs: dst=0 src0=0 src1=0 src2=0
	v_pk_mul_f16 v116, v226, v82
	v_ashrrev_i32_e32 v82, 24, v81
	s_set_vgpr_msb 4                        ;  msbs: dst=0 src0=0 src1=1 src2=0
	v_perm_b32 v161, v161, v21 /*v277*/, 0xc0c0703
	s_set_vgpr_msb 64                       ;  msbs: dst=1 src0=0 src1=0 src2=0
	v_lshlrev_b32_e32 v21 /*v277*/, 8, v115
	s_set_vgpr_msb 0                        ;  msbs: dst=0 src0=0 src1=0 src2=0
	v_lshlrev_b32_e32 v159, 16, v115
	s_set_vgpr_msb 0x55                     ;  msbs: dst=1 src0=1 src1=1 src2=1
	v_mad_i32_i24 v39 /*v295*/, v39 /*v295*/, v65 /*v321*/, v42 /*v298*/
	s_wait_dscnt 0x9
	s_set_vgpr_msb 64                       ;  msbs: dst=1 src0=0 src1=0 src2=0
	v_ashrrev_i32_e32 v42 /*v298*/, 24, v109
	s_set_vgpr_msb 0x55                     ;  msbs: dst=1 src0=1 src1=1 src2=1
	v_mad_i32_i24 v60 /*v316*/, v68 /*v324*/, v65 /*v321*/, v60 /*v316*/
	s_set_vgpr_msb 0x44                     ;  msbs: dst=1 src0=0 src1=1 src2=0
	v_perm_b32 v68 /*v324*/, v166, v41 /*v297*/, 0x407030c
	s_set_vgpr_msb 0x55                     ;  msbs: dst=1 src0=1 src1=1 src2=1
	v_mad_i32_i24 v16 /*v272*/, v16 /*v272*/, v65 /*v321*/, v67 /*v323*/
	v_perm_b32 v67 /*v323*/, v40 /*v296*/, v40 /*v296*/, 0xc0c0c03
	v_mad_i32_i24 v17 /*v273*/, v20 /*v276*/, v65 /*v321*/, v17 /*v273*/
	s_set_vgpr_msb 0x44                     ;  msbs: dst=1 src0=0 src1=1 src2=0
	v_perm_b32 v20 /*v276*/, v170, v50 /*v306*/, 0x407030c
	s_set_vgpr_msb 0x55                     ;  msbs: dst=1 src0=1 src1=1 src2=1
	v_mad_i32_i24 v59 /*v315*/, v61 /*v317*/, v65 /*v321*/, v59 /*v315*/
	v_perm_b32 v61 /*v317*/, v49 /*v305*/, v49 /*v305*/, 0xc0c0c03
	s_set_vgpr_msb 64                       ;  msbs: dst=1 src0=0 src1=0 src2=0
	v_perm_b32 v56 /*v312*/, v180, v85, 0x4070201
	v_lshlrev_b32_e32 v58 /*v314*/, 16, v123
	s_set_vgpr_msb 0x44                     ;  msbs: dst=1 src0=0 src1=1 src2=0
	v_perm_b32 v65 /*v321*/, v178, v69 /*v325*/, 0x407030c
	s_set_vgpr_msb 1                        ;  msbs: dst=0 src0=1 src1=0 src2=0
	v_mul_i32_i24_e32 v82, v42 /*v298*/, v82
	s_set_vgpr_msb 0x45                     ;  msbs: dst=1 src0=1 src1=1 src2=0
	v_mul_i32_i24_e32 v42 /*v298*/, v42 /*v298*/, v64 /*v320*/
	v_perm_b32 v64 /*v320*/, v70 /*v326*/, v70 /*v326*/, 0xc0c0c03
	v_or_b32_e32 v67 /*v323*/, v68 /*v324*/, v67 /*v323*/
	s_set_vgpr_msb 0x44                     ;  msbs: dst=1 src0=0 src1=1 src2=0
	v_perm_b32 v68 /*v324*/, v168, v21 /*v277*/, 0x407030c
	s_set_vgpr_msb 0x45                     ;  msbs: dst=1 src0=1 src1=1 src2=0
	v_or_b32_e32 v20 /*v276*/, v20 /*v276*/, v61 /*v317*/
	s_set_vgpr_msb 64                       ;  msbs: dst=1 src0=0 src1=0 src2=0
	v_perm_b32 v61 /*v317*/, v159, v159, 0xc0c0c03
	v_pk_mul_f16 v13 /*v269*/, v226, v105
	v_perm_b32 v62 /*v318*/, v182, v91, 0x4070201
	v_perm_b32 v66 /*v322*/, v176, v89, 0x4070201
	s_set_vgpr_msb 0x45                     ;  msbs: dst=1 src0=1 src1=1 src2=0
	v_or_b32_e32 v64 /*v320*/, v65 /*v321*/, v64 /*v320*/
	s_set_vgpr_msb 0x44                     ;  msbs: dst=1 src0=0 src1=1 src2=0
	v_perm_b32 v65 /*v321*/, v174, v24 /*v280*/, 0x407030c
	s_set_vgpr_msb 0x55                     ;  msbs: dst=1 src0=1 src1=1 src2=1
	v_or_b32_e32 v61 /*v317*/, v68 /*v324*/, v61 /*v317*/
	v_dot4_i32_iu8 v25 /*v281*/, v67 /*v323*/, v56 /*v312*/, v25 /*v281*/ neg_lo:[1,1,0]
	s_set_vgpr_msb 64                       ;  msbs: dst=1 src0=0 src1=0 src2=0
	v_lshlrev_b32_e32 v56 /*v312*/, 8, v178
	s_set_vgpr_msb 0x55                     ;  msbs: dst=1 src0=1 src1=1 src2=1
	v_perm_b32 v68 /*v324*/, v58 /*v314*/, v58 /*v314*/, 0xc0c0c03
	v_dot4_i32_iu8 v37 /*v293*/, v20 /*v276*/, v62 /*v318*/, v37 /*v293*/ neg_lo:[1,1,0]
	v_dot4_i32_iu8 v38 /*v294*/, v67 /*v323*/, v62 /*v318*/, v38 /*v294*/ neg_lo:[1,1,0]
	s_set_vgpr_msb 64                       ;  msbs: dst=1 src0=0 src1=0 src2=0
	v_lshlrev_b32_e32 v62 /*v318*/, 16, v178
	s_set_vgpr_msb 0x55                     ;  msbs: dst=1 src0=1 src1=1 src2=1
	v_dot4_i32_iu8 v39 /*v295*/, v67 /*v323*/, v66 /*v322*/, v39 /*v295*/ neg_lo:[1,1,0]
	v_or_b32_e32 v65 /*v321*/, v65 /*v321*/, v68 /*v324*/
	s_set_vgpr_msb 64                       ;  msbs: dst=1 src0=0 src1=0 src2=0
	v_lshlrev_b32_e32 v67 /*v323*/, 16, v109
	s_set_vgpr_msb 0x55                     ;  msbs: dst=1 src0=1 src1=1 src2=1
	v_dot4_i32_iu8 v60 /*v316*/, v64 /*v320*/, v66 /*v322*/, v60 /*v316*/ neg_lo:[1,1,0]
	s_set_vgpr_msb 64                       ;  msbs: dst=1 src0=0 src1=0 src2=0
	v_lshlrev_b32_e32 v64 /*v320*/, 8, v109
	s_set_vgpr_msb 0x55                     ;  msbs: dst=1 src0=1 src1=1 src2=1
	v_dot4_i32_iu8 v16 /*v272*/, v61 /*v317*/, v66 /*v322*/, v16 /*v272*/ neg_lo:[1,1,0]
	v_dot4_i32_iu8 v17 /*v273*/, v65 /*v321*/, v66 /*v322*/, v17 /*v273*/ neg_lo:[1,1,0]
	s_set_vgpr_msb 64                       ;  msbs: dst=1 src0=0 src1=0 src2=0
	v_lshlrev_b32_e32 v65 /*v321*/, 8, v168
	s_set_vgpr_msb 0x55                     ;  msbs: dst=1 src0=1 src1=1 src2=1
	v_dot4_i32_iu8 v20 /*v276*/, v20 /*v276*/, v66 /*v322*/, v59 /*v315*/ neg_lo:[1,1,0]
	s_set_vgpr_msb 0x41                     ;  msbs: dst=1 src0=1 src1=0 src2=0
	v_perm_b32 v59 /*v315*/, v67 /*v323*/, v109, 0xc0c0700
	s_wait_dscnt 0x8
	s_set_vgpr_msb 0x44                     ;  msbs: dst=1 src0=0 src1=1 src2=0
	v_perm_b32 v66 /*v322*/, v148, v64 /*v320*/, 0x7030c0c
	s_set_vgpr_msb 64                       ;  msbs: dst=1 src0=0 src1=0 src2=0
	v_pk_mul_f16 v9 /*v265*/, v233, v117
	v_pk_mul_f16 v7 /*v263*/, v226, v117
	s_set_vgpr_msb 0                        ;  msbs: dst=0 src0=0 src1=0 src2=0
	v_pk_mul_f16 v117, v233, v83
	v_pk_mul_f16 v254, v226, v83
	v_perm_b32 v83, v106, v81, 0x7020100
	s_set_vgpr_msb 0x45                     ;  msbs: dst=1 src0=1 src1=1 src2=0
	v_or_b32_e32 v59 /*v315*/, v66 /*v322*/, v59 /*v315*/
	s_set_vgpr_msb 64                       ;  msbs: dst=1 src0=0 src1=0 src2=0
	v_dual_lshlrev_b32 v44 /*v300*/, 8, v166 :: v_dual_lshlrev_b32 v47 /*v303*/, 16, v167
	s_set_vgpr_msb 0x45                     ;  msbs: dst=1 src0=1 src1=1 src2=0
	v_perm_b32 v40 /*v296*/, v41 /*v297*/, v40 /*v296*/, 0x7030c0c
	s_set_vgpr_msb 64                       ;  msbs: dst=1 src0=0 src1=0 src2=0
	v_lshlrev_b32_e32 v41 /*v297*/, 8, v139
	s_set_vgpr_msb 1                        ;  msbs: dst=0 src0=1 src1=0 src2=0
	v_dot4_i32_iu8 v82, v59 /*v315*/, v83, v82 neg_lo:[1,1,0]
	v_lshlrev_b32_e32 v83, 8, v174
	v_perm_b32 v159, v21 /*v277*/, v159, 0x7030c0c
	s_wait_dscnt 0x5
	s_set_vgpr_msb 64                       ;  msbs: dst=1 src0=0 src1=0 src2=0
	v_lshlrev_b32_e32 v21 /*v277*/, 16, v172
	s_set_vgpr_msb 0x45                     ;  msbs: dst=1 src0=1 src1=1 src2=0
	v_perm_b32 v24 /*v280*/, v24 /*v280*/, v58 /*v314*/, 0x7030c0c
	s_set_vgpr_msb 64                       ;  msbs: dst=1 src0=0 src1=0 src2=0
	v_dual_lshlrev_b32 v58 /*v314*/, 8, v172 :: v_dual_lshlrev_b32 v51 /*v307*/, 16, v170
	v_lshlrev_b32_e32 v52 /*v308*/, 8, v170
	v_perm_b32 v61 /*v317*/, v176, v89, 0x7020100
	v_lshlrev_b32_e32 v66 /*v322*/, 16, v168
	s_set_vgpr_msb 0x45                     ;  msbs: dst=1 src0=1 src1=1 src2=0
	v_perm_b32 v21 /*v277*/, v58 /*v314*/, v21 /*v277*/, 0x7030c0c
	v_perm_b32 v58 /*v314*/, v64 /*v320*/, v67 /*v323*/, 0x7030c0c
	s_set_vgpr_msb 0x44                     ;  msbs: dst=1 src0=0 src1=1 src2=0
	v_perm_b32 v64 /*v320*/, v146, v44 /*v300*/, 0x407030c
	s_set_vgpr_msb 0x55                     ;  msbs: dst=1 src0=1 src1=1 src2=1
	v_perm_b32 v44 /*v300*/, v44 /*v300*/, v43 /*v299*/, 0x7030c0c
	v_perm_b32 v43 /*v299*/, v43 /*v299*/, v43 /*v299*/, 0xc0c0c03
	v_dot4_i32_iu8 v42 /*v298*/, v59 /*v315*/, v61 /*v317*/, v42 /*v298*/ neg_lo:[1,1,0]
	s_set_vgpr_msb 64                       ;  msbs: dst=1 src0=0 src1=0 src2=0
	v_lshlrev_b32_e32 v59 /*v315*/, 16, v174
	s_set_vgpr_msb 0                        ;  msbs: dst=0 src0=0 src1=0 src2=0
	v_perm_b32 v115, v115, v115, 0xc0c0003
	s_set_vgpr_msb 64                       ;  msbs: dst=1 src0=0 src1=0 src2=0
	v_lshlrev_b32_e32 v61 /*v317*/, 16, v148
	s_set_vgpr_msb 0x45                     ;  msbs: dst=1 src0=1 src1=1 src2=0
	v_or_b32_e32 v43 /*v299*/, v64 /*v320*/, v43 /*v299*/
	s_set_vgpr_msb 0x44                     ;  msbs: dst=1 src0=0 src1=1 src2=0
	v_perm_b32 v64 /*v320*/, v150, v52 /*v308*/, 0x407030c
	s_set_vgpr_msb 0x45                     ;  msbs: dst=1 src0=1 src1=1 src2=0
	v_perm_b32 v52 /*v308*/, v52 /*v308*/, v51 /*v307*/, 0x7030c0c
	v_perm_b32 v51 /*v307*/, v51 /*v307*/, v51 /*v307*/, 0xc0c0c03
	;; [unrolled: 1-line block ×3, first 2 shown]
	s_set_vgpr_msb 64                       ;  msbs: dst=1 src0=0 src1=0 src2=0
	v_lshlrev_b32_e32 v50 /*v306*/, 8, v148
	s_set_vgpr_msb 0                        ;  msbs: dst=0 src0=0 src1=0 src2=0
	v_or_b32_e32 v115, v159, v115
	v_perm_b32 v159, v174, v174, 0xc0c0003
	s_set_vgpr_msb 0x45                     ;  msbs: dst=1 src0=1 src1=1 src2=0
	v_or_b32_e32 v51 /*v307*/, v64 /*v320*/, v51 /*v307*/
	s_set_vgpr_msb 0x44                     ;  msbs: dst=1 src0=0 src1=1 src2=0
	v_perm_b32 v64 /*v320*/, v156, v56 /*v312*/, 0x407030c
	s_set_vgpr_msb 0x45                     ;  msbs: dst=1 src0=1 src1=1 src2=0
	v_perm_b32 v56 /*v312*/, v56 /*v312*/, v62 /*v318*/, 0x7030c0c
	v_perm_b32 v62 /*v318*/, v62 /*v318*/, v62 /*v318*/, 0xc0c0c03
	;; [unrolled: 1-line block ×3, first 2 shown]
	s_set_vgpr_msb 64                       ;  msbs: dst=1 src0=0 src1=0 src2=0
	v_lshlrev_b32_e32 v70 /*v326*/, 16, v139
	s_set_vgpr_msb 0                        ;  msbs: dst=0 src0=0 src1=0 src2=0
	v_perm_b32 v123, v123, v123, 0xc0c0003
	v_perm_b32 v121, v121, v121, 0xc0c0003
	s_set_vgpr_msb 0x45                     ;  msbs: dst=1 src0=1 src1=1 src2=0
	v_or_b32_e32 v62 /*v318*/, v64 /*v320*/, v62 /*v318*/
	s_set_vgpr_msb 0x44                     ;  msbs: dst=1 src0=0 src1=1 src2=0
	v_perm_b32 v64 /*v320*/, v162, v65 /*v321*/, 0x407030c
	s_set_vgpr_msb 0x45                     ;  msbs: dst=1 src0=1 src1=1 src2=0
	v_perm_b32 v65 /*v321*/, v65 /*v321*/, v66 /*v322*/, 0x7030c0c
	v_perm_b32 v66 /*v322*/, v66 /*v322*/, v66 /*v322*/, 0xc0c0c03
	s_set_vgpr_msb 64                       ;  msbs: dst=1 src0=0 src1=0 src2=0
	v_pk_mul_f16 v5 /*v261*/, v233, v104
	s_set_vgpr_msb 0                        ;  msbs: dst=0 src0=0 src1=0 src2=0
	v_pk_mul_f16 v255, v226, v104
	s_set_vgpr_msb 64                       ;  msbs: dst=1 src0=0 src1=0 src2=0
	v_pk_mul_f16 v4 /*v260*/, v233, v105
	s_set_vgpr_msb 0                        ;  msbs: dst=0 src0=0 src1=0 src2=0
	v_perm_b32 v104, v107, v106, 0x7020100
	s_set_vgpr_msb 0x45                     ;  msbs: dst=1 src0=1 src1=1 src2=0
	v_or_b32_e32 v64 /*v320*/, v64 /*v320*/, v66 /*v322*/
	s_set_vgpr_msb 64                       ;  msbs: dst=1 src0=0 src1=0 src2=0
	v_perm_b32 v66 /*v322*/, v154, v83, 0x407030c
	s_set_vgpr_msb 4                        ;  msbs: dst=0 src0=0 src1=1 src2=0
	v_perm_b32 v83, v83, v59 /*v315*/, 0x7030c0c
	s_set_vgpr_msb 0x45                     ;  msbs: dst=1 src0=1 src1=1 src2=0
	v_perm_b32 v59 /*v315*/, v59 /*v315*/, v59 /*v315*/, 0xc0c0c03
	s_set_vgpr_msb 0                        ;  msbs: dst=0 src0=0 src1=0 src2=0
	v_perm_b32 v105, v81, v81, 0x2010003
	s_set_vgpr_msb 64                       ;  msbs: dst=1 src0=0 src1=0 src2=0
	v_perm_b32 v57 /*v313*/, v181, v180, 0x4070201
	s_set_vgpr_msb 0x45                     ;  msbs: dst=1 src0=1 src1=1 src2=0
	v_perm_b32 v41 /*v297*/, v41 /*v297*/, v70 /*v326*/, 0x7030c0c
	s_set_vgpr_msb 0                        ;  msbs: dst=0 src0=0 src1=0 src2=0
	v_or_b32_e32 v83, v83, v159
	s_set_vgpr_msb 0x45                     ;  msbs: dst=1 src0=1 src1=1 src2=0
	v_or_b32_e32 v59 /*v315*/, v66 /*v322*/, v59 /*v315*/
	s_set_vgpr_msb 0x41                     ;  msbs: dst=1 src0=1 src1=0 src2=0
	v_perm_b32 v66 /*v322*/, v61 /*v317*/, v148, 0xc0c0700
	s_set_vgpr_msb 0x45                     ;  msbs: dst=1 src0=1 src1=1 src2=0
	v_perm_b32 v61 /*v317*/, v50 /*v306*/, v61 /*v317*/, 0x7030c0c
	s_set_vgpr_msb 0x44                     ;  msbs: dst=1 src0=0 src1=1 src2=0
	v_perm_b32 v50 /*v306*/, v110, v50 /*v306*/, 0x7030c0c
	s_set_vgpr_msb 0                        ;  msbs: dst=0 src0=0 src1=0 src2=0
	v_perm_b32 v159, v172, v172, 0xc0c0003
	v_perm_b32 v125, v125, v125, 0xc0c0003
	;; [unrolled: 1-line block ×3, first 2 shown]
	s_set_vgpr_msb 1                        ;  msbs: dst=0 src0=1 src1=0 src2=0
	v_or_b32_e32 v123, v24 /*v280*/, v123
	s_set_vgpr_msb 0x45                     ;  msbs: dst=1 src0=1 src1=1 src2=0
	v_or_b32_e32 v50 /*v306*/, v50 /*v306*/, v66 /*v322*/
	s_set_vgpr_msb 0                        ;  msbs: dst=0 src0=0 src1=0 src2=0
	v_perm_b32 v170, v170, v170, 0xc0c0003
	v_perm_b32 v139, v139, v139, 0xc0c0003
	s_set_vgpr_msb 1                        ;  msbs: dst=0 src0=1 src1=0 src2=0
	v_or_b32_e32 v121, v49 /*v305*/, v121
	v_or_b32_e32 v159, v21 /*v277*/, v159
	s_set_vgpr_msb 0                        ;  msbs: dst=0 src0=0 src1=0 src2=0
	v_perm_b32 v172, v177, v176, 0x7020100
	v_perm_b32 v174, v91, v91, 0x2010003
	s_set_vgpr_msb 64                       ;  msbs: dst=1 src0=0 src1=0 src2=0
	v_perm_b32 v21 /*v277*/, v85, v85, 0x2010003
	v_perm_b32 v14 /*v270*/, v106, v106, 0x2010003
	s_set_vgpr_msb 0                        ;  msbs: dst=0 src0=0 src1=0 src2=0
	v_perm_b32 v178, v178, v178, 0xc0c0003
	s_set_vgpr_msb 1                        ;  msbs: dst=0 src0=1 src1=0 src2=0
	v_or_b32_e32 v125, v69 /*v325*/, v125
	s_set_vgpr_msb 0                        ;  msbs: dst=0 src0=0 src1=0 src2=0
	v_perm_b32 v166, v166, v166, 0xc0c0003
	s_set_vgpr_msb 1                        ;  msbs: dst=0 src0=1 src1=0 src2=0
	v_or_b32_e32 v119, v40 /*v296*/, v119
	;; [unrolled: 4-line block ×4, first 2 shown]
	s_set_vgpr_msb 0x55                     ;  msbs: dst=1 src0=1 src1=1 src2=1
	v_dot4_i32_iu8 v24 /*v280*/, v43 /*v299*/, v57 /*v313*/, v25 /*v281*/ neg_lo:[1,1,0]
	s_set_vgpr_msb 64                       ;  msbs: dst=1 src0=0 src1=0 src2=0
	v_perm_b32 v25 /*v281*/, v89, v89, 0x2010003
	v_perm_b32 v40 /*v296*/, v182, v182, 0x2010003
	;; [unrolled: 1-line block ×3, first 2 shown]
	s_set_vgpr_msb 1                        ;  msbs: dst=0 src0=1 src1=0 src2=0
	v_dot4_i32_iu8 v104, v50 /*v306*/, v104, v82 neg_lo:[1,1,0]
	s_set_vgpr_msb 0                        ;  msbs: dst=0 src0=0 src1=0 src2=0
	v_dot4_i32_iu8 v82, v123, v174, 0 neg_lo:[1,1,0]
	s_set_vgpr_msb 17                       ;  msbs: dst=0 src0=1 src1=0 src2=1
	v_dot4_i32_iu8 v172, v50 /*v306*/, v172, v42 /*v298*/ neg_lo:[1,1,0]
	s_set_vgpr_msb 64                       ;  msbs: dst=1 src0=0 src1=0 src2=0
	v_dot4_i32_iu8 v42 /*v298*/, v121, v105, 0 neg_lo:[1,1,0]
	s_set_vgpr_msb 4                        ;  msbs: dst=0 src0=0 src1=1 src2=0
	v_dot4_i32_iu8 v121, v121, v21 /*v277*/, 0 neg_lo:[1,1,0]
	s_set_vgpr_msb 64                       ;  msbs: dst=1 src0=0 src1=0 src2=0
	v_perm_b32 v63 /*v319*/, v183, v182, 0x4070201
	v_perm_b32 v68 /*v324*/, v177, v176, 0x4070201
	s_set_vgpr_msb 1                        ;  msbs: dst=0 src0=1 src1=0 src2=0
	v_or_b32_e32 v178, v56 /*v312*/, v178
	v_or_b32_e32 v166, v44 /*v300*/, v166
	;; [unrolled: 1-line block ×3, first 2 shown]
	s_set_vgpr_msb 0                        ;  msbs: dst=0 src0=0 src1=0 src2=0
	v_perm_b32 v148, v148, v148, 0xc0c0003
	s_set_vgpr_msb 1                        ;  msbs: dst=0 src0=1 src1=0 src2=0
	v_or_b32_e32 v109, v58 /*v314*/, v109
	s_set_vgpr_msb 64                       ;  msbs: dst=1 src0=0 src1=0 src2=0
	v_dot4_i32_iu8 v44 /*v300*/, v125, v105, 0 neg_lo:[1,1,0]
	v_dot4_i32_iu8 v52 /*v308*/, v115, v105, 0 neg_lo:[1,1,0]
	;; [unrolled: 1-line block ×3, first 2 shown]
	s_set_vgpr_msb 0x44                     ;  msbs: dst=1 src0=0 src1=1 src2=0
	v_dot4_i32_iu8 v25 /*v281*/, v139, v25 /*v281*/, 0 neg_lo:[1,1,0]
	s_set_vgpr_msb 64                       ;  msbs: dst=1 src0=0 src1=0 src2=0
	v_dot4_i32_iu8 v50 /*v306*/, v139, v174, 0 neg_lo:[1,1,0]
	s_set_vgpr_msb 0x44                     ;  msbs: dst=1 src0=0 src1=1 src2=0
	v_dot4_i32_iu8 v57 /*v313*/, v83, v40 /*v296*/, v82 neg_lo:[1,1,0]
	s_set_vgpr_msb 0                        ;  msbs: dst=0 src0=0 src1=0 src2=0
	v_perm_b32 v82, v176, v176, 0x2010003
	s_set_vgpr_msb 0x54                     ;  msbs: dst=1 src0=0 src1=1 src2=1
	v_dot4_i32_iu8 v42 /*v298*/, v170, v14 /*v270*/, v42 /*v298*/ neg_lo:[1,1,0]
	s_set_vgpr_msb 4                        ;  msbs: dst=0 src0=0 src1=1 src2=0
	v_dot4_i32_iu8 v121, v170, v41 /*v297*/, v121 neg_lo:[1,1,0]
	s_set_vgpr_msb 0                        ;  msbs: dst=0 src0=0 src1=0 src2=0
	v_lshlrev_b32_e32 v170, 8, v156
	v_dot4_i32_iu8 v119, v119, v105, 0 neg_lo:[1,1,0]
	v_dot4_i32_iu8 v105, v139, v105, 0 neg_lo:[1,1,0]
	s_set_vgpr_msb 4                        ;  msbs: dst=0 src0=0 src1=1 src2=0
	v_dot4_i32_iu8 v139, v139, v21 /*v277*/, 0 neg_lo:[1,1,0]
	s_set_vgpr_msb 0                        ;  msbs: dst=0 src0=0 src1=0 src2=0
	v_pk_mul_f16 v253, v233, v127
	v_pk_mul_f16 v247, v226, v126
	;; [unrolled: 1-line block ×3, first 2 shown]
	v_perm_b32 v127, v134, v137, 0x7020100
	v_perm_b32 v240, v134, v134, 0x2010003
	;; [unrolled: 1-line block ×4, first 2 shown]
	v_bfe_i32 v226, v113, 0, 8
	s_set_vgpr_msb 1                        ;  msbs: dst=0 src0=1 src1=0 src2=0
	v_dual_lshlrev_b32 v134, 16, v113 :: v_dual_bitop2_b32 v148, v61 /*v317*/, v148 bitop3:0x54
	s_set_vgpr_msb 0x55                     ;  msbs: dst=1 src0=1 src1=1 src2=1
	v_dot4_i32_iu8 v37 /*v293*/, v51 /*v307*/, v63 /*v319*/, v37 /*v293*/ neg_lo:[1,1,0]
	s_set_vgpr_msb 64                       ;  msbs: dst=1 src0=0 src1=0 src2=0
	v_dot4_i32_iu8 v49 /*v305*/, v125, v174, 0 neg_lo:[1,1,0]
	s_set_vgpr_msb 0x55                     ;  msbs: dst=1 src0=1 src1=1 src2=1
	v_dot4_i32_iu8 v20 /*v276*/, v51 /*v307*/, v68 /*v324*/, v20 /*v276*/ neg_lo:[1,1,0]
	s_set_vgpr_msb 4                        ;  msbs: dst=0 src0=0 src1=1 src2=0
	v_dot4_i32_iu8 v119, v166, v14 /*v270*/, v119 neg_lo:[1,1,0]
	s_set_vgpr_msb 0                        ;  msbs: dst=0 src0=0 src1=0 src2=0
	v_lshlrev_b32_e32 v166, 8, v151
	s_set_vgpr_msb 0x54                     ;  msbs: dst=1 src0=0 src1=1 src2=1
	v_dot4_i32_iu8 v44 /*v300*/, v178, v14 /*v270*/, v44 /*v300*/ neg_lo:[1,1,0]
	v_dot4_i32_iu8 v56 /*v312*/, v83, v14 /*v270*/, v56 /*v312*/ neg_lo:[1,1,0]
	s_set_vgpr_msb 4                        ;  msbs: dst=0 src0=0 src1=1 src2=0
	v_dot4_i32_iu8 v105, v159, v14 /*v270*/, v105 neg_lo:[1,1,0]
	s_set_vgpr_msb 0x54                     ;  msbs: dst=1 src0=0 src1=1 src2=1
	v_dot4_i32_iu8 v50 /*v306*/, v159, v40 /*v296*/, v50 /*v306*/ neg_lo:[1,1,0]
	s_set_vgpr_msb 4                        ;  msbs: dst=0 src0=0 src1=1 src2=0
	v_dot4_i32_iu8 v139, v159, v41 /*v297*/, v139 neg_lo:[1,1,0]
	s_set_vgpr_msb 0x44                     ;  msbs: dst=1 src0=0 src1=1 src2=0
	v_perm_b32 v36 /*v292*/, v113, v36 /*v292*/, 0xc07030c
	s_set_vgpr_msb 0                        ;  msbs: dst=0 src0=0 src1=0 src2=0
	v_lshlrev_b32_e32 v113, 8, v154
	s_set_vgpr_msb 0x54                     ;  msbs: dst=1 src0=0 src1=1 src2=1
	v_dot4_i32_iu8 v52 /*v308*/, v168, v14 /*v270*/, v52 /*v308*/ neg_lo:[1,1,0]
	s_set_vgpr_msb 0x50                     ;  msbs: dst=1 src0=0 src1=0 src2=1
	v_dot4_i32_iu8 v14 /*v270*/, v159, v82, v25 /*v281*/ neg_lo:[1,1,0]
	s_set_vgpr_msb 0                        ;  msbs: dst=0 src0=0 src1=0 src2=0
	v_lshlrev_b32_e32 v159, 8, v162
	s_set_vgpr_msb 64                       ;  msbs: dst=1 src0=0 src1=0 src2=0
	v_dot4_i32_iu8 v51 /*v307*/, v115, v174, 0 neg_lo:[1,1,0]
	s_set_vgpr_msb 0                        ;  msbs: dst=0 src0=0 src1=0 src2=0
	v_dot4_i32_iu8 v174, v109, v174, 0 neg_lo:[1,1,0]
	s_set_vgpr_msb 4                        ;  msbs: dst=0 src0=0 src1=1 src2=0
	v_dot4_i32_iu8 v109, v109, v21 /*v277*/, 0 neg_lo:[1,1,0]
	s_set_vgpr_msb 5                        ;  msbs: dst=0 src0=1 src1=1 src2=0
	v_perm_b32 v82, v18 /*v274*/, v18 /*v274*/, 0xc0c030c
	s_set_vgpr_msb 64                       ;  msbs: dst=1 src0=0 src1=0 src2=0
	v_dot4_i32_iu8 v27 /*v283*/, v80, v112, 0 neg_lo:[1,1,0]
	v_lshlrev_b32_e32 v25 /*v281*/, 16, v156
	s_set_vgpr_msb 4                        ;  msbs: dst=0 src0=0 src1=1 src2=0
	v_dot4_i32_iu8 v174, v148, v40 /*v296*/, v174 neg_lo:[1,1,0]
	s_set_vgpr_msb 0x45                     ;  msbs: dst=1 src0=1 src1=1 src2=0
	v_perm_b32 v18 /*v274*/, v22 /*v278*/, v22 /*v278*/, 0xc0c030c
	s_set_vgpr_msb 4                        ;  msbs: dst=0 src0=0 src1=1 src2=0
	v_dot4_i32_iu8 v109, v148, v41 /*v297*/, v109 neg_lo:[1,1,0]
	s_set_vgpr_msb 0                        ;  msbs: dst=0 src0=0 src1=0 src2=0
	v_dot4_i32_iu8 v148, v88, v112, 0 neg_lo:[1,1,0]
	s_set_vgpr_msb 64                       ;  msbs: dst=1 src0=0 src1=0 src2=0
	v_dot4_i32_iu8 v22 /*v278*/, v90, v112, 0 neg_lo:[1,1,0]
	s_set_vgpr_msb 0                        ;  msbs: dst=0 src0=0 src1=0 src2=0
	v_dot4_i32_iu8 v112, v84, v112, 0 neg_lo:[1,1,0]
	s_set_vgpr_msb 0x41                     ;  msbs: dst=1 src0=1 src1=0 src2=0
	v_or_b32_e32 v15 /*v271*/, v15 /*v271*/, v82
	s_set_vgpr_msb 0x45                     ;  msbs: dst=1 src0=1 src1=1 src2=0
	v_perm_b32 v26 /*v282*/, v26 /*v282*/, v26 /*v282*/, 0xc0c030c
	s_set_vgpr_msb 4                        ;  msbs: dst=0 src0=0 src1=1 src2=0
	v_or_b32_e32 v160, v160, v18 /*v274*/
	s_set_vgpr_msb 64                       ;  msbs: dst=1 src0=0 src1=0 src2=0
	v_dual_lshlrev_b32 v45 /*v301*/, 16, v146 :: v_dual_lshlrev_b32 v46 /*v302*/, 8, v146
	s_set_vgpr_msb 1                        ;  msbs: dst=0 src0=1 src1=0 src2=0
	v_dot4_i32_iu8 v85, v15 /*v271*/, v85, v112 neg_lo:[1,1,0]
	s_set_vgpr_msb 0x45                     ;  msbs: dst=1 src0=1 src1=1 src2=0
	v_or_b32_e32 v23 /*v279*/, v23 /*v279*/, v26 /*v282*/
	s_set_vgpr_msb 17                       ;  msbs: dst=0 src0=1 src1=0 src2=1
	v_dot4_i32_iu8 v81, v15 /*v271*/, v81, v27 /*v283*/ neg_lo:[1,1,0]
	v_dot4_i32_iu8 v91, v15 /*v271*/, v91, v22 /*v278*/ neg_lo:[1,1,0]
	s_set_vgpr_msb 4                        ;  msbs: dst=0 src0=0 src1=1 src2=0
	v_dot4_i32_iu8 v123, v123, v21 /*v277*/, 0 neg_lo:[1,1,0]
	s_set_vgpr_msb 0                        ;  msbs: dst=0 src0=0 src1=0 src2=0
	v_dot4_i32_iu8 v85, v160, v180, v85 neg_lo:[1,1,0]
	s_set_vgpr_msb 4                        ;  msbs: dst=0 src0=0 src1=1 src2=0
	v_perm_b32 v82, v167, v46 /*v302*/, 0x407030c
	s_set_vgpr_msb 0                        ;  msbs: dst=0 src0=0 src1=0 src2=0
	v_dot4_i32_iu8 v81, v160, v106, v81 neg_lo:[1,1,0]
	s_set_vgpr_msb 5                        ;  msbs: dst=0 src0=1 src1=1 src2=0
	v_perm_b32 v106, v45 /*v301*/, v45 /*v301*/, 0xc0c0c03
	s_set_vgpr_msb 0                        ;  msbs: dst=0 src0=0 src1=0 src2=0
	v_dot4_i32_iu8 v91, v160, v182, v91 neg_lo:[1,1,0]
	s_set_vgpr_msb 1                        ;  msbs: dst=0 src0=1 src1=0 src2=0
	v_dot4_i32_iu8 v112, v23 /*v279*/, v181, v85 neg_lo:[1,1,0]
	s_set_vgpr_msb 0                        ;  msbs: dst=0 src0=0 src1=0 src2=0
	v_perm_b32 v85, v179, v170, 0x407030c
	s_set_vgpr_msb 5                        ;  msbs: dst=0 src0=1 src1=1 src2=0
	v_perm_b32 v180, v25 /*v281*/, v25 /*v281*/, 0xc0c0c03
	s_set_vgpr_msb 1                        ;  msbs: dst=0 src0=1 src1=0 src2=0
	v_dot4_i32_iu8 v89, v15 /*v271*/, v89, v148 neg_lo:[1,1,0]
	s_set_vgpr_msb 64                       ;  msbs: dst=1 src0=0 src1=0 src2=0
	v_perm_b32 v29 /*v285*/, v136, v107, 0x7020100
	v_perm_b32 v30 /*v286*/, v107, v107, 0x2010003
	s_set_vgpr_msb 0x55                     ;  msbs: dst=1 src0=1 src1=1 src2=1
	v_dot4_i32_iu8 v38 /*v294*/, v43 /*v299*/, v63 /*v319*/, v38 /*v294*/ neg_lo:[1,1,0]
	v_dot4_i32_iu8 v39 /*v295*/, v43 /*v299*/, v68 /*v324*/, v39 /*v295*/ neg_lo:[1,1,0]
	;; [unrolled: 1-line block ×3, first 2 shown]
	s_set_vgpr_msb 4                        ;  msbs: dst=0 src0=0 src1=1 src2=0
	v_dot4_i32_iu8 v123, v83, v41 /*v297*/, v123 neg_lo:[1,1,0]
	s_set_vgpr_msb 0                        ;  msbs: dst=0 src0=0 src1=0 src2=0
	v_perm_b32 v83, v142, v183, 0x4070201
	s_set_vgpr_msb 64                       ;  msbs: dst=1 src0=0 src1=0 src2=0
	v_perm_b32 v18 /*v274*/, v183, v183, 0x2010003
	s_set_vgpr_msb 1                        ;  msbs: dst=0 src0=1 src1=0 src2=0
	v_dot4_i32_iu8 v81, v23 /*v279*/, v107, v81 neg_lo:[1,1,0]
	v_dot4_i32_iu8 v107, v23 /*v279*/, v183, v91 neg_lo:[1,1,0]
	s_set_vgpr_msb 0                        ;  msbs: dst=0 src0=0 src1=0 src2=0
	v_or_b32_e32 v82, v82, v106
	v_or_b32_e32 v180, v85, v180
	v_perm_b32 v183, v144, v177, 0x4070201
	v_dot4_i32_iu8 v89, v160, v176, v89 neg_lo:[1,1,0]
	s_set_vgpr_msb 0x50                     ;  msbs: dst=1 src0=0 src1=0 src2=1
	v_perm_b32 v28 /*v284*/, v136, v136, 0xc0c0100
	v_dual_lshlrev_b32 v53 /*v309*/, 16, v150 :: v_dual_lshlrev_b32 v54 /*v310*/, 8, v150
	v_dot4_i32_iu8 v27 /*v283*/, v82, v183, v39 /*v295*/ neg_lo:[1,1,0]
	s_set_vgpr_msb 16                       ;  msbs: dst=0 src0=0 src1=0 src2=1
	v_dot4_i32_iu8 v180, v180, v183, v43 /*v299*/ neg_lo:[1,1,0]
	s_set_vgpr_msb 1                        ;  msbs: dst=0 src0=1 src1=0 src2=0
	v_dot4_i32_iu8 v89, v23 /*v279*/, v177, v89 neg_lo:[1,1,0]
	s_set_vgpr_msb 64                       ;  msbs: dst=1 src0=0 src1=0 src2=0
	v_perm_b32 v39 /*v295*/, v144, v144, 0xc0c0100
	v_perm_b32 v43 /*v299*/, v142, v142, 0xc0c0100
	s_set_vgpr_msb 0x45                     ;  msbs: dst=1 src0=1 src1=1 src2=0
	v_dot4_i32_iu8 v28 /*v284*/, v19 /*v275*/, v28 /*v284*/, v81 neg_lo:[1,1,0]
	s_set_vgpr_msb 0                        ;  msbs: dst=0 src0=0 src1=0 src2=0
	v_perm_b32 v81, v140, v140, 0xc0c0100
	s_set_vgpr_msb 4                        ;  msbs: dst=0 src0=0 src1=1 src2=0
	v_dot4_i32_iu8 v125, v125, v21 /*v277*/, 0 neg_lo:[1,1,0]
	s_set_vgpr_msb 5                        ;  msbs: dst=0 src0=1 src1=1 src2=0
	v_dot4_i32_iu8 v89, v19 /*v275*/, v39 /*v295*/, v89 neg_lo:[1,1,0]
	s_set_vgpr_msb 64                       ;  msbs: dst=1 src0=0 src1=0 src2=0
	v_lshlrev_b32_e32 v39 /*v295*/, 16, v110
	s_set_vgpr_msb 5                        ;  msbs: dst=0 src0=1 src1=1 src2=0
	v_dot4_i32_iu8 v107, v19 /*v275*/, v43 /*v299*/, v107 neg_lo:[1,1,0]
	s_set_vgpr_msb 64                       ;  msbs: dst=1 src0=0 src1=0 src2=0
	v_lshlrev_b32_e32 v43 /*v299*/, 8, v110
	s_set_vgpr_msb 1                        ;  msbs: dst=0 src0=1 src1=0 src2=0
	v_dot4_i32_iu8 v112, v19 /*v275*/, v81, v112 neg_lo:[1,1,0]
	s_set_vgpr_msb 4                        ;  msbs: dst=0 src0=0 src1=1 src2=0
	v_dot4_i32_iu8 v115, v115, v21 /*v277*/, 0 neg_lo:[1,1,0]
	s_set_vgpr_msb 1                        ;  msbs: dst=0 src0=1 src1=0 src2=0
	v_perm_b32 v81, v39 /*v295*/, v110, 0xc0c0700
	s_set_vgpr_msb 0x54                     ;  msbs: dst=1 src0=0 src1=1 src2=1
	v_dot4_i32_iu8 v49 /*v305*/, v178, v40 /*v296*/, v49 /*v305*/ neg_lo:[1,1,0]
	v_perm_b32 v19 /*v275*/, v149, v43 /*v299*/, 0x7030c0c
	v_dot4_i32_iu8 v51 /*v307*/, v168, v40 /*v296*/, v51 /*v307*/ neg_lo:[1,1,0]
	s_set_vgpr_msb 64                       ;  msbs: dst=1 src0=0 src1=0 src2=0
	v_lshlrev_b32_e32 v40 /*v296*/, 16, v162
	s_set_vgpr_msb 4                        ;  msbs: dst=0 src0=0 src1=1 src2=0
	v_perm_b32 v91, v171, v54 /*v310*/, 0x407030c
	s_set_vgpr_msb 5                        ;  msbs: dst=0 src0=1 src1=1 src2=0
	v_perm_b32 v182, v53 /*v309*/, v53 /*v309*/, 0xc0c0c03
	s_set_vgpr_msb 0                        ;  msbs: dst=0 src0=0 src1=0 src2=0
	v_perm_b32 v148, v144, v177, 0x7020100
	s_set_vgpr_msb 1                        ;  msbs: dst=0 src0=1 src1=0 src2=0
	v_or_b32_e32 v81, v19 /*v275*/, v81
	s_set_vgpr_msb 4                        ;  msbs: dst=0 src0=0 src1=1 src2=0
	v_dot4_i32_iu8 v125, v178, v41 /*v297*/, v125 neg_lo:[1,1,0]
	v_dot4_i32_iu8 v115, v168, v41 /*v297*/, v115 neg_lo:[1,1,0]
	s_set_vgpr_msb 0                        ;  msbs: dst=0 src0=0 src1=0 src2=0
	v_perm_b32 v168, v140, v181, 0x4070201
	s_set_vgpr_msb 64                       ;  msbs: dst=1 src0=0 src1=0 src2=0
	v_dual_lshlrev_b32 v41 /*v297*/, 16, v154 :: v_dual_lshlrev_b32 v15 /*v271*/, 16, v169
	v_perm_b32 v26 /*v282*/, v181, v181, 0x2010003
	s_set_vgpr_msb 0                        ;  msbs: dst=0 src0=0 src1=0 src2=0
	v_perm_b32 v106, v169, v159, 0x407030c
	v_or_b32_e32 v181, v91, v182
	s_set_vgpr_msb 5                        ;  msbs: dst=0 src0=1 src1=1 src2=0
	v_perm_b32 v91, v40 /*v296*/, v40 /*v296*/, 0xc0c0c03
	s_set_vgpr_msb 4                        ;  msbs: dst=0 src0=0 src1=1 src2=0
	v_dot4_i32_iu8 v104, v81, v29 /*v285*/, v104 neg_lo:[1,1,0]
	s_set_vgpr_msb 0                        ;  msbs: dst=0 src0=0 src1=0 src2=0
	v_dot4_i32_iu8 v172, v81, v148, v172 neg_lo:[1,1,0]
	s_set_vgpr_msb 4                        ;  msbs: dst=0 src0=0 src1=1 src2=0
	v_perm_b32 v81, v170, v25 /*v281*/, 0x7030c0c
	s_set_vgpr_msb 0x45                     ;  msbs: dst=1 src0=1 src1=1 src2=0
	v_perm_b32 v25 /*v281*/, v46 /*v302*/, v45 /*v301*/, 0x7030c0c
	s_wait_dscnt 0x4
	s_set_vgpr_msb 64                       ;  msbs: dst=1 src0=0 src1=0 src2=0
	v_lshlrev_b32_e32 v45 /*v301*/, 16, v152
	s_set_vgpr_msb 4                        ;  msbs: dst=0 src0=0 src1=1 src2=0
	v_perm_b32 v159, v159, v40 /*v296*/, 0x7030c0c
	s_set_vgpr_msb 64                       ;  msbs: dst=1 src0=0 src1=0 src2=0
	v_lshlrev_b32_e32 v40 /*v296*/, 8, v152
	s_set_vgpr_msb 0                        ;  msbs: dst=0 src0=0 src1=0 src2=0
	v_perm_b32 v156, v156, v156, 0xc0c0003
	v_perm_b32 v85, v175, v113, 0x407030c
	v_or_b32_e32 v106, v106, v91
	s_set_vgpr_msb 5                        ;  msbs: dst=0 src0=1 src1=1 src2=0
	v_perm_b32 v91, v41 /*v297*/, v41 /*v297*/, 0xc0c0c03
	s_set_vgpr_msb 4                        ;  msbs: dst=0 src0=0 src1=1 src2=0
	v_perm_b32 v113, v113, v41 /*v297*/, 0x7030c0c
	s_set_vgpr_msb 0x45                     ;  msbs: dst=1 src0=1 src1=1 src2=0
	v_perm_b32 v46 /*v302*/, v54 /*v310*/, v53 /*v309*/, 0x7030c0c
	v_perm_b32 v40 /*v296*/, v40 /*v296*/, v45 /*v301*/, 0x7030c0c
	;; [unrolled: 1-line block ×3, first 2 shown]
	s_set_vgpr_msb 0                        ;  msbs: dst=0 src0=0 src1=0 src2=0
	v_perm_b32 v162, v162, v162, 0xc0c0003
	v_or_b32_e32 v156, v81, v156
	v_perm_b32 v81, v154, v154, 0xc0c0003
	v_perm_b32 v150, v150, v150, 0xc0c0003
	;; [unrolled: 1-line block ×4, first 2 shown]
	s_set_vgpr_msb 0x55                     ;  msbs: dst=1 src0=1 src1=1 src2=1
	v_dot4_i32_iu8 v16 /*v272*/, v64 /*v320*/, v68 /*v324*/, v16 /*v272*/ neg_lo:[1,1,0]
	v_dot4_i32_iu8 v17 /*v273*/, v59 /*v315*/, v68 /*v324*/, v17 /*v273*/ neg_lo:[1,1,0]
	s_set_vgpr_msb 64                       ;  msbs: dst=1 src0=0 src1=0 src2=0
	v_lshlrev_b32_e32 v21 /*v277*/, 8, v171
	s_set_vgpr_msb 0                        ;  msbs: dst=0 src0=0 src1=0 src2=0
	v_or_b32_e32 v182, v85, v91
	v_perm_b32 v176, v177, v177, 0x2010003
	v_or_b32_e32 v154, v159, v162
	v_or_b32_e32 v113, v113, v81
	s_set_vgpr_msb 1                        ;  msbs: dst=0 src0=1 src1=0 src2=0
	v_or_b32_e32 v150, v46 /*v302*/, v150
	v_or_b32_e32 v152, v40 /*v296*/, v152
	;; [unrolled: 1-line block ×3, first 2 shown]
	s_set_vgpr_msb 0x50                     ;  msbs: dst=1 src0=0 src1=0 src2=1
	v_dot4_i32_iu8 v22 /*v278*/, v181, v83, v37 /*v293*/ neg_lo:[1,1,0]
	s_set_vgpr_msb 16                       ;  msbs: dst=0 src0=0 src1=0 src2=1
	v_dot4_i32_iu8 v106, v106, v183, v16 /*v272*/ neg_lo:[1,1,0]
	v_dot4_i32_iu8 v182, v182, v183, v17 /*v273*/ neg_lo:[1,1,0]
	;; [unrolled: 1-line block ×3, first 2 shown]
	v_dual_lshlrev_b32 v183, 8, v179 :: v_dual_lshlrev_b32 v160, 16, v179
	v_lshlrev_b32_e32 v177, 8, v169
	v_perm_b32 v146, v146, v146, 0xc0c0003
	s_set_vgpr_msb 0x54                     ;  msbs: dst=1 src0=0 src1=1 src2=1
	v_dot4_i32_iu8 v39 /*v295*/, v156, v18 /*v274*/, v49 /*v305*/ neg_lo:[1,1,0]
	v_dot4_i32_iu8 v40 /*v296*/, v154, v30 /*v286*/, v52 /*v308*/ neg_lo:[1,1,0]
	;; [unrolled: 1-line block ×3, first 2 shown]
	s_set_vgpr_msb 4                        ;  msbs: dst=0 src0=0 src1=1 src2=0
	v_dot4_i32_iu8 v115, v154, v26 /*v282*/, v115 neg_lo:[1,1,0]
	s_set_vgpr_msb 0x54                     ;  msbs: dst=1 src0=0 src1=1 src2=1
	v_dot4_i32_iu8 v46 /*v302*/, v113, v18 /*v274*/, v57 /*v313*/ neg_lo:[1,1,0]
	v_dot4_i32_iu8 v42 /*v298*/, v150, v30 /*v286*/, v42 /*v298*/ neg_lo:[1,1,0]
	s_set_vgpr_msb 4                        ;  msbs: dst=0 src0=0 src1=1 src2=0
	v_dot4_i32_iu8 v121, v150, v26 /*v282*/, v121 neg_lo:[1,1,0]
	v_dot4_i32_iu8 v105, v152, v30 /*v286*/, v105 neg_lo:[1,1,0]
	v_perm_b32 v150, v147, v48 /*v304*/, 0x407030c
	s_set_vgpr_msb 16                       ;  msbs: dst=0 src0=0 src1=0 src2=1
	v_dot4_i32_iu8 v176, v152, v176, v14 /*v270*/ neg_lo:[1,1,0]
	s_set_vgpr_msb 5                        ;  msbs: dst=0 src0=1 src1=1 src2=0
	v_perm_b32 v154, v47 /*v303*/, v47 /*v303*/, 0xc0c0c03
	s_set_vgpr_msb 0x54                     ;  msbs: dst=1 src0=0 src1=1 src2=1
	v_dot4_i32_iu8 v14 /*v270*/, v152, v18 /*v274*/, v50 /*v306*/ neg_lo:[1,1,0]
	s_set_vgpr_msb 4                        ;  msbs: dst=0 src0=0 src1=1 src2=0
	v_dot4_i32_iu8 v139, v152, v26 /*v282*/, v139 neg_lo:[1,1,0]
	v_perm_b32 v152, v151, v21 /*v277*/, 0x407030c
	v_dot4_i32_iu8 v174, v110, v18 /*v274*/, v174 neg_lo:[1,1,0]
	s_set_vgpr_msb 0x45                     ;  msbs: dst=1 src0=1 src1=1 src2=0
	v_perm_b32 v18 /*v274*/, v55 /*v311*/, v55 /*v311*/, 0xc0c0c03
	s_set_vgpr_msb 64                       ;  msbs: dst=1 src0=0 src1=0 src2=0
	v_dual_lshlrev_b32 v20 /*v276*/, 8, v175 :: v_dual_lshlrev_b32 v23 /*v279*/, 16, v175
	s_set_vgpr_msb 1                        ;  msbs: dst=0 src0=1 src1=0 src2=0
	v_or_b32_e32 v146, v25 /*v281*/, v146
	s_set_vgpr_msb 4                        ;  msbs: dst=0 src0=0 src1=1 src2=0
	v_dot4_i32_iu8 v125, v156, v26 /*v282*/, v125 neg_lo:[1,1,0]
	s_set_vgpr_msb 0x54                     ;  msbs: dst=1 src0=0 src1=1 src2=1
	v_dot4_i32_iu8 v45 /*v301*/, v113, v30 /*v286*/, v56 /*v312*/ neg_lo:[1,1,0]
	s_set_vgpr_msb 4                        ;  msbs: dst=0 src0=0 src1=1 src2=0
	v_dot4_i32_iu8 v113, v113, v26 /*v282*/, v123 neg_lo:[1,1,0]
	v_dot4_i32_iu8 v109, v110, v26 /*v282*/, v109 neg_lo:[1,1,0]
	s_set_vgpr_msb 0                        ;  msbs: dst=0 src0=0 src1=0 src2=0
	v_perm_b32 v110, v157, v183, 0x407030c
	s_set_vgpr_msb 64                       ;  msbs: dst=1 src0=0 src1=0 src2=0
	v_perm_b32 v26 /*v282*/, v160, v160, 0xc0c0c03
	s_set_vgpr_msb 0                        ;  msbs: dst=0 src0=0 src1=0 src2=0
	v_or_b32_e32 v150, v150, v154
	v_perm_b32 v154, v163, v177, 0x407030c
	s_set_vgpr_msb 4                        ;  msbs: dst=0 src0=0 src1=1 src2=0
	v_or_b32_e32 v152, v152, v18 /*v274*/
	s_set_vgpr_msb 0x45                     ;  msbs: dst=1 src0=1 src1=1 src2=0
	v_perm_b32 v18 /*v274*/, v15 /*v271*/, v15 /*v271*/, 0xc0c0c03
	s_set_vgpr_msb 16                       ;  msbs: dst=0 src0=0 src1=0 src2=1
	v_dot4_i32_iu8 v168, v82, v168, v24 /*v280*/ neg_lo:[1,1,0]
	s_set_vgpr_msb 0x50                     ;  msbs: dst=1 src0=0 src1=0 src2=1
	v_dot4_i32_iu8 v24 /*v280*/, v82, v83, v38 /*v294*/ neg_lo:[1,1,0]
	s_set_vgpr_msb 0                        ;  msbs: dst=0 src0=0 src1=0 src2=0
	v_perm_b32 v148, v141, v140, 0x4070201
	s_set_vgpr_msb 64                       ;  msbs: dst=1 src0=0 src1=0 src2=0
	v_perm_b32 v41 /*v297*/, v143, v142, 0x4070201
	s_set_vgpr_msb 4                        ;  msbs: dst=0 src0=0 src1=1 src2=0
	v_dot4_i32_iu8 v119, v146, v30 /*v286*/, v119 neg_lo:[1,1,0]
	s_set_vgpr_msb 0                        ;  msbs: dst=0 src0=0 src1=0 src2=0
	v_perm_b32 v146, v145, v144, 0x4070201
	s_set_vgpr_msb 4                        ;  msbs: dst=0 src0=0 src1=1 src2=0
	v_or_b32_e32 v110, v110, v26 /*v282*/
	s_set_vgpr_msb 0x44                     ;  msbs: dst=1 src0=0 src1=1 src2=0
	v_perm_b32 v26 /*v282*/, v155, v20 /*v276*/, 0x407030c
	s_set_vgpr_msb 4                        ;  msbs: dst=0 src0=0 src1=1 src2=0
	v_or_b32_e32 v154, v154, v18 /*v274*/
	s_set_vgpr_msb 0x45                     ;  msbs: dst=1 src0=1 src1=1 src2=0
	v_perm_b32 v18 /*v274*/, v23 /*v279*/, v23 /*v279*/, 0xc0c0c03
	s_set_vgpr_msb 64                       ;  msbs: dst=1 src0=0 src1=0 src2=0
	v_perm_b32 v31 /*v287*/, v136, v136, 0xc0c0302
	s_set_vgpr_msb 0x54                     ;  msbs: dst=1 src0=0 src1=1 src2=1
	v_dot4_i32_iu8 v25 /*v281*/, v156, v30 /*v286*/, v44 /*v300*/ neg_lo:[1,1,0]
	s_set_vgpr_msb 0                        ;  msbs: dst=0 src0=0 src1=0 src2=0
	v_dot4_i32_iu8 v168, v150, v148, v168 neg_lo:[1,1,0]
	v_perm_b32 v148, v142, v142, 0xc0c0302
	s_set_vgpr_msb 0x45                     ;  msbs: dst=1 src0=1 src1=1 src2=0
	v_or_b32_e32 v18 /*v274*/, v26 /*v282*/, v18 /*v274*/
	s_set_vgpr_msb 64                       ;  msbs: dst=1 src0=0 src1=0 src2=0
	v_perm_b32 v26 /*v282*/, v144, v144, 0xc0c0302
	s_set_vgpr_msb 0x54                     ;  msbs: dst=1 src0=0 src1=1 src2=1
	v_dot4_i32_iu8 v24 /*v280*/, v150, v41 /*v297*/, v24 /*v280*/ neg_lo:[1,1,0]
	s_set_vgpr_msb 0x50                     ;  msbs: dst=1 src0=0 src1=0 src2=1
	v_perm_b32 v30 /*v286*/, v140, v140, 0xc0c0302
	v_dot4_i32_iu8 v27 /*v283*/, v150, v146, v27 /*v283*/ neg_lo:[1,1,0]
	s_set_vgpr_msb 0                        ;  msbs: dst=0 src0=0 src1=0 src2=0
	v_lshlrev_b32_e32 v150, 16, v149
	v_dot4_i32_iu8 v110, v110, v146, v180 neg_lo:[1,1,0]
	v_lshlrev_b32_e32 v180, 8, v149
	s_set_vgpr_msb 0x54                     ;  msbs: dst=1 src0=0 src1=1 src2=1
	v_dot4_i32_iu8 v28 /*v284*/, v161, v31 /*v287*/, v28 /*v284*/ neg_lo:[1,1,0]
	s_set_vgpr_msb 0x44                     ;  msbs: dst=1 src0=0 src1=1 src2=0
	v_dot4_i32_iu8 v26 /*v282*/, v161, v26 /*v282*/, v89 neg_lo:[1,1,0]
	s_set_vgpr_msb 64                       ;  msbs: dst=1 src0=0 src1=0 src2=0
	v_dot4_i32_iu8 v60 /*v316*/, v161, v148, v107 neg_lo:[1,1,0]
	s_set_vgpr_msb 4                        ;  msbs: dst=0 src0=0 src1=1 src2=0
	v_dot4_i32_iu8 v161, v161, v30 /*v286*/, v112 neg_lo:[1,1,0]
	s_set_vgpr_msb 0                        ;  msbs: dst=0 src0=0 src1=0 src2=0
	v_perm_b32 v89, v150, v149, 0xc0c0700
	v_perm_b32 v112, v111, v180, 0x7030c0c
	s_set_vgpr_msb 64                       ;  msbs: dst=1 src0=0 src1=0 src2=0
	v_perm_b32 v32 /*v288*/, v137, v136, 0x7020100
	v_perm_b32 v33 /*v289*/, v136, v136, 0x2010003
	s_set_vgpr_msb 0                        ;  msbs: dst=0 src0=0 src1=0 src2=0
	v_perm_b32 v136, v137, v137, 0xc0c0100
	v_perm_b32 v179, v179, v179, 0xc0c0003
	v_or_b32_e32 v89, v112, v89
	v_perm_b32 v167, v167, v167, 0xc0c0003
	v_perm_b32 v169, v169, v169, 0xc0c0003
	v_perm_b32 v175, v175, v175, 0xc0c0003
	s_set_vgpr_msb 64                       ;  msbs: dst=1 src0=0 src1=0 src2=0
	v_dual_lshlrev_b32 v58 /*v314*/, 16, v173 :: v_dual_lshlrev_b32 v59 /*v315*/, 8, v173
	s_set_vgpr_msb 0                        ;  msbs: dst=0 src0=0 src1=0 src2=0
	v_dot4_i32_iu8 v106, v154, v146, v106 neg_lo:[1,1,0]
	v_perm_b32 v154, v145, v144, 0x7020100
	s_set_vgpr_msb 64                       ;  msbs: dst=1 src0=0 src1=0 src2=0
	v_dual_lshlrev_b32 v30 /*v286*/, 16, v153 :: v_dual_lshlrev_b32 v62 /*v318*/, 8, v153
	v_lshlrev_b32_e32 v66 /*v322*/, 16, v138
	v_perm_b32 v63 /*v319*/, v153, v153, 0xc0c0003
	s_set_vgpr_msb 0x44                     ;  msbs: dst=1 src0=0 src1=1 src2=0
	v_dot4_i32_iu8 v32 /*v288*/, v89, v32 /*v288*/, v104 neg_lo:[1,1,0]
	s_set_vgpr_msb 0                        ;  msbs: dst=0 src0=0 src1=0 src2=0
	v_perm_b32 v104, v183, v160, 0x7030c0c
	s_set_vgpr_msb 5                        ;  msbs: dst=0 src0=1 src1=1 src2=0
	v_perm_b32 v112, v48 /*v304*/, v47 /*v303*/, 0x7030c0c
	v_perm_b32 v153, v20 /*v276*/, v23 /*v279*/, 0x7030c0c
	s_set_vgpr_msb 0x50                     ;  msbs: dst=1 src0=0 src1=0 src2=1
	v_dot4_i32_iu8 v28 /*v284*/, v135, v136, v28 /*v284*/ neg_lo:[1,1,0]
	s_set_vgpr_msb 4                        ;  msbs: dst=0 src0=0 src1=1 src2=0
	v_lshrrev_b32_e32 v136, 16, v8 /*v264*/
	s_set_vgpr_msb 0x54                     ;  msbs: dst=1 src0=0 src1=1 src2=1
	v_dot4_i32_iu8 v22 /*v278*/, v152, v41 /*v297*/, v22 /*v278*/ neg_lo:[1,1,0]
	s_set_vgpr_msb 0                        ;  msbs: dst=0 src0=0 src1=0 src2=0
	v_dot4_i32_iu8 v181, v152, v146, v181 neg_lo:[1,1,0]
	s_set_vgpr_msb 64                       ;  msbs: dst=1 src0=0 src1=0 src2=0
	v_lshlrev_b32_e32 v41 /*v297*/, 16, v163
	s_set_vgpr_msb 4                        ;  msbs: dst=0 src0=0 src1=1 src2=0
	v_perm_b32 v152, v177, v15 /*v271*/, 0x7030c0c
	s_set_vgpr_msb 0                        ;  msbs: dst=0 src0=0 src1=0 src2=0
	v_pk_mul_f16 v250, v233, v126
	v_perm_b32 v126, v137, v137, 0x2010003
	v_perm_b32 v242, v137, v137, 0xc0c0302
	v_lshlrev_b32_e32 v137, 16, v147
	v_perm_b32 v171, v171, v171, 0xc0c0003
	v_perm_b32 v173, v173, v173, 0xc0c0003
	;; [unrolled: 1-line block ×5, first 2 shown]
	v_dot4_i32_iu8 v172, v89, v154, v172 neg_lo:[1,1,0]
	s_set_vgpr_msb 5                        ;  msbs: dst=0 src0=1 src1=1 src2=0
	v_perm_b32 v154, v21 /*v277*/, v55 /*v311*/, 0x7030c0c
	v_perm_b32 v160, v59 /*v315*/, v58 /*v314*/, 0x7030c0c
	s_set_vgpr_msb 0                        ;  msbs: dst=0 src0=0 src1=0 src2=0
	v_perm_b32 v180, v180, v150, 0x7030c0c
	v_or_b32_e32 v104, v104, v179
	v_or_b32_e32 v112, v112, v167
	;; [unrolled: 1-line block ×4, first 2 shown]
	v_lshlrev_b32_e32 v178, 16, v151
	v_or_b32_e32 v171, v154, v171
	v_or_b32_e32 v160, v160, v173
	;; [unrolled: 1-line block ×3, first 2 shown]
	s_set_vgpr_msb 20                       ;  msbs: dst=0 src0=0 src1=1 src2=1
	v_dot4_i32_iu8 v179, v104, v33 /*v289*/, v25 /*v281*/ neg_lo:[1,1,0]
	s_set_vgpr_msb 16                       ;  msbs: dst=0 src0=0 src1=0 src2=1
	v_dot4_i32_iu8 v180, v104, v142, v39 /*v295*/ neg_lo:[1,1,0]
	s_set_vgpr_msb 0                        ;  msbs: dst=0 src0=0 src1=0 src2=0
	v_dot4_i32_iu8 v125, v104, v140, v125 neg_lo:[1,1,0]
	s_set_vgpr_msb 0x54                     ;  msbs: dst=1 src0=0 src1=1 src2=1
	v_dot4_i32_iu8 v25 /*v281*/, v167, v33 /*v289*/, v40 /*v296*/ neg_lo:[1,1,0]
	v_dot4_i32_iu8 v39 /*v295*/, v169, v33 /*v289*/, v45 /*v301*/ neg_lo:[1,1,0]
	s_set_vgpr_msb 0x50                     ;  msbs: dst=1 src0=0 src1=0 src2=1
	v_dot4_i32_iu8 v40 /*v296*/, v169, v142, v46 /*v302*/ neg_lo:[1,1,0]
	s_set_vgpr_msb 0                        ;  msbs: dst=0 src0=0 src1=0 src2=0
	v_dot4_i32_iu8 v169, v169, v140, v113 neg_lo:[1,1,0]
	s_set_vgpr_msb 4                        ;  msbs: dst=0 src0=0 src1=1 src2=0
	v_perm_b32 v104, v118, v11 /*v267*/, 0x407030c
	s_set_vgpr_msb 0                        ;  msbs: dst=0 src0=0 src1=0 src2=0
	v_perm_b32 v113, v137, v137, 0xc0c0c03
	v_lshlrev_b32_e32 v123, 8, v157
	s_set_vgpr_msb 64                       ;  msbs: dst=1 src0=0 src1=0 src2=0
	v_lshlrev_b32_e32 v49 /*v305*/, 16, v157
	s_set_vgpr_msb 0x44                     ;  msbs: dst=1 src0=0 src1=1 src2=0
	v_dot4_i32_iu8 v23 /*v279*/, v112, v33 /*v289*/, v119 neg_lo:[1,1,0]
	s_set_vgpr_msb 0x54                     ;  msbs: dst=1 src0=0 src1=1 src2=1
	v_dot4_i32_iu8 v42 /*v298*/, v171, v33 /*v289*/, v42 /*v298*/ neg_lo:[1,1,0]
	s_set_vgpr_msb 0x44                     ;  msbs: dst=1 src0=0 src1=1 src2=0
	v_dot4_i32_iu8 v33 /*v289*/, v160, v33 /*v289*/, v105 neg_lo:[1,1,0]
	s_set_vgpr_msb 0                        ;  msbs: dst=0 src0=0 src1=0 src2=0
	v_perm_b32 v105, v120, v166, 0x407030c
	v_or_b32_e32 v104, v104, v113
	v_perm_b32 v113, v178, v178, 0xc0c0c03
	v_perm_b32 v162, v132, v132, 0xc0c0201
	s_set_vgpr_msb 64                       ;  msbs: dst=1 src0=0 src1=0 src2=0
	v_perm_b32 v44 /*v300*/, v132, v145, 0x4070201
	s_set_vgpr_msb 1                        ;  msbs: dst=0 src0=1 src1=0 src2=0
	v_dot4_i32_iu8 v182, v18 /*v274*/, v146, v182 neg_lo:[1,1,0]
	s_set_vgpr_msb 64                       ;  msbs: dst=1 src0=0 src1=0 src2=0
	v_lshlrev_b32_e32 v18 /*v274*/, 8, v163
	v_dual_lshlrev_b32 v51 /*v307*/, 8, v155 :: v_dual_lshlrev_b32 v52 /*v308*/, 16, v155
	v_perm_b32 v53 /*v309*/, v155, v155, 0xc0c0003
	v_perm_b32 v61 /*v317*/, v132, v145, 0x7020100
	s_set_vgpr_msb 5                        ;  msbs: dst=0 src0=1 src1=1 src2=0
	v_or_b32_e32 v89, v34 /*v290*/, v35 /*v291*/
	s_set_vgpr_msb 64                       ;  msbs: dst=1 src0=0 src1=0 src2=0
	v_perm_b32 v20 /*v276*/, v133, v132, 0x7020100
	s_set_vgpr_msb 0                        ;  msbs: dst=0 src0=0 src1=0 src2=0
	v_perm_b32 v155, v132, v132, 0x2010003
	v_perm_b32 v152, v132, v132, 0xc0c0100
	s_set_vgpr_msb 0x50                     ;  msbs: dst=1 src0=0 src1=0 src2=1
	v_dot4_i32_iu8 v35 /*v291*/, v167, v142, v43 /*v299*/ neg_lo:[1,1,0]
	s_set_vgpr_msb 0                        ;  msbs: dst=0 src0=0 src1=0 src2=0
	v_dot4_i32_iu8 v167, v167, v140, v115 neg_lo:[1,1,0]
	v_dot4_i32_iu8 v171, v171, v140, v121 neg_lo:[1,1,0]
	;; [unrolled: 1-line block ×3, first 2 shown]
	s_set_vgpr_msb 64                       ;  msbs: dst=1 src0=0 src1=0 src2=0
	v_perm_b32 v47 /*v303*/, v132, v132, 0xc0c0302
	s_set_vgpr_msb 0                        ;  msbs: dst=0 src0=0 src1=0 src2=0
	v_dot4_i32_iu8 v132, v107, v142, v174 neg_lo:[1,1,0]
	v_dot4_i32_iu8 v140, v107, v140, v109 neg_lo:[1,1,0]
	v_perm_b32 v107, v124, v123, 0x407030c
	v_or_b32_e32 v105, v105, v113
	s_set_vgpr_msb 5                        ;  msbs: dst=0 src0=1 src1=1 src2=0
	v_perm_b32 v113, v49 /*v305*/, v49 /*v305*/, 0xc0c0c03
	s_set_vgpr_msb 4                        ;  msbs: dst=0 src0=0 src1=1 src2=0
	v_perm_b32 v109, v114, v18 /*v274*/, 0x407030c
	s_set_vgpr_msb 64                       ;  msbs: dst=1 src0=0 src1=0 src2=0
	v_perm_b32 v37 /*v293*/, v128, v128, 0xc0c0201
	v_perm_b32 v38 /*v294*/, v129, v129, 0x4030c0c
	s_set_vgpr_msb 4                        ;  msbs: dst=0 src0=0 src1=1 src2=0
	v_perm_b32 v112, v122, v51 /*v307*/, 0x407030c
	s_set_vgpr_msb 0                        ;  msbs: dst=0 src0=0 src1=0 src2=0
	v_or_b32_e32 v107, v107, v113
	s_set_vgpr_msb 5                        ;  msbs: dst=0 src0=1 src1=1 src2=0
	v_perm_b32 v113, v41 /*v297*/, v41 /*v297*/, 0xc0c0c03
	s_set_vgpr_msb 0                        ;  msbs: dst=0 src0=0 src1=0 src2=0
	v_dual_lshlrev_b32 v85, 16, v120 :: v_dual_lshlrev_b32 v91, 8, v120
	s_set_vgpr_msb 0x45                     ;  msbs: dst=1 src0=1 src1=1 src2=0
	v_or_b32_e32 v37 /*v293*/, v38 /*v294*/, v37 /*v293*/
	s_set_vgpr_msb 64                       ;  msbs: dst=1 src0=0 src1=0 src2=0
	v_perm_b32 v38 /*v294*/, v120, v120, 0xc0c0003
	s_set_vgpr_msb 0                        ;  msbs: dst=0 src0=0 src1=0 src2=0
	v_or_b32_e32 v109, v109, v113
	s_set_vgpr_msb 5                        ;  msbs: dst=0 src0=1 src1=1 src2=0
	v_perm_b32 v113, v52 /*v308*/, v52 /*v308*/, 0xc0c0c03
	s_set_vgpr_msb 0x44                     ;  msbs: dst=1 src0=0 src1=1 src2=0
	v_dot4_i32_iu8 v78 /*v334*/, v107, v44 /*v300*/, v110 neg_lo:[1,1,0]
	s_set_vgpr_msb 4                        ;  msbs: dst=0 src0=0 src1=1 src2=0
	v_lshrrev_b32_e32 v110, 16, v9 /*v265*/
	s_set_vgpr_msb 0                        ;  msbs: dst=0 src0=0 src1=0 src2=0
	v_lshlrev_b32_e32 v120, 16, v111
	s_set_vgpr_msb 0x44                     ;  msbs: dst=1 src0=0 src1=1 src2=0
	v_dot4_i32_iu8 v80 /*v336*/, v109, v44 /*v300*/, v106 neg_lo:[1,1,0]
	s_set_vgpr_msb 0                        ;  msbs: dst=0 src0=0 src1=0 src2=0
	v_or_b32_e32 v112, v112, v113
	s_set_vgpr_msb 4                        ;  msbs: dst=0 src0=0 src1=1 src2=0
	v_lshrrev_b32_e32 v109, 16, v10 /*v266*/
	s_set_vgpr_msb 64                       ;  msbs: dst=1 src0=0 src1=0 src2=0
	v_perm_b32 v16 /*v272*/, v130, v130, 0xc0c0201
	v_perm_b32 v17 /*v273*/, v131, v131, 0x4030c0c
	s_set_vgpr_msb 0                        ;  msbs: dst=0 src0=0 src1=0 src2=0
	v_perm_b32 v170, v130, v141, 0x4070201
	v_perm_b32 v159, v128, v143, 0x4070201
	s_set_vgpr_msb 64                       ;  msbs: dst=1 src0=0 src1=0 src2=0
	v_perm_b32 v50 /*v306*/, v147, v147, 0xc0c0003
	s_set_vgpr_msb 0                        ;  msbs: dst=0 src0=0 src1=0 src2=0
	v_perm_b32 v163, v163, v163, 0xc0c0003
	v_perm_b32 v144, v144, v144, 0x2010003
	s_set_vgpr_msb 64                       ;  msbs: dst=1 src0=0 src1=0 src2=0
	v_perm_b32 v65 /*v321*/, v133, v133, 0xc0c0c01
	v_dual_lshlrev_b32 v67 /*v323*/, 8, v138 :: v_dual_lshlrev_b32 v69 /*v325*/, 8, v124
	v_perm_b32 v68 /*v324*/, v138, v138, 0xc0c0003
	v_dual_lshlrev_b32 v34 /*v290*/, 16, v124 :: v_dual_lshlrev_b32 v15 /*v271*/, 8, v122
	s_set_vgpr_msb 0                        ;  msbs: dst=0 src0=0 src1=0 src2=0
	v_perm_b32 v138, v94, v133, 0x504020c
	s_set_vgpr_msb 64                       ;  msbs: dst=1 src0=0 src1=0 src2=0
	v_lshlrev_b32_e32 v74 /*v330*/, 16, v122
	v_perm_b32 v75 /*v331*/, v124, v124, 0xc0c0003
	v_perm_b32 v77 /*v333*/, v122, v122, 0xc0c0003
	s_set_vgpr_msb 4                        ;  msbs: dst=0 src0=0 src1=1 src2=0
	v_dot4_i32_iu8 v182, v112, v44 /*v300*/, v182 neg_lo:[1,1,0]
	s_set_vgpr_msb 0                        ;  msbs: dst=0 src0=0 src1=0 src2=0
	v_lshlrev_b32_e32 v121, 8, v111
	v_cvt_f32_f16_e32 v113, v109
	v_cvt_f32_f16_e32 v112, v110
	v_perm_b32 v122, v111, v111, 0xc0c0003
	v_perm_b32 v109, v120, v111, 0xc0c0700
	s_set_vgpr_msb 4                        ;  msbs: dst=0 src0=0 src1=1 src2=0
	v_perm_b32 v110, v123, v49 /*v305*/, 0x7030c0c
	s_set_vgpr_msb 1                        ;  msbs: dst=0 src0=1 src1=0 src2=0
	v_perm_b32 v111, v11 /*v267*/, v137, 0x7030c0c
	s_set_vgpr_msb 5                        ;  msbs: dst=0 src0=1 src1=1 src2=0
	v_perm_b32 v123, v18 /*v274*/, v41 /*v297*/, 0x7030c0c
	v_perm_b32 v124, v51 /*v307*/, v52 /*v308*/, 0x7030c0c
	s_set_vgpr_msb 1                        ;  msbs: dst=0 src0=1 src1=0 src2=0
	v_dual_lshlrev_b32 v243, 16, v118 :: v_dual_lshlrev_b32 v244, 8, v118
	v_cvt_f32_f16_e64 v83, v12 /*v268*/
	s_set_vgpr_msb 0x44                     ;  msbs: dst=1 src0=0 src1=1 src2=0
	v_lshrrev_b32_e32 v12 /*v268*/, 16, v12 /*v268*/
	s_set_vgpr_msb 64                       ;  msbs: dst=1 src0=0 src1=0 src2=0
	v_perm_b32 v19 /*v275*/, v84, v131, 0x504020c
	v_perm_b32 v29 /*v285*/, v131, v131, 0xc0c0c01
	s_set_vgpr_msb 0                        ;  msbs: dst=0 src0=0 src1=0 src2=0
	v_perm_b32 v81, v129, v129, 0xc0c0601
	v_perm_b32 v156, v133, v133, 0x4030c0c
	;; [unrolled: 1-line block ×3, first 2 shown]
	s_set_vgpr_msb 64                       ;  msbs: dst=1 src0=0 src1=0 src2=0
	v_perm_b32 v54 /*v310*/, v151, v151, 0xc0c0003
	v_perm_b32 v56 /*v312*/, v145, v145, 0xc0c0100
	;; [unrolled: 1-line block ×5, first 2 shown]
	s_set_vgpr_msb 0                        ;  msbs: dst=0 src0=0 src1=0 src2=0
	v_perm_b32 v146, v145, v145, 0xc0c0302
	v_perm_b32 v145, v143, v143, 0x2010003
	;; [unrolled: 1-line block ×6, first 2 shown]
	v_dual_lshlrev_b32 v183, 8, v114 :: v_dual_lshlrev_b32 v177, 16, v114
	v_perm_b32 v149, v128, v128, 0x2010003
	v_perm_b32 v150, v130, v130, 0x2010003
	;; [unrolled: 1-line block ×6, first 2 shown]
	s_wait_dscnt 0x2
	s_set_vgpr_msb 64                       ;  msbs: dst=1 src0=0 src1=0 src2=0
	v_perm_b32 v21 /*v277*/, v98, v133, 0x504020c
	s_set_vgpr_msb 0                        ;  msbs: dst=0 src0=0 src1=0 src2=0
	v_perm_b32 v119, v96, v133, 0x504020c
	v_dot4_i32_iu8 v144, v160, v144, v176 neg_lo:[1,1,0]
	v_perm_b32 v176, v129, v129, 0x6010007
	v_perm_b32 v174, v128, v128, 0xc0c0302
	s_set_vgpr_msb 64                       ;  msbs: dst=1 src0=0 src1=0 src2=0
	v_perm_b32 v48 /*v304*/, v130, v130, 0xc0c0302
	v_bfe_i32 v59 /*v315*/, v129, 0, 8
	v_perm_b32 v70 /*v326*/, v129, v129, 0xc070601
	v_perm_b32 v73 /*v329*/, v118, v118, 0xc0c0003
	;; [unrolled: 1-line block ×3, first 2 shown]
	s_set_vgpr_msb 0                        ;  msbs: dst=0 src0=0 src1=0 src2=0
	v_lshlrev_b32_e32 v114, 16, v87
	v_dot4_i32_iu8 v168, v104, v170, v168 neg_lo:[1,1,0]
	v_lshlrev_b32_e32 v118, 8, v87
	s_set_vgpr_msb 16                       ;  msbs: dst=0 src0=0 src1=0 src2=1
	v_dot4_i32_iu8 v170, v105, v159, v22 /*v278*/ neg_lo:[1,1,0]
	v_dot4_i32_iu8 v159, v104, v159, v24 /*v280*/ neg_lo:[1,1,0]
	s_set_vgpr_msb 0x54                     ;  msbs: dst=1 src0=0 src1=1 src2=1
	v_dot4_i32_iu8 v24 /*v280*/, v104, v44 /*v300*/, v27 /*v283*/ neg_lo:[1,1,0]
	s_set_vgpr_msb 1                        ;  msbs: dst=0 src0=1 src1=0 src2=0
	v_cvt_f32_f16_e64 v104, v9 /*v265*/
	s_set_vgpr_msb 0x45                     ;  msbs: dst=1 src0=1 src1=1 src2=0
	v_or_b32_e32 v9 /*v265*/, v17 /*v273*/, v16 /*v272*/
	s_set_vgpr_msb 64                       ;  msbs: dst=1 src0=0 src1=0 src2=0
	v_dual_lshlrev_b32 v17 /*v273*/, 16, v108 :: v_dual_lshlrev_b32 v18 /*v274*/, 8, v108
	s_set_vgpr_msb 0                        ;  msbs: dst=0 src0=0 src1=0 src2=0
	v_perm_b32 v128, v166, v178, 0x7030c0c
	s_set_vgpr_msb 5                        ;  msbs: dst=0 src0=1 src1=1 src2=0
	v_perm_b32 v129, v62 /*v318*/, v30 /*v286*/, 0x7030c0c
	s_set_vgpr_msb 0                        ;  msbs: dst=0 src0=0 src1=0 src2=0
	v_perm_b32 v130, v121, v120, 0x7030c0c
	v_perm_b32 v120, v108, v121, 0x7030c0c
	s_set_vgpr_msb 0x44                     ;  msbs: dst=1 src0=0 src1=1 src2=0
	v_or_b32_e32 v51 /*v307*/, v138, v65 /*v321*/
	s_set_vgpr_msb 4                        ;  msbs: dst=0 src0=0 src1=1 src2=0
	v_or_b32_e32 v138, v111, v50 /*v306*/
	s_set_vgpr_msb 0                        ;  msbs: dst=0 src0=0 src1=0 src2=0
	v_or_b32_e32 v123, v123, v163
	s_set_vgpr_msb 4                        ;  msbs: dst=0 src0=0 src1=1 src2=0
	v_or_b32_e32 v124, v124, v53 /*v309*/
	s_set_vgpr_msb 1                        ;  msbs: dst=0 src0=1 src1=0 src2=0
	v_cvt_f32_f16_e64 v82, v13 /*v269*/
	s_set_vgpr_msb 0x44                     ;  msbs: dst=1 src0=0 src1=1 src2=0
	v_lshrrev_b32_e32 v13 /*v269*/, 16, v13 /*v269*/
	s_wait_dscnt 0x1
	s_set_vgpr_msb 0                        ;  msbs: dst=0 src0=0 src1=0 src2=0
	v_perm_b32 v115, v102, v133, 0x4020c0c
	s_set_vgpr_msb 0x50                     ;  msbs: dst=1 src0=0 src1=0 src2=1
	v_perm_b32 v43 /*v299*/, v133, v133, 0xc0c0100
	v_perm_b32 v45 /*v301*/, v131, v131, 0x6010007
	v_dot4_i32_iu8 v14 /*v270*/, v160, v142, v14 /*v270*/ neg_lo:[1,1,0]
	v_bfe_i32 v71 /*v327*/, v131, 0, 8
	v_perm_b32 v72 /*v328*/, v131, v131, 0xc070601
	s_set_vgpr_msb 4                        ;  msbs: dst=0 src0=0 src1=1 src2=0
	v_dot4_i32_iu8 v181, v105, v44 /*v300*/, v181 neg_lo:[1,1,0]
	s_set_vgpr_msb 1                        ;  msbs: dst=0 src0=1 src1=0 src2=0
	v_cvt_f32_f16_e64 v105, v10 /*v266*/
	v_cvt_f32_f16_e64 v107, v12 /*v268*/
	s_set_vgpr_msb 0x45                     ;  msbs: dst=1 src0=1 src1=1 src2=0
	v_or_b32_e32 v10 /*v266*/, v19 /*v275*/, v29 /*v285*/
	s_set_vgpr_msb 64                       ;  msbs: dst=1 src0=0 src1=0 src2=0
	v_or_b32_e32 v12 /*v268*/, v156, v162
	s_set_vgpr_msb 0                        ;  msbs: dst=0 src0=0 src1=0 src2=0
	v_perm_b32 v178, v108, v108, 0xc0c0003
	s_set_vgpr_msb 0x41                     ;  msbs: dst=1 src0=1 src1=0 src2=0
	v_perm_b32 v29 /*v285*/, v17 /*v273*/, v108, 0xc0c0700
	s_set_vgpr_msb 0x45                     ;  msbs: dst=1 src0=1 src1=1 src2=0
	v_perm_b32 v41 /*v297*/, v67 /*v323*/, v66 /*v322*/, 0x7030c0c
	s_set_vgpr_msb 0x44                     ;  msbs: dst=1 src0=0 src1=1 src2=0
	v_or_b32_e32 v49 /*v305*/, v141, v65 /*v321*/
	s_set_vgpr_msb 0x45                     ;  msbs: dst=1 src0=1 src1=1 src2=0
	v_or_b32_e32 v21 /*v277*/, v21 /*v277*/, v65 /*v321*/
	s_set_vgpr_msb 0x44                     ;  msbs: dst=1 src0=0 src1=1 src2=0
	v_or_b32_e32 v52 /*v308*/, v119, v65 /*v321*/
	s_set_vgpr_msb 64                       ;  msbs: dst=1 src0=0 src1=0 src2=0
	v_perm_b32 v65 /*v321*/, v118, v114, 0xc0c0703
	v_perm_b32 v66 /*v322*/, v118, v114, 0x7030c0c
	s_set_vgpr_msb 0                        ;  msbs: dst=0 src0=0 src1=0 src2=0
	v_or_b32_e32 v118, v120, v109
	v_or_b32_e32 v131, v110, v157
	s_set_vgpr_msb 4                        ;  msbs: dst=0 src0=0 src1=1 src2=0
	v_or_b32_e32 v128, v128, v54 /*v310*/
	s_set_vgpr_msb 1                        ;  msbs: dst=0 src0=1 src1=0 src2=0
	v_cvt_f32_f16_e64 v108, v6 /*v262*/
	s_set_vgpr_msb 4                        ;  msbs: dst=0 src0=0 src1=1 src2=0
	v_lshrrev_b32_e32 v141, 16, v6 /*v262*/
	s_set_vgpr_msb 0x54                     ;  msbs: dst=1 src0=0 src1=1 src2=1
	v_dot4_i32_iu8 v6 /*v262*/, v135, v56 /*v312*/, v26 /*v282*/ neg_lo:[1,1,0]
	s_set_vgpr_msb 1                        ;  msbs: dst=0 src0=1 src1=0 src2=0
	v_cvt_f32_f16_e64 v111, v7 /*v263*/
	v_cvt_f32_f16_e64 v110, v2 /*v258*/
	s_set_vgpr_msb 4                        ;  msbs: dst=0 src0=0 src1=1 src2=0
	v_dual_lshrrev_b32 v142, 16, v7 /*v263*/ :: v_dual_lshrrev_b32 v156, 16, v2 /*v258*/
	v_or_b32_e32 v129, v129, v63 /*v319*/
	s_set_vgpr_msb 0x44                     ;  msbs: dst=1 src0=0 src1=1 src2=0
	v_dot4_i32_iu8 v2 /*v258*/, v135, v57 /*v313*/, v161 neg_lo:[1,1,0]
	s_set_vgpr_msb 4                        ;  msbs: dst=0 src0=0 src1=1 src2=0
	v_lshrrev_b32_e32 v160, 16, v1 /*v257*/
	s_set_vgpr_msb 1                        ;  msbs: dst=0 src0=1 src1=0 src2=0
	v_cvt_f32_f16_e64 v121, v5 /*v261*/
	s_set_vgpr_msb 4                        ;  msbs: dst=0 src0=0 src1=1 src2=0
	v_lshrrev_b32_e32 v161, 16, v5 /*v261*/
	s_set_vgpr_msb 0x50                     ;  msbs: dst=1 src0=0 src1=0 src2=1
	v_dot4_i32_iu8 v5 /*v261*/, v138, v126, v23 /*v279*/ neg_lo:[1,1,0]
	v_dot4_i32_iu8 v7 /*v263*/, v123, v126, v25 /*v281*/ neg_lo:[1,1,0]
	;; [unrolled: 1-line block ×3, first 2 shown]
	s_set_vgpr_msb 64                       ;  msbs: dst=1 src0=0 src1=0 src2=0
	v_dot4_i32_iu8 v25 /*v281*/, v123, v143, v167 neg_lo:[1,1,0]
	s_set_vgpr_msb 16                       ;  msbs: dst=0 src0=0 src1=0 src2=1
	v_cvt_f32_f16_e64 v123, v255
	v_lshrrev_b32_e32 v167, 16, v255
	v_dot4_i32_iu8 v255, v124, v126, v39 /*v295*/ neg_lo:[1,1,0]
	s_set_vgpr_msb 0x50                     ;  msbs: dst=1 src0=0 src1=0 src2=1
	v_dot4_i32_iu8 v26 /*v282*/, v124, v145, v40 /*v296*/ neg_lo:[1,1,0]
	s_set_vgpr_msb 0                        ;  msbs: dst=0 src0=0 src1=0 src2=0
	v_dot4_i32_iu8 v169, v124, v143, v169 neg_lo:[1,1,0]
	v_cvt_f32_f16_e64 v124, v248
	v_lshrrev_b32_e32 v248, 16, v248
	v_perm_b32 v151, v133, v133, 0xc0c0601
	s_set_vgpr_msb 64                       ;  msbs: dst=1 src0=0 src1=0 src2=0
	v_perm_b32 v46 /*v302*/, v133, v133, 0x6010007
	v_bfe_i32 v55 /*v311*/, v133, 0, 8
	v_perm_b32 v58 /*v314*/, v133, v133, 0xc070601
	v_dual_lshlrev_b32 v27 /*v283*/, 16, v93 :: v_dual_lshlrev_b32 v82 /*v338*/, 8, v95
	s_set_vgpr_msb 1                        ;  msbs: dst=0 src0=1 src1=0 src2=0
	v_cvt_f32_f16_e64 v106, v13 /*v269*/
	s_set_vgpr_msb 64                       ;  msbs: dst=1 src0=0 src1=0 src2=0
	v_lshlrev_b32_e32 v13 /*v269*/, 16, v95
	s_set_vgpr_msb 0x44                     ;  msbs: dst=1 src0=0 src1=1 src2=0
	v_or_b32_e32 v43 /*v299*/, v115, v43 /*v299*/
	s_wait_dscnt 0x0
	s_set_vgpr_msb 0                        ;  msbs: dst=0 src0=0 src1=0 src2=0
	v_dual_lshlrev_b32 v133, 16, v101 :: v_dual_lshlrev_b32 v137, 8, v101
	s_set_vgpr_msb 64                       ;  msbs: dst=1 src0=0 src1=0 src2=0
	v_perm_b32 v53 /*v309*/, v95, v95, 0xc0c0003
	s_set_vgpr_msb 1                        ;  msbs: dst=0 src0=1 src1=0 src2=0
	v_cvt_f32_f16_e64 v109, v8 /*v264*/
	s_set_vgpr_msb 0x54                     ;  msbs: dst=1 src0=0 src1=1 src2=1
	v_dot4_i32_iu8 v8 /*v264*/, v135, v31 /*v287*/, v60 /*v316*/ neg_lo:[1,1,0]
	s_set_vgpr_msb 1                        ;  msbs: dst=0 src0=1 src1=0 src2=0
	v_cvt_f32_f16_e64 v115, v3 /*v259*/
	v_cvt_f32_f16_e64 v114, v1 /*v257*/
	s_set_vgpr_msb 4                        ;  msbs: dst=0 src0=0 src1=1 src2=0
	v_lshrrev_b32_e32 v157, 16, v3 /*v259*/
	s_set_vgpr_msb 0x50                     ;  msbs: dst=1 src0=0 src1=0 src2=1
	v_dot4_i32_iu8 v1 /*v257*/, v118, v127, v32 /*v288*/ neg_lo:[1,1,0]
	v_perm_b32 v3 /*v259*/, v134, v134, 0xc0c0c03
	s_set_vgpr_msb 0                        ;  msbs: dst=0 src0=0 src1=0 src2=0
	v_dot4_i32_iu8 v179, v131, v126, v179 neg_lo:[1,1,0]
	s_set_vgpr_msb 0x50                     ;  msbs: dst=1 src0=0 src1=0 src2=1
	v_dot4_i32_iu8 v31 /*v287*/, v128, v126, v42 /*v298*/ neg_lo:[1,1,0]
	v_dot4_i32_iu8 v32 /*v288*/, v129, v126, v33 /*v289*/ neg_lo:[1,1,0]
	s_set_vgpr_msb 0                        ;  msbs: dst=0 src0=0 src1=0 src2=0
	v_cvt_f32_f16_e64 v126, v250
	v_lshrrev_b32_e32 v250, 16, v250
	v_cvt_f32_f16_e64 v134, v156
	v_cvt_f32_f16_e64 v156, v248
	s_set_vgpr_msb 4                        ;  msbs: dst=0 src0=0 src1=1 src2=0
	v_perm_b32 v95, v95, v69 /*v325*/, 0x407030c
	s_set_vgpr_msb 5                        ;  msbs: dst=0 src0=1 src1=1 src2=0
	v_perm_b32 v248, v34 /*v290*/, v34 /*v290*/, 0xc0c0c03
	s_set_vgpr_msb 64                       ;  msbs: dst=1 src0=0 src1=0 src2=0
	v_perm_b32 v42 /*v298*/, v137, v133, 0x7030c0c
	s_set_vgpr_msb 0                        ;  msbs: dst=0 src0=0 src1=0 src2=0
	v_cvt_f32_f16_e64 v133, v136
	v_cvt_f32_f16_e64 v136, v160
	;; [unrolled: 1-line block ×3, first 2 shown]
	v_or_b32_e32 v95, v95, v248
	s_set_vgpr_msb 4                        ;  msbs: dst=0 src0=0 src1=1 src2=0
	v_perm_b32 v248, v88, v82 /*v338*/, 0x504030c
	s_set_vgpr_msb 5                        ;  msbs: dst=0 src0=1 src1=1 src2=0
	v_perm_b32 v250, v13 /*v269*/, v13 /*v269*/, 0xc0c0c03
	s_set_vgpr_msb 0                        ;  msbs: dst=0 src0=0 src1=0 src2=0
	v_cvt_f32_f16_e32 v119, v116
	v_dual_lshrrev_b32 v163, 16, v116 :: v_dual_bitop2_b32 v130, v130, v122 bitop3:0x54
	v_cvt_f32_f16_e64 v116, v252
	v_lshrrev_b32_e32 v252, 16, v252
	v_cvt_f32_f16_e64 v127, v253
	v_dual_lshrrev_b32 v253, 16, v253 :: v_dual_bitop2_b32 v248, v248, v250 bitop3:0x54
	v_perm_b32 v250, v97, v183, 0x407030c
	v_perm_b32 v183, v183, v177, 0x7030c0c
	;; [unrolled: 1-line block ×3, first 2 shown]
	s_set_vgpr_msb 64                       ;  msbs: dst=1 src0=0 src1=0 src2=0
	v_dual_lshlrev_b32 v22 /*v278*/, 8, v93 :: v_dual_lshlrev_b32 v44 /*v300*/, 8, v99
	v_lshlrev_b32_e32 v62 /*v318*/, 8, v97
	s_set_vgpr_msb 0                        ;  msbs: dst=0 src0=0 src1=0 src2=0
	v_or_b32_e32 v173, v173, v175
	v_lshlrev_b32_e32 v175, 16, v99
	s_set_vgpr_msb 64                       ;  msbs: dst=1 src0=0 src1=0 src2=0
	v_perm_b32 v50 /*v306*/, v87, v87, 0xc0c0003
	s_set_vgpr_msb 0                        ;  msbs: dst=0 src0=0 src1=0 src2=0
	v_lshrrev_b32_e32 v162, 16, v117
	s_set_vgpr_msb 4                        ;  msbs: dst=0 src0=0 src1=1 src2=0
	v_dot4_i32_iu8 v172, v118, v61 /*v317*/, v172 neg_lo:[1,1,0]
	s_set_vgpr_msb 1                        ;  msbs: dst=0 src0=1 src1=0 src2=0
	v_cvt_f32_f16_e64 v118, v4 /*v260*/
	s_set_vgpr_msb 4                        ;  msbs: dst=0 src0=0 src1=1 src2=0
	v_lshrrev_b32_e32 v166, 16, v4 /*v260*/
	s_set_vgpr_msb 0                        ;  msbs: dst=0 src0=0 src1=0 src2=0
	v_dot4_i32_iu8 v180, v131, v145, v180 neg_lo:[1,1,0]
	s_set_vgpr_msb 64                       ;  msbs: dst=1 src0=0 src1=0 src2=0
	v_dot4_i32_iu8 v4 /*v260*/, v131, v143, v125 neg_lo:[1,1,0]
	s_set_vgpr_msb 0                        ;  msbs: dst=0 src0=0 src1=0 src2=0
	v_dot4_i32_iu8 v171, v128, v143, v171 neg_lo:[1,1,0]
	s_set_vgpr_msb 64                       ;  msbs: dst=1 src0=0 src1=0 src2=0
	v_dot4_i32_iu8 v35 /*v291*/, v129, v143, v139 neg_lo:[1,1,0]
	v_dot4_i32_iu8 v39 /*v295*/, v130, v145, v132 neg_lo:[1,1,0]
	s_set_vgpr_msb 0                        ;  msbs: dst=0 src0=0 src1=0 src2=0
	v_cvt_f32_f16_e64 v128, v247
	v_lshrrev_b32_e32 v247, 16, v247
	s_set_vgpr_msb 64                       ;  msbs: dst=1 src0=0 src1=0 src2=0
	v_dot4_i32_iu8 v40 /*v296*/, v130, v143, v140 neg_lo:[1,1,0]
	s_set_vgpr_msb 0                        ;  msbs: dst=0 src0=0 src1=0 src2=0
	v_cvt_f32_f16_e64 v131, v246
	v_cvt_f32_f16_e64 v130, v245
	v_dual_lshrrev_b32 v246, 16, v246 :: v_dual_lshrrev_b32 v245, 16, v245
	v_cvt_f32_f16_e64 v143, v161
	v_cvt_f32_f16_e64 v140, v252
	;; [unrolled: 1-line block ×3, first 2 shown]
	v_perm_b32 v87, v87, v91, 0x407030c
	v_perm_b32 v91, v91, v85, 0x7030c0c
	;; [unrolled: 1-line block ×3, first 2 shown]
	v_or_b32_e32 v177, v250, v177
	s_set_vgpr_msb 4                        ;  msbs: dst=0 src0=0 src1=1 src2=0
	v_perm_b32 v250, v99, v15 /*v271*/, 0x407030c
	s_set_vgpr_msb 5                        ;  msbs: dst=0 src0=1 src1=1 src2=0
	v_perm_b32 v252, v74 /*v330*/, v74 /*v330*/, 0xc0c0c03
	s_set_vgpr_msb 4                        ;  msbs: dst=0 src0=0 src1=1 src2=0
	v_perm_b32 v253, v103, v18 /*v274*/, 0x7030c0c
	s_set_vgpr_msb 64                       ;  msbs: dst=1 src0=0 src1=0 src2=0
	v_dual_lshlrev_b32 v19 /*v275*/, 8, v103 :: v_dual_lshlrev_b32 v30 /*v286*/, 16, v103
	s_set_vgpr_msb 0                        ;  msbs: dst=0 src0=0 src1=0 src2=0
	v_cvt_f32_f16_e64 v122, v254
	v_lshrrev_b32_e32 v254, 16, v254
	v_cvt_f32_f16_e64 v125, v251
	v_lshrrev_b32_e32 v251, 16, v251
	s_set_vgpr_msb 0x50                     ;  msbs: dst=1 src0=0 src1=0 src2=1
	v_dot4_i32_iu8 v14 /*v270*/, v129, v145, v14 /*v270*/ neg_lo:[1,1,0]
	s_set_vgpr_msb 0                        ;  msbs: dst=0 src0=0 src1=0 src2=0
	v_cvt_f32_f16_e64 v135, v142
	v_cvt_f32_f16_e64 v142, v162
	;; [unrolled: 1-line block ×5, first 2 shown]
	v_or_b32_e32 v85, v87, v85
	s_set_vgpr_msb 5                        ;  msbs: dst=0 src0=1 src1=1 src2=0
	v_perm_b32 v87, v27 /*v283*/, v27 /*v283*/, 0xc0c0c03
	v_perm_b32 v246, v22 /*v278*/, v27 /*v283*/, 0x7030c0c
	s_set_vgpr_msb 4                        ;  msbs: dst=0 src0=0 src1=1 src2=0
	v_perm_b32 v247, v88, v22 /*v278*/, 0x504030c
	s_set_vgpr_msb 0                        ;  msbs: dst=0 src0=0 src1=0 src2=0
	v_or_b32_e32 v250, v250, v252
	s_set_vgpr_msb 5                        ;  msbs: dst=0 src0=1 src1=1 src2=0
	v_perm_b32 v252, v18 /*v274*/, v17 /*v273*/, 0x7030c0c
	s_set_vgpr_msb 4                        ;  msbs: dst=0 src0=0 src1=1 src2=0
	v_or_b32_e32 v253, v253, v29 /*v285*/
	v_cvt_f32_f16_e64 v138, v166
	v_cvt_f32_f16_e64 v166, v245
	v_perm_b32 v245, v92, v22 /*v278*/, 0x504030c
	s_set_vgpr_msb 0x44                     ;  msbs: dst=1 src0=0 src1=1 src2=0
	v_perm_b32 v18 /*v274*/, v88, v44 /*v300*/, 0x504030c
	s_set_vgpr_msb 0x41                     ;  msbs: dst=1 src0=1 src1=0 src2=0
	v_perm_b32 v22 /*v278*/, v44 /*v300*/, v175, 0x7030c0c
	s_set_vgpr_msb 0                        ;  msbs: dst=0 src0=0 src1=0 src2=0
	v_perm_b32 v175, v175, v175, 0xc0c0c03
	s_set_vgpr_msb 0x44                     ;  msbs: dst=1 src0=0 src1=1 src2=0
	v_dot4_i32_iu8 v33 /*v289*/, v129, v64 /*v320*/, v144 neg_lo:[1,1,0]
	s_set_vgpr_msb 0                        ;  msbs: dst=0 src0=0 src1=0 src2=0
	v_cvt_f32_f16_e64 v137, v157
	s_set_vgpr_msb 64                       ;  msbs: dst=1 src0=0 src1=0 src2=0
	v_perm_b32 v54 /*v310*/, v93, v244, 0x407030c
	s_set_vgpr_msb 0                        ;  msbs: dst=0 src0=0 src1=0 src2=0
	v_perm_b32 v244, v244, v243, 0x7030c0c
	v_perm_b32 v243, v243, v243, 0xc0c0c03
	v_cvt_f32_f16_e64 v144, v254
	v_cvt_f32_f16_e64 v157, v251
	v_or_b32_e32 v245, v245, v87
	v_or_b32_e32 v87, v247, v87
	s_set_vgpr_msb 5                        ;  msbs: dst=0 src0=1 src1=1 src2=0
	v_perm_b32 v247, v69 /*v325*/, v34 /*v290*/, 0x7030c0c
	v_perm_b32 v251, v15 /*v271*/, v74 /*v330*/, 0x7030c0c
	s_set_vgpr_msb 0                        ;  msbs: dst=0 src0=0 src1=0 src2=0
	v_perm_b32 v254, v103, v103, 0xc0c0003
	s_set_vgpr_msb 1                        ;  msbs: dst=0 src0=1 src1=0 src2=0
	v_or_b32_e32 v175, v18 /*v274*/, v175
	s_set_vgpr_msb 0x44                     ;  msbs: dst=1 src0=0 src1=1 src2=0
	v_perm_b32 v18 /*v274*/, v102, v19 /*v275*/, 0x4030c0c
	s_set_vgpr_msb 1                        ;  msbs: dst=0 src0=1 src1=0 src2=0
	v_perm_b32 v103, v30 /*v286*/, v103, 0xc0c0700
	s_set_vgpr_msb 64                       ;  msbs: dst=1 src0=0 src1=0 src2=0
	v_lshlrev_b32_e32 v67 /*v323*/, 16, v97
	s_set_vgpr_msb 0                        ;  msbs: dst=0 src0=0 src1=0 src2=0
	v_perm_b32 v101, v101, v101, 0xc0c0003
	v_cvt_f32_f16_e64 v129, v249
	s_set_vgpr_msb 1                        ;  msbs: dst=0 src0=1 src1=0 src2=0
	v_dual_lshrrev_b32 v249, 16, v249 :: v_dual_bitop2_b32 v243, v54 /*v310*/, v243 bitop3:0x54
	s_set_vgpr_msb 0                        ;  msbs: dst=0 src0=0 src1=0 src2=0
	v_perm_b32 v93, v93, v93, 0xc0c0003
	s_set_vgpr_msb 4                        ;  msbs: dst=0 src0=0 src1=1 src2=0
	v_or_b32_e32 v247, v247, v75 /*v331*/
	v_or_b32_e32 v244, v244, v73 /*v329*/
	;; [unrolled: 1-line block ×4, first 2 shown]
	s_set_vgpr_msb 0x45                     ;  msbs: dst=1 src0=1 src1=1 src2=0
	v_or_b32_e32 v17 /*v273*/, v41 /*v297*/, v68 /*v324*/
	s_set_vgpr_msb 0                        ;  msbs: dst=0 src0=0 src1=0 src2=0
	v_or_b32_e32 v178, v252, v178
	s_set_vgpr_msb 4                        ;  msbs: dst=0 src0=0 src1=1 src2=0
	v_perm_b32 v252, v88, v62 /*v318*/, 0x504030c
	s_set_vgpr_msb 0x41                     ;  msbs: dst=1 src0=1 src1=0 src2=0
	v_or_b32_e32 v18 /*v274*/, v18 /*v274*/, v103
	s_set_vgpr_msb 0x45                     ;  msbs: dst=1 src0=1 src1=1 src2=0
	v_perm_b32 v29 /*v285*/, v67 /*v323*/, v67 /*v323*/, 0xc0c0c03
	s_set_vgpr_msb 0                        ;  msbs: dst=0 src0=0 src1=0 src2=0
	v_cvt_f32_f16_e32 v120, v117
	s_set_vgpr_msb 1                        ;  msbs: dst=0 src0=1 src1=0 src2=0
	v_cvt_f32_f16_e64 v117, v0 /*v256*/
	s_set_vgpr_msb 0x44                     ;  msbs: dst=1 src0=0 src1=1 src2=0
	v_lshrrev_b32_e32 v0 /*v256*/, 16, v0 /*v256*/
	s_set_vgpr_msb 0                        ;  msbs: dst=0 src0=0 src1=0 src2=0
	v_cvt_f32_f16_e64 v139, v163
	v_cvt_f32_f16_e64 v163, v249
	s_set_vgpr_msb 5                        ;  msbs: dst=0 src0=1 src1=1 src2=0
	v_perm_b32 v249, v82 /*v338*/, v13 /*v269*/, 0x7030c0c
	s_set_vgpr_msb 0                        ;  msbs: dst=0 src0=0 src1=0 src2=0
	v_perm_b32 v97, v97, v97, 0xc0c0003
	v_perm_b32 v99, v99, v99, 0xc0c0003
	s_set_vgpr_msb 4                        ;  msbs: dst=0 src0=0 src1=1 src2=0
	v_or_b32_e32 v183, v183, v76 /*v332*/
	s_set_vgpr_msb 0x45                     ;  msbs: dst=1 src0=1 src1=1 src2=0
	v_perm_b32 v27 /*v283*/, v62 /*v318*/, v67 /*v323*/, 0x7030c0c
	s_set_vgpr_msb 4                        ;  msbs: dst=0 src0=0 src1=1 src2=0
	v_or_b32_e32 v252, v252, v29 /*v285*/
	s_set_vgpr_msb 0x45                     ;  msbs: dst=1 src0=1 src1=1 src2=0
	v_perm_b32 v29 /*v285*/, v19 /*v275*/, v30 /*v286*/, 0x7030c0c
	s_set_vgpr_msb 0x44                     ;  msbs: dst=1 src0=0 src1=1 src2=0
	v_perm_b32 v19 /*v275*/, v88, v19 /*v275*/, 0x4030c0c
	s_set_vgpr_msb 1                        ;  msbs: dst=0 src0=1 src1=0 src2=0
	v_or_b32_e32 v101, v42 /*v298*/, v101
	s_set_vgpr_msb 0                        ;  msbs: dst=0 src0=0 src1=0 src2=0
	v_or_b32_e32 v93, v246, v93
	s_set_vgpr_msb 4                        ;  msbs: dst=0 src0=0 src1=1 src2=0
	v_dot4_i32_iu8 v168, v243, v9 /*v265*/, v168 neg_lo:[1,1,0]
	v_dot4_i32_iu8 v170, v85, v37 /*v293*/, v170 neg_lo:[1,1,0]
	s_set_vgpr_msb 0x54                     ;  msbs: dst=1 src0=0 src1=1 src2=1
	v_dot4_i32_iu8 v9 /*v265*/, v243, v12 /*v268*/, v24 /*v280*/ neg_lo:[1,1,0]
	s_set_vgpr_msb 20                       ;  msbs: dst=0 src0=0 src1=1 src2=1
	v_dot4_i32_iu8 v95, v95, v12 /*v268*/, v78 /*v334*/ neg_lo:[1,1,0]
	s_set_vgpr_msb 4                        ;  msbs: dst=0 src0=0 src1=1 src2=0
	v_dot4_i32_iu8 v159, v243, v37 /*v293*/, v159 neg_lo:[1,1,0]
	s_set_vgpr_msb 16                       ;  msbs: dst=0 src0=0 src1=0 src2=1
	v_dot4_i32_iu8 v242, v158, v242, v28 /*v284*/ neg_lo:[1,1,0]
	v_dot4_i32_iu8 v146, v158, v146, v6 /*v262*/ neg_lo:[1,1,0]
	;; [unrolled: 1-line block ×4, first 2 shown]
	s_set_vgpr_msb 4                        ;  msbs: dst=0 src0=0 src1=1 src2=0
	v_dot4_i32_iu8 v85, v85, v12 /*v268*/, v181 neg_lo:[1,1,0]
	s_set_vgpr_msb 20                       ;  msbs: dst=0 src0=0 src1=1 src2=1
	v_dot4_i32_iu8 v158, v177, v12 /*v268*/, v80 /*v336*/ neg_lo:[1,1,0]
	s_set_vgpr_msb 4                        ;  msbs: dst=0 src0=0 src1=1 src2=0
	v_dot4_i32_iu8 v177, v250, v12 /*v268*/, v182 neg_lo:[1,1,0]
	s_set_vgpr_msb 16                       ;  msbs: dst=0 src0=0 src1=0 src2=1
	v_dot4_i32_iu8 v181, v253, v241, v1 /*v257*/ neg_lo:[1,1,0]
	s_set_vgpr_msb 0                        ;  msbs: dst=0 src0=0 src1=0 src2=0
	v_dot4_i32_iu8 v179, v247, v240, v179 neg_lo:[1,1,0]
	v_dot4_i32_iu8 v180, v247, v149, v180 neg_lo:[1,1,0]
	s_set_vgpr_msb 16                       ;  msbs: dst=0 src0=0 src1=0 src2=1
	v_dot4_i32_iu8 v182, v247, v150, v4 /*v260*/ neg_lo:[1,1,0]
	v_dot4_i32_iu8 v241, v244, v240, v5 /*v261*/ neg_lo:[1,1,0]
	s_set_vgpr_msb 0                        ;  msbs: dst=0 src0=0 src1=0 src2=0
	v_dot4_i32_iu8 v247, v251, v240, v255 neg_lo:[1,1,0]
	s_set_vgpr_msb 16                       ;  msbs: dst=0 src0=0 src1=0 src2=1
	v_dot4_i32_iu8 v250, v251, v149, v26 /*v282*/ neg_lo:[1,1,0]
	s_set_vgpr_msb 0                        ;  msbs: dst=0 src0=0 src1=0 src2=0
	v_dot4_i32_iu8 v169, v251, v150, v169 neg_lo:[1,1,0]
	s_set_vgpr_msb 16                       ;  msbs: dst=0 src0=0 src1=0 src2=1
	;; [unrolled: 4-line block ×3, first 2 shown]
	v_dot4_i32_iu8 v171, v17 /*v273*/, v240, v32 /*v288*/ neg_lo:[1,1,0]
	s_set_vgpr_msb 0                        ;  msbs: dst=0 src0=0 src1=0 src2=0
	v_perm_b32 v237, v80, v80, 0xc0c0100
	s_set_vgpr_msb 64                       ;  msbs: dst=1 src0=0 src1=0 src2=0
	v_perm_b32 v79 /*v335*/, v84, v84, 0xc0c0302
	v_perm_b32 v81 /*v337*/, v92, v92, 0xc0c0302
	;; [unrolled: 1-line block ×4, first 2 shown]
	s_set_vgpr_msb 0                        ;  msbs: dst=0 src0=0 src1=0 src2=0
	v_cvt_f32_f16_e64 v132, v141
	s_set_vgpr_msb 1                        ;  msbs: dst=0 src0=1 src1=0 src2=0
	v_cvt_f32_f16_e64 v141, v0 /*v256*/
	s_set_vgpr_msb 64                       ;  msbs: dst=1 src0=0 src1=0 src2=0
	v_perm_b32 v0 /*v256*/, v100, v100, 0xc0c0100
	s_set_vgpr_msb 1                        ;  msbs: dst=0 src0=1 src1=0 src2=0
	v_or_b32_e32 v103, v19 /*v275*/, v103
	s_set_vgpr_msb 0x45                     ;  msbs: dst=1 src0=1 src1=1 src2=0
	v_or_b32_e32 v30 /*v286*/, v66 /*v322*/, v50 /*v306*/
	s_set_vgpr_msb 4                        ;  msbs: dst=0 src0=0 src1=1 src2=0
	v_or_b32_e32 v249, v249, v53 /*v309*/
	s_set_vgpr_msb 1                        ;  msbs: dst=0 src0=1 src1=0 src2=0
	v_or_b32_e32 v97, v27 /*v283*/, v97
	v_or_b32_e32 v99, v22 /*v278*/, v99
	;; [unrolled: 1-line block ×3, first 2 shown]
	s_set_vgpr_msb 4                        ;  msbs: dst=0 src0=0 src1=1 src2=0
	v_dot4_i32_iu8 v172, v253, v20 /*v276*/, v172 neg_lo:[1,1,0]
	s_set_vgpr_msb 16                       ;  msbs: dst=0 src0=0 src1=0 src2=1
	v_dot4_i32_iu8 v243, v183, v240, v7 /*v263*/ neg_lo:[1,1,0]
	v_dot4_i32_iu8 v244, v183, v149, v23 /*v279*/ neg_lo:[1,1,0]
	;; [unrolled: 1-line block ×3, first 2 shown]
	s_set_vgpr_msb 17                       ;  msbs: dst=0 src0=1 src1=0 src2=1
	v_dot4_i32_iu8 v155, v17 /*v273*/, v155, v33 /*v289*/ neg_lo:[1,1,0]
	v_dot4_i32_iu8 v240, v17 /*v273*/, v149, v14 /*v270*/ neg_lo:[1,1,0]
	;; [unrolled: 1-line block ×3, first 2 shown]
	s_set_vgpr_msb 16                       ;  msbs: dst=0 src0=0 src1=0 src2=1
	v_dot4_i32_iu8 v149, v178, v149, v39 /*v295*/ neg_lo:[1,1,0]
	v_dot4_i32_iu8 v150, v178, v150, v40 /*v296*/ neg_lo:[1,1,0]
	s_set_vgpr_msb 1                        ;  msbs: dst=0 src0=1 src1=0 src2=0
	v_dot4_i32_iu8 v81, v65 /*v321*/, v81, v170 neg_lo:[1,1,0]
	s_set_vgpr_msb 4                        ;  msbs: dst=0 src0=0 src1=1 src2=0
	v_dot4_i32_iu8 v168, v245, v10 /*v266*/, v168 neg_lo:[1,1,0]
	s_set_vgpr_msb 20                       ;  msbs: dst=0 src0=0 src1=1 src2=1
	v_dot4_i32_iu8 v87, v87, v49 /*v305*/, v9 /*v265*/ neg_lo:[1,1,0]
	s_set_vgpr_msb 4                        ;  msbs: dst=0 src0=0 src1=1 src2=0
	v_dot4_i32_iu8 v95, v248, v51 /*v307*/, v95 neg_lo:[1,1,0]
	s_set_vgpr_msb 1                        ;  msbs: dst=0 src0=1 src1=0 src2=0
	v_dot4_i32_iu8 v85, v65 /*v321*/, v151, v85 neg_lo:[1,1,0]
	s_set_vgpr_msb 0                        ;  msbs: dst=0 src0=0 src1=0 src2=0
	v_dot4_i32_iu8 v151, v165, v239, v242 neg_lo:[1,1,0]
	v_dot4_i32_iu8 v146, v165, v152, v146 neg_lo:[1,1,0]
	v_dot4_i32_iu8 v147, v165, v153, v147 neg_lo:[1,1,0]
	v_dot4_i32_iu8 v148, v165, v154, v148 neg_lo:[1,1,0]
	v_dot4_i32_iu8 v152, v245, v173, v159 neg_lo:[1,1,0]
	v_dot4_i32_iu8 v159, v101, v238, v171 neg_lo:[1,1,0]
	v_dot4_i32_iu8 v93, v93, v238, v241 neg_lo:[1,1,0]
	v_perm_b32 v233, v80, v80, 0xc0c0302
	v_perm_b32 v235, v80, v80, 0xc030201
	s_set_vgpr_msb 64                       ;  msbs: dst=1 src0=0 src1=0 src2=0
	v_perm_b32 v13 /*v269*/, v86, v86, 0xc0c0100
	v_perm_b32 v15 /*v271*/, v88, v88, 0xc0c0100
	;; [unrolled: 1-line block ×5, first 2 shown]
	s_set_vgpr_msb 0                        ;  msbs: dst=0 src0=0 src1=0 src2=0
	v_perm_b32 v246, v98, v98, 0xc0c0302
	s_set_vgpr_msb 64                       ;  msbs: dst=1 src0=0 src1=0 src2=0
	v_perm_b32 v27 /*v283*/, v100, v100, 0xc0c0302
	v_perm_b32 v22 /*v278*/, v88, v88, 0xc030201
	s_set_vgpr_msb 1                        ;  msbs: dst=0 src0=1 src1=0 src2=0
	v_dot4_i32_iu8 v89, v18 /*v274*/, v89, v181 neg_lo:[1,1,0]
	s_set_vgpr_msb 4                        ;  msbs: dst=0 src0=0 src1=1 src2=0
	v_dot4_i32_iu8 v153, v175, v21 /*v277*/, v177 neg_lo:[1,1,0]
	v_dot4_i32_iu8 v154, v252, v52 /*v308*/, v158 neg_lo:[1,1,0]
	;; [unrolled: 1-line block ×3, first 2 shown]
	s_set_vgpr_msb 1                        ;  msbs: dst=0 src0=1 src1=0 src2=0
	v_dot4_i32_iu8 v158, v30 /*v286*/, v238, v251 neg_lo:[1,1,0]
	s_set_vgpr_msb 5                        ;  msbs: dst=0 src0=1 src1=1 src2=0
	v_dot4_i32_iu8 v91, v30 /*v286*/, v45 /*v301*/, v91 neg_lo:[1,1,0]
	s_set_vgpr_msb 4                        ;  msbs: dst=0 src0=0 src1=1 src2=0
	v_dot4_i32_iu8 v155, v101, v46 /*v302*/, v155 neg_lo:[1,1,0]
	s_set_vgpr_msb 0                        ;  msbs: dst=0 src0=0 src1=0 src2=0
	v_dot4_i32_iu8 v165, v101, v176, v240 neg_lo:[1,1,0]
	s_set_vgpr_msb 4                        ;  msbs: dst=0 src0=0 src1=1 src2=0
	v_dot4_i32_iu8 v101, v101, v45 /*v301*/, v253 neg_lo:[1,1,0]
	s_set_vgpr_msb 0                        ;  msbs: dst=0 src0=0 src1=0 src2=0
	v_dot4_i32_iu8 v170, v249, v238, v179 neg_lo:[1,1,0]
	v_dot4_i32_iu8 v171, v249, v176, v180 neg_lo:[1,1,0]
	s_set_vgpr_msb 4                        ;  msbs: dst=0 src0=0 src1=1 src2=0
	v_dot4_i32_iu8 v172, v249, v45 /*v301*/, v182 neg_lo:[1,1,0]
	s_set_vgpr_msb 0                        ;  msbs: dst=0 src0=0 src1=0 src2=0
	v_dot4_i32_iu8 v173, v97, v238, v243 neg_lo:[1,1,0]
	v_dot4_i32_iu8 v175, v99, v238, v247 neg_lo:[1,1,0]
	;; [unrolled: 1-line block ×3, first 2 shown]
	s_set_vgpr_msb 4                        ;  msbs: dst=0 src0=0 src1=1 src2=0
	v_dot4_i32_iu8 v99, v99, v45 /*v301*/, v169 neg_lo:[1,1,0]
	s_set_vgpr_msb 0                        ;  msbs: dst=0 src0=0 src1=0 src2=0
	v_dot4_i32_iu8 v169, v97, v176, v244 neg_lo:[1,1,0]
	s_set_vgpr_msb 4                        ;  msbs: dst=0 src0=0 src1=1 src2=0
	v_dot4_i32_iu8 v97, v97, v45 /*v301*/, v183 neg_lo:[1,1,0]
	s_set_vgpr_msb 0                        ;  msbs: dst=0 src0=0 src1=0 src2=0
	v_dot4_i32_iu8 v149, v254, v176, v149 neg_lo:[1,1,0]
	s_set_vgpr_msb 4                        ;  msbs: dst=0 src0=0 src1=1 src2=0
	v_dot4_i32_iu8 v150, v254, v45 /*v301*/, v150 neg_lo:[1,1,0]
	s_set_vgpr_msb 5                        ;  msbs: dst=0 src0=1 src1=1 src2=0
	v_dot4_i32_iu8 v168, v81 /*v337*/, v79 /*v335*/, v168 neg_lo:[1,1,0]
	s_set_vgpr_msb 0                        ;  msbs: dst=0 src0=0 src1=0 src2=0
	v_dot4_i32_iu8 v176, v86, v90, v81 neg_lo:[1,1,0]
	s_set_vgpr_msb 5                        ;  msbs: dst=0 src0=1 src1=1 src2=0
	v_dot4_i32_iu8 v95, v16 /*v272*/, v11 /*v267*/, v95 neg_lo:[1,1,0]
	v_dot4_i32_iu8 v87, v16 /*v272*/, v81 /*v337*/, v87 neg_lo:[1,1,0]
	s_set_vgpr_msb 4                        ;  msbs: dst=0 src0=0 src1=1 src2=0
	v_dot4_i32_iu8 v159, v237, v0 /*v256*/, v159 neg_lo:[1,1,0]
	s_set_vgpr_msb 0                        ;  msbs: dst=0 src0=0 src1=0 src2=0
	v_dot4_i32_iu8 v92, v92, v80, v93 neg_lo:[1,1,0]
	v_dot4_i32_iu8 v93, v164, v236, v151 neg_lo:[1,1,0]
	s_set_vgpr_msb 4                        ;  msbs: dst=0 src0=0 src1=1 src2=0
	v_dot4_i32_iu8 v146, v164, v47 /*v303*/, v146 neg_lo:[1,1,0]
	s_set_vgpr_msb 0                        ;  msbs: dst=0 src0=0 src1=0 src2=0
	v_dot4_i32_iu8 v147, v164, v174, v147 neg_lo:[1,1,0]
	s_set_vgpr_msb 4                        ;  msbs: dst=0 src0=0 src1=1 src2=0
	v_dot4_i32_iu8 v148, v164, v48 /*v304*/, v148 neg_lo:[1,1,0]
	s_set_vgpr_msb 0x45                     ;  msbs: dst=1 src0=1 src1=1 src2=0
	v_or_b32_e32 v3 /*v259*/, v36 /*v292*/, v3 /*v259*/
	s_set_vgpr_msb 64                       ;  msbs: dst=1 src0=0 src1=0 src2=0
	v_perm_b32 v36 /*v292*/, v86, v86, 0xc0c0302
	s_set_vgpr_msb 0                        ;  msbs: dst=0 src0=0 src1=0 src2=0
	v_dot4_i32_iu8 v151, v94, v80, v170 neg_lo:[1,1,0]
	v_dot4_i32_iu8 v164, v94, v90, v171 neg_lo:[1,1,0]
	;; [unrolled: 1-line block ×3, first 2 shown]
	s_set_vgpr_msb 5                        ;  msbs: dst=0 src0=1 src1=1 src2=0
	v_dot4_i32_iu8 v170, v13 /*v269*/, v15 /*v271*/, v85 neg_lo:[1,1,0]
	v_dot4_i32_iu8 v152, v81 /*v337*/, v19 /*v275*/, v152 neg_lo:[1,1,0]
	s_set_vgpr_msb 0                        ;  msbs: dst=0 src0=0 src1=0 src2=0
	v_dot4_i32_iu8 v169, v90, v96, v169 neg_lo:[1,1,0]
	v_dot4_i32_iu8 v171, v90, v98, v177 neg_lo:[1,1,0]
	;; [unrolled: 1-line block ×13, first 2 shown]
	s_set_vgpr_msb 4                        ;  msbs: dst=0 src0=0 src1=1 src2=0
	v_dot4_i32_iu8 v89, v235, v34 /*v290*/, v89 neg_lo:[1,1,0]
	s_set_vgpr_msb 5                        ;  msbs: dst=0 src0=1 src1=1 src2=0
	v_dot4_i32_iu8 v100, v34 /*v290*/, v22 /*v278*/, v103 neg_lo:[1,1,0]
	v_dot4_i32_iu8 v98, v16 /*v272*/, v38 /*v294*/, v154 neg_lo:[1,1,0]
	s_set_vgpr_msb 1                        ;  msbs: dst=0 src0=1 src1=0 src2=0
	v_dot4_i32_iu8 v99, v16 /*v272*/, v246, v153 neg_lo:[1,1,0]
	s_set_vgpr_msb 4                        ;  msbs: dst=0 src0=0 src1=1 src2=0
	v_cvt_f32_i32_e32 v81, v168
	v_cvt_f32_i32_e32 v80, v176
	;; [unrolled: 1-line block ×4, first 2 shown]
	v_dot4_i32_iu8 v153, v233, v27 /*v283*/, v159 neg_lo:[1,1,0]
	v_mad_i32_i24 v154, v226, v55 /*v311*/, v146
	s_set_vgpr_msb 0                        ;  msbs: dst=0 src0=0 src1=0 src2=0
	v_mad_i32_i24 v155, v226, v234, v93
	s_set_vgpr_msb 4                        ;  msbs: dst=0 src0=0 src1=1 src2=0
	v_mad_i32_i24 v159, v226, v59 /*v315*/, v147
	v_mad_i32_i24 v148, v226, v71 /*v327*/, v148
	v_cvt_f32_i32_e32 v92, v92
	s_set_vgpr_msb 5                        ;  msbs: dst=0 src0=1 src1=1 src2=0
	v_dot4_i32_iu8 v168, v36 /*v292*/, v16 /*v272*/, v170 neg_lo:[1,1,0]
	s_set_vgpr_msb 0                        ;  msbs: dst=0 src0=0 src1=0 src2=0
	v_cvt_f32_i32_e32 v87, v89
	v_cvt_f32_i32_e32 v89, v151
	;; [unrolled: 1-line block ×11, first 2 shown]
	v_pk_fma_f32 v[80:81], v[82:83], v[80:81], v[106:107]
	v_pk_fma_f32 v[82:83], v[104:105], v[84:85], v[112:113]
	s_set_vgpr_msb 5                        ;  msbs: dst=0 src0=1 src1=1 src2=0
	v_dot4_i32_iu8 v90, v3 /*v259*/, v58 /*v314*/, v154 neg_lo:[1,1,0]
	s_set_vgpr_msb 1                        ;  msbs: dst=0 src0=1 src1=0 src2=0
	v_dot4_i32_iu8 v150, v3 /*v259*/, v225, v155 neg_lo:[1,1,0]
	s_set_vgpr_msb 5                        ;  msbs: dst=0 src0=1 src1=1 src2=0
	v_dot4_i32_iu8 v152, v3 /*v259*/, v70 /*v326*/, v159 neg_lo:[1,1,0]
	v_dot4_i32_iu8 v154, v3 /*v259*/, v72 /*v328*/, v148 neg_lo:[1,1,0]
	s_set_vgpr_msb 0                        ;  msbs: dst=0 src0=0 src1=0 src2=0
	v_fma_mix_f32 v84, v227, v92, v227 op_sel:[0,0,1] op_sel_hi:[1,0,1]
	v_cvt_f32_i32_e32 v92, v153
	v_cvt_f32_i32_e32 v91, v164
	;; [unrolled: 1-line block ×11, first 2 shown]
	v_fma_mix_f32 v85, v230, v151, v230 op_sel:[0,0,1] op_sel_hi:[1,0,1]
	v_fma_mix_f32 v107, v232, v86, v232 op_sel:[0,0,1] op_sel_hi:[1,0,1]
	v_cvt_f32_i32_e32 v148, v168
	v_fma_mix_f32 v104, v228, v88, v228 op_sel:[0,0,1] op_sel_hi:[1,0,1]
	v_fma_mix_f32 v106, v229, v92, v229 op_sel:[0,0,1] op_sel_hi:[1,0,1]
	v_cvt_f32_i32_e32 v86, v90
	v_cvt_f32_i32_e32 v88, v150
	;; [unrolled: 1-line block ×4, first 2 shown]
	v_fma_mix_f32 v105, v231, v158, v231 op_sel:[0,0,1] op_sel_hi:[1,0,1]
	v_pk_fma_f32 v[94:95], v[122:123], v[94:95], v[144:145]
	v_pk_fma_f32 v[96:97], v[124:125], v[96:97], v[156:157]
	;; [unrolled: 1-line block ×7, first 2 shown]
	v_pk_add_f32 v[10:11], v[10:11], v[80:81]
	v_pk_add_f32 v[30:31], v[30:31], v[82:83]
	;; [unrolled: 1-line block ×3, first 2 shown]
	v_pk_fma_f32 v[80:81], v[116:117], v[86:87], v[140:141]
	v_pk_fma_f32 v[82:83], v[108:109], v[88:89], v[132:133]
	;; [unrolled: 1-line block ×4, first 2 shown]
	v_dual_add_nc_u32 v224, 4, v224 :: v_dual_add_nc_u32 v223, 4, v223
	v_dual_add_nc_u32 v222, 4, v222 :: v_dual_add_nc_u32 v221, 4, v221
	;; [unrolled: 1-line block ×3, first 2 shown]
	v_pk_add_f32 v[14:15], v[14:15], v[104:105]
	v_pk_add_f32 v[18:19], v[18:19], v[94:95]
	;; [unrolled: 1-line block ×13, first 2 shown]
	s_add_co_i32 s12, s12, 4
	s_delay_alu instid0(SALU_CYCLE_1)
	s_cmp_lt_u32 s12, 12
	s_cbranch_scc1 .LBB123_9
; %bb.10:                               ;   in Loop: Header=BB123_7 Depth=1
	s_and_b32 s12, s15, -4
	s_delay_alu instid0(SALU_CYCLE_1)
	s_cmp_eq_u32 s12, 4
	s_barrier_signal -1
	s_barrier_wait -1
	s_cbranch_scc1 .LBB123_6
; %bb.11:                               ;   in Loop: Header=BB123_7 Depth=1
	v_dual_add_nc_u32 v80, s10, v191 :: v_dual_add_nc_u32 v96, 4, v217
	v_dual_mov_b32 v110, v215 :: v_dual_mov_b32 v111, v208
	v_dual_mov_b32 v112, v216 :: v_dual_mov_b32 v113, v212
	s_delay_alu instid0(VALU_DEP_3) | instskip(SKIP_3) | instid1(VALU_DEP_4)
	v_dual_add_nc_u32 v86, v80, v185 :: v_dual_add_nc_u32 v81, v80, v190
	v_dual_add_nc_u32 v82, v80, v79 :: v_dual_add_nc_u32 v84, v80, v184
	;; [unrolled: 1-line block ×4, first 2 shown]
	v_mad_nc_i64_i32 v[80:81], v81, 36, v[52:53]
	s_delay_alu instid0(VALU_DEP_4)
	v_mad_nc_i64_i32 v[82:83], v82, 36, v[52:53]
	v_mad_nc_i64_i32 v[84:85], v84, 36, v[52:53]
	;; [unrolled: 1-line block ×7, first 2 shown]
	v_mad_nc_u64_u32 v[96:97], v96, 36, s[2:3]
	s_clause 0x8
	global_load_b32 v98, v[80:81], off offset:4
	global_load_b32 v99, v[82:83], off offset:4
	;; [unrolled: 1-line block ×8, first 2 shown]
	global_load_b32 v106, v[96:97], off
	v_dual_mov_b32 v114, v211 :: v_dual_mov_b32 v115, v210
	v_mov_b32_e32 v116, v209
	s_mov_b32 s12, 12
	s_wait_loadcnt 0x8
	ds_store_b32 v206, v98
	s_wait_loadcnt 0x7
	ds_store_b32 v207, v99
	s_wait_loadcnt 0x6
	ds_store_b32 v200, v100
	s_wait_loadcnt 0x5
	ds_store_b32 v201, v101
	s_wait_loadcnt 0x4
	ds_store_b32 v202, v102
	s_wait_loadcnt 0x3
	ds_store_b32 v203, v103
	s_wait_loadcnt 0x2
	ds_store_b32 v204, v104
	s_wait_loadcnt 0x1
	ds_store_b32 v205, v105
	s_wait_loadcnt 0x0
	ds_store_b32 v75, v106
	s_wait_dscnt 0x0
	s_barrier_signal -1
	s_barrier_wait -1
.LBB123_12:                             ;   Parent Loop BB123_7 Depth=1
                                        ; =>  This Inner Loop Header: Depth=2
	v_add_nc_u32_e32 v80, 0x2080, v112
	ds_load_2addr_b32 v[92:93], v111 offset0:3 offset1:4
	ds_load_2addr_b32 v[86:87], v111 offset0:1 offset1:2
	;; [unrolled: 1-line block ×3, first 2 shown]
	ds_load_2addr_b32 v[96:97], v111 offset1:7
	ds_load_2addr_b32 v[94:95], v110 offset1:32
	ds_load_b32 v117, v113
	ds_load_2addr_b32 v[82:83], v112 offset1:1
	ds_load_2addr_b32 v[98:99], v112 offset0:2 offset1:3
	ds_load_2addr_b32 v[100:101], v112 offset0:4 offset1:5
	;; [unrolled: 1-line block ×3, first 2 shown]
	s_add_co_i32 s12, s12, 4
	ds_load_b32 v118, v114
	ds_load_2addr_b32 v[80:81], v80 offset1:1
	v_dual_add_nc_u32 v114, 4, v114 :: v_dual_add_nc_u32 v113, 4, v113
	s_cmp_lt_u32 s12, 28
	s_wait_dscnt 0xb
	v_dual_lshlrev_b32 v90, 16, v93 :: v_dual_lshlrev_b32 v91, 8, v93
	s_wait_dscnt 0xa
	v_dual_lshlrev_b32 v108, 16, v86 :: v_dual_lshlrev_b32 v109, 8, v86
	s_wait_dscnt 0x8
	v_bfe_i32 v156, v96, 0, 8
	v_bfe_i32 v157, v96, 8, 8
	v_perm_b32 v158, v90, v93, 0x7000c0c
	s_wait_dscnt 0x0
	v_bfe_i32 v84, v80, 0, 8
	v_bfe_i32 v85, v80, 8, 8
	v_perm_b32 v90, v80, v80, 0xc0c0302
	v_dual_lshlrev_b32 v119, 16, v88 :: v_dual_lshlrev_b32 v120, 8, v88
	s_delay_alu instid0(VALU_DEP_4) | instskip(SKIP_1) | instid1(VALU_DEP_4)
	v_mul_i32_i24_e32 v84, v84, v156
	v_perm_b32 v127, v81, v96, 0x5040302
	v_or_b32_e32 v90, v158, v90
	v_perm_b32 v91, v93, v91, 0xc0c0703
	v_perm_b32 v93, v108, v86, 0x7000c0c
	v_mad_i32_i24 v126, v85, v157, v84
	v_add_nc_u32_e32 v84, 0x2088, v112
	v_perm_b32 v86, v86, v109, 0xc0c0703
	v_dual_lshlrev_b32 v121, 16, v87 :: v_dual_lshlrev_b32 v122, 8, v87
	s_delay_alu instid0(VALU_DEP_4)
	v_dot4_i32_iu8 v90, v90, v127, v126 neg_lo:[1,1,0]
	ds_load_2addr_b32 v[104:105], v84 offset1:1
	v_add_nc_u32_e32 v84, 0x2090, v112
	v_or_b32_e32 v159, v93, v91
	v_perm_b32 v93, v119, v88, 0x7000c0c
	v_perm_b32 v161, v88, v120, 0xc0c0703
	;; [unrolled: 1-line block ×3, first 2 shown]
	ds_load_2addr_b32 v[106:107], v84 offset1:1
	v_add_nc_u32_e32 v84, 0x2098, v112
	v_dual_lshlrev_b32 v123, 16, v89 :: v_dual_bitop2_b32 v160, v93, v86 bitop3:0x54
	v_lshlrev_b32_e32 v124, 8, v89
	v_perm_b32 v163, v87, v122, 0xc0c0703
	ds_load_2addr_b32 v[84:85], v84 offset1:1
	v_dual_lshlrev_b32 v125, 16, v92 :: v_dual_lshlrev_b32 v132, 8, v92
	v_perm_b32 v164, v123, v89, 0xc0c0700
	v_perm_b32 v165, v89, v124, 0xc0c0703
	v_pk_mul_f16 v135, v94, v117
	s_delay_alu instid0(VALU_DEP_4)
	v_perm_b32 v166, v125, v92, 0xc0c0700
	v_pk_mul_f16 v119, v94, v118
	s_wait_dscnt 0x2
	v_perm_b32 v126, v104, v81, 0x5040302
	v_perm_b32 v91, v105, v104, 0x5040302
	;; [unrolled: 1-line block ×4, first 2 shown]
	v_dual_lshlrev_b32 v133, 16, v97 :: v_dual_lshlrev_b32 v134, 8, v97
	v_dot4_i32_iu8 v90, v159, v126, v90 neg_lo:[1,1,0]
	s_wait_dscnt 0x1
	v_perm_b32 v88, v106, v106, 0xc0c0100
	v_perm_b32 v87, v107, v107, 0xc0c0100
	s_delay_alu instid0(VALU_DEP_3) | instskip(SKIP_1) | instid1(VALU_DEP_1)
	v_dot4_i32_iu8 v86, v160, v91, v90 neg_lo:[1,1,0]
	v_perm_b32 v90, v105, v105, 0xc0c0302
	v_dot4_i32_iu8 v86, v161, v90, v86 neg_lo:[1,1,0]
	v_add_nc_u32_e32 v90, 0x6188, v112
	s_delay_alu instid0(VALU_DEP_2) | instskip(SKIP_1) | instid1(VALU_DEP_1)
	v_dot4_i32_iu8 v86, v162, v88, v86 neg_lo:[1,1,0]
	v_perm_b32 v88, v106, v106, 0xc0c0302
	v_dot4_i32_iu8 v86, v163, v88, v86 neg_lo:[1,1,0]
	v_add_nc_u32_e32 v88, 0x4108, v112
	s_delay_alu instid0(VALU_DEP_2) | instskip(SKIP_1) | instid1(VALU_DEP_1)
	v_dot4_i32_iu8 v86, v164, v87, v86 neg_lo:[1,1,0]
	v_perm_b32 v87, v107, v107, 0xc0c0302
	v_dot4_i32_iu8 v86, v165, v87, v86 neg_lo:[1,1,0]
	s_wait_dscnt 0x0
	v_perm_b32 v87, v84, v84, 0xc0c0100
	s_delay_alu instid0(VALU_DEP_1)
	v_dot4_i32_iu8 v120, v166, v87, v86 neg_lo:[1,1,0]
	v_add_nc_u32_e32 v86, 0x4100, v112
	ds_load_b32 v121, v115
	ds_load_2addr_b32 v[86:87], v86 offset1:1
	ds_load_2addr_b32 v[108:109], v88 offset1:1
	v_add_nc_u32_e32 v88, 0x4110, v112
	v_add_nc_u32_e32 v115, 4, v115
	ds_load_2addr_b32 v[144:145], v88 offset1:1
	v_add_nc_u32_e32 v88, 0x4118, v112
	ds_load_2addr_b32 v[146:147], v88 offset1:1
	v_add_nc_u32_e32 v88, 0x6180, v112
	ds_load_b32 v122, v116
	ds_load_2addr_b32 v[88:89], v88 offset1:1
	ds_load_2addr_b32 v[150:151], v90 offset1:1
	v_add_nc_u32_e32 v90, 0x6190, v112
	s_wait_dscnt 0x7
	v_pk_mul_f16 v143, v94, v121
	v_add_nc_u32_e32 v116, 4, v116
	ds_load_2addr_b32 v[152:153], v90 offset1:1
	v_add_nc_u32_e32 v90, 0x6198, v112
	v_add_nc_u32_e32 v112, 32, v112
	ds_load_2addr_b32 v[154:155], v90 offset1:1
	v_add_nc_u32_e32 v90, 0x40c, v111
	ds_load_2addr_b32 v[130:131], v90 offset1:1
	v_add_nc_u32_e32 v90, 0x404, v111
	s_wait_dscnt 0x5
	v_pk_mul_f16 v167, v94, v122
	ds_load_2addr_b32 v[126:127], v90 offset1:1
	v_add_nc_u32_e32 v90, 0x414, v111
	ds_load_2addr_b32 v[128:129], v90 offset1:1
	v_add_nc_u32_e32 v90, 0x400, v111
	ds_load_2addr_b32 v[90:91], v90 offset1:7
	s_wait_dscnt 0x3
	v_dual_lshlrev_b32 v93, 16, v131 :: v_dual_lshlrev_b32 v94, 8, v131
	v_dual_lshlrev_b32 v148, 16, v130 :: v_dual_lshlrev_b32 v149, 8, v130
	s_wait_dscnt 0x2
	v_dual_lshlrev_b32 v125, 16, v126 :: v_dual_lshlrev_b32 v136, 8, v126
	s_delay_alu instid0(VALU_DEP_3) | instskip(SKIP_4) | instid1(VALU_DEP_3)
	v_perm_b32 v93, v94, v93, 0x7030c0c
	v_perm_b32 v94, v131, v131, 0xc0c0003
	v_dual_lshlrev_b32 v139, 16, v127 :: v_dual_lshlrev_b32 v140, 8, v127
	s_wait_dscnt 0x1
	v_dual_lshlrev_b32 v141, 16, v129 :: v_dual_lshlrev_b32 v137, 16, v128
	v_dual_lshlrev_b32 v138, 8, v128 :: v_dual_bitop2_b32 v170, v93, v94 bitop3:0x54
	v_perm_b32 v94, v136, v125, 0x7030c0c
	v_perm_b32 v125, v126, v126, 0xc0c0003
	s_wait_dscnt 0x0
	v_lshlrev_b32_e32 v169, 8, v91
	v_perm_b32 v126, v128, v128, 0xc0c0003
	v_lshlrev_b32_e32 v142, 8, v129
	v_perm_b32 v127, v127, v127, 0xc0c0003
	v_or_b32_e32 v171, v94, v125
	v_perm_b32 v94, v138, v137, 0x7030c0c
	v_perm_b32 v128, v129, v129, 0xc0c0003
	v_lshlrev_b32_e32 v168, 16, v91
	v_perm_b32 v129, v130, v130, 0xc0c0003
	v_bfe_i32 v130, v82, 8, 8
	v_or_b32_e32 v172, v94, v126
	v_perm_b32 v94, v140, v139, 0x7030c0c
	v_perm_b32 v131, v82, v82, 0xc0c0302
	v_dot4_i32_iu8 v93, v170, v123, 0 neg_lo:[1,1,0]
	v_perm_b32 v125, v99, v99, 0x6010007
	v_perm_b32 v126, v100, v100, 0x2010003
	v_or_b32_e32 v173, v94, v127
	v_perm_b32 v94, v142, v141, 0x7030c0c
	v_or_b32_e32 v131, v158, v131
	v_dot4_i32_iu8 v93, v171, v124, v93 neg_lo:[1,1,0]
	v_perm_b32 v127, v101, v101, 0x2010003
	v_perm_b32 v91, v91, v91, 0xc0c0003
	v_or_b32_e32 v174, v94, v128
	v_perm_b32 v94, v149, v148, 0x7030c0c
	v_dot4_i32_iu8 v93, v172, v125, v93 neg_lo:[1,1,0]
	v_perm_b32 v128, v102, v102, 0x2010003
	v_perm_b32 v140, v103, v103, 0x2010003
	;; [unrolled: 1-line block ×3, first 2 shown]
	v_or_b32_e32 v175, v94, v129
	v_bfe_i32 v129, v82, 0, 8
	v_dot4_i32_iu8 v93, v173, v126, v93 neg_lo:[1,1,0]
	v_pk_mul_f16 v94, v117, v95
	v_perm_b32 v92, v97, v134, 0x7030c04
	v_perm_b32 v132, v81, v81, 0x2010003
	v_mul_i32_i24_e32 v129, v129, v156
	v_dot4_i32_iu8 v93, v174, v127, v93 neg_lo:[1,1,0]
	v_perm_b32 v134, v104, v104, 0x2010003
	v_bfe_i32 v97, v86, 0, 8
	v_dot4_i32_iu8 v81, v170, v132, 0 neg_lo:[1,1,0]
	v_mad_i32_i24 v129, v130, v157, v129
	v_perm_b32 v130, v83, v96, 0x5040302
	v_perm_b32 v83, v98, v83, 0x5040302
	;; [unrolled: 1-line block ×3, first 2 shown]
	v_dot4_i32_iu8 v93, v175, v128, v93 neg_lo:[1,1,0]
	v_mul_i32_i24_e32 v97, v97, v156
	v_dot4_i32_iu8 v129, v131, v130, v129 neg_lo:[1,1,0]
	v_perm_b32 v136, v106, v106, 0x2010003
	v_perm_b32 v137, v107, v107, 0x2010003
	;; [unrolled: 1-line block ×4, first 2 shown]
	v_dot4_i32_iu8 v83, v159, v83, v129 neg_lo:[1,1,0]
	v_perm_b32 v129, v109, v109, 0x6010007
	v_perm_b32 v131, v145, v145, 0x2010003
	;; [unrolled: 1-line block ×4, first 2 shown]
	v_dot4_i32_iu8 v83, v160, v98, v83 neg_lo:[1,1,0]
	v_perm_b32 v98, v99, v99, 0xc0c0302
	s_delay_alu instid0(VALU_DEP_3) | instskip(NEXT) | instid1(VALU_DEP_2)
	v_dot4_i32_iu8 v84, v141, v84, v120 neg_lo:[1,1,0]
	v_dot4_i32_iu8 v83, v161, v98, v83 neg_lo:[1,1,0]
	v_perm_b32 v98, v100, v100, 0xc0c0100
	s_delay_alu instid0(VALU_DEP_1) | instskip(SKIP_1) | instid1(VALU_DEP_1)
	v_dot4_i32_iu8 v83, v162, v98, v83 neg_lo:[1,1,0]
	v_perm_b32 v98, v100, v100, 0xc0c0302
	v_dot4_i32_iu8 v83, v163, v98, v83 neg_lo:[1,1,0]
	v_perm_b32 v98, v101, v101, 0xc0c0100
	s_delay_alu instid0(VALU_DEP_1) | instskip(SKIP_1) | instid1(VALU_DEP_1)
	v_dot4_i32_iu8 v83, v164, v98, v83 neg_lo:[1,1,0]
	v_perm_b32 v98, v101, v101, 0xc0c0302
	;; [unrolled: 5-line block ×3, first 2 shown]
	v_or_b32_e32 v138, v98, v91
	s_delay_alu instid0(VALU_DEP_1) | instskip(SKIP_1) | instid1(VALU_DEP_2)
	v_dot4_i32_iu8 v91, v138, v140, v93 neg_lo:[1,1,0]
	v_perm_b32 v93, v102, v102, 0xc0c0302
	v_dot4_i32_iu8 v91, v90, v82, v91 neg_lo:[1,1,0]
	s_delay_alu instid0(VALU_DEP_2) | instskip(SKIP_2) | instid1(VALU_DEP_4)
	v_dot4_i32_iu8 v83, v141, v93, v83 neg_lo:[1,1,0]
	v_perm_b32 v93, v133, v133, 0xc0c030c
	v_perm_b32 v133, v146, v146, 0x2010003
	v_cvt_f32_i32_e32 v101, v91
	s_delay_alu instid0(VALU_DEP_3)
	v_or_b32_e32 v142, v92, v93
	v_cvt_f32_f16_e32 v93, v94
	v_lshrrev_b32_e32 v94, 16, v94
	v_cvt_f32_f16_e64 v92, v135
	v_dot4_i32_iu8 v81, v171, v134, v81 neg_lo:[1,1,0]
	v_dot4_i32_iu8 v83, v142, v103, v83 neg_lo:[1,1,0]
	s_delay_alu instid0(VALU_DEP_4) | instskip(SKIP_2) | instid1(VALU_DEP_4)
	v_cvt_f32_f16_e32 v99, v94
	v_lshrrev_b32_e32 v94, 16, v135
	v_perm_b32 v135, v105, v105, 0x6010007
	v_cvt_f32_i32_e32 v100, v83
	v_perm_b32 v83, v108, v108, 0x2010003
	s_delay_alu instid0(VALU_DEP_4) | instskip(NEXT) | instid1(VALU_DEP_4)
	v_cvt_f32_f16_e32 v98, v94
	v_dot4_i32_iu8 v81, v172, v135, v81 neg_lo:[1,1,0]
	s_delay_alu instid0(VALU_DEP_2) | instskip(SKIP_1) | instid1(VALU_DEP_3)
	v_pk_fma_f32 v[92:93], v[92:93], v[100:101], v[98:99]
	v_bfe_i32 v98, v86, 8, 8
	v_dot4_i32_iu8 v81, v173, v136, v81 neg_lo:[1,1,0]
	v_perm_b32 v99, v87, v96, 0x5040302
	v_perm_b32 v96, v89, v96, 0x5040302
	v_pk_add_f32 v[36:37], v[36:37], v[92:93]
	v_mad_i32_i24 v97, v98, v157, v97
	v_perm_b32 v98, v86, v86, 0xc0c0302
	v_pk_mul_f16 v93, v121, v95
	s_delay_alu instid0(VALU_DEP_2) | instskip(NEXT) | instid1(VALU_DEP_1)
	v_or_b32_e32 v98, v158, v98
	v_dot4_i32_iu8 v97, v98, v99, v97 neg_lo:[1,1,0]
	s_delay_alu instid0(VALU_DEP_3) | instskip(SKIP_3) | instid1(VALU_DEP_3)
	v_cvt_f32_f16_e32 v99, v93
	v_lshrrev_b32_e32 v93, 16, v93
	v_dot4_i32_iu8 v81, v174, v137, v81 neg_lo:[1,1,0]
	v_perm_b32 v98, v146, v146, 0xc0c0302
	v_cvt_f32_f16_e32 v101, v93
	v_lshrrev_b32_e32 v93, 16, v143
	s_delay_alu instid0(VALU_DEP_4) | instskip(SKIP_1) | instid1(VALU_DEP_3)
	v_dot4_i32_iu8 v149, v175, v139, v81 neg_lo:[1,1,0]
	v_pk_mul_f16 v81, v118, v95
	v_cvt_f32_f16_e32 v100, v93
	v_pk_mul_f16 v93, v122, v95
	s_delay_alu instid0(VALU_DEP_3) | instskip(SKIP_2) | instid1(VALU_DEP_2)
	v_cvt_f32_f16_e32 v92, v81
	v_lshrrev_b32_e32 v81, 16, v81
	v_bfe_i32 v95, v88, 0, 8
	v_cvt_f32_f16_e32 v94, v81
	v_perm_b32 v81, v87, v87, 0x2010003
	v_perm_b32 v87, v108, v87, 0x5040302
	s_delay_alu instid0(VALU_DEP_4) | instskip(NEXT) | instid1(VALU_DEP_3)
	v_mul_i32_i24_e32 v95, v95, v156
	v_dot4_i32_iu8 v91, v170, v81, 0 neg_lo:[1,1,0]
	s_delay_alu instid0(VALU_DEP_3) | instskip(SKIP_1) | instid1(VALU_DEP_3)
	v_dot4_i32_iu8 v87, v159, v87, v97 neg_lo:[1,1,0]
	v_perm_b32 v97, v109, v108, 0x5040302
	v_dot4_i32_iu8 v91, v171, v83, v91 neg_lo:[1,1,0]
	s_delay_alu instid0(VALU_DEP_2) | instskip(SKIP_1) | instid1(VALU_DEP_3)
	v_dot4_i32_iu8 v87, v160, v97, v87 neg_lo:[1,1,0]
	v_perm_b32 v97, v109, v109, 0xc0c0302
	v_dot4_i32_iu8 v91, v172, v129, v91 neg_lo:[1,1,0]
	s_delay_alu instid0(VALU_DEP_2) | instskip(SKIP_1) | instid1(VALU_DEP_3)
	;; [unrolled: 4-line block ×3, first 2 shown]
	v_dot4_i32_iu8 v87, v162, v97, v87 neg_lo:[1,1,0]
	v_perm_b32 v97, v144, v144, 0xc0c0302
	v_dot4_i32_iu8 v91, v174, v131, v91 neg_lo:[1,1,0]
	v_perm_b32 v144, v150, v150, 0x2010003
	s_delay_alu instid0(VALU_DEP_3) | instskip(SKIP_1) | instid1(VALU_DEP_4)
	v_dot4_i32_iu8 v87, v163, v97, v87 neg_lo:[1,1,0]
	v_perm_b32 v97, v145, v145, 0xc0c0100
	v_dot4_i32_iu8 v91, v175, v133, v91 neg_lo:[1,1,0]
	s_delay_alu instid0(VALU_DEP_2) | instskip(SKIP_2) | instid1(VALU_DEP_2)
	v_dot4_i32_iu8 v87, v164, v97, v87 neg_lo:[1,1,0]
	v_perm_b32 v97, v145, v145, 0xc0c0302
	v_perm_b32 v145, v151, v151, 0x6010007
	v_dot4_i32_iu8 v87, v165, v97, v87 neg_lo:[1,1,0]
	v_perm_b32 v97, v146, v146, 0xc0c0100
	v_perm_b32 v146, v152, v152, 0x2010003
	s_delay_alu instid0(VALU_DEP_2) | instskip(SKIP_1) | instid1(VALU_DEP_2)
	v_dot4_i32_iu8 v97, v166, v97, v87 neg_lo:[1,1,0]
	v_perm_b32 v87, v147, v147, 0x2010003
	v_dot4_i32_iu8 v97, v141, v98, v97 neg_lo:[1,1,0]
	v_cvt_f32_f16_e64 v98, v143
	v_perm_b32 v143, v89, v89, 0x2010003
	v_perm_b32 v89, v150, v89, 0x5040302
	v_dot4_i32_iu8 v91, v138, v87, v91 neg_lo:[1,1,0]
	v_dot4_i32_iu8 v97, v142, v147, v97 neg_lo:[1,1,0]
	v_perm_b32 v147, v153, v153, 0x2010003
	s_delay_alu instid0(VALU_DEP_3) | instskip(NEXT) | instid1(VALU_DEP_3)
	v_dot4_i32_iu8 v91, v90, v86, v91 neg_lo:[1,1,0]
	v_cvt_f32_i32_e32 v102, v97
	v_bfe_i32 v97, v88, 8, 8
	s_delay_alu instid0(VALU_DEP_3) | instskip(SKIP_1) | instid1(VALU_DEP_3)
	v_cvt_f32_i32_e32 v103, v91
	v_dot4_i32_iu8 v91, v170, v143, 0 neg_lo:[1,1,0]
	v_mad_i32_i24 v95, v97, v157, v95
	v_perm_b32 v97, v88, v88, 0xc0c0302
	s_delay_alu instid0(VALU_DEP_4) | instskip(NEXT) | instid1(VALU_DEP_4)
	v_pk_fma_f32 v[98:99], v[98:99], v[102:103], v[100:101]
	v_dot4_i32_iu8 v91, v171, v144, v91 neg_lo:[1,1,0]
	s_delay_alu instid0(VALU_DEP_3) | instskip(NEXT) | instid1(VALU_DEP_3)
	v_or_b32_e32 v97, v158, v97
	v_pk_add_f32 v[34:35], v[34:35], v[98:99]
	s_delay_alu instid0(VALU_DEP_3) | instskip(NEXT) | instid1(VALU_DEP_3)
	v_dot4_i32_iu8 v91, v172, v145, v91 neg_lo:[1,1,0]
	v_dot4_i32_iu8 v95, v97, v96, v95 neg_lo:[1,1,0]
	v_perm_b32 v96, v154, v154, 0xc0c0302
	v_cvt_f32_f16_e32 v97, v93
	s_delay_alu instid0(VALU_DEP_4) | instskip(SKIP_3) | instid1(VALU_DEP_4)
	v_dot4_i32_iu8 v91, v173, v146, v91 neg_lo:[1,1,0]
	v_lshrrev_b32_e32 v93, 16, v93
	v_dot4_i32_iu8 v89, v159, v89, v95 neg_lo:[1,1,0]
	v_perm_b32 v95, v151, v150, 0x5040302
	v_dot4_i32_iu8 v91, v174, v147, v91 neg_lo:[1,1,0]
	s_delay_alu instid0(VALU_DEP_4) | instskip(SKIP_1) | instid1(VALU_DEP_4)
	v_cvt_f32_f16_e32 v99, v93
	v_lshrrev_b32_e32 v93, 16, v167
	v_dot4_i32_iu8 v89, v160, v95, v89 neg_lo:[1,1,0]
	v_perm_b32 v95, v151, v151, 0xc0c0302
	v_dot4_i32_iu8 v91, v175, v148, v91 neg_lo:[1,1,0]
	v_dot4_i32_iu8 v84, v142, v85, v84 neg_lo:[1,1,0]
	v_cvt_f32_f16_e32 v98, v93
	s_delay_alu instid0(VALU_DEP_4) | instskip(SKIP_1) | instid1(VALU_DEP_1)
	v_dot4_i32_iu8 v89, v161, v95, v89 neg_lo:[1,1,0]
	v_perm_b32 v95, v152, v152, 0xc0c0100
	v_dot4_i32_iu8 v89, v162, v95, v89 neg_lo:[1,1,0]
	v_perm_b32 v95, v152, v152, 0xc0c0302
	s_delay_alu instid0(VALU_DEP_1) | instskip(SKIP_1) | instid1(VALU_DEP_1)
	v_dot4_i32_iu8 v89, v163, v95, v89 neg_lo:[1,1,0]
	v_perm_b32 v95, v153, v153, 0xc0c0100
	v_dot4_i32_iu8 v89, v164, v95, v89 neg_lo:[1,1,0]
	v_perm_b32 v95, v153, v153, 0xc0c0302
	s_delay_alu instid0(VALU_DEP_1) | instskip(SKIP_1) | instid1(VALU_DEP_1)
	v_dot4_i32_iu8 v89, v165, v95, v89 neg_lo:[1,1,0]
	v_perm_b32 v95, v154, v154, 0xc0c0100
	v_dot4_i32_iu8 v95, v166, v95, v89 neg_lo:[1,1,0]
	v_perm_b32 v89, v155, v155, 0x2010003
	s_delay_alu instid0(VALU_DEP_2) | instskip(NEXT) | instid1(VALU_DEP_2)
	v_dot4_i32_iu8 v95, v141, v96, v95 neg_lo:[1,1,0]
	v_dot4_i32_iu8 v91, v138, v89, v91 neg_lo:[1,1,0]
	v_cvt_f32_f16_e64 v96, v167
	s_delay_alu instid0(VALU_DEP_3) | instskip(NEXT) | instid1(VALU_DEP_3)
	v_dot4_i32_iu8 v95, v142, v155, v95 neg_lo:[1,1,0]
	v_dot4_i32_iu8 v91, v90, v88, v91 neg_lo:[1,1,0]
	s_delay_alu instid0(VALU_DEP_2) | instskip(NEXT) | instid1(VALU_DEP_2)
	v_cvt_f32_i32_e32 v100, v95
	v_cvt_f32_i32_e32 v101, v91
	v_add_nc_u32_e32 v91, 0x80c, v111
	s_delay_alu instid0(VALU_DEP_2)
	v_pk_fma_f32 v[96:97], v[96:97], v[100:101], v[98:99]
	ds_load_2addr_b32 v[98:99], v91 offset1:1
	v_add_nc_u32_e32 v91, 0x804, v111
	v_pk_add_f32 v[32:33], v[32:33], v[96:97]
	ds_load_2addr_b32 v[100:101], v91 offset1:1
	v_add_nc_u32_e32 v91, 0x814, v111
	ds_load_2addr_b32 v[102:103], v91 offset1:1
	v_add_nc_u32_e32 v91, 0x800, v111
	ds_load_2addr_b32 v[96:97], v91 offset1:7
	ds_load_2addr_b32 v[104:105], v110 offset0:64 offset1:96
	s_wait_dscnt 0x4
	v_dual_lshlrev_b32 v91, 16, v99 :: v_dual_lshlrev_b32 v93, 8, v99
	v_dual_lshlrev_b32 v153, 16, v98 :: v_dual_lshlrev_b32 v154, 8, v98
	s_wait_dscnt 0x3
	v_dual_lshlrev_b32 v95, 16, v100 :: v_dual_lshlrev_b32 v106, 8, v100
	s_delay_alu instid0(VALU_DEP_3) | instskip(SKIP_4) | instid1(VALU_DEP_3)
	v_perm_b32 v91, v93, v91, 0x7030c0c
	v_perm_b32 v93, v99, v99, 0xc0c0003
	v_dual_lshlrev_b32 v109, 16, v101 :: v_dual_lshlrev_b32 v150, 8, v101
	s_wait_dscnt 0x2
	v_dual_lshlrev_b32 v151, 16, v103 :: v_dual_lshlrev_b32 v107, 16, v102
	v_dual_lshlrev_b32 v108, 8, v102 :: v_dual_bitop2_b32 v99, v91, v93 bitop3:0x54
	v_perm_b32 v93, v106, v95, 0x7030c0c
	v_perm_b32 v95, v100, v100, 0xc0c0003
	s_wait_dscnt 0x1
	v_dual_lshlrev_b32 v156, 8, v97 :: v_dual_lshlrev_b32 v152, 8, v103
	v_dot4_i32_iu8 v91, v99, v123, 0 neg_lo:[1,1,0]
	s_delay_alu instid0(VALU_DEP_3)
	v_dual_lshlrev_b32 v155, 16, v97 :: v_dual_bitop2_b32 v106, v93, v95 bitop3:0x54
	v_perm_b32 v93, v108, v107, 0x7030c0c
	v_perm_b32 v95, v102, v102, 0xc0c0003
	s_wait_dscnt 0x0
	v_pk_mul_f16 v107, v121, v104
	v_dot4_i32_iu8 v91, v106, v124, v91 neg_lo:[1,1,0]
	s_delay_alu instid0(VALU_DEP_3) | instskip(SKIP_2) | instid1(VALU_DEP_3)
	v_or_b32_e32 v102, v93, v95
	v_perm_b32 v93, v150, v109, 0x7030c0c
	v_perm_b32 v95, v101, v101, 0xc0c0003
	v_dot4_i32_iu8 v91, v102, v125, v91 neg_lo:[1,1,0]
	s_delay_alu instid0(VALU_DEP_2) | instskip(SKIP_2) | instid1(VALU_DEP_3)
	v_or_b32_e32 v101, v93, v95
	v_perm_b32 v93, v152, v151, 0x7030c0c
	v_perm_b32 v95, v103, v103, 0xc0c0003
	v_dot4_i32_iu8 v91, v101, v126, v91 neg_lo:[1,1,0]
	s_delay_alu instid0(VALU_DEP_2) | instskip(SKIP_2) | instid1(VALU_DEP_3)
	v_or_b32_e32 v103, v93, v95
	v_perm_b32 v93, v154, v153, 0x7030c0c
	v_perm_b32 v95, v98, v98, 0xc0c0003
	v_dot4_i32_iu8 v91, v103, v127, v91 neg_lo:[1,1,0]
	s_delay_alu instid0(VALU_DEP_2) | instskip(SKIP_2) | instid1(VALU_DEP_3)
	v_or_b32_e32 v98, v93, v95
	v_perm_b32 v93, v156, v155, 0x7030c0c
	v_perm_b32 v95, v97, v97, 0xc0c0003
	v_dot4_i32_iu8 v91, v98, v128, v91 neg_lo:[1,1,0]
	s_delay_alu instid0(VALU_DEP_2) | instskip(SKIP_1) | instid1(VALU_DEP_2)
	v_or_b32_e32 v97, v93, v95
	v_pk_mul_f16 v93, v117, v104
	v_dot4_i32_iu8 v91, v97, v140, v91 neg_lo:[1,1,0]
	s_delay_alu instid0(VALU_DEP_1) | instskip(NEXT) | instid1(VALU_DEP_1)
	v_dot4_i32_iu8 v91, v82, v96, v91 neg_lo:[1,1,0]
	v_cvt_f32_i32_e32 v91, v91
	s_delay_alu instid0(VALU_DEP_1) | instskip(SKIP_1) | instid1(VALU_DEP_1)
	v_fma_mix_f32 v100, v93, v91, v93 op_sel:[0,0,1] op_sel_hi:[1,0,1]
	v_dot4_i32_iu8 v91, v99, v132, 0 neg_lo:[1,1,0]
	v_dot4_i32_iu8 v91, v106, v134, v91 neg_lo:[1,1,0]
	s_delay_alu instid0(VALU_DEP_1) | instskip(NEXT) | instid1(VALU_DEP_1)
	v_dot4_i32_iu8 v91, v102, v135, v91 neg_lo:[1,1,0]
	v_dot4_i32_iu8 v91, v101, v136, v91 neg_lo:[1,1,0]
	s_delay_alu instid0(VALU_DEP_1) | instskip(NEXT) | instid1(VALU_DEP_1)
	v_dot4_i32_iu8 v91, v103, v137, v91 neg_lo:[1,1,0]
	v_dot4_i32_iu8 v150, v98, v139, v91 neg_lo:[1,1,0]
	v_pk_mul_f16 v91, v118, v104
	s_delay_alu instid0(VALU_DEP_1) | instskip(SKIP_1) | instid1(VALU_DEP_1)
	v_cvt_f32_f16_e32 v93, v91
	v_lshrrev_b32_e32 v91, 16, v91
	v_cvt_f32_f16_e32 v95, v91
	v_dot4_i32_iu8 v91, v99, v81, 0 neg_lo:[1,1,0]
	v_dot4_i32_iu8 v99, v99, v143, 0 neg_lo:[1,1,0]
	s_delay_alu instid0(VALU_DEP_2) | instskip(NEXT) | instid1(VALU_DEP_2)
	v_dot4_i32_iu8 v91, v106, v83, v91 neg_lo:[1,1,0]
	v_dot4_i32_iu8 v99, v106, v144, v99 neg_lo:[1,1,0]
	s_delay_alu instid0(VALU_DEP_2) | instskip(NEXT) | instid1(VALU_DEP_2)
	;; [unrolled: 3-line block ×5, first 2 shown]
	v_dot4_i32_iu8 v91, v98, v133, v91 neg_lo:[1,1,0]
	v_dot4_i32_iu8 v98, v98, v148, v99 neg_lo:[1,1,0]
	v_pk_mul_f16 v99, v122, v104
	s_delay_alu instid0(VALU_DEP_3) | instskip(NEXT) | instid1(VALU_DEP_3)
	v_dot4_i32_iu8 v91, v97, v87, v91 neg_lo:[1,1,0]
	v_dot4_i32_iu8 v98, v97, v89, v98 neg_lo:[1,1,0]
	s_delay_alu instid0(VALU_DEP_2) | instskip(NEXT) | instid1(VALU_DEP_2)
	v_dot4_i32_iu8 v91, v86, v96, v91 neg_lo:[1,1,0]
	v_dot4_i32_iu8 v98, v88, v96, v98 neg_lo:[1,1,0]
	s_delay_alu instid0(VALU_DEP_2) | instskip(NEXT) | instid1(VALU_DEP_2)
	v_cvt_f32_i32_e32 v91, v91
	v_cvt_f32_i32_e32 v98, v98
	s_delay_alu instid0(VALU_DEP_2) | instskip(NEXT) | instid1(VALU_DEP_2)
	v_fma_mix_f32 v91, v107, v91, v107 op_sel:[0,0,1] op_sel_hi:[1,0,1]
	v_fma_mix_f32 v107, v99, v98, v99 op_sel:[0,0,1] op_sel_hi:[1,0,1]
	v_add_nc_u32_e32 v98, 0xc0c, v111
	ds_load_2addr_b32 v[102:103], v98 offset1:1
	v_add_nc_u32_e32 v98, 0xc04, v111
	ds_load_2addr_b32 v[108:109], v98 offset1:1
	;; [unrolled: 2-line block ×4, first 2 shown]
	s_wait_dscnt 0x3
	v_dual_lshlrev_b32 v101, 16, v103 :: v_dual_lshlrev_b32 v104, 8, v103
	v_perm_b32 v103, v103, v103, 0xc0c0003
	v_dual_lshlrev_b32 v160, 16, v102 :: v_dual_lshlrev_b32 v161, 8, v102
	v_perm_b32 v102, v102, v102, 0xc0c0003
	s_wait_dscnt 0x2
	v_dual_lshlrev_b32 v106, 16, v108 :: v_dual_lshlrev_b32 v151, 8, v108
	v_perm_b32 v101, v104, v101, 0x7030c0c
	v_dual_lshlrev_b32 v156, 16, v109 :: v_dual_lshlrev_b32 v157, 8, v109
	v_perm_b32 v109, v109, v109, 0xc0c0003
	s_wait_dscnt 0x1
	v_dual_lshlrev_b32 v154, 16, v152 :: v_dual_lshlrev_b32 v155, 8, v152
	v_or_b32_e32 v103, v101, v103
	v_perm_b32 v104, v151, v106, 0x7030c0c
	v_perm_b32 v106, v108, v108, 0xc0c0003
	;; [unrolled: 1-line block ×3, first 2 shown]
	s_wait_dscnt 0x0
	v_lshlrev_b32_e32 v163, 8, v99
	v_dot4_i32_iu8 v101, v103, v123, 0 neg_lo:[1,1,0]
	v_dual_lshlrev_b32 v158, 16, v153 :: v_dual_lshlrev_b32 v159, 8, v153
	v_or_b32_e32 v104, v104, v106
	v_perm_b32 v106, v155, v154, 0x7030c0c
	v_perm_b32 v151, v153, v153, 0xc0c0003
	v_lshlrev_b32_e32 v162, 16, v99
	v_perm_b32 v99, v99, v99, 0xc0c0003
	v_dot4_i32_iu8 v101, v104, v124, v101 neg_lo:[1,1,0]
	v_or_b32_e32 v106, v106, v108
	v_perm_b32 v108, v157, v156, 0x7030c0c
	s_delay_alu instid0(VALU_DEP_2) | instskip(NEXT) | instid1(VALU_DEP_2)
	v_dot4_i32_iu8 v101, v106, v125, v101 neg_lo:[1,1,0]
	v_or_b32_e32 v109, v108, v109
	v_perm_b32 v108, v159, v158, 0x7030c0c
	s_delay_alu instid0(VALU_DEP_2) | instskip(NEXT) | instid1(VALU_DEP_2)
	v_dot4_i32_iu8 v101, v109, v126, v101 neg_lo:[1,1,0]
	v_or_b32_e32 v151, v108, v151
	v_perm_b32 v108, v161, v160, 0x7030c0c
	s_delay_alu instid0(VALU_DEP_2) | instskip(NEXT) | instid1(VALU_DEP_2)
	v_dot4_i32_iu8 v101, v151, v127, v101 neg_lo:[1,1,0]
	v_or_b32_e32 v152, v108, v102
	v_perm_b32 v102, v163, v162, 0x7030c0c
	s_delay_alu instid0(VALU_DEP_2) | instskip(NEXT) | instid1(VALU_DEP_2)
	v_dot4_i32_iu8 v101, v152, v128, v101 neg_lo:[1,1,0]
	v_or_b32_e32 v162, v102, v99
	s_delay_alu instid0(VALU_DEP_1) | instskip(SKIP_1) | instid1(VALU_DEP_2)
	v_dot4_i32_iu8 v99, v162, v140, v101 neg_lo:[1,1,0]
	v_pk_mul_f16 v101, v117, v105
	v_dot4_i32_iu8 v99, v82, v98, v99 neg_lo:[1,1,0]
	s_delay_alu instid0(VALU_DEP_1) | instskip(NEXT) | instid1(VALU_DEP_1)
	v_cvt_f32_i32_e32 v99, v99
	v_fma_mix_f32 v101, v101, v99, v101 op_sel:[0,0,1] op_sel_hi:[1,0,1]
	v_dot4_i32_iu8 v99, v103, v132, 0 neg_lo:[1,1,0]
	s_delay_alu instid0(VALU_DEP_2) | instskip(NEXT) | instid1(VALU_DEP_2)
	v_pk_add_f32 v[28:29], v[28:29], v[100:101]
	v_dot4_i32_iu8 v99, v104, v134, v99 neg_lo:[1,1,0]
	v_pk_mul_f16 v101, v121, v105
	s_delay_alu instid0(VALU_DEP_2) | instskip(NEXT) | instid1(VALU_DEP_1)
	v_dot4_i32_iu8 v99, v106, v135, v99 neg_lo:[1,1,0]
	v_dot4_i32_iu8 v99, v109, v136, v99 neg_lo:[1,1,0]
	s_delay_alu instid0(VALU_DEP_1) | instskip(NEXT) | instid1(VALU_DEP_1)
	v_dot4_i32_iu8 v99, v151, v137, v99 neg_lo:[1,1,0]
	v_dot4_i32_iu8 v163, v152, v139, v99 neg_lo:[1,1,0]
	v_pk_mul_f16 v99, v118, v105
	s_delay_alu instid0(VALU_DEP_1) | instskip(SKIP_1) | instid1(VALU_DEP_1)
	v_cvt_f32_f16_e32 v100, v99
	v_lshrrev_b32_e32 v99, 16, v99
	v_cvt_f32_f16_e32 v102, v99
	v_dot4_i32_iu8 v99, v103, v81, 0 neg_lo:[1,1,0]
	s_delay_alu instid0(VALU_DEP_1) | instskip(NEXT) | instid1(VALU_DEP_1)
	v_dot4_i32_iu8 v99, v104, v83, v99 neg_lo:[1,1,0]
	v_dot4_i32_iu8 v99, v106, v129, v99 neg_lo:[1,1,0]
	s_delay_alu instid0(VALU_DEP_1) | instskip(NEXT) | instid1(VALU_DEP_1)
	v_dot4_i32_iu8 v99, v109, v130, v99 neg_lo:[1,1,0]
	;; [unrolled: 3-line block ×4, first 2 shown]
	v_cvt_f32_i32_e32 v99, v99
	s_delay_alu instid0(VALU_DEP_1) | instskip(SKIP_2) | instid1(VALU_DEP_2)
	v_fma_mix_f32 v108, v101, v99, v101 op_sel:[0,0,1] op_sel_hi:[1,0,1]
	v_dot4_i32_iu8 v99, v103, v143, 0 neg_lo:[1,1,0]
	v_pk_mul_f16 v101, v122, v105
	v_dot4_i32_iu8 v99, v104, v144, v99 neg_lo:[1,1,0]
	s_delay_alu instid0(VALU_DEP_1) | instskip(NEXT) | instid1(VALU_DEP_1)
	v_dot4_i32_iu8 v99, v106, v145, v99 neg_lo:[1,1,0]
	v_dot4_i32_iu8 v99, v109, v146, v99 neg_lo:[1,1,0]
	s_delay_alu instid0(VALU_DEP_1) | instskip(NEXT) | instid1(VALU_DEP_1)
	v_dot4_i32_iu8 v99, v151, v147, v99 neg_lo:[1,1,0]
	;; [unrolled: 3-line block ×3, first 2 shown]
	v_dot4_i32_iu8 v99, v88, v98, v99 neg_lo:[1,1,0]
	s_delay_alu instid0(VALU_DEP_1) | instskip(NEXT) | instid1(VALU_DEP_1)
	v_cvt_f32_i32_e32 v99, v99
	v_fma_mix_f32 v152, v101, v99, v101 op_sel:[0,0,1] op_sel_hi:[1,0,1]
	v_add_nc_u32_e32 v99, 0x100c, v111
	ds_load_2addr_b32 v[154:155], v99 offset1:1
	v_add_nc_u32_e32 v99, 0x1004, v111
	ds_load_2addr_b32 v[156:157], v99 offset1:1
	;; [unrolled: 2-line block ×4, first 2 shown]
	ds_load_2addr_b32 v[160:161], v110 offset0:128 offset1:160
	s_wait_dscnt 0x4
	v_dual_lshlrev_b32 v99, 16, v155 :: v_dual_lshlrev_b32 v101, 8, v155
	v_dual_lshlrev_b32 v167, 16, v154 :: v_dual_lshlrev_b32 v168, 8, v154
	s_wait_dscnt 0x3
	v_dual_lshlrev_b32 v103, 16, v156 :: v_dual_lshlrev_b32 v106, 8, v156
	s_delay_alu instid0(VALU_DEP_3) | instskip(SKIP_4) | instid1(VALU_DEP_3)
	v_perm_b32 v99, v101, v99, 0x7030c0c
	v_perm_b32 v101, v155, v155, 0xc0c0003
	v_dual_lshlrev_b32 v153, 16, v157 :: v_dual_lshlrev_b32 v164, 8, v157
	s_wait_dscnt 0x2
	v_dual_lshlrev_b32 v165, 16, v159 :: v_dual_lshlrev_b32 v109, 16, v158
	v_dual_lshlrev_b32 v151, 8, v158 :: v_dual_bitop2_b32 v99, v99, v101 bitop3:0x54
	v_perm_b32 v103, v106, v103, 0x7030c0c
	v_perm_b32 v106, v156, v156, 0xc0c0003
	s_wait_dscnt 0x1
	v_dual_lshlrev_b32 v170, 8, v105 :: v_dual_lshlrev_b32 v166, 8, v159
	v_dot4_i32_iu8 v101, v99, v123, 0 neg_lo:[1,1,0]
	s_delay_alu instid0(VALU_DEP_3) | instskip(SKIP_3) | instid1(VALU_DEP_4)
	v_dual_lshlrev_b32 v169, 16, v105 :: v_dual_bitop2_b32 v106, v103, v106 bitop3:0x54
	v_perm_b32 v103, v151, v109, 0x7030c0c
	v_perm_b32 v109, v158, v158, 0xc0c0003
	;; [unrolled: 1-line block ×3, first 2 shown]
	v_dot4_i32_iu8 v101, v106, v124, v101 neg_lo:[1,1,0]
	s_delay_alu instid0(VALU_DEP_3)
	v_or_b32_e32 v151, v103, v109
	v_perm_b32 v103, v164, v153, 0x7030c0c
	v_perm_b32 v109, v157, v157, 0xc0c0003
	s_wait_dscnt 0x0
	v_pk_mul_f16 v157, v121, v160
	v_dot4_i32_iu8 v101, v151, v125, v101 neg_lo:[1,1,0]
	s_delay_alu instid0(VALU_DEP_3) | instskip(SKIP_2) | instid1(VALU_DEP_3)
	v_or_b32_e32 v153, v103, v109
	v_perm_b32 v103, v166, v165, 0x7030c0c
	v_perm_b32 v109, v159, v159, 0xc0c0003
	v_dot4_i32_iu8 v101, v153, v126, v101 neg_lo:[1,1,0]
	s_delay_alu instid0(VALU_DEP_2) | instskip(SKIP_2) | instid1(VALU_DEP_3)
	v_or_b32_e32 v155, v103, v109
	v_perm_b32 v103, v168, v167, 0x7030c0c
	v_perm_b32 v109, v154, v154, 0xc0c0003
	v_dot4_i32_iu8 v101, v155, v127, v101 neg_lo:[1,1,0]
	s_delay_alu instid0(VALU_DEP_2) | instskip(SKIP_1) | instid1(VALU_DEP_2)
	v_or_b32_e32 v156, v103, v109
	v_perm_b32 v103, v170, v169, 0x7030c0c
	v_dot4_i32_iu8 v101, v156, v128, v101 neg_lo:[1,1,0]
	s_delay_alu instid0(VALU_DEP_2) | instskip(SKIP_1) | instid1(VALU_DEP_2)
	v_or_b32_e32 v105, v103, v105
	v_pk_mul_f16 v103, v117, v160
	v_dot4_i32_iu8 v101, v105, v140, v101 neg_lo:[1,1,0]
	s_delay_alu instid0(VALU_DEP_1) | instskip(NEXT) | instid1(VALU_DEP_1)
	v_dot4_i32_iu8 v101, v82, v104, v101 neg_lo:[1,1,0]
	v_cvt_f32_i32_e32 v101, v101
	s_delay_alu instid0(VALU_DEP_1) | instskip(SKIP_2) | instid1(VALU_DEP_2)
	v_fma_mix_f32 v154, v103, v101, v103 op_sel:[0,0,1] op_sel_hi:[1,0,1]
	v_dot4_i32_iu8 v101, v99, v132, 0 neg_lo:[1,1,0]
	v_pk_mul_f16 v103, v118, v160
	v_dot4_i32_iu8 v101, v106, v134, v101 neg_lo:[1,1,0]
	s_delay_alu instid0(VALU_DEP_1) | instskip(NEXT) | instid1(VALU_DEP_1)
	v_dot4_i32_iu8 v101, v151, v135, v101 neg_lo:[1,1,0]
	v_dot4_i32_iu8 v101, v153, v136, v101 neg_lo:[1,1,0]
	s_delay_alu instid0(VALU_DEP_1) | instskip(NEXT) | instid1(VALU_DEP_1)
	v_dot4_i32_iu8 v101, v155, v137, v101 neg_lo:[1,1,0]
	v_dot4_i32_iu8 v164, v156, v139, v101 neg_lo:[1,1,0]
	v_cvt_f32_f16_e32 v101, v103
	v_lshrrev_b32_e32 v103, 16, v103
	v_dot4_i32_iu8 v109, v99, v81, 0 neg_lo:[1,1,0]
	v_dot4_i32_iu8 v99, v99, v143, 0 neg_lo:[1,1,0]
	s_delay_alu instid0(VALU_DEP_3) | instskip(NEXT) | instid1(VALU_DEP_3)
	v_cvt_f32_f16_e32 v103, v103
	v_dot4_i32_iu8 v109, v106, v83, v109 neg_lo:[1,1,0]
	s_delay_alu instid0(VALU_DEP_3) | instskip(SKIP_1) | instid1(VALU_DEP_3)
	v_dot4_i32_iu8 v99, v106, v144, v99 neg_lo:[1,1,0]
	v_pk_mul_f16 v106, v122, v160
	v_dot4_i32_iu8 v109, v151, v129, v109 neg_lo:[1,1,0]
	s_delay_alu instid0(VALU_DEP_3) | instskip(NEXT) | instid1(VALU_DEP_2)
	v_dot4_i32_iu8 v99, v151, v145, v99 neg_lo:[1,1,0]
	v_dot4_i32_iu8 v109, v153, v130, v109 neg_lo:[1,1,0]
	s_delay_alu instid0(VALU_DEP_2) | instskip(NEXT) | instid1(VALU_DEP_2)
	v_dot4_i32_iu8 v99, v153, v146, v99 neg_lo:[1,1,0]
	v_dot4_i32_iu8 v109, v155, v131, v109 neg_lo:[1,1,0]
	s_delay_alu instid0(VALU_DEP_2) | instskip(NEXT) | instid1(VALU_DEP_2)
	;; [unrolled: 3-line block ×5, first 2 shown]
	v_dot4_i32_iu8 v99, v88, v104, v99 neg_lo:[1,1,0]
	v_cvt_f32_i32_e32 v109, v109
	s_delay_alu instid0(VALU_DEP_2) | instskip(NEXT) | instid1(VALU_DEP_2)
	v_cvt_f32_i32_e32 v99, v99
	v_fma_mix_f32 v109, v157, v109, v157 op_sel:[0,0,1] op_sel_hi:[1,0,1]
	s_delay_alu instid0(VALU_DEP_2) | instskip(SKIP_1) | instid1(VALU_DEP_3)
	v_fma_mix_f32 v153, v106, v99, v106 op_sel:[0,0,1] op_sel_hi:[1,0,1]
	v_add_nc_u32_e32 v99, 0x140c, v111
	v_pk_add_f32 v[18:19], v[18:19], v[108:109]
	s_delay_alu instid0(VALU_DEP_3)
	v_pk_add_f32 v[16:17], v[16:17], v[152:153]
	ds_load_2addr_b32 v[152:153], v99 offset1:1
	v_add_nc_u32_e32 v99, 0x1404, v111
	ds_load_2addr_b32 v[156:157], v99 offset1:1
	v_add_nc_u32_e32 v99, 0x1414, v111
	ds_load_2addr_b32 v[158:159], v99 offset1:1
	v_add_nc_u32_e32 v99, 0x1400, v111
	ds_load_2addr_b32 v[108:109], v99 offset1:7
	s_wait_dscnt 0x3
	v_dual_lshlrev_b32 v99, 16, v153 :: v_dual_lshlrev_b32 v106, 8, v153
	v_dual_lshlrev_b32 v170, 16, v152 :: v_dual_lshlrev_b32 v171, 8, v152
	v_perm_b32 v152, v152, v152, 0xc0c0003
	s_wait_dscnt 0x2
	v_dual_lshlrev_b32 v151, 16, v156 :: v_dual_lshlrev_b32 v155, 8, v156
	v_perm_b32 v99, v106, v99, 0x7030c0c
	v_perm_b32 v106, v153, v153, 0xc0c0003
	;; [unrolled: 1-line block ×3, first 2 shown]
	v_dual_lshlrev_b32 v166, 16, v157 :: v_dual_lshlrev_b32 v167, 8, v157
	s_wait_dscnt 0x1
	v_dual_lshlrev_b32 v160, 16, v158 :: v_dual_lshlrev_b32 v165, 8, v158
	v_or_b32_e32 v99, v99, v106
	v_perm_b32 v151, v155, v151, 0x7030c0c
	v_perm_b32 v155, v158, v158, 0xc0c0003
	s_wait_dscnt 0x0
	v_dual_lshlrev_b32 v173, 8, v109 :: v_dual_lshlrev_b32 v168, 16, v159
	v_dot4_i32_iu8 v106, v99, v123, 0 neg_lo:[1,1,0]
	v_or_b32_e32 v151, v151, v153
	v_perm_b32 v153, v165, v160, 0x7030c0c
	v_lshlrev_b32_e32 v169, 8, v159
	v_perm_b32 v156, v157, v157, 0xc0c0003
	v_perm_b32 v157, v159, v159, 0xc0c0003
	v_dot4_i32_iu8 v106, v151, v124, v106 neg_lo:[1,1,0]
	v_or_b32_e32 v153, v153, v155
	v_perm_b32 v155, v167, v166, 0x7030c0c
	v_lshlrev_b32_e32 v172, 16, v109
	v_perm_b32 v109, v109, v109, 0xc0c0003
	v_pk_mul_f16 v166, v118, v161
	v_dot4_i32_iu8 v106, v153, v125, v106 neg_lo:[1,1,0]
	v_or_b32_e32 v156, v155, v156
	v_perm_b32 v155, v169, v168, 0x7030c0c
	s_delay_alu instid0(VALU_DEP_2) | instskip(NEXT) | instid1(VALU_DEP_2)
	v_dot4_i32_iu8 v106, v156, v126, v106 neg_lo:[1,1,0]
	v_or_b32_e32 v157, v155, v157
	v_perm_b32 v155, v171, v170, 0x7030c0c
	s_delay_alu instid0(VALU_DEP_2) | instskip(NEXT) | instid1(VALU_DEP_2)
	;; [unrolled: 4-line block ×3, first 2 shown]
	v_dot4_i32_iu8 v106, v152, v128, v106 neg_lo:[1,1,0]
	v_or_b32_e32 v109, v155, v109
	v_pk_mul_f16 v155, v117, v161
	s_delay_alu instid0(VALU_DEP_2) | instskip(NEXT) | instid1(VALU_DEP_1)
	v_dot4_i32_iu8 v106, v109, v140, v106 neg_lo:[1,1,0]
	v_dot4_i32_iu8 v106, v82, v108, v106 neg_lo:[1,1,0]
	s_delay_alu instid0(VALU_DEP_1) | instskip(NEXT) | instid1(VALU_DEP_1)
	v_cvt_f32_i32_e32 v106, v106
	v_fma_mix_f32 v155, v155, v106, v155 op_sel:[0,0,1] op_sel_hi:[1,0,1]
	v_dot4_i32_iu8 v106, v99, v132, 0 neg_lo:[1,1,0]
	s_delay_alu instid0(VALU_DEP_2) | instskip(NEXT) | instid1(VALU_DEP_2)
	v_pk_add_f32 v[14:15], v[14:15], v[154:155]
	v_dot4_i32_iu8 v106, v151, v134, v106 neg_lo:[1,1,0]
	v_pk_mul_f16 v154, v121, v161
	s_delay_alu instid0(VALU_DEP_2) | instskip(NEXT) | instid1(VALU_DEP_1)
	v_dot4_i32_iu8 v106, v153, v135, v106 neg_lo:[1,1,0]
	v_dot4_i32_iu8 v106, v156, v136, v106 neg_lo:[1,1,0]
	s_delay_alu instid0(VALU_DEP_1) | instskip(NEXT) | instid1(VALU_DEP_1)
	v_dot4_i32_iu8 v106, v157, v137, v106 neg_lo:[1,1,0]
	v_dot4_i32_iu8 v165, v152, v139, v106 neg_lo:[1,1,0]
	;; [unrolled: 1-line block ×4, first 2 shown]
	s_delay_alu instid0(VALU_DEP_2) | instskip(NEXT) | instid1(VALU_DEP_2)
	v_dot4_i32_iu8 v106, v151, v83, v106 neg_lo:[1,1,0]
	v_dot4_i32_iu8 v99, v151, v144, v99 neg_lo:[1,1,0]
	v_add_nc_u32_e32 v151, 0x1804, v111
	s_delay_alu instid0(VALU_DEP_3) | instskip(NEXT) | instid1(VALU_DEP_3)
	v_dot4_i32_iu8 v106, v153, v129, v106 neg_lo:[1,1,0]
	v_dot4_i32_iu8 v99, v153, v145, v99 neg_lo:[1,1,0]
	s_delay_alu instid0(VALU_DEP_2) | instskip(NEXT) | instid1(VALU_DEP_2)
	v_dot4_i32_iu8 v106, v156, v130, v106 neg_lo:[1,1,0]
	v_dot4_i32_iu8 v99, v156, v146, v99 neg_lo:[1,1,0]
	s_delay_alu instid0(VALU_DEP_2) | instskip(NEXT) | instid1(VALU_DEP_2)
	;; [unrolled: 3-line block ×3, first 2 shown]
	v_dot4_i32_iu8 v106, v152, v133, v106 neg_lo:[1,1,0]
	v_dot4_i32_iu8 v99, v152, v148, v99 neg_lo:[1,1,0]
	ds_load_2addr_b32 v[152:153], v151 offset1:1
	v_add_nc_u32_e32 v151, 0x1814, v111
	v_dot4_i32_iu8 v106, v109, v87, v106 neg_lo:[1,1,0]
	v_dot4_i32_iu8 v99, v109, v89, v99 neg_lo:[1,1,0]
	s_delay_alu instid0(VALU_DEP_2) | instskip(NEXT) | instid1(VALU_DEP_2)
	v_dot4_i32_iu8 v106, v86, v108, v106 neg_lo:[1,1,0]
	v_dot4_i32_iu8 v99, v88, v108, v99 neg_lo:[1,1,0]
	s_delay_alu instid0(VALU_DEP_2) | instskip(NEXT) | instid1(VALU_DEP_2)
	v_cvt_f32_i32_e32 v106, v106
	v_cvt_f32_i32_e32 v99, v99
	s_delay_alu instid0(VALU_DEP_2)
	v_fma_mix_f32 v106, v154, v106, v154 op_sel:[0,0,1] op_sel_hi:[1,0,1]
	ds_load_2addr_b32 v[154:155], v151 offset1:1
	v_add_nc_u32_e32 v151, 0x1800, v111
	s_wait_dscnt 0x1
	v_dual_lshlrev_b32 v167, 8, v152 :: v_dual_lshlrev_b32 v170, 16, v153
	v_lshlrev_b32_e32 v171, 8, v153
	v_pk_add_f32 v[10:11], v[10:11], v[106:107]
	v_pk_mul_f16 v106, v122, v161
	v_lshlrev_b32_e32 v161, 16, v152
	v_perm_b32 v152, v152, v152, 0xc0c0003
	v_perm_b32 v153, v153, v153, 0xc0c0003
	s_delay_alu instid0(VALU_DEP_4)
	v_fma_mix_f32 v99, v106, v99, v106 op_sel:[0,0,1] op_sel_hi:[1,0,1]
	v_add_nc_u32_e32 v106, 0x180c, v111
	ds_load_2addr_b32 v[106:107], v106 offset1:1
	ds_load_2addr_b32 v[156:157], v151 offset1:7
	ds_load_2addr_b32 v[158:159], v110 offset0:192 offset1:224
	v_add_nc_u32_e32 v110, 4, v110
	s_wait_dscnt 0x3
	v_dual_lshlrev_b32 v168, 16, v154 :: v_dual_lshlrev_b32 v169, 8, v154
	v_perm_b32 v154, v154, v154, 0xc0c0003
	v_dual_lshlrev_b32 v172, 16, v155 :: v_dual_lshlrev_b32 v173, 8, v155
	v_perm_b32 v155, v155, v155, 0xc0c0003
	s_wait_dscnt 0x2
	v_dual_lshlrev_b32 v151, 16, v107 :: v_dual_lshlrev_b32 v160, 8, v107
	v_dual_lshlrev_b32 v174, 16, v106 :: v_dual_lshlrev_b32 v175, 8, v106
	s_wait_dscnt 0x1
	v_dual_lshlrev_b32 v176, 16, v157 :: v_dual_lshlrev_b32 v177, 8, v157
	s_delay_alu instid0(VALU_DEP_3)
	v_perm_b32 v151, v160, v151, 0x7030c0c
	v_perm_b32 v160, v167, v161, 0x7030c0c
	;; [unrolled: 1-line block ×5, first 2 shown]
	s_wait_dscnt 0x0
	v_pk_mul_f16 v167, v117, v158
	v_or_b32_e32 v152, v160, v152
	v_perm_b32 v160, v169, v168, 0x7030c0c
	v_or_b32_e32 v107, v151, v107
	v_pk_mul_f16 v117, v117, v159
	v_pk_mul_f16 v169, v118, v158
	s_delay_alu instid0(VALU_DEP_4) | instskip(SKIP_4) | instid1(VALU_DEP_4)
	v_or_b32_e32 v154, v160, v154
	v_perm_b32 v160, v171, v170, 0x7030c0c
	v_dot4_i32_iu8 v151, v107, v123, 0 neg_lo:[1,1,0]
	v_pk_mul_f16 v171, v121, v158
	v_pk_mul_f16 v158, v122, v158
	v_or_b32_e32 v153, v160, v153
	v_perm_b32 v160, v173, v172, 0x7030c0c
	v_dot4_i32_iu8 v151, v152, v124, v151 neg_lo:[1,1,0]
	s_delay_alu instid0(VALU_DEP_2) | instskip(SKIP_1) | instid1(VALU_DEP_3)
	v_or_b32_e32 v155, v160, v155
	v_perm_b32 v160, v175, v174, 0x7030c0c
	v_dot4_i32_iu8 v151, v154, v125, v151 neg_lo:[1,1,0]
	s_delay_alu instid0(VALU_DEP_2) | instskip(SKIP_1) | instid1(VALU_DEP_3)
	;; [unrolled: 4-line block ×3, first 2 shown]
	v_or_b32_e32 v157, v160, v157
	v_dot4_i32_iu8 v160, v107, v132, 0 neg_lo:[1,1,0]
	v_dot4_i32_iu8 v151, v155, v127, v151 neg_lo:[1,1,0]
	s_delay_alu instid0(VALU_DEP_2) | instskip(NEXT) | instid1(VALU_DEP_2)
	v_dot4_i32_iu8 v160, v152, v134, v160 neg_lo:[1,1,0]
	v_dot4_i32_iu8 v151, v106, v128, v151 neg_lo:[1,1,0]
	s_delay_alu instid0(VALU_DEP_2) | instskip(NEXT) | instid1(VALU_DEP_1)
	v_dot4_i32_iu8 v160, v154, v135, v160 neg_lo:[1,1,0]
	v_dot4_i32_iu8 v160, v153, v136, v160 neg_lo:[1,1,0]
	s_delay_alu instid0(VALU_DEP_1) | instskip(NEXT) | instid1(VALU_DEP_1)
	v_dot4_i32_iu8 v160, v155, v137, v160 neg_lo:[1,1,0]
	v_dot4_i32_iu8 v168, v106, v139, v160 neg_lo:[1,1,0]
	;; [unrolled: 1-line block ×4, first 2 shown]
	s_delay_alu instid0(VALU_DEP_2) | instskip(NEXT) | instid1(VALU_DEP_2)
	v_dot4_i32_iu8 v160, v152, v83, v160 neg_lo:[1,1,0]
	v_dot4_i32_iu8 v107, v152, v144, v107 neg_lo:[1,1,0]
	v_add_nc_u32_e32 v152, 0x1c04, v111
	s_delay_alu instid0(VALU_DEP_3) | instskip(NEXT) | instid1(VALU_DEP_3)
	v_dot4_i32_iu8 v160, v154, v129, v160 neg_lo:[1,1,0]
	v_dot4_i32_iu8 v107, v154, v145, v107 neg_lo:[1,1,0]
	v_add_nc_u32_e32 v154, 0x1c14, v111
	s_delay_alu instid0(VALU_DEP_3) | instskip(NEXT) | instid1(VALU_DEP_3)
	v_dot4_i32_iu8 v160, v153, v130, v160 neg_lo:[1,1,0]
	v_dot4_i32_iu8 v107, v153, v146, v107 neg_lo:[1,1,0]
	s_delay_alu instid0(VALU_DEP_2) | instskip(NEXT) | instid1(VALU_DEP_2)
	v_dot4_i32_iu8 v160, v155, v131, v160 neg_lo:[1,1,0]
	v_dot4_i32_iu8 v107, v155, v147, v107 neg_lo:[1,1,0]
	s_delay_alu instid0(VALU_DEP_2) | instskip(NEXT) | instid1(VALU_DEP_2)
	v_dot4_i32_iu8 v170, v106, v133, v160 neg_lo:[1,1,0]
	v_dot4_i32_iu8 v172, v106, v148, v107 neg_lo:[1,1,0]
	v_add_nc_u32_e32 v106, 0x1c0c, v111
	ds_load_2addr_b32 v[106:107], v106 offset1:1
	ds_load_2addr_b32 v[152:153], v152 offset1:1
	;; [unrolled: 1-line block ×3, first 2 shown]
	v_add_nc_u32_e32 v160, 0x1c00, v111
	v_add_nc_u32_e32 v111, 32, v111
	ds_load_2addr_b32 v[160:161], v160 offset1:7
	s_wait_dscnt 0x3
	v_dual_lshlrev_b32 v173, 16, v107 :: v_dual_lshlrev_b32 v174, 8, v107
	v_perm_b32 v107, v107, v107, 0xc0c0003
	s_wait_dscnt 0x2
	v_dual_lshlrev_b32 v175, 16, v152 :: v_dual_lshlrev_b32 v176, 8, v152
	v_perm_b32 v152, v152, v152, 0xc0c0003
	v_perm_b32 v173, v174, v173, 0x7030c0c
	s_wait_dscnt 0x0
	v_dual_lshlrev_b32 v177, 16, v154 :: v_dual_lshlrev_b32 v219, 8, v161
	v_dual_lshlrev_b32 v178, 8, v154 :: v_dual_lshlrev_b32 v179, 16, v153
	s_delay_alu instid0(VALU_DEP_3) | instskip(SKIP_2) | instid1(VALU_DEP_3)
	v_dual_lshlrev_b32 v180, 8, v153 :: v_dual_bitop2_b32 v173, v173, v107 bitop3:0x54
	v_dual_lshlrev_b32 v181, 16, v155 :: v_dual_lshlrev_b32 v182, 8, v155
	v_lshlrev_b32_e32 v183, 16, v106
	v_dot4_i32_iu8 v107, v173, v123, 0 neg_lo:[1,1,0]
	v_perm_b32 v123, v176, v175, 0x7030c0c
	v_dual_lshlrev_b32 v217, 8, v106 :: v_dual_lshlrev_b32 v218, 16, v161
	v_perm_b32 v106, v106, v106, 0xc0c0003
	v_dot4_i32_iu8 v151, v157, v140, v151 neg_lo:[1,1,0]
	s_delay_alu instid0(VALU_DEP_4) | instskip(SKIP_1) | instid1(VALU_DEP_2)
	v_or_b32_e32 v123, v123, v152
	v_perm_b32 v152, v154, v154, 0xc0c0003
	v_dot4_i32_iu8 v107, v123, v124, v107 neg_lo:[1,1,0]
	v_perm_b32 v124, v178, v177, 0x7030c0c
	s_delay_alu instid0(VALU_DEP_1) | instskip(SKIP_1) | instid1(VALU_DEP_2)
	v_or_b32_e32 v152, v124, v152
	v_perm_b32 v124, v180, v179, 0x7030c0c
	v_dot4_i32_iu8 v107, v152, v125, v107 neg_lo:[1,1,0]
	v_perm_b32 v125, v153, v153, 0xc0c0003
	s_delay_alu instid0(VALU_DEP_1) | instskip(SKIP_2) | instid1(VALU_DEP_3)
	v_or_b32_e32 v153, v124, v125
	v_perm_b32 v124, v182, v181, 0x7030c0c
	v_perm_b32 v125, v155, v155, 0xc0c0003
	v_dot4_i32_iu8 v107, v153, v126, v107 neg_lo:[1,1,0]
	v_cvt_f32_i32_e32 v126, v84
	s_delay_alu instid0(VALU_DEP_3) | instskip(SKIP_1) | instid1(VALU_DEP_2)
	v_or_b32_e32 v154, v124, v125
	v_perm_b32 v124, v217, v183, 0x7030c0c
	v_dot4_i32_iu8 v107, v154, v127, v107 neg_lo:[1,1,0]
	s_delay_alu instid0(VALU_DEP_2) | instskip(SKIP_1) | instid1(VALU_DEP_2)
	v_or_b32_e32 v155, v124, v106
	v_perm_b32 v124, v161, v161, 0xc0c0003
	v_dot4_i32_iu8 v106, v155, v128, v107 neg_lo:[1,1,0]
	v_perm_b32 v107, v219, v218, 0x7030c0c
	s_delay_alu instid0(VALU_DEP_1) | instskip(SKIP_2) | instid1(VALU_DEP_3)
	v_or_b32_e32 v128, v107, v124
	v_cvt_f32_f16_e32 v107, v117
	v_lshrrev_b32_e32 v117, 16, v117
	v_dot4_i32_iu8 v106, v128, v140, v106 neg_lo:[1,1,0]
	s_delay_alu instid0(VALU_DEP_2) | instskip(SKIP_1) | instid1(VALU_DEP_3)
	v_cvt_f32_f16_e32 v125, v117
	v_lshrrev_b32_e32 v117, 16, v119
	v_dot4_i32_iu8 v120, v82, v160, v106 neg_lo:[1,1,0]
	v_dot4_i32_iu8 v82, v82, v156, v151 neg_lo:[1,1,0]
	v_cvt_f32_f16_e32 v106, v119
	s_delay_alu instid0(VALU_DEP_4) | instskip(SKIP_3) | instid1(VALU_DEP_3)
	v_cvt_f32_f16_e32 v124, v117
	v_perm_b32 v117, v85, v85, 0x2010003
	v_cvt_f32_i32_e32 v127, v120
	v_cvt_f32_i32_e32 v82, v82
	v_dot4_i32_iu8 v84, v97, v117, v150 neg_lo:[1,1,0]
	v_dot4_i32_iu8 v85, v138, v117, v149 neg_lo:[1,1,0]
	s_delay_alu instid0(VALU_DEP_4) | instskip(NEXT) | instid1(VALU_DEP_3)
	v_pk_fma_f32 v[106:107], v[106:107], v[126:127], v[124:125]
	v_dot4_i32_iu8 v84, v96, v80, v84 neg_lo:[1,1,0]
	s_delay_alu instid0(VALU_DEP_3) | instskip(NEXT) | instid1(VALU_DEP_3)
	v_dot4_i32_iu8 v90, v90, v80, v85 neg_lo:[1,1,0]
	v_pk_add_f32 v[6:7], v[6:7], v[106:107]
	s_delay_alu instid0(VALU_DEP_3) | instskip(NEXT) | instid1(VALU_DEP_3)
	v_cvt_f32_i32_e32 v85, v84
	v_cvt_f32_i32_e32 v84, v90
	s_delay_alu instid0(VALU_DEP_1) | instskip(NEXT) | instid1(VALU_DEP_1)
	v_pk_fma_f32 v[84:85], v[92:93], v[84:85], v[94:95]
	v_pk_add_f32 v[30:31], v[30:31], v[84:85]
	v_dot4_i32_iu8 v84, v105, v117, v164 neg_lo:[1,1,0]
	v_dot4_i32_iu8 v85, v162, v117, v163 neg_lo:[1,1,0]
	s_delay_alu instid0(VALU_DEP_2) | instskip(NEXT) | instid1(VALU_DEP_2)
	v_dot4_i32_iu8 v84, v104, v80, v84 neg_lo:[1,1,0]
	v_dot4_i32_iu8 v90, v98, v80, v85 neg_lo:[1,1,0]
	v_fma_mix_f32 v98, v167, v82, v167 op_sel:[0,0,1] op_sel_hi:[1,0,1]
	v_dot4_i32_iu8 v82, v173, v132, 0 neg_lo:[1,1,0]
	s_delay_alu instid0(VALU_DEP_4) | instskip(NEXT) | instid1(VALU_DEP_4)
	v_cvt_f32_i32_e32 v85, v84
	v_cvt_f32_i32_e32 v84, v90
	s_delay_alu instid0(VALU_DEP_4) | instskip(NEXT) | instid1(VALU_DEP_4)
	v_pk_add_f32 v[8:9], v[8:9], v[98:99]
	v_dot4_i32_iu8 v82, v123, v134, v82 neg_lo:[1,1,0]
	s_delay_alu instid0(VALU_DEP_3) | instskip(NEXT) | instid1(VALU_DEP_2)
	v_pk_fma_f32 v[84:85], v[100:101], v[84:85], v[102:103]
	v_dot4_i32_iu8 v82, v152, v135, v82 neg_lo:[1,1,0]
	s_delay_alu instid0(VALU_DEP_2) | instskip(SKIP_1) | instid1(VALU_DEP_3)
	v_pk_add_f32 v[20:21], v[20:21], v[84:85]
	v_dot4_i32_iu8 v84, v109, v117, v165 neg_lo:[1,1,0]
	v_dot4_i32_iu8 v82, v153, v136, v82 neg_lo:[1,1,0]
	s_delay_alu instid0(VALU_DEP_2) | instskip(NEXT) | instid1(VALU_DEP_2)
	v_dot4_i32_iu8 v84, v108, v80, v84 neg_lo:[1,1,0]
	v_dot4_i32_iu8 v82, v154, v137, v82 neg_lo:[1,1,0]
	s_delay_alu instid0(VALU_DEP_2) | instskip(NEXT) | instid1(VALU_DEP_2)
	v_cvt_f32_i32_e32 v84, v84
	v_dot4_i32_iu8 v82, v155, v139, v82 neg_lo:[1,1,0]
	s_delay_alu instid0(VALU_DEP_2) | instskip(NEXT) | instid1(VALU_DEP_2)
	v_fma_mix_f32 v90, v166, v84, v166 op_sel:[0,0,1] op_sel_hi:[1,0,1]
	v_dot4_i32_iu8 v82, v128, v117, v82 neg_lo:[1,1,0]
	v_dot4_i32_iu8 v84, v157, v117, v168 neg_lo:[1,1,0]
	s_delay_alu instid0(VALU_DEP_3) | instskip(SKIP_1) | instid1(VALU_DEP_3)
	v_pk_add_f32 v[12:13], v[12:13], v[90:91]
	v_pk_mul_f16 v90, v118, v159
	v_dot4_i32_iu8 v92, v156, v80, v84 neg_lo:[1,1,0]
	v_dot4_i32_iu8 v80, v160, v80, v82 neg_lo:[1,1,0]
	v_cvt_f32_f16_e64 v84, v169
	s_delay_alu instid0(VALU_DEP_4) | instskip(SKIP_1) | instid1(VALU_DEP_4)
	v_lshrrev_b32_e32 v82, 16, v90
	v_cvt_f32_f16_e32 v85, v90
	v_cvt_f32_i32_e32 v93, v80
	v_dot4_i32_iu8 v80, v173, v81, 0 neg_lo:[1,1,0]
	v_cvt_f32_i32_e32 v92, v92
	v_cvt_f32_f16_e32 v91, v82
	v_lshrrev_b32_e32 v82, 16, v169
	v_dot4_i32_iu8 v81, v157, v87, v170 neg_lo:[1,1,0]
	v_dot4_i32_iu8 v80, v123, v83, v80 neg_lo:[1,1,0]
	s_delay_alu instid0(VALU_DEP_3) | instskip(SKIP_1) | instid1(VALU_DEP_3)
	v_cvt_f32_f16_e32 v90, v82
	v_pk_mul_f16 v82, v121, v159
	v_dot4_i32_iu8 v80, v152, v129, v80 neg_lo:[1,1,0]
	s_delay_alu instid0(VALU_DEP_3) | instskip(NEXT) | instid1(VALU_DEP_2)
	v_pk_fma_f32 v[84:85], v[84:85], v[92:93], v[90:91]
	v_dot4_i32_iu8 v80, v153, v130, v80 neg_lo:[1,1,0]
	s_delay_alu instid0(VALU_DEP_2) | instskip(SKIP_4) | instid1(VALU_DEP_4)
	v_pk_add_f32 v[4:5], v[4:5], v[84:85]
	v_dot4_i32_iu8 v84, v156, v86, v81 neg_lo:[1,1,0]
	v_cvt_f32_f16_e32 v81, v82
	v_lshrrev_b32_e32 v82, 16, v82
	v_dot4_i32_iu8 v80, v154, v131, v80 neg_lo:[1,1,0]
	v_cvt_f32_i32_e32 v84, v84
	s_delay_alu instid0(VALU_DEP_3) | instskip(NEXT) | instid1(VALU_DEP_3)
	v_cvt_f32_f16_e32 v83, v82
	v_dot4_i32_iu8 v80, v155, v133, v80 neg_lo:[1,1,0]
	v_lshrrev_b32_e32 v82, 16, v171
	s_delay_alu instid0(VALU_DEP_2) | instskip(NEXT) | instid1(VALU_DEP_2)
	v_dot4_i32_iu8 v80, v128, v87, v80 neg_lo:[1,1,0]
	v_cvt_f32_f16_e32 v82, v82
	s_delay_alu instid0(VALU_DEP_2) | instskip(SKIP_1) | instid1(VALU_DEP_2)
	v_dot4_i32_iu8 v85, v160, v86, v80 neg_lo:[1,1,0]
	v_cvt_f32_f16_e64 v80, v171
	v_cvt_f32_i32_e32 v85, v85
	s_delay_alu instid0(VALU_DEP_1) | instskip(SKIP_1) | instid1(VALU_DEP_2)
	v_pk_fma_f32 v[80:81], v[80:81], v[84:85], v[82:83]
	v_pk_mul_f16 v82, v122, v159
	v_pk_add_f32 v[2:3], v[2:3], v[80:81]
	v_dot4_i32_iu8 v80, v173, v143, 0 neg_lo:[1,1,0]
	v_dot4_i32_iu8 v81, v157, v89, v172 neg_lo:[1,1,0]
	s_delay_alu instid0(VALU_DEP_2) | instskip(NEXT) | instid1(VALU_DEP_2)
	v_dot4_i32_iu8 v80, v123, v144, v80 neg_lo:[1,1,0]
	v_dot4_i32_iu8 v84, v156, v88, v81 neg_lo:[1,1,0]
	v_cvt_f32_f16_e32 v81, v82
	v_lshrrev_b32_e32 v82, 16, v82
	s_delay_alu instid0(VALU_DEP_4) | instskip(NEXT) | instid1(VALU_DEP_4)
	v_dot4_i32_iu8 v80, v152, v145, v80 neg_lo:[1,1,0]
	v_cvt_f32_i32_e32 v84, v84
	s_delay_alu instid0(VALU_DEP_3) | instskip(SKIP_1) | instid1(VALU_DEP_4)
	v_cvt_f32_f16_e32 v83, v82
	v_lshrrev_b32_e32 v82, 16, v158
	v_dot4_i32_iu8 v80, v153, v146, v80 neg_lo:[1,1,0]
	s_delay_alu instid0(VALU_DEP_2) | instskip(NEXT) | instid1(VALU_DEP_2)
	v_cvt_f32_f16_e32 v82, v82
	v_dot4_i32_iu8 v80, v154, v147, v80 neg_lo:[1,1,0]
	s_delay_alu instid0(VALU_DEP_1) | instskip(NEXT) | instid1(VALU_DEP_1)
	v_dot4_i32_iu8 v80, v155, v148, v80 neg_lo:[1,1,0]
	v_dot4_i32_iu8 v80, v128, v89, v80 neg_lo:[1,1,0]
	s_delay_alu instid0(VALU_DEP_1) | instskip(SKIP_1) | instid1(VALU_DEP_2)
	v_dot4_i32_iu8 v85, v160, v88, v80 neg_lo:[1,1,0]
	v_cvt_f32_f16_e64 v80, v158
	v_cvt_f32_i32_e32 v85, v85
	s_delay_alu instid0(VALU_DEP_1) | instskip(NEXT) | instid1(VALU_DEP_1)
	v_pk_fma_f32 v[80:81], v[80:81], v[84:85], v[82:83]
	v_pk_add_f32 v[0:1], v[0:1], v[80:81]
	s_cbranch_scc1 .LBB123_12
; %bb.13:                               ;   in Loop: Header=BB123_7 Depth=1
	s_barrier_signal -1
	s_barrier_wait -1
	s_branch .LBB123_6
.LBB123_14:
	v_dual_mov_b32 v22, v23 :: v_dual_mov_b32 v24, v27
	s_mov_b32 s0, exec_lo
	v_cmpx_gt_u32_e64 s4, v39
	s_cbranch_execz .LBB123_3
.LBB123_15:
	v_mul_lo_u32 v26, v39, s6
	v_add_nc_u32_e32 v23, s14, v24
	s_delay_alu instid0(VALU_DEP_1)
	v_cmp_gt_u32_e32 vcc_lo, s6, v23
	s_and_saveexec_b32 s0, vcc_lo
	s_cbranch_execz .LBB123_17
; %bb.16:
	s_delay_alu instid0(VALU_DEP_3)
	v_add_nc_u32_e32 v24, v23, v26
	s_wait_kmcnt 0x0
	global_store_b32 v24, v36, s[8:9] scale_offset
.LBB123_17:
	s_wait_xcnt 0x0
	s_or_b32 exec_lo, exec_lo, s0
	v_add_nc_u32_e32 v24, 32, v23
	s_delay_alu instid0(VALU_DEP_1)
	v_cmp_gt_u32_e64 s0, s6, v24
	s_and_saveexec_b32 s1, s0
	s_cbranch_execz .LBB123_19
; %bb.18:
	v_add_nc_u32_e32 v25, v24, v26
	s_wait_kmcnt 0x0
	global_store_b32 v25, v6, s[8:9] scale_offset
.LBB123_19:
	s_wait_xcnt 0x0
	s_or_b32 exec_lo, exec_lo, s1
	v_add_nc_u32_e32 v6, 64, v23
	s_delay_alu instid0(VALU_DEP_1)
	v_cmp_gt_u32_e64 s1, s6, v6
	s_and_saveexec_b32 s2, s1
	s_cbranch_execz .LBB123_21
; %bb.20:
	v_add_nc_u32_e32 v25, v6, v26
	s_wait_kmcnt 0x0
	global_store_b32 v25, v34, s[8:9] scale_offset
.LBB123_21:
	;; [unrolled: 12-line block ×3, first 2 shown]
	s_wait_xcnt 0x0
	s_or_b32 exec_lo, exec_lo, s3
	v_add3_u32 v26, v22, s7, 8
	s_delay_alu instid0(VALU_DEP_1)
	v_cmp_gt_u32_e64 s3, s4, v26
	s_and_b32 exec_lo, exec_lo, s3
	s_cbranch_execz .LBB123_3
; %bb.24:
	v_mul_lo_u32 v26, v26, s6
	s_and_saveexec_b32 s3, vcc_lo
	s_cbranch_execnz .LBB123_64
; %bb.25:
	s_or_b32 exec_lo, exec_lo, s3
	s_and_saveexec_b32 s3, s0
	s_cbranch_execnz .LBB123_65
.LBB123_26:
	s_or_b32 exec_lo, exec_lo, s3
	s_and_saveexec_b32 s3, s1
	s_cbranch_execnz .LBB123_66
.LBB123_27:
	s_or_b32 exec_lo, exec_lo, s3
	s_and_saveexec_b32 s3, s2
	s_cbranch_execz .LBB123_29
.LBB123_28:
	v_add_nc_u32_e32 v26, v26, v25
	s_wait_kmcnt 0x0
	global_store_b32 v26, v33, s[8:9] scale_offset
.LBB123_29:
	s_wait_xcnt 0x0
	s_or_b32 exec_lo, exec_lo, s3
	v_add3_u32 v26, v22, s7, 16
	s_delay_alu instid0(VALU_DEP_1)
	v_cmp_gt_u32_e64 s3, s4, v26
	s_and_b32 exec_lo, exec_lo, s3
	s_cbranch_execz .LBB123_3
; %bb.30:
	v_mul_lo_u32 v26, v26, s6
	s_and_saveexec_b32 s3, vcc_lo
	s_cbranch_execnz .LBB123_67
; %bb.31:
	s_or_b32 exec_lo, exec_lo, s3
	s_and_saveexec_b32 s3, s0
	s_cbranch_execnz .LBB123_68
.LBB123_32:
	s_or_b32 exec_lo, exec_lo, s3
	s_and_saveexec_b32 s3, s1
	s_cbranch_execnz .LBB123_69
.LBB123_33:
	s_or_b32 exec_lo, exec_lo, s3
	s_and_saveexec_b32 s3, s2
	s_cbranch_execz .LBB123_35
.LBB123_34:
	v_add_nc_u32_e32 v13, v26, v25
	s_wait_kmcnt 0x0
	global_store_b32 v13, v11, s[8:9] scale_offset
.LBB123_35:
	s_wait_xcnt 0x0
	s_or_b32 exec_lo, exec_lo, s3
	v_add3_u32 v11, v22, s7, 24
	s_delay_alu instid0(VALU_DEP_1)
	v_cmp_gt_u32_e64 s3, s4, v11
	s_and_b32 exec_lo, exec_lo, s3
	s_cbranch_execz .LBB123_3
; %bb.36:
	v_mul_lo_u32 v11, v11, s6
	s_and_saveexec_b32 s3, vcc_lo
	s_cbranch_execnz .LBB123_70
; %bb.37:
	s_or_b32 exec_lo, exec_lo, s3
	s_and_saveexec_b32 s3, s0
	s_cbranch_execnz .LBB123_71
.LBB123_38:
	s_or_b32 exec_lo, exec_lo, s3
	s_and_saveexec_b32 s3, s1
	s_cbranch_execnz .LBB123_72
.LBB123_39:
	s_or_b32 exec_lo, exec_lo, s3
	s_and_saveexec_b32 s3, s2
	s_cbranch_execz .LBB123_41
.LBB123_40:
	v_add_nc_u32_e32 v11, v11, v25
	s_wait_kmcnt 0x0
	global_store_b32 v11, v16, s[8:9] scale_offset
.LBB123_41:
	s_wait_xcnt 0x0
	s_or_b32 exec_lo, exec_lo, s3
	v_add3_u32 v11, v22, s7, 32
	s_delay_alu instid0(VALU_DEP_1)
	v_cmp_gt_u32_e64 s3, s4, v11
	s_and_b32 exec_lo, exec_lo, s3
	s_cbranch_execz .LBB123_3
; %bb.42:
	v_mul_lo_u32 v11, v11, s6
	s_and_saveexec_b32 s3, vcc_lo
	s_cbranch_execnz .LBB123_73
; %bb.43:
	s_or_b32 exec_lo, exec_lo, s3
	s_and_saveexec_b32 s3, s0
	s_cbranch_execnz .LBB123_74
.LBB123_44:
	s_or_b32 exec_lo, exec_lo, s3
	s_and_saveexec_b32 s3, s1
	s_cbranch_execnz .LBB123_75
.LBB123_45:
	s_or_b32 exec_lo, exec_lo, s3
	s_and_saveexec_b32 s3, s2
	s_cbranch_execz .LBB123_47
.LBB123_46:
	v_add_nc_u32_e32 v11, v11, v25
	s_wait_kmcnt 0x0
	global_store_b32 v11, v17, s[8:9] scale_offset
.LBB123_47:
	s_wait_xcnt 0x0
	s_or_b32 exec_lo, exec_lo, s3
	v_add3_u32 v11, v22, s7, 40
	s_delay_alu instid0(VALU_DEP_1)
	v_cmp_gt_u32_e64 s3, s4, v11
	s_and_b32 exec_lo, exec_lo, s3
	s_cbranch_execz .LBB123_3
; %bb.48:
	v_mul_lo_u32 v11, v11, s6
	s_and_saveexec_b32 s3, vcc_lo
	s_cbranch_execnz .LBB123_76
; %bb.49:
	s_or_b32 exec_lo, exec_lo, s3
	s_and_saveexec_b32 s3, s0
	s_cbranch_execnz .LBB123_77
.LBB123_50:
	s_or_b32 exec_lo, exec_lo, s3
	s_and_saveexec_b32 s3, s1
	s_cbranch_execnz .LBB123_78
.LBB123_51:
	s_or_b32 exec_lo, exec_lo, s3
	s_and_saveexec_b32 s3, s2
	s_cbranch_execz .LBB123_53
.LBB123_52:
	v_add_nc_u32_e32 v10, v11, v25
	s_wait_kmcnt 0x0
	global_store_b32 v10, v9, s[8:9] scale_offset
.LBB123_53:
	s_wait_xcnt 0x0
	s_or_b32 exec_lo, exec_lo, s3
	v_add3_u32 v9, v22, s7, 48
	s_delay_alu instid0(VALU_DEP_1)
	v_cmp_gt_u32_e64 s3, s4, v9
	s_and_b32 exec_lo, exec_lo, s3
	s_cbranch_execz .LBB123_3
; %bb.54:
	v_mul_lo_u32 v9, v9, s6
	s_and_saveexec_b32 s3, vcc_lo
	s_cbranch_execnz .LBB123_79
; %bb.55:
	s_or_b32 exec_lo, exec_lo, s3
	s_and_saveexec_b32 s3, s0
	s_cbranch_execnz .LBB123_80
.LBB123_56:
	s_or_b32 exec_lo, exec_lo, s3
	s_and_saveexec_b32 s3, s1
	s_cbranch_execnz .LBB123_81
.LBB123_57:
	s_or_b32 exec_lo, exec_lo, s3
	s_and_saveexec_b32 s3, s2
	s_cbranch_execz .LBB123_59
.LBB123_58:
	v_add_nc_u32_e32 v2, v9, v25
	s_wait_kmcnt 0x0
	global_store_b32 v2, v0, s[8:9] scale_offset
.LBB123_59:
	s_wait_xcnt 0x0
	s_or_b32 exec_lo, exec_lo, s3
	v_add3_u32 v0, v22, s7, 56
	s_delay_alu instid0(VALU_DEP_1)
	v_cmp_gt_u32_e64 s3, s4, v0
	s_and_b32 exec_lo, exec_lo, s3
	s_cbranch_execz .LBB123_3
; %bb.60:
	v_mul_lo_u32 v0, v0, s6
	s_and_saveexec_b32 s3, vcc_lo
	s_cbranch_execnz .LBB123_82
; %bb.61:
	s_or_b32 exec_lo, exec_lo, s3
	s_and_saveexec_b32 s3, s0
	s_cbranch_execnz .LBB123_83
.LBB123_62:
	s_or_b32 exec_lo, exec_lo, s3
	s_and_saveexec_b32 s0, s1
	s_cbranch_execnz .LBB123_84
.LBB123_63:
	s_or_b32 exec_lo, exec_lo, s0
	s_delay_alu instid0(SALU_CYCLE_1)
	s_and_b32 exec_lo, exec_lo, s2
	s_cbranch_execz .LBB123_3
	s_branch .LBB123_85
.LBB123_64:
	s_delay_alu instid0(VALU_DEP_1)
	v_add_nc_u32_e32 v27, v26, v23
	s_wait_kmcnt 0x0
	global_store_b32 v27, v37, s[8:9] scale_offset
	s_wait_xcnt 0x0
	s_or_b32 exec_lo, exec_lo, s3
	s_and_saveexec_b32 s3, s0
	s_cbranch_execz .LBB123_26
.LBB123_65:
	s_delay_alu instid0(VALU_DEP_1)
	v_add_nc_u32_e32 v27, v26, v24
	s_wait_kmcnt 0x0
	global_store_b32 v27, v30, s[8:9] scale_offset
	s_wait_xcnt 0x0
	s_or_b32 exec_lo, exec_lo, s3
	s_and_saveexec_b32 s3, s1
	s_cbranch_execz .LBB123_27
.LBB123_66:
	s_delay_alu instid0(VALU_DEP_1)
	v_add_nc_u32_e32 v27, v26, v6
	s_wait_kmcnt 0x0
	global_store_b32 v27, v35, s[8:9] scale_offset
	s_wait_xcnt 0x0
	s_or_b32 exec_lo, exec_lo, s3
	s_and_saveexec_b32 s3, s2
	s_cbranch_execnz .LBB123_28
	s_branch .LBB123_29
.LBB123_67:
	s_delay_alu instid0(VALU_DEP_1)
	v_add_nc_u32_e32 v27, v26, v23
	s_wait_kmcnt 0x0
	global_store_b32 v27, v28, s[8:9] scale_offset
	s_wait_xcnt 0x0
	s_or_b32 exec_lo, exec_lo, s3
	s_and_saveexec_b32 s3, s0
	s_cbranch_execz .LBB123_32
.LBB123_68:
	s_delay_alu instid0(VALU_DEP_1)
	v_add_nc_u32_e32 v27, v26, v24
	s_wait_kmcnt 0x0
	global_store_b32 v27, v31, s[8:9] scale_offset
	s_wait_xcnt 0x0
	s_or_b32 exec_lo, exec_lo, s3
	s_and_saveexec_b32 s3, s1
	s_cbranch_execz .LBB123_33
.LBB123_69:
	s_delay_alu instid0(VALU_DEP_1)
	v_add_nc_u32_e32 v27, v26, v6
	s_wait_kmcnt 0x0
	global_store_b32 v27, v13, s[8:9] scale_offset
	s_wait_xcnt 0x0
	s_or_b32 exec_lo, exec_lo, s3
	s_and_saveexec_b32 s3, s2
	s_cbranch_execnz .LBB123_34
	s_branch .LBB123_35
.LBB123_70:
	s_delay_alu instid0(VALU_DEP_1)
	v_add_nc_u32_e32 v13, v11, v23
	s_wait_kmcnt 0x0
	global_store_b32 v13, v29, s[8:9] scale_offset
	s_wait_xcnt 0x0
	s_or_b32 exec_lo, exec_lo, s3
	s_and_saveexec_b32 s3, s0
	s_cbranch_execz .LBB123_38
.LBB123_71:
	s_delay_alu instid0(VALU_DEP_1)
	v_add_nc_u32_e32 v13, v11, v24
	s_wait_kmcnt 0x0
	global_store_b32 v13, v20, s[8:9] scale_offset
	s_wait_xcnt 0x0
	s_or_b32 exec_lo, exec_lo, s3
	s_and_saveexec_b32 s3, s1
	s_cbranch_execz .LBB123_39
.LBB123_72:
	s_delay_alu instid0(VALU_DEP_1)
	v_add_nc_u32_e32 v13, v11, v6
	s_wait_kmcnt 0x0
	global_store_b32 v13, v18, s[8:9] scale_offset
	s_wait_xcnt 0x0
	s_or_b32 exec_lo, exec_lo, s3
	s_and_saveexec_b32 s3, s2
	s_cbranch_execnz .LBB123_40
	s_branch .LBB123_41
.LBB123_73:
	s_delay_alu instid0(VALU_DEP_1)
	v_add_nc_u32_e32 v13, v11, v23
	s_wait_kmcnt 0x0
	global_store_b32 v13, v14, s[8:9] scale_offset
	s_wait_xcnt 0x0
	s_or_b32 exec_lo, exec_lo, s3
	s_and_saveexec_b32 s3, s0
	s_cbranch_execz .LBB123_44
.LBB123_74:
	s_delay_alu instid0(VALU_DEP_1)
	v_add_nc_u32_e32 v13, v11, v24
	s_wait_kmcnt 0x0
	global_store_b32 v13, v21, s[8:9] scale_offset
	s_wait_xcnt 0x0
	s_or_b32 exec_lo, exec_lo, s3
	s_and_saveexec_b32 s3, s1
	s_cbranch_execz .LBB123_45
.LBB123_75:
	s_delay_alu instid0(VALU_DEP_1)
	v_add_nc_u32_e32 v13, v11, v6
	s_wait_kmcnt 0x0
	global_store_b32 v13, v19, s[8:9] scale_offset
	s_wait_xcnt 0x0
	s_or_b32 exec_lo, exec_lo, s3
	s_and_saveexec_b32 s3, s2
	s_cbranch_execnz .LBB123_46
	s_branch .LBB123_47
.LBB123_76:
	s_delay_alu instid0(VALU_DEP_1)
	v_add_nc_u32_e32 v13, v11, v23
	s_wait_kmcnt 0x0
	global_store_b32 v13, v15, s[8:9] scale_offset
	s_wait_xcnt 0x0
	s_or_b32 exec_lo, exec_lo, s3
	s_and_saveexec_b32 s3, s0
	s_cbranch_execz .LBB123_50
.LBB123_77:
	s_delay_alu instid0(VALU_DEP_1)
	v_add_nc_u32_e32 v13, v11, v24
	s_wait_kmcnt 0x0
	global_store_b32 v13, v12, s[8:9] scale_offset
	s_wait_xcnt 0x0
	s_or_b32 exec_lo, exec_lo, s3
	s_and_saveexec_b32 s3, s1
	s_cbranch_execz .LBB123_51
.LBB123_78:
	s_delay_alu instid0(VALU_DEP_1)
	v_add_nc_u32_e32 v12, v11, v6
	s_wait_kmcnt 0x0
	global_store_b32 v12, v10, s[8:9] scale_offset
	s_wait_xcnt 0x0
	s_or_b32 exec_lo, exec_lo, s3
	s_and_saveexec_b32 s3, s2
	s_cbranch_execnz .LBB123_52
	s_branch .LBB123_53
.LBB123_79:
	s_delay_alu instid0(VALU_DEP_1)
	v_add_nc_u32_e32 v10, v9, v23
	s_wait_kmcnt 0x0
	global_store_b32 v10, v8, s[8:9] scale_offset
	s_wait_xcnt 0x0
	s_or_b32 exec_lo, exec_lo, s3
	s_and_saveexec_b32 s3, s0
	s_cbranch_execz .LBB123_56
.LBB123_80:
	s_delay_alu instid0(VALU_DEP_1)
	v_add_nc_u32_e32 v8, v9, v24
	s_wait_kmcnt 0x0
	global_store_b32 v8, v4, s[8:9] scale_offset
	s_wait_xcnt 0x0
	s_or_b32 exec_lo, exec_lo, s3
	s_and_saveexec_b32 s3, s1
	s_cbranch_execz .LBB123_57
.LBB123_81:
	s_delay_alu instid0(VALU_DEP_1)
	v_add_nc_u32_e32 v4, v9, v6
	s_wait_kmcnt 0x0
	global_store_b32 v4, v2, s[8:9] scale_offset
	s_wait_xcnt 0x0
	s_or_b32 exec_lo, exec_lo, s3
	s_and_saveexec_b32 s3, s2
	s_cbranch_execnz .LBB123_58
	s_branch .LBB123_59
.LBB123_82:
	s_delay_alu instid0(VALU_DEP_1)
	v_add_nc_u32_e32 v2, v0, v23
	s_wait_kmcnt 0x0
	global_store_b32 v2, v7, s[8:9] scale_offset
	s_wait_xcnt 0x0
	s_or_b32 exec_lo, exec_lo, s3
	s_and_saveexec_b32 s3, s0
	s_cbranch_execz .LBB123_62
.LBB123_83:
	s_delay_alu instid0(VALU_DEP_1)
	v_add_nc_u32_e32 v2, v0, v24
	s_wait_kmcnt 0x0
	global_store_b32 v2, v5, s[8:9] scale_offset
	s_wait_xcnt 0x0
	s_or_b32 exec_lo, exec_lo, s3
	s_and_saveexec_b32 s0, s1
	s_cbranch_execz .LBB123_63
.LBB123_84:
	s_delay_alu instid0(VALU_DEP_1) | instskip(SKIP_4) | instid1(SALU_CYCLE_1)
	v_add_nc_u32_e32 v2, v0, v6
	s_wait_kmcnt 0x0
	global_store_b32 v2, v3, s[8:9] scale_offset
	s_wait_xcnt 0x0
	s_or_b32 exec_lo, exec_lo, s0
	s_and_b32 exec_lo, exec_lo, s2
	s_cbranch_execz .LBB123_3
.LBB123_85:
	v_add_nc_u32_e32 v0, v0, v25
	s_wait_kmcnt 0x0
	global_store_b32 v0, v1, s[8:9] scale_offset
	s_sendmsg sendmsg(MSG_DEALLOC_VGPRS)
	s_endpgm
	.section	.rodata,"a",@progbits
	.p2align	6, 0x0
	.amdhsa_kernel _ZL12mul_mat_q5_1IfLb0EEvPKvS1_PT_iiiii
		.amdhsa_group_segment_fixed_size 46720
		.amdhsa_private_segment_fixed_size 0
		.amdhsa_kernarg_size 44
		.amdhsa_user_sgpr_count 2
		.amdhsa_user_sgpr_dispatch_ptr 0
		.amdhsa_user_sgpr_queue_ptr 0
		.amdhsa_user_sgpr_kernarg_segment_ptr 1
		.amdhsa_user_sgpr_dispatch_id 0
		.amdhsa_user_sgpr_kernarg_preload_length 0
		.amdhsa_user_sgpr_kernarg_preload_offset 0
		.amdhsa_user_sgpr_private_segment_size 0
		.amdhsa_wavefront_size32 1
		.amdhsa_uses_dynamic_stack 0
		.amdhsa_enable_private_segment 0
		.amdhsa_system_sgpr_workgroup_id_x 1
		.amdhsa_system_sgpr_workgroup_id_y 1
		.amdhsa_system_sgpr_workgroup_id_z 0
		.amdhsa_system_sgpr_workgroup_info 0
		.amdhsa_system_vgpr_workitem_id 1
		.amdhsa_next_free_vgpr 339
		.amdhsa_next_free_sgpr 20
		.amdhsa_named_barrier_count 0
		.amdhsa_reserve_vcc 1
		.amdhsa_float_round_mode_32 0
		.amdhsa_float_round_mode_16_64 0
		.amdhsa_float_denorm_mode_32 3
		.amdhsa_float_denorm_mode_16_64 3
		.amdhsa_fp16_overflow 0
		.amdhsa_memory_ordered 1
		.amdhsa_forward_progress 1
		.amdhsa_inst_pref_size 216
		.amdhsa_round_robin_scheduling 0
		.amdhsa_exception_fp_ieee_invalid_op 0
		.amdhsa_exception_fp_denorm_src 0
		.amdhsa_exception_fp_ieee_div_zero 0
		.amdhsa_exception_fp_ieee_overflow 0
		.amdhsa_exception_fp_ieee_underflow 0
		.amdhsa_exception_fp_ieee_inexact 0
		.amdhsa_exception_int_div_zero 0
	.end_amdhsa_kernel
	.section	.text._ZL12mul_mat_q5_1IfLb0EEvPKvS1_PT_iiiii,"axG",@progbits,_ZL12mul_mat_q5_1IfLb0EEvPKvS1_PT_iiiii,comdat
.Lfunc_end123:
	.size	_ZL12mul_mat_q5_1IfLb0EEvPKvS1_PT_iiiii, .Lfunc_end123-_ZL12mul_mat_q5_1IfLb0EEvPKvS1_PT_iiiii
                                        ; -- End function
	.set _ZL12mul_mat_q5_1IfLb0EEvPKvS1_PT_iiiii.num_vgpr, 339
	.set _ZL12mul_mat_q5_1IfLb0EEvPKvS1_PT_iiiii.num_agpr, 0
	.set _ZL12mul_mat_q5_1IfLb0EEvPKvS1_PT_iiiii.numbered_sgpr, 20
	.set _ZL12mul_mat_q5_1IfLb0EEvPKvS1_PT_iiiii.num_named_barrier, 0
	.set _ZL12mul_mat_q5_1IfLb0EEvPKvS1_PT_iiiii.private_seg_size, 0
	.set _ZL12mul_mat_q5_1IfLb0EEvPKvS1_PT_iiiii.uses_vcc, 1
	.set _ZL12mul_mat_q5_1IfLb0EEvPKvS1_PT_iiiii.uses_flat_scratch, 0
	.set _ZL12mul_mat_q5_1IfLb0EEvPKvS1_PT_iiiii.has_dyn_sized_stack, 0
	.set _ZL12mul_mat_q5_1IfLb0EEvPKvS1_PT_iiiii.has_recursion, 0
	.set _ZL12mul_mat_q5_1IfLb0EEvPKvS1_PT_iiiii.has_indirect_call, 0
	.section	.AMDGPU.csdata,"",@progbits
; Kernel info:
; codeLenInByte = 27568
; TotalNumSgprs: 22
; NumVgprs: 339
; ScratchSize: 0
; MemoryBound: 0
; FloatMode: 240
; IeeeMode: 1
; LDSByteSize: 46720 bytes/workgroup (compile time only)
; SGPRBlocks: 0
; VGPRBlocks: 21
; NumSGPRsForWavesPerEU: 22
; NumVGPRsForWavesPerEU: 339
; NamedBarCnt: 0
; Occupancy: 2
; WaveLimiterHint : 0
; COMPUTE_PGM_RSRC2:SCRATCH_EN: 0
; COMPUTE_PGM_RSRC2:USER_SGPR: 2
; COMPUTE_PGM_RSRC2:TRAP_HANDLER: 0
; COMPUTE_PGM_RSRC2:TGID_X_EN: 1
; COMPUTE_PGM_RSRC2:TGID_Y_EN: 1
; COMPUTE_PGM_RSRC2:TGID_Z_EN: 0
; COMPUTE_PGM_RSRC2:TIDIG_COMP_CNT: 1
	.section	.text._ZL12mul_mat_q5_1IfLb1EEvPKvS1_PT_iiiii,"axG",@progbits,_ZL12mul_mat_q5_1IfLb1EEvPKvS1_PT_iiiii,comdat
	.globl	_ZL12mul_mat_q5_1IfLb1EEvPKvS1_PT_iiiii ; -- Begin function _ZL12mul_mat_q5_1IfLb1EEvPKvS1_PT_iiiii
	.p2align	8
	.type	_ZL12mul_mat_q5_1IfLb1EEvPKvS1_PT_iiiii,@function
_ZL12mul_mat_q5_1IfLb1EEvPKvS1_PT_iiiii: ; @_ZL12mul_mat_q5_1IfLb1EEvPKvS1_PT_iiiii
; %bb.0:
	s_clause 0x1
	s_load_b128 s[4:7], s[0:1], 0x18
	s_load_b32 s12, s[0:1], 0x28
	s_bfe_u32 s2, ttmp6, 0x4000c
	s_bfe_u32 s8, ttmp6, 0x40010
	s_add_co_i32 s2, s2, 1
	s_and_b32 s3, ttmp6, 15
	s_mul_i32 s2, ttmp9, s2
	s_add_co_i32 s8, s8, 1
	s_add_co_i32 s3, s3, s2
	s_mul_i32 s2, ttmp7, s8
	s_bfe_u32 s8, ttmp6, 0x40004
	s_getreg_b32 s9, hwreg(HW_REG_IB_STS2, 6, 4)
	s_add_co_i32 s8, s8, s2
	s_cmp_eq_u32 s9, 0
	v_bfe_u32 v11, v0, 10, 10
	s_cselect_b32 s8, ttmp7, s8
	v_and_b32_e32 v35, 0x3ff, v0
	s_cselect_b32 s2, ttmp9, s3
	s_lshl_b32 s13, s8, 6
	s_mov_b32 s3, 0
	s_wait_kmcnt 0x0
	s_cmp_gt_i32 s4, 31
	s_cbranch_scc1 .LBB124_4
; %bb.1:
	v_bfe_u32 v10, v0, 10, 10
	v_and_b32_e32 v12, 0x3ff, v0
	s_delay_alu instid0(VALU_DEP_2)
	v_add_nc_u32_e32 v41, s13, v10
	s_load_b64 s[8:9], s[0:1], 0x10
	s_and_not1_b32 vcc_lo, exec_lo, s3
	s_lshl_b32 s14, s2, 7
	s_cbranch_vccz .LBB124_5
; %bb.2:
	v_dual_mov_b32 v9, 0 :: v_dual_mov_b32 v21, 0
	v_mov_b64_e32 v[0:1], 0
	v_mov_b64_e32 v[30:31], 0
	;; [unrolled: 1-line block ×7, first 2 shown]
	v_dual_mov_b32 v20, 0 :: v_dual_mov_b32 v15, 0
	v_dual_mov_b32 v14, 0 :: v_dual_mov_b32 v23, 0
	;; [unrolled: 1-line block ×8, first 2 shown]
	s_wait_xcnt 0x0
	s_mov_b32 s0, exec_lo
	v_cmpx_gt_u32_e64 s6, v41
	s_cbranch_execnz .LBB124_15
.LBB124_3:
	s_sendmsg sendmsg(MSG_DEALLOC_VGPRS)
	s_endpgm
.LBB124_4:
                                        ; implicit-def: $vgpr10
                                        ; implicit-def: $vgpr12
                                        ; implicit-def: $vgpr41
	s_load_b64 s[8:9], s[0:1], 0x10
	s_lshl_b32 s14, s2, 7
.LBB124_5:
	v_dual_mov_b32 v13, 0 :: v_dual_bitop2_b32 v1, 3, v0 bitop3:0x40
	s_not_b32 s16, s14
	v_add_nc_u32_e32 v28, 16, v11
	s_add_co_i32 s5, s5, s16
	s_delay_alu instid0(VALU_DEP_2) | instskip(SKIP_3) | instid1(VALU_DEP_1)
	v_dual_lshlrev_b32 v12, 2, v1 :: v_dual_add_nc_u32 v41, s13, v11
	s_ashr_i32 s10, s4, 31
	s_ashr_i32 s11, s7, 31
	s_lshr_b32 s10, s10, 27
	v_dual_add_nc_u32 v6, 8, v41 :: v_dual_min_i32 v29, s5, v28
	v_dual_add_nc_u32 v8, 16, v41 :: v_dual_add_nc_u32 v14, 24, v41
	v_dual_add_nc_u32 v16, 32, v41 :: v_dual_add_nc_u32 v18, 40, v41
	;; [unrolled: 1-line block ×3, first 2 shown]
	v_add_nc_u32_e32 v30, 24, v11
	s_add_co_i32 s4, s4, s10
	s_lshr_b32 s11, s11, 27
	s_ashr_i32 s15, s4, 5
	s_add_co_i32 s4, s7, s11
	s_add_co_i32 s7, s6, -1
	v_cvt_f64_u32_e32 v[4:5], v41
	v_cvt_f64_i32_e32 v[2:3], s7
	v_cvt_f64_u32_e32 v[6:7], v6
	v_cvt_f64_u32_e32 v[8:9], v8
	;; [unrolled: 1-line block ×7, first 2 shown]
	v_bfe_u32 v47, v0, 3, 7
	v_dual_add_nc_u32 v32, 32, v11 :: v_dual_add_nc_u32 v33, 40, v11
	v_add_nc_u32_e32 v40, 56, v11
	v_bfe_u32 v10, v0, 2, 8
	s_delay_alu instid0(VALU_DEP_4) | instskip(NEXT) | instid1(VALU_DEP_4)
	v_lshl_add_u32 v31, v11, 2, v47
	v_min_i32_e32 v48, s5, v32
	v_dual_add_nc_u32 v38, 48, v11 :: v_dual_min_i32 v37, s5, v30
	s_delay_alu instid0(VALU_DEP_4) | instskip(NEXT) | instid1(VALU_DEP_4)
	v_lshl_add_u32 v54, v11, 3, v10
	v_min_i32_e32 v36, s5, v31
	v_min_i32_e32 v50, s5, v33
	v_add_min_i32_e64 v76, v31, 64, s5
	v_add_min_i32_e64 v74, v31, 32, s5
	;; [unrolled: 1-line block ×3, first 2 shown]
	v_ashrrev_i32_e32 v34, 31, v36
	s_ashr_i32 s4, s4, 5
	s_delay_alu instid0(VALU_DEP_3) | instskip(NEXT) | instid1(VALU_DEP_2)
	v_dual_ashrrev_i32 v44, 31, v76 :: v_dual_ashrrev_i32 v42, 31, v74
	v_dual_ashrrev_i32 v46, 31, v31 :: v_dual_lshrrev_b32 v39, 30, v34
	v_min_i32_e32 v52, s5, v38
	s_delay_alu instid0(VALU_DEP_3)
	v_dual_lshrrev_b32 v42, 30, v42 :: v_dual_bitop2_b32 v34, 7, v0 bitop3:0x40
	v_min_num_f64_e32 v[4:5], v[4:5], v[2:3]
	v_min_num_f64_e32 v[6:7], v[6:7], v[2:3]
	;; [unrolled: 1-line block ×3, first 2 shown]
	v_dual_min_num_f64 v[14:15], v[14:15], v[2:3] :: v_dual_min_i32 v56, s5, v40
	v_min_num_f64_e32 v[16:17], v[16:17], v[2:3]
	v_min_num_f64_e32 v[18:19], v[18:19], v[2:3]
	;; [unrolled: 1-line block ×4, first 2 shown]
	v_dual_add_nc_u32 v39, v36, v39 :: v_dual_lshrrev_b32 v22, 30, v44
	v_lshrrev_b32_e32 v23, 30, v46
	v_lshlrev_b32_e32 v46, 2, v34
	s_wait_xcnt 0x0
	s_load_b128 s[0:3], s[0:1], 0x0
	v_and_b32_e32 v39, -4, v39
	v_dual_add_nc_u32 v23, v31, v23 :: v_dual_bitop2_b32 v44, 63, v54 bitop3:0x40
	v_add_nc_u32_e32 v42, v74, v42
	v_dual_add_nc_u32 v22, v76, v22 :: v_dual_add_nc_u32 v25, 8, v11
	v_min_i32_e32 v26, s5, v11
	s_delay_alu instid0(VALU_DEP_4)
	v_or_b32_e32 v54, s13, v44
	v_and_b32_e32 v23, -4, v23
	v_dual_lshlrev_b32 v24, 3, v35 :: v_dual_bitop2_b32 v42, -4, v42 bitop3:0x40
	v_min_i32_e32 v27, s5, v25
	v_add_min_i32_e64 v58, v11, 64, s5
	v_add_min_i32_e64 v68, 0x70, v11, s5
	v_add_min_i32_e64 v70, 0x78, v11, s5
	v_mad_u32 v43, 0x104, v26, v24
	v_mad_u32 v45, 0x104, v27, v24
	;; [unrolled: 1-line block ×3, first 2 shown]
	v_cvt_i32_f64_e32 v4, v[4:5]
	v_cvt_i32_f64_e32 v5, v[6:7]
	;; [unrolled: 1-line block ×4, first 2 shown]
	v_add_nc_u32_e32 v15, 0x60, v35
	v_mad_u32 v51, 0x104, v37, v24
	v_mad_u32 v53, 0x104, v48, v24
	;; [unrolled: 1-line block ×3, first 2 shown]
	v_cvt_i32_f64_e32 v2, v[2:3]
	v_dual_lshlrev_b32 v3, 5, v35 :: v_dual_min_i32 v54, s7, v54
	v_and_b32_e32 v15, 0x1fc, v15
	v_mad_u32 v67, 0x104, v52, v24
	v_mad_u32 v69, 0x104, v56, v24
	v_mad_u32 v71, 0x104, v58, v24
	v_mad_u32 v57, v54, s4, v1
	v_lshlrev_b32_e32 v1, 5, v36
	v_cvt_i32_f64_e32 v8, v[16:17]
	v_dual_add_nc_u32 v16, 64, v35 :: v_dual_add_nc_u32 v17, 32, v35
	v_add3_u32 v39, v39, v46, 0xa200
	v_dual_add_nc_u32 v15, v3, v15 :: v_dual_bitop2_b32 v22, -4, v22 bitop3:0x40
	s_delay_alu instid0(VALU_DEP_3) | instskip(SKIP_1) | instid1(VALU_DEP_4)
	v_and_b32_e32 v16, 0x1fc, v16
	v_add3_u32 v42, v42, v46, 0xa200
	v_dual_add_nc_u32 v59, v39, v1 :: v_dual_bitop2_b32 v39, 31, v0 bitop3:0x40
	v_cvt_i32_f64_e32 v9, v[18:19]
	s_delay_alu instid0(VALU_DEP_4)
	v_add_nc_u32_e32 v16, v3, v16
	v_cvt_i32_f64_e32 v14, v[20:21]
	v_lshlrev_b32_e32 v20, 5, v74
	v_and_b32_e32 v18, 0x1fc, v17
	v_and_b32_e32 v19, 0xfc, v0
	v_add3_u32 v22, v22, v46, 0xa200
	v_add3_u32 v23, v23, v46, 0xa200
	s_delay_alu instid0(VALU_DEP_4) | instskip(NEXT) | instid1(VALU_DEP_4)
	v_dual_lshlrev_b32 v1, 5, v31 :: v_dual_add_nc_u32 v18, v3, v18
	v_dual_add_nc_u32 v3, v3, v19 :: v_dual_lshlrev_b32 v19, 5, v76
	s_delay_alu instid0(VALU_DEP_2)
	v_dual_add_nc_u32 v61, v42, v20 :: v_dual_add_nc_u32 v65, v23, v1
	v_add_min_i32_e64 v20, 0x48, v11, s5
	v_add_min_i32_e64 v21, 0x58, v11, s5
	;; [unrolled: 1-line block ×3, first 2 shown]
	v_lshlrev_b32_e32 v1, 2, v35
	v_mul_lo_u32 v188, s4, v4
	v_dual_lshlrev_b32 v4, 7, v25 :: v_dual_add_nc_u32 v63, v22, v19
	v_add_min_i32_e64 v19, 0x50, v11, s5
	v_add_min_i32_e64 v22, 0x60, v11, s5
	v_mad_u32 v73, 0x104, v20, v24
	v_mad_u32 v77, 0x104, v21, v24
	;; [unrolled: 1-line block ×7, first 2 shown]
	v_dual_mov_b32 v1, v13 :: v_dual_bitop2_b32 v0, 28, v1 bitop3:0x40
	v_lshl_or_b32 v24, v39, 2, 0x8200
	v_mul_lo_u32 v190, s4, v6
	v_lshlrev_b32_e32 v6, 7, v30
	v_lshl_or_b32 v42, v44, 4, v12
	v_mul_lo_u32 v189, s4, v5
	v_lshlrev_b32_e32 v5, 7, v28
	v_mul_lo_u32 v191, s4, v7
	v_mul_lo_u32 v192, s4, v8
	v_lshlrev_b32_e32 v7, 7, v32
	v_mul_lo_u32 v193, s4, v9
	v_dual_lshlrev_b32 v8, 7, v33 :: v_dual_lshlrev_b32 v9, 7, v38
	v_mul_lo_u32 v195, s4, v2
	v_dual_lshlrev_b32 v2, 7, v40 :: v_dual_lshrrev_b32 v196, 3, v17
	s_wait_kmcnt 0x0
	v_add_nc_u64_e32 v[38:39], s[2:3], v[0:1]
	v_dual_add_nc_u32 v199, v24, v6 :: v_dual_lshlrev_b32 v0, 7, v11
	v_add_nc_u32_e32 v187, 0xb280, v42
	v_mul_lo_u32 v194, s4, v14
	v_mul_lo_u32 v40, v26, s15
	;; [unrolled: 1-line block ×21, first 2 shown]
	s_mul_i32 s10, s15, s14
	v_dual_add_nc_u32 v197, v24, v4 :: v_dual_add_nc_u32 v198, v24, v5
	v_dual_add_nc_u32 v200, v24, v7 :: v_dual_add_nc_u32 v201, v24, v8
	;; [unrolled: 1-line block ×3, first 2 shown]
	v_add_nc_u32_e32 v204, v24, v0
	v_add_nc_u32_e32 v205, 0x8200, v0
	;; [unrolled: 1-line block ×10, first 2 shown]
	s_movk_i32 s4, 0x80
	v_mov_b64_e32 v[36:37], 0
	v_mov_b64_e32 v[6:7], 0
	;; [unrolled: 1-line block ×16, first 2 shown]
	s_ashr_i32 s11, s10, 31
	v_mul_u32_u24_e32 v214, 0x104, v35
	v_lshl_add_u32 v215, v11, 4, 0xb280
	v_mad_u32_u24 v216, 0x104, v35, s4
	s_mul_u64 s[10:11], s[10:11], 24
	s_mov_b32 s5, 0
	s_add_nc_u64 s[0:1], s[0:1], s[10:11]
	s_add_co_i32 s7, s15, 3
	s_mov_b32 s4, s5
	s_branch .LBB124_7
.LBB124_6:                              ;   in Loop: Header=BB124_7 Depth=1
	s_add_co_i32 s4, s4, 8
	s_add_co_i32 s7, s7, -8
	s_cmp_ge_i32 s4, s15
	s_cbranch_scc1 .LBB124_14
.LBB124_7:                              ; =>This Loop Header: Depth=1
                                        ;     Child Loop BB124_9 Depth 2
                                        ;     Child Loop BB124_12 Depth 2
	s_mul_u64 s[10:11], s[4:5], 24
	s_cmp_gt_u32 s7, 3
	s_add_nc_u64 s[10:11], s[0:1], s[10:11]
	s_delay_alu instid0(SALU_CYCLE_1) | instskip(NEXT) | instid1(VALU_DEP_1)
	v_mad_nc_u64_u32 v[80:81], v10, 24, s[10:11]
	v_mad_nc_i64_i32 v[82:83], v40, 24, v[80:81]
	v_mad_nc_i64_i32 v[84:85], v42, 24, v[80:81]
	;; [unrolled: 1-line block ×8, first 2 shown]
	v_add_nc_u64_e32 v[92:93], v[82:83], v[12:13]
	v_add_nc_u64_e32 v[94:95], v[84:85], v[12:13]
	;; [unrolled: 1-line block ×4, first 2 shown]
	s_clause 0x7
	global_load_b32 v106, v[92:93], off offset:8
	global_load_b32 v107, v[94:95], off offset:8
	;; [unrolled: 1-line block ×8, first 2 shown]
	s_wait_xcnt 0x0
	v_mad_nc_i64_i32 v[82:83], v56, 24, v[80:81]
	v_mad_nc_i64_i32 v[84:85], v58, 24, v[80:81]
	;; [unrolled: 1-line block ×4, first 2 shown]
	v_add_nc_u64_e32 v[92:93], v[90:91], v[12:13]
	v_add_nc_u64_e32 v[94:95], v[100:101], v[12:13]
	v_add_nc_u64_e32 v[96:97], v[102:103], v[12:13]
	v_add_nc_u64_e32 v[98:99], v[104:105], v[12:13]
	s_clause 0x7
	global_load_b32 v114, v[104:105], off offset:4
	global_load_b32 v115, v[102:103], off offset:4
	;; [unrolled: 1-line block ×8, first 2 shown]
	s_wait_xcnt 0x4
	v_add_nc_u64_e32 v[90:91], v[82:83], v[12:13]
	s_wait_xcnt 0x3
	v_add_nc_u64_e32 v[92:93], v[84:85], v[12:13]
	;; [unrolled: 2-line block ×3, first 2 shown]
	s_clause 0x6
	global_load_b32 v104, v[88:89], off offset:4
	global_load_b32 v105, v[86:87], off offset:4
	global_load_b32 v122, v[84:85], off offset:4
	global_load_b32 v123, v[82:83], off offset:4
	global_load_b32 v124, v[90:91], off offset:8
	global_load_b32 v125, v[92:93], off offset:8
	global_load_b32 v126, v[94:95], off offset:8
	s_wait_xcnt 0x3
	v_mad_nc_u64_u32 v[82:83], v34, 24, s[10:11]
	v_add_nc_u64_e32 v[88:89], v[88:89], v[12:13]
	v_mad_nc_i64_i32 v[84:85], v64, 24, v[80:81]
	v_mad_nc_i64_i32 v[86:87], v66, 24, v[80:81]
	s_wait_xcnt 0x2
	v_mad_nc_i64_i32 v[90:91], v68, 24, v[80:81]
	v_mad_nc_i64_i32 v[80:81], v70, 24, v[80:81]
	global_load_b32 v127, v[88:89], off offset:8
	s_wait_xcnt 0x2
	v_mad_nc_i64_i32 v[92:93], v72, 24, v[82:83]
	s_wait_xcnt 0x1
	v_mad_nc_i64_i32 v[94:95], v74, 24, v[82:83]
	v_mad_nc_i64_i32 v[96:97], v76, 24, v[82:83]
	;; [unrolled: 1-line block ×3, first 2 shown]
	s_wait_xcnt 0x0
	v_add_nc_u64_e32 v[88:89], v[84:85], v[12:13]
	v_add_nc_u64_e32 v[98:99], v[86:87], v[12:13]
	;; [unrolled: 1-line block ×4, first 2 shown]
	s_clause 0xb
	global_load_b32 v128, v[92:93], off
	global_load_b32 v129, v[94:95], off
	;; [unrolled: 1-line block ×4, first 2 shown]
	global_load_b32 v132, v[88:89], off offset:8
	global_load_b32 v133, v[98:99], off offset:8
	;; [unrolled: 1-line block ×8, first 2 shown]
	s_wait_loadcnt 0x23
	s_wait_xcnt 0x8
	v_and_b32_e32 v82, 0xf0f0f0f, v106
	s_wait_loadcnt 0x22
	s_wait_xcnt 0x0
	v_and_b32_e32 v85, 0xf0f0f0f, v107
	s_wait_loadcnt 0x21
	v_and_b32_e32 v88, 0xf0f0f0f, v108
	s_wait_loadcnt 0x20
	;; [unrolled: 2-line block ×3, first 2 shown]
	v_dual_ashrrev_i32 v89, v12, v110 :: v_dual_lshrrev_b32 v90, 4, v109
	s_wait_loadcnt 0x1d
	v_dual_ashrrev_i32 v83, v12, v112 :: v_dual_lshrrev_b32 v84, 4, v107
	s_wait_loadcnt 0x1c
	v_dual_ashrrev_i32 v80, v12, v113 :: v_dual_lshrrev_b32 v81, 4, v106
	v_dual_ashrrev_i32 v86, v12, v111 :: v_dual_lshrrev_b32 v87, 4, v108
	s_wait_loadcnt 0x17
	v_dual_ashrrev_i32 v92, v12, v117 :: v_dual_lshrrev_b32 v93, 4, v118
	s_wait_loadcnt 0x16
	;; [unrolled: 2-line block ×7, first 2 shown]
	v_dual_ashrrev_i32 v105, v12, v105 :: v_dual_lshrrev_b32 v112, 4, v126
	v_dual_lshlrev_b32 v114, 4, v80 :: v_dual_lshlrev_b32 v115, 11, v80
	v_dual_lshrrev_b32 v116, 12, v80 :: v_dual_lshrrev_b32 v117, 5, v80
	v_and_b32_e32 v103, 0xf0f0f0f, v121
	v_dual_ashrrev_i32 v104, v12, v104 :: v_dual_lshlrev_b32 v121, 4, v83
	v_dual_lshlrev_b32 v122, 11, v83 :: v_dual_lshrrev_b32 v123, 12, v83
	v_and_b32_e32 v108, 0xf0f0f0f, v124
	v_and_b32_e32 v111, 0xf0f0f0f, v125
	;; [unrolled: 1-line block ×3, first 2 shown]
	v_dual_lshrrev_b32 v124, 5, v83 :: v_dual_lshlrev_b32 v125, 2, v83
	v_dual_lshlrev_b32 v126, 18, v83 :: v_dual_lshlrev_b32 v140, 9, v83
	v_dual_lshlrev_b32 v83, 25, v83 :: v_dual_lshlrev_b32 v141, 4, v86
	v_dual_lshlrev_b32 v142, 11, v86 :: v_dual_lshrrev_b32 v143, 12, v86
	v_dual_lshrrev_b32 v144, 5, v86 :: v_dual_lshlrev_b32 v145, 2, v86
	v_dual_lshlrev_b32 v146, 18, v86 :: v_dual_lshlrev_b32 v147, 9, v86
	v_dual_lshlrev_b32 v86, 25, v86 :: v_dual_lshlrev_b32 v148, 4, v89
	v_dual_lshlrev_b32 v149, 11, v89 :: v_dual_lshrrev_b32 v150, 12, v89
	;; [unrolled: 4-line block ×3, first 2 shown]
	v_and_b32_e32 v81, 0xf0f0f0f, v81
	v_dual_lshrrev_b32 v158, 5, v92 :: v_dual_lshlrev_b32 v159, 2, v92
	v_dual_lshlrev_b32 v160, 18, v92 :: v_dual_lshlrev_b32 v161, 9, v92
	v_dual_lshlrev_b32 v92, 25, v92 :: v_dual_lshlrev_b32 v162, 4, v95
	v_dual_lshlrev_b32 v163, 11, v95 :: v_dual_lshrrev_b32 v164, 12, v95
	v_dual_lshrrev_b32 v165, 5, v95 :: v_dual_lshlrev_b32 v166, 2, v95
	v_dual_lshlrev_b32 v167, 18, v95 :: v_dual_lshlrev_b32 v168, 9, v95
	v_dual_lshlrev_b32 v95, 25, v95 :: v_dual_lshlrev_b32 v169, 4, v98
	v_dual_lshlrev_b32 v170, 11, v98 :: v_dual_lshrrev_b32 v171, 12, v98
	;; [unrolled: 4-line block ×5, first 2 shown]
	v_dual_lshrrev_b32 v226, 5, v109 :: v_dual_lshlrev_b32 v227, 2, v109
	v_dual_lshlrev_b32 v228, 18, v109 :: v_dual_lshlrev_b32 v229, 9, v109
	v_dual_lshlrev_b32 v109, 25, v109 :: v_dual_bitop2_b32 v116, 16, v116 bitop3:0x40
	v_dual_lshlrev_b32 v236, 9, v105 :: v_dual_bitop2_b32 v114, 16, v114 bitop3:0x40
	v_and_b32_e32 v84, 0xf0f0f0f, v84
	v_and_b32_e32 v123, 16, v123
	;; [unrolled: 1-line block ×15, first 2 shown]
	v_dual_lshlrev_b32 v118, 2, v80 :: v_dual_lshlrev_b32 v119, 18, v80
	v_and_b32_e32 v96, 0xf0f0f0f, v96
	v_and_b32_e32 v99, 0xf0f0f0f, v99
	;; [unrolled: 1-line block ×14, first 2 shown]
	v_or_b32_e32 v81, v116, v81
	v_or_b32_e32 v82, v114, v82
	v_and_b32_e32 v124, 0x1000, v124
	v_and_b32_e32 v122, 0x1000, v122
	v_or_b32_e32 v84, v123, v84
	v_or_b32_e32 v85, v121, v85
	v_and_b32_e32 v144, 0x1000, v144
	v_and_b32_e32 v142, 0x1000, v142
	;; [unrolled: 4-line block ×4, first 2 shown]
	v_or_b32_e32 v93, v157, v93
	v_dual_lshlrev_b32 v120, 9, v80 :: v_dual_bitop2_b32 v94, v155, v94 bitop3:0x54
	v_lshlrev_b32_e32 v80, 25, v80
	v_and_b32_e32 v118, 0x100000, v118
	v_and_b32_e32 v119, 0x100000, v119
	v_and_b32_e32 v165, 0x1000, v165
	v_and_b32_e32 v163, 0x1000, v163
	v_and_b32_e32 v172, 0x1000, v172
	v_and_b32_e32 v170, 0x1000, v170
	v_and_b32_e32 v179, 0x1000, v179
	v_and_b32_e32 v177, 0x1000, v177
	v_and_b32_e32 v219, 0x1000, v219
	v_and_b32_e32 v217, 0x1000, v217
	v_or_b32_e32 v96, v164, v96
	v_or_b32_e32 v97, v162, v97
	;; [unrolled: 1-line block ×9, first 2 shown]
	v_dual_lshlrev_b32 v230, 4, v105 :: v_dual_bitop2_b32 v82, v82, v115 bitop3:0x54
	v_dual_lshlrev_b32 v231, 11, v105 :: v_dual_lshrrev_b32 v232, 12, v105
	v_lshrrev_b32_e32 v233, 5, v105
	v_and_b32_e32 v125, 0x100000, v125
	v_and_b32_e32 v126, 0x100000, v126
	v_or_b32_e32 v84, v84, v124
	v_or_b32_e32 v85, v85, v122
	v_and_b32_e32 v145, 0x100000, v145
	v_and_b32_e32 v146, 0x100000, v146
	v_or_b32_e32 v87, v87, v144
	v_or_b32_e32 v88, v88, v142
	;; [unrolled: 4-line block ×4, first 2 shown]
	v_and_b32_e32 v110, 0xf0f0f0f, v110
	v_and_b32_e32 v120, 0x10000000, v120
	;; [unrolled: 1-line block ×13, first 2 shown]
	v_or_b32_e32 v96, v96, v165
	v_or_b32_e32 v97, v97, v163
	v_or_b32_e32 v99, v99, v172
	v_or_b32_e32 v100, v100, v170
	v_or_b32_e32 v102, v102, v179
	v_or_b32_e32 v103, v103, v177
	v_or_b32_e32 v107, v107, v219
	v_or_b32_e32 v108, v108, v217
	v_or_b32_e32 v81, v81, v118
	v_or_b32_e32 v82, v82, v119
	v_and_b32_e32 v112, 0xf0f0f0f, v112
	v_and_b32_e32 v140, 0x10000000, v140
	;; [unrolled: 1-line block ×5, first 2 shown]
	v_or_b32_e32 v84, v84, v125
	v_or_b32_e32 v85, v85, v126
	v_and_b32_e32 v147, 0x10000000, v147
	v_and_b32_e32 v86, 0x10000000, v86
	v_or_b32_e32 v87, v87, v145
	v_or_b32_e32 v88, v88, v146
	v_and_b32_e32 v154, 0x10000000, v154
	v_and_b32_e32 v89, 0x10000000, v89
	v_or_b32_e32 v90, v90, v152
	v_or_b32_e32 v91, v91, v153
	v_and_b32_e32 v161, 0x10000000, v161
	v_and_b32_e32 v92, 0x10000000, v92
	v_or_b32_e32 v93, v93, v159
	v_or_b32_e32 v94, v94, v160
	v_and_b32_e32 v168, 0x10000000, v168
	v_and_b32_e32 v95, 0x10000000, v95
	v_and_b32_e32 v175, 0x10000000, v175
	v_and_b32_e32 v98, 0x10000000, v98
	;; [unrolled: 1-line block ×8, first 2 shown]
	v_or_b32_e32 v110, v225, v110
	v_or_b32_e32 v111, v223, v111
	;; [unrolled: 1-line block ×11, first 2 shown]
	v_dual_lshlrev_b32 v234, 2, v105 :: v_dual_bitop2_b32 v80, v82, v80 bitop3:0x54
	v_lshlrev_b32_e32 v235, 18, v105
	v_and_b32_e32 v233, 0x1000, v233
	v_and_b32_e32 v231, 0x1000, v231
	v_or_b32_e32 v112, v232, v112
	v_or_b32_e32 v113, v230, v113
	;; [unrolled: 1-line block ×10, first 2 shown]
	v_and_b32_e32 v227, 0x100000, v227
	v_and_b32_e32 v228, 0x100000, v228
	v_or_b32_e32 v110, v110, v226
	v_or_b32_e32 v111, v111, v224
	v_or_b32_e32 v90, v96, v168
	v_or_b32_e32 v91, v97, v95
	v_or_b32_e32 v92, v99, v175
	v_or_b32_e32 v93, v100, v98
	v_or_b32_e32 v94, v102, v182
	v_or_b32_e32 v95, v103, v101
	v_or_b32_e32 v96, v107, v222
	v_or_b32_e32 v97, v108, v106
	ds_store_2addr_b32 v43, v80, v81 offset1:1
	ds_store_2addr_b32 v45, v83, v82 offset1:1
	;; [unrolled: 1-line block ×9, first 2 shown]
	s_wait_loadcnt 0xc
	v_dual_lshrrev_b32 v81, 4, v127 :: v_dual_lshrrev_b32 v83, 12, v104
	v_lshlrev_b32_e32 v84, 4, v104
	v_and_b32_e32 v234, 0x100000, v234
	v_and_b32_e32 v235, 0x100000, v235
	v_or_b32_e32 v112, v112, v233
	v_dual_lshlrev_b32 v80, 25, v105 :: v_dual_bitop2_b32 v113, v113, v231 bitop3:0x54
	v_and_b32_e32 v229, 0x10000000, v229
	v_and_b32_e32 v109, 0x10000000, v109
	v_or_b32_e32 v110, v110, v227
	v_or_b32_e32 v111, v111, v228
	v_and_b32_e32 v81, 0xf0f0f0f, v81
	v_and_b32_e32 v85, 0xf0f0f0f, v127
	;; [unrolled: 1-line block ×4, first 2 shown]
	v_dual_lshlrev_b32 v87, 11, v104 :: v_dual_bitop2_b32 v112, v112, v234 bitop3:0x54
	v_or_b32_e32 v113, v113, v235
	v_and_b32_e32 v82, 0x10000000, v236
	v_and_b32_e32 v80, 0x10000000, v80
	v_or_b32_e32 v98, v110, v229
	v_dual_lshrrev_b32 v86, 5, v104 :: v_dual_bitop2_b32 v99, v111, v109 bitop3:0x54
	v_or_b32_e32 v81, v83, v81
	v_or_b32_e32 v83, v84, v85
	v_and_b32_e32 v85, 0x1000, v87
	v_dual_lshlrev_b32 v87, 18, v104 :: v_dual_bitop2_b32 v82, v112, v82 bitop3:0x54
	v_or_b32_e32 v80, v113, v80
	v_and_b32_e32 v84, 0x1000, v86
	s_delay_alu instid0(VALU_DEP_4) | instskip(NEXT) | instid1(VALU_DEP_4)
	v_dual_lshlrev_b32 v86, 2, v104 :: v_dual_bitop2_b32 v83, v83, v85 bitop3:0x54
	v_and_b32_e32 v85, 0x100000, v87
	ds_store_2addr_b32 v73, v99, v98 offset1:1
	ds_store_2addr_b32 v75, v80, v82 offset1:1
	s_wait_loadcnt 0x0
	v_dual_ashrrev_i32 v80, v12, v139 :: v_dual_bitop2_b32 v81, v81, v84 bitop3:0x54
	v_and_b32_e32 v84, 0x100000, v86
	v_dual_lshrrev_b32 v83, 4, v132 :: v_dual_bitop2_b32 v82, v83, v85 bitop3:0x54
	s_delay_alu instid0(VALU_DEP_3) | instskip(NEXT) | instid1(VALU_DEP_3)
	v_dual_lshrrev_b32 v85, 12, v80 :: v_dual_lshlrev_b32 v86, 4, v80
	v_or_b32_e32 v81, v81, v84
	v_lshlrev_b32_e32 v84, 9, v104
	s_delay_alu instid0(VALU_DEP_4)
	v_and_b32_e32 v83, 0xf0f0f0f, v83
	v_and_b32_e32 v88, 0xf0f0f0f, v132
	;; [unrolled: 1-line block ×3, first 2 shown]
	v_dual_lshrrev_b32 v89, 5, v80 :: v_dual_bitop2_b32 v86, 16, v86 bitop3:0x40
	v_lshlrev_b32_e32 v90, 11, v80
	v_and_b32_e32 v84, 0x10000000, v84
	s_delay_alu instid0(VALU_DEP_4) | instskip(NEXT) | instid1(VALU_DEP_4)
	v_or_b32_e32 v83, v85, v83
	v_or_b32_e32 v85, v86, v88
	v_and_b32_e32 v86, 0x1000, v89
	v_and_b32_e32 v88, 0x1000, v90
	v_dual_lshlrev_b32 v89, 2, v80 :: v_dual_lshlrev_b32 v90, 18, v80
	s_delay_alu instid0(VALU_DEP_3) | instskip(NEXT) | instid1(VALU_DEP_3)
	v_dual_lshlrev_b32 v87, 25, v104 :: v_dual_bitop2_b32 v83, v83, v86 bitop3:0x54
	v_or_b32_e32 v85, v85, v88
	s_delay_alu instid0(VALU_DEP_3) | instskip(NEXT) | instid1(VALU_DEP_4)
	v_and_b32_e32 v86, 0x100000, v89
	v_and_b32_e32 v88, 0x100000, v90
	v_dual_ashrrev_i32 v84, v12, v138 :: v_dual_bitop2_b32 v81, v81, v84 bitop3:0x54
	v_and_b32_e32 v87, 0x10000000, v87
	s_delay_alu instid0(VALU_DEP_4) | instskip(NEXT) | instid1(VALU_DEP_4)
	v_or_b32_e32 v83, v83, v86
	v_dual_lshrrev_b32 v86, 4, v133 :: v_dual_bitop2_b32 v85, v85, v88 bitop3:0x54
	s_delay_alu instid0(VALU_DEP_4) | instskip(NEXT) | instid1(VALU_DEP_4)
	v_dual_lshrrev_b32 v88, 12, v84 :: v_dual_lshlrev_b32 v89, 4, v84
	v_dual_lshlrev_b32 v87, 9, v80 :: v_dual_bitop2_b32 v82, v82, v87 bitop3:0x54
	v_lshlrev_b32_e32 v80, 25, v80
	s_delay_alu instid0(VALU_DEP_4)
	v_and_b32_e32 v86, 0xf0f0f0f, v86
	v_and_b32_e32 v90, 0xf0f0f0f, v133
	;; [unrolled: 1-line block ×3, first 2 shown]
	v_dual_lshlrev_b32 v92, 11, v84 :: v_dual_bitop2_b32 v89, 16, v89 bitop3:0x40
	v_lshrrev_b32_e32 v91, 5, v84
	v_and_b32_e32 v80, 0x10000000, v80
	s_delay_alu instid0(VALU_DEP_4) | instskip(NEXT) | instid1(VALU_DEP_4)
	v_or_b32_e32 v86, v88, v86
	v_or_b32_e32 v88, v89, v90
	v_and_b32_e32 v90, 0x1000, v92
	v_lshlrev_b32_e32 v92, 18, v84
	v_and_b32_e32 v87, 0x10000000, v87
	v_and_b32_e32 v89, 0x1000, v91
	s_delay_alu instid0(VALU_DEP_4) | instskip(NEXT) | instid1(VALU_DEP_4)
	v_dual_lshlrev_b32 v91, 2, v84 :: v_dual_bitop2_b32 v88, v88, v90 bitop3:0x54
	v_and_b32_e32 v90, 0x100000, v92
	v_dual_ashrrev_i32 v85, v12, v137 :: v_dual_bitop2_b32 v80, v85, v80 bitop3:0x54
	s_delay_alu instid0(VALU_DEP_4) | instskip(NEXT) | instid1(VALU_DEP_4)
	v_or_b32_e32 v86, v86, v89
	v_and_b32_e32 v89, 0x100000, v91
	v_or_b32_e32 v83, v83, v87
	v_or_b32_e32 v87, v88, v90
	v_dual_lshrrev_b32 v88, 4, v134 :: v_dual_lshrrev_b32 v90, 12, v85
	v_lshlrev_b32_e32 v91, 4, v85
	v_and_b32_e32 v92, 0xf0f0f0f, v134
	v_lshrrev_b32_e32 v93, 5, v85
	s_delay_alu instid0(VALU_DEP_4) | instskip(SKIP_3) | instid1(VALU_DEP_3)
	v_and_b32_e32 v88, 0xf0f0f0f, v88
	v_and_b32_e32 v90, 16, v90
	v_dual_lshlrev_b32 v94, 11, v85 :: v_dual_bitop2_b32 v91, 16, v91 bitop3:0x40
	v_dual_lshlrev_b32 v89, 9, v84 :: v_dual_bitop2_b32 v86, v86, v89 bitop3:0x54
	v_or_b32_e32 v88, v90, v88
	s_delay_alu instid0(VALU_DEP_3)
	v_or_b32_e32 v90, v91, v92
	v_and_b32_e32 v91, 0x1000, v93
	v_lshlrev_b32_e32 v92, 2, v85
	v_and_b32_e32 v93, 0x1000, v94
	v_lshlrev_b32_e32 v94, 18, v85
	v_and_b32_e32 v89, 0x10000000, v89
	v_or_b32_e32 v88, v88, v91
	v_and_b32_e32 v91, 0x100000, v92
	v_or_b32_e32 v90, v90, v93
	v_and_b32_e32 v92, 0x100000, v94
	v_dual_ashrrev_i32 v93, v12, v136 :: v_dual_bitop2_b32 v86, v86, v89 bitop3:0x54
	s_delay_alu instid0(VALU_DEP_4) | instskip(NEXT) | instid1(VALU_DEP_3)
	v_or_b32_e32 v88, v88, v91
	v_dual_lshrrev_b32 v89, 4, v135 :: v_dual_bitop2_b32 v90, v90, v92 bitop3:0x54
	s_delay_alu instid0(VALU_DEP_3) | instskip(SKIP_1) | instid1(VALU_DEP_3)
	v_dual_lshrrev_b32 v91, 12, v93 :: v_dual_lshlrev_b32 v92, 4, v93
	v_and_b32_e32 v95, 0xf0f0f0f, v135
	v_and_b32_e32 v89, 0xf0f0f0f, v89
	s_delay_alu instid0(VALU_DEP_3) | instskip(NEXT) | instid1(VALU_DEP_4)
	v_dual_lshrrev_b32 v96, 5, v93 :: v_dual_bitop2_b32 v91, 16, v91 bitop3:0x40
	v_dual_lshlrev_b32 v97, 11, v93 :: v_dual_bitop2_b32 v92, 16, v92 bitop3:0x40
	v_dual_lshlrev_b32 v84, 25, v84 :: v_dual_lshlrev_b32 v94, 9, v85
	s_delay_alu instid0(VALU_DEP_3) | instskip(NEXT) | instid1(VALU_DEP_3)
	v_or_b32_e32 v89, v91, v89
	v_or_b32_e32 v91, v92, v95
	v_and_b32_e32 v92, 0x1000, v96
	v_and_b32_e32 v95, 0x1000, v97
	v_dual_lshlrev_b32 v96, 2, v93 :: v_dual_lshlrev_b32 v97, 18, v93
	s_delay_alu instid0(VALU_DEP_3) | instskip(NEXT) | instid1(VALU_DEP_3)
	v_dual_lshlrev_b32 v85, 25, v85 :: v_dual_bitop2_b32 v89, v89, v92 bitop3:0x54
	v_or_b32_e32 v91, v91, v95
	s_delay_alu instid0(VALU_DEP_3) | instskip(NEXT) | instid1(VALU_DEP_4)
	v_and_b32_e32 v92, 0x100000, v96
	v_and_b32_e32 v95, 0x100000, v97
	v_dual_lshlrev_b32 v96, 9, v93 :: v_dual_lshlrev_b32 v93, 25, v93
	v_and_b32_e32 v84, 0x10000000, v84
	v_and_b32_e32 v94, 0x10000000, v94
	;; [unrolled: 1-line block ×3, first 2 shown]
	v_or_b32_e32 v89, v89, v92
	v_or_b32_e32 v91, v91, v95
	v_and_b32_e32 v92, 0x10000000, v96
	v_and_b32_e32 v93, 0x10000000, v93
	v_or_b32_e32 v84, v87, v84
	v_or_b32_e32 v87, v88, v94
	v_or_b32_e32 v85, v90, v85
	v_or_b32_e32 v88, v89, v92
	v_or_b32_e32 v89, v91, v93
	ds_store_2addr_b32 v77, v82, v81 offset1:1
	ds_store_2addr_b32 v79, v80, v83 offset1:1
	;; [unrolled: 1-line block ×5, first 2 shown]
	ds_store_b32 v59, v128
	ds_store_b32 v61, v129
	;; [unrolled: 1-line block ×4, first 2 shown]
	s_cbranch_scc0 .LBB124_6
; %bb.8:                                ;   in Loop: Header=BB124_7 Depth=1
	v_dual_add_nc_u32 v217, s4, v57 :: v_dual_add_nc_u32 v82, s4, v47
	v_dual_mov_b32 v219, v214 :: v_dual_mov_b32 v222, v210
	v_dual_mov_b32 v224, v206 :: v_dual_mov_b32 v218, v205
	s_delay_alu instid0(VALU_DEP_3) | instskip(SKIP_3) | instid1(VALU_DEP_3)
	v_add_nc_u32_e32 v80, v82, v188
	s_mov_b32 s10, -4
	v_dual_mov_b32 v220, v215 :: v_dual_mov_b32 v221, v212
	v_mov_b32_e32 v223, v208
	v_mad_nc_i64_i32 v[80:81], v80, 36, v[38:39]
	global_load_b32 v80, v[80:81], off offset:4
	s_wait_loadcnt 0x0
	ds_store_b32 v204, v80
	v_add_nc_u32_e32 v80, v82, v189
	s_delay_alu instid0(VALU_DEP_1) | instskip(SKIP_4) | instid1(VALU_DEP_1)
	v_mad_nc_i64_i32 v[80:81], v80, 36, v[38:39]
	global_load_b32 v80, v[80:81], off offset:4
	s_wait_loadcnt 0x0
	ds_store_b32 v197, v80
	v_add_nc_u32_e32 v80, v82, v190
	v_mad_nc_i64_i32 v[80:81], v80, 36, v[38:39]
	global_load_b32 v80, v[80:81], off offset:4
	s_wait_loadcnt 0x0
	ds_store_b32 v198, v80
	v_add_nc_u32_e32 v80, v82, v191
	s_delay_alu instid0(VALU_DEP_1) | instskip(SKIP_4) | instid1(VALU_DEP_1)
	v_mad_nc_i64_i32 v[80:81], v80, 36, v[38:39]
	global_load_b32 v80, v[80:81], off offset:4
	s_wait_loadcnt 0x0
	ds_store_b32 v199, v80
	v_add_nc_u32_e32 v80, v82, v192
	;; [unrolled: 11-line block ×3, first 2 shown]
	v_mad_nc_i64_i32 v[80:81], v80, 36, v[38:39]
	global_load_b32 v80, v[80:81], off offset:4
	s_wait_loadcnt 0x0
	ds_store_b32 v202, v80
	v_add_nc_u32_e32 v80, v82, v195
	s_delay_alu instid0(VALU_DEP_1)
	v_mad_nc_i64_i32 v[80:81], v80, 36, v[38:39]
	global_load_b32 v80, v[80:81], off offset:4
	s_wait_loadcnt 0x0
	ds_store_b32 v203, v80
	v_mad_nc_u64_u32 v[80:81], v217, 36, s[2:3]
	global_load_b32 v80, v[80:81], off
	s_wait_loadcnt 0x0
	ds_store_b32 v187, v80
	s_wait_dscnt 0x0
	s_barrier_signal -1
	s_barrier_wait -1
.LBB124_9:                              ;   Parent Loop BB124_7 Depth=1
                                        ; =>  This Inner Loop Header: Depth=2
	ds_load_b32 v226, v223
	ds_load_b32 v225, v224
	ds_load_2addr_b32 v[82:83], v220 offset0:64 offset1:96
	ds_load_2addr_b32 v[104:105], v220 offset0:128 offset1:160
	ds_load_b32 v233, v222
	ds_load_2addr_b32 v[116:117], v220 offset1:32
	ds_load_b32 v234, v221
	ds_load_2addr_b32 v[126:127], v220 offset0:192 offset1:224
	ds_load_2addr_b32 v[80:81], v219 offset1:1
	ds_load_2addr_b32 v[106:107], v219 offset0:2 offset1:3
	ds_load_2addr_b32 v[136:137], v219 offset0:4 offset1:5
	;; [unrolled: 1-line block ×6, first 2 shown]
	ds_load_2addr_b32 v[112:113], v218 offset1:7
	v_add_nc_u32_e32 v84, 0x6180, v219
	v_add_nc_u32_e32 v91, 0x80c, v218
	;; [unrolled: 1-line block ×40, first 2 shown]
	ds_load_2addr_b32 v[84:85], v84 offset1:1
	ds_load_2addr_b32 v[118:119], v91 offset1:1
	;; [unrolled: 1-line block ×40, first 2 shown]
	s_wait_dscnt 0x2a
	s_set_vgpr_msb 64                       ;  msbs: dst=1 src0=0 src1=0 src2=0
	v_dual_lshlrev_b32 v23 /*v279*/, 8, v158 :: v_dual_lshlrev_b32 v24 /*v280*/, 16, v159
	v_dual_lshlrev_b32 v25 /*v281*/, 8, v159 :: v_dual_lshlrev_b32 v26 /*v282*/, 16, v158
	s_wait_dscnt 0x26
	v_dual_ashrrev_i32 v38 /*v294*/, 24, v85 :: v_dual_lshlrev_b32 v41 /*v297*/, 8, v119
	s_wait_dscnt 0x24
	v_dual_ashrrev_i32 v42 /*v298*/, 24, v119 :: v_dual_lshlrev_b32 v43 /*v299*/, 16, v166
	v_dual_lshlrev_b32 v15 /*v271*/, 8, v165 :: v_dual_lshlrev_b32 v16 /*v272*/, 16, v164
	v_dual_lshlrev_b32 v17 /*v273*/, 8, v164 :: v_dual_lshlrev_b32 v18 /*v274*/, 16, v165
	v_bfe_i32 v37 /*v293*/, v85, 0, 8
	v_bfe_i32 v39 /*v295*/, v119, 0, 8
	s_wait_dscnt 0x1a
	v_dual_lshlrev_b32 v55 /*v311*/, 16, v171 :: v_dual_ashrrev_i32 v59 /*v315*/, 24, v121
	s_wait_dscnt 0x13
	v_dual_ashrrev_i32 v58 /*v314*/, 24, v91 :: v_dual_ashrrev_i32 v64 /*v320*/, 24, v89
	s_set_vgpr_msb 0x44                     ;  msbs: dst=1 src0=0 src1=1 src2=0
	v_perm_b32 v23 /*v279*/, v158, v23 /*v279*/, 0x7030c04
	s_set_vgpr_msb 4                        ;  msbs: dst=0 src0=0 src1=1 src2=0
	v_perm_b32 v158, v159, v25 /*v281*/, 0xc0c0703
	s_set_vgpr_msb 0x45                     ;  msbs: dst=1 src0=1 src1=1 src2=0
	v_mul_i32_i24_e32 v25 /*v281*/, v42 /*v298*/, v38 /*v294*/
	s_set_vgpr_msb 64                       ;  msbs: dst=1 src0=0 src1=0 src2=0
	v_dual_lshlrev_b32 v19 /*v275*/, 8, v160 :: v_dual_lshlrev_b32 v20 /*v276*/, 16, v161
	v_bfe_i32 v60 /*v316*/, v91, 0, 8
	v_bfe_i32 v61 /*v317*/, v121, 0, 8
	s_wait_dscnt 0x10
	v_dual_ashrrev_i32 v67 /*v323*/, 24, v125 :: v_dual_lshlrev_b32 v69 /*v325*/, 8, v125
	v_dual_lshlrev_b32 v70 /*v326*/, 16, v125 :: v_dual_ashrrev_i32 v71 /*v327*/, 24, v115
	s_set_vgpr_msb 0x44                     ;  msbs: dst=1 src0=0 src1=1 src2=0
	v_perm_b32 v15 /*v271*/, v165, v15 /*v271*/, 0x7030c04
	s_set_vgpr_msb 1                        ;  msbs: dst=0 src0=1 src1=0 src2=0
	v_perm_b32 v165, v16 /*v272*/, v164, 0xc0c0700
	s_set_vgpr_msb 4                        ;  msbs: dst=0 src0=0 src1=1 src2=0
	v_perm_b32 v164, v164, v17 /*v273*/, 0xc0c0703
	s_wait_dscnt 0xc
	s_set_vgpr_msb 64                       ;  msbs: dst=1 src0=0 src1=0 src2=0
	v_ashrrev_i32_e32 v17 /*v273*/, 24, v123
	s_set_vgpr_msb 0x55                     ;  msbs: dst=1 src0=1 src1=1 src2=1
	v_mad_i32_i24 v25 /*v281*/, v39 /*v295*/, v37 /*v293*/, v25 /*v281*/
	v_mul_i32_i24_e32 v37 /*v293*/, v59 /*v315*/, v58 /*v314*/
	v_mul_i32_i24_e32 v38 /*v294*/, v42 /*v298*/, v58 /*v314*/
	s_set_vgpr_msb 64                       ;  msbs: dst=1 src0=0 src1=0 src2=0
	v_pk_mul_f16 v12 /*v268*/, v225, v82
	v_pk_mul_f16 v6 /*v262*/, v116, v234
	;; [unrolled: 1-line block ×5, first 2 shown]
	s_set_vgpr_msb 0                        ;  msbs: dst=0 src0=0 src1=0 src2=0
	v_pk_mul_f16 v227, v234, v82
	v_pk_mul_f16 v230, v234, v83
	;; [unrolled: 1-line block ×8, first 2 shown]
	s_set_vgpr_msb 64                       ;  msbs: dst=1 src0=0 src1=0 src2=0
	v_pk_mul_f16 v0 /*v256*/, v234, v127
	s_set_vgpr_msb 0                        ;  msbs: dst=0 src0=0 src1=0 src2=0
	v_pk_mul_f16 v245, v225, v126
	v_pk_mul_f16 v246, v225, v127
	s_set_vgpr_msb 64                       ;  msbs: dst=1 src0=0 src1=0 src2=0
	v_dual_lshlrev_b32 v21 /*v277*/, 8, v161 :: v_dual_lshlrev_b32 v22 /*v278*/, 16, v160
	s_set_vgpr_msb 0                        ;  msbs: dst=0 src0=0 src1=0 src2=0
	v_perm_b32 v241, v135, v134, 0x7020100
	s_set_vgpr_msb 64                       ;  msbs: dst=1 src0=0 src1=0 src2=0
	v_perm_b32 v34 /*v290*/, v80, v135, 0x4020c0c
	v_perm_b32 v35 /*v291*/, v135, v135, 0xc0c0100
	s_set_vgpr_msb 0                        ;  msbs: dst=0 src0=0 src1=0 src2=0
	v_perm_b32 v238, v135, v135, 0x6010007
	s_set_vgpr_msb 64                       ;  msbs: dst=1 src0=0 src1=0 src2=0
	v_dual_lshlrev_b32 v36 /*v292*/, 8, v113 :: v_dual_lshlrev_b32 v40 /*v296*/, 16, v119
	s_set_vgpr_msb 0                        ;  msbs: dst=0 src0=0 src1=0 src2=0
	v_bfe_i32 v234, v135, 0, 8
	v_perm_b32 v225, v135, v135, 0xc070601
	s_set_vgpr_msb 64                       ;  msbs: dst=1 src0=0 src1=0 src2=0
	v_dual_lshlrev_b32 v48 /*v304*/, 8, v167 :: v_dual_lshlrev_b32 v49 /*v305*/, 16, v121
	v_dual_lshlrev_b32 v11 /*v267*/, 8, v147 :: v_dual_lshlrev_b32 v50 /*v306*/, 8, v121
	v_bfe_i32 v65 /*v321*/, v89, 0, 8
	v_bfe_i32 v68 /*v324*/, v125, 0, 8
	;; [unrolled: 1-line block ×3, first 2 shown]
	s_set_vgpr_msb 4                        ;  msbs: dst=0 src0=0 src1=1 src2=0
	v_perm_b32 v160, v160, v19 /*v275*/, 0x7030c04
	s_set_vgpr_msb 0x41                     ;  msbs: dst=1 src0=1 src1=0 src2=0
	v_perm_b32 v19 /*v275*/, v20 /*v276*/, v161, 0xc0c0700
	s_set_vgpr_msb 64                       ;  msbs: dst=1 src0=0 src1=0 src2=0
	v_bfe_i32 v20 /*v276*/, v123, 0, 8
	s_set_vgpr_msb 1                        ;  msbs: dst=0 src0=1 src1=0 src2=0
	v_perm_b32 v135, v24 /*v280*/, v159, 0xc0c0700
	s_set_vgpr_msb 64                       ;  msbs: dst=1 src0=0 src1=0 src2=0
	v_lshlrev_b32_e32 v24 /*v280*/, 8, v123
	s_set_vgpr_msb 0x55                     ;  msbs: dst=1 src0=1 src1=1 src2=1
	v_mad_i32_i24 v37 /*v293*/, v61 /*v317*/, v60 /*v316*/, v37 /*v293*/
	v_mad_i32_i24 v38 /*v294*/, v39 /*v295*/, v60 /*v316*/, v38 /*v294*/
	v_mul_i32_i24_e32 v42 /*v298*/, v42 /*v298*/, v64 /*v320*/
	v_mul_i32_i24_e32 v60 /*v316*/, v67 /*v323*/, v64 /*v320*/
	;; [unrolled: 1-line block ×5, first 2 shown]
	s_set_vgpr_msb 0                        ;  msbs: dst=0 src0=0 src1=0 src2=0
	v_add_nc_u32_e32 v218, 32, v218
	s_set_vgpr_msb 64                       ;  msbs: dst=1 src0=0 src1=0 src2=0
	v_pk_mul_f16 v10 /*v266*/, v233, v82
	s_set_vgpr_msb 0                        ;  msbs: dst=0 src0=0 src1=0 src2=0
	v_pk_mul_f16 v252, v116, v233
	s_set_vgpr_msb 64                       ;  msbs: dst=1 src0=0 src1=0 src2=0
	v_pk_mul_f16 v2 /*v258*/, v116, v226
	s_set_vgpr_msb 0                        ;  msbs: dst=0 src0=0 src1=0 src2=0
	v_pk_mul_f16 v116, v226, v82
	v_ashrrev_i32_e32 v82, 24, v81
	s_set_vgpr_msb 4                        ;  msbs: dst=0 src0=0 src1=1 src2=0
	v_perm_b32 v161, v161, v21 /*v277*/, 0xc0c0703
	s_set_vgpr_msb 64                       ;  msbs: dst=1 src0=0 src1=0 src2=0
	v_lshlrev_b32_e32 v21 /*v277*/, 8, v115
	s_set_vgpr_msb 0                        ;  msbs: dst=0 src0=0 src1=0 src2=0
	v_lshlrev_b32_e32 v159, 16, v115
	s_set_vgpr_msb 0x55                     ;  msbs: dst=1 src0=1 src1=1 src2=1
	v_mad_i32_i24 v39 /*v295*/, v39 /*v295*/, v65 /*v321*/, v42 /*v298*/
	s_wait_dscnt 0x9
	s_set_vgpr_msb 64                       ;  msbs: dst=1 src0=0 src1=0 src2=0
	v_ashrrev_i32_e32 v42 /*v298*/, 24, v109
	s_set_vgpr_msb 0x55                     ;  msbs: dst=1 src0=1 src1=1 src2=1
	v_mad_i32_i24 v60 /*v316*/, v68 /*v324*/, v65 /*v321*/, v60 /*v316*/
	s_set_vgpr_msb 0x44                     ;  msbs: dst=1 src0=0 src1=1 src2=0
	v_perm_b32 v68 /*v324*/, v166, v41 /*v297*/, 0x407030c
	s_set_vgpr_msb 0x55                     ;  msbs: dst=1 src0=1 src1=1 src2=1
	v_mad_i32_i24 v16 /*v272*/, v16 /*v272*/, v65 /*v321*/, v67 /*v323*/
	v_perm_b32 v67 /*v323*/, v40 /*v296*/, v40 /*v296*/, 0xc0c0c03
	v_mad_i32_i24 v17 /*v273*/, v20 /*v276*/, v65 /*v321*/, v17 /*v273*/
	s_set_vgpr_msb 0x44                     ;  msbs: dst=1 src0=0 src1=1 src2=0
	v_perm_b32 v20 /*v276*/, v170, v50 /*v306*/, 0x407030c
	s_set_vgpr_msb 0x55                     ;  msbs: dst=1 src0=1 src1=1 src2=1
	v_mad_i32_i24 v59 /*v315*/, v61 /*v317*/, v65 /*v321*/, v59 /*v315*/
	v_perm_b32 v61 /*v317*/, v49 /*v305*/, v49 /*v305*/, 0xc0c0c03
	s_set_vgpr_msb 64                       ;  msbs: dst=1 src0=0 src1=0 src2=0
	v_perm_b32 v56 /*v312*/, v180, v85, 0x4070201
	v_lshlrev_b32_e32 v58 /*v314*/, 16, v123
	s_set_vgpr_msb 0x44                     ;  msbs: dst=1 src0=0 src1=1 src2=0
	v_perm_b32 v65 /*v321*/, v178, v69 /*v325*/, 0x407030c
	s_set_vgpr_msb 1                        ;  msbs: dst=0 src0=1 src1=0 src2=0
	v_mul_i32_i24_e32 v82, v42 /*v298*/, v82
	s_set_vgpr_msb 0x45                     ;  msbs: dst=1 src0=1 src1=1 src2=0
	v_mul_i32_i24_e32 v42 /*v298*/, v42 /*v298*/, v64 /*v320*/
	v_perm_b32 v64 /*v320*/, v70 /*v326*/, v70 /*v326*/, 0xc0c0c03
	v_or_b32_e32 v67 /*v323*/, v68 /*v324*/, v67 /*v323*/
	s_set_vgpr_msb 0x44                     ;  msbs: dst=1 src0=0 src1=1 src2=0
	v_perm_b32 v68 /*v324*/, v168, v21 /*v277*/, 0x407030c
	s_set_vgpr_msb 0x45                     ;  msbs: dst=1 src0=1 src1=1 src2=0
	v_or_b32_e32 v20 /*v276*/, v20 /*v276*/, v61 /*v317*/
	s_set_vgpr_msb 64                       ;  msbs: dst=1 src0=0 src1=0 src2=0
	v_perm_b32 v61 /*v317*/, v159, v159, 0xc0c0c03
	v_pk_mul_f16 v13 /*v269*/, v226, v105
	v_perm_b32 v62 /*v318*/, v182, v91, 0x4070201
	v_perm_b32 v66 /*v322*/, v176, v89, 0x4070201
	s_set_vgpr_msb 0x45                     ;  msbs: dst=1 src0=1 src1=1 src2=0
	v_or_b32_e32 v64 /*v320*/, v65 /*v321*/, v64 /*v320*/
	s_set_vgpr_msb 0x44                     ;  msbs: dst=1 src0=0 src1=1 src2=0
	v_perm_b32 v65 /*v321*/, v174, v24 /*v280*/, 0x407030c
	s_set_vgpr_msb 0x55                     ;  msbs: dst=1 src0=1 src1=1 src2=1
	v_or_b32_e32 v61 /*v317*/, v68 /*v324*/, v61 /*v317*/
	v_dot4_i32_iu8 v25 /*v281*/, v67 /*v323*/, v56 /*v312*/, v25 /*v281*/ neg_lo:[1,1,0]
	s_set_vgpr_msb 64                       ;  msbs: dst=1 src0=0 src1=0 src2=0
	v_lshlrev_b32_e32 v56 /*v312*/, 8, v178
	s_set_vgpr_msb 0x55                     ;  msbs: dst=1 src0=1 src1=1 src2=1
	v_perm_b32 v68 /*v324*/, v58 /*v314*/, v58 /*v314*/, 0xc0c0c03
	v_dot4_i32_iu8 v37 /*v293*/, v20 /*v276*/, v62 /*v318*/, v37 /*v293*/ neg_lo:[1,1,0]
	v_dot4_i32_iu8 v38 /*v294*/, v67 /*v323*/, v62 /*v318*/, v38 /*v294*/ neg_lo:[1,1,0]
	s_set_vgpr_msb 64                       ;  msbs: dst=1 src0=0 src1=0 src2=0
	v_lshlrev_b32_e32 v62 /*v318*/, 16, v178
	s_set_vgpr_msb 0x55                     ;  msbs: dst=1 src0=1 src1=1 src2=1
	v_dot4_i32_iu8 v39 /*v295*/, v67 /*v323*/, v66 /*v322*/, v39 /*v295*/ neg_lo:[1,1,0]
	v_or_b32_e32 v65 /*v321*/, v65 /*v321*/, v68 /*v324*/
	s_set_vgpr_msb 64                       ;  msbs: dst=1 src0=0 src1=0 src2=0
	v_lshlrev_b32_e32 v67 /*v323*/, 16, v109
	s_set_vgpr_msb 0x55                     ;  msbs: dst=1 src0=1 src1=1 src2=1
	v_dot4_i32_iu8 v60 /*v316*/, v64 /*v320*/, v66 /*v322*/, v60 /*v316*/ neg_lo:[1,1,0]
	s_set_vgpr_msb 64                       ;  msbs: dst=1 src0=0 src1=0 src2=0
	v_lshlrev_b32_e32 v64 /*v320*/, 8, v109
	s_set_vgpr_msb 0x55                     ;  msbs: dst=1 src0=1 src1=1 src2=1
	v_dot4_i32_iu8 v16 /*v272*/, v61 /*v317*/, v66 /*v322*/, v16 /*v272*/ neg_lo:[1,1,0]
	v_dot4_i32_iu8 v17 /*v273*/, v65 /*v321*/, v66 /*v322*/, v17 /*v273*/ neg_lo:[1,1,0]
	s_set_vgpr_msb 64                       ;  msbs: dst=1 src0=0 src1=0 src2=0
	v_lshlrev_b32_e32 v65 /*v321*/, 8, v168
	s_set_vgpr_msb 0x55                     ;  msbs: dst=1 src0=1 src1=1 src2=1
	v_dot4_i32_iu8 v20 /*v276*/, v20 /*v276*/, v66 /*v322*/, v59 /*v315*/ neg_lo:[1,1,0]
	s_set_vgpr_msb 0x41                     ;  msbs: dst=1 src0=1 src1=0 src2=0
	v_perm_b32 v59 /*v315*/, v67 /*v323*/, v109, 0xc0c0700
	s_wait_dscnt 0x8
	s_set_vgpr_msb 0x44                     ;  msbs: dst=1 src0=0 src1=1 src2=0
	v_perm_b32 v66 /*v322*/, v148, v64 /*v320*/, 0x7030c0c
	s_set_vgpr_msb 64                       ;  msbs: dst=1 src0=0 src1=0 src2=0
	v_pk_mul_f16 v9 /*v265*/, v233, v117
	v_pk_mul_f16 v7 /*v263*/, v226, v117
	s_set_vgpr_msb 0                        ;  msbs: dst=0 src0=0 src1=0 src2=0
	v_pk_mul_f16 v117, v233, v83
	v_pk_mul_f16 v254, v226, v83
	v_perm_b32 v83, v106, v81, 0x7020100
	s_set_vgpr_msb 0x45                     ;  msbs: dst=1 src0=1 src1=1 src2=0
	v_or_b32_e32 v59 /*v315*/, v66 /*v322*/, v59 /*v315*/
	s_set_vgpr_msb 64                       ;  msbs: dst=1 src0=0 src1=0 src2=0
	v_dual_lshlrev_b32 v44 /*v300*/, 8, v166 :: v_dual_lshlrev_b32 v47 /*v303*/, 16, v167
	s_set_vgpr_msb 0x45                     ;  msbs: dst=1 src0=1 src1=1 src2=0
	v_perm_b32 v40 /*v296*/, v41 /*v297*/, v40 /*v296*/, 0x7030c0c
	s_set_vgpr_msb 64                       ;  msbs: dst=1 src0=0 src1=0 src2=0
	v_lshlrev_b32_e32 v41 /*v297*/, 8, v139
	s_set_vgpr_msb 1                        ;  msbs: dst=0 src0=1 src1=0 src2=0
	v_dot4_i32_iu8 v82, v59 /*v315*/, v83, v82 neg_lo:[1,1,0]
	v_lshlrev_b32_e32 v83, 8, v174
	v_perm_b32 v159, v21 /*v277*/, v159, 0x7030c0c
	s_wait_dscnt 0x5
	s_set_vgpr_msb 64                       ;  msbs: dst=1 src0=0 src1=0 src2=0
	v_lshlrev_b32_e32 v21 /*v277*/, 16, v172
	s_set_vgpr_msb 0x45                     ;  msbs: dst=1 src0=1 src1=1 src2=0
	v_perm_b32 v24 /*v280*/, v24 /*v280*/, v58 /*v314*/, 0x7030c0c
	s_set_vgpr_msb 64                       ;  msbs: dst=1 src0=0 src1=0 src2=0
	v_dual_lshlrev_b32 v58 /*v314*/, 8, v172 :: v_dual_lshlrev_b32 v51 /*v307*/, 16, v170
	v_lshlrev_b32_e32 v52 /*v308*/, 8, v170
	v_perm_b32 v61 /*v317*/, v176, v89, 0x7020100
	v_lshlrev_b32_e32 v66 /*v322*/, 16, v168
	s_set_vgpr_msb 0x45                     ;  msbs: dst=1 src0=1 src1=1 src2=0
	v_perm_b32 v21 /*v277*/, v58 /*v314*/, v21 /*v277*/, 0x7030c0c
	v_perm_b32 v58 /*v314*/, v64 /*v320*/, v67 /*v323*/, 0x7030c0c
	s_set_vgpr_msb 0x44                     ;  msbs: dst=1 src0=0 src1=1 src2=0
	v_perm_b32 v64 /*v320*/, v146, v44 /*v300*/, 0x407030c
	s_set_vgpr_msb 0x55                     ;  msbs: dst=1 src0=1 src1=1 src2=1
	v_perm_b32 v44 /*v300*/, v44 /*v300*/, v43 /*v299*/, 0x7030c0c
	v_perm_b32 v43 /*v299*/, v43 /*v299*/, v43 /*v299*/, 0xc0c0c03
	v_dot4_i32_iu8 v42 /*v298*/, v59 /*v315*/, v61 /*v317*/, v42 /*v298*/ neg_lo:[1,1,0]
	s_set_vgpr_msb 64                       ;  msbs: dst=1 src0=0 src1=0 src2=0
	v_lshlrev_b32_e32 v59 /*v315*/, 16, v174
	s_set_vgpr_msb 0                        ;  msbs: dst=0 src0=0 src1=0 src2=0
	v_perm_b32 v115, v115, v115, 0xc0c0003
	s_set_vgpr_msb 64                       ;  msbs: dst=1 src0=0 src1=0 src2=0
	v_lshlrev_b32_e32 v61 /*v317*/, 16, v148
	s_set_vgpr_msb 0x45                     ;  msbs: dst=1 src0=1 src1=1 src2=0
	v_or_b32_e32 v43 /*v299*/, v64 /*v320*/, v43 /*v299*/
	s_set_vgpr_msb 0x44                     ;  msbs: dst=1 src0=0 src1=1 src2=0
	v_perm_b32 v64 /*v320*/, v150, v52 /*v308*/, 0x407030c
	s_set_vgpr_msb 0x45                     ;  msbs: dst=1 src0=1 src1=1 src2=0
	v_perm_b32 v52 /*v308*/, v52 /*v308*/, v51 /*v307*/, 0x7030c0c
	v_perm_b32 v51 /*v307*/, v51 /*v307*/, v51 /*v307*/, 0xc0c0c03
	;; [unrolled: 1-line block ×3, first 2 shown]
	s_set_vgpr_msb 64                       ;  msbs: dst=1 src0=0 src1=0 src2=0
	v_lshlrev_b32_e32 v50 /*v306*/, 8, v148
	s_set_vgpr_msb 0                        ;  msbs: dst=0 src0=0 src1=0 src2=0
	v_or_b32_e32 v115, v159, v115
	v_perm_b32 v159, v174, v174, 0xc0c0003
	s_set_vgpr_msb 0x45                     ;  msbs: dst=1 src0=1 src1=1 src2=0
	v_or_b32_e32 v51 /*v307*/, v64 /*v320*/, v51 /*v307*/
	s_set_vgpr_msb 0x44                     ;  msbs: dst=1 src0=0 src1=1 src2=0
	v_perm_b32 v64 /*v320*/, v156, v56 /*v312*/, 0x407030c
	s_set_vgpr_msb 0x45                     ;  msbs: dst=1 src0=1 src1=1 src2=0
	v_perm_b32 v56 /*v312*/, v56 /*v312*/, v62 /*v318*/, 0x7030c0c
	v_perm_b32 v62 /*v318*/, v62 /*v318*/, v62 /*v318*/, 0xc0c0c03
	;; [unrolled: 1-line block ×3, first 2 shown]
	s_set_vgpr_msb 64                       ;  msbs: dst=1 src0=0 src1=0 src2=0
	v_lshlrev_b32_e32 v70 /*v326*/, 16, v139
	s_set_vgpr_msb 0                        ;  msbs: dst=0 src0=0 src1=0 src2=0
	v_perm_b32 v123, v123, v123, 0xc0c0003
	v_perm_b32 v121, v121, v121, 0xc0c0003
	s_set_vgpr_msb 0x45                     ;  msbs: dst=1 src0=1 src1=1 src2=0
	v_or_b32_e32 v62 /*v318*/, v64 /*v320*/, v62 /*v318*/
	s_set_vgpr_msb 0x44                     ;  msbs: dst=1 src0=0 src1=1 src2=0
	v_perm_b32 v64 /*v320*/, v162, v65 /*v321*/, 0x407030c
	s_set_vgpr_msb 0x45                     ;  msbs: dst=1 src0=1 src1=1 src2=0
	v_perm_b32 v65 /*v321*/, v65 /*v321*/, v66 /*v322*/, 0x7030c0c
	v_perm_b32 v66 /*v322*/, v66 /*v322*/, v66 /*v322*/, 0xc0c0c03
	s_set_vgpr_msb 64                       ;  msbs: dst=1 src0=0 src1=0 src2=0
	v_pk_mul_f16 v5 /*v261*/, v233, v104
	s_set_vgpr_msb 0                        ;  msbs: dst=0 src0=0 src1=0 src2=0
	v_pk_mul_f16 v255, v226, v104
	s_set_vgpr_msb 64                       ;  msbs: dst=1 src0=0 src1=0 src2=0
	v_pk_mul_f16 v4 /*v260*/, v233, v105
	s_set_vgpr_msb 0                        ;  msbs: dst=0 src0=0 src1=0 src2=0
	v_perm_b32 v104, v107, v106, 0x7020100
	s_set_vgpr_msb 0x45                     ;  msbs: dst=1 src0=1 src1=1 src2=0
	v_or_b32_e32 v64 /*v320*/, v64 /*v320*/, v66 /*v322*/
	s_set_vgpr_msb 64                       ;  msbs: dst=1 src0=0 src1=0 src2=0
	v_perm_b32 v66 /*v322*/, v154, v83, 0x407030c
	s_set_vgpr_msb 4                        ;  msbs: dst=0 src0=0 src1=1 src2=0
	v_perm_b32 v83, v83, v59 /*v315*/, 0x7030c0c
	s_set_vgpr_msb 0x45                     ;  msbs: dst=1 src0=1 src1=1 src2=0
	v_perm_b32 v59 /*v315*/, v59 /*v315*/, v59 /*v315*/, 0xc0c0c03
	s_set_vgpr_msb 0                        ;  msbs: dst=0 src0=0 src1=0 src2=0
	v_perm_b32 v105, v81, v81, 0x2010003
	s_set_vgpr_msb 64                       ;  msbs: dst=1 src0=0 src1=0 src2=0
	v_perm_b32 v57 /*v313*/, v181, v180, 0x4070201
	s_set_vgpr_msb 0x45                     ;  msbs: dst=1 src0=1 src1=1 src2=0
	v_perm_b32 v41 /*v297*/, v41 /*v297*/, v70 /*v326*/, 0x7030c0c
	s_set_vgpr_msb 0                        ;  msbs: dst=0 src0=0 src1=0 src2=0
	v_or_b32_e32 v83, v83, v159
	s_set_vgpr_msb 0x45                     ;  msbs: dst=1 src0=1 src1=1 src2=0
	v_or_b32_e32 v59 /*v315*/, v66 /*v322*/, v59 /*v315*/
	s_set_vgpr_msb 0x41                     ;  msbs: dst=1 src0=1 src1=0 src2=0
	v_perm_b32 v66 /*v322*/, v61 /*v317*/, v148, 0xc0c0700
	s_set_vgpr_msb 0x45                     ;  msbs: dst=1 src0=1 src1=1 src2=0
	v_perm_b32 v61 /*v317*/, v50 /*v306*/, v61 /*v317*/, 0x7030c0c
	s_set_vgpr_msb 0x44                     ;  msbs: dst=1 src0=0 src1=1 src2=0
	v_perm_b32 v50 /*v306*/, v110, v50 /*v306*/, 0x7030c0c
	s_set_vgpr_msb 0                        ;  msbs: dst=0 src0=0 src1=0 src2=0
	v_perm_b32 v159, v172, v172, 0xc0c0003
	v_perm_b32 v125, v125, v125, 0xc0c0003
	v_perm_b32 v119, v119, v119, 0xc0c0003
	s_set_vgpr_msb 1                        ;  msbs: dst=0 src0=1 src1=0 src2=0
	v_or_b32_e32 v123, v24 /*v280*/, v123
	s_set_vgpr_msb 0x45                     ;  msbs: dst=1 src0=1 src1=1 src2=0
	v_or_b32_e32 v50 /*v306*/, v50 /*v306*/, v66 /*v322*/
	s_set_vgpr_msb 0                        ;  msbs: dst=0 src0=0 src1=0 src2=0
	v_perm_b32 v170, v170, v170, 0xc0c0003
	v_perm_b32 v139, v139, v139, 0xc0c0003
	s_set_vgpr_msb 1                        ;  msbs: dst=0 src0=1 src1=0 src2=0
	v_or_b32_e32 v121, v49 /*v305*/, v121
	v_or_b32_e32 v159, v21 /*v277*/, v159
	s_set_vgpr_msb 0                        ;  msbs: dst=0 src0=0 src1=0 src2=0
	v_perm_b32 v172, v177, v176, 0x7020100
	v_perm_b32 v174, v91, v91, 0x2010003
	s_set_vgpr_msb 64                       ;  msbs: dst=1 src0=0 src1=0 src2=0
	v_perm_b32 v21 /*v277*/, v85, v85, 0x2010003
	v_perm_b32 v14 /*v270*/, v106, v106, 0x2010003
	s_set_vgpr_msb 0                        ;  msbs: dst=0 src0=0 src1=0 src2=0
	v_perm_b32 v178, v178, v178, 0xc0c0003
	s_set_vgpr_msb 1                        ;  msbs: dst=0 src0=1 src1=0 src2=0
	v_or_b32_e32 v125, v69 /*v325*/, v125
	s_set_vgpr_msb 0                        ;  msbs: dst=0 src0=0 src1=0 src2=0
	v_perm_b32 v166, v166, v166, 0xc0c0003
	s_set_vgpr_msb 1                        ;  msbs: dst=0 src0=1 src1=0 src2=0
	v_or_b32_e32 v119, v40 /*v296*/, v119
	;; [unrolled: 4-line block ×4, first 2 shown]
	s_set_vgpr_msb 0x55                     ;  msbs: dst=1 src0=1 src1=1 src2=1
	v_dot4_i32_iu8 v24 /*v280*/, v43 /*v299*/, v57 /*v313*/, v25 /*v281*/ neg_lo:[1,1,0]
	s_set_vgpr_msb 64                       ;  msbs: dst=1 src0=0 src1=0 src2=0
	v_perm_b32 v25 /*v281*/, v89, v89, 0x2010003
	v_perm_b32 v40 /*v296*/, v182, v182, 0x2010003
	;; [unrolled: 1-line block ×3, first 2 shown]
	s_set_vgpr_msb 1                        ;  msbs: dst=0 src0=1 src1=0 src2=0
	v_dot4_i32_iu8 v104, v50 /*v306*/, v104, v82 neg_lo:[1,1,0]
	s_set_vgpr_msb 0                        ;  msbs: dst=0 src0=0 src1=0 src2=0
	v_dot4_i32_iu8 v82, v123, v174, 0 neg_lo:[1,1,0]
	s_set_vgpr_msb 17                       ;  msbs: dst=0 src0=1 src1=0 src2=1
	v_dot4_i32_iu8 v172, v50 /*v306*/, v172, v42 /*v298*/ neg_lo:[1,1,0]
	s_set_vgpr_msb 64                       ;  msbs: dst=1 src0=0 src1=0 src2=0
	v_dot4_i32_iu8 v42 /*v298*/, v121, v105, 0 neg_lo:[1,1,0]
	s_set_vgpr_msb 4                        ;  msbs: dst=0 src0=0 src1=1 src2=0
	v_dot4_i32_iu8 v121, v121, v21 /*v277*/, 0 neg_lo:[1,1,0]
	s_set_vgpr_msb 64                       ;  msbs: dst=1 src0=0 src1=0 src2=0
	v_perm_b32 v63 /*v319*/, v183, v182, 0x4070201
	v_perm_b32 v68 /*v324*/, v177, v176, 0x4070201
	s_set_vgpr_msb 1                        ;  msbs: dst=0 src0=1 src1=0 src2=0
	v_or_b32_e32 v178, v56 /*v312*/, v178
	v_or_b32_e32 v166, v44 /*v300*/, v166
	;; [unrolled: 1-line block ×3, first 2 shown]
	s_set_vgpr_msb 0                        ;  msbs: dst=0 src0=0 src1=0 src2=0
	v_perm_b32 v148, v148, v148, 0xc0c0003
	s_set_vgpr_msb 1                        ;  msbs: dst=0 src0=1 src1=0 src2=0
	v_or_b32_e32 v109, v58 /*v314*/, v109
	s_set_vgpr_msb 64                       ;  msbs: dst=1 src0=0 src1=0 src2=0
	v_dot4_i32_iu8 v44 /*v300*/, v125, v105, 0 neg_lo:[1,1,0]
	v_dot4_i32_iu8 v52 /*v308*/, v115, v105, 0 neg_lo:[1,1,0]
	;; [unrolled: 1-line block ×3, first 2 shown]
	s_set_vgpr_msb 0x44                     ;  msbs: dst=1 src0=0 src1=1 src2=0
	v_dot4_i32_iu8 v25 /*v281*/, v139, v25 /*v281*/, 0 neg_lo:[1,1,0]
	s_set_vgpr_msb 64                       ;  msbs: dst=1 src0=0 src1=0 src2=0
	v_dot4_i32_iu8 v50 /*v306*/, v139, v174, 0 neg_lo:[1,1,0]
	s_set_vgpr_msb 0x44                     ;  msbs: dst=1 src0=0 src1=1 src2=0
	v_dot4_i32_iu8 v57 /*v313*/, v83, v40 /*v296*/, v82 neg_lo:[1,1,0]
	s_set_vgpr_msb 0                        ;  msbs: dst=0 src0=0 src1=0 src2=0
	v_perm_b32 v82, v176, v176, 0x2010003
	s_set_vgpr_msb 0x54                     ;  msbs: dst=1 src0=0 src1=1 src2=1
	v_dot4_i32_iu8 v42 /*v298*/, v170, v14 /*v270*/, v42 /*v298*/ neg_lo:[1,1,0]
	s_set_vgpr_msb 4                        ;  msbs: dst=0 src0=0 src1=1 src2=0
	v_dot4_i32_iu8 v121, v170, v41 /*v297*/, v121 neg_lo:[1,1,0]
	s_set_vgpr_msb 0                        ;  msbs: dst=0 src0=0 src1=0 src2=0
	v_lshlrev_b32_e32 v170, 8, v156
	v_dot4_i32_iu8 v119, v119, v105, 0 neg_lo:[1,1,0]
	v_dot4_i32_iu8 v105, v139, v105, 0 neg_lo:[1,1,0]
	s_set_vgpr_msb 4                        ;  msbs: dst=0 src0=0 src1=1 src2=0
	v_dot4_i32_iu8 v139, v139, v21 /*v277*/, 0 neg_lo:[1,1,0]
	s_set_vgpr_msb 0                        ;  msbs: dst=0 src0=0 src1=0 src2=0
	v_pk_mul_f16 v253, v233, v127
	v_pk_mul_f16 v247, v226, v126
	;; [unrolled: 1-line block ×3, first 2 shown]
	v_perm_b32 v127, v134, v137, 0x7020100
	v_perm_b32 v240, v134, v134, 0x2010003
	;; [unrolled: 1-line block ×4, first 2 shown]
	v_bfe_i32 v226, v113, 0, 8
	s_set_vgpr_msb 1                        ;  msbs: dst=0 src0=1 src1=0 src2=0
	v_dual_lshlrev_b32 v134, 16, v113 :: v_dual_bitop2_b32 v148, v61 /*v317*/, v148 bitop3:0x54
	s_set_vgpr_msb 0x55                     ;  msbs: dst=1 src0=1 src1=1 src2=1
	v_dot4_i32_iu8 v37 /*v293*/, v51 /*v307*/, v63 /*v319*/, v37 /*v293*/ neg_lo:[1,1,0]
	s_set_vgpr_msb 64                       ;  msbs: dst=1 src0=0 src1=0 src2=0
	v_dot4_i32_iu8 v49 /*v305*/, v125, v174, 0 neg_lo:[1,1,0]
	s_set_vgpr_msb 0x55                     ;  msbs: dst=1 src0=1 src1=1 src2=1
	v_dot4_i32_iu8 v20 /*v276*/, v51 /*v307*/, v68 /*v324*/, v20 /*v276*/ neg_lo:[1,1,0]
	s_set_vgpr_msb 4                        ;  msbs: dst=0 src0=0 src1=1 src2=0
	v_dot4_i32_iu8 v119, v166, v14 /*v270*/, v119 neg_lo:[1,1,0]
	s_set_vgpr_msb 0                        ;  msbs: dst=0 src0=0 src1=0 src2=0
	v_lshlrev_b32_e32 v166, 8, v151
	s_set_vgpr_msb 0x54                     ;  msbs: dst=1 src0=0 src1=1 src2=1
	v_dot4_i32_iu8 v44 /*v300*/, v178, v14 /*v270*/, v44 /*v300*/ neg_lo:[1,1,0]
	v_dot4_i32_iu8 v56 /*v312*/, v83, v14 /*v270*/, v56 /*v312*/ neg_lo:[1,1,0]
	s_set_vgpr_msb 4                        ;  msbs: dst=0 src0=0 src1=1 src2=0
	v_dot4_i32_iu8 v105, v159, v14 /*v270*/, v105 neg_lo:[1,1,0]
	s_set_vgpr_msb 0x54                     ;  msbs: dst=1 src0=0 src1=1 src2=1
	v_dot4_i32_iu8 v50 /*v306*/, v159, v40 /*v296*/, v50 /*v306*/ neg_lo:[1,1,0]
	s_set_vgpr_msb 4                        ;  msbs: dst=0 src0=0 src1=1 src2=0
	v_dot4_i32_iu8 v139, v159, v41 /*v297*/, v139 neg_lo:[1,1,0]
	s_set_vgpr_msb 0x44                     ;  msbs: dst=1 src0=0 src1=1 src2=0
	v_perm_b32 v36 /*v292*/, v113, v36 /*v292*/, 0xc07030c
	s_set_vgpr_msb 0                        ;  msbs: dst=0 src0=0 src1=0 src2=0
	v_lshlrev_b32_e32 v113, 8, v154
	s_set_vgpr_msb 0x54                     ;  msbs: dst=1 src0=0 src1=1 src2=1
	v_dot4_i32_iu8 v52 /*v308*/, v168, v14 /*v270*/, v52 /*v308*/ neg_lo:[1,1,0]
	s_set_vgpr_msb 0x50                     ;  msbs: dst=1 src0=0 src1=0 src2=1
	v_dot4_i32_iu8 v14 /*v270*/, v159, v82, v25 /*v281*/ neg_lo:[1,1,0]
	s_set_vgpr_msb 0                        ;  msbs: dst=0 src0=0 src1=0 src2=0
	v_lshlrev_b32_e32 v159, 8, v162
	s_set_vgpr_msb 64                       ;  msbs: dst=1 src0=0 src1=0 src2=0
	v_dot4_i32_iu8 v51 /*v307*/, v115, v174, 0 neg_lo:[1,1,0]
	s_set_vgpr_msb 0                        ;  msbs: dst=0 src0=0 src1=0 src2=0
	v_dot4_i32_iu8 v174, v109, v174, 0 neg_lo:[1,1,0]
	s_set_vgpr_msb 4                        ;  msbs: dst=0 src0=0 src1=1 src2=0
	v_dot4_i32_iu8 v109, v109, v21 /*v277*/, 0 neg_lo:[1,1,0]
	s_set_vgpr_msb 5                        ;  msbs: dst=0 src0=1 src1=1 src2=0
	v_perm_b32 v82, v18 /*v274*/, v18 /*v274*/, 0xc0c030c
	s_set_vgpr_msb 64                       ;  msbs: dst=1 src0=0 src1=0 src2=0
	v_dot4_i32_iu8 v27 /*v283*/, v80, v112, 0 neg_lo:[1,1,0]
	v_lshlrev_b32_e32 v25 /*v281*/, 16, v156
	s_set_vgpr_msb 4                        ;  msbs: dst=0 src0=0 src1=1 src2=0
	v_dot4_i32_iu8 v174, v148, v40 /*v296*/, v174 neg_lo:[1,1,0]
	s_set_vgpr_msb 0x45                     ;  msbs: dst=1 src0=1 src1=1 src2=0
	v_perm_b32 v18 /*v274*/, v22 /*v278*/, v22 /*v278*/, 0xc0c030c
	s_set_vgpr_msb 4                        ;  msbs: dst=0 src0=0 src1=1 src2=0
	v_dot4_i32_iu8 v109, v148, v41 /*v297*/, v109 neg_lo:[1,1,0]
	s_set_vgpr_msb 0                        ;  msbs: dst=0 src0=0 src1=0 src2=0
	v_dot4_i32_iu8 v148, v88, v112, 0 neg_lo:[1,1,0]
	s_set_vgpr_msb 64                       ;  msbs: dst=1 src0=0 src1=0 src2=0
	v_dot4_i32_iu8 v22 /*v278*/, v90, v112, 0 neg_lo:[1,1,0]
	s_set_vgpr_msb 0                        ;  msbs: dst=0 src0=0 src1=0 src2=0
	v_dot4_i32_iu8 v112, v84, v112, 0 neg_lo:[1,1,0]
	s_set_vgpr_msb 0x41                     ;  msbs: dst=1 src0=1 src1=0 src2=0
	v_or_b32_e32 v15 /*v271*/, v15 /*v271*/, v82
	s_set_vgpr_msb 0x45                     ;  msbs: dst=1 src0=1 src1=1 src2=0
	v_perm_b32 v26 /*v282*/, v26 /*v282*/, v26 /*v282*/, 0xc0c030c
	s_set_vgpr_msb 4                        ;  msbs: dst=0 src0=0 src1=1 src2=0
	v_or_b32_e32 v160, v160, v18 /*v274*/
	s_set_vgpr_msb 64                       ;  msbs: dst=1 src0=0 src1=0 src2=0
	v_dual_lshlrev_b32 v45 /*v301*/, 16, v146 :: v_dual_lshlrev_b32 v46 /*v302*/, 8, v146
	s_set_vgpr_msb 1                        ;  msbs: dst=0 src0=1 src1=0 src2=0
	v_dot4_i32_iu8 v85, v15 /*v271*/, v85, v112 neg_lo:[1,1,0]
	s_set_vgpr_msb 0x45                     ;  msbs: dst=1 src0=1 src1=1 src2=0
	v_or_b32_e32 v23 /*v279*/, v23 /*v279*/, v26 /*v282*/
	s_set_vgpr_msb 17                       ;  msbs: dst=0 src0=1 src1=0 src2=1
	v_dot4_i32_iu8 v81, v15 /*v271*/, v81, v27 /*v283*/ neg_lo:[1,1,0]
	v_dot4_i32_iu8 v91, v15 /*v271*/, v91, v22 /*v278*/ neg_lo:[1,1,0]
	s_set_vgpr_msb 4                        ;  msbs: dst=0 src0=0 src1=1 src2=0
	v_dot4_i32_iu8 v123, v123, v21 /*v277*/, 0 neg_lo:[1,1,0]
	s_set_vgpr_msb 0                        ;  msbs: dst=0 src0=0 src1=0 src2=0
	v_dot4_i32_iu8 v85, v160, v180, v85 neg_lo:[1,1,0]
	s_set_vgpr_msb 4                        ;  msbs: dst=0 src0=0 src1=1 src2=0
	v_perm_b32 v82, v167, v46 /*v302*/, 0x407030c
	s_set_vgpr_msb 0                        ;  msbs: dst=0 src0=0 src1=0 src2=0
	v_dot4_i32_iu8 v81, v160, v106, v81 neg_lo:[1,1,0]
	s_set_vgpr_msb 5                        ;  msbs: dst=0 src0=1 src1=1 src2=0
	v_perm_b32 v106, v45 /*v301*/, v45 /*v301*/, 0xc0c0c03
	s_set_vgpr_msb 0                        ;  msbs: dst=0 src0=0 src1=0 src2=0
	v_dot4_i32_iu8 v91, v160, v182, v91 neg_lo:[1,1,0]
	s_set_vgpr_msb 1                        ;  msbs: dst=0 src0=1 src1=0 src2=0
	v_dot4_i32_iu8 v112, v23 /*v279*/, v181, v85 neg_lo:[1,1,0]
	s_set_vgpr_msb 0                        ;  msbs: dst=0 src0=0 src1=0 src2=0
	v_perm_b32 v85, v179, v170, 0x407030c
	s_set_vgpr_msb 5                        ;  msbs: dst=0 src0=1 src1=1 src2=0
	v_perm_b32 v180, v25 /*v281*/, v25 /*v281*/, 0xc0c0c03
	s_set_vgpr_msb 1                        ;  msbs: dst=0 src0=1 src1=0 src2=0
	v_dot4_i32_iu8 v89, v15 /*v271*/, v89, v148 neg_lo:[1,1,0]
	s_set_vgpr_msb 64                       ;  msbs: dst=1 src0=0 src1=0 src2=0
	v_perm_b32 v29 /*v285*/, v136, v107, 0x7020100
	v_perm_b32 v30 /*v286*/, v107, v107, 0x2010003
	s_set_vgpr_msb 0x55                     ;  msbs: dst=1 src0=1 src1=1 src2=1
	v_dot4_i32_iu8 v38 /*v294*/, v43 /*v299*/, v63 /*v319*/, v38 /*v294*/ neg_lo:[1,1,0]
	v_dot4_i32_iu8 v39 /*v295*/, v43 /*v299*/, v68 /*v324*/, v39 /*v295*/ neg_lo:[1,1,0]
	v_dot4_i32_iu8 v43 /*v299*/, v62 /*v318*/, v68 /*v324*/, v60 /*v316*/ neg_lo:[1,1,0]
	s_set_vgpr_msb 4                        ;  msbs: dst=0 src0=0 src1=1 src2=0
	v_dot4_i32_iu8 v123, v83, v41 /*v297*/, v123 neg_lo:[1,1,0]
	s_set_vgpr_msb 0                        ;  msbs: dst=0 src0=0 src1=0 src2=0
	v_perm_b32 v83, v142, v183, 0x4070201
	s_set_vgpr_msb 64                       ;  msbs: dst=1 src0=0 src1=0 src2=0
	v_perm_b32 v18 /*v274*/, v183, v183, 0x2010003
	s_set_vgpr_msb 1                        ;  msbs: dst=0 src0=1 src1=0 src2=0
	v_dot4_i32_iu8 v81, v23 /*v279*/, v107, v81 neg_lo:[1,1,0]
	v_dot4_i32_iu8 v107, v23 /*v279*/, v183, v91 neg_lo:[1,1,0]
	s_set_vgpr_msb 0                        ;  msbs: dst=0 src0=0 src1=0 src2=0
	v_or_b32_e32 v82, v82, v106
	v_or_b32_e32 v180, v85, v180
	v_perm_b32 v183, v144, v177, 0x4070201
	v_dot4_i32_iu8 v89, v160, v176, v89 neg_lo:[1,1,0]
	s_set_vgpr_msb 0x50                     ;  msbs: dst=1 src0=0 src1=0 src2=1
	v_perm_b32 v28 /*v284*/, v136, v136, 0xc0c0100
	v_dual_lshlrev_b32 v53 /*v309*/, 16, v150 :: v_dual_lshlrev_b32 v54 /*v310*/, 8, v150
	v_dot4_i32_iu8 v27 /*v283*/, v82, v183, v39 /*v295*/ neg_lo:[1,1,0]
	s_set_vgpr_msb 16                       ;  msbs: dst=0 src0=0 src1=0 src2=1
	v_dot4_i32_iu8 v180, v180, v183, v43 /*v299*/ neg_lo:[1,1,0]
	s_set_vgpr_msb 1                        ;  msbs: dst=0 src0=1 src1=0 src2=0
	v_dot4_i32_iu8 v89, v23 /*v279*/, v177, v89 neg_lo:[1,1,0]
	s_set_vgpr_msb 64                       ;  msbs: dst=1 src0=0 src1=0 src2=0
	v_perm_b32 v39 /*v295*/, v144, v144, 0xc0c0100
	v_perm_b32 v43 /*v299*/, v142, v142, 0xc0c0100
	s_set_vgpr_msb 0x45                     ;  msbs: dst=1 src0=1 src1=1 src2=0
	v_dot4_i32_iu8 v28 /*v284*/, v19 /*v275*/, v28 /*v284*/, v81 neg_lo:[1,1,0]
	s_set_vgpr_msb 0                        ;  msbs: dst=0 src0=0 src1=0 src2=0
	v_perm_b32 v81, v140, v140, 0xc0c0100
	s_set_vgpr_msb 4                        ;  msbs: dst=0 src0=0 src1=1 src2=0
	v_dot4_i32_iu8 v125, v125, v21 /*v277*/, 0 neg_lo:[1,1,0]
	s_set_vgpr_msb 5                        ;  msbs: dst=0 src0=1 src1=1 src2=0
	v_dot4_i32_iu8 v89, v19 /*v275*/, v39 /*v295*/, v89 neg_lo:[1,1,0]
	s_set_vgpr_msb 64                       ;  msbs: dst=1 src0=0 src1=0 src2=0
	v_lshlrev_b32_e32 v39 /*v295*/, 16, v110
	s_set_vgpr_msb 5                        ;  msbs: dst=0 src0=1 src1=1 src2=0
	v_dot4_i32_iu8 v107, v19 /*v275*/, v43 /*v299*/, v107 neg_lo:[1,1,0]
	s_set_vgpr_msb 64                       ;  msbs: dst=1 src0=0 src1=0 src2=0
	v_lshlrev_b32_e32 v43 /*v299*/, 8, v110
	s_set_vgpr_msb 1                        ;  msbs: dst=0 src0=1 src1=0 src2=0
	v_dot4_i32_iu8 v112, v19 /*v275*/, v81, v112 neg_lo:[1,1,0]
	s_set_vgpr_msb 4                        ;  msbs: dst=0 src0=0 src1=1 src2=0
	v_dot4_i32_iu8 v115, v115, v21 /*v277*/, 0 neg_lo:[1,1,0]
	s_set_vgpr_msb 1                        ;  msbs: dst=0 src0=1 src1=0 src2=0
	v_perm_b32 v81, v39 /*v295*/, v110, 0xc0c0700
	s_set_vgpr_msb 0x54                     ;  msbs: dst=1 src0=0 src1=1 src2=1
	v_dot4_i32_iu8 v49 /*v305*/, v178, v40 /*v296*/, v49 /*v305*/ neg_lo:[1,1,0]
	v_perm_b32 v19 /*v275*/, v149, v43 /*v299*/, 0x7030c0c
	v_dot4_i32_iu8 v51 /*v307*/, v168, v40 /*v296*/, v51 /*v307*/ neg_lo:[1,1,0]
	s_set_vgpr_msb 64                       ;  msbs: dst=1 src0=0 src1=0 src2=0
	v_lshlrev_b32_e32 v40 /*v296*/, 16, v162
	s_set_vgpr_msb 4                        ;  msbs: dst=0 src0=0 src1=1 src2=0
	v_perm_b32 v91, v171, v54 /*v310*/, 0x407030c
	s_set_vgpr_msb 5                        ;  msbs: dst=0 src0=1 src1=1 src2=0
	v_perm_b32 v182, v53 /*v309*/, v53 /*v309*/, 0xc0c0c03
	s_set_vgpr_msb 0                        ;  msbs: dst=0 src0=0 src1=0 src2=0
	v_perm_b32 v148, v144, v177, 0x7020100
	s_set_vgpr_msb 1                        ;  msbs: dst=0 src0=1 src1=0 src2=0
	v_or_b32_e32 v81, v19 /*v275*/, v81
	s_set_vgpr_msb 4                        ;  msbs: dst=0 src0=0 src1=1 src2=0
	v_dot4_i32_iu8 v125, v178, v41 /*v297*/, v125 neg_lo:[1,1,0]
	v_dot4_i32_iu8 v115, v168, v41 /*v297*/, v115 neg_lo:[1,1,0]
	s_set_vgpr_msb 0                        ;  msbs: dst=0 src0=0 src1=0 src2=0
	v_perm_b32 v168, v140, v181, 0x4070201
	s_set_vgpr_msb 64                       ;  msbs: dst=1 src0=0 src1=0 src2=0
	v_dual_lshlrev_b32 v41 /*v297*/, 16, v154 :: v_dual_lshlrev_b32 v15 /*v271*/, 16, v169
	v_perm_b32 v26 /*v282*/, v181, v181, 0x2010003
	s_set_vgpr_msb 0                        ;  msbs: dst=0 src0=0 src1=0 src2=0
	v_perm_b32 v106, v169, v159, 0x407030c
	v_or_b32_e32 v181, v91, v182
	s_set_vgpr_msb 5                        ;  msbs: dst=0 src0=1 src1=1 src2=0
	v_perm_b32 v91, v40 /*v296*/, v40 /*v296*/, 0xc0c0c03
	s_set_vgpr_msb 4                        ;  msbs: dst=0 src0=0 src1=1 src2=0
	v_dot4_i32_iu8 v104, v81, v29 /*v285*/, v104 neg_lo:[1,1,0]
	s_set_vgpr_msb 0                        ;  msbs: dst=0 src0=0 src1=0 src2=0
	v_dot4_i32_iu8 v172, v81, v148, v172 neg_lo:[1,1,0]
	s_set_vgpr_msb 4                        ;  msbs: dst=0 src0=0 src1=1 src2=0
	v_perm_b32 v81, v170, v25 /*v281*/, 0x7030c0c
	s_set_vgpr_msb 0x45                     ;  msbs: dst=1 src0=1 src1=1 src2=0
	v_perm_b32 v25 /*v281*/, v46 /*v302*/, v45 /*v301*/, 0x7030c0c
	s_wait_dscnt 0x4
	s_set_vgpr_msb 64                       ;  msbs: dst=1 src0=0 src1=0 src2=0
	v_lshlrev_b32_e32 v45 /*v301*/, 16, v152
	s_set_vgpr_msb 4                        ;  msbs: dst=0 src0=0 src1=1 src2=0
	v_perm_b32 v159, v159, v40 /*v296*/, 0x7030c0c
	s_set_vgpr_msb 64                       ;  msbs: dst=1 src0=0 src1=0 src2=0
	v_lshlrev_b32_e32 v40 /*v296*/, 8, v152
	s_set_vgpr_msb 0                        ;  msbs: dst=0 src0=0 src1=0 src2=0
	v_perm_b32 v156, v156, v156, 0xc0c0003
	v_perm_b32 v85, v175, v113, 0x407030c
	v_or_b32_e32 v106, v106, v91
	s_set_vgpr_msb 5                        ;  msbs: dst=0 src0=1 src1=1 src2=0
	v_perm_b32 v91, v41 /*v297*/, v41 /*v297*/, 0xc0c0c03
	s_set_vgpr_msb 4                        ;  msbs: dst=0 src0=0 src1=1 src2=0
	v_perm_b32 v113, v113, v41 /*v297*/, 0x7030c0c
	s_set_vgpr_msb 0x45                     ;  msbs: dst=1 src0=1 src1=1 src2=0
	v_perm_b32 v46 /*v302*/, v54 /*v310*/, v53 /*v309*/, 0x7030c0c
	v_perm_b32 v40 /*v296*/, v40 /*v296*/, v45 /*v301*/, 0x7030c0c
	;; [unrolled: 1-line block ×3, first 2 shown]
	s_set_vgpr_msb 0                        ;  msbs: dst=0 src0=0 src1=0 src2=0
	v_perm_b32 v162, v162, v162, 0xc0c0003
	v_or_b32_e32 v156, v81, v156
	v_perm_b32 v81, v154, v154, 0xc0c0003
	v_perm_b32 v150, v150, v150, 0xc0c0003
	;; [unrolled: 1-line block ×4, first 2 shown]
	s_set_vgpr_msb 0x55                     ;  msbs: dst=1 src0=1 src1=1 src2=1
	v_dot4_i32_iu8 v16 /*v272*/, v64 /*v320*/, v68 /*v324*/, v16 /*v272*/ neg_lo:[1,1,0]
	v_dot4_i32_iu8 v17 /*v273*/, v59 /*v315*/, v68 /*v324*/, v17 /*v273*/ neg_lo:[1,1,0]
	s_set_vgpr_msb 64                       ;  msbs: dst=1 src0=0 src1=0 src2=0
	v_lshlrev_b32_e32 v21 /*v277*/, 8, v171
	s_set_vgpr_msb 0                        ;  msbs: dst=0 src0=0 src1=0 src2=0
	v_or_b32_e32 v182, v85, v91
	v_perm_b32 v176, v177, v177, 0x2010003
	v_or_b32_e32 v154, v159, v162
	v_or_b32_e32 v113, v113, v81
	s_set_vgpr_msb 1                        ;  msbs: dst=0 src0=1 src1=0 src2=0
	v_or_b32_e32 v150, v46 /*v302*/, v150
	v_or_b32_e32 v152, v40 /*v296*/, v152
	v_or_b32_e32 v110, v39 /*v295*/, v110
	s_set_vgpr_msb 0x50                     ;  msbs: dst=1 src0=0 src1=0 src2=1
	v_dot4_i32_iu8 v22 /*v278*/, v181, v83, v37 /*v293*/ neg_lo:[1,1,0]
	s_set_vgpr_msb 16                       ;  msbs: dst=0 src0=0 src1=0 src2=1
	v_dot4_i32_iu8 v106, v106, v183, v16 /*v272*/ neg_lo:[1,1,0]
	v_dot4_i32_iu8 v182, v182, v183, v17 /*v273*/ neg_lo:[1,1,0]
	;; [unrolled: 1-line block ×3, first 2 shown]
	v_dual_lshlrev_b32 v183, 8, v179 :: v_dual_lshlrev_b32 v160, 16, v179
	v_lshlrev_b32_e32 v177, 8, v169
	v_perm_b32 v146, v146, v146, 0xc0c0003
	s_set_vgpr_msb 0x54                     ;  msbs: dst=1 src0=0 src1=1 src2=1
	v_dot4_i32_iu8 v39 /*v295*/, v156, v18 /*v274*/, v49 /*v305*/ neg_lo:[1,1,0]
	v_dot4_i32_iu8 v40 /*v296*/, v154, v30 /*v286*/, v52 /*v308*/ neg_lo:[1,1,0]
	;; [unrolled: 1-line block ×3, first 2 shown]
	s_set_vgpr_msb 4                        ;  msbs: dst=0 src0=0 src1=1 src2=0
	v_dot4_i32_iu8 v115, v154, v26 /*v282*/, v115 neg_lo:[1,1,0]
	s_set_vgpr_msb 0x54                     ;  msbs: dst=1 src0=0 src1=1 src2=1
	v_dot4_i32_iu8 v46 /*v302*/, v113, v18 /*v274*/, v57 /*v313*/ neg_lo:[1,1,0]
	v_dot4_i32_iu8 v42 /*v298*/, v150, v30 /*v286*/, v42 /*v298*/ neg_lo:[1,1,0]
	s_set_vgpr_msb 4                        ;  msbs: dst=0 src0=0 src1=1 src2=0
	v_dot4_i32_iu8 v121, v150, v26 /*v282*/, v121 neg_lo:[1,1,0]
	v_dot4_i32_iu8 v105, v152, v30 /*v286*/, v105 neg_lo:[1,1,0]
	v_perm_b32 v150, v147, v48 /*v304*/, 0x407030c
	s_set_vgpr_msb 16                       ;  msbs: dst=0 src0=0 src1=0 src2=1
	v_dot4_i32_iu8 v176, v152, v176, v14 /*v270*/ neg_lo:[1,1,0]
	s_set_vgpr_msb 5                        ;  msbs: dst=0 src0=1 src1=1 src2=0
	v_perm_b32 v154, v47 /*v303*/, v47 /*v303*/, 0xc0c0c03
	s_set_vgpr_msb 0x54                     ;  msbs: dst=1 src0=0 src1=1 src2=1
	v_dot4_i32_iu8 v14 /*v270*/, v152, v18 /*v274*/, v50 /*v306*/ neg_lo:[1,1,0]
	s_set_vgpr_msb 4                        ;  msbs: dst=0 src0=0 src1=1 src2=0
	v_dot4_i32_iu8 v139, v152, v26 /*v282*/, v139 neg_lo:[1,1,0]
	v_perm_b32 v152, v151, v21 /*v277*/, 0x407030c
	v_dot4_i32_iu8 v174, v110, v18 /*v274*/, v174 neg_lo:[1,1,0]
	s_set_vgpr_msb 0x45                     ;  msbs: dst=1 src0=1 src1=1 src2=0
	v_perm_b32 v18 /*v274*/, v55 /*v311*/, v55 /*v311*/, 0xc0c0c03
	s_set_vgpr_msb 64                       ;  msbs: dst=1 src0=0 src1=0 src2=0
	v_dual_lshlrev_b32 v20 /*v276*/, 8, v175 :: v_dual_lshlrev_b32 v23 /*v279*/, 16, v175
	s_set_vgpr_msb 1                        ;  msbs: dst=0 src0=1 src1=0 src2=0
	v_or_b32_e32 v146, v25 /*v281*/, v146
	s_set_vgpr_msb 4                        ;  msbs: dst=0 src0=0 src1=1 src2=0
	v_dot4_i32_iu8 v125, v156, v26 /*v282*/, v125 neg_lo:[1,1,0]
	s_set_vgpr_msb 0x54                     ;  msbs: dst=1 src0=0 src1=1 src2=1
	v_dot4_i32_iu8 v45 /*v301*/, v113, v30 /*v286*/, v56 /*v312*/ neg_lo:[1,1,0]
	s_set_vgpr_msb 4                        ;  msbs: dst=0 src0=0 src1=1 src2=0
	v_dot4_i32_iu8 v113, v113, v26 /*v282*/, v123 neg_lo:[1,1,0]
	v_dot4_i32_iu8 v109, v110, v26 /*v282*/, v109 neg_lo:[1,1,0]
	s_set_vgpr_msb 0                        ;  msbs: dst=0 src0=0 src1=0 src2=0
	v_perm_b32 v110, v157, v183, 0x407030c
	s_set_vgpr_msb 64                       ;  msbs: dst=1 src0=0 src1=0 src2=0
	v_perm_b32 v26 /*v282*/, v160, v160, 0xc0c0c03
	s_set_vgpr_msb 0                        ;  msbs: dst=0 src0=0 src1=0 src2=0
	v_or_b32_e32 v150, v150, v154
	v_perm_b32 v154, v163, v177, 0x407030c
	s_set_vgpr_msb 4                        ;  msbs: dst=0 src0=0 src1=1 src2=0
	v_or_b32_e32 v152, v152, v18 /*v274*/
	s_set_vgpr_msb 0x45                     ;  msbs: dst=1 src0=1 src1=1 src2=0
	v_perm_b32 v18 /*v274*/, v15 /*v271*/, v15 /*v271*/, 0xc0c0c03
	s_set_vgpr_msb 16                       ;  msbs: dst=0 src0=0 src1=0 src2=1
	v_dot4_i32_iu8 v168, v82, v168, v24 /*v280*/ neg_lo:[1,1,0]
	s_set_vgpr_msb 0x50                     ;  msbs: dst=1 src0=0 src1=0 src2=1
	v_dot4_i32_iu8 v24 /*v280*/, v82, v83, v38 /*v294*/ neg_lo:[1,1,0]
	s_set_vgpr_msb 0                        ;  msbs: dst=0 src0=0 src1=0 src2=0
	v_perm_b32 v148, v141, v140, 0x4070201
	s_set_vgpr_msb 64                       ;  msbs: dst=1 src0=0 src1=0 src2=0
	v_perm_b32 v41 /*v297*/, v143, v142, 0x4070201
	s_set_vgpr_msb 4                        ;  msbs: dst=0 src0=0 src1=1 src2=0
	v_dot4_i32_iu8 v119, v146, v30 /*v286*/, v119 neg_lo:[1,1,0]
	s_set_vgpr_msb 0                        ;  msbs: dst=0 src0=0 src1=0 src2=0
	v_perm_b32 v146, v145, v144, 0x4070201
	s_set_vgpr_msb 4                        ;  msbs: dst=0 src0=0 src1=1 src2=0
	v_or_b32_e32 v110, v110, v26 /*v282*/
	s_set_vgpr_msb 0x44                     ;  msbs: dst=1 src0=0 src1=1 src2=0
	v_perm_b32 v26 /*v282*/, v155, v20 /*v276*/, 0x407030c
	s_set_vgpr_msb 4                        ;  msbs: dst=0 src0=0 src1=1 src2=0
	v_or_b32_e32 v154, v154, v18 /*v274*/
	s_set_vgpr_msb 0x45                     ;  msbs: dst=1 src0=1 src1=1 src2=0
	v_perm_b32 v18 /*v274*/, v23 /*v279*/, v23 /*v279*/, 0xc0c0c03
	s_set_vgpr_msb 64                       ;  msbs: dst=1 src0=0 src1=0 src2=0
	v_perm_b32 v31 /*v287*/, v136, v136, 0xc0c0302
	s_set_vgpr_msb 0x54                     ;  msbs: dst=1 src0=0 src1=1 src2=1
	v_dot4_i32_iu8 v25 /*v281*/, v156, v30 /*v286*/, v44 /*v300*/ neg_lo:[1,1,0]
	s_set_vgpr_msb 0                        ;  msbs: dst=0 src0=0 src1=0 src2=0
	v_dot4_i32_iu8 v168, v150, v148, v168 neg_lo:[1,1,0]
	v_perm_b32 v148, v142, v142, 0xc0c0302
	s_set_vgpr_msb 0x45                     ;  msbs: dst=1 src0=1 src1=1 src2=0
	v_or_b32_e32 v18 /*v274*/, v26 /*v282*/, v18 /*v274*/
	s_set_vgpr_msb 64                       ;  msbs: dst=1 src0=0 src1=0 src2=0
	v_perm_b32 v26 /*v282*/, v144, v144, 0xc0c0302
	s_set_vgpr_msb 0x54                     ;  msbs: dst=1 src0=0 src1=1 src2=1
	v_dot4_i32_iu8 v24 /*v280*/, v150, v41 /*v297*/, v24 /*v280*/ neg_lo:[1,1,0]
	s_set_vgpr_msb 0x50                     ;  msbs: dst=1 src0=0 src1=0 src2=1
	v_perm_b32 v30 /*v286*/, v140, v140, 0xc0c0302
	v_dot4_i32_iu8 v27 /*v283*/, v150, v146, v27 /*v283*/ neg_lo:[1,1,0]
	s_set_vgpr_msb 0                        ;  msbs: dst=0 src0=0 src1=0 src2=0
	v_lshlrev_b32_e32 v150, 16, v149
	v_dot4_i32_iu8 v110, v110, v146, v180 neg_lo:[1,1,0]
	v_lshlrev_b32_e32 v180, 8, v149
	s_set_vgpr_msb 0x54                     ;  msbs: dst=1 src0=0 src1=1 src2=1
	v_dot4_i32_iu8 v28 /*v284*/, v161, v31 /*v287*/, v28 /*v284*/ neg_lo:[1,1,0]
	s_set_vgpr_msb 0x44                     ;  msbs: dst=1 src0=0 src1=1 src2=0
	v_dot4_i32_iu8 v26 /*v282*/, v161, v26 /*v282*/, v89 neg_lo:[1,1,0]
	s_set_vgpr_msb 64                       ;  msbs: dst=1 src0=0 src1=0 src2=0
	v_dot4_i32_iu8 v60 /*v316*/, v161, v148, v107 neg_lo:[1,1,0]
	s_set_vgpr_msb 4                        ;  msbs: dst=0 src0=0 src1=1 src2=0
	v_dot4_i32_iu8 v161, v161, v30 /*v286*/, v112 neg_lo:[1,1,0]
	s_set_vgpr_msb 0                        ;  msbs: dst=0 src0=0 src1=0 src2=0
	v_perm_b32 v89, v150, v149, 0xc0c0700
	v_perm_b32 v112, v111, v180, 0x7030c0c
	s_set_vgpr_msb 64                       ;  msbs: dst=1 src0=0 src1=0 src2=0
	v_perm_b32 v32 /*v288*/, v137, v136, 0x7020100
	v_perm_b32 v33 /*v289*/, v136, v136, 0x2010003
	s_set_vgpr_msb 0                        ;  msbs: dst=0 src0=0 src1=0 src2=0
	v_perm_b32 v136, v137, v137, 0xc0c0100
	v_perm_b32 v179, v179, v179, 0xc0c0003
	v_or_b32_e32 v89, v112, v89
	v_perm_b32 v167, v167, v167, 0xc0c0003
	v_perm_b32 v169, v169, v169, 0xc0c0003
	;; [unrolled: 1-line block ×3, first 2 shown]
	s_set_vgpr_msb 64                       ;  msbs: dst=1 src0=0 src1=0 src2=0
	v_dual_lshlrev_b32 v58 /*v314*/, 16, v173 :: v_dual_lshlrev_b32 v59 /*v315*/, 8, v173
	s_set_vgpr_msb 0                        ;  msbs: dst=0 src0=0 src1=0 src2=0
	v_dot4_i32_iu8 v106, v154, v146, v106 neg_lo:[1,1,0]
	v_perm_b32 v154, v145, v144, 0x7020100
	s_set_vgpr_msb 64                       ;  msbs: dst=1 src0=0 src1=0 src2=0
	v_dual_lshlrev_b32 v30 /*v286*/, 16, v153 :: v_dual_lshlrev_b32 v62 /*v318*/, 8, v153
	v_lshlrev_b32_e32 v66 /*v322*/, 16, v138
	v_perm_b32 v63 /*v319*/, v153, v153, 0xc0c0003
	s_set_vgpr_msb 0x44                     ;  msbs: dst=1 src0=0 src1=1 src2=0
	v_dot4_i32_iu8 v32 /*v288*/, v89, v32 /*v288*/, v104 neg_lo:[1,1,0]
	s_set_vgpr_msb 0                        ;  msbs: dst=0 src0=0 src1=0 src2=0
	v_perm_b32 v104, v183, v160, 0x7030c0c
	s_set_vgpr_msb 5                        ;  msbs: dst=0 src0=1 src1=1 src2=0
	v_perm_b32 v112, v48 /*v304*/, v47 /*v303*/, 0x7030c0c
	v_perm_b32 v153, v20 /*v276*/, v23 /*v279*/, 0x7030c0c
	s_set_vgpr_msb 0x50                     ;  msbs: dst=1 src0=0 src1=0 src2=1
	v_dot4_i32_iu8 v28 /*v284*/, v135, v136, v28 /*v284*/ neg_lo:[1,1,0]
	s_set_vgpr_msb 4                        ;  msbs: dst=0 src0=0 src1=1 src2=0
	v_lshrrev_b32_e32 v136, 16, v8 /*v264*/
	s_set_vgpr_msb 0x54                     ;  msbs: dst=1 src0=0 src1=1 src2=1
	v_dot4_i32_iu8 v22 /*v278*/, v152, v41 /*v297*/, v22 /*v278*/ neg_lo:[1,1,0]
	s_set_vgpr_msb 0                        ;  msbs: dst=0 src0=0 src1=0 src2=0
	v_dot4_i32_iu8 v181, v152, v146, v181 neg_lo:[1,1,0]
	s_set_vgpr_msb 64                       ;  msbs: dst=1 src0=0 src1=0 src2=0
	v_lshlrev_b32_e32 v41 /*v297*/, 16, v163
	s_set_vgpr_msb 4                        ;  msbs: dst=0 src0=0 src1=1 src2=0
	v_perm_b32 v152, v177, v15 /*v271*/, 0x7030c0c
	s_set_vgpr_msb 0                        ;  msbs: dst=0 src0=0 src1=0 src2=0
	v_pk_mul_f16 v250, v233, v126
	v_perm_b32 v126, v137, v137, 0x2010003
	v_perm_b32 v242, v137, v137, 0xc0c0302
	v_lshlrev_b32_e32 v137, 16, v147
	v_perm_b32 v171, v171, v171, 0xc0c0003
	v_perm_b32 v173, v173, v173, 0xc0c0003
	;; [unrolled: 1-line block ×5, first 2 shown]
	v_dot4_i32_iu8 v172, v89, v154, v172 neg_lo:[1,1,0]
	s_set_vgpr_msb 5                        ;  msbs: dst=0 src0=1 src1=1 src2=0
	v_perm_b32 v154, v21 /*v277*/, v55 /*v311*/, 0x7030c0c
	v_perm_b32 v160, v59 /*v315*/, v58 /*v314*/, 0x7030c0c
	s_set_vgpr_msb 0                        ;  msbs: dst=0 src0=0 src1=0 src2=0
	v_perm_b32 v180, v180, v150, 0x7030c0c
	v_or_b32_e32 v104, v104, v179
	v_or_b32_e32 v112, v112, v167
	;; [unrolled: 1-line block ×4, first 2 shown]
	v_lshlrev_b32_e32 v178, 16, v151
	v_or_b32_e32 v171, v154, v171
	v_or_b32_e32 v160, v160, v173
	;; [unrolled: 1-line block ×3, first 2 shown]
	s_set_vgpr_msb 20                       ;  msbs: dst=0 src0=0 src1=1 src2=1
	v_dot4_i32_iu8 v179, v104, v33 /*v289*/, v25 /*v281*/ neg_lo:[1,1,0]
	s_set_vgpr_msb 16                       ;  msbs: dst=0 src0=0 src1=0 src2=1
	v_dot4_i32_iu8 v180, v104, v142, v39 /*v295*/ neg_lo:[1,1,0]
	s_set_vgpr_msb 0                        ;  msbs: dst=0 src0=0 src1=0 src2=0
	v_dot4_i32_iu8 v125, v104, v140, v125 neg_lo:[1,1,0]
	s_set_vgpr_msb 0x54                     ;  msbs: dst=1 src0=0 src1=1 src2=1
	v_dot4_i32_iu8 v25 /*v281*/, v167, v33 /*v289*/, v40 /*v296*/ neg_lo:[1,1,0]
	v_dot4_i32_iu8 v39 /*v295*/, v169, v33 /*v289*/, v45 /*v301*/ neg_lo:[1,1,0]
	s_set_vgpr_msb 0x50                     ;  msbs: dst=1 src0=0 src1=0 src2=1
	v_dot4_i32_iu8 v40 /*v296*/, v169, v142, v46 /*v302*/ neg_lo:[1,1,0]
	s_set_vgpr_msb 0                        ;  msbs: dst=0 src0=0 src1=0 src2=0
	v_dot4_i32_iu8 v169, v169, v140, v113 neg_lo:[1,1,0]
	s_set_vgpr_msb 4                        ;  msbs: dst=0 src0=0 src1=1 src2=0
	v_perm_b32 v104, v118, v11 /*v267*/, 0x407030c
	s_set_vgpr_msb 0                        ;  msbs: dst=0 src0=0 src1=0 src2=0
	v_perm_b32 v113, v137, v137, 0xc0c0c03
	v_lshlrev_b32_e32 v123, 8, v157
	s_set_vgpr_msb 64                       ;  msbs: dst=1 src0=0 src1=0 src2=0
	v_lshlrev_b32_e32 v49 /*v305*/, 16, v157
	s_set_vgpr_msb 0x44                     ;  msbs: dst=1 src0=0 src1=1 src2=0
	v_dot4_i32_iu8 v23 /*v279*/, v112, v33 /*v289*/, v119 neg_lo:[1,1,0]
	s_set_vgpr_msb 0x54                     ;  msbs: dst=1 src0=0 src1=1 src2=1
	v_dot4_i32_iu8 v42 /*v298*/, v171, v33 /*v289*/, v42 /*v298*/ neg_lo:[1,1,0]
	s_set_vgpr_msb 0x44                     ;  msbs: dst=1 src0=0 src1=1 src2=0
	v_dot4_i32_iu8 v33 /*v289*/, v160, v33 /*v289*/, v105 neg_lo:[1,1,0]
	s_set_vgpr_msb 0                        ;  msbs: dst=0 src0=0 src1=0 src2=0
	v_perm_b32 v105, v120, v166, 0x407030c
	v_or_b32_e32 v104, v104, v113
	v_perm_b32 v113, v178, v178, 0xc0c0c03
	v_perm_b32 v162, v132, v132, 0xc0c0201
	s_set_vgpr_msb 64                       ;  msbs: dst=1 src0=0 src1=0 src2=0
	v_perm_b32 v44 /*v300*/, v132, v145, 0x4070201
	s_set_vgpr_msb 1                        ;  msbs: dst=0 src0=1 src1=0 src2=0
	v_dot4_i32_iu8 v182, v18 /*v274*/, v146, v182 neg_lo:[1,1,0]
	s_set_vgpr_msb 64                       ;  msbs: dst=1 src0=0 src1=0 src2=0
	v_lshlrev_b32_e32 v18 /*v274*/, 8, v163
	v_dual_lshlrev_b32 v51 /*v307*/, 8, v155 :: v_dual_lshlrev_b32 v52 /*v308*/, 16, v155
	v_perm_b32 v53 /*v309*/, v155, v155, 0xc0c0003
	v_perm_b32 v61 /*v317*/, v132, v145, 0x7020100
	s_set_vgpr_msb 5                        ;  msbs: dst=0 src0=1 src1=1 src2=0
	v_or_b32_e32 v89, v34 /*v290*/, v35 /*v291*/
	s_set_vgpr_msb 64                       ;  msbs: dst=1 src0=0 src1=0 src2=0
	v_perm_b32 v20 /*v276*/, v133, v132, 0x7020100
	s_set_vgpr_msb 0                        ;  msbs: dst=0 src0=0 src1=0 src2=0
	v_perm_b32 v155, v132, v132, 0x2010003
	v_perm_b32 v152, v132, v132, 0xc0c0100
	s_set_vgpr_msb 0x50                     ;  msbs: dst=1 src0=0 src1=0 src2=1
	v_dot4_i32_iu8 v35 /*v291*/, v167, v142, v43 /*v299*/ neg_lo:[1,1,0]
	s_set_vgpr_msb 0                        ;  msbs: dst=0 src0=0 src1=0 src2=0
	v_dot4_i32_iu8 v167, v167, v140, v115 neg_lo:[1,1,0]
	v_dot4_i32_iu8 v171, v171, v140, v121 neg_lo:[1,1,0]
	;; [unrolled: 1-line block ×3, first 2 shown]
	s_set_vgpr_msb 64                       ;  msbs: dst=1 src0=0 src1=0 src2=0
	v_perm_b32 v47 /*v303*/, v132, v132, 0xc0c0302
	s_set_vgpr_msb 0                        ;  msbs: dst=0 src0=0 src1=0 src2=0
	v_dot4_i32_iu8 v132, v107, v142, v174 neg_lo:[1,1,0]
	v_dot4_i32_iu8 v140, v107, v140, v109 neg_lo:[1,1,0]
	v_perm_b32 v107, v124, v123, 0x407030c
	v_or_b32_e32 v105, v105, v113
	s_set_vgpr_msb 5                        ;  msbs: dst=0 src0=1 src1=1 src2=0
	v_perm_b32 v113, v49 /*v305*/, v49 /*v305*/, 0xc0c0c03
	s_set_vgpr_msb 4                        ;  msbs: dst=0 src0=0 src1=1 src2=0
	v_perm_b32 v109, v114, v18 /*v274*/, 0x407030c
	s_set_vgpr_msb 64                       ;  msbs: dst=1 src0=0 src1=0 src2=0
	v_perm_b32 v37 /*v293*/, v128, v128, 0xc0c0201
	v_perm_b32 v38 /*v294*/, v129, v129, 0x4030c0c
	s_set_vgpr_msb 4                        ;  msbs: dst=0 src0=0 src1=1 src2=0
	v_perm_b32 v112, v122, v51 /*v307*/, 0x407030c
	s_set_vgpr_msb 0                        ;  msbs: dst=0 src0=0 src1=0 src2=0
	v_or_b32_e32 v107, v107, v113
	s_set_vgpr_msb 5                        ;  msbs: dst=0 src0=1 src1=1 src2=0
	v_perm_b32 v113, v41 /*v297*/, v41 /*v297*/, 0xc0c0c03
	s_set_vgpr_msb 0                        ;  msbs: dst=0 src0=0 src1=0 src2=0
	v_dual_lshlrev_b32 v85, 16, v120 :: v_dual_lshlrev_b32 v91, 8, v120
	s_set_vgpr_msb 0x45                     ;  msbs: dst=1 src0=1 src1=1 src2=0
	v_or_b32_e32 v37 /*v293*/, v38 /*v294*/, v37 /*v293*/
	s_set_vgpr_msb 64                       ;  msbs: dst=1 src0=0 src1=0 src2=0
	v_perm_b32 v38 /*v294*/, v120, v120, 0xc0c0003
	s_set_vgpr_msb 0                        ;  msbs: dst=0 src0=0 src1=0 src2=0
	v_or_b32_e32 v109, v109, v113
	s_set_vgpr_msb 5                        ;  msbs: dst=0 src0=1 src1=1 src2=0
	v_perm_b32 v113, v52 /*v308*/, v52 /*v308*/, 0xc0c0c03
	s_set_vgpr_msb 0x44                     ;  msbs: dst=1 src0=0 src1=1 src2=0
	v_dot4_i32_iu8 v78 /*v334*/, v107, v44 /*v300*/, v110 neg_lo:[1,1,0]
	s_set_vgpr_msb 4                        ;  msbs: dst=0 src0=0 src1=1 src2=0
	v_lshrrev_b32_e32 v110, 16, v9 /*v265*/
	s_set_vgpr_msb 0                        ;  msbs: dst=0 src0=0 src1=0 src2=0
	v_lshlrev_b32_e32 v120, 16, v111
	s_set_vgpr_msb 0x44                     ;  msbs: dst=1 src0=0 src1=1 src2=0
	v_dot4_i32_iu8 v80 /*v336*/, v109, v44 /*v300*/, v106 neg_lo:[1,1,0]
	s_set_vgpr_msb 0                        ;  msbs: dst=0 src0=0 src1=0 src2=0
	v_or_b32_e32 v112, v112, v113
	s_set_vgpr_msb 4                        ;  msbs: dst=0 src0=0 src1=1 src2=0
	v_lshrrev_b32_e32 v109, 16, v10 /*v266*/
	s_set_vgpr_msb 64                       ;  msbs: dst=1 src0=0 src1=0 src2=0
	v_perm_b32 v16 /*v272*/, v130, v130, 0xc0c0201
	v_perm_b32 v17 /*v273*/, v131, v131, 0x4030c0c
	s_set_vgpr_msb 0                        ;  msbs: dst=0 src0=0 src1=0 src2=0
	v_perm_b32 v170, v130, v141, 0x4070201
	v_perm_b32 v159, v128, v143, 0x4070201
	s_set_vgpr_msb 64                       ;  msbs: dst=1 src0=0 src1=0 src2=0
	v_perm_b32 v50 /*v306*/, v147, v147, 0xc0c0003
	s_set_vgpr_msb 0                        ;  msbs: dst=0 src0=0 src1=0 src2=0
	v_perm_b32 v163, v163, v163, 0xc0c0003
	v_perm_b32 v144, v144, v144, 0x2010003
	s_set_vgpr_msb 64                       ;  msbs: dst=1 src0=0 src1=0 src2=0
	v_perm_b32 v65 /*v321*/, v133, v133, 0xc0c0c01
	v_dual_lshlrev_b32 v67 /*v323*/, 8, v138 :: v_dual_lshlrev_b32 v69 /*v325*/, 8, v124
	v_perm_b32 v68 /*v324*/, v138, v138, 0xc0c0003
	v_dual_lshlrev_b32 v34 /*v290*/, 16, v124 :: v_dual_lshlrev_b32 v15 /*v271*/, 8, v122
	s_set_vgpr_msb 0                        ;  msbs: dst=0 src0=0 src1=0 src2=0
	v_perm_b32 v138, v94, v133, 0x504020c
	s_set_vgpr_msb 64                       ;  msbs: dst=1 src0=0 src1=0 src2=0
	v_lshlrev_b32_e32 v74 /*v330*/, 16, v122
	v_perm_b32 v75 /*v331*/, v124, v124, 0xc0c0003
	v_perm_b32 v77 /*v333*/, v122, v122, 0xc0c0003
	s_set_vgpr_msb 4                        ;  msbs: dst=0 src0=0 src1=1 src2=0
	v_dot4_i32_iu8 v182, v112, v44 /*v300*/, v182 neg_lo:[1,1,0]
	s_set_vgpr_msb 0                        ;  msbs: dst=0 src0=0 src1=0 src2=0
	v_lshlrev_b32_e32 v121, 8, v111
	v_cvt_f32_f16_e32 v113, v109
	v_cvt_f32_f16_e32 v112, v110
	v_perm_b32 v122, v111, v111, 0xc0c0003
	v_perm_b32 v109, v120, v111, 0xc0c0700
	s_set_vgpr_msb 4                        ;  msbs: dst=0 src0=0 src1=1 src2=0
	v_perm_b32 v110, v123, v49 /*v305*/, 0x7030c0c
	s_set_vgpr_msb 1                        ;  msbs: dst=0 src0=1 src1=0 src2=0
	v_perm_b32 v111, v11 /*v267*/, v137, 0x7030c0c
	s_set_vgpr_msb 5                        ;  msbs: dst=0 src0=1 src1=1 src2=0
	v_perm_b32 v123, v18 /*v274*/, v41 /*v297*/, 0x7030c0c
	v_perm_b32 v124, v51 /*v307*/, v52 /*v308*/, 0x7030c0c
	s_set_vgpr_msb 1                        ;  msbs: dst=0 src0=1 src1=0 src2=0
	v_dual_lshlrev_b32 v243, 16, v118 :: v_dual_lshlrev_b32 v244, 8, v118
	v_cvt_f32_f16_e64 v83, v12 /*v268*/
	s_set_vgpr_msb 0x44                     ;  msbs: dst=1 src0=0 src1=1 src2=0
	v_lshrrev_b32_e32 v12 /*v268*/, 16, v12 /*v268*/
	s_set_vgpr_msb 64                       ;  msbs: dst=1 src0=0 src1=0 src2=0
	v_perm_b32 v19 /*v275*/, v84, v131, 0x504020c
	v_perm_b32 v29 /*v285*/, v131, v131, 0xc0c0c01
	s_set_vgpr_msb 0                        ;  msbs: dst=0 src0=0 src1=0 src2=0
	v_perm_b32 v81, v129, v129, 0xc0c0601
	v_perm_b32 v156, v133, v133, 0x4030c0c
	;; [unrolled: 1-line block ×3, first 2 shown]
	s_set_vgpr_msb 64                       ;  msbs: dst=1 src0=0 src1=0 src2=0
	v_perm_b32 v54 /*v310*/, v151, v151, 0xc0c0003
	v_perm_b32 v56 /*v312*/, v145, v145, 0xc0c0100
	;; [unrolled: 1-line block ×5, first 2 shown]
	s_set_vgpr_msb 0                        ;  msbs: dst=0 src0=0 src1=0 src2=0
	v_perm_b32 v146, v145, v145, 0xc0c0302
	v_perm_b32 v145, v143, v143, 0x2010003
	;; [unrolled: 1-line block ×6, first 2 shown]
	v_dual_lshlrev_b32 v183, 8, v114 :: v_dual_lshlrev_b32 v177, 16, v114
	v_perm_b32 v149, v128, v128, 0x2010003
	v_perm_b32 v150, v130, v130, 0x2010003
	;; [unrolled: 1-line block ×6, first 2 shown]
	s_wait_dscnt 0x2
	s_set_vgpr_msb 64                       ;  msbs: dst=1 src0=0 src1=0 src2=0
	v_perm_b32 v21 /*v277*/, v98, v133, 0x504020c
	s_set_vgpr_msb 0                        ;  msbs: dst=0 src0=0 src1=0 src2=0
	v_perm_b32 v119, v96, v133, 0x504020c
	v_dot4_i32_iu8 v144, v160, v144, v176 neg_lo:[1,1,0]
	v_perm_b32 v176, v129, v129, 0x6010007
	v_perm_b32 v174, v128, v128, 0xc0c0302
	s_set_vgpr_msb 64                       ;  msbs: dst=1 src0=0 src1=0 src2=0
	v_perm_b32 v48 /*v304*/, v130, v130, 0xc0c0302
	v_bfe_i32 v59 /*v315*/, v129, 0, 8
	v_perm_b32 v70 /*v326*/, v129, v129, 0xc070601
	v_perm_b32 v73 /*v329*/, v118, v118, 0xc0c0003
	;; [unrolled: 1-line block ×3, first 2 shown]
	s_set_vgpr_msb 0                        ;  msbs: dst=0 src0=0 src1=0 src2=0
	v_lshlrev_b32_e32 v114, 16, v87
	v_dot4_i32_iu8 v168, v104, v170, v168 neg_lo:[1,1,0]
	v_lshlrev_b32_e32 v118, 8, v87
	s_set_vgpr_msb 16                       ;  msbs: dst=0 src0=0 src1=0 src2=1
	v_dot4_i32_iu8 v170, v105, v159, v22 /*v278*/ neg_lo:[1,1,0]
	v_dot4_i32_iu8 v159, v104, v159, v24 /*v280*/ neg_lo:[1,1,0]
	s_set_vgpr_msb 0x54                     ;  msbs: dst=1 src0=0 src1=1 src2=1
	v_dot4_i32_iu8 v24 /*v280*/, v104, v44 /*v300*/, v27 /*v283*/ neg_lo:[1,1,0]
	s_set_vgpr_msb 1                        ;  msbs: dst=0 src0=1 src1=0 src2=0
	v_cvt_f32_f16_e64 v104, v9 /*v265*/
	s_set_vgpr_msb 0x45                     ;  msbs: dst=1 src0=1 src1=1 src2=0
	v_or_b32_e32 v9 /*v265*/, v17 /*v273*/, v16 /*v272*/
	s_set_vgpr_msb 64                       ;  msbs: dst=1 src0=0 src1=0 src2=0
	v_dual_lshlrev_b32 v17 /*v273*/, 16, v108 :: v_dual_lshlrev_b32 v18 /*v274*/, 8, v108
	s_set_vgpr_msb 0                        ;  msbs: dst=0 src0=0 src1=0 src2=0
	v_perm_b32 v128, v166, v178, 0x7030c0c
	s_set_vgpr_msb 5                        ;  msbs: dst=0 src0=1 src1=1 src2=0
	v_perm_b32 v129, v62 /*v318*/, v30 /*v286*/, 0x7030c0c
	s_set_vgpr_msb 0                        ;  msbs: dst=0 src0=0 src1=0 src2=0
	v_perm_b32 v130, v121, v120, 0x7030c0c
	v_perm_b32 v120, v108, v121, 0x7030c0c
	s_set_vgpr_msb 0x44                     ;  msbs: dst=1 src0=0 src1=1 src2=0
	v_or_b32_e32 v51 /*v307*/, v138, v65 /*v321*/
	s_set_vgpr_msb 4                        ;  msbs: dst=0 src0=0 src1=1 src2=0
	v_or_b32_e32 v138, v111, v50 /*v306*/
	s_set_vgpr_msb 0                        ;  msbs: dst=0 src0=0 src1=0 src2=0
	v_or_b32_e32 v123, v123, v163
	s_set_vgpr_msb 4                        ;  msbs: dst=0 src0=0 src1=1 src2=0
	v_or_b32_e32 v124, v124, v53 /*v309*/
	s_set_vgpr_msb 1                        ;  msbs: dst=0 src0=1 src1=0 src2=0
	v_cvt_f32_f16_e64 v82, v13 /*v269*/
	s_set_vgpr_msb 0x44                     ;  msbs: dst=1 src0=0 src1=1 src2=0
	v_lshrrev_b32_e32 v13 /*v269*/, 16, v13 /*v269*/
	s_wait_dscnt 0x1
	s_set_vgpr_msb 0                        ;  msbs: dst=0 src0=0 src1=0 src2=0
	v_perm_b32 v115, v102, v133, 0x4020c0c
	s_set_vgpr_msb 0x50                     ;  msbs: dst=1 src0=0 src1=0 src2=1
	v_perm_b32 v43 /*v299*/, v133, v133, 0xc0c0100
	v_perm_b32 v45 /*v301*/, v131, v131, 0x6010007
	v_dot4_i32_iu8 v14 /*v270*/, v160, v142, v14 /*v270*/ neg_lo:[1,1,0]
	v_bfe_i32 v71 /*v327*/, v131, 0, 8
	v_perm_b32 v72 /*v328*/, v131, v131, 0xc070601
	s_set_vgpr_msb 4                        ;  msbs: dst=0 src0=0 src1=1 src2=0
	v_dot4_i32_iu8 v181, v105, v44 /*v300*/, v181 neg_lo:[1,1,0]
	s_set_vgpr_msb 1                        ;  msbs: dst=0 src0=1 src1=0 src2=0
	v_cvt_f32_f16_e64 v105, v10 /*v266*/
	v_cvt_f32_f16_e64 v107, v12 /*v268*/
	s_set_vgpr_msb 0x45                     ;  msbs: dst=1 src0=1 src1=1 src2=0
	v_or_b32_e32 v10 /*v266*/, v19 /*v275*/, v29 /*v285*/
	s_set_vgpr_msb 64                       ;  msbs: dst=1 src0=0 src1=0 src2=0
	v_or_b32_e32 v12 /*v268*/, v156, v162
	s_set_vgpr_msb 0                        ;  msbs: dst=0 src0=0 src1=0 src2=0
	v_perm_b32 v178, v108, v108, 0xc0c0003
	s_set_vgpr_msb 0x41                     ;  msbs: dst=1 src0=1 src1=0 src2=0
	v_perm_b32 v29 /*v285*/, v17 /*v273*/, v108, 0xc0c0700
	s_set_vgpr_msb 0x45                     ;  msbs: dst=1 src0=1 src1=1 src2=0
	v_perm_b32 v41 /*v297*/, v67 /*v323*/, v66 /*v322*/, 0x7030c0c
	s_set_vgpr_msb 0x44                     ;  msbs: dst=1 src0=0 src1=1 src2=0
	v_or_b32_e32 v49 /*v305*/, v141, v65 /*v321*/
	s_set_vgpr_msb 0x45                     ;  msbs: dst=1 src0=1 src1=1 src2=0
	v_or_b32_e32 v21 /*v277*/, v21 /*v277*/, v65 /*v321*/
	s_set_vgpr_msb 0x44                     ;  msbs: dst=1 src0=0 src1=1 src2=0
	v_or_b32_e32 v52 /*v308*/, v119, v65 /*v321*/
	s_set_vgpr_msb 64                       ;  msbs: dst=1 src0=0 src1=0 src2=0
	v_perm_b32 v65 /*v321*/, v118, v114, 0xc0c0703
	v_perm_b32 v66 /*v322*/, v118, v114, 0x7030c0c
	s_set_vgpr_msb 0                        ;  msbs: dst=0 src0=0 src1=0 src2=0
	v_or_b32_e32 v118, v120, v109
	v_or_b32_e32 v131, v110, v157
	s_set_vgpr_msb 4                        ;  msbs: dst=0 src0=0 src1=1 src2=0
	v_or_b32_e32 v128, v128, v54 /*v310*/
	s_set_vgpr_msb 1                        ;  msbs: dst=0 src0=1 src1=0 src2=0
	v_cvt_f32_f16_e64 v108, v6 /*v262*/
	s_set_vgpr_msb 4                        ;  msbs: dst=0 src0=0 src1=1 src2=0
	v_lshrrev_b32_e32 v141, 16, v6 /*v262*/
	s_set_vgpr_msb 0x54                     ;  msbs: dst=1 src0=0 src1=1 src2=1
	v_dot4_i32_iu8 v6 /*v262*/, v135, v56 /*v312*/, v26 /*v282*/ neg_lo:[1,1,0]
	s_set_vgpr_msb 1                        ;  msbs: dst=0 src0=1 src1=0 src2=0
	v_cvt_f32_f16_e64 v111, v7 /*v263*/
	v_cvt_f32_f16_e64 v110, v2 /*v258*/
	s_set_vgpr_msb 4                        ;  msbs: dst=0 src0=0 src1=1 src2=0
	v_dual_lshrrev_b32 v142, 16, v7 /*v263*/ :: v_dual_lshrrev_b32 v156, 16, v2 /*v258*/
	v_or_b32_e32 v129, v129, v63 /*v319*/
	s_set_vgpr_msb 0x44                     ;  msbs: dst=1 src0=0 src1=1 src2=0
	v_dot4_i32_iu8 v2 /*v258*/, v135, v57 /*v313*/, v161 neg_lo:[1,1,0]
	s_set_vgpr_msb 4                        ;  msbs: dst=0 src0=0 src1=1 src2=0
	v_lshrrev_b32_e32 v160, 16, v1 /*v257*/
	s_set_vgpr_msb 1                        ;  msbs: dst=0 src0=1 src1=0 src2=0
	v_cvt_f32_f16_e64 v121, v5 /*v261*/
	s_set_vgpr_msb 4                        ;  msbs: dst=0 src0=0 src1=1 src2=0
	v_lshrrev_b32_e32 v161, 16, v5 /*v261*/
	s_set_vgpr_msb 0x50                     ;  msbs: dst=1 src0=0 src1=0 src2=1
	v_dot4_i32_iu8 v5 /*v261*/, v138, v126, v23 /*v279*/ neg_lo:[1,1,0]
	v_dot4_i32_iu8 v7 /*v263*/, v123, v126, v25 /*v281*/ neg_lo:[1,1,0]
	;; [unrolled: 1-line block ×3, first 2 shown]
	s_set_vgpr_msb 64                       ;  msbs: dst=1 src0=0 src1=0 src2=0
	v_dot4_i32_iu8 v25 /*v281*/, v123, v143, v167 neg_lo:[1,1,0]
	s_set_vgpr_msb 16                       ;  msbs: dst=0 src0=0 src1=0 src2=1
	v_cvt_f32_f16_e64 v123, v255
	v_lshrrev_b32_e32 v167, 16, v255
	v_dot4_i32_iu8 v255, v124, v126, v39 /*v295*/ neg_lo:[1,1,0]
	s_set_vgpr_msb 0x50                     ;  msbs: dst=1 src0=0 src1=0 src2=1
	v_dot4_i32_iu8 v26 /*v282*/, v124, v145, v40 /*v296*/ neg_lo:[1,1,0]
	s_set_vgpr_msb 0                        ;  msbs: dst=0 src0=0 src1=0 src2=0
	v_dot4_i32_iu8 v169, v124, v143, v169 neg_lo:[1,1,0]
	v_cvt_f32_f16_e64 v124, v248
	v_lshrrev_b32_e32 v248, 16, v248
	v_perm_b32 v151, v133, v133, 0xc0c0601
	s_set_vgpr_msb 64                       ;  msbs: dst=1 src0=0 src1=0 src2=0
	v_perm_b32 v46 /*v302*/, v133, v133, 0x6010007
	v_bfe_i32 v55 /*v311*/, v133, 0, 8
	v_perm_b32 v58 /*v314*/, v133, v133, 0xc070601
	v_dual_lshlrev_b32 v27 /*v283*/, 16, v93 :: v_dual_lshlrev_b32 v82 /*v338*/, 8, v95
	s_set_vgpr_msb 1                        ;  msbs: dst=0 src0=1 src1=0 src2=0
	v_cvt_f32_f16_e64 v106, v13 /*v269*/
	s_set_vgpr_msb 64                       ;  msbs: dst=1 src0=0 src1=0 src2=0
	v_lshlrev_b32_e32 v13 /*v269*/, 16, v95
	s_set_vgpr_msb 0x44                     ;  msbs: dst=1 src0=0 src1=1 src2=0
	v_or_b32_e32 v43 /*v299*/, v115, v43 /*v299*/
	s_wait_dscnt 0x0
	s_set_vgpr_msb 0                        ;  msbs: dst=0 src0=0 src1=0 src2=0
	v_dual_lshlrev_b32 v133, 16, v101 :: v_dual_lshlrev_b32 v137, 8, v101
	s_set_vgpr_msb 64                       ;  msbs: dst=1 src0=0 src1=0 src2=0
	v_perm_b32 v53 /*v309*/, v95, v95, 0xc0c0003
	s_set_vgpr_msb 1                        ;  msbs: dst=0 src0=1 src1=0 src2=0
	v_cvt_f32_f16_e64 v109, v8 /*v264*/
	s_set_vgpr_msb 0x54                     ;  msbs: dst=1 src0=0 src1=1 src2=1
	v_dot4_i32_iu8 v8 /*v264*/, v135, v31 /*v287*/, v60 /*v316*/ neg_lo:[1,1,0]
	s_set_vgpr_msb 1                        ;  msbs: dst=0 src0=1 src1=0 src2=0
	v_cvt_f32_f16_e64 v115, v3 /*v259*/
	v_cvt_f32_f16_e64 v114, v1 /*v257*/
	s_set_vgpr_msb 4                        ;  msbs: dst=0 src0=0 src1=1 src2=0
	v_lshrrev_b32_e32 v157, 16, v3 /*v259*/
	s_set_vgpr_msb 0x50                     ;  msbs: dst=1 src0=0 src1=0 src2=1
	v_dot4_i32_iu8 v1 /*v257*/, v118, v127, v32 /*v288*/ neg_lo:[1,1,0]
	v_perm_b32 v3 /*v259*/, v134, v134, 0xc0c0c03
	s_set_vgpr_msb 0                        ;  msbs: dst=0 src0=0 src1=0 src2=0
	v_dot4_i32_iu8 v179, v131, v126, v179 neg_lo:[1,1,0]
	s_set_vgpr_msb 0x50                     ;  msbs: dst=1 src0=0 src1=0 src2=1
	v_dot4_i32_iu8 v31 /*v287*/, v128, v126, v42 /*v298*/ neg_lo:[1,1,0]
	v_dot4_i32_iu8 v32 /*v288*/, v129, v126, v33 /*v289*/ neg_lo:[1,1,0]
	s_set_vgpr_msb 0                        ;  msbs: dst=0 src0=0 src1=0 src2=0
	v_cvt_f32_f16_e64 v126, v250
	v_lshrrev_b32_e32 v250, 16, v250
	v_cvt_f32_f16_e64 v134, v156
	v_cvt_f32_f16_e64 v156, v248
	s_set_vgpr_msb 4                        ;  msbs: dst=0 src0=0 src1=1 src2=0
	v_perm_b32 v95, v95, v69 /*v325*/, 0x407030c
	s_set_vgpr_msb 5                        ;  msbs: dst=0 src0=1 src1=1 src2=0
	v_perm_b32 v248, v34 /*v290*/, v34 /*v290*/, 0xc0c0c03
	s_set_vgpr_msb 64                       ;  msbs: dst=1 src0=0 src1=0 src2=0
	v_perm_b32 v42 /*v298*/, v137, v133, 0x7030c0c
	s_set_vgpr_msb 0                        ;  msbs: dst=0 src0=0 src1=0 src2=0
	v_cvt_f32_f16_e64 v133, v136
	v_cvt_f32_f16_e64 v136, v160
	;; [unrolled: 1-line block ×3, first 2 shown]
	v_or_b32_e32 v95, v95, v248
	s_set_vgpr_msb 4                        ;  msbs: dst=0 src0=0 src1=1 src2=0
	v_perm_b32 v248, v88, v82 /*v338*/, 0x504030c
	s_set_vgpr_msb 5                        ;  msbs: dst=0 src0=1 src1=1 src2=0
	v_perm_b32 v250, v13 /*v269*/, v13 /*v269*/, 0xc0c0c03
	s_set_vgpr_msb 0                        ;  msbs: dst=0 src0=0 src1=0 src2=0
	v_cvt_f32_f16_e32 v119, v116
	v_dual_lshrrev_b32 v163, 16, v116 :: v_dual_bitop2_b32 v130, v130, v122 bitop3:0x54
	v_cvt_f32_f16_e64 v116, v252
	v_lshrrev_b32_e32 v252, 16, v252
	v_cvt_f32_f16_e64 v127, v253
	v_dual_lshrrev_b32 v253, 16, v253 :: v_dual_bitop2_b32 v248, v248, v250 bitop3:0x54
	v_perm_b32 v250, v97, v183, 0x407030c
	v_perm_b32 v183, v183, v177, 0x7030c0c
	;; [unrolled: 1-line block ×3, first 2 shown]
	s_set_vgpr_msb 64                       ;  msbs: dst=1 src0=0 src1=0 src2=0
	v_dual_lshlrev_b32 v22 /*v278*/, 8, v93 :: v_dual_lshlrev_b32 v44 /*v300*/, 8, v99
	v_lshlrev_b32_e32 v62 /*v318*/, 8, v97
	s_set_vgpr_msb 0                        ;  msbs: dst=0 src0=0 src1=0 src2=0
	v_or_b32_e32 v173, v173, v175
	v_lshlrev_b32_e32 v175, 16, v99
	s_set_vgpr_msb 64                       ;  msbs: dst=1 src0=0 src1=0 src2=0
	v_perm_b32 v50 /*v306*/, v87, v87, 0xc0c0003
	s_set_vgpr_msb 0                        ;  msbs: dst=0 src0=0 src1=0 src2=0
	v_lshrrev_b32_e32 v162, 16, v117
	s_set_vgpr_msb 4                        ;  msbs: dst=0 src0=0 src1=1 src2=0
	v_dot4_i32_iu8 v172, v118, v61 /*v317*/, v172 neg_lo:[1,1,0]
	s_set_vgpr_msb 1                        ;  msbs: dst=0 src0=1 src1=0 src2=0
	v_cvt_f32_f16_e64 v118, v4 /*v260*/
	s_set_vgpr_msb 4                        ;  msbs: dst=0 src0=0 src1=1 src2=0
	v_lshrrev_b32_e32 v166, 16, v4 /*v260*/
	s_set_vgpr_msb 0                        ;  msbs: dst=0 src0=0 src1=0 src2=0
	v_dot4_i32_iu8 v180, v131, v145, v180 neg_lo:[1,1,0]
	s_set_vgpr_msb 64                       ;  msbs: dst=1 src0=0 src1=0 src2=0
	v_dot4_i32_iu8 v4 /*v260*/, v131, v143, v125 neg_lo:[1,1,0]
	s_set_vgpr_msb 0                        ;  msbs: dst=0 src0=0 src1=0 src2=0
	v_dot4_i32_iu8 v171, v128, v143, v171 neg_lo:[1,1,0]
	s_set_vgpr_msb 64                       ;  msbs: dst=1 src0=0 src1=0 src2=0
	v_dot4_i32_iu8 v35 /*v291*/, v129, v143, v139 neg_lo:[1,1,0]
	v_dot4_i32_iu8 v39 /*v295*/, v130, v145, v132 neg_lo:[1,1,0]
	s_set_vgpr_msb 0                        ;  msbs: dst=0 src0=0 src1=0 src2=0
	v_cvt_f32_f16_e64 v128, v247
	v_lshrrev_b32_e32 v247, 16, v247
	s_set_vgpr_msb 64                       ;  msbs: dst=1 src0=0 src1=0 src2=0
	v_dot4_i32_iu8 v40 /*v296*/, v130, v143, v140 neg_lo:[1,1,0]
	s_set_vgpr_msb 0                        ;  msbs: dst=0 src0=0 src1=0 src2=0
	v_cvt_f32_f16_e64 v131, v246
	v_cvt_f32_f16_e64 v130, v245
	v_dual_lshrrev_b32 v246, 16, v246 :: v_dual_lshrrev_b32 v245, 16, v245
	v_cvt_f32_f16_e64 v143, v161
	v_cvt_f32_f16_e64 v140, v252
	;; [unrolled: 1-line block ×3, first 2 shown]
	v_perm_b32 v87, v87, v91, 0x407030c
	v_perm_b32 v91, v91, v85, 0x7030c0c
	;; [unrolled: 1-line block ×3, first 2 shown]
	v_or_b32_e32 v177, v250, v177
	s_set_vgpr_msb 4                        ;  msbs: dst=0 src0=0 src1=1 src2=0
	v_perm_b32 v250, v99, v15 /*v271*/, 0x407030c
	s_set_vgpr_msb 5                        ;  msbs: dst=0 src0=1 src1=1 src2=0
	v_perm_b32 v252, v74 /*v330*/, v74 /*v330*/, 0xc0c0c03
	s_set_vgpr_msb 4                        ;  msbs: dst=0 src0=0 src1=1 src2=0
	v_perm_b32 v253, v103, v18 /*v274*/, 0x7030c0c
	s_set_vgpr_msb 64                       ;  msbs: dst=1 src0=0 src1=0 src2=0
	v_dual_lshlrev_b32 v19 /*v275*/, 8, v103 :: v_dual_lshlrev_b32 v30 /*v286*/, 16, v103
	s_set_vgpr_msb 0                        ;  msbs: dst=0 src0=0 src1=0 src2=0
	v_cvt_f32_f16_e64 v122, v254
	v_lshrrev_b32_e32 v254, 16, v254
	v_cvt_f32_f16_e64 v125, v251
	v_lshrrev_b32_e32 v251, 16, v251
	s_set_vgpr_msb 0x50                     ;  msbs: dst=1 src0=0 src1=0 src2=1
	v_dot4_i32_iu8 v14 /*v270*/, v129, v145, v14 /*v270*/ neg_lo:[1,1,0]
	s_set_vgpr_msb 0                        ;  msbs: dst=0 src0=0 src1=0 src2=0
	v_cvt_f32_f16_e64 v135, v142
	v_cvt_f32_f16_e64 v142, v162
	;; [unrolled: 1-line block ×5, first 2 shown]
	v_or_b32_e32 v85, v87, v85
	s_set_vgpr_msb 5                        ;  msbs: dst=0 src0=1 src1=1 src2=0
	v_perm_b32 v87, v27 /*v283*/, v27 /*v283*/, 0xc0c0c03
	v_perm_b32 v246, v22 /*v278*/, v27 /*v283*/, 0x7030c0c
	s_set_vgpr_msb 4                        ;  msbs: dst=0 src0=0 src1=1 src2=0
	v_perm_b32 v247, v88, v22 /*v278*/, 0x504030c
	s_set_vgpr_msb 0                        ;  msbs: dst=0 src0=0 src1=0 src2=0
	v_or_b32_e32 v250, v250, v252
	s_set_vgpr_msb 5                        ;  msbs: dst=0 src0=1 src1=1 src2=0
	v_perm_b32 v252, v18 /*v274*/, v17 /*v273*/, 0x7030c0c
	s_set_vgpr_msb 4                        ;  msbs: dst=0 src0=0 src1=1 src2=0
	v_or_b32_e32 v253, v253, v29 /*v285*/
	v_cvt_f32_f16_e64 v138, v166
	v_cvt_f32_f16_e64 v166, v245
	v_perm_b32 v245, v92, v22 /*v278*/, 0x504030c
	s_set_vgpr_msb 0x44                     ;  msbs: dst=1 src0=0 src1=1 src2=0
	v_perm_b32 v18 /*v274*/, v88, v44 /*v300*/, 0x504030c
	s_set_vgpr_msb 0x41                     ;  msbs: dst=1 src0=1 src1=0 src2=0
	v_perm_b32 v22 /*v278*/, v44 /*v300*/, v175, 0x7030c0c
	s_set_vgpr_msb 0                        ;  msbs: dst=0 src0=0 src1=0 src2=0
	v_perm_b32 v175, v175, v175, 0xc0c0c03
	s_set_vgpr_msb 0x44                     ;  msbs: dst=1 src0=0 src1=1 src2=0
	v_dot4_i32_iu8 v33 /*v289*/, v129, v64 /*v320*/, v144 neg_lo:[1,1,0]
	s_set_vgpr_msb 0                        ;  msbs: dst=0 src0=0 src1=0 src2=0
	v_cvt_f32_f16_e64 v137, v157
	s_set_vgpr_msb 64                       ;  msbs: dst=1 src0=0 src1=0 src2=0
	v_perm_b32 v54 /*v310*/, v93, v244, 0x407030c
	s_set_vgpr_msb 0                        ;  msbs: dst=0 src0=0 src1=0 src2=0
	v_perm_b32 v244, v244, v243, 0x7030c0c
	v_perm_b32 v243, v243, v243, 0xc0c0c03
	v_cvt_f32_f16_e64 v144, v254
	v_cvt_f32_f16_e64 v157, v251
	v_or_b32_e32 v245, v245, v87
	v_or_b32_e32 v87, v247, v87
	s_set_vgpr_msb 5                        ;  msbs: dst=0 src0=1 src1=1 src2=0
	v_perm_b32 v247, v69 /*v325*/, v34 /*v290*/, 0x7030c0c
	v_perm_b32 v251, v15 /*v271*/, v74 /*v330*/, 0x7030c0c
	s_set_vgpr_msb 0                        ;  msbs: dst=0 src0=0 src1=0 src2=0
	v_perm_b32 v254, v103, v103, 0xc0c0003
	s_set_vgpr_msb 1                        ;  msbs: dst=0 src0=1 src1=0 src2=0
	v_or_b32_e32 v175, v18 /*v274*/, v175
	s_set_vgpr_msb 0x44                     ;  msbs: dst=1 src0=0 src1=1 src2=0
	v_perm_b32 v18 /*v274*/, v102, v19 /*v275*/, 0x4030c0c
	s_set_vgpr_msb 1                        ;  msbs: dst=0 src0=1 src1=0 src2=0
	v_perm_b32 v103, v30 /*v286*/, v103, 0xc0c0700
	s_set_vgpr_msb 64                       ;  msbs: dst=1 src0=0 src1=0 src2=0
	v_lshlrev_b32_e32 v67 /*v323*/, 16, v97
	s_set_vgpr_msb 0                        ;  msbs: dst=0 src0=0 src1=0 src2=0
	v_perm_b32 v101, v101, v101, 0xc0c0003
	v_cvt_f32_f16_e64 v129, v249
	s_set_vgpr_msb 1                        ;  msbs: dst=0 src0=1 src1=0 src2=0
	v_dual_lshrrev_b32 v249, 16, v249 :: v_dual_bitop2_b32 v243, v54 /*v310*/, v243 bitop3:0x54
	s_set_vgpr_msb 0                        ;  msbs: dst=0 src0=0 src1=0 src2=0
	v_perm_b32 v93, v93, v93, 0xc0c0003
	s_set_vgpr_msb 4                        ;  msbs: dst=0 src0=0 src1=1 src2=0
	v_or_b32_e32 v247, v247, v75 /*v331*/
	v_or_b32_e32 v244, v244, v73 /*v329*/
	;; [unrolled: 1-line block ×4, first 2 shown]
	s_set_vgpr_msb 0x45                     ;  msbs: dst=1 src0=1 src1=1 src2=0
	v_or_b32_e32 v17 /*v273*/, v41 /*v297*/, v68 /*v324*/
	s_set_vgpr_msb 0                        ;  msbs: dst=0 src0=0 src1=0 src2=0
	v_or_b32_e32 v178, v252, v178
	s_set_vgpr_msb 4                        ;  msbs: dst=0 src0=0 src1=1 src2=0
	v_perm_b32 v252, v88, v62 /*v318*/, 0x504030c
	s_set_vgpr_msb 0x41                     ;  msbs: dst=1 src0=1 src1=0 src2=0
	v_or_b32_e32 v18 /*v274*/, v18 /*v274*/, v103
	s_set_vgpr_msb 0x45                     ;  msbs: dst=1 src0=1 src1=1 src2=0
	v_perm_b32 v29 /*v285*/, v67 /*v323*/, v67 /*v323*/, 0xc0c0c03
	s_set_vgpr_msb 0                        ;  msbs: dst=0 src0=0 src1=0 src2=0
	v_cvt_f32_f16_e32 v120, v117
	s_set_vgpr_msb 1                        ;  msbs: dst=0 src0=1 src1=0 src2=0
	v_cvt_f32_f16_e64 v117, v0 /*v256*/
	s_set_vgpr_msb 0x44                     ;  msbs: dst=1 src0=0 src1=1 src2=0
	v_lshrrev_b32_e32 v0 /*v256*/, 16, v0 /*v256*/
	s_set_vgpr_msb 0                        ;  msbs: dst=0 src0=0 src1=0 src2=0
	v_cvt_f32_f16_e64 v139, v163
	v_cvt_f32_f16_e64 v163, v249
	s_set_vgpr_msb 5                        ;  msbs: dst=0 src0=1 src1=1 src2=0
	v_perm_b32 v249, v82 /*v338*/, v13 /*v269*/, 0x7030c0c
	s_set_vgpr_msb 0                        ;  msbs: dst=0 src0=0 src1=0 src2=0
	v_perm_b32 v97, v97, v97, 0xc0c0003
	v_perm_b32 v99, v99, v99, 0xc0c0003
	s_set_vgpr_msb 4                        ;  msbs: dst=0 src0=0 src1=1 src2=0
	v_or_b32_e32 v183, v183, v76 /*v332*/
	s_set_vgpr_msb 0x45                     ;  msbs: dst=1 src0=1 src1=1 src2=0
	v_perm_b32 v27 /*v283*/, v62 /*v318*/, v67 /*v323*/, 0x7030c0c
	s_set_vgpr_msb 4                        ;  msbs: dst=0 src0=0 src1=1 src2=0
	v_or_b32_e32 v252, v252, v29 /*v285*/
	s_set_vgpr_msb 0x45                     ;  msbs: dst=1 src0=1 src1=1 src2=0
	v_perm_b32 v29 /*v285*/, v19 /*v275*/, v30 /*v286*/, 0x7030c0c
	s_set_vgpr_msb 0x44                     ;  msbs: dst=1 src0=0 src1=1 src2=0
	v_perm_b32 v19 /*v275*/, v88, v19 /*v275*/, 0x4030c0c
	s_set_vgpr_msb 1                        ;  msbs: dst=0 src0=1 src1=0 src2=0
	v_or_b32_e32 v101, v42 /*v298*/, v101
	s_set_vgpr_msb 0                        ;  msbs: dst=0 src0=0 src1=0 src2=0
	v_or_b32_e32 v93, v246, v93
	s_set_vgpr_msb 4                        ;  msbs: dst=0 src0=0 src1=1 src2=0
	v_dot4_i32_iu8 v168, v243, v9 /*v265*/, v168 neg_lo:[1,1,0]
	v_dot4_i32_iu8 v170, v85, v37 /*v293*/, v170 neg_lo:[1,1,0]
	s_set_vgpr_msb 0x54                     ;  msbs: dst=1 src0=0 src1=1 src2=1
	v_dot4_i32_iu8 v9 /*v265*/, v243, v12 /*v268*/, v24 /*v280*/ neg_lo:[1,1,0]
	s_set_vgpr_msb 20                       ;  msbs: dst=0 src0=0 src1=1 src2=1
	v_dot4_i32_iu8 v95, v95, v12 /*v268*/, v78 /*v334*/ neg_lo:[1,1,0]
	s_set_vgpr_msb 4                        ;  msbs: dst=0 src0=0 src1=1 src2=0
	v_dot4_i32_iu8 v159, v243, v37 /*v293*/, v159 neg_lo:[1,1,0]
	s_set_vgpr_msb 16                       ;  msbs: dst=0 src0=0 src1=0 src2=1
	v_dot4_i32_iu8 v242, v158, v242, v28 /*v284*/ neg_lo:[1,1,0]
	v_dot4_i32_iu8 v146, v158, v146, v6 /*v262*/ neg_lo:[1,1,0]
	;; [unrolled: 1-line block ×4, first 2 shown]
	s_set_vgpr_msb 4                        ;  msbs: dst=0 src0=0 src1=1 src2=0
	v_dot4_i32_iu8 v85, v85, v12 /*v268*/, v181 neg_lo:[1,1,0]
	s_set_vgpr_msb 20                       ;  msbs: dst=0 src0=0 src1=1 src2=1
	v_dot4_i32_iu8 v158, v177, v12 /*v268*/, v80 /*v336*/ neg_lo:[1,1,0]
	s_set_vgpr_msb 4                        ;  msbs: dst=0 src0=0 src1=1 src2=0
	v_dot4_i32_iu8 v177, v250, v12 /*v268*/, v182 neg_lo:[1,1,0]
	s_set_vgpr_msb 16                       ;  msbs: dst=0 src0=0 src1=0 src2=1
	v_dot4_i32_iu8 v181, v253, v241, v1 /*v257*/ neg_lo:[1,1,0]
	s_set_vgpr_msb 0                        ;  msbs: dst=0 src0=0 src1=0 src2=0
	v_dot4_i32_iu8 v179, v247, v240, v179 neg_lo:[1,1,0]
	v_dot4_i32_iu8 v180, v247, v149, v180 neg_lo:[1,1,0]
	s_set_vgpr_msb 16                       ;  msbs: dst=0 src0=0 src1=0 src2=1
	v_dot4_i32_iu8 v182, v247, v150, v4 /*v260*/ neg_lo:[1,1,0]
	v_dot4_i32_iu8 v241, v244, v240, v5 /*v261*/ neg_lo:[1,1,0]
	s_set_vgpr_msb 0                        ;  msbs: dst=0 src0=0 src1=0 src2=0
	v_dot4_i32_iu8 v247, v251, v240, v255 neg_lo:[1,1,0]
	s_set_vgpr_msb 16                       ;  msbs: dst=0 src0=0 src1=0 src2=1
	v_dot4_i32_iu8 v250, v251, v149, v26 /*v282*/ neg_lo:[1,1,0]
	s_set_vgpr_msb 0                        ;  msbs: dst=0 src0=0 src1=0 src2=0
	v_dot4_i32_iu8 v169, v251, v150, v169 neg_lo:[1,1,0]
	s_set_vgpr_msb 16                       ;  msbs: dst=0 src0=0 src1=0 src2=1
	;; [unrolled: 4-line block ×3, first 2 shown]
	v_dot4_i32_iu8 v171, v17 /*v273*/, v240, v32 /*v288*/ neg_lo:[1,1,0]
	s_set_vgpr_msb 0                        ;  msbs: dst=0 src0=0 src1=0 src2=0
	v_perm_b32 v237, v80, v80, 0xc0c0100
	s_set_vgpr_msb 64                       ;  msbs: dst=1 src0=0 src1=0 src2=0
	v_perm_b32 v79 /*v335*/, v84, v84, 0xc0c0302
	v_perm_b32 v81 /*v337*/, v92, v92, 0xc0c0302
	;; [unrolled: 1-line block ×4, first 2 shown]
	s_set_vgpr_msb 0                        ;  msbs: dst=0 src0=0 src1=0 src2=0
	v_cvt_f32_f16_e64 v132, v141
	s_set_vgpr_msb 1                        ;  msbs: dst=0 src0=1 src1=0 src2=0
	v_cvt_f32_f16_e64 v141, v0 /*v256*/
	s_set_vgpr_msb 64                       ;  msbs: dst=1 src0=0 src1=0 src2=0
	v_perm_b32 v0 /*v256*/, v100, v100, 0xc0c0100
	s_set_vgpr_msb 1                        ;  msbs: dst=0 src0=1 src1=0 src2=0
	v_or_b32_e32 v103, v19 /*v275*/, v103
	s_set_vgpr_msb 0x45                     ;  msbs: dst=1 src0=1 src1=1 src2=0
	v_or_b32_e32 v30 /*v286*/, v66 /*v322*/, v50 /*v306*/
	s_set_vgpr_msb 4                        ;  msbs: dst=0 src0=0 src1=1 src2=0
	v_or_b32_e32 v249, v249, v53 /*v309*/
	s_set_vgpr_msb 1                        ;  msbs: dst=0 src0=1 src1=0 src2=0
	v_or_b32_e32 v97, v27 /*v283*/, v97
	v_or_b32_e32 v99, v22 /*v278*/, v99
	v_or_b32_e32 v254, v29 /*v285*/, v254
	s_set_vgpr_msb 4                        ;  msbs: dst=0 src0=0 src1=1 src2=0
	v_dot4_i32_iu8 v172, v253, v20 /*v276*/, v172 neg_lo:[1,1,0]
	s_set_vgpr_msb 16                       ;  msbs: dst=0 src0=0 src1=0 src2=1
	v_dot4_i32_iu8 v243, v183, v240, v7 /*v263*/ neg_lo:[1,1,0]
	v_dot4_i32_iu8 v244, v183, v149, v23 /*v279*/ neg_lo:[1,1,0]
	;; [unrolled: 1-line block ×3, first 2 shown]
	s_set_vgpr_msb 17                       ;  msbs: dst=0 src0=1 src1=0 src2=1
	v_dot4_i32_iu8 v155, v17 /*v273*/, v155, v33 /*v289*/ neg_lo:[1,1,0]
	v_dot4_i32_iu8 v240, v17 /*v273*/, v149, v14 /*v270*/ neg_lo:[1,1,0]
	;; [unrolled: 1-line block ×3, first 2 shown]
	s_set_vgpr_msb 16                       ;  msbs: dst=0 src0=0 src1=0 src2=1
	v_dot4_i32_iu8 v149, v178, v149, v39 /*v295*/ neg_lo:[1,1,0]
	v_dot4_i32_iu8 v150, v178, v150, v40 /*v296*/ neg_lo:[1,1,0]
	s_set_vgpr_msb 1                        ;  msbs: dst=0 src0=1 src1=0 src2=0
	v_dot4_i32_iu8 v81, v65 /*v321*/, v81, v170 neg_lo:[1,1,0]
	s_set_vgpr_msb 4                        ;  msbs: dst=0 src0=0 src1=1 src2=0
	v_dot4_i32_iu8 v168, v245, v10 /*v266*/, v168 neg_lo:[1,1,0]
	s_set_vgpr_msb 20                       ;  msbs: dst=0 src0=0 src1=1 src2=1
	v_dot4_i32_iu8 v87, v87, v49 /*v305*/, v9 /*v265*/ neg_lo:[1,1,0]
	s_set_vgpr_msb 4                        ;  msbs: dst=0 src0=0 src1=1 src2=0
	v_dot4_i32_iu8 v95, v248, v51 /*v307*/, v95 neg_lo:[1,1,0]
	s_set_vgpr_msb 1                        ;  msbs: dst=0 src0=1 src1=0 src2=0
	v_dot4_i32_iu8 v85, v65 /*v321*/, v151, v85 neg_lo:[1,1,0]
	s_set_vgpr_msb 0                        ;  msbs: dst=0 src0=0 src1=0 src2=0
	v_dot4_i32_iu8 v151, v165, v239, v242 neg_lo:[1,1,0]
	v_dot4_i32_iu8 v146, v165, v152, v146 neg_lo:[1,1,0]
	;; [unrolled: 1-line block ×7, first 2 shown]
	v_perm_b32 v233, v80, v80, 0xc0c0302
	v_perm_b32 v235, v80, v80, 0xc030201
	s_set_vgpr_msb 64                       ;  msbs: dst=1 src0=0 src1=0 src2=0
	v_perm_b32 v13 /*v269*/, v86, v86, 0xc0c0100
	v_perm_b32 v15 /*v271*/, v88, v88, 0xc0c0100
	;; [unrolled: 1-line block ×5, first 2 shown]
	s_set_vgpr_msb 0                        ;  msbs: dst=0 src0=0 src1=0 src2=0
	v_perm_b32 v246, v98, v98, 0xc0c0302
	s_set_vgpr_msb 64                       ;  msbs: dst=1 src0=0 src1=0 src2=0
	v_perm_b32 v27 /*v283*/, v100, v100, 0xc0c0302
	v_perm_b32 v22 /*v278*/, v88, v88, 0xc030201
	s_set_vgpr_msb 1                        ;  msbs: dst=0 src0=1 src1=0 src2=0
	v_dot4_i32_iu8 v89, v18 /*v274*/, v89, v181 neg_lo:[1,1,0]
	s_set_vgpr_msb 4                        ;  msbs: dst=0 src0=0 src1=1 src2=0
	v_dot4_i32_iu8 v153, v175, v21 /*v277*/, v177 neg_lo:[1,1,0]
	v_dot4_i32_iu8 v154, v252, v52 /*v308*/, v158 neg_lo:[1,1,0]
	;; [unrolled: 1-line block ×3, first 2 shown]
	s_set_vgpr_msb 1                        ;  msbs: dst=0 src0=1 src1=0 src2=0
	v_dot4_i32_iu8 v158, v30 /*v286*/, v238, v251 neg_lo:[1,1,0]
	s_set_vgpr_msb 5                        ;  msbs: dst=0 src0=1 src1=1 src2=0
	v_dot4_i32_iu8 v91, v30 /*v286*/, v45 /*v301*/, v91 neg_lo:[1,1,0]
	s_set_vgpr_msb 4                        ;  msbs: dst=0 src0=0 src1=1 src2=0
	v_dot4_i32_iu8 v155, v101, v46 /*v302*/, v155 neg_lo:[1,1,0]
	s_set_vgpr_msb 0                        ;  msbs: dst=0 src0=0 src1=0 src2=0
	v_dot4_i32_iu8 v165, v101, v176, v240 neg_lo:[1,1,0]
	s_set_vgpr_msb 4                        ;  msbs: dst=0 src0=0 src1=1 src2=0
	v_dot4_i32_iu8 v101, v101, v45 /*v301*/, v253 neg_lo:[1,1,0]
	s_set_vgpr_msb 0                        ;  msbs: dst=0 src0=0 src1=0 src2=0
	v_dot4_i32_iu8 v170, v249, v238, v179 neg_lo:[1,1,0]
	v_dot4_i32_iu8 v171, v249, v176, v180 neg_lo:[1,1,0]
	s_set_vgpr_msb 4                        ;  msbs: dst=0 src0=0 src1=1 src2=0
	v_dot4_i32_iu8 v172, v249, v45 /*v301*/, v182 neg_lo:[1,1,0]
	s_set_vgpr_msb 0                        ;  msbs: dst=0 src0=0 src1=0 src2=0
	v_dot4_i32_iu8 v173, v97, v238, v243 neg_lo:[1,1,0]
	v_dot4_i32_iu8 v175, v99, v238, v247 neg_lo:[1,1,0]
	;; [unrolled: 1-line block ×3, first 2 shown]
	s_set_vgpr_msb 4                        ;  msbs: dst=0 src0=0 src1=1 src2=0
	v_dot4_i32_iu8 v99, v99, v45 /*v301*/, v169 neg_lo:[1,1,0]
	s_set_vgpr_msb 0                        ;  msbs: dst=0 src0=0 src1=0 src2=0
	v_dot4_i32_iu8 v169, v97, v176, v244 neg_lo:[1,1,0]
	s_set_vgpr_msb 4                        ;  msbs: dst=0 src0=0 src1=1 src2=0
	v_dot4_i32_iu8 v97, v97, v45 /*v301*/, v183 neg_lo:[1,1,0]
	s_set_vgpr_msb 0                        ;  msbs: dst=0 src0=0 src1=0 src2=0
	v_dot4_i32_iu8 v149, v254, v176, v149 neg_lo:[1,1,0]
	s_set_vgpr_msb 4                        ;  msbs: dst=0 src0=0 src1=1 src2=0
	v_dot4_i32_iu8 v150, v254, v45 /*v301*/, v150 neg_lo:[1,1,0]
	s_set_vgpr_msb 5                        ;  msbs: dst=0 src0=1 src1=1 src2=0
	v_dot4_i32_iu8 v168, v81 /*v337*/, v79 /*v335*/, v168 neg_lo:[1,1,0]
	s_set_vgpr_msb 0                        ;  msbs: dst=0 src0=0 src1=0 src2=0
	v_dot4_i32_iu8 v176, v86, v90, v81 neg_lo:[1,1,0]
	s_set_vgpr_msb 5                        ;  msbs: dst=0 src0=1 src1=1 src2=0
	v_dot4_i32_iu8 v95, v16 /*v272*/, v11 /*v267*/, v95 neg_lo:[1,1,0]
	v_dot4_i32_iu8 v87, v16 /*v272*/, v81 /*v337*/, v87 neg_lo:[1,1,0]
	s_set_vgpr_msb 4                        ;  msbs: dst=0 src0=0 src1=1 src2=0
	v_dot4_i32_iu8 v159, v237, v0 /*v256*/, v159 neg_lo:[1,1,0]
	s_set_vgpr_msb 0                        ;  msbs: dst=0 src0=0 src1=0 src2=0
	v_dot4_i32_iu8 v92, v92, v80, v93 neg_lo:[1,1,0]
	v_dot4_i32_iu8 v93, v164, v236, v151 neg_lo:[1,1,0]
	s_set_vgpr_msb 4                        ;  msbs: dst=0 src0=0 src1=1 src2=0
	v_dot4_i32_iu8 v146, v164, v47 /*v303*/, v146 neg_lo:[1,1,0]
	s_set_vgpr_msb 0                        ;  msbs: dst=0 src0=0 src1=0 src2=0
	v_dot4_i32_iu8 v147, v164, v174, v147 neg_lo:[1,1,0]
	s_set_vgpr_msb 4                        ;  msbs: dst=0 src0=0 src1=1 src2=0
	v_dot4_i32_iu8 v148, v164, v48 /*v304*/, v148 neg_lo:[1,1,0]
	s_set_vgpr_msb 0x45                     ;  msbs: dst=1 src0=1 src1=1 src2=0
	v_or_b32_e32 v3 /*v259*/, v36 /*v292*/, v3 /*v259*/
	s_set_vgpr_msb 64                       ;  msbs: dst=1 src0=0 src1=0 src2=0
	v_perm_b32 v36 /*v292*/, v86, v86, 0xc0c0302
	s_set_vgpr_msb 0                        ;  msbs: dst=0 src0=0 src1=0 src2=0
	v_dot4_i32_iu8 v151, v94, v80, v170 neg_lo:[1,1,0]
	v_dot4_i32_iu8 v164, v94, v90, v171 neg_lo:[1,1,0]
	;; [unrolled: 1-line block ×3, first 2 shown]
	s_set_vgpr_msb 5                        ;  msbs: dst=0 src0=1 src1=1 src2=0
	v_dot4_i32_iu8 v170, v13 /*v269*/, v15 /*v271*/, v85 neg_lo:[1,1,0]
	v_dot4_i32_iu8 v152, v81 /*v337*/, v19 /*v275*/, v152 neg_lo:[1,1,0]
	s_set_vgpr_msb 0                        ;  msbs: dst=0 src0=0 src1=0 src2=0
	v_dot4_i32_iu8 v169, v90, v96, v169 neg_lo:[1,1,0]
	v_dot4_i32_iu8 v171, v90, v98, v177 neg_lo:[1,1,0]
	;; [unrolled: 1-line block ×13, first 2 shown]
	s_set_vgpr_msb 4                        ;  msbs: dst=0 src0=0 src1=1 src2=0
	v_dot4_i32_iu8 v89, v235, v34 /*v290*/, v89 neg_lo:[1,1,0]
	s_set_vgpr_msb 5                        ;  msbs: dst=0 src0=1 src1=1 src2=0
	v_dot4_i32_iu8 v100, v34 /*v290*/, v22 /*v278*/, v103 neg_lo:[1,1,0]
	v_dot4_i32_iu8 v98, v16 /*v272*/, v38 /*v294*/, v154 neg_lo:[1,1,0]
	s_set_vgpr_msb 1                        ;  msbs: dst=0 src0=1 src1=0 src2=0
	v_dot4_i32_iu8 v99, v16 /*v272*/, v246, v153 neg_lo:[1,1,0]
	s_set_vgpr_msb 4                        ;  msbs: dst=0 src0=0 src1=1 src2=0
	v_cvt_f32_i32_e32 v81, v168
	v_cvt_f32_i32_e32 v80, v176
	v_cvt_f32_i32_e32 v85, v87
	v_cvt_f32_i32_e32 v84, v95
	v_dot4_i32_iu8 v153, v233, v27 /*v283*/, v159 neg_lo:[1,1,0]
	v_mad_i32_i24 v154, v226, v55 /*v311*/, v146
	s_set_vgpr_msb 0                        ;  msbs: dst=0 src0=0 src1=0 src2=0
	v_mad_i32_i24 v155, v226, v234, v93
	s_set_vgpr_msb 4                        ;  msbs: dst=0 src0=0 src1=1 src2=0
	v_mad_i32_i24 v159, v226, v59 /*v315*/, v147
	v_mad_i32_i24 v148, v226, v71 /*v327*/, v148
	v_cvt_f32_i32_e32 v92, v92
	s_set_vgpr_msb 5                        ;  msbs: dst=0 src0=1 src1=1 src2=0
	v_dot4_i32_iu8 v168, v36 /*v292*/, v16 /*v272*/, v170 neg_lo:[1,1,0]
	s_set_vgpr_msb 0                        ;  msbs: dst=0 src0=0 src1=0 src2=0
	v_cvt_f32_i32_e32 v87, v89
	v_cvt_f32_i32_e32 v89, v151
	v_cvt_f32_i32_e32 v151, v158
	v_cvt_f32_i32_e32 v158, v149
	v_cvt_f32_i32_e32 v86, v86
	v_cvt_f32_i32_e32 v101, v100
	v_cvt_f32_i32_e32 v100, v88
	v_cvt_f32_i32_e32 v103, v90
	v_cvt_f32_i32_e32 v147, v150
	v_cvt_f32_i32_e32 v149, v152
	v_cvt_f32_i32_e32 v88, v172
	v_pk_fma_f32 v[80:81], v[82:83], v[80:81], v[106:107]
	v_pk_fma_f32 v[82:83], v[104:105], v[84:85], v[112:113]
	s_set_vgpr_msb 5                        ;  msbs: dst=0 src0=1 src1=1 src2=0
	v_dot4_i32_iu8 v90, v3 /*v259*/, v58 /*v314*/, v154 neg_lo:[1,1,0]
	s_set_vgpr_msb 1                        ;  msbs: dst=0 src0=1 src1=0 src2=0
	v_dot4_i32_iu8 v150, v3 /*v259*/, v225, v155 neg_lo:[1,1,0]
	s_set_vgpr_msb 5                        ;  msbs: dst=0 src0=1 src1=1 src2=0
	v_dot4_i32_iu8 v152, v3 /*v259*/, v70 /*v326*/, v159 neg_lo:[1,1,0]
	v_dot4_i32_iu8 v154, v3 /*v259*/, v72 /*v328*/, v148 neg_lo:[1,1,0]
	s_set_vgpr_msb 0                        ;  msbs: dst=0 src0=0 src1=0 src2=0
	v_fma_mix_f32 v84, v227, v92, v227 op_sel:[0,0,1] op_sel_hi:[1,0,1]
	v_cvt_f32_i32_e32 v92, v153
	v_cvt_f32_i32_e32 v91, v164
	;; [unrolled: 1-line block ×11, first 2 shown]
	v_fma_mix_f32 v85, v230, v151, v230 op_sel:[0,0,1] op_sel_hi:[1,0,1]
	v_fma_mix_f32 v107, v232, v86, v232 op_sel:[0,0,1] op_sel_hi:[1,0,1]
	v_cvt_f32_i32_e32 v148, v168
	v_fma_mix_f32 v104, v228, v88, v228 op_sel:[0,0,1] op_sel_hi:[1,0,1]
	v_fma_mix_f32 v106, v229, v92, v229 op_sel:[0,0,1] op_sel_hi:[1,0,1]
	v_cvt_f32_i32_e32 v86, v90
	v_cvt_f32_i32_e32 v88, v150
	;; [unrolled: 1-line block ×4, first 2 shown]
	v_fma_mix_f32 v105, v231, v158, v231 op_sel:[0,0,1] op_sel_hi:[1,0,1]
	v_pk_fma_f32 v[94:95], v[122:123], v[94:95], v[144:145]
	v_pk_fma_f32 v[96:97], v[124:125], v[96:97], v[156:157]
	;; [unrolled: 1-line block ×7, first 2 shown]
	v_pk_add_f32 v[14:15], v[14:15], v[80:81]
	v_pk_add_f32 v[28:29], v[28:29], v[82:83]
	;; [unrolled: 1-line block ×3, first 2 shown]
	v_pk_fma_f32 v[80:81], v[116:117], v[86:87], v[140:141]
	v_pk_fma_f32 v[82:83], v[108:109], v[88:89], v[132:133]
	;; [unrolled: 1-line block ×4, first 2 shown]
	v_dual_add_nc_u32 v224, 4, v224 :: v_dual_add_nc_u32 v223, 4, v223
	v_dual_add_nc_u32 v222, 4, v222 :: v_dual_add_nc_u32 v221, 4, v221
	;; [unrolled: 1-line block ×3, first 2 shown]
	v_pk_add_f32 v[18:19], v[18:19], v[104:105]
	v_pk_add_f32 v[22:23], v[22:23], v[94:95]
	;; [unrolled: 1-line block ×13, first 2 shown]
	s_add_co_i32 s10, s10, 4
	s_delay_alu instid0(SALU_CYCLE_1)
	s_cmp_lt_u32 s10, 12
	s_cbranch_scc1 .LBB124_9
; %bb.10:                               ;   in Loop: Header=BB124_7 Depth=1
	s_and_b32 s10, s7, -4
	s_delay_alu instid0(SALU_CYCLE_1)
	s_cmp_eq_u32 s10, 4
	s_barrier_signal -1
	s_barrier_wait -1
	s_cbranch_scc1 .LBB124_6
; %bb.11:                               ;   in Loop: Header=BB124_7 Depth=1
	v_dual_add_nc_u32 v80, s4, v196 :: v_dual_add_nc_u32 v96, 4, v217
	v_dual_mov_b32 v110, v215 :: v_dual_mov_b32 v111, v205
	v_dual_mov_b32 v112, v216 :: v_dual_mov_b32 v113, v213
	s_delay_alu instid0(VALU_DEP_3) | instskip(SKIP_3) | instid1(VALU_DEP_4)
	v_dual_add_nc_u32 v86, v80, v190 :: v_dual_add_nc_u32 v81, v80, v195
	v_dual_add_nc_u32 v82, v80, v188 :: v_dual_add_nc_u32 v84, v80, v189
	;; [unrolled: 1-line block ×4, first 2 shown]
	v_mad_nc_i64_i32 v[80:81], v81, 36, v[38:39]
	s_delay_alu instid0(VALU_DEP_4)
	v_mad_nc_i64_i32 v[82:83], v82, 36, v[38:39]
	v_mad_nc_i64_i32 v[84:85], v84, 36, v[38:39]
	;; [unrolled: 1-line block ×7, first 2 shown]
	v_mad_nc_u64_u32 v[96:97], v96, 36, s[2:3]
	s_clause 0x8
	global_load_b32 v98, v[80:81], off offset:4
	global_load_b32 v99, v[82:83], off offset:4
	global_load_b32 v100, v[84:85], off offset:4
	global_load_b32 v101, v[86:87], off offset:4
	global_load_b32 v102, v[88:89], off offset:4
	global_load_b32 v103, v[90:91], off offset:4
	global_load_b32 v104, v[92:93], off offset:4
	global_load_b32 v105, v[94:95], off offset:4
	global_load_b32 v106, v[96:97], off
	v_dual_mov_b32 v114, v211 :: v_dual_mov_b32 v115, v209
	v_mov_b32_e32 v116, v207
	s_mov_b32 s10, 12
	s_wait_loadcnt 0x8
	ds_store_b32 v203, v98
	s_wait_loadcnt 0x7
	ds_store_b32 v204, v99
	;; [unrolled: 2-line block ×9, first 2 shown]
	s_wait_dscnt 0x0
	s_barrier_signal -1
	s_barrier_wait -1
.LBB124_12:                             ;   Parent Loop BB124_7 Depth=1
                                        ; =>  This Inner Loop Header: Depth=2
	v_add_nc_u32_e32 v80, 0x2080, v112
	ds_load_2addr_b32 v[92:93], v111 offset0:3 offset1:4
	ds_load_2addr_b32 v[86:87], v111 offset0:1 offset1:2
	;; [unrolled: 1-line block ×3, first 2 shown]
	ds_load_2addr_b32 v[96:97], v111 offset1:7
	ds_load_2addr_b32 v[94:95], v110 offset1:32
	ds_load_b32 v117, v113
	ds_load_2addr_b32 v[82:83], v112 offset1:1
	ds_load_2addr_b32 v[98:99], v112 offset0:2 offset1:3
	ds_load_2addr_b32 v[100:101], v112 offset0:4 offset1:5
	;; [unrolled: 1-line block ×3, first 2 shown]
	s_add_co_i32 s10, s10, 4
	ds_load_b32 v118, v114
	ds_load_2addr_b32 v[80:81], v80 offset1:1
	v_dual_add_nc_u32 v114, 4, v114 :: v_dual_add_nc_u32 v113, 4, v113
	s_cmp_lt_u32 s10, 28
	s_wait_dscnt 0xb
	v_dual_lshlrev_b32 v90, 16, v93 :: v_dual_lshlrev_b32 v91, 8, v93
	s_wait_dscnt 0xa
	v_dual_lshlrev_b32 v108, 16, v86 :: v_dual_lshlrev_b32 v109, 8, v86
	s_wait_dscnt 0x8
	v_bfe_i32 v156, v96, 0, 8
	v_bfe_i32 v157, v96, 8, 8
	v_perm_b32 v158, v90, v93, 0x7000c0c
	s_wait_dscnt 0x0
	v_bfe_i32 v84, v80, 0, 8
	v_bfe_i32 v85, v80, 8, 8
	v_perm_b32 v90, v80, v80, 0xc0c0302
	v_dual_lshlrev_b32 v119, 16, v88 :: v_dual_lshlrev_b32 v120, 8, v88
	s_delay_alu instid0(VALU_DEP_4) | instskip(SKIP_1) | instid1(VALU_DEP_4)
	v_mul_i32_i24_e32 v84, v84, v156
	v_perm_b32 v127, v81, v96, 0x5040302
	v_or_b32_e32 v90, v158, v90
	v_perm_b32 v91, v93, v91, 0xc0c0703
	v_perm_b32 v93, v108, v86, 0x7000c0c
	v_mad_i32_i24 v126, v85, v157, v84
	v_add_nc_u32_e32 v84, 0x2088, v112
	v_perm_b32 v86, v86, v109, 0xc0c0703
	v_dual_lshlrev_b32 v121, 16, v87 :: v_dual_lshlrev_b32 v122, 8, v87
	s_delay_alu instid0(VALU_DEP_4)
	v_dot4_i32_iu8 v90, v90, v127, v126 neg_lo:[1,1,0]
	ds_load_2addr_b32 v[104:105], v84 offset1:1
	v_add_nc_u32_e32 v84, 0x2090, v112
	v_or_b32_e32 v159, v93, v91
	v_perm_b32 v93, v119, v88, 0x7000c0c
	v_perm_b32 v161, v88, v120, 0xc0c0703
	;; [unrolled: 1-line block ×3, first 2 shown]
	ds_load_2addr_b32 v[106:107], v84 offset1:1
	v_add_nc_u32_e32 v84, 0x2098, v112
	v_dual_lshlrev_b32 v123, 16, v89 :: v_dual_bitop2_b32 v160, v93, v86 bitop3:0x54
	v_lshlrev_b32_e32 v124, 8, v89
	v_perm_b32 v163, v87, v122, 0xc0c0703
	ds_load_2addr_b32 v[84:85], v84 offset1:1
	v_dual_lshlrev_b32 v125, 16, v92 :: v_dual_lshlrev_b32 v132, 8, v92
	v_perm_b32 v164, v123, v89, 0xc0c0700
	v_perm_b32 v165, v89, v124, 0xc0c0703
	v_pk_mul_f16 v135, v94, v117
	s_delay_alu instid0(VALU_DEP_4)
	v_perm_b32 v166, v125, v92, 0xc0c0700
	v_pk_mul_f16 v119, v94, v118
	s_wait_dscnt 0x2
	v_perm_b32 v126, v104, v81, 0x5040302
	v_perm_b32 v91, v105, v104, 0x5040302
	;; [unrolled: 1-line block ×4, first 2 shown]
	v_dual_lshlrev_b32 v133, 16, v97 :: v_dual_lshlrev_b32 v134, 8, v97
	v_dot4_i32_iu8 v90, v159, v126, v90 neg_lo:[1,1,0]
	s_wait_dscnt 0x1
	v_perm_b32 v88, v106, v106, 0xc0c0100
	v_perm_b32 v87, v107, v107, 0xc0c0100
	s_delay_alu instid0(VALU_DEP_3) | instskip(SKIP_1) | instid1(VALU_DEP_1)
	v_dot4_i32_iu8 v86, v160, v91, v90 neg_lo:[1,1,0]
	v_perm_b32 v90, v105, v105, 0xc0c0302
	v_dot4_i32_iu8 v86, v161, v90, v86 neg_lo:[1,1,0]
	v_add_nc_u32_e32 v90, 0x6188, v112
	s_delay_alu instid0(VALU_DEP_2) | instskip(SKIP_1) | instid1(VALU_DEP_1)
	v_dot4_i32_iu8 v86, v162, v88, v86 neg_lo:[1,1,0]
	v_perm_b32 v88, v106, v106, 0xc0c0302
	v_dot4_i32_iu8 v86, v163, v88, v86 neg_lo:[1,1,0]
	v_add_nc_u32_e32 v88, 0x4108, v112
	s_delay_alu instid0(VALU_DEP_2) | instskip(SKIP_1) | instid1(VALU_DEP_1)
	v_dot4_i32_iu8 v86, v164, v87, v86 neg_lo:[1,1,0]
	v_perm_b32 v87, v107, v107, 0xc0c0302
	v_dot4_i32_iu8 v86, v165, v87, v86 neg_lo:[1,1,0]
	s_wait_dscnt 0x0
	v_perm_b32 v87, v84, v84, 0xc0c0100
	s_delay_alu instid0(VALU_DEP_1)
	v_dot4_i32_iu8 v120, v166, v87, v86 neg_lo:[1,1,0]
	v_add_nc_u32_e32 v86, 0x4100, v112
	ds_load_b32 v121, v115
	ds_load_2addr_b32 v[86:87], v86 offset1:1
	ds_load_2addr_b32 v[108:109], v88 offset1:1
	v_add_nc_u32_e32 v88, 0x4110, v112
	v_add_nc_u32_e32 v115, 4, v115
	ds_load_2addr_b32 v[144:145], v88 offset1:1
	v_add_nc_u32_e32 v88, 0x4118, v112
	ds_load_2addr_b32 v[146:147], v88 offset1:1
	v_add_nc_u32_e32 v88, 0x6180, v112
	ds_load_b32 v122, v116
	ds_load_2addr_b32 v[88:89], v88 offset1:1
	ds_load_2addr_b32 v[150:151], v90 offset1:1
	v_add_nc_u32_e32 v90, 0x6190, v112
	s_wait_dscnt 0x7
	v_pk_mul_f16 v143, v94, v121
	v_add_nc_u32_e32 v116, 4, v116
	ds_load_2addr_b32 v[152:153], v90 offset1:1
	v_add_nc_u32_e32 v90, 0x6198, v112
	v_add_nc_u32_e32 v112, 32, v112
	ds_load_2addr_b32 v[154:155], v90 offset1:1
	v_add_nc_u32_e32 v90, 0x40c, v111
	ds_load_2addr_b32 v[130:131], v90 offset1:1
	v_add_nc_u32_e32 v90, 0x404, v111
	s_wait_dscnt 0x5
	v_pk_mul_f16 v167, v94, v122
	ds_load_2addr_b32 v[126:127], v90 offset1:1
	v_add_nc_u32_e32 v90, 0x414, v111
	ds_load_2addr_b32 v[128:129], v90 offset1:1
	v_add_nc_u32_e32 v90, 0x400, v111
	ds_load_2addr_b32 v[90:91], v90 offset1:7
	s_wait_dscnt 0x3
	v_dual_lshlrev_b32 v93, 16, v131 :: v_dual_lshlrev_b32 v94, 8, v131
	v_dual_lshlrev_b32 v148, 16, v130 :: v_dual_lshlrev_b32 v149, 8, v130
	s_wait_dscnt 0x2
	v_dual_lshlrev_b32 v125, 16, v126 :: v_dual_lshlrev_b32 v136, 8, v126
	s_delay_alu instid0(VALU_DEP_3) | instskip(SKIP_4) | instid1(VALU_DEP_3)
	v_perm_b32 v93, v94, v93, 0x7030c0c
	v_perm_b32 v94, v131, v131, 0xc0c0003
	v_dual_lshlrev_b32 v139, 16, v127 :: v_dual_lshlrev_b32 v140, 8, v127
	s_wait_dscnt 0x1
	v_dual_lshlrev_b32 v141, 16, v129 :: v_dual_lshlrev_b32 v137, 16, v128
	v_dual_lshlrev_b32 v138, 8, v128 :: v_dual_bitop2_b32 v170, v93, v94 bitop3:0x54
	v_perm_b32 v94, v136, v125, 0x7030c0c
	v_perm_b32 v125, v126, v126, 0xc0c0003
	s_wait_dscnt 0x0
	v_lshlrev_b32_e32 v169, 8, v91
	v_perm_b32 v126, v128, v128, 0xc0c0003
	v_lshlrev_b32_e32 v142, 8, v129
	v_perm_b32 v127, v127, v127, 0xc0c0003
	v_or_b32_e32 v171, v94, v125
	v_perm_b32 v94, v138, v137, 0x7030c0c
	v_perm_b32 v128, v129, v129, 0xc0c0003
	v_lshlrev_b32_e32 v168, 16, v91
	v_perm_b32 v129, v130, v130, 0xc0c0003
	v_bfe_i32 v130, v82, 8, 8
	v_or_b32_e32 v172, v94, v126
	v_perm_b32 v94, v140, v139, 0x7030c0c
	v_perm_b32 v131, v82, v82, 0xc0c0302
	v_dot4_i32_iu8 v93, v170, v123, 0 neg_lo:[1,1,0]
	v_perm_b32 v125, v99, v99, 0x6010007
	v_perm_b32 v126, v100, v100, 0x2010003
	v_or_b32_e32 v173, v94, v127
	v_perm_b32 v94, v142, v141, 0x7030c0c
	v_or_b32_e32 v131, v158, v131
	v_dot4_i32_iu8 v93, v171, v124, v93 neg_lo:[1,1,0]
	v_perm_b32 v127, v101, v101, 0x2010003
	v_perm_b32 v91, v91, v91, 0xc0c0003
	v_or_b32_e32 v174, v94, v128
	v_perm_b32 v94, v149, v148, 0x7030c0c
	v_dot4_i32_iu8 v93, v172, v125, v93 neg_lo:[1,1,0]
	v_perm_b32 v128, v102, v102, 0x2010003
	v_perm_b32 v140, v103, v103, 0x2010003
	;; [unrolled: 1-line block ×3, first 2 shown]
	v_or_b32_e32 v175, v94, v129
	v_bfe_i32 v129, v82, 0, 8
	v_dot4_i32_iu8 v93, v173, v126, v93 neg_lo:[1,1,0]
	v_pk_mul_f16 v94, v117, v95
	v_perm_b32 v92, v97, v134, 0x7030c04
	v_perm_b32 v132, v81, v81, 0x2010003
	v_mul_i32_i24_e32 v129, v129, v156
	v_dot4_i32_iu8 v93, v174, v127, v93 neg_lo:[1,1,0]
	v_perm_b32 v134, v104, v104, 0x2010003
	v_bfe_i32 v97, v86, 0, 8
	v_dot4_i32_iu8 v81, v170, v132, 0 neg_lo:[1,1,0]
	v_mad_i32_i24 v129, v130, v157, v129
	v_perm_b32 v130, v83, v96, 0x5040302
	v_perm_b32 v83, v98, v83, 0x5040302
	;; [unrolled: 1-line block ×3, first 2 shown]
	v_dot4_i32_iu8 v93, v175, v128, v93 neg_lo:[1,1,0]
	v_mul_i32_i24_e32 v97, v97, v156
	v_dot4_i32_iu8 v129, v131, v130, v129 neg_lo:[1,1,0]
	v_perm_b32 v136, v106, v106, 0x2010003
	v_perm_b32 v137, v107, v107, 0x2010003
	;; [unrolled: 1-line block ×4, first 2 shown]
	v_dot4_i32_iu8 v83, v159, v83, v129 neg_lo:[1,1,0]
	v_perm_b32 v129, v109, v109, 0x6010007
	v_perm_b32 v131, v145, v145, 0x2010003
	;; [unrolled: 1-line block ×4, first 2 shown]
	v_dot4_i32_iu8 v83, v160, v98, v83 neg_lo:[1,1,0]
	v_perm_b32 v98, v99, v99, 0xc0c0302
	s_delay_alu instid0(VALU_DEP_3) | instskip(NEXT) | instid1(VALU_DEP_2)
	v_dot4_i32_iu8 v84, v141, v84, v120 neg_lo:[1,1,0]
	v_dot4_i32_iu8 v83, v161, v98, v83 neg_lo:[1,1,0]
	v_perm_b32 v98, v100, v100, 0xc0c0100
	s_delay_alu instid0(VALU_DEP_1) | instskip(SKIP_1) | instid1(VALU_DEP_1)
	v_dot4_i32_iu8 v83, v162, v98, v83 neg_lo:[1,1,0]
	v_perm_b32 v98, v100, v100, 0xc0c0302
	v_dot4_i32_iu8 v83, v163, v98, v83 neg_lo:[1,1,0]
	v_perm_b32 v98, v101, v101, 0xc0c0100
	s_delay_alu instid0(VALU_DEP_1) | instskip(SKIP_1) | instid1(VALU_DEP_1)
	v_dot4_i32_iu8 v83, v164, v98, v83 neg_lo:[1,1,0]
	v_perm_b32 v98, v101, v101, 0xc0c0302
	;; [unrolled: 5-line block ×3, first 2 shown]
	v_or_b32_e32 v138, v98, v91
	s_delay_alu instid0(VALU_DEP_1) | instskip(SKIP_1) | instid1(VALU_DEP_2)
	v_dot4_i32_iu8 v91, v138, v140, v93 neg_lo:[1,1,0]
	v_perm_b32 v93, v102, v102, 0xc0c0302
	v_dot4_i32_iu8 v91, v90, v82, v91 neg_lo:[1,1,0]
	s_delay_alu instid0(VALU_DEP_2) | instskip(SKIP_2) | instid1(VALU_DEP_4)
	v_dot4_i32_iu8 v83, v141, v93, v83 neg_lo:[1,1,0]
	v_perm_b32 v93, v133, v133, 0xc0c030c
	v_perm_b32 v133, v146, v146, 0x2010003
	v_cvt_f32_i32_e32 v101, v91
	s_delay_alu instid0(VALU_DEP_3)
	v_or_b32_e32 v142, v92, v93
	v_cvt_f32_f16_e32 v93, v94
	v_lshrrev_b32_e32 v94, 16, v94
	v_cvt_f32_f16_e64 v92, v135
	v_dot4_i32_iu8 v81, v171, v134, v81 neg_lo:[1,1,0]
	v_dot4_i32_iu8 v83, v142, v103, v83 neg_lo:[1,1,0]
	s_delay_alu instid0(VALU_DEP_4) | instskip(SKIP_2) | instid1(VALU_DEP_4)
	v_cvt_f32_f16_e32 v99, v94
	v_lshrrev_b32_e32 v94, 16, v135
	v_perm_b32 v135, v105, v105, 0x6010007
	v_cvt_f32_i32_e32 v100, v83
	v_perm_b32 v83, v108, v108, 0x2010003
	s_delay_alu instid0(VALU_DEP_4) | instskip(NEXT) | instid1(VALU_DEP_4)
	v_cvt_f32_f16_e32 v98, v94
	v_dot4_i32_iu8 v81, v172, v135, v81 neg_lo:[1,1,0]
	s_delay_alu instid0(VALU_DEP_2) | instskip(SKIP_1) | instid1(VALU_DEP_3)
	v_pk_fma_f32 v[92:93], v[92:93], v[100:101], v[98:99]
	v_bfe_i32 v98, v86, 8, 8
	v_dot4_i32_iu8 v81, v173, v136, v81 neg_lo:[1,1,0]
	v_perm_b32 v99, v87, v96, 0x5040302
	v_perm_b32 v96, v89, v96, 0x5040302
	v_pk_add_f32 v[36:37], v[36:37], v[92:93]
	v_mad_i32_i24 v97, v98, v157, v97
	v_perm_b32 v98, v86, v86, 0xc0c0302
	v_pk_mul_f16 v93, v121, v95
	s_delay_alu instid0(VALU_DEP_2) | instskip(NEXT) | instid1(VALU_DEP_1)
	v_or_b32_e32 v98, v158, v98
	v_dot4_i32_iu8 v97, v98, v99, v97 neg_lo:[1,1,0]
	s_delay_alu instid0(VALU_DEP_3) | instskip(SKIP_3) | instid1(VALU_DEP_3)
	v_cvt_f32_f16_e32 v99, v93
	v_lshrrev_b32_e32 v93, 16, v93
	v_dot4_i32_iu8 v81, v174, v137, v81 neg_lo:[1,1,0]
	v_perm_b32 v98, v146, v146, 0xc0c0302
	v_cvt_f32_f16_e32 v101, v93
	v_lshrrev_b32_e32 v93, 16, v143
	s_delay_alu instid0(VALU_DEP_4) | instskip(SKIP_1) | instid1(VALU_DEP_3)
	v_dot4_i32_iu8 v149, v175, v139, v81 neg_lo:[1,1,0]
	v_pk_mul_f16 v81, v118, v95
	v_cvt_f32_f16_e32 v100, v93
	v_pk_mul_f16 v93, v122, v95
	s_delay_alu instid0(VALU_DEP_3) | instskip(SKIP_2) | instid1(VALU_DEP_2)
	v_cvt_f32_f16_e32 v92, v81
	v_lshrrev_b32_e32 v81, 16, v81
	v_bfe_i32 v95, v88, 0, 8
	v_cvt_f32_f16_e32 v94, v81
	v_perm_b32 v81, v87, v87, 0x2010003
	v_perm_b32 v87, v108, v87, 0x5040302
	s_delay_alu instid0(VALU_DEP_4) | instskip(NEXT) | instid1(VALU_DEP_3)
	v_mul_i32_i24_e32 v95, v95, v156
	v_dot4_i32_iu8 v91, v170, v81, 0 neg_lo:[1,1,0]
	s_delay_alu instid0(VALU_DEP_3) | instskip(SKIP_1) | instid1(VALU_DEP_3)
	v_dot4_i32_iu8 v87, v159, v87, v97 neg_lo:[1,1,0]
	v_perm_b32 v97, v109, v108, 0x5040302
	v_dot4_i32_iu8 v91, v171, v83, v91 neg_lo:[1,1,0]
	s_delay_alu instid0(VALU_DEP_2) | instskip(SKIP_1) | instid1(VALU_DEP_3)
	v_dot4_i32_iu8 v87, v160, v97, v87 neg_lo:[1,1,0]
	v_perm_b32 v97, v109, v109, 0xc0c0302
	v_dot4_i32_iu8 v91, v172, v129, v91 neg_lo:[1,1,0]
	s_delay_alu instid0(VALU_DEP_2) | instskip(SKIP_1) | instid1(VALU_DEP_3)
	;; [unrolled: 4-line block ×3, first 2 shown]
	v_dot4_i32_iu8 v87, v162, v97, v87 neg_lo:[1,1,0]
	v_perm_b32 v97, v144, v144, 0xc0c0302
	v_dot4_i32_iu8 v91, v174, v131, v91 neg_lo:[1,1,0]
	v_perm_b32 v144, v150, v150, 0x2010003
	s_delay_alu instid0(VALU_DEP_3) | instskip(SKIP_1) | instid1(VALU_DEP_4)
	v_dot4_i32_iu8 v87, v163, v97, v87 neg_lo:[1,1,0]
	v_perm_b32 v97, v145, v145, 0xc0c0100
	v_dot4_i32_iu8 v91, v175, v133, v91 neg_lo:[1,1,0]
	s_delay_alu instid0(VALU_DEP_2) | instskip(SKIP_2) | instid1(VALU_DEP_2)
	v_dot4_i32_iu8 v87, v164, v97, v87 neg_lo:[1,1,0]
	v_perm_b32 v97, v145, v145, 0xc0c0302
	v_perm_b32 v145, v151, v151, 0x6010007
	v_dot4_i32_iu8 v87, v165, v97, v87 neg_lo:[1,1,0]
	v_perm_b32 v97, v146, v146, 0xc0c0100
	v_perm_b32 v146, v152, v152, 0x2010003
	s_delay_alu instid0(VALU_DEP_2) | instskip(SKIP_1) | instid1(VALU_DEP_2)
	v_dot4_i32_iu8 v97, v166, v97, v87 neg_lo:[1,1,0]
	v_perm_b32 v87, v147, v147, 0x2010003
	v_dot4_i32_iu8 v97, v141, v98, v97 neg_lo:[1,1,0]
	v_cvt_f32_f16_e64 v98, v143
	v_perm_b32 v143, v89, v89, 0x2010003
	v_perm_b32 v89, v150, v89, 0x5040302
	v_dot4_i32_iu8 v91, v138, v87, v91 neg_lo:[1,1,0]
	v_dot4_i32_iu8 v97, v142, v147, v97 neg_lo:[1,1,0]
	v_perm_b32 v147, v153, v153, 0x2010003
	s_delay_alu instid0(VALU_DEP_3) | instskip(NEXT) | instid1(VALU_DEP_3)
	v_dot4_i32_iu8 v91, v90, v86, v91 neg_lo:[1,1,0]
	v_cvt_f32_i32_e32 v102, v97
	v_bfe_i32 v97, v88, 8, 8
	s_delay_alu instid0(VALU_DEP_3) | instskip(SKIP_1) | instid1(VALU_DEP_3)
	v_cvt_f32_i32_e32 v103, v91
	v_dot4_i32_iu8 v91, v170, v143, 0 neg_lo:[1,1,0]
	v_mad_i32_i24 v95, v97, v157, v95
	v_perm_b32 v97, v88, v88, 0xc0c0302
	s_delay_alu instid0(VALU_DEP_4) | instskip(NEXT) | instid1(VALU_DEP_4)
	v_pk_fma_f32 v[98:99], v[98:99], v[102:103], v[100:101]
	v_dot4_i32_iu8 v91, v171, v144, v91 neg_lo:[1,1,0]
	s_delay_alu instid0(VALU_DEP_3) | instskip(NEXT) | instid1(VALU_DEP_3)
	v_or_b32_e32 v97, v158, v97
	v_pk_add_f32 v[32:33], v[32:33], v[98:99]
	s_delay_alu instid0(VALU_DEP_3) | instskip(NEXT) | instid1(VALU_DEP_3)
	v_dot4_i32_iu8 v91, v172, v145, v91 neg_lo:[1,1,0]
	v_dot4_i32_iu8 v95, v97, v96, v95 neg_lo:[1,1,0]
	v_perm_b32 v96, v154, v154, 0xc0c0302
	v_cvt_f32_f16_e32 v97, v93
	s_delay_alu instid0(VALU_DEP_4) | instskip(SKIP_3) | instid1(VALU_DEP_4)
	v_dot4_i32_iu8 v91, v173, v146, v91 neg_lo:[1,1,0]
	v_lshrrev_b32_e32 v93, 16, v93
	v_dot4_i32_iu8 v89, v159, v89, v95 neg_lo:[1,1,0]
	v_perm_b32 v95, v151, v150, 0x5040302
	v_dot4_i32_iu8 v91, v174, v147, v91 neg_lo:[1,1,0]
	s_delay_alu instid0(VALU_DEP_4) | instskip(SKIP_1) | instid1(VALU_DEP_4)
	v_cvt_f32_f16_e32 v99, v93
	v_lshrrev_b32_e32 v93, 16, v167
	v_dot4_i32_iu8 v89, v160, v95, v89 neg_lo:[1,1,0]
	v_perm_b32 v95, v151, v151, 0xc0c0302
	v_dot4_i32_iu8 v91, v175, v148, v91 neg_lo:[1,1,0]
	v_dot4_i32_iu8 v84, v142, v85, v84 neg_lo:[1,1,0]
	v_cvt_f32_f16_e32 v98, v93
	s_delay_alu instid0(VALU_DEP_4) | instskip(SKIP_1) | instid1(VALU_DEP_1)
	v_dot4_i32_iu8 v89, v161, v95, v89 neg_lo:[1,1,0]
	v_perm_b32 v95, v152, v152, 0xc0c0100
	v_dot4_i32_iu8 v89, v162, v95, v89 neg_lo:[1,1,0]
	v_perm_b32 v95, v152, v152, 0xc0c0302
	s_delay_alu instid0(VALU_DEP_1) | instskip(SKIP_1) | instid1(VALU_DEP_1)
	v_dot4_i32_iu8 v89, v163, v95, v89 neg_lo:[1,1,0]
	v_perm_b32 v95, v153, v153, 0xc0c0100
	v_dot4_i32_iu8 v89, v164, v95, v89 neg_lo:[1,1,0]
	v_perm_b32 v95, v153, v153, 0xc0c0302
	s_delay_alu instid0(VALU_DEP_1) | instskip(SKIP_1) | instid1(VALU_DEP_1)
	v_dot4_i32_iu8 v89, v165, v95, v89 neg_lo:[1,1,0]
	v_perm_b32 v95, v154, v154, 0xc0c0100
	v_dot4_i32_iu8 v95, v166, v95, v89 neg_lo:[1,1,0]
	v_perm_b32 v89, v155, v155, 0x2010003
	s_delay_alu instid0(VALU_DEP_2) | instskip(NEXT) | instid1(VALU_DEP_2)
	v_dot4_i32_iu8 v95, v141, v96, v95 neg_lo:[1,1,0]
	v_dot4_i32_iu8 v91, v138, v89, v91 neg_lo:[1,1,0]
	v_cvt_f32_f16_e64 v96, v167
	s_delay_alu instid0(VALU_DEP_3) | instskip(NEXT) | instid1(VALU_DEP_3)
	v_dot4_i32_iu8 v95, v142, v155, v95 neg_lo:[1,1,0]
	v_dot4_i32_iu8 v91, v90, v88, v91 neg_lo:[1,1,0]
	s_delay_alu instid0(VALU_DEP_2) | instskip(NEXT) | instid1(VALU_DEP_2)
	v_cvt_f32_i32_e32 v100, v95
	v_cvt_f32_i32_e32 v101, v91
	v_add_nc_u32_e32 v91, 0x80c, v111
	s_delay_alu instid0(VALU_DEP_2)
	v_pk_fma_f32 v[96:97], v[96:97], v[100:101], v[98:99]
	ds_load_2addr_b32 v[98:99], v91 offset1:1
	v_add_nc_u32_e32 v91, 0x804, v111
	v_pk_add_f32 v[30:31], v[30:31], v[96:97]
	ds_load_2addr_b32 v[100:101], v91 offset1:1
	v_add_nc_u32_e32 v91, 0x814, v111
	ds_load_2addr_b32 v[102:103], v91 offset1:1
	v_add_nc_u32_e32 v91, 0x800, v111
	ds_load_2addr_b32 v[96:97], v91 offset1:7
	ds_load_2addr_b32 v[104:105], v110 offset0:64 offset1:96
	s_wait_dscnt 0x4
	v_dual_lshlrev_b32 v91, 16, v99 :: v_dual_lshlrev_b32 v93, 8, v99
	v_dual_lshlrev_b32 v153, 16, v98 :: v_dual_lshlrev_b32 v154, 8, v98
	s_wait_dscnt 0x3
	v_dual_lshlrev_b32 v95, 16, v100 :: v_dual_lshlrev_b32 v106, 8, v100
	s_delay_alu instid0(VALU_DEP_3) | instskip(SKIP_4) | instid1(VALU_DEP_3)
	v_perm_b32 v91, v93, v91, 0x7030c0c
	v_perm_b32 v93, v99, v99, 0xc0c0003
	v_dual_lshlrev_b32 v109, 16, v101 :: v_dual_lshlrev_b32 v150, 8, v101
	s_wait_dscnt 0x2
	v_dual_lshlrev_b32 v151, 16, v103 :: v_dual_lshlrev_b32 v107, 16, v102
	v_dual_lshlrev_b32 v108, 8, v102 :: v_dual_bitop2_b32 v99, v91, v93 bitop3:0x54
	v_perm_b32 v93, v106, v95, 0x7030c0c
	v_perm_b32 v95, v100, v100, 0xc0c0003
	s_wait_dscnt 0x1
	v_dual_lshlrev_b32 v156, 8, v97 :: v_dual_lshlrev_b32 v152, 8, v103
	v_dot4_i32_iu8 v91, v99, v123, 0 neg_lo:[1,1,0]
	s_delay_alu instid0(VALU_DEP_3)
	v_dual_lshlrev_b32 v155, 16, v97 :: v_dual_bitop2_b32 v106, v93, v95 bitop3:0x54
	v_perm_b32 v93, v108, v107, 0x7030c0c
	v_perm_b32 v95, v102, v102, 0xc0c0003
	s_wait_dscnt 0x0
	v_pk_mul_f16 v107, v121, v104
	v_dot4_i32_iu8 v91, v106, v124, v91 neg_lo:[1,1,0]
	s_delay_alu instid0(VALU_DEP_3) | instskip(SKIP_2) | instid1(VALU_DEP_3)
	v_or_b32_e32 v102, v93, v95
	v_perm_b32 v93, v150, v109, 0x7030c0c
	v_perm_b32 v95, v101, v101, 0xc0c0003
	v_dot4_i32_iu8 v91, v102, v125, v91 neg_lo:[1,1,0]
	s_delay_alu instid0(VALU_DEP_2) | instskip(SKIP_2) | instid1(VALU_DEP_3)
	v_or_b32_e32 v101, v93, v95
	v_perm_b32 v93, v152, v151, 0x7030c0c
	v_perm_b32 v95, v103, v103, 0xc0c0003
	v_dot4_i32_iu8 v91, v101, v126, v91 neg_lo:[1,1,0]
	s_delay_alu instid0(VALU_DEP_2) | instskip(SKIP_2) | instid1(VALU_DEP_3)
	;; [unrolled: 5-line block ×3, first 2 shown]
	v_or_b32_e32 v98, v93, v95
	v_perm_b32 v93, v156, v155, 0x7030c0c
	v_perm_b32 v95, v97, v97, 0xc0c0003
	v_dot4_i32_iu8 v91, v98, v128, v91 neg_lo:[1,1,0]
	s_delay_alu instid0(VALU_DEP_2) | instskip(SKIP_1) | instid1(VALU_DEP_2)
	v_or_b32_e32 v97, v93, v95
	v_pk_mul_f16 v93, v117, v104
	v_dot4_i32_iu8 v91, v97, v140, v91 neg_lo:[1,1,0]
	s_delay_alu instid0(VALU_DEP_1) | instskip(NEXT) | instid1(VALU_DEP_1)
	v_dot4_i32_iu8 v91, v82, v96, v91 neg_lo:[1,1,0]
	v_cvt_f32_i32_e32 v91, v91
	s_delay_alu instid0(VALU_DEP_1) | instskip(SKIP_1) | instid1(VALU_DEP_1)
	v_fma_mix_f32 v100, v93, v91, v93 op_sel:[0,0,1] op_sel_hi:[1,0,1]
	v_dot4_i32_iu8 v91, v99, v132, 0 neg_lo:[1,1,0]
	v_dot4_i32_iu8 v91, v106, v134, v91 neg_lo:[1,1,0]
	s_delay_alu instid0(VALU_DEP_1) | instskip(NEXT) | instid1(VALU_DEP_1)
	v_dot4_i32_iu8 v91, v102, v135, v91 neg_lo:[1,1,0]
	v_dot4_i32_iu8 v91, v101, v136, v91 neg_lo:[1,1,0]
	s_delay_alu instid0(VALU_DEP_1) | instskip(NEXT) | instid1(VALU_DEP_1)
	v_dot4_i32_iu8 v91, v103, v137, v91 neg_lo:[1,1,0]
	v_dot4_i32_iu8 v150, v98, v139, v91 neg_lo:[1,1,0]
	v_pk_mul_f16 v91, v118, v104
	s_delay_alu instid0(VALU_DEP_1) | instskip(SKIP_1) | instid1(VALU_DEP_1)
	v_cvt_f32_f16_e32 v93, v91
	v_lshrrev_b32_e32 v91, 16, v91
	v_cvt_f32_f16_e32 v95, v91
	v_dot4_i32_iu8 v91, v99, v81, 0 neg_lo:[1,1,0]
	v_dot4_i32_iu8 v99, v99, v143, 0 neg_lo:[1,1,0]
	s_delay_alu instid0(VALU_DEP_2) | instskip(NEXT) | instid1(VALU_DEP_2)
	v_dot4_i32_iu8 v91, v106, v83, v91 neg_lo:[1,1,0]
	v_dot4_i32_iu8 v99, v106, v144, v99 neg_lo:[1,1,0]
	s_delay_alu instid0(VALU_DEP_2) | instskip(NEXT) | instid1(VALU_DEP_2)
	;; [unrolled: 3-line block ×5, first 2 shown]
	v_dot4_i32_iu8 v91, v98, v133, v91 neg_lo:[1,1,0]
	v_dot4_i32_iu8 v98, v98, v148, v99 neg_lo:[1,1,0]
	v_pk_mul_f16 v99, v122, v104
	s_delay_alu instid0(VALU_DEP_3) | instskip(NEXT) | instid1(VALU_DEP_3)
	v_dot4_i32_iu8 v91, v97, v87, v91 neg_lo:[1,1,0]
	v_dot4_i32_iu8 v98, v97, v89, v98 neg_lo:[1,1,0]
	s_delay_alu instid0(VALU_DEP_2) | instskip(NEXT) | instid1(VALU_DEP_2)
	v_dot4_i32_iu8 v91, v86, v96, v91 neg_lo:[1,1,0]
	v_dot4_i32_iu8 v98, v88, v96, v98 neg_lo:[1,1,0]
	s_delay_alu instid0(VALU_DEP_2) | instskip(NEXT) | instid1(VALU_DEP_2)
	v_cvt_f32_i32_e32 v91, v91
	v_cvt_f32_i32_e32 v98, v98
	s_delay_alu instid0(VALU_DEP_2) | instskip(NEXT) | instid1(VALU_DEP_2)
	v_fma_mix_f32 v91, v107, v91, v107 op_sel:[0,0,1] op_sel_hi:[1,0,1]
	v_fma_mix_f32 v107, v99, v98, v99 op_sel:[0,0,1] op_sel_hi:[1,0,1]
	v_add_nc_u32_e32 v98, 0xc0c, v111
	ds_load_2addr_b32 v[102:103], v98 offset1:1
	v_add_nc_u32_e32 v98, 0xc04, v111
	ds_load_2addr_b32 v[108:109], v98 offset1:1
	;; [unrolled: 2-line block ×4, first 2 shown]
	s_wait_dscnt 0x3
	v_dual_lshlrev_b32 v101, 16, v103 :: v_dual_lshlrev_b32 v104, 8, v103
	v_perm_b32 v103, v103, v103, 0xc0c0003
	v_dual_lshlrev_b32 v160, 16, v102 :: v_dual_lshlrev_b32 v161, 8, v102
	v_perm_b32 v102, v102, v102, 0xc0c0003
	s_wait_dscnt 0x2
	v_dual_lshlrev_b32 v106, 16, v108 :: v_dual_lshlrev_b32 v151, 8, v108
	v_perm_b32 v101, v104, v101, 0x7030c0c
	v_dual_lshlrev_b32 v156, 16, v109 :: v_dual_lshlrev_b32 v157, 8, v109
	v_perm_b32 v109, v109, v109, 0xc0c0003
	s_wait_dscnt 0x1
	v_dual_lshlrev_b32 v154, 16, v152 :: v_dual_lshlrev_b32 v155, 8, v152
	v_or_b32_e32 v103, v101, v103
	v_perm_b32 v104, v151, v106, 0x7030c0c
	v_perm_b32 v106, v108, v108, 0xc0c0003
	;; [unrolled: 1-line block ×3, first 2 shown]
	s_wait_dscnt 0x0
	v_lshlrev_b32_e32 v163, 8, v99
	v_dot4_i32_iu8 v101, v103, v123, 0 neg_lo:[1,1,0]
	v_dual_lshlrev_b32 v158, 16, v153 :: v_dual_lshlrev_b32 v159, 8, v153
	v_or_b32_e32 v104, v104, v106
	v_perm_b32 v106, v155, v154, 0x7030c0c
	v_perm_b32 v151, v153, v153, 0xc0c0003
	v_lshlrev_b32_e32 v162, 16, v99
	v_perm_b32 v99, v99, v99, 0xc0c0003
	v_dot4_i32_iu8 v101, v104, v124, v101 neg_lo:[1,1,0]
	v_or_b32_e32 v106, v106, v108
	v_perm_b32 v108, v157, v156, 0x7030c0c
	s_delay_alu instid0(VALU_DEP_2) | instskip(NEXT) | instid1(VALU_DEP_2)
	v_dot4_i32_iu8 v101, v106, v125, v101 neg_lo:[1,1,0]
	v_or_b32_e32 v109, v108, v109
	v_perm_b32 v108, v159, v158, 0x7030c0c
	s_delay_alu instid0(VALU_DEP_2) | instskip(NEXT) | instid1(VALU_DEP_2)
	v_dot4_i32_iu8 v101, v109, v126, v101 neg_lo:[1,1,0]
	v_or_b32_e32 v151, v108, v151
	v_perm_b32 v108, v161, v160, 0x7030c0c
	s_delay_alu instid0(VALU_DEP_2) | instskip(NEXT) | instid1(VALU_DEP_2)
	v_dot4_i32_iu8 v101, v151, v127, v101 neg_lo:[1,1,0]
	v_or_b32_e32 v152, v108, v102
	v_perm_b32 v102, v163, v162, 0x7030c0c
	s_delay_alu instid0(VALU_DEP_2) | instskip(NEXT) | instid1(VALU_DEP_2)
	v_dot4_i32_iu8 v101, v152, v128, v101 neg_lo:[1,1,0]
	v_or_b32_e32 v162, v102, v99
	s_delay_alu instid0(VALU_DEP_1) | instskip(SKIP_1) | instid1(VALU_DEP_2)
	v_dot4_i32_iu8 v99, v162, v140, v101 neg_lo:[1,1,0]
	v_pk_mul_f16 v101, v117, v105
	v_dot4_i32_iu8 v99, v82, v98, v99 neg_lo:[1,1,0]
	s_delay_alu instid0(VALU_DEP_1) | instskip(NEXT) | instid1(VALU_DEP_1)
	v_cvt_f32_i32_e32 v99, v99
	v_fma_mix_f32 v101, v101, v99, v101 op_sel:[0,0,1] op_sel_hi:[1,0,1]
	v_dot4_i32_iu8 v99, v103, v132, 0 neg_lo:[1,1,0]
	s_delay_alu instid0(VALU_DEP_2) | instskip(NEXT) | instid1(VALU_DEP_2)
	v_pk_add_f32 v[26:27], v[26:27], v[100:101]
	v_dot4_i32_iu8 v99, v104, v134, v99 neg_lo:[1,1,0]
	v_pk_mul_f16 v101, v121, v105
	s_delay_alu instid0(VALU_DEP_2) | instskip(NEXT) | instid1(VALU_DEP_1)
	v_dot4_i32_iu8 v99, v106, v135, v99 neg_lo:[1,1,0]
	v_dot4_i32_iu8 v99, v109, v136, v99 neg_lo:[1,1,0]
	s_delay_alu instid0(VALU_DEP_1) | instskip(NEXT) | instid1(VALU_DEP_1)
	v_dot4_i32_iu8 v99, v151, v137, v99 neg_lo:[1,1,0]
	v_dot4_i32_iu8 v163, v152, v139, v99 neg_lo:[1,1,0]
	v_pk_mul_f16 v99, v118, v105
	s_delay_alu instid0(VALU_DEP_1) | instskip(SKIP_1) | instid1(VALU_DEP_1)
	v_cvt_f32_f16_e32 v100, v99
	v_lshrrev_b32_e32 v99, 16, v99
	v_cvt_f32_f16_e32 v102, v99
	v_dot4_i32_iu8 v99, v103, v81, 0 neg_lo:[1,1,0]
	s_delay_alu instid0(VALU_DEP_1) | instskip(NEXT) | instid1(VALU_DEP_1)
	v_dot4_i32_iu8 v99, v104, v83, v99 neg_lo:[1,1,0]
	v_dot4_i32_iu8 v99, v106, v129, v99 neg_lo:[1,1,0]
	s_delay_alu instid0(VALU_DEP_1) | instskip(NEXT) | instid1(VALU_DEP_1)
	v_dot4_i32_iu8 v99, v109, v130, v99 neg_lo:[1,1,0]
	v_dot4_i32_iu8 v99, v151, v131, v99 neg_lo:[1,1,0]
	s_delay_alu instid0(VALU_DEP_1) | instskip(NEXT) | instid1(VALU_DEP_1)
	v_dot4_i32_iu8 v99, v152, v133, v99 neg_lo:[1,1,0]
	v_dot4_i32_iu8 v99, v162, v87, v99 neg_lo:[1,1,0]
	s_delay_alu instid0(VALU_DEP_1) | instskip(NEXT) | instid1(VALU_DEP_1)
	v_dot4_i32_iu8 v99, v86, v98, v99 neg_lo:[1,1,0]
	v_cvt_f32_i32_e32 v99, v99
	s_delay_alu instid0(VALU_DEP_1) | instskip(SKIP_2) | instid1(VALU_DEP_2)
	v_fma_mix_f32 v108, v101, v99, v101 op_sel:[0,0,1] op_sel_hi:[1,0,1]
	v_dot4_i32_iu8 v99, v103, v143, 0 neg_lo:[1,1,0]
	v_pk_mul_f16 v101, v122, v105
	v_dot4_i32_iu8 v99, v104, v144, v99 neg_lo:[1,1,0]
	s_delay_alu instid0(VALU_DEP_1) | instskip(NEXT) | instid1(VALU_DEP_1)
	v_dot4_i32_iu8 v99, v106, v145, v99 neg_lo:[1,1,0]
	v_dot4_i32_iu8 v99, v109, v146, v99 neg_lo:[1,1,0]
	s_delay_alu instid0(VALU_DEP_1) | instskip(NEXT) | instid1(VALU_DEP_1)
	v_dot4_i32_iu8 v99, v151, v147, v99 neg_lo:[1,1,0]
	;; [unrolled: 3-line block ×3, first 2 shown]
	v_dot4_i32_iu8 v99, v88, v98, v99 neg_lo:[1,1,0]
	s_delay_alu instid0(VALU_DEP_1) | instskip(NEXT) | instid1(VALU_DEP_1)
	v_cvt_f32_i32_e32 v99, v99
	v_fma_mix_f32 v152, v101, v99, v101 op_sel:[0,0,1] op_sel_hi:[1,0,1]
	v_add_nc_u32_e32 v99, 0x100c, v111
	ds_load_2addr_b32 v[154:155], v99 offset1:1
	v_add_nc_u32_e32 v99, 0x1004, v111
	ds_load_2addr_b32 v[156:157], v99 offset1:1
	;; [unrolled: 2-line block ×4, first 2 shown]
	ds_load_2addr_b32 v[160:161], v110 offset0:128 offset1:160
	s_wait_dscnt 0x4
	v_dual_lshlrev_b32 v99, 16, v155 :: v_dual_lshlrev_b32 v101, 8, v155
	v_dual_lshlrev_b32 v167, 16, v154 :: v_dual_lshlrev_b32 v168, 8, v154
	s_wait_dscnt 0x3
	v_dual_lshlrev_b32 v103, 16, v156 :: v_dual_lshlrev_b32 v106, 8, v156
	s_delay_alu instid0(VALU_DEP_3) | instskip(SKIP_4) | instid1(VALU_DEP_3)
	v_perm_b32 v99, v101, v99, 0x7030c0c
	v_perm_b32 v101, v155, v155, 0xc0c0003
	v_dual_lshlrev_b32 v153, 16, v157 :: v_dual_lshlrev_b32 v164, 8, v157
	s_wait_dscnt 0x2
	v_dual_lshlrev_b32 v165, 16, v159 :: v_dual_lshlrev_b32 v109, 16, v158
	v_dual_lshlrev_b32 v151, 8, v158 :: v_dual_bitop2_b32 v99, v99, v101 bitop3:0x54
	v_perm_b32 v103, v106, v103, 0x7030c0c
	v_perm_b32 v106, v156, v156, 0xc0c0003
	s_wait_dscnt 0x1
	v_dual_lshlrev_b32 v170, 8, v105 :: v_dual_lshlrev_b32 v166, 8, v159
	v_dot4_i32_iu8 v101, v99, v123, 0 neg_lo:[1,1,0]
	s_delay_alu instid0(VALU_DEP_3) | instskip(SKIP_3) | instid1(VALU_DEP_4)
	v_dual_lshlrev_b32 v169, 16, v105 :: v_dual_bitop2_b32 v106, v103, v106 bitop3:0x54
	v_perm_b32 v103, v151, v109, 0x7030c0c
	v_perm_b32 v109, v158, v158, 0xc0c0003
	;; [unrolled: 1-line block ×3, first 2 shown]
	v_dot4_i32_iu8 v101, v106, v124, v101 neg_lo:[1,1,0]
	s_delay_alu instid0(VALU_DEP_3)
	v_or_b32_e32 v151, v103, v109
	v_perm_b32 v103, v164, v153, 0x7030c0c
	v_perm_b32 v109, v157, v157, 0xc0c0003
	s_wait_dscnt 0x0
	v_pk_mul_f16 v157, v121, v160
	v_dot4_i32_iu8 v101, v151, v125, v101 neg_lo:[1,1,0]
	s_delay_alu instid0(VALU_DEP_3) | instskip(SKIP_2) | instid1(VALU_DEP_3)
	v_or_b32_e32 v153, v103, v109
	v_perm_b32 v103, v166, v165, 0x7030c0c
	v_perm_b32 v109, v159, v159, 0xc0c0003
	v_dot4_i32_iu8 v101, v153, v126, v101 neg_lo:[1,1,0]
	s_delay_alu instid0(VALU_DEP_2) | instskip(SKIP_2) | instid1(VALU_DEP_3)
	v_or_b32_e32 v155, v103, v109
	v_perm_b32 v103, v168, v167, 0x7030c0c
	v_perm_b32 v109, v154, v154, 0xc0c0003
	v_dot4_i32_iu8 v101, v155, v127, v101 neg_lo:[1,1,0]
	s_delay_alu instid0(VALU_DEP_2) | instskip(SKIP_1) | instid1(VALU_DEP_2)
	v_or_b32_e32 v156, v103, v109
	v_perm_b32 v103, v170, v169, 0x7030c0c
	v_dot4_i32_iu8 v101, v156, v128, v101 neg_lo:[1,1,0]
	s_delay_alu instid0(VALU_DEP_2) | instskip(SKIP_1) | instid1(VALU_DEP_2)
	v_or_b32_e32 v105, v103, v105
	v_pk_mul_f16 v103, v117, v160
	v_dot4_i32_iu8 v101, v105, v140, v101 neg_lo:[1,1,0]
	s_delay_alu instid0(VALU_DEP_1) | instskip(NEXT) | instid1(VALU_DEP_1)
	v_dot4_i32_iu8 v101, v82, v104, v101 neg_lo:[1,1,0]
	v_cvt_f32_i32_e32 v101, v101
	s_delay_alu instid0(VALU_DEP_1) | instskip(SKIP_2) | instid1(VALU_DEP_2)
	v_fma_mix_f32 v154, v103, v101, v103 op_sel:[0,0,1] op_sel_hi:[1,0,1]
	v_dot4_i32_iu8 v101, v99, v132, 0 neg_lo:[1,1,0]
	v_pk_mul_f16 v103, v118, v160
	v_dot4_i32_iu8 v101, v106, v134, v101 neg_lo:[1,1,0]
	s_delay_alu instid0(VALU_DEP_1) | instskip(NEXT) | instid1(VALU_DEP_1)
	v_dot4_i32_iu8 v101, v151, v135, v101 neg_lo:[1,1,0]
	v_dot4_i32_iu8 v101, v153, v136, v101 neg_lo:[1,1,0]
	s_delay_alu instid0(VALU_DEP_1) | instskip(NEXT) | instid1(VALU_DEP_1)
	v_dot4_i32_iu8 v101, v155, v137, v101 neg_lo:[1,1,0]
	v_dot4_i32_iu8 v164, v156, v139, v101 neg_lo:[1,1,0]
	v_cvt_f32_f16_e32 v101, v103
	v_lshrrev_b32_e32 v103, 16, v103
	v_dot4_i32_iu8 v109, v99, v81, 0 neg_lo:[1,1,0]
	v_dot4_i32_iu8 v99, v99, v143, 0 neg_lo:[1,1,0]
	s_delay_alu instid0(VALU_DEP_3) | instskip(NEXT) | instid1(VALU_DEP_3)
	v_cvt_f32_f16_e32 v103, v103
	v_dot4_i32_iu8 v109, v106, v83, v109 neg_lo:[1,1,0]
	s_delay_alu instid0(VALU_DEP_3) | instskip(SKIP_1) | instid1(VALU_DEP_3)
	v_dot4_i32_iu8 v99, v106, v144, v99 neg_lo:[1,1,0]
	v_pk_mul_f16 v106, v122, v160
	v_dot4_i32_iu8 v109, v151, v129, v109 neg_lo:[1,1,0]
	s_delay_alu instid0(VALU_DEP_3) | instskip(NEXT) | instid1(VALU_DEP_2)
	v_dot4_i32_iu8 v99, v151, v145, v99 neg_lo:[1,1,0]
	v_dot4_i32_iu8 v109, v153, v130, v109 neg_lo:[1,1,0]
	s_delay_alu instid0(VALU_DEP_2) | instskip(NEXT) | instid1(VALU_DEP_2)
	v_dot4_i32_iu8 v99, v153, v146, v99 neg_lo:[1,1,0]
	v_dot4_i32_iu8 v109, v155, v131, v109 neg_lo:[1,1,0]
	s_delay_alu instid0(VALU_DEP_2) | instskip(NEXT) | instid1(VALU_DEP_2)
	;; [unrolled: 3-line block ×5, first 2 shown]
	v_dot4_i32_iu8 v99, v88, v104, v99 neg_lo:[1,1,0]
	v_cvt_f32_i32_e32 v109, v109
	s_delay_alu instid0(VALU_DEP_2) | instskip(NEXT) | instid1(VALU_DEP_2)
	v_cvt_f32_i32_e32 v99, v99
	v_fma_mix_f32 v109, v157, v109, v157 op_sel:[0,0,1] op_sel_hi:[1,0,1]
	s_delay_alu instid0(VALU_DEP_2) | instskip(SKIP_1) | instid1(VALU_DEP_3)
	v_fma_mix_f32 v153, v106, v99, v106 op_sel:[0,0,1] op_sel_hi:[1,0,1]
	v_add_nc_u32_e32 v99, 0x140c, v111
	v_pk_add_f32 v[22:23], v[22:23], v[108:109]
	s_delay_alu instid0(VALU_DEP_3)
	v_pk_add_f32 v[20:21], v[20:21], v[152:153]
	ds_load_2addr_b32 v[152:153], v99 offset1:1
	v_add_nc_u32_e32 v99, 0x1404, v111
	ds_load_2addr_b32 v[156:157], v99 offset1:1
	v_add_nc_u32_e32 v99, 0x1414, v111
	;; [unrolled: 2-line block ×3, first 2 shown]
	ds_load_2addr_b32 v[108:109], v99 offset1:7
	s_wait_dscnt 0x3
	v_dual_lshlrev_b32 v99, 16, v153 :: v_dual_lshlrev_b32 v106, 8, v153
	v_dual_lshlrev_b32 v170, 16, v152 :: v_dual_lshlrev_b32 v171, 8, v152
	v_perm_b32 v152, v152, v152, 0xc0c0003
	s_wait_dscnt 0x2
	v_dual_lshlrev_b32 v151, 16, v156 :: v_dual_lshlrev_b32 v155, 8, v156
	v_perm_b32 v99, v106, v99, 0x7030c0c
	v_perm_b32 v106, v153, v153, 0xc0c0003
	;; [unrolled: 1-line block ×3, first 2 shown]
	v_dual_lshlrev_b32 v166, 16, v157 :: v_dual_lshlrev_b32 v167, 8, v157
	s_wait_dscnt 0x1
	v_dual_lshlrev_b32 v160, 16, v158 :: v_dual_lshlrev_b32 v165, 8, v158
	v_or_b32_e32 v99, v99, v106
	v_perm_b32 v151, v155, v151, 0x7030c0c
	v_perm_b32 v155, v158, v158, 0xc0c0003
	s_wait_dscnt 0x0
	v_dual_lshlrev_b32 v173, 8, v109 :: v_dual_lshlrev_b32 v168, 16, v159
	v_dot4_i32_iu8 v106, v99, v123, 0 neg_lo:[1,1,0]
	v_or_b32_e32 v151, v151, v153
	v_perm_b32 v153, v165, v160, 0x7030c0c
	v_lshlrev_b32_e32 v169, 8, v159
	v_perm_b32 v156, v157, v157, 0xc0c0003
	v_perm_b32 v157, v159, v159, 0xc0c0003
	v_dot4_i32_iu8 v106, v151, v124, v106 neg_lo:[1,1,0]
	v_or_b32_e32 v153, v153, v155
	v_perm_b32 v155, v167, v166, 0x7030c0c
	v_lshlrev_b32_e32 v172, 16, v109
	v_perm_b32 v109, v109, v109, 0xc0c0003
	v_pk_mul_f16 v166, v118, v161
	v_dot4_i32_iu8 v106, v153, v125, v106 neg_lo:[1,1,0]
	v_or_b32_e32 v156, v155, v156
	v_perm_b32 v155, v169, v168, 0x7030c0c
	s_delay_alu instid0(VALU_DEP_2) | instskip(NEXT) | instid1(VALU_DEP_2)
	v_dot4_i32_iu8 v106, v156, v126, v106 neg_lo:[1,1,0]
	v_or_b32_e32 v157, v155, v157
	v_perm_b32 v155, v171, v170, 0x7030c0c
	s_delay_alu instid0(VALU_DEP_2) | instskip(NEXT) | instid1(VALU_DEP_2)
	;; [unrolled: 4-line block ×3, first 2 shown]
	v_dot4_i32_iu8 v106, v152, v128, v106 neg_lo:[1,1,0]
	v_or_b32_e32 v109, v155, v109
	v_pk_mul_f16 v155, v117, v161
	s_delay_alu instid0(VALU_DEP_2) | instskip(NEXT) | instid1(VALU_DEP_1)
	v_dot4_i32_iu8 v106, v109, v140, v106 neg_lo:[1,1,0]
	v_dot4_i32_iu8 v106, v82, v108, v106 neg_lo:[1,1,0]
	s_delay_alu instid0(VALU_DEP_1) | instskip(NEXT) | instid1(VALU_DEP_1)
	v_cvt_f32_i32_e32 v106, v106
	v_fma_mix_f32 v155, v155, v106, v155 op_sel:[0,0,1] op_sel_hi:[1,0,1]
	v_dot4_i32_iu8 v106, v99, v132, 0 neg_lo:[1,1,0]
	s_delay_alu instid0(VALU_DEP_2) | instskip(NEXT) | instid1(VALU_DEP_2)
	v_pk_add_f32 v[18:19], v[18:19], v[154:155]
	v_dot4_i32_iu8 v106, v151, v134, v106 neg_lo:[1,1,0]
	v_pk_mul_f16 v154, v121, v161
	s_delay_alu instid0(VALU_DEP_2) | instskip(NEXT) | instid1(VALU_DEP_1)
	v_dot4_i32_iu8 v106, v153, v135, v106 neg_lo:[1,1,0]
	v_dot4_i32_iu8 v106, v156, v136, v106 neg_lo:[1,1,0]
	s_delay_alu instid0(VALU_DEP_1) | instskip(NEXT) | instid1(VALU_DEP_1)
	v_dot4_i32_iu8 v106, v157, v137, v106 neg_lo:[1,1,0]
	v_dot4_i32_iu8 v165, v152, v139, v106 neg_lo:[1,1,0]
	;; [unrolled: 1-line block ×4, first 2 shown]
	s_delay_alu instid0(VALU_DEP_2) | instskip(NEXT) | instid1(VALU_DEP_2)
	v_dot4_i32_iu8 v106, v151, v83, v106 neg_lo:[1,1,0]
	v_dot4_i32_iu8 v99, v151, v144, v99 neg_lo:[1,1,0]
	v_add_nc_u32_e32 v151, 0x1804, v111
	s_delay_alu instid0(VALU_DEP_3) | instskip(NEXT) | instid1(VALU_DEP_3)
	v_dot4_i32_iu8 v106, v153, v129, v106 neg_lo:[1,1,0]
	v_dot4_i32_iu8 v99, v153, v145, v99 neg_lo:[1,1,0]
	s_delay_alu instid0(VALU_DEP_2) | instskip(NEXT) | instid1(VALU_DEP_2)
	v_dot4_i32_iu8 v106, v156, v130, v106 neg_lo:[1,1,0]
	v_dot4_i32_iu8 v99, v156, v146, v99 neg_lo:[1,1,0]
	s_delay_alu instid0(VALU_DEP_2) | instskip(NEXT) | instid1(VALU_DEP_2)
	;; [unrolled: 3-line block ×3, first 2 shown]
	v_dot4_i32_iu8 v106, v152, v133, v106 neg_lo:[1,1,0]
	v_dot4_i32_iu8 v99, v152, v148, v99 neg_lo:[1,1,0]
	ds_load_2addr_b32 v[152:153], v151 offset1:1
	v_add_nc_u32_e32 v151, 0x1814, v111
	v_dot4_i32_iu8 v106, v109, v87, v106 neg_lo:[1,1,0]
	v_dot4_i32_iu8 v99, v109, v89, v99 neg_lo:[1,1,0]
	s_delay_alu instid0(VALU_DEP_2) | instskip(NEXT) | instid1(VALU_DEP_2)
	v_dot4_i32_iu8 v106, v86, v108, v106 neg_lo:[1,1,0]
	v_dot4_i32_iu8 v99, v88, v108, v99 neg_lo:[1,1,0]
	s_delay_alu instid0(VALU_DEP_2) | instskip(NEXT) | instid1(VALU_DEP_2)
	v_cvt_f32_i32_e32 v106, v106
	v_cvt_f32_i32_e32 v99, v99
	s_delay_alu instid0(VALU_DEP_2)
	v_fma_mix_f32 v106, v154, v106, v154 op_sel:[0,0,1] op_sel_hi:[1,0,1]
	ds_load_2addr_b32 v[154:155], v151 offset1:1
	v_add_nc_u32_e32 v151, 0x1800, v111
	s_wait_dscnt 0x1
	v_dual_lshlrev_b32 v167, 8, v152 :: v_dual_lshlrev_b32 v170, 16, v153
	v_lshlrev_b32_e32 v171, 8, v153
	v_pk_add_f32 v[14:15], v[14:15], v[106:107]
	v_pk_mul_f16 v106, v122, v161
	v_lshlrev_b32_e32 v161, 16, v152
	v_perm_b32 v152, v152, v152, 0xc0c0003
	v_perm_b32 v153, v153, v153, 0xc0c0003
	s_delay_alu instid0(VALU_DEP_4)
	v_fma_mix_f32 v99, v106, v99, v106 op_sel:[0,0,1] op_sel_hi:[1,0,1]
	v_add_nc_u32_e32 v106, 0x180c, v111
	ds_load_2addr_b32 v[106:107], v106 offset1:1
	ds_load_2addr_b32 v[156:157], v151 offset1:7
	ds_load_2addr_b32 v[158:159], v110 offset0:192 offset1:224
	v_add_nc_u32_e32 v110, 4, v110
	s_wait_dscnt 0x3
	v_dual_lshlrev_b32 v168, 16, v154 :: v_dual_lshlrev_b32 v169, 8, v154
	v_perm_b32 v154, v154, v154, 0xc0c0003
	v_dual_lshlrev_b32 v172, 16, v155 :: v_dual_lshlrev_b32 v173, 8, v155
	v_perm_b32 v155, v155, v155, 0xc0c0003
	s_wait_dscnt 0x2
	v_dual_lshlrev_b32 v151, 16, v107 :: v_dual_lshlrev_b32 v160, 8, v107
	v_dual_lshlrev_b32 v174, 16, v106 :: v_dual_lshlrev_b32 v175, 8, v106
	s_wait_dscnt 0x1
	v_dual_lshlrev_b32 v176, 16, v157 :: v_dual_lshlrev_b32 v177, 8, v157
	s_delay_alu instid0(VALU_DEP_3)
	v_perm_b32 v151, v160, v151, 0x7030c0c
	v_perm_b32 v160, v167, v161, 0x7030c0c
	;; [unrolled: 1-line block ×5, first 2 shown]
	s_wait_dscnt 0x0
	v_pk_mul_f16 v167, v117, v158
	v_or_b32_e32 v152, v160, v152
	v_perm_b32 v160, v169, v168, 0x7030c0c
	v_or_b32_e32 v107, v151, v107
	v_pk_mul_f16 v117, v117, v159
	v_pk_mul_f16 v169, v118, v158
	s_delay_alu instid0(VALU_DEP_4) | instskip(SKIP_4) | instid1(VALU_DEP_4)
	v_or_b32_e32 v154, v160, v154
	v_perm_b32 v160, v171, v170, 0x7030c0c
	v_dot4_i32_iu8 v151, v107, v123, 0 neg_lo:[1,1,0]
	v_pk_mul_f16 v171, v121, v158
	v_pk_mul_f16 v158, v122, v158
	v_or_b32_e32 v153, v160, v153
	v_perm_b32 v160, v173, v172, 0x7030c0c
	v_dot4_i32_iu8 v151, v152, v124, v151 neg_lo:[1,1,0]
	s_delay_alu instid0(VALU_DEP_2) | instskip(SKIP_1) | instid1(VALU_DEP_3)
	v_or_b32_e32 v155, v160, v155
	v_perm_b32 v160, v175, v174, 0x7030c0c
	v_dot4_i32_iu8 v151, v154, v125, v151 neg_lo:[1,1,0]
	s_delay_alu instid0(VALU_DEP_2) | instskip(SKIP_1) | instid1(VALU_DEP_3)
	v_or_b32_e32 v106, v160, v106
	v_perm_b32 v160, v177, v176, 0x7030c0c
	v_dot4_i32_iu8 v151, v153, v126, v151 neg_lo:[1,1,0]
	s_delay_alu instid0(VALU_DEP_2) | instskip(SKIP_1) | instid1(VALU_DEP_3)
	v_or_b32_e32 v157, v160, v157
	v_dot4_i32_iu8 v160, v107, v132, 0 neg_lo:[1,1,0]
	v_dot4_i32_iu8 v151, v155, v127, v151 neg_lo:[1,1,0]
	s_delay_alu instid0(VALU_DEP_2) | instskip(NEXT) | instid1(VALU_DEP_2)
	v_dot4_i32_iu8 v160, v152, v134, v160 neg_lo:[1,1,0]
	v_dot4_i32_iu8 v151, v106, v128, v151 neg_lo:[1,1,0]
	s_delay_alu instid0(VALU_DEP_2) | instskip(NEXT) | instid1(VALU_DEP_1)
	v_dot4_i32_iu8 v160, v154, v135, v160 neg_lo:[1,1,0]
	v_dot4_i32_iu8 v160, v153, v136, v160 neg_lo:[1,1,0]
	s_delay_alu instid0(VALU_DEP_1) | instskip(NEXT) | instid1(VALU_DEP_1)
	v_dot4_i32_iu8 v160, v155, v137, v160 neg_lo:[1,1,0]
	v_dot4_i32_iu8 v168, v106, v139, v160 neg_lo:[1,1,0]
	;; [unrolled: 1-line block ×4, first 2 shown]
	s_delay_alu instid0(VALU_DEP_2) | instskip(NEXT) | instid1(VALU_DEP_2)
	v_dot4_i32_iu8 v160, v152, v83, v160 neg_lo:[1,1,0]
	v_dot4_i32_iu8 v107, v152, v144, v107 neg_lo:[1,1,0]
	v_add_nc_u32_e32 v152, 0x1c04, v111
	s_delay_alu instid0(VALU_DEP_3) | instskip(NEXT) | instid1(VALU_DEP_3)
	v_dot4_i32_iu8 v160, v154, v129, v160 neg_lo:[1,1,0]
	v_dot4_i32_iu8 v107, v154, v145, v107 neg_lo:[1,1,0]
	v_add_nc_u32_e32 v154, 0x1c14, v111
	s_delay_alu instid0(VALU_DEP_3) | instskip(NEXT) | instid1(VALU_DEP_3)
	v_dot4_i32_iu8 v160, v153, v130, v160 neg_lo:[1,1,0]
	v_dot4_i32_iu8 v107, v153, v146, v107 neg_lo:[1,1,0]
	s_delay_alu instid0(VALU_DEP_2) | instskip(NEXT) | instid1(VALU_DEP_2)
	v_dot4_i32_iu8 v160, v155, v131, v160 neg_lo:[1,1,0]
	v_dot4_i32_iu8 v107, v155, v147, v107 neg_lo:[1,1,0]
	s_delay_alu instid0(VALU_DEP_2) | instskip(NEXT) | instid1(VALU_DEP_2)
	v_dot4_i32_iu8 v170, v106, v133, v160 neg_lo:[1,1,0]
	v_dot4_i32_iu8 v172, v106, v148, v107 neg_lo:[1,1,0]
	v_add_nc_u32_e32 v106, 0x1c0c, v111
	ds_load_2addr_b32 v[106:107], v106 offset1:1
	ds_load_2addr_b32 v[152:153], v152 offset1:1
	;; [unrolled: 1-line block ×3, first 2 shown]
	v_add_nc_u32_e32 v160, 0x1c00, v111
	v_add_nc_u32_e32 v111, 32, v111
	ds_load_2addr_b32 v[160:161], v160 offset1:7
	s_wait_dscnt 0x3
	v_dual_lshlrev_b32 v173, 16, v107 :: v_dual_lshlrev_b32 v174, 8, v107
	v_perm_b32 v107, v107, v107, 0xc0c0003
	s_wait_dscnt 0x2
	v_dual_lshlrev_b32 v175, 16, v152 :: v_dual_lshlrev_b32 v176, 8, v152
	v_perm_b32 v152, v152, v152, 0xc0c0003
	v_perm_b32 v173, v174, v173, 0x7030c0c
	s_wait_dscnt 0x0
	v_dual_lshlrev_b32 v177, 16, v154 :: v_dual_lshlrev_b32 v219, 8, v161
	v_dual_lshlrev_b32 v178, 8, v154 :: v_dual_lshlrev_b32 v179, 16, v153
	s_delay_alu instid0(VALU_DEP_3) | instskip(SKIP_2) | instid1(VALU_DEP_3)
	v_dual_lshlrev_b32 v180, 8, v153 :: v_dual_bitop2_b32 v173, v173, v107 bitop3:0x54
	v_dual_lshlrev_b32 v181, 16, v155 :: v_dual_lshlrev_b32 v182, 8, v155
	v_lshlrev_b32_e32 v183, 16, v106
	v_dot4_i32_iu8 v107, v173, v123, 0 neg_lo:[1,1,0]
	v_perm_b32 v123, v176, v175, 0x7030c0c
	v_dual_lshlrev_b32 v217, 8, v106 :: v_dual_lshlrev_b32 v218, 16, v161
	v_perm_b32 v106, v106, v106, 0xc0c0003
	v_dot4_i32_iu8 v151, v157, v140, v151 neg_lo:[1,1,0]
	s_delay_alu instid0(VALU_DEP_4) | instskip(SKIP_1) | instid1(VALU_DEP_2)
	v_or_b32_e32 v123, v123, v152
	v_perm_b32 v152, v154, v154, 0xc0c0003
	v_dot4_i32_iu8 v107, v123, v124, v107 neg_lo:[1,1,0]
	v_perm_b32 v124, v178, v177, 0x7030c0c
	s_delay_alu instid0(VALU_DEP_1) | instskip(SKIP_1) | instid1(VALU_DEP_2)
	v_or_b32_e32 v152, v124, v152
	v_perm_b32 v124, v180, v179, 0x7030c0c
	v_dot4_i32_iu8 v107, v152, v125, v107 neg_lo:[1,1,0]
	v_perm_b32 v125, v153, v153, 0xc0c0003
	s_delay_alu instid0(VALU_DEP_1) | instskip(SKIP_2) | instid1(VALU_DEP_3)
	v_or_b32_e32 v153, v124, v125
	v_perm_b32 v124, v182, v181, 0x7030c0c
	v_perm_b32 v125, v155, v155, 0xc0c0003
	v_dot4_i32_iu8 v107, v153, v126, v107 neg_lo:[1,1,0]
	v_cvt_f32_i32_e32 v126, v84
	s_delay_alu instid0(VALU_DEP_3) | instskip(SKIP_1) | instid1(VALU_DEP_2)
	v_or_b32_e32 v154, v124, v125
	v_perm_b32 v124, v217, v183, 0x7030c0c
	v_dot4_i32_iu8 v107, v154, v127, v107 neg_lo:[1,1,0]
	s_delay_alu instid0(VALU_DEP_2) | instskip(SKIP_1) | instid1(VALU_DEP_2)
	v_or_b32_e32 v155, v124, v106
	v_perm_b32 v124, v161, v161, 0xc0c0003
	v_dot4_i32_iu8 v106, v155, v128, v107 neg_lo:[1,1,0]
	v_perm_b32 v107, v219, v218, 0x7030c0c
	s_delay_alu instid0(VALU_DEP_1) | instskip(SKIP_2) | instid1(VALU_DEP_3)
	v_or_b32_e32 v128, v107, v124
	v_cvt_f32_f16_e32 v107, v117
	v_lshrrev_b32_e32 v117, 16, v117
	v_dot4_i32_iu8 v106, v128, v140, v106 neg_lo:[1,1,0]
	s_delay_alu instid0(VALU_DEP_2) | instskip(SKIP_1) | instid1(VALU_DEP_3)
	v_cvt_f32_f16_e32 v125, v117
	v_lshrrev_b32_e32 v117, 16, v119
	v_dot4_i32_iu8 v120, v82, v160, v106 neg_lo:[1,1,0]
	v_dot4_i32_iu8 v82, v82, v156, v151 neg_lo:[1,1,0]
	v_cvt_f32_f16_e32 v106, v119
	s_delay_alu instid0(VALU_DEP_4) | instskip(SKIP_3) | instid1(VALU_DEP_3)
	v_cvt_f32_f16_e32 v124, v117
	v_perm_b32 v117, v85, v85, 0x2010003
	v_cvt_f32_i32_e32 v127, v120
	v_cvt_f32_i32_e32 v82, v82
	v_dot4_i32_iu8 v84, v97, v117, v150 neg_lo:[1,1,0]
	v_dot4_i32_iu8 v85, v138, v117, v149 neg_lo:[1,1,0]
	s_delay_alu instid0(VALU_DEP_4) | instskip(NEXT) | instid1(VALU_DEP_3)
	v_pk_fma_f32 v[106:107], v[106:107], v[126:127], v[124:125]
	v_dot4_i32_iu8 v84, v96, v80, v84 neg_lo:[1,1,0]
	s_delay_alu instid0(VALU_DEP_3) | instskip(NEXT) | instid1(VALU_DEP_3)
	v_dot4_i32_iu8 v90, v90, v80, v85 neg_lo:[1,1,0]
	v_pk_add_f32 v[6:7], v[6:7], v[106:107]
	s_delay_alu instid0(VALU_DEP_3) | instskip(NEXT) | instid1(VALU_DEP_3)
	v_cvt_f32_i32_e32 v85, v84
	v_cvt_f32_i32_e32 v84, v90
	s_delay_alu instid0(VALU_DEP_1) | instskip(NEXT) | instid1(VALU_DEP_1)
	v_pk_fma_f32 v[84:85], v[92:93], v[84:85], v[94:95]
	v_pk_add_f32 v[28:29], v[28:29], v[84:85]
	v_dot4_i32_iu8 v84, v105, v117, v164 neg_lo:[1,1,0]
	v_dot4_i32_iu8 v85, v162, v117, v163 neg_lo:[1,1,0]
	s_delay_alu instid0(VALU_DEP_2) | instskip(NEXT) | instid1(VALU_DEP_2)
	v_dot4_i32_iu8 v84, v104, v80, v84 neg_lo:[1,1,0]
	v_dot4_i32_iu8 v90, v98, v80, v85 neg_lo:[1,1,0]
	v_fma_mix_f32 v98, v167, v82, v167 op_sel:[0,0,1] op_sel_hi:[1,0,1]
	v_dot4_i32_iu8 v82, v173, v132, 0 neg_lo:[1,1,0]
	s_delay_alu instid0(VALU_DEP_4) | instskip(NEXT) | instid1(VALU_DEP_4)
	v_cvt_f32_i32_e32 v85, v84
	v_cvt_f32_i32_e32 v84, v90
	s_delay_alu instid0(VALU_DEP_4) | instskip(NEXT) | instid1(VALU_DEP_4)
	v_pk_add_f32 v[8:9], v[8:9], v[98:99]
	v_dot4_i32_iu8 v82, v123, v134, v82 neg_lo:[1,1,0]
	s_delay_alu instid0(VALU_DEP_3) | instskip(NEXT) | instid1(VALU_DEP_2)
	v_pk_fma_f32 v[84:85], v[100:101], v[84:85], v[102:103]
	v_dot4_i32_iu8 v82, v152, v135, v82 neg_lo:[1,1,0]
	s_delay_alu instid0(VALU_DEP_2) | instskip(SKIP_1) | instid1(VALU_DEP_3)
	v_pk_add_f32 v[24:25], v[24:25], v[84:85]
	v_dot4_i32_iu8 v84, v109, v117, v165 neg_lo:[1,1,0]
	v_dot4_i32_iu8 v82, v153, v136, v82 neg_lo:[1,1,0]
	s_delay_alu instid0(VALU_DEP_2) | instskip(NEXT) | instid1(VALU_DEP_2)
	v_dot4_i32_iu8 v84, v108, v80, v84 neg_lo:[1,1,0]
	v_dot4_i32_iu8 v82, v154, v137, v82 neg_lo:[1,1,0]
	s_delay_alu instid0(VALU_DEP_2) | instskip(NEXT) | instid1(VALU_DEP_2)
	v_cvt_f32_i32_e32 v84, v84
	v_dot4_i32_iu8 v82, v155, v139, v82 neg_lo:[1,1,0]
	s_delay_alu instid0(VALU_DEP_2) | instskip(NEXT) | instid1(VALU_DEP_2)
	v_fma_mix_f32 v90, v166, v84, v166 op_sel:[0,0,1] op_sel_hi:[1,0,1]
	v_dot4_i32_iu8 v82, v128, v117, v82 neg_lo:[1,1,0]
	v_dot4_i32_iu8 v84, v157, v117, v168 neg_lo:[1,1,0]
	s_delay_alu instid0(VALU_DEP_3) | instskip(SKIP_1) | instid1(VALU_DEP_3)
	v_pk_add_f32 v[16:17], v[16:17], v[90:91]
	v_pk_mul_f16 v90, v118, v159
	v_dot4_i32_iu8 v92, v156, v80, v84 neg_lo:[1,1,0]
	v_dot4_i32_iu8 v80, v160, v80, v82 neg_lo:[1,1,0]
	v_cvt_f32_f16_e64 v84, v169
	s_delay_alu instid0(VALU_DEP_4) | instskip(SKIP_1) | instid1(VALU_DEP_4)
	v_lshrrev_b32_e32 v82, 16, v90
	v_cvt_f32_f16_e32 v85, v90
	v_cvt_f32_i32_e32 v93, v80
	v_dot4_i32_iu8 v80, v173, v81, 0 neg_lo:[1,1,0]
	v_cvt_f32_i32_e32 v92, v92
	v_cvt_f32_f16_e32 v91, v82
	v_lshrrev_b32_e32 v82, 16, v169
	v_dot4_i32_iu8 v81, v157, v87, v170 neg_lo:[1,1,0]
	v_dot4_i32_iu8 v80, v123, v83, v80 neg_lo:[1,1,0]
	s_delay_alu instid0(VALU_DEP_3) | instskip(SKIP_1) | instid1(VALU_DEP_3)
	v_cvt_f32_f16_e32 v90, v82
	v_pk_mul_f16 v82, v121, v159
	v_dot4_i32_iu8 v80, v152, v129, v80 neg_lo:[1,1,0]
	s_delay_alu instid0(VALU_DEP_3) | instskip(NEXT) | instid1(VALU_DEP_2)
	v_pk_fma_f32 v[84:85], v[84:85], v[92:93], v[90:91]
	v_dot4_i32_iu8 v80, v153, v130, v80 neg_lo:[1,1,0]
	s_delay_alu instid0(VALU_DEP_2) | instskip(SKIP_4) | instid1(VALU_DEP_4)
	v_pk_add_f32 v[4:5], v[4:5], v[84:85]
	v_dot4_i32_iu8 v84, v156, v86, v81 neg_lo:[1,1,0]
	v_cvt_f32_f16_e32 v81, v82
	v_lshrrev_b32_e32 v82, 16, v82
	v_dot4_i32_iu8 v80, v154, v131, v80 neg_lo:[1,1,0]
	v_cvt_f32_i32_e32 v84, v84
	s_delay_alu instid0(VALU_DEP_3) | instskip(NEXT) | instid1(VALU_DEP_3)
	v_cvt_f32_f16_e32 v83, v82
	v_dot4_i32_iu8 v80, v155, v133, v80 neg_lo:[1,1,0]
	v_lshrrev_b32_e32 v82, 16, v171
	s_delay_alu instid0(VALU_DEP_2) | instskip(NEXT) | instid1(VALU_DEP_2)
	v_dot4_i32_iu8 v80, v128, v87, v80 neg_lo:[1,1,0]
	v_cvt_f32_f16_e32 v82, v82
	s_delay_alu instid0(VALU_DEP_2) | instskip(SKIP_1) | instid1(VALU_DEP_2)
	v_dot4_i32_iu8 v85, v160, v86, v80 neg_lo:[1,1,0]
	v_cvt_f32_f16_e64 v80, v171
	v_cvt_f32_i32_e32 v85, v85
	s_delay_alu instid0(VALU_DEP_1) | instskip(SKIP_1) | instid1(VALU_DEP_2)
	v_pk_fma_f32 v[80:81], v[80:81], v[84:85], v[82:83]
	v_pk_mul_f16 v82, v122, v159
	v_pk_add_f32 v[2:3], v[2:3], v[80:81]
	v_dot4_i32_iu8 v80, v173, v143, 0 neg_lo:[1,1,0]
	v_dot4_i32_iu8 v81, v157, v89, v172 neg_lo:[1,1,0]
	s_delay_alu instid0(VALU_DEP_2) | instskip(NEXT) | instid1(VALU_DEP_2)
	v_dot4_i32_iu8 v80, v123, v144, v80 neg_lo:[1,1,0]
	v_dot4_i32_iu8 v84, v156, v88, v81 neg_lo:[1,1,0]
	v_cvt_f32_f16_e32 v81, v82
	v_lshrrev_b32_e32 v82, 16, v82
	s_delay_alu instid0(VALU_DEP_4) | instskip(NEXT) | instid1(VALU_DEP_4)
	v_dot4_i32_iu8 v80, v152, v145, v80 neg_lo:[1,1,0]
	v_cvt_f32_i32_e32 v84, v84
	s_delay_alu instid0(VALU_DEP_3) | instskip(SKIP_1) | instid1(VALU_DEP_4)
	v_cvt_f32_f16_e32 v83, v82
	v_lshrrev_b32_e32 v82, 16, v158
	v_dot4_i32_iu8 v80, v153, v146, v80 neg_lo:[1,1,0]
	s_delay_alu instid0(VALU_DEP_2) | instskip(NEXT) | instid1(VALU_DEP_2)
	v_cvt_f32_f16_e32 v82, v82
	v_dot4_i32_iu8 v80, v154, v147, v80 neg_lo:[1,1,0]
	s_delay_alu instid0(VALU_DEP_1) | instskip(NEXT) | instid1(VALU_DEP_1)
	v_dot4_i32_iu8 v80, v155, v148, v80 neg_lo:[1,1,0]
	v_dot4_i32_iu8 v80, v128, v89, v80 neg_lo:[1,1,0]
	s_delay_alu instid0(VALU_DEP_1) | instskip(SKIP_1) | instid1(VALU_DEP_2)
	v_dot4_i32_iu8 v85, v160, v88, v80 neg_lo:[1,1,0]
	v_cvt_f32_f16_e64 v80, v158
	v_cvt_f32_i32_e32 v85, v85
	s_delay_alu instid0(VALU_DEP_1) | instskip(NEXT) | instid1(VALU_DEP_1)
	v_pk_fma_f32 v[80:81], v[80:81], v[84:85], v[82:83]
	v_pk_add_f32 v[0:1], v[0:1], v[80:81]
	s_cbranch_scc1 .LBB124_12
; %bb.13:                               ;   in Loop: Header=BB124_7 Depth=1
	s_barrier_signal -1
	s_barrier_wait -1
	s_branch .LBB124_6
.LBB124_14:
	v_dual_mov_b32 v10, v11 :: v_dual_mov_b32 v12, v35
	s_mov_b32 s0, exec_lo
	v_cmpx_gt_u32_e64 s6, v41
	s_cbranch_execz .LBB124_3
.LBB124_15:
	v_mul_lo_u32 v34, v41, s12
	v_add_nc_u32_e32 v11, s14, v12
	s_delay_alu instid0(VALU_DEP_1)
	v_cmp_gt_u32_e32 vcc_lo, s12, v11
	s_and_saveexec_b32 s0, vcc_lo
	s_cbranch_execz .LBB124_17
; %bb.16:
	s_delay_alu instid0(VALU_DEP_3)
	v_add_nc_u32_e32 v12, v11, v34
	s_wait_kmcnt 0x0
	global_store_b32 v12, v36, s[8:9] scale_offset
.LBB124_17:
	s_wait_xcnt 0x0
	s_or_b32 exec_lo, exec_lo, s0
	v_add_nc_u32_e32 v12, 32, v11
	s_delay_alu instid0(VALU_DEP_1)
	v_cmp_gt_u32_e64 s0, s12, v12
	s_and_saveexec_b32 s1, s0
	s_cbranch_execz .LBB124_19
; %bb.18:
	v_add_nc_u32_e32 v13, v12, v34
	s_wait_kmcnt 0x0
	global_store_b32 v13, v6, s[8:9] scale_offset
.LBB124_19:
	s_wait_xcnt 0x0
	s_or_b32 exec_lo, exec_lo, s1
	v_add_nc_u32_e32 v6, 64, v11
	s_delay_alu instid0(VALU_DEP_1)
	v_cmp_gt_u32_e64 s1, s12, v6
	s_and_saveexec_b32 s2, s1
	s_cbranch_execz .LBB124_21
; %bb.20:
	v_add_nc_u32_e32 v13, v6, v34
	s_wait_kmcnt 0x0
	global_store_b32 v13, v32, s[8:9] scale_offset
.LBB124_21:
	;; [unrolled: 12-line block ×3, first 2 shown]
	s_wait_xcnt 0x0
	s_or_b32 exec_lo, exec_lo, s3
	v_add3_u32 v30, v10, s13, 8
	s_delay_alu instid0(VALU_DEP_1)
	v_cmp_gt_u32_e64 s3, s6, v30
	s_and_b32 exec_lo, exec_lo, s3
	s_cbranch_execz .LBB124_3
; %bb.24:
	v_mul_lo_u32 v30, v30, s12
	s_and_saveexec_b32 s3, vcc_lo
	s_cbranch_execnz .LBB124_64
; %bb.25:
	s_or_b32 exec_lo, exec_lo, s3
	s_and_saveexec_b32 s3, s0
	s_cbranch_execnz .LBB124_65
.LBB124_26:
	s_or_b32 exec_lo, exec_lo, s3
	s_and_saveexec_b32 s3, s1
	s_cbranch_execnz .LBB124_66
.LBB124_27:
	s_or_b32 exec_lo, exec_lo, s3
	s_and_saveexec_b32 s3, s2
	s_cbranch_execz .LBB124_29
.LBB124_28:
	v_add_nc_u32_e32 v28, v30, v13
	s_wait_kmcnt 0x0
	global_store_b32 v28, v31, s[8:9] scale_offset
.LBB124_29:
	s_wait_xcnt 0x0
	s_or_b32 exec_lo, exec_lo, s3
	v_add3_u32 v28, v10, s13, 16
	s_delay_alu instid0(VALU_DEP_1)
	v_cmp_gt_u32_e64 s3, s6, v28
	s_and_b32 exec_lo, exec_lo, s3
	s_cbranch_execz .LBB124_3
; %bb.30:
	v_mul_lo_u32 v28, v28, s12
	s_and_saveexec_b32 s3, vcc_lo
	s_cbranch_execnz .LBB124_67
; %bb.31:
	s_or_b32 exec_lo, exec_lo, s3
	s_and_saveexec_b32 s3, s0
	s_cbranch_execnz .LBB124_68
.LBB124_32:
	s_or_b32 exec_lo, exec_lo, s3
	s_and_saveexec_b32 s3, s1
	s_cbranch_execnz .LBB124_69
.LBB124_33:
	s_or_b32 exec_lo, exec_lo, s3
	s_and_saveexec_b32 s3, s2
	s_cbranch_execz .LBB124_35
.LBB124_34:
	v_add_nc_u32_e32 v17, v28, v13
	s_wait_kmcnt 0x0
	global_store_b32 v17, v15, s[8:9] scale_offset
.LBB124_35:
	s_wait_xcnt 0x0
	s_or_b32 exec_lo, exec_lo, s3
	v_add3_u32 v15, v10, s13, 24
	s_delay_alu instid0(VALU_DEP_1)
	v_cmp_gt_u32_e64 s3, s6, v15
	s_and_b32 exec_lo, exec_lo, s3
	s_cbranch_execz .LBB124_3
; %bb.36:
	v_mul_lo_u32 v15, v15, s12
	s_and_saveexec_b32 s3, vcc_lo
	s_cbranch_execnz .LBB124_70
; %bb.37:
	s_or_b32 exec_lo, exec_lo, s3
	s_and_saveexec_b32 s3, s0
	s_cbranch_execnz .LBB124_71
.LBB124_38:
	s_or_b32 exec_lo, exec_lo, s3
	s_and_saveexec_b32 s3, s1
	s_cbranch_execnz .LBB124_72
.LBB124_39:
	s_or_b32 exec_lo, exec_lo, s3
	s_and_saveexec_b32 s3, s2
	s_cbranch_execz .LBB124_41
.LBB124_40:
	v_add_nc_u32_e32 v15, v15, v13
	s_wait_kmcnt 0x0
	global_store_b32 v15, v20, s[8:9] scale_offset
.LBB124_41:
	s_wait_xcnt 0x0
	s_or_b32 exec_lo, exec_lo, s3
	v_add3_u32 v15, v10, s13, 32
	s_delay_alu instid0(VALU_DEP_1)
	v_cmp_gt_u32_e64 s3, s6, v15
	s_and_b32 exec_lo, exec_lo, s3
	s_cbranch_execz .LBB124_3
; %bb.42:
	v_mul_lo_u32 v15, v15, s12
	s_and_saveexec_b32 s3, vcc_lo
	s_cbranch_execnz .LBB124_73
; %bb.43:
	s_or_b32 exec_lo, exec_lo, s3
	s_and_saveexec_b32 s3, s0
	s_cbranch_execnz .LBB124_74
.LBB124_44:
	s_or_b32 exec_lo, exec_lo, s3
	s_and_saveexec_b32 s3, s1
	s_cbranch_execnz .LBB124_75
.LBB124_45:
	s_or_b32 exec_lo, exec_lo, s3
	s_and_saveexec_b32 s3, s2
	s_cbranch_execz .LBB124_47
.LBB124_46:
	v_add_nc_u32_e32 v15, v15, v13
	s_wait_kmcnt 0x0
	global_store_b32 v15, v21, s[8:9] scale_offset
.LBB124_47:
	s_wait_xcnt 0x0
	s_or_b32 exec_lo, exec_lo, s3
	v_add3_u32 v15, v10, s13, 40
	s_delay_alu instid0(VALU_DEP_1)
	v_cmp_gt_u32_e64 s3, s6, v15
	s_and_b32 exec_lo, exec_lo, s3
	s_cbranch_execz .LBB124_3
; %bb.48:
	v_mul_lo_u32 v15, v15, s12
	s_and_saveexec_b32 s3, vcc_lo
	s_cbranch_execnz .LBB124_76
; %bb.49:
	s_or_b32 exec_lo, exec_lo, s3
	s_and_saveexec_b32 s3, s0
	s_cbranch_execnz .LBB124_77
.LBB124_50:
	s_or_b32 exec_lo, exec_lo, s3
	s_and_saveexec_b32 s3, s1
	s_cbranch_execnz .LBB124_78
.LBB124_51:
	s_or_b32 exec_lo, exec_lo, s3
	s_and_saveexec_b32 s3, s2
	s_cbranch_execz .LBB124_53
.LBB124_52:
	v_add_nc_u32_e32 v14, v15, v13
	s_wait_kmcnt 0x0
	global_store_b32 v14, v9, s[8:9] scale_offset
.LBB124_53:
	s_wait_xcnt 0x0
	s_or_b32 exec_lo, exec_lo, s3
	v_add3_u32 v9, v10, s13, 48
	s_delay_alu instid0(VALU_DEP_1)
	v_cmp_gt_u32_e64 s3, s6, v9
	s_and_b32 exec_lo, exec_lo, s3
	s_cbranch_execz .LBB124_3
; %bb.54:
	v_mul_lo_u32 v9, v9, s12
	s_and_saveexec_b32 s3, vcc_lo
	s_cbranch_execnz .LBB124_79
; %bb.55:
	s_or_b32 exec_lo, exec_lo, s3
	s_and_saveexec_b32 s3, s0
	s_cbranch_execnz .LBB124_80
.LBB124_56:
	s_or_b32 exec_lo, exec_lo, s3
	s_and_saveexec_b32 s3, s1
	s_cbranch_execnz .LBB124_81
.LBB124_57:
	s_or_b32 exec_lo, exec_lo, s3
	s_and_saveexec_b32 s3, s2
	s_cbranch_execz .LBB124_59
.LBB124_58:
	v_add_nc_u32_e32 v2, v9, v13
	s_wait_kmcnt 0x0
	global_store_b32 v2, v0, s[8:9] scale_offset
.LBB124_59:
	s_wait_xcnt 0x0
	s_or_b32 exec_lo, exec_lo, s3
	v_add3_u32 v0, v10, s13, 56
	s_delay_alu instid0(VALU_DEP_1)
	v_cmp_gt_u32_e64 s3, s6, v0
	s_and_b32 exec_lo, exec_lo, s3
	s_cbranch_execz .LBB124_3
; %bb.60:
	v_mul_lo_u32 v0, v0, s12
	s_and_saveexec_b32 s3, vcc_lo
	s_cbranch_execnz .LBB124_82
; %bb.61:
	s_or_b32 exec_lo, exec_lo, s3
	s_and_saveexec_b32 s3, s0
	s_cbranch_execnz .LBB124_83
.LBB124_62:
	s_or_b32 exec_lo, exec_lo, s3
	s_and_saveexec_b32 s0, s1
	s_cbranch_execnz .LBB124_84
.LBB124_63:
	s_or_b32 exec_lo, exec_lo, s0
	s_delay_alu instid0(SALU_CYCLE_1)
	s_and_b32 exec_lo, exec_lo, s2
	s_cbranch_execz .LBB124_3
	s_branch .LBB124_85
.LBB124_64:
	s_delay_alu instid0(VALU_DEP_1)
	v_add_nc_u32_e32 v32, v30, v11
	s_wait_kmcnt 0x0
	global_store_b32 v32, v37, s[8:9] scale_offset
	s_wait_xcnt 0x0
	s_or_b32 exec_lo, exec_lo, s3
	s_and_saveexec_b32 s3, s0
	s_cbranch_execz .LBB124_26
.LBB124_65:
	s_delay_alu instid0(VALU_DEP_1)
	v_add_nc_u32_e32 v32, v30, v12
	s_wait_kmcnt 0x0
	global_store_b32 v32, v28, s[8:9] scale_offset
	s_wait_xcnt 0x0
	s_or_b32 exec_lo, exec_lo, s3
	s_and_saveexec_b32 s3, s1
	s_cbranch_execz .LBB124_27
.LBB124_66:
	s_delay_alu instid0(VALU_DEP_1)
	v_add_nc_u32_e32 v28, v30, v6
	s_wait_kmcnt 0x0
	global_store_b32 v28, v33, s[8:9] scale_offset
	s_wait_xcnt 0x0
	s_or_b32 exec_lo, exec_lo, s3
	s_and_saveexec_b32 s3, s2
	s_cbranch_execnz .LBB124_28
	s_branch .LBB124_29
.LBB124_67:
	s_delay_alu instid0(VALU_DEP_1)
	v_add_nc_u32_e32 v30, v28, v11
	s_wait_kmcnt 0x0
	global_store_b32 v30, v26, s[8:9] scale_offset
	s_wait_xcnt 0x0
	s_or_b32 exec_lo, exec_lo, s3
	s_and_saveexec_b32 s3, s0
	s_cbranch_execz .LBB124_32
.LBB124_68:
	s_delay_alu instid0(VALU_DEP_1)
	v_add_nc_u32_e32 v26, v28, v12
	s_wait_kmcnt 0x0
	global_store_b32 v26, v29, s[8:9] scale_offset
	s_wait_xcnt 0x0
	s_or_b32 exec_lo, exec_lo, s3
	s_and_saveexec_b32 s3, s1
	s_cbranch_execz .LBB124_33
.LBB124_69:
	s_delay_alu instid0(VALU_DEP_1)
	v_add_nc_u32_e32 v26, v28, v6
	s_wait_kmcnt 0x0
	global_store_b32 v26, v17, s[8:9] scale_offset
	s_wait_xcnt 0x0
	s_or_b32 exec_lo, exec_lo, s3
	s_and_saveexec_b32 s3, s2
	s_cbranch_execnz .LBB124_34
	s_branch .LBB124_35
.LBB124_70:
	s_delay_alu instid0(VALU_DEP_1)
	v_add_nc_u32_e32 v17, v15, v11
	s_wait_kmcnt 0x0
	global_store_b32 v17, v27, s[8:9] scale_offset
	s_wait_xcnt 0x0
	s_or_b32 exec_lo, exec_lo, s3
	s_and_saveexec_b32 s3, s0
	s_cbranch_execz .LBB124_38
.LBB124_71:
	s_delay_alu instid0(VALU_DEP_1)
	v_add_nc_u32_e32 v17, v15, v12
	s_wait_kmcnt 0x0
	global_store_b32 v17, v24, s[8:9] scale_offset
	s_wait_xcnt 0x0
	s_or_b32 exec_lo, exec_lo, s3
	s_and_saveexec_b32 s3, s1
	s_cbranch_execz .LBB124_39
.LBB124_72:
	s_delay_alu instid0(VALU_DEP_1)
	v_add_nc_u32_e32 v17, v15, v6
	s_wait_kmcnt 0x0
	global_store_b32 v17, v22, s[8:9] scale_offset
	s_wait_xcnt 0x0
	s_or_b32 exec_lo, exec_lo, s3
	s_and_saveexec_b32 s3, s2
	s_cbranch_execnz .LBB124_40
	s_branch .LBB124_41
.LBB124_73:
	s_delay_alu instid0(VALU_DEP_1)
	v_add_nc_u32_e32 v17, v15, v11
	s_wait_kmcnt 0x0
	global_store_b32 v17, v18, s[8:9] scale_offset
	s_wait_xcnt 0x0
	s_or_b32 exec_lo, exec_lo, s3
	s_and_saveexec_b32 s3, s0
	s_cbranch_execz .LBB124_44
.LBB124_74:
	s_delay_alu instid0(VALU_DEP_1)
	v_add_nc_u32_e32 v17, v15, v12
	s_wait_kmcnt 0x0
	global_store_b32 v17, v25, s[8:9] scale_offset
	s_wait_xcnt 0x0
	s_or_b32 exec_lo, exec_lo, s3
	s_and_saveexec_b32 s3, s1
	s_cbranch_execz .LBB124_45
.LBB124_75:
	s_delay_alu instid0(VALU_DEP_1)
	v_add_nc_u32_e32 v17, v15, v6
	s_wait_kmcnt 0x0
	global_store_b32 v17, v23, s[8:9] scale_offset
	s_wait_xcnt 0x0
	s_or_b32 exec_lo, exec_lo, s3
	s_and_saveexec_b32 s3, s2
	s_cbranch_execnz .LBB124_46
	s_branch .LBB124_47
.LBB124_76:
	s_delay_alu instid0(VALU_DEP_1)
	v_add_nc_u32_e32 v17, v15, v11
	s_wait_kmcnt 0x0
	global_store_b32 v17, v19, s[8:9] scale_offset
	s_wait_xcnt 0x0
	s_or_b32 exec_lo, exec_lo, s3
	s_and_saveexec_b32 s3, s0
	s_cbranch_execz .LBB124_50
.LBB124_77:
	s_delay_alu instid0(VALU_DEP_1)
	v_add_nc_u32_e32 v17, v15, v12
	s_wait_kmcnt 0x0
	global_store_b32 v17, v16, s[8:9] scale_offset
	s_wait_xcnt 0x0
	s_or_b32 exec_lo, exec_lo, s3
	s_and_saveexec_b32 s3, s1
	s_cbranch_execz .LBB124_51
.LBB124_78:
	s_delay_alu instid0(VALU_DEP_1)
	v_add_nc_u32_e32 v16, v15, v6
	s_wait_kmcnt 0x0
	global_store_b32 v16, v14, s[8:9] scale_offset
	s_wait_xcnt 0x0
	s_or_b32 exec_lo, exec_lo, s3
	s_and_saveexec_b32 s3, s2
	s_cbranch_execnz .LBB124_52
	s_branch .LBB124_53
.LBB124_79:
	s_delay_alu instid0(VALU_DEP_1)
	v_add_nc_u32_e32 v14, v9, v11
	s_wait_kmcnt 0x0
	global_store_b32 v14, v8, s[8:9] scale_offset
	s_wait_xcnt 0x0
	s_or_b32 exec_lo, exec_lo, s3
	s_and_saveexec_b32 s3, s0
	s_cbranch_execz .LBB124_56
.LBB124_80:
	s_delay_alu instid0(VALU_DEP_1)
	v_add_nc_u32_e32 v8, v9, v12
	s_wait_kmcnt 0x0
	global_store_b32 v8, v4, s[8:9] scale_offset
	s_wait_xcnt 0x0
	s_or_b32 exec_lo, exec_lo, s3
	s_and_saveexec_b32 s3, s1
	s_cbranch_execz .LBB124_57
.LBB124_81:
	s_delay_alu instid0(VALU_DEP_1)
	v_add_nc_u32_e32 v4, v9, v6
	s_wait_kmcnt 0x0
	global_store_b32 v4, v2, s[8:9] scale_offset
	s_wait_xcnt 0x0
	s_or_b32 exec_lo, exec_lo, s3
	s_and_saveexec_b32 s3, s2
	s_cbranch_execnz .LBB124_58
	s_branch .LBB124_59
.LBB124_82:
	s_delay_alu instid0(VALU_DEP_1)
	v_add_nc_u32_e32 v2, v0, v11
	s_wait_kmcnt 0x0
	global_store_b32 v2, v7, s[8:9] scale_offset
	s_wait_xcnt 0x0
	s_or_b32 exec_lo, exec_lo, s3
	s_and_saveexec_b32 s3, s0
	s_cbranch_execz .LBB124_62
.LBB124_83:
	s_delay_alu instid0(VALU_DEP_1)
	v_add_nc_u32_e32 v2, v0, v12
	s_wait_kmcnt 0x0
	global_store_b32 v2, v5, s[8:9] scale_offset
	s_wait_xcnt 0x0
	s_or_b32 exec_lo, exec_lo, s3
	s_and_saveexec_b32 s0, s1
	s_cbranch_execz .LBB124_63
.LBB124_84:
	s_delay_alu instid0(VALU_DEP_1) | instskip(SKIP_4) | instid1(SALU_CYCLE_1)
	v_add_nc_u32_e32 v2, v0, v6
	s_wait_kmcnt 0x0
	global_store_b32 v2, v3, s[8:9] scale_offset
	s_wait_xcnt 0x0
	s_or_b32 exec_lo, exec_lo, s0
	s_and_b32 exec_lo, exec_lo, s2
	s_cbranch_execz .LBB124_3
.LBB124_85:
	v_add_nc_u32_e32 v0, v0, v13
	s_wait_kmcnt 0x0
	global_store_b32 v0, v1, s[8:9] scale_offset
	s_sendmsg sendmsg(MSG_DEALLOC_VGPRS)
	s_endpgm
	.section	.rodata,"a",@progbits
	.p2align	6, 0x0
	.amdhsa_kernel _ZL12mul_mat_q5_1IfLb1EEvPKvS1_PT_iiiii
		.amdhsa_group_segment_fixed_size 46720
		.amdhsa_private_segment_fixed_size 0
		.amdhsa_kernarg_size 44
		.amdhsa_user_sgpr_count 2
		.amdhsa_user_sgpr_dispatch_ptr 0
		.amdhsa_user_sgpr_queue_ptr 0
		.amdhsa_user_sgpr_kernarg_segment_ptr 1
		.amdhsa_user_sgpr_dispatch_id 0
		.amdhsa_user_sgpr_kernarg_preload_length 0
		.amdhsa_user_sgpr_kernarg_preload_offset 0
		.amdhsa_user_sgpr_private_segment_size 0
		.amdhsa_wavefront_size32 1
		.amdhsa_uses_dynamic_stack 0
		.amdhsa_enable_private_segment 0
		.amdhsa_system_sgpr_workgroup_id_x 1
		.amdhsa_system_sgpr_workgroup_id_y 1
		.amdhsa_system_sgpr_workgroup_id_z 0
		.amdhsa_system_sgpr_workgroup_info 0
		.amdhsa_system_vgpr_workitem_id 1
		.amdhsa_next_free_vgpr 339
		.amdhsa_next_free_sgpr 17
		.amdhsa_named_barrier_count 0
		.amdhsa_reserve_vcc 1
		.amdhsa_float_round_mode_32 0
		.amdhsa_float_round_mode_16_64 0
		.amdhsa_float_denorm_mode_32 3
		.amdhsa_float_denorm_mode_16_64 3
		.amdhsa_fp16_overflow 0
		.amdhsa_memory_ordered 1
		.amdhsa_forward_progress 1
		.amdhsa_inst_pref_size 218
		.amdhsa_round_robin_scheduling 0
		.amdhsa_exception_fp_ieee_invalid_op 0
		.amdhsa_exception_fp_denorm_src 0
		.amdhsa_exception_fp_ieee_div_zero 0
		.amdhsa_exception_fp_ieee_overflow 0
		.amdhsa_exception_fp_ieee_underflow 0
		.amdhsa_exception_fp_ieee_inexact 0
		.amdhsa_exception_int_div_zero 0
	.end_amdhsa_kernel
	.section	.text._ZL12mul_mat_q5_1IfLb1EEvPKvS1_PT_iiiii,"axG",@progbits,_ZL12mul_mat_q5_1IfLb1EEvPKvS1_PT_iiiii,comdat
.Lfunc_end124:
	.size	_ZL12mul_mat_q5_1IfLb1EEvPKvS1_PT_iiiii, .Lfunc_end124-_ZL12mul_mat_q5_1IfLb1EEvPKvS1_PT_iiiii
                                        ; -- End function
	.set _ZL12mul_mat_q5_1IfLb1EEvPKvS1_PT_iiiii.num_vgpr, 339
	.set _ZL12mul_mat_q5_1IfLb1EEvPKvS1_PT_iiiii.num_agpr, 0
	.set _ZL12mul_mat_q5_1IfLb1EEvPKvS1_PT_iiiii.numbered_sgpr, 17
	.set _ZL12mul_mat_q5_1IfLb1EEvPKvS1_PT_iiiii.num_named_barrier, 0
	.set _ZL12mul_mat_q5_1IfLb1EEvPKvS1_PT_iiiii.private_seg_size, 0
	.set _ZL12mul_mat_q5_1IfLb1EEvPKvS1_PT_iiiii.uses_vcc, 1
	.set _ZL12mul_mat_q5_1IfLb1EEvPKvS1_PT_iiiii.uses_flat_scratch, 0
	.set _ZL12mul_mat_q5_1IfLb1EEvPKvS1_PT_iiiii.has_dyn_sized_stack, 0
	.set _ZL12mul_mat_q5_1IfLb1EEvPKvS1_PT_iiiii.has_recursion, 0
	.set _ZL12mul_mat_q5_1IfLb1EEvPKvS1_PT_iiiii.has_indirect_call, 0
	.section	.AMDGPU.csdata,"",@progbits
; Kernel info:
; codeLenInByte = 27880
; TotalNumSgprs: 19
; NumVgprs: 339
; ScratchSize: 0
; MemoryBound: 0
; FloatMode: 240
; IeeeMode: 1
; LDSByteSize: 46720 bytes/workgroup (compile time only)
; SGPRBlocks: 0
; VGPRBlocks: 21
; NumSGPRsForWavesPerEU: 19
; NumVGPRsForWavesPerEU: 339
; NamedBarCnt: 0
; Occupancy: 2
; WaveLimiterHint : 0
; COMPUTE_PGM_RSRC2:SCRATCH_EN: 0
; COMPUTE_PGM_RSRC2:USER_SGPR: 2
; COMPUTE_PGM_RSRC2:TRAP_HANDLER: 0
; COMPUTE_PGM_RSRC2:TGID_X_EN: 1
; COMPUTE_PGM_RSRC2:TGID_Y_EN: 1
; COMPUTE_PGM_RSRC2:TGID_Z_EN: 0
; COMPUTE_PGM_RSRC2:TIDIG_COMP_CNT: 1
	.section	.text._ZL12mul_mat_q8_0IfLb0EEvPKvS1_PT_iiiii,"axG",@progbits,_ZL12mul_mat_q8_0IfLb0EEvPKvS1_PT_iiiii,comdat
	.globl	_ZL12mul_mat_q8_0IfLb0EEvPKvS1_PT_iiiii ; -- Begin function _ZL12mul_mat_q8_0IfLb0EEvPKvS1_PT_iiiii
	.p2align	8
	.type	_ZL12mul_mat_q8_0IfLb0EEvPKvS1_PT_iiiii,@function
_ZL12mul_mat_q8_0IfLb0EEvPKvS1_PT_iiiii: ; @_ZL12mul_mat_q8_0IfLb0EEvPKvS1_PT_iiiii
; %bb.0:
	s_clause 0x1
	s_load_b32 s10, s[0:1], 0x18
	s_load_b96 s[4:6], s[0:1], 0x20
	s_bfe_u32 s2, ttmp6, 0x4000c
	s_bfe_u32 s7, ttmp6, 0x40010
	s_add_co_i32 s2, s2, 1
	s_and_b32 s3, ttmp6, 15
	s_mul_i32 s2, ttmp9, s2
	s_add_co_i32 s7, s7, 1
	s_add_co_i32 s3, s3, s2
	s_mul_i32 s2, ttmp7, s7
	s_bfe_u32 s7, ttmp6, 0x40004
	s_getreg_b32 s8, hwreg(HW_REG_IB_STS2, 6, 4)
	s_add_co_i32 s7, s7, s2
	s_cmp_eq_u32 s8, 0
	v_bfe_u32 v33, v0, 10, 10
	s_cselect_b32 s7, ttmp7, s7
	v_and_b32_e32 v37, 0x3ff, v0
	s_cselect_b32 s2, ttmp9, s3
	s_lshl_b32 s7, s7, 6
	s_mov_b32 s3, 0
	s_wait_kmcnt 0x0
	s_cmp_gt_i32 s10, 31
	s_cbranch_scc1 .LBB125_2
; %bb.1:
	v_bfe_u32 v1, v0, 10, 10
	v_and_b32_e32 v2, 0x3ff, v0
	s_delay_alu instid0(VALU_DEP_2)
	v_add_nc_u32_e32 v47, s7, v1
	s_branch .LBB125_3
.LBB125_2:
	s_mov_b32 s3, -1
                                        ; implicit-def: $vgpr1
                                        ; implicit-def: $vgpr2
                                        ; implicit-def: $vgpr47
.LBB125_3:
	s_load_b64 s[8:9], s[0:1], 0x10
	v_dual_mov_b32 v9, 0 :: v_dual_mov_b32 v8, 0
	v_dual_mov_b32 v17, 0 :: v_dual_mov_b32 v16, 0
	;; [unrolled: 1-line block ×16, first 2 shown]
	s_and_not1_b32 vcc_lo, exec_lo, s3
	s_lshl_b32 s14, s2, 7
	s_cbranch_vccnz .LBB125_9
; %bb.4:
	v_dual_add_nc_u32 v47, s7, v33 :: v_dual_mov_b32 v35, 0
	s_add_co_i32 s12, s4, -1
	v_bfe_u32 v32, v0, 3, 7
	v_cvt_f64_i32_e32 v[2:3], s12
	s_delay_alu instid0(VALU_DEP_3) | instskip(SKIP_2) | instid1(VALU_DEP_3)
	v_dual_add_nc_u32 v1, 8, v47 :: v_dual_add_nc_u32 v8, 16, v47
	v_dual_add_nc_u32 v14, 40, v47 :: v_dual_add_nc_u32 v16, 48, v47
	v_cvt_f64_u32_e32 v[4:5], v47
	v_cvt_f64_u32_e32 v[6:7], v1
	v_dual_add_nc_u32 v10, 24, v47 :: v_dual_add_nc_u32 v12, 32, v47
	s_delay_alu instid0(VALU_DEP_4) | instskip(SKIP_2) | instid1(VALU_DEP_4)
	v_cvt_f64_u32_e32 v[16:17], v16
	v_dual_add_nc_u32 v1, 56, v47 :: v_dual_lshlrev_b32 v20, 2, v37
	v_cvt_f64_u32_e32 v[8:9], v8
	v_cvt_f64_u32_e32 v[10:11], v10
	;; [unrolled: 1-line block ×5, first 2 shown]
	v_dual_add_nc_u32 v21, 8, v33 :: v_dual_add_nc_u32 v22, 16, v33
	v_dual_add_nc_u32 v27, 56, v33 :: v_dual_bitop2_b32 v36, 3, v0 bitop3:0x40
	v_lshlrev_b32_e32 v28, 3, v33
	v_bfe_u32 v29, v0, 2, 8
	v_dual_add_nc_u32 v23, 24, v33 :: v_dual_add_nc_u32 v24, 32, v33
	s_ashr_i32 s11, s10, 31
	s_ashr_i32 s17, s5, 31
	s_lshr_b32 s11, s11, 27
	s_lshr_b32 s17, s17, 27
	s_add_co_i32 s10, s10, s11
	s_add_co_i32 s11, s5, s17
	s_ashr_i32 s5, s10, 5
	s_ashr_i32 s20, s11, 5
	v_mul_lo_u32 v46, s5, v33
	s_lshl_b32 s17, s5, 3
	s_wait_xcnt 0x0
	s_load_b128 s[0:3], s[0:1], 0x0
	v_dual_add_nc_u32 v25, 40, v33 :: v_dual_add_nc_u32 v26, 48, v33
	v_min_num_f64_e32 v[4:5], v[4:5], v[2:3]
	v_dual_min_num_f64 v[6:7], v[6:7], v[2:3] :: v_dual_bitop2_b32 v30, 31, v0 bitop3:0x40
	v_dual_min_num_f64 v[0:1], v[16:17], v[2:3] :: v_dual_lshlrev_b32 v53, 7, v21
	v_add_nc_u32_e32 v16, v29, v28
	v_dual_min_num_f64 v[8:9], v[8:9], v[2:3] :: v_dual_lshlrev_b32 v49, 7, v33
	v_dual_min_num_f64 v[10:11], v[10:11], v[2:3] :: v_dual_bitop2_b32 v34, 28, v20 bitop3:0x40
	v_min_num_f64_e32 v[12:13], v[12:13], v[2:3]
	v_min_num_f64_e32 v[14:15], v[14:15], v[2:3]
	v_dual_min_num_f64 v[2:3], v[18:19], v[2:3] :: v_dual_lshlrev_b32 v59, 7, v24
	v_lshlrev_b32_e32 v18, 2, v36
	v_lshl_or_b32 v19, v30, 2, 0x4200
	v_add_nc_u16 v17, v29, v28
	v_mul_lo_u32 v72, s5, v16
	v_dual_lshlrev_b32 v55, 7, v22 :: v_dual_lshlrev_b32 v57, 7, v23
	v_dual_lshlrev_b32 v61, 7, v25 :: v_dual_lshlrev_b32 v63, 7, v26
	v_mad_u32_u24 v51, 0x84, v33, v20
	s_mul_i32 s10, s5, s14
	s_movk_i32 s13, 0x1080
	s_movk_i32 s15, 0x2100
	;; [unrolled: 1-line block ×3, first 2 shown]
	v_dual_lshlrev_b32 v128, 4, v22 :: v_dual_lshlrev_b32 v129, 4, v23
	v_dual_lshlrev_b32 v131, 4, v25 :: v_dual_lshlrev_b32 v132, 4, v26
	v_dual_add_nc_u32 v140, v19, v53 :: v_dual_add_nc_u32 v141, v19, v55
	v_cvt_i32_f64_e32 v4, v[4:5]
	v_cvt_i32_f64_e32 v5, v[6:7]
	v_cvt_i32_f64_e32 v0, v[0:1]
	v_dual_add_nc_u32 v142, v19, v57 :: v_dual_add_nc_u32 v143, v19, v59
	v_cvt_i32_f64_e32 v6, v[8:9]
	v_dual_add_nc_u32 v144, v19, v61 :: v_dual_add_nc_u32 v145, v19, v63
	v_cvt_i32_f64_e32 v7, v[10:11]
	v_cvt_i32_f64_e32 v8, v[12:13]
	;; [unrolled: 1-line block ×4, first 2 shown]
	v_dual_add_nc_u32 v2, 64, v16 :: v_dual_bitop2_b32 v3, 63, v16 bitop3:0x40
	v_dual_lshlrev_b32 v11, 4, v16 :: v_dual_add_nc_u32 v48, s17, v46
	v_lshrrev_b16 v10, 1, v17
	s_delay_alu instid0(VALU_DEP_3) | instskip(NEXT) | instid1(VALU_DEP_3)
	v_dual_lshrrev_b32 v12, 1, v2 :: v_dual_bitop2_b32 v13, s7, v3 bitop3:0x54
	v_dual_lshlrev_b32 v2, 4, v2 :: v_dual_add_nc_u32 v50, s17, v48
	v_lshl_or_b32 v3, v3, 4, v18
	s_delay_alu instid0(VALU_DEP_3) | instskip(NEXT) | instid1(VALU_DEP_4)
	v_and_b32_e32 v12, 0xffc, v12
	v_min_i32_e32 v13, s12, v13
	v_and_b32_e32 v10, 0x7fc, v10
	s_wait_kmcnt 0x0
	v_add_nc_u64_e32 v[78:79], s[2:3], v[34:35]
	v_add_nc_u32_e32 v81, 0x6a40, v3
	v_add3_u32 v3, v12, v18, 0x6200
	v_mad_u32 v83, v13, s20, v36
	v_add3_u32 v10, v10, v18, 0x6200
	v_mov_b64_e32 v[44:45], 0
	v_mov_b64_e32 v[30:31], 0
	v_mul_lo_u32 v118, s20, v4
	v_mul_lo_u32 v119, s20, v5
	;; [unrolled: 1-line block ×3, first 2 shown]
	v_dual_add_nc_u32 v0, 32, v37 :: v_dual_add_nc_u32 v4, 64, v37
	v_dual_add_nc_u32 v52, s17, v50 :: v_dual_lshlrev_b32 v127, 4, v21
	v_mul_lo_u32 v120, s20, v6
	v_add_nc_u32_e32 v5, 0x60, v37
	v_lshlrev_b32_e32 v130, 4, v24
	s_delay_alu instid0(VALU_DEP_4) | instskip(SKIP_3) | instid1(VALU_DEP_4)
	v_add_nc_u32_e32 v54, s17, v52
	v_lshrrev_b32_e32 v6, 3, v4
	v_mul_lo_u32 v121, s20, v7
	v_dual_lshrrev_b32 v7, 3, v5 :: v_dual_lshlrev_b32 v126, 7, v27
	v_dual_add_nc_u32 v56, s17, v54 :: v_dual_lshlrev_b32 v133, 4, v27
	v_mul_lo_u32 v122, s20, v8
	v_mul_lo_u32 v123, s20, v9
	s_delay_alu instid0(VALU_DEP_3) | instskip(SKIP_3) | instid1(VALU_DEP_4)
	v_dual_add_nc_u32 v139, v19, v49 :: v_dual_add_nc_u32 v58, s17, v56
	v_mul_lo_u32 v125, s20, v1
	v_lshrrev_b32_e32 v1, 3, v0
	v_dual_lshlrev_b32 v135, 4, v4 :: v_dual_add_nc_u32 v137, v10, v11
	v_add_nc_u32_e32 v60, s17, v58
	v_add_nc_u32_e32 v138, v3, v2
	s_delay_alu instid0(VALU_DEP_4) | instskip(SKIP_1) | instid1(VALU_DEP_4)
	v_dual_add_nc_u32 v146, v19, v126 :: v_dual_lshlrev_b32 v148, 2, v1
	v_lshlrev_b32_e32 v147, 2, v20
	v_add_nc_u32_e32 v62, s17, v60
	v_mov_b64_e32 v[22:23], 0
	v_mov_b64_e32 v[14:15], 0
	;; [unrolled: 1-line block ×4, first 2 shown]
	v_add_nc_u32_e32 v64, s17, v62
	v_lshlrev_b32_e32 v149, 2, v6
	v_mov_b64_e32 v[20:21], 0
	v_mov_b64_e32 v[12:13], 0
	;; [unrolled: 1-line block ×3, first 2 shown]
	v_dual_add_nc_u32 v66, s17, v64 :: v_dual_lshlrev_b32 v150, 2, v7
	v_mov_b64_e32 v[26:27], 0
	v_mov_b64_e32 v[18:19], 0
	s_delay_alu instid0(VALU_DEP_3)
	v_dual_lshlrev_b32 v159, 4, v33 :: v_dual_add_nc_u32 v68, s17, v66
	v_mov_b64_e32 v[10:11], 0
	v_mov_b64_e32 v[38:39], 0
	v_mov_b64_e32 v[24:25], 0
	v_lshlrev_b32_e32 v164, 2, v32
	v_add_nc_u32_e32 v70, s17, v68
	v_mov_b64_e32 v[16:17], 0
	v_mov_b64_e32 v[8:9], 0
	s_ashr_i32 s11, s10, 31
	v_add_nc_u32_e32 v65, 0x420, v51
	v_add_nc_u32_e32 v74, s17, v70
	;; [unrolled: 1-line block ×9, first 2 shown]
	v_dual_lshlrev_b32 v134, 4, v0 :: v_dual_lshlrev_b32 v136, 4, v5
	v_add_nc_u32_e32 v151, 0x2100, v51
	v_add_nc_u32_e32 v152, 0x2520, v51
	;; [unrolled: 1-line block ×8, first 2 shown]
	v_mul_u32_u24_e32 v160, 0x84, v37
	v_mad_u32_u24 v161, 0x84, v37, s13
	v_mad_u32_u24 v162, 0x84, v37, s15
	;; [unrolled: 1-line block ×3, first 2 shown]
	v_add_nc_u32_e32 v80, s17, v76
	v_lshl_add_u32 v82, s5, 6, v72
	s_mul_u64 s[18:19], s[10:11], 34
	s_mov_b32 s11, 0
	s_add_nc_u64 s[0:1], s[0:1], s[18:19]
	s_mov_b32 s10, s11
.LBB125_5:                              ; =>This Loop Header: Depth=1
                                        ;     Child Loop BB125_6 Depth 2
	s_delay_alu instid0(SALU_CYCLE_1) | instskip(NEXT) | instid1(SALU_CYCLE_1)
	s_mul_u64 s[12:13], s[10:11], 34
	s_add_nc_u64 s[12:13], s[0:1], s[12:13]
	s_delay_alu instid0(SALU_CYCLE_1) | instskip(NEXT) | instid1(VALU_DEP_1)
	v_mad_nc_u64_u32 v[0:1], v32, 34, s[12:13]
	v_mad_nc_u64_u32 v[2:3], v46, 34, v[0:1]
	s_delay_alu instid0(VALU_DEP_1) | instskip(SKIP_4) | instid1(VALU_DEP_1)
	v_add_nc_u64_e32 v[2:3], v[2:3], v[34:35]
	global_load_b32 v2, v[2:3], off offset:2
	s_wait_loadcnt 0x0
	ds_store_b32 v51, v2
	v_mad_nc_u64_u32 v[2:3], v48, 34, v[0:1]
	v_add_nc_u64_e32 v[2:3], v[2:3], v[34:35]
	global_load_b32 v2, v[2:3], off offset:2
	s_wait_loadcnt 0x0
	ds_store_b32 v65, v2
	v_mad_nc_u64_u32 v[2:3], v50, 34, v[0:1]
	s_delay_alu instid0(VALU_DEP_1) | instskip(SKIP_4) | instid1(VALU_DEP_1)
	v_add_nc_u64_e32 v[2:3], v[2:3], v[34:35]
	global_load_b32 v2, v[2:3], off offset:2
	s_wait_loadcnt 0x0
	ds_store_b32 v67, v2
	v_mad_nc_u64_u32 v[2:3], v52, 34, v[0:1]
	v_add_nc_u64_e32 v[2:3], v[2:3], v[34:35]
	global_load_b32 v2, v[2:3], off offset:2
	s_wait_loadcnt 0x0
	ds_store_b32 v69, v2
	;; [unrolled: 11-line block ×7, first 2 shown]
	v_mad_nc_u64_u32 v[2:3], v76, 34, v[0:1]
	v_mad_nc_u64_u32 v[0:1], v80, 34, v[0:1]
	s_delay_alu instid0(VALU_DEP_2) | instskip(NEXT) | instid1(VALU_DEP_2)
	v_add_nc_u64_e32 v[2:3], v[2:3], v[34:35]
	v_add_nc_u64_e32 v[0:1], v[0:1], v[34:35]
	s_clause 0x1
	global_load_b32 v2, v[2:3], off offset:2
	global_load_b32 v0, v[0:1], off offset:2
	s_wait_loadcnt 0x1
	ds_store_b32 v157, v2
	s_wait_loadcnt 0x0
	ds_store_b32 v158, v0
	v_mad_nc_u64_u32 v[0:1], v36, 34, s[12:13]
	s_mov_b32 s12, 0
	s_delay_alu instid0(VALU_DEP_1)
	v_mad_nc_u64_u32 v[2:3], v72, 34, v[0:1]
	v_mad_nc_u64_u32 v[0:1], v82, 34, v[0:1]
	s_clause 0x1
	global_load_u16 v2, v[2:3], off
	global_load_u16 v0, v[0:1], off
	s_wait_loadcnt 0x1
	s_wait_xcnt 0x1
	v_cvt_f32_f16_e32 v2, v2
	s_wait_loadcnt 0x0
	v_cvt_f32_f16_e32 v0, v0
	ds_store_b32 v137, v2
	ds_store_b32 v138, v0
	v_dual_add_nc_u32 v2, s10, v32 :: v_dual_add_nc_u32 v0, s10, v83
	s_delay_alu instid0(VALU_DEP_1) | instskip(SKIP_3) | instid1(VALU_DEP_1)
	v_mad_nc_u64_u32 v[0:1], v0, 36, s[2:3]
	global_load_b32 v3, v[0:1], off
	s_wait_xcnt 0x0
	v_add_nc_u32_e32 v0, v2, v118
	v_mad_nc_i64_i32 v[0:1], v0, 36, v[78:79]
	global_load_b32 v0, v[0:1], off offset:4
	s_wait_loadcnt 0x0
	ds_store_b32 v139, v0
	v_add_nc_u32_e32 v0, v2, v119
	s_delay_alu instid0(VALU_DEP_1) | instskip(SKIP_4) | instid1(VALU_DEP_1)
	v_mad_nc_i64_i32 v[0:1], v0, 36, v[78:79]
	global_load_b32 v0, v[0:1], off offset:4
	s_wait_loadcnt 0x0
	ds_store_b32 v140, v0
	v_add_nc_u32_e32 v0, v2, v120
	v_mad_nc_i64_i32 v[0:1], v0, 36, v[78:79]
	global_load_b32 v0, v[0:1], off offset:4
	s_wait_loadcnt 0x0
	ds_store_b32 v141, v0
	v_add_nc_u32_e32 v0, v2, v121
	s_delay_alu instid0(VALU_DEP_1) | instskip(SKIP_4) | instid1(VALU_DEP_1)
	v_mad_nc_i64_i32 v[0:1], v0, 36, v[78:79]
	global_load_b32 v0, v[0:1], off offset:4
	s_wait_loadcnt 0x0
	ds_store_b32 v142, v0
	;; [unrolled: 11-line block ×3, first 2 shown]
	v_add_nc_u32_e32 v0, v2, v124
	v_mad_nc_i64_i32 v[0:1], v0, 36, v[78:79]
	global_load_b32 v0, v[0:1], off offset:4
	s_wait_loadcnt 0x0
	ds_store_b32 v145, v0
	v_add_nc_u32_e32 v0, v2, v125
	s_delay_alu instid0(VALU_DEP_1)
	v_mad_nc_i64_i32 v[0:1], v0, 36, v[78:79]
	global_load_b32 v0, v[0:1], off offset:4
	s_wait_loadcnt 0x0
	ds_store_b32 v146, v0
	v_cvt_f32_f16_e32 v0, v3
	ds_store_b32 v81, v0
	s_wait_dscnt 0x0
	s_barrier_signal -1
	s_barrier_wait -1
.LBB125_6:                              ;   Parent Loop BB125_5 Depth=1
                                        ; =>  This Inner Loop Header: Depth=2
	s_lshl_b32 s16, s12, 2
	s_lshr_b32 s17, s12, 1
	s_add_co_i32 s13, s16, 0x4200
	s_add_co_i32 s15, s17, 0x6a40
	s_delay_alu instid0(SALU_CYCLE_1)
	v_dual_add_nc_u32 v4, s13, v49 :: v_dual_add_nc_u32 v0, s15, v159
	s_addk_co_i32 s17, 0x6200
	v_add_nc_u32_e32 v84, s16, v160
	ds_load_b32 v116, v0
	v_add3_u32 v0, s17, v164, v147
	ds_load_b32 v117, v0
	ds_load_b128 v[0:3], v4
	ds_load_b128 v[4:7], v4 offset:16
	ds_load_2addr_b32 v[94:95], v84 offset1:1
	ds_load_2addr_b32 v[92:93], v84 offset0:2 offset1:3
	ds_load_2addr_b32 v[90:91], v84 offset0:4 offset1:5
	;; [unrolled: 1-line block ×3, first 2 shown]
	s_wait_dscnt 0x5
	v_perm_b32 v86, v3, v2, 0x5010c0c
	v_perm_b32 v87, v3, v2, 0x7030c0c
	s_wait_dscnt 0x3
	v_perm_b32 v84, v94, v95, 0xc0c0501
	s_wait_dscnt 0x2
	v_perm_b32 v85, v93, v92, 0x5010c0c
	v_perm_b32 v96, v3, v2, 0x4000c0c
	;; [unrolled: 1-line block ×4, first 2 shown]
	s_wait_dscnt 0x0
	v_bfe_i32 v165, v88, 0, 8
	v_or_b32_e32 v84, v85, v84
	v_perm_b32 v85, v0, v1, 0xc0c0501
	v_perm_b32 v174, v88, v88, 0xc030201
	s_delay_alu instid0(VALU_DEP_2) | instskip(SKIP_1) | instid1(VALU_DEP_2)
	v_or_b32_e32 v85, v86, v85
	v_perm_b32 v86, v93, v92, 0x7030c0c
	v_dot4_i32_iu8 v84, v84, v85, 0 neg_lo:[1,1,0]
	v_perm_b32 v85, v94, v95, 0xc0c0703
	s_delay_alu instid0(VALU_DEP_1) | instskip(SKIP_1) | instid1(VALU_DEP_1)
	v_or_b32_e32 v85, v86, v85
	v_perm_b32 v86, v0, v1, 0xc0c0703
	v_or_b32_e32 v86, v87, v86
	v_perm_b32 v87, v93, v92, 0x4000c0c
	s_delay_alu instid0(VALU_DEP_2) | instskip(SKIP_1) | instid1(VALU_DEP_1)
	v_dot4_i32_iu8 v85, v85, v86, 0 neg_lo:[1,1,0]
	v_perm_b32 v86, v94, v95, 0xc0c0400
	v_or_b32_e32 v86, v87, v86
	v_perm_b32 v87, v0, v1, 0xc0c0400
	s_delay_alu instid0(VALU_DEP_1) | instskip(SKIP_1) | instid1(VALU_DEP_2)
	v_or_b32_e32 v87, v96, v87
	v_perm_b32 v96, v93, v92, 0x6020c0c
	v_dot4_i32_iu8 v86, v86, v87, 0 neg_lo:[1,1,0]
	v_perm_b32 v87, v94, v95, 0xc0c0602
	s_delay_alu instid0(VALU_DEP_1) | instskip(SKIP_1) | instid1(VALU_DEP_1)
	v_or_b32_e32 v87, v96, v87
	v_perm_b32 v96, v0, v1, 0xc0c0602
	v_or_b32_e32 v96, v97, v96
	v_perm_b32 v97, v89, v88, 0x6020c0c
	s_delay_alu instid0(VALU_DEP_2) | instskip(SKIP_1) | instid1(VALU_DEP_1)
	v_dot4_i32_iu8 v87, v87, v96, 0 neg_lo:[1,1,0]
	v_perm_b32 v96, v91, v90, 0xc0c0602
	v_or_b32_e32 v96, v97, v96
	v_perm_b32 v97, v5, v4, 0xc0c0602
	s_delay_alu instid0(VALU_DEP_1) | instskip(SKIP_1) | instid1(VALU_DEP_2)
	v_or_b32_e32 v97, v98, v97
	v_perm_b32 v98, v7, v6, 0x4000c0c
	v_dot4_i32_iu8 v87, v96, v97, v87 neg_lo:[1,1,0]
	v_perm_b32 v96, v91, v90, 0xc0c0400
	v_perm_b32 v97, v89, v88, 0x4000c0c
	s_delay_alu instid0(VALU_DEP_1) | instskip(SKIP_1) | instid1(VALU_DEP_1)
	v_or_b32_e32 v96, v97, v96
	v_perm_b32 v97, v5, v4, 0xc0c0400
	v_or_b32_e32 v97, v98, v97
	v_perm_b32 v98, v7, v6, 0x7030c0c
	s_delay_alu instid0(VALU_DEP_2) | instskip(SKIP_2) | instid1(VALU_DEP_1)
	v_dot4_i32_iu8 v86, v96, v97, v86 neg_lo:[1,1,0]
	v_perm_b32 v96, v91, v90, 0xc0c0703
	v_perm_b32 v97, v89, v88, 0x7030c0c
	v_or_b32_e32 v96, v97, v96
	v_perm_b32 v97, v5, v4, 0xc0c0703
	s_delay_alu instid0(VALU_DEP_1) | instskip(SKIP_1) | instid1(VALU_DEP_2)
	v_or_b32_e32 v97, v98, v97
	v_perm_b32 v98, v7, v6, 0x5010c0c
	v_dot4_i32_iu8 v85, v96, v97, v85 neg_lo:[1,1,0]
	v_perm_b32 v96, v91, v90, 0xc0c0501
	v_perm_b32 v97, v89, v88, 0x5010c0c
	s_delay_alu instid0(VALU_DEP_1) | instskip(SKIP_1) | instid1(VALU_DEP_1)
	v_or_b32_e32 v96, v97, v96
	v_perm_b32 v97, v5, v4, 0xc0c0501
	v_or_b32_e32 v97, v98, v97
	s_delay_alu instid0(VALU_DEP_1) | instskip(NEXT) | instid1(VALU_DEP_1)
	v_dot4_i32_iu8 v84, v96, v97, v84 neg_lo:[1,1,0]
	v_add_nc_u32_e32 v84, v84, v85
	v_mul_f32_e32 v85, v116, v117
	s_delay_alu instid0(VALU_DEP_2) | instskip(NEXT) | instid1(VALU_DEP_1)
	v_add3_u32 v84, v86, v87, v84
	v_cvt_f32_i32_e32 v84, v84
	s_delay_alu instid0(VALU_DEP_1)
	v_mul_f32_e32 v172, v85, v84
	v_add3_u32 v85, s17, v148, v134
	v_add_nc_u32_e32 v84, s16, v161
	ds_load_b32 v166, v85
	ds_load_2addr_b32 v[98:99], v84 offset1:1
	ds_load_2addr_b32 v[100:101], v84 offset0:2 offset1:3
	ds_load_2addr_b32 v[102:103], v84 offset0:4 offset1:5
	;; [unrolled: 1-line block ×3, first 2 shown]
	s_wait_dscnt 0x3
	v_dot4_i32_iu8 v85, v0, v98, 0 neg_lo:[1,1,0]
	s_wait_dscnt 0x1
	v_perm_b32 v169, v103, v103, 0x7060100
	s_wait_dscnt 0x0
	v_bfe_i32 v167, v96, 0, 8
	v_dot4_i32_iu8 v84, v1, v99, v85 neg_lo:[1,1,0]
	v_mul_f32_e32 v85, v116, v166
	s_delay_alu instid0(VALU_DEP_2) | instskip(NEXT) | instid1(VALU_DEP_1)
	v_dot4_i32_iu8 v84, v2, v100, v84 neg_lo:[1,1,0]
	v_dot4_i32_iu8 v84, v3, v101, v84 neg_lo:[1,1,0]
	s_delay_alu instid0(VALU_DEP_1) | instskip(NEXT) | instid1(VALU_DEP_1)
	v_dot4_i32_iu8 v84, v4, v102, v84 neg_lo:[1,1,0]
	v_dot4_i32_iu8 v84, v5, v169, v84 neg_lo:[1,1,0]
	s_delay_alu instid0(VALU_DEP_1) | instskip(NEXT) | instid1(VALU_DEP_1)
	v_dot4_i32_iu8 v84, v6, v96, v84 neg_lo:[1,1,0]
	v_dot4_i32_iu8 v84, v7, v97, v84 neg_lo:[1,1,0]
	s_delay_alu instid0(VALU_DEP_1) | instskip(NEXT) | instid1(VALU_DEP_1)
	v_cvt_f32_i32_e32 v84, v84
	v_mul_f32_e32 v176, v85, v84
	v_add3_u32 v85, s17, v149, v135
	v_add_nc_u32_e32 v84, s16, v162
	ds_load_b32 v168, v85
	ds_load_2addr_b32 v[108:109], v84 offset1:1
	ds_load_2addr_b32 v[110:111], v84 offset0:2 offset1:3
	ds_load_2addr_b32 v[112:113], v84 offset0:4 offset1:5
	;; [unrolled: 1-line block ×3, first 2 shown]
	s_wait_dscnt 0x3
	v_dot4_i32_iu8 v85, v0, v108, 0 neg_lo:[1,1,0]
	s_wait_dscnt 0x1
	v_perm_b32 v171, v113, v113, 0x7060100
	s_wait_dscnt 0x0
	v_bfe_i32 v170, v106, 0, 8
	v_dot4_i32_iu8 v84, v1, v109, v85 neg_lo:[1,1,0]
	v_mul_f32_e32 v85, v116, v168
	s_delay_alu instid0(VALU_DEP_2) | instskip(NEXT) | instid1(VALU_DEP_1)
	v_dot4_i32_iu8 v84, v2, v110, v84 neg_lo:[1,1,0]
	v_dot4_i32_iu8 v84, v3, v111, v84 neg_lo:[1,1,0]
	s_delay_alu instid0(VALU_DEP_1) | instskip(NEXT) | instid1(VALU_DEP_1)
	v_dot4_i32_iu8 v84, v4, v112, v84 neg_lo:[1,1,0]
	v_dot4_i32_iu8 v84, v5, v171, v84 neg_lo:[1,1,0]
	s_delay_alu instid0(VALU_DEP_1) | instskip(NEXT) | instid1(VALU_DEP_1)
	;; [unrolled: 3-line block ×3, first 2 shown]
	v_cvt_f32_i32_e32 v84, v84
	v_mul_f32_e32 v178, v85, v84
	v_add3_u32 v85, s17, v150, v136
	v_add_nc_u32_e32 v84, s16, v163
	ds_load_b32 v103, v85
	ds_load_2addr_b32 v[114:115], v84 offset1:1
	ds_load_2addr_b32 v[104:105], v84 offset0:2 offset1:3
	ds_load_2addr_b32 v[86:87], v84 offset0:4 offset1:5
	;; [unrolled: 1-line block ×3, first 2 shown]
	s_wait_dscnt 0x3
	v_dot4_i32_iu8 v0, v0, v114, 0 neg_lo:[1,1,0]
	s_wait_dscnt 0x1
	v_perm_b32 v87, v87, v87, 0x7060100
	s_wait_dscnt 0x0
	v_bfe_i32 v113, v84, 0, 8
	v_dot4_i32_iu8 v0, v1, v115, v0 neg_lo:[1,1,0]
	v_mul_f32_e32 v1, v116, v103
	s_delay_alu instid0(VALU_DEP_2) | instskip(NEXT) | instid1(VALU_DEP_1)
	v_dot4_i32_iu8 v0, v2, v104, v0 neg_lo:[1,1,0]
	v_dot4_i32_iu8 v0, v3, v105, v0 neg_lo:[1,1,0]
	s_delay_alu instid0(VALU_DEP_1) | instskip(SKIP_1) | instid1(VALU_DEP_2)
	v_dot4_i32_iu8 v0, v4, v86, v0 neg_lo:[1,1,0]
	v_add_nc_u32_e32 v4, s13, v53
	v_dot4_i32_iu8 v0, v5, v87, v0 neg_lo:[1,1,0]
	s_delay_alu instid0(VALU_DEP_1) | instskip(NEXT) | instid1(VALU_DEP_1)
	v_dot4_i32_iu8 v0, v6, v84, v0 neg_lo:[1,1,0]
	v_dot4_i32_iu8 v0, v7, v85, v0 neg_lo:[1,1,0]
	s_delay_alu instid0(VALU_DEP_1) | instskip(NEXT) | instid1(VALU_DEP_1)
	v_cvt_f32_i32_e32 v0, v0
	v_dual_mul_f32 v180, v1, v0 :: v_dual_add_nc_u32 v0, s15, v127
	ds_load_b32 v116, v0
	ds_load_b128 v[0:3], v4
	ds_load_b128 v[4:7], v4 offset:16
	s_wait_dscnt 0x1
	v_dot4_i32_iu8 v173, v94, v0, 0 neg_lo:[1,1,0]
	s_wait_dscnt 0x0
	v_perm_b32 v5, v5, v5, 0x7060100
	v_bfe_i32 v175, v6, 0, 8
	v_perm_b32 v6, v6, v6, 0xc030201
	v_dot4_i32_iu8 v173, v95, v1, v173 neg_lo:[1,1,0]
	s_delay_alu instid0(VALU_DEP_1) | instskip(NEXT) | instid1(VALU_DEP_1)
	v_dot4_i32_iu8 v173, v92, v2, v173 neg_lo:[1,1,0]
	v_dot4_i32_iu8 v173, v93, v3, v173 neg_lo:[1,1,0]
	s_delay_alu instid0(VALU_DEP_1) | instskip(NEXT) | instid1(VALU_DEP_1)
	v_dot4_i32_iu8 v173, v90, v4, v173 neg_lo:[1,1,0]
	v_dot4_i32_iu8 v173, v91, v5, v173 neg_lo:[1,1,0]
	s_delay_alu instid0(VALU_DEP_1) | instskip(NEXT) | instid1(VALU_DEP_1)
	v_mad_i32_i24 v173, v165, v175, v173
	v_dot4_i32_iu8 v88, v174, v6, v173 neg_lo:[1,1,0]
	v_mul_f32_e32 v173, v117, v116
	s_delay_alu instid0(VALU_DEP_2) | instskip(NEXT) | instid1(VALU_DEP_1)
	v_dot4_i32_iu8 v88, v89, v7, v88 neg_lo:[1,1,0]
	v_cvt_f32_i32_e32 v88, v88
	s_delay_alu instid0(VALU_DEP_1) | instskip(SKIP_1) | instid1(VALU_DEP_2)
	v_mul_f32_e32 v173, v173, v88
	v_dot4_i32_iu8 v88, v0, v98, 0 neg_lo:[1,1,0]
	v_pk_add_f32 v[44:45], v[44:45], v[172:173]
	s_delay_alu instid0(VALU_DEP_2)
	v_dot4_i32_iu8 v88, v1, v99, v88 neg_lo:[1,1,0]
	v_perm_b32 v173, v96, v96, 0xc030201
	v_mul_f32_e32 v96, v166, v116
	v_perm_b32 v172, v106, v106, 0xc030201
	v_perm_b32 v106, v84, v84, 0xc030201
	v_dot4_i32_iu8 v88, v2, v100, v88 neg_lo:[1,1,0]
	s_delay_alu instid0(VALU_DEP_1) | instskip(NEXT) | instid1(VALU_DEP_1)
	v_dot4_i32_iu8 v88, v3, v101, v88 neg_lo:[1,1,0]
	v_dot4_i32_iu8 v88, v4, v102, v88 neg_lo:[1,1,0]
	s_delay_alu instid0(VALU_DEP_1) | instskip(NEXT) | instid1(VALU_DEP_1)
	v_dot4_i32_iu8 v88, v5, v169, v88 neg_lo:[1,1,0]
	v_mad_i32_i24 v88, v175, v167, v88
	s_delay_alu instid0(VALU_DEP_1) | instskip(NEXT) | instid1(VALU_DEP_1)
	v_dot4_i32_iu8 v88, v6, v173, v88 neg_lo:[1,1,0]
	v_dot4_i32_iu8 v88, v7, v97, v88 neg_lo:[1,1,0]
	s_delay_alu instid0(VALU_DEP_1) | instskip(NEXT) | instid1(VALU_DEP_1)
	v_cvt_f32_i32_e32 v88, v88
	v_mul_f32_e32 v177, v96, v88
	v_dot4_i32_iu8 v88, v0, v108, 0 neg_lo:[1,1,0]
	v_dot4_i32_iu8 v0, v0, v114, 0 neg_lo:[1,1,0]
	v_mul_f32_e32 v96, v168, v116
	s_delay_alu instid0(VALU_DEP_4) | instskip(NEXT) | instid1(VALU_DEP_4)
	v_pk_add_f32 v[42:43], v[42:43], v[176:177]
	v_dot4_i32_iu8 v88, v1, v109, v88 neg_lo:[1,1,0]
	s_delay_alu instid0(VALU_DEP_4) | instskip(SKIP_1) | instid1(VALU_DEP_3)
	v_dot4_i32_iu8 v0, v1, v115, v0 neg_lo:[1,1,0]
	v_mul_f32_e32 v1, v103, v116
	v_dot4_i32_iu8 v88, v2, v110, v88 neg_lo:[1,1,0]
	s_delay_alu instid0(VALU_DEP_3) | instskip(NEXT) | instid1(VALU_DEP_2)
	v_dot4_i32_iu8 v0, v2, v104, v0 neg_lo:[1,1,0]
	v_dot4_i32_iu8 v88, v3, v111, v88 neg_lo:[1,1,0]
	s_delay_alu instid0(VALU_DEP_2) | instskip(NEXT) | instid1(VALU_DEP_2)
	v_dot4_i32_iu8 v0, v3, v105, v0 neg_lo:[1,1,0]
	v_dot4_i32_iu8 v88, v4, v112, v88 neg_lo:[1,1,0]
	s_delay_alu instid0(VALU_DEP_2) | instskip(SKIP_1) | instid1(VALU_DEP_3)
	v_dot4_i32_iu8 v0, v4, v86, v0 neg_lo:[1,1,0]
	v_add_nc_u32_e32 v4, s13, v55
	v_dot4_i32_iu8 v88, v5, v171, v88 neg_lo:[1,1,0]
	s_delay_alu instid0(VALU_DEP_3) | instskip(NEXT) | instid1(VALU_DEP_2)
	v_dot4_i32_iu8 v0, v5, v87, v0 neg_lo:[1,1,0]
	v_mad_i32_i24 v88, v175, v170, v88
	s_delay_alu instid0(VALU_DEP_2) | instskip(NEXT) | instid1(VALU_DEP_2)
	v_mad_i32_i24 v0, v175, v113, v0
	v_dot4_i32_iu8 v88, v6, v172, v88 neg_lo:[1,1,0]
	s_delay_alu instid0(VALU_DEP_2) | instskip(NEXT) | instid1(VALU_DEP_2)
	v_dot4_i32_iu8 v0, v6, v106, v0 neg_lo:[1,1,0]
	v_dot4_i32_iu8 v88, v7, v107, v88 neg_lo:[1,1,0]
	s_delay_alu instid0(VALU_DEP_2) | instskip(NEXT) | instid1(VALU_DEP_2)
	v_dot4_i32_iu8 v0, v7, v85, v0 neg_lo:[1,1,0]
	v_cvt_f32_i32_e32 v88, v88
	s_delay_alu instid0(VALU_DEP_2) | instskip(NEXT) | instid1(VALU_DEP_2)
	v_cvt_f32_i32_e32 v0, v0
	v_mul_f32_e32 v179, v96, v88
	s_delay_alu instid0(VALU_DEP_2)
	v_mul_f32_e32 v181, v1, v0
	v_add_nc_u32_e32 v0, s15, v128
	ds_load_b32 v84, v0
	ds_load_b128 v[0:3], v4
	ds_load_b128 v[4:7], v4 offset:16
	v_pk_add_f32 v[40:41], v[40:41], v[178:179]
	s_wait_dscnt 0x2
	v_mul_f32_e32 v116, v117, v84
	s_wait_dscnt 0x1
	v_dot4_i32_iu8 v88, v94, v0, 0 neg_lo:[1,1,0]
	s_wait_dscnt 0x0
	v_perm_b32 v5, v5, v5, 0x7060100
	v_bfe_i32 v96, v6, 0, 8
	v_perm_b32 v6, v6, v6, 0xc030201
	v_dot4_i32_iu8 v88, v95, v1, v88 neg_lo:[1,1,0]
	s_delay_alu instid0(VALU_DEP_1) | instskip(NEXT) | instid1(VALU_DEP_1)
	v_dot4_i32_iu8 v88, v92, v2, v88 neg_lo:[1,1,0]
	v_dot4_i32_iu8 v88, v93, v3, v88 neg_lo:[1,1,0]
	s_delay_alu instid0(VALU_DEP_1) | instskip(NEXT) | instid1(VALU_DEP_1)
	v_dot4_i32_iu8 v88, v90, v4, v88 neg_lo:[1,1,0]
	v_dot4_i32_iu8 v88, v91, v5, v88 neg_lo:[1,1,0]
	s_delay_alu instid0(VALU_DEP_1) | instskip(NEXT) | instid1(VALU_DEP_1)
	v_mad_i32_i24 v88, v165, v96, v88
	v_dot4_i32_iu8 v88, v174, v6, v88 neg_lo:[1,1,0]
	s_delay_alu instid0(VALU_DEP_1) | instskip(NEXT) | instid1(VALU_DEP_1)
	v_dot4_i32_iu8 v88, v89, v7, v88 neg_lo:[1,1,0]
	v_cvt_f32_i32_e32 v88, v88
	s_delay_alu instid0(VALU_DEP_1) | instskip(SKIP_2) | instid1(VALU_DEP_2)
	v_mul_f32_e32 v176, v116, v88
	v_dot4_i32_iu8 v88, v0, v98, 0 neg_lo:[1,1,0]
	v_mul_f32_e32 v116, v166, v84
	v_dot4_i32_iu8 v88, v1, v99, v88 neg_lo:[1,1,0]
	s_delay_alu instid0(VALU_DEP_1) | instskip(NEXT) | instid1(VALU_DEP_1)
	v_dot4_i32_iu8 v88, v2, v100, v88 neg_lo:[1,1,0]
	v_dot4_i32_iu8 v88, v3, v101, v88 neg_lo:[1,1,0]
	s_delay_alu instid0(VALU_DEP_1) | instskip(NEXT) | instid1(VALU_DEP_1)
	v_dot4_i32_iu8 v88, v4, v102, v88 neg_lo:[1,1,0]
	v_dot4_i32_iu8 v88, v5, v169, v88 neg_lo:[1,1,0]
	s_delay_alu instid0(VALU_DEP_1) | instskip(NEXT) | instid1(VALU_DEP_1)
	v_mad_i32_i24 v88, v96, v167, v88
	v_dot4_i32_iu8 v88, v6, v173, v88 neg_lo:[1,1,0]
	s_delay_alu instid0(VALU_DEP_1) | instskip(NEXT) | instid1(VALU_DEP_1)
	v_dot4_i32_iu8 v88, v7, v97, v88 neg_lo:[1,1,0]
	v_cvt_f32_i32_e32 v88, v88
	s_delay_alu instid0(VALU_DEP_1) | instskip(SKIP_3) | instid1(VALU_DEP_3)
	v_mul_f32_e32 v178, v116, v88
	v_dot4_i32_iu8 v88, v0, v108, 0 neg_lo:[1,1,0]
	v_dot4_i32_iu8 v0, v0, v114, 0 neg_lo:[1,1,0]
	v_mul_f32_e32 v116, v168, v84
	v_dot4_i32_iu8 v88, v1, v109, v88 neg_lo:[1,1,0]
	s_delay_alu instid0(VALU_DEP_3) | instskip(SKIP_1) | instid1(VALU_DEP_3)
	v_dot4_i32_iu8 v0, v1, v115, v0 neg_lo:[1,1,0]
	v_mul_f32_e32 v1, v103, v84
	v_dot4_i32_iu8 v88, v2, v110, v88 neg_lo:[1,1,0]
	s_delay_alu instid0(VALU_DEP_3) | instskip(NEXT) | instid1(VALU_DEP_2)
	v_dot4_i32_iu8 v0, v2, v104, v0 neg_lo:[1,1,0]
	v_dot4_i32_iu8 v88, v3, v111, v88 neg_lo:[1,1,0]
	s_delay_alu instid0(VALU_DEP_2) | instskip(NEXT) | instid1(VALU_DEP_2)
	v_dot4_i32_iu8 v0, v3, v105, v0 neg_lo:[1,1,0]
	v_dot4_i32_iu8 v88, v4, v112, v88 neg_lo:[1,1,0]
	s_delay_alu instid0(VALU_DEP_2) | instskip(SKIP_1) | instid1(VALU_DEP_3)
	v_dot4_i32_iu8 v0, v4, v86, v0 neg_lo:[1,1,0]
	v_add_nc_u32_e32 v4, s13, v57
	v_dot4_i32_iu8 v88, v5, v171, v88 neg_lo:[1,1,0]
	s_delay_alu instid0(VALU_DEP_3) | instskip(NEXT) | instid1(VALU_DEP_2)
	v_dot4_i32_iu8 v0, v5, v87, v0 neg_lo:[1,1,0]
	v_mad_i32_i24 v88, v96, v170, v88
	s_delay_alu instid0(VALU_DEP_2) | instskip(NEXT) | instid1(VALU_DEP_2)
	v_mad_i32_i24 v0, v96, v113, v0
	v_dot4_i32_iu8 v88, v6, v172, v88 neg_lo:[1,1,0]
	s_delay_alu instid0(VALU_DEP_2) | instskip(NEXT) | instid1(VALU_DEP_2)
	v_dot4_i32_iu8 v0, v6, v106, v0 neg_lo:[1,1,0]
	v_dot4_i32_iu8 v88, v7, v107, v88 neg_lo:[1,1,0]
	s_delay_alu instid0(VALU_DEP_2) | instskip(NEXT) | instid1(VALU_DEP_2)
	v_dot4_i32_iu8 v0, v7, v85, v0 neg_lo:[1,1,0]
	v_cvt_f32_i32_e32 v88, v88
	s_delay_alu instid0(VALU_DEP_2) | instskip(NEXT) | instid1(VALU_DEP_1)
	v_cvt_f32_i32_e32 v0, v0
	v_dual_mul_f32 v182, v1, v0 :: v_dual_add_nc_u32 v0, s15, v129
	ds_load_b32 v84, v0
	ds_load_b128 v[0:3], v4
	ds_load_b128 v[4:7], v4 offset:16
	v_pk_add_f32 v[38:39], v[38:39], v[180:181]
	v_mul_f32_e32 v180, v116, v88
	s_wait_dscnt 0x2
	v_mul_f32_e32 v116, v117, v84
	s_wait_dscnt 0x1
	v_dot4_i32_iu8 v88, v94, v0, 0 neg_lo:[1,1,0]
	s_wait_dscnt 0x0
	v_perm_b32 v5, v5, v5, 0x7060100
	v_bfe_i32 v96, v6, 0, 8
	v_perm_b32 v6, v6, v6, 0xc030201
	v_dot4_i32_iu8 v88, v95, v1, v88 neg_lo:[1,1,0]
	s_delay_alu instid0(VALU_DEP_1) | instskip(NEXT) | instid1(VALU_DEP_1)
	v_dot4_i32_iu8 v88, v92, v2, v88 neg_lo:[1,1,0]
	v_dot4_i32_iu8 v88, v93, v3, v88 neg_lo:[1,1,0]
	s_delay_alu instid0(VALU_DEP_1) | instskip(NEXT) | instid1(VALU_DEP_1)
	v_dot4_i32_iu8 v88, v90, v4, v88 neg_lo:[1,1,0]
	v_dot4_i32_iu8 v88, v91, v5, v88 neg_lo:[1,1,0]
	s_delay_alu instid0(VALU_DEP_1) | instskip(NEXT) | instid1(VALU_DEP_1)
	v_mad_i32_i24 v88, v165, v96, v88
	v_dot4_i32_iu8 v88, v174, v6, v88 neg_lo:[1,1,0]
	s_delay_alu instid0(VALU_DEP_1) | instskip(NEXT) | instid1(VALU_DEP_1)
	v_dot4_i32_iu8 v88, v89, v7, v88 neg_lo:[1,1,0]
	v_cvt_f32_i32_e32 v88, v88
	s_delay_alu instid0(VALU_DEP_1) | instskip(SKIP_2) | instid1(VALU_DEP_3)
	v_mul_f32_e32 v177, v116, v88
	v_dot4_i32_iu8 v88, v0, v98, 0 neg_lo:[1,1,0]
	v_mul_f32_e32 v116, v166, v84
	v_pk_add_f32 v[30:31], v[30:31], v[176:177]
	s_delay_alu instid0(VALU_DEP_3) | instskip(NEXT) | instid1(VALU_DEP_1)
	v_dot4_i32_iu8 v88, v1, v99, v88 neg_lo:[1,1,0]
	v_dot4_i32_iu8 v88, v2, v100, v88 neg_lo:[1,1,0]
	s_delay_alu instid0(VALU_DEP_1) | instskip(NEXT) | instid1(VALU_DEP_1)
	v_dot4_i32_iu8 v88, v3, v101, v88 neg_lo:[1,1,0]
	v_dot4_i32_iu8 v88, v4, v102, v88 neg_lo:[1,1,0]
	s_delay_alu instid0(VALU_DEP_1) | instskip(NEXT) | instid1(VALU_DEP_1)
	v_dot4_i32_iu8 v88, v5, v169, v88 neg_lo:[1,1,0]
	v_mad_i32_i24 v88, v96, v167, v88
	s_delay_alu instid0(VALU_DEP_1) | instskip(NEXT) | instid1(VALU_DEP_1)
	v_dot4_i32_iu8 v88, v6, v173, v88 neg_lo:[1,1,0]
	v_dot4_i32_iu8 v88, v7, v97, v88 neg_lo:[1,1,0]
	s_delay_alu instid0(VALU_DEP_1) | instskip(NEXT) | instid1(VALU_DEP_1)
	v_cvt_f32_i32_e32 v88, v88
	v_mul_f32_e32 v179, v116, v88
	v_dot4_i32_iu8 v88, v0, v108, 0 neg_lo:[1,1,0]
	v_dot4_i32_iu8 v0, v0, v114, 0 neg_lo:[1,1,0]
	v_mul_f32_e32 v116, v168, v84
	s_delay_alu instid0(VALU_DEP_3) | instskip(NEXT) | instid1(VALU_DEP_3)
	v_dot4_i32_iu8 v88, v1, v109, v88 neg_lo:[1,1,0]
	v_dot4_i32_iu8 v0, v1, v115, v0 neg_lo:[1,1,0]
	v_mul_f32_e32 v1, v103, v84
	s_delay_alu instid0(VALU_DEP_3) | instskip(NEXT) | instid1(VALU_DEP_3)
	v_dot4_i32_iu8 v88, v2, v110, v88 neg_lo:[1,1,0]
	v_dot4_i32_iu8 v0, v2, v104, v0 neg_lo:[1,1,0]
	s_delay_alu instid0(VALU_DEP_2) | instskip(NEXT) | instid1(VALU_DEP_2)
	v_dot4_i32_iu8 v88, v3, v111, v88 neg_lo:[1,1,0]
	v_dot4_i32_iu8 v0, v3, v105, v0 neg_lo:[1,1,0]
	s_delay_alu instid0(VALU_DEP_2) | instskip(NEXT) | instid1(VALU_DEP_2)
	v_dot4_i32_iu8 v88, v4, v112, v88 neg_lo:[1,1,0]
	v_dot4_i32_iu8 v0, v4, v86, v0 neg_lo:[1,1,0]
	v_add_nc_u32_e32 v4, s13, v59
	s_delay_alu instid0(VALU_DEP_3) | instskip(NEXT) | instid1(VALU_DEP_3)
	v_dot4_i32_iu8 v88, v5, v171, v88 neg_lo:[1,1,0]
	v_dot4_i32_iu8 v0, v5, v87, v0 neg_lo:[1,1,0]
	s_delay_alu instid0(VALU_DEP_2) | instskip(NEXT) | instid1(VALU_DEP_2)
	v_mad_i32_i24 v88, v96, v170, v88
	v_mad_i32_i24 v0, v96, v113, v0
	s_delay_alu instid0(VALU_DEP_2) | instskip(NEXT) | instid1(VALU_DEP_2)
	v_dot4_i32_iu8 v88, v6, v172, v88 neg_lo:[1,1,0]
	v_dot4_i32_iu8 v0, v6, v106, v0 neg_lo:[1,1,0]
	s_delay_alu instid0(VALU_DEP_2) | instskip(NEXT) | instid1(VALU_DEP_2)
	v_dot4_i32_iu8 v88, v7, v107, v88 neg_lo:[1,1,0]
	v_dot4_i32_iu8 v0, v7, v85, v0 neg_lo:[1,1,0]
	s_delay_alu instid0(VALU_DEP_2) | instskip(NEXT) | instid1(VALU_DEP_2)
	v_cvt_f32_i32_e32 v88, v88
	v_cvt_f32_i32_e32 v0, v0
	s_delay_alu instid0(VALU_DEP_2) | instskip(NEXT) | instid1(VALU_DEP_2)
	v_mul_f32_e32 v181, v116, v88
	v_dual_mul_f32 v183, v1, v0 :: v_dual_add_nc_u32 v0, s15, v130
	ds_load_b32 v84, v0
	ds_load_b128 v[0:3], v4
	ds_load_b128 v[4:7], v4 offset:16
	v_pk_add_f32 v[28:29], v[28:29], v[178:179]
	v_pk_add_f32 v[24:25], v[24:25], v[182:183]
	;; [unrolled: 1-line block ×3, first 2 shown]
	s_wait_dscnt 0x2
	v_mul_f32_e32 v116, v117, v84
	s_wait_dscnt 0x1
	v_dot4_i32_iu8 v88, v94, v0, 0 neg_lo:[1,1,0]
	s_wait_dscnt 0x0
	v_perm_b32 v5, v5, v5, 0x7060100
	v_bfe_i32 v96, v6, 0, 8
	v_perm_b32 v6, v6, v6, 0xc030201
	v_dot4_i32_iu8 v88, v95, v1, v88 neg_lo:[1,1,0]
	s_delay_alu instid0(VALU_DEP_1) | instskip(NEXT) | instid1(VALU_DEP_1)
	v_dot4_i32_iu8 v88, v92, v2, v88 neg_lo:[1,1,0]
	v_dot4_i32_iu8 v88, v93, v3, v88 neg_lo:[1,1,0]
	s_delay_alu instid0(VALU_DEP_1) | instskip(NEXT) | instid1(VALU_DEP_1)
	v_dot4_i32_iu8 v88, v90, v4, v88 neg_lo:[1,1,0]
	v_dot4_i32_iu8 v88, v91, v5, v88 neg_lo:[1,1,0]
	s_delay_alu instid0(VALU_DEP_1) | instskip(NEXT) | instid1(VALU_DEP_1)
	v_mad_i32_i24 v88, v165, v96, v88
	v_dot4_i32_iu8 v88, v174, v6, v88 neg_lo:[1,1,0]
	s_delay_alu instid0(VALU_DEP_1) | instskip(NEXT) | instid1(VALU_DEP_1)
	v_dot4_i32_iu8 v88, v89, v7, v88 neg_lo:[1,1,0]
	v_cvt_f32_i32_e32 v88, v88
	s_delay_alu instid0(VALU_DEP_1) | instskip(SKIP_2) | instid1(VALU_DEP_2)
	v_mul_f32_e32 v176, v116, v88
	v_dot4_i32_iu8 v88, v0, v98, 0 neg_lo:[1,1,0]
	v_mul_f32_e32 v116, v166, v84
	v_dot4_i32_iu8 v88, v1, v99, v88 neg_lo:[1,1,0]
	s_delay_alu instid0(VALU_DEP_1) | instskip(NEXT) | instid1(VALU_DEP_1)
	v_dot4_i32_iu8 v88, v2, v100, v88 neg_lo:[1,1,0]
	v_dot4_i32_iu8 v88, v3, v101, v88 neg_lo:[1,1,0]
	s_delay_alu instid0(VALU_DEP_1) | instskip(NEXT) | instid1(VALU_DEP_1)
	v_dot4_i32_iu8 v88, v4, v102, v88 neg_lo:[1,1,0]
	v_dot4_i32_iu8 v88, v5, v169, v88 neg_lo:[1,1,0]
	s_delay_alu instid0(VALU_DEP_1) | instskip(NEXT) | instid1(VALU_DEP_1)
	v_mad_i32_i24 v88, v96, v167, v88
	v_dot4_i32_iu8 v88, v6, v173, v88 neg_lo:[1,1,0]
	s_delay_alu instid0(VALU_DEP_1) | instskip(NEXT) | instid1(VALU_DEP_1)
	v_dot4_i32_iu8 v88, v7, v97, v88 neg_lo:[1,1,0]
	v_cvt_f32_i32_e32 v88, v88
	s_delay_alu instid0(VALU_DEP_1) | instskip(SKIP_3) | instid1(VALU_DEP_3)
	v_mul_f32_e32 v178, v116, v88
	v_dot4_i32_iu8 v88, v0, v108, 0 neg_lo:[1,1,0]
	v_dot4_i32_iu8 v0, v0, v114, 0 neg_lo:[1,1,0]
	v_mul_f32_e32 v116, v168, v84
	v_dot4_i32_iu8 v88, v1, v109, v88 neg_lo:[1,1,0]
	s_delay_alu instid0(VALU_DEP_3) | instskip(SKIP_1) | instid1(VALU_DEP_3)
	v_dot4_i32_iu8 v0, v1, v115, v0 neg_lo:[1,1,0]
	v_mul_f32_e32 v1, v103, v84
	v_dot4_i32_iu8 v88, v2, v110, v88 neg_lo:[1,1,0]
	s_delay_alu instid0(VALU_DEP_3) | instskip(NEXT) | instid1(VALU_DEP_2)
	v_dot4_i32_iu8 v0, v2, v104, v0 neg_lo:[1,1,0]
	v_dot4_i32_iu8 v88, v3, v111, v88 neg_lo:[1,1,0]
	s_delay_alu instid0(VALU_DEP_2) | instskip(NEXT) | instid1(VALU_DEP_2)
	v_dot4_i32_iu8 v0, v3, v105, v0 neg_lo:[1,1,0]
	v_dot4_i32_iu8 v88, v4, v112, v88 neg_lo:[1,1,0]
	s_delay_alu instid0(VALU_DEP_2) | instskip(SKIP_1) | instid1(VALU_DEP_3)
	v_dot4_i32_iu8 v0, v4, v86, v0 neg_lo:[1,1,0]
	v_add_nc_u32_e32 v4, s13, v61
	v_dot4_i32_iu8 v88, v5, v171, v88 neg_lo:[1,1,0]
	s_delay_alu instid0(VALU_DEP_3) | instskip(NEXT) | instid1(VALU_DEP_2)
	v_dot4_i32_iu8 v0, v5, v87, v0 neg_lo:[1,1,0]
	v_mad_i32_i24 v88, v96, v170, v88
	s_delay_alu instid0(VALU_DEP_2) | instskip(NEXT) | instid1(VALU_DEP_2)
	v_mad_i32_i24 v0, v96, v113, v0
	v_dot4_i32_iu8 v88, v6, v172, v88 neg_lo:[1,1,0]
	s_delay_alu instid0(VALU_DEP_2) | instskip(NEXT) | instid1(VALU_DEP_2)
	v_dot4_i32_iu8 v0, v6, v106, v0 neg_lo:[1,1,0]
	v_dot4_i32_iu8 v88, v7, v107, v88 neg_lo:[1,1,0]
	s_delay_alu instid0(VALU_DEP_2) | instskip(NEXT) | instid1(VALU_DEP_2)
	v_dot4_i32_iu8 v0, v7, v85, v0 neg_lo:[1,1,0]
	v_cvt_f32_i32_e32 v88, v88
	s_delay_alu instid0(VALU_DEP_2) | instskip(NEXT) | instid1(VALU_DEP_2)
	v_cvt_f32_i32_e32 v0, v0
	v_mul_f32_e32 v180, v116, v88
	s_delay_alu instid0(VALU_DEP_2)
	v_dual_mul_f32 v182, v1, v0 :: v_dual_add_nc_u32 v0, s15, v131
	ds_load_b32 v84, v0
	ds_load_b128 v[0:3], v4
	ds_load_b128 v[4:7], v4 offset:16
	s_wait_dscnt 0x2
	v_mul_f32_e32 v116, v117, v84
	s_wait_dscnt 0x1
	v_dot4_i32_iu8 v88, v94, v0, 0 neg_lo:[1,1,0]
	s_wait_dscnt 0x0
	v_perm_b32 v5, v5, v5, 0x7060100
	v_bfe_i32 v96, v6, 0, 8
	v_perm_b32 v6, v6, v6, 0xc030201
	v_dot4_i32_iu8 v88, v95, v1, v88 neg_lo:[1,1,0]
	s_delay_alu instid0(VALU_DEP_1) | instskip(NEXT) | instid1(VALU_DEP_1)
	v_dot4_i32_iu8 v88, v92, v2, v88 neg_lo:[1,1,0]
	v_dot4_i32_iu8 v88, v93, v3, v88 neg_lo:[1,1,0]
	s_delay_alu instid0(VALU_DEP_1) | instskip(NEXT) | instid1(VALU_DEP_1)
	v_dot4_i32_iu8 v88, v90, v4, v88 neg_lo:[1,1,0]
	v_dot4_i32_iu8 v88, v91, v5, v88 neg_lo:[1,1,0]
	s_delay_alu instid0(VALU_DEP_1) | instskip(NEXT) | instid1(VALU_DEP_1)
	v_mad_i32_i24 v88, v165, v96, v88
	v_dot4_i32_iu8 v88, v174, v6, v88 neg_lo:[1,1,0]
	s_delay_alu instid0(VALU_DEP_1) | instskip(NEXT) | instid1(VALU_DEP_1)
	v_dot4_i32_iu8 v88, v89, v7, v88 neg_lo:[1,1,0]
	v_cvt_f32_i32_e32 v88, v88
	s_delay_alu instid0(VALU_DEP_1) | instskip(SKIP_2) | instid1(VALU_DEP_3)
	v_mul_f32_e32 v177, v116, v88
	v_dot4_i32_iu8 v88, v0, v98, 0 neg_lo:[1,1,0]
	v_mul_f32_e32 v116, v166, v84
	v_pk_add_f32 v[22:23], v[22:23], v[176:177]
	s_delay_alu instid0(VALU_DEP_3) | instskip(NEXT) | instid1(VALU_DEP_1)
	v_dot4_i32_iu8 v88, v1, v99, v88 neg_lo:[1,1,0]
	v_dot4_i32_iu8 v88, v2, v100, v88 neg_lo:[1,1,0]
	s_delay_alu instid0(VALU_DEP_1) | instskip(NEXT) | instid1(VALU_DEP_1)
	v_dot4_i32_iu8 v88, v3, v101, v88 neg_lo:[1,1,0]
	v_dot4_i32_iu8 v88, v4, v102, v88 neg_lo:[1,1,0]
	s_delay_alu instid0(VALU_DEP_1) | instskip(NEXT) | instid1(VALU_DEP_1)
	v_dot4_i32_iu8 v88, v5, v169, v88 neg_lo:[1,1,0]
	v_mad_i32_i24 v88, v96, v167, v88
	s_delay_alu instid0(VALU_DEP_1) | instskip(NEXT) | instid1(VALU_DEP_1)
	v_dot4_i32_iu8 v88, v6, v173, v88 neg_lo:[1,1,0]
	v_dot4_i32_iu8 v88, v7, v97, v88 neg_lo:[1,1,0]
	s_delay_alu instid0(VALU_DEP_1) | instskip(NEXT) | instid1(VALU_DEP_1)
	v_cvt_f32_i32_e32 v88, v88
	v_mul_f32_e32 v179, v116, v88
	v_dot4_i32_iu8 v88, v0, v108, 0 neg_lo:[1,1,0]
	v_dot4_i32_iu8 v0, v0, v114, 0 neg_lo:[1,1,0]
	v_mul_f32_e32 v116, v168, v84
	s_delay_alu instid0(VALU_DEP_3) | instskip(NEXT) | instid1(VALU_DEP_3)
	v_dot4_i32_iu8 v88, v1, v109, v88 neg_lo:[1,1,0]
	v_dot4_i32_iu8 v0, v1, v115, v0 neg_lo:[1,1,0]
	v_mul_f32_e32 v1, v103, v84
	s_delay_alu instid0(VALU_DEP_3) | instskip(NEXT) | instid1(VALU_DEP_3)
	v_dot4_i32_iu8 v88, v2, v110, v88 neg_lo:[1,1,0]
	v_dot4_i32_iu8 v0, v2, v104, v0 neg_lo:[1,1,0]
	s_delay_alu instid0(VALU_DEP_2) | instskip(NEXT) | instid1(VALU_DEP_2)
	v_dot4_i32_iu8 v88, v3, v111, v88 neg_lo:[1,1,0]
	v_dot4_i32_iu8 v0, v3, v105, v0 neg_lo:[1,1,0]
	s_delay_alu instid0(VALU_DEP_2) | instskip(NEXT) | instid1(VALU_DEP_2)
	v_dot4_i32_iu8 v88, v4, v112, v88 neg_lo:[1,1,0]
	v_dot4_i32_iu8 v0, v4, v86, v0 neg_lo:[1,1,0]
	v_add_nc_u32_e32 v4, s13, v63
	s_delay_alu instid0(VALU_DEP_3) | instskip(NEXT) | instid1(VALU_DEP_3)
	v_dot4_i32_iu8 v88, v5, v171, v88 neg_lo:[1,1,0]
	v_dot4_i32_iu8 v0, v5, v87, v0 neg_lo:[1,1,0]
	s_delay_alu instid0(VALU_DEP_2) | instskip(NEXT) | instid1(VALU_DEP_2)
	v_mad_i32_i24 v88, v96, v170, v88
	v_mad_i32_i24 v0, v96, v113, v0
	s_delay_alu instid0(VALU_DEP_2) | instskip(NEXT) | instid1(VALU_DEP_2)
	v_dot4_i32_iu8 v88, v6, v172, v88 neg_lo:[1,1,0]
	v_dot4_i32_iu8 v0, v6, v106, v0 neg_lo:[1,1,0]
	s_delay_alu instid0(VALU_DEP_2) | instskip(NEXT) | instid1(VALU_DEP_2)
	v_dot4_i32_iu8 v88, v7, v107, v88 neg_lo:[1,1,0]
	v_dot4_i32_iu8 v0, v7, v85, v0 neg_lo:[1,1,0]
	s_delay_alu instid0(VALU_DEP_2) | instskip(NEXT) | instid1(VALU_DEP_2)
	v_cvt_f32_i32_e32 v88, v88
	v_cvt_f32_i32_e32 v0, v0
	s_delay_alu instid0(VALU_DEP_1)
	v_mul_f32_e32 v183, v1, v0
	v_add_nc_u32_e32 v0, s15, v132
	ds_load_b32 v84, v0
	ds_load_b128 v[0:3], v4
	ds_load_b128 v[4:7], v4 offset:16
	s_wait_dscnt 0x2
	v_mul_f32_e32 v176, v168, v84
	v_mul_f32_e32 v181, v116, v88
	s_wait_dscnt 0x1
	v_dot4_i32_iu8 v88, v94, v0, 0 neg_lo:[1,1,0]
	s_wait_dscnt 0x0
	v_perm_b32 v5, v5, v5, 0x7060100
	v_bfe_i32 v175, v6, 0, 8
	v_perm_b32 v6, v6, v6, 0xc030201
	v_mul_f32_e32 v96, v117, v84
	v_dot4_i32_iu8 v88, v95, v1, v88 neg_lo:[1,1,0]
	v_pk_add_f32 v[20:21], v[20:21], v[178:179]
	v_pk_add_f32 v[18:19], v[18:19], v[180:181]
	s_delay_alu instid0(VALU_DEP_3) | instskip(NEXT) | instid1(VALU_DEP_1)
	v_dot4_i32_iu8 v88, v92, v2, v88 neg_lo:[1,1,0]
	v_dot4_i32_iu8 v88, v93, v3, v88 neg_lo:[1,1,0]
	s_delay_alu instid0(VALU_DEP_1) | instskip(NEXT) | instid1(VALU_DEP_1)
	v_dot4_i32_iu8 v88, v90, v4, v88 neg_lo:[1,1,0]
	v_dot4_i32_iu8 v88, v91, v5, v88 neg_lo:[1,1,0]
	s_delay_alu instid0(VALU_DEP_1) | instskip(NEXT) | instid1(VALU_DEP_1)
	v_mad_i32_i24 v88, v165, v175, v88
	v_dot4_i32_iu8 v88, v174, v6, v88 neg_lo:[1,1,0]
	s_delay_alu instid0(VALU_DEP_1) | instskip(NEXT) | instid1(VALU_DEP_1)
	v_dot4_i32_iu8 v88, v89, v7, v88 neg_lo:[1,1,0]
	v_cvt_f32_i32_e32 v88, v88
	s_delay_alu instid0(VALU_DEP_1) | instskip(SKIP_2) | instid1(VALU_DEP_2)
	v_mul_f32_e32 v116, v96, v88
	v_dot4_i32_iu8 v88, v0, v98, 0 neg_lo:[1,1,0]
	v_mul_f32_e32 v96, v166, v84
	v_dot4_i32_iu8 v88, v1, v99, v88 neg_lo:[1,1,0]
	s_delay_alu instid0(VALU_DEP_1) | instskip(NEXT) | instid1(VALU_DEP_1)
	v_dot4_i32_iu8 v88, v2, v100, v88 neg_lo:[1,1,0]
	v_dot4_i32_iu8 v88, v3, v101, v88 neg_lo:[1,1,0]
	s_delay_alu instid0(VALU_DEP_1) | instskip(NEXT) | instid1(VALU_DEP_1)
	v_dot4_i32_iu8 v88, v4, v102, v88 neg_lo:[1,1,0]
	v_dot4_i32_iu8 v88, v5, v169, v88 neg_lo:[1,1,0]
	s_delay_alu instid0(VALU_DEP_1) | instskip(NEXT) | instid1(VALU_DEP_1)
	v_mad_i32_i24 v88, v175, v167, v88
	v_dot4_i32_iu8 v88, v6, v173, v88 neg_lo:[1,1,0]
	s_delay_alu instid0(VALU_DEP_1) | instskip(NEXT) | instid1(VALU_DEP_1)
	v_dot4_i32_iu8 v88, v7, v97, v88 neg_lo:[1,1,0]
	v_cvt_f32_i32_e32 v88, v88
	s_delay_alu instid0(VALU_DEP_1) | instskip(SKIP_2) | instid1(VALU_DEP_2)
	v_mul_f32_e32 v96, v96, v88
	v_dot4_i32_iu8 v88, v0, v108, 0 neg_lo:[1,1,0]
	v_dot4_i32_iu8 v0, v0, v114, 0 neg_lo:[1,1,0]
	;; [unrolled: 1-line block ×3, first 2 shown]
	s_delay_alu instid0(VALU_DEP_2) | instskip(SKIP_1) | instid1(VALU_DEP_3)
	v_dot4_i32_iu8 v0, v1, v115, v0 neg_lo:[1,1,0]
	v_mul_f32_e32 v1, v103, v84
	v_dot4_i32_iu8 v88, v2, v110, v88 neg_lo:[1,1,0]
	s_delay_alu instid0(VALU_DEP_3) | instskip(NEXT) | instid1(VALU_DEP_2)
	v_dot4_i32_iu8 v0, v2, v104, v0 neg_lo:[1,1,0]
	v_dot4_i32_iu8 v88, v3, v111, v88 neg_lo:[1,1,0]
	s_delay_alu instid0(VALU_DEP_2) | instskip(NEXT) | instid1(VALU_DEP_2)
	v_dot4_i32_iu8 v0, v3, v105, v0 neg_lo:[1,1,0]
	v_dot4_i32_iu8 v88, v4, v112, v88 neg_lo:[1,1,0]
	s_delay_alu instid0(VALU_DEP_2) | instskip(NEXT) | instid1(VALU_DEP_2)
	;; [unrolled: 3-line block ×3, first 2 shown]
	v_dot4_i32_iu8 v0, v5, v87, v0 neg_lo:[1,1,0]
	v_mad_i32_i24 v88, v175, v170, v88
	s_delay_alu instid0(VALU_DEP_2) | instskip(NEXT) | instid1(VALU_DEP_2)
	v_mad_i32_i24 v0, v175, v113, v0
	v_dot4_i32_iu8 v88, v6, v172, v88 neg_lo:[1,1,0]
	s_delay_alu instid0(VALU_DEP_2) | instskip(NEXT) | instid1(VALU_DEP_2)
	v_dot4_i32_iu8 v0, v6, v106, v0 neg_lo:[1,1,0]
	v_dot4_i32_iu8 v88, v7, v107, v88 neg_lo:[1,1,0]
	s_delay_alu instid0(VALU_DEP_2) | instskip(NEXT) | instid1(VALU_DEP_2)
	v_dot4_i32_iu8 v0, v7, v85, v0 neg_lo:[1,1,0]
	v_cvt_f32_i32_e32 v88, v88
	s_delay_alu instid0(VALU_DEP_2) | instskip(NEXT) | instid1(VALU_DEP_2)
	v_cvt_f32_i32_e32 v0, v0
	v_mul_f32_e32 v88, v176, v88
	s_delay_alu instid0(VALU_DEP_2)
	v_dual_mul_f32 v84, v1, v0 :: v_dual_add_nc_u32 v1, s15, v133
	v_add_nc_u32_e32 v0, s13, v126
	ds_load_b32 v175, v1
	ds_load_b128 v[4:7], v0
	ds_load_b128 v[0:3], v0 offset:16
	v_pk_add_f32 v[16:17], v[16:17], v[182:183]
	s_add_co_i32 s13, s12, 8
	s_cmp_lt_u32 s12, 24
	s_mov_b32 s12, s13
	s_wait_dscnt 0x1
	v_dot4_i32_iu8 v94, v94, v4, 0 neg_lo:[1,1,0]
	s_wait_dscnt 0x0
	v_perm_b32 v1, v1, v1, 0x7060100
	v_bfe_i32 v176, v2, 0, 8
	v_perm_b32 v2, v2, v2, 0xc030201
	v_dot4_i32_iu8 v94, v95, v5, v94 neg_lo:[1,1,0]
	s_delay_alu instid0(VALU_DEP_1) | instskip(NEXT) | instid1(VALU_DEP_1)
	v_dot4_i32_iu8 v92, v92, v6, v94 neg_lo:[1,1,0]
	v_dot4_i32_iu8 v92, v93, v7, v92 neg_lo:[1,1,0]
	s_delay_alu instid0(VALU_DEP_1) | instskip(NEXT) | instid1(VALU_DEP_1)
	v_dot4_i32_iu8 v90, v90, v0, v92 neg_lo:[1,1,0]
	v_dot4_i32_iu8 v90, v91, v1, v90 neg_lo:[1,1,0]
	s_delay_alu instid0(VALU_DEP_1) | instskip(NEXT) | instid1(VALU_DEP_1)
	v_mad_i32_i24 v90, v165, v176, v90
	v_dot4_i32_iu8 v90, v174, v2, v90 neg_lo:[1,1,0]
	s_delay_alu instid0(VALU_DEP_1) | instskip(SKIP_1) | instid1(VALU_DEP_2)
	v_dot4_i32_iu8 v89, v89, v3, v90 neg_lo:[1,1,0]
	v_mul_f32_e32 v90, v117, v175
	v_cvt_f32_i32_e32 v89, v89
	s_delay_alu instid0(VALU_DEP_1) | instskip(SKIP_2) | instid1(VALU_DEP_2)
	v_mul_f32_e32 v117, v90, v89
	v_dot4_i32_iu8 v89, v4, v98, 0 neg_lo:[1,1,0]
	v_mul_f32_e32 v90, v166, v175
	v_dot4_i32_iu8 v89, v5, v99, v89 neg_lo:[1,1,0]
	s_delay_alu instid0(VALU_DEP_1) | instskip(NEXT) | instid1(VALU_DEP_1)
	v_dot4_i32_iu8 v89, v6, v100, v89 neg_lo:[1,1,0]
	v_dot4_i32_iu8 v89, v7, v101, v89 neg_lo:[1,1,0]
	s_delay_alu instid0(VALU_DEP_1) | instskip(NEXT) | instid1(VALU_DEP_1)
	v_dot4_i32_iu8 v89, v0, v102, v89 neg_lo:[1,1,0]
	v_dot4_i32_iu8 v89, v1, v169, v89 neg_lo:[1,1,0]
	s_delay_alu instid0(VALU_DEP_1) | instskip(NEXT) | instid1(VALU_DEP_1)
	v_mad_i32_i24 v89, v176, v167, v89
	v_dot4_i32_iu8 v89, v2, v173, v89 neg_lo:[1,1,0]
	s_delay_alu instid0(VALU_DEP_1) | instskip(NEXT) | instid1(VALU_DEP_1)
	v_dot4_i32_iu8 v89, v3, v97, v89 neg_lo:[1,1,0]
	v_cvt_f32_i32_e32 v89, v89
	s_delay_alu instid0(VALU_DEP_1) | instskip(SKIP_3) | instid1(VALU_DEP_4)
	v_mul_f32_e32 v97, v90, v89
	v_dot4_i32_iu8 v89, v4, v108, 0 neg_lo:[1,1,0]
	v_dot4_i32_iu8 v4, v4, v114, 0 neg_lo:[1,1,0]
	v_pk_add_f32 v[14:15], v[14:15], v[116:117]
	v_pk_add_f32 v[12:13], v[12:13], v[96:97]
	s_delay_alu instid0(VALU_DEP_4) | instskip(NEXT) | instid1(VALU_DEP_4)
	v_dot4_i32_iu8 v89, v5, v109, v89 neg_lo:[1,1,0]
	v_dot4_i32_iu8 v4, v5, v115, v4 neg_lo:[1,1,0]
	s_delay_alu instid0(VALU_DEP_2) | instskip(NEXT) | instid1(VALU_DEP_2)
	v_dot4_i32_iu8 v89, v6, v110, v89 neg_lo:[1,1,0]
	v_dot4_i32_iu8 v4, v6, v104, v4 neg_lo:[1,1,0]
	s_delay_alu instid0(VALU_DEP_2) | instskip(NEXT) | instid1(VALU_DEP_2)
	;; [unrolled: 3-line block ×4, first 2 shown]
	v_dot4_i32_iu8 v89, v1, v171, v89 neg_lo:[1,1,0]
	v_dot4_i32_iu8 v0, v1, v87, v0 neg_lo:[1,1,0]
	v_mul_f32_e32 v1, v103, v175
	s_delay_alu instid0(VALU_DEP_3) | instskip(NEXT) | instid1(VALU_DEP_3)
	v_mad_i32_i24 v89, v176, v170, v89
	v_mad_i32_i24 v0, v176, v113, v0
	s_delay_alu instid0(VALU_DEP_2) | instskip(NEXT) | instid1(VALU_DEP_2)
	v_dot4_i32_iu8 v89, v2, v172, v89 neg_lo:[1,1,0]
	v_dot4_i32_iu8 v0, v2, v106, v0 neg_lo:[1,1,0]
	s_delay_alu instid0(VALU_DEP_2) | instskip(NEXT) | instid1(VALU_DEP_2)
	v_dot4_i32_iu8 v89, v3, v107, v89 neg_lo:[1,1,0]
	v_dot4_i32_iu8 v0, v3, v85, v0 neg_lo:[1,1,0]
	s_delay_alu instid0(VALU_DEP_2) | instskip(NEXT) | instid1(VALU_DEP_2)
	v_cvt_f32_i32_e32 v89, v89
	v_cvt_f32_i32_e32 v0, v0
	s_delay_alu instid0(VALU_DEP_1) | instskip(NEXT) | instid1(VALU_DEP_1)
	v_dual_mul_f32 v90, v168, v175 :: v_dual_mul_f32 v85, v1, v0
	v_mul_f32_e32 v89, v90, v89
	s_delay_alu instid0(VALU_DEP_2) | instskip(NEXT) | instid1(VALU_DEP_2)
	v_pk_add_f32 v[8:9], v[8:9], v[84:85]
	v_pk_add_f32 v[10:11], v[10:11], v[88:89]
	s_cbranch_scc1 .LBB125_6
; %bb.7:                                ;   in Loop: Header=BB125_5 Depth=1
	s_add_co_i32 s10, s10, 4
	s_delay_alu instid0(SALU_CYCLE_1)
	s_cmp_ge_i32 s10, s5
	s_barrier_signal -1
	s_barrier_wait -1
	s_cbranch_scc0 .LBB125_5
; %bb.8:
	v_dual_mov_b32 v1, v33 :: v_dual_mov_b32 v2, v37
.LBB125_9:
	s_wait_xcnt 0x0
	s_mov_b32 s0, exec_lo
	v_cmpx_gt_u32_e64 s4, v47
	s_cbranch_execz .LBB125_60
; %bb.10:
	v_mul_lo_u32 v5, v47, s6
	v_add_nc_u32_e32 v0, s14, v2
	s_delay_alu instid0(VALU_DEP_1)
	v_cmp_gt_u32_e32 vcc_lo, s6, v0
	s_and_saveexec_b32 s0, vcc_lo
	s_cbranch_execz .LBB125_12
; %bb.11:
	s_delay_alu instid0(VALU_DEP_3)
	v_add_nc_u32_e32 v2, v0, v5
	s_wait_kmcnt 0x0
	global_store_b32 v2, v44, s[8:9] scale_offset
.LBB125_12:
	s_wait_xcnt 0x0
	s_or_b32 exec_lo, exec_lo, s0
	v_add_nc_u32_e32 v2, 32, v0
	s_delay_alu instid0(VALU_DEP_1)
	v_cmp_gt_u32_e64 s0, s6, v2
	s_and_saveexec_b32 s1, s0
	s_cbranch_execz .LBB125_14
; %bb.13:
	v_add_nc_u32_e32 v3, v2, v5
	s_wait_kmcnt 0x0
	global_store_b32 v3, v42, s[8:9] scale_offset
.LBB125_14:
	s_wait_xcnt 0x0
	s_or_b32 exec_lo, exec_lo, s1
	v_add_nc_u32_e32 v3, 64, v0
	s_delay_alu instid0(VALU_DEP_1)
	v_cmp_gt_u32_e64 s1, s6, v3
	s_and_saveexec_b32 s2, s1
	s_cbranch_execz .LBB125_16
; %bb.15:
	v_add_nc_u32_e32 v4, v3, v5
	s_wait_kmcnt 0x0
	global_store_b32 v4, v40, s[8:9] scale_offset
.LBB125_16:
	;; [unrolled: 12-line block ×3, first 2 shown]
	s_wait_xcnt 0x0
	s_or_b32 exec_lo, exec_lo, s3
	v_add3_u32 v5, v1, s7, 8
	s_delay_alu instid0(VALU_DEP_1)
	v_cmp_gt_u32_e64 s3, s4, v5
	s_and_b32 exec_lo, exec_lo, s3
	s_cbranch_execz .LBB125_60
; %bb.19:
	v_mul_lo_u32 v5, v5, s6
	s_and_saveexec_b32 s3, vcc_lo
	s_cbranch_execnz .LBB125_61
; %bb.20:
	s_or_b32 exec_lo, exec_lo, s3
	s_and_saveexec_b32 s3, s0
	s_cbranch_execnz .LBB125_62
.LBB125_21:
	s_or_b32 exec_lo, exec_lo, s3
	s_and_saveexec_b32 s3, s1
	s_cbranch_execnz .LBB125_63
.LBB125_22:
	s_or_b32 exec_lo, exec_lo, s3
	s_and_saveexec_b32 s3, s2
	s_cbranch_execz .LBB125_24
.LBB125_23:
	v_add_nc_u32_e32 v5, v5, v4
	s_wait_kmcnt 0x0
	global_store_b32 v5, v39, s[8:9] scale_offset
.LBB125_24:
	s_wait_xcnt 0x0
	s_or_b32 exec_lo, exec_lo, s3
	v_add3_u32 v5, v1, s7, 16
	s_delay_alu instid0(VALU_DEP_1)
	v_cmp_gt_u32_e64 s3, s4, v5
	s_and_b32 exec_lo, exec_lo, s3
	s_cbranch_execz .LBB125_60
; %bb.25:
	v_mul_lo_u32 v5, v5, s6
	s_and_saveexec_b32 s3, vcc_lo
	s_cbranch_execnz .LBB125_64
; %bb.26:
	s_or_b32 exec_lo, exec_lo, s3
	s_and_saveexec_b32 s3, s0
	s_cbranch_execnz .LBB125_65
.LBB125_27:
	s_or_b32 exec_lo, exec_lo, s3
	s_and_saveexec_b32 s3, s1
	s_cbranch_execnz .LBB125_66
.LBB125_28:
	s_or_b32 exec_lo, exec_lo, s3
	s_and_saveexec_b32 s3, s2
	s_cbranch_execz .LBB125_30
.LBB125_29:
	v_add_nc_u32_e32 v5, v5, v4
	s_wait_kmcnt 0x0
	global_store_b32 v5, v24, s[8:9] scale_offset
.LBB125_30:
	s_wait_xcnt 0x0
	s_or_b32 exec_lo, exec_lo, s3
	v_add3_u32 v5, v1, s7, 24
	s_delay_alu instid0(VALU_DEP_1)
	v_cmp_gt_u32_e64 s3, s4, v5
	s_and_b32 exec_lo, exec_lo, s3
	s_cbranch_execz .LBB125_60
; %bb.31:
	v_mul_lo_u32 v5, v5, s6
	s_and_saveexec_b32 s3, vcc_lo
	s_cbranch_execnz .LBB125_67
; %bb.32:
	s_or_b32 exec_lo, exec_lo, s3
	s_and_saveexec_b32 s3, s0
	s_cbranch_execnz .LBB125_68
.LBB125_33:
	s_or_b32 exec_lo, exec_lo, s3
	s_and_saveexec_b32 s3, s1
	s_cbranch_execnz .LBB125_69
.LBB125_34:
	s_or_b32 exec_lo, exec_lo, s3
	s_and_saveexec_b32 s3, s2
	s_cbranch_execz .LBB125_36
.LBB125_35:
	v_add_nc_u32_e32 v5, v5, v4
	s_wait_kmcnt 0x0
	global_store_b32 v5, v25, s[8:9] scale_offset
.LBB125_36:
	s_wait_xcnt 0x0
	s_or_b32 exec_lo, exec_lo, s3
	v_add3_u32 v5, v1, s7, 32
	s_delay_alu instid0(VALU_DEP_1)
	v_cmp_gt_u32_e64 s3, s4, v5
	s_and_b32 exec_lo, exec_lo, s3
	s_cbranch_execz .LBB125_60
; %bb.37:
	v_mul_lo_u32 v5, v5, s6
	s_and_saveexec_b32 s3, vcc_lo
	s_cbranch_execnz .LBB125_70
; %bb.38:
	s_or_b32 exec_lo, exec_lo, s3
	s_and_saveexec_b32 s3, s0
	s_cbranch_execnz .LBB125_71
.LBB125_39:
	s_or_b32 exec_lo, exec_lo, s3
	s_and_saveexec_b32 s3, s1
	s_cbranch_execnz .LBB125_72
.LBB125_40:
	s_or_b32 exec_lo, exec_lo, s3
	s_and_saveexec_b32 s3, s2
	s_cbranch_execz .LBB125_42
.LBB125_41:
	v_add_nc_u32_e32 v5, v5, v4
	s_wait_kmcnt 0x0
	global_store_b32 v5, v16, s[8:9] scale_offset
.LBB125_42:
	s_wait_xcnt 0x0
	s_or_b32 exec_lo, exec_lo, s3
	v_add3_u32 v5, v1, s7, 40
	s_delay_alu instid0(VALU_DEP_1)
	v_cmp_gt_u32_e64 s3, s4, v5
	s_and_b32 exec_lo, exec_lo, s3
	s_cbranch_execz .LBB125_60
; %bb.43:
	v_mul_lo_u32 v5, v5, s6
	s_and_saveexec_b32 s3, vcc_lo
	s_cbranch_execnz .LBB125_73
; %bb.44:
	s_or_b32 exec_lo, exec_lo, s3
	s_and_saveexec_b32 s3, s0
	s_cbranch_execnz .LBB125_74
.LBB125_45:
	s_or_b32 exec_lo, exec_lo, s3
	s_and_saveexec_b32 s3, s1
	s_cbranch_execnz .LBB125_75
.LBB125_46:
	s_or_b32 exec_lo, exec_lo, s3
	s_and_saveexec_b32 s3, s2
	s_cbranch_execz .LBB125_48
.LBB125_47:
	v_add_nc_u32_e32 v5, v5, v4
	s_wait_kmcnt 0x0
	global_store_b32 v5, v17, s[8:9] scale_offset
.LBB125_48:
	s_wait_xcnt 0x0
	s_or_b32 exec_lo, exec_lo, s3
	v_add3_u32 v5, v1, s7, 48
	s_delay_alu instid0(VALU_DEP_1)
	v_cmp_gt_u32_e64 s3, s4, v5
	s_and_b32 exec_lo, exec_lo, s3
	s_cbranch_execz .LBB125_60
; %bb.49:
	v_mul_lo_u32 v5, v5, s6
	s_and_saveexec_b32 s3, vcc_lo
	s_cbranch_execnz .LBB125_76
; %bb.50:
	s_or_b32 exec_lo, exec_lo, s3
	s_and_saveexec_b32 s3, s0
	s_cbranch_execnz .LBB125_77
.LBB125_51:
	s_or_b32 exec_lo, exec_lo, s3
	s_and_saveexec_b32 s3, s1
	s_cbranch_execnz .LBB125_78
.LBB125_52:
	s_or_b32 exec_lo, exec_lo, s3
	s_and_saveexec_b32 s3, s2
	s_cbranch_execz .LBB125_54
.LBB125_53:
	v_add_nc_u32_e32 v5, v5, v4
	s_wait_kmcnt 0x0
	global_store_b32 v5, v8, s[8:9] scale_offset
.LBB125_54:
	s_wait_xcnt 0x0
	s_or_b32 exec_lo, exec_lo, s3
	v_add3_u32 v1, v1, s7, 56
	s_delay_alu instid0(VALU_DEP_1)
	v_cmp_gt_u32_e64 s3, s4, v1
	s_and_b32 exec_lo, exec_lo, s3
	s_cbranch_execz .LBB125_60
; %bb.55:
	v_mul_lo_u32 v1, v1, s6
	s_and_saveexec_b32 s3, vcc_lo
	s_cbranch_execnz .LBB125_79
; %bb.56:
	s_or_b32 exec_lo, exec_lo, s3
	s_and_saveexec_b32 s3, s0
	s_cbranch_execnz .LBB125_80
.LBB125_57:
	s_or_b32 exec_lo, exec_lo, s3
	s_and_saveexec_b32 s0, s1
	s_cbranch_execnz .LBB125_81
.LBB125_58:
	s_or_b32 exec_lo, exec_lo, s0
	s_delay_alu instid0(SALU_CYCLE_1)
	s_and_b32 exec_lo, exec_lo, s2
	s_cbranch_execz .LBB125_60
.LBB125_59:
	v_add_nc_u32_e32 v0, v1, v4
	s_wait_kmcnt 0x0
	global_store_b32 v0, v9, s[8:9] scale_offset
.LBB125_60:
	s_sendmsg sendmsg(MSG_DEALLOC_VGPRS)
	s_endpgm
.LBB125_61:
	s_delay_alu instid0(VALU_DEP_1)
	v_add_nc_u32_e32 v6, v5, v0
	s_wait_kmcnt 0x0
	global_store_b32 v6, v45, s[8:9] scale_offset
	s_wait_xcnt 0x0
	s_or_b32 exec_lo, exec_lo, s3
	s_and_saveexec_b32 s3, s0
	s_cbranch_execz .LBB125_21
.LBB125_62:
	s_delay_alu instid0(VALU_DEP_1)
	v_add_nc_u32_e32 v6, v5, v2
	s_wait_kmcnt 0x0
	global_store_b32 v6, v43, s[8:9] scale_offset
	s_wait_xcnt 0x0
	s_or_b32 exec_lo, exec_lo, s3
	s_and_saveexec_b32 s3, s1
	s_cbranch_execz .LBB125_22
.LBB125_63:
	s_delay_alu instid0(VALU_DEP_1)
	v_add_nc_u32_e32 v6, v5, v3
	s_wait_kmcnt 0x0
	global_store_b32 v6, v41, s[8:9] scale_offset
	s_wait_xcnt 0x0
	s_or_b32 exec_lo, exec_lo, s3
	s_and_saveexec_b32 s3, s2
	s_cbranch_execnz .LBB125_23
	s_branch .LBB125_24
.LBB125_64:
	s_delay_alu instid0(VALU_DEP_1)
	v_add_nc_u32_e32 v6, v5, v0
	s_wait_kmcnt 0x0
	global_store_b32 v6, v30, s[8:9] scale_offset
	s_wait_xcnt 0x0
	s_or_b32 exec_lo, exec_lo, s3
	s_and_saveexec_b32 s3, s0
	s_cbranch_execz .LBB125_27
.LBB125_65:
	s_delay_alu instid0(VALU_DEP_1)
	v_add_nc_u32_e32 v6, v5, v2
	s_wait_kmcnt 0x0
	global_store_b32 v6, v28, s[8:9] scale_offset
	s_wait_xcnt 0x0
	s_or_b32 exec_lo, exec_lo, s3
	s_and_saveexec_b32 s3, s1
	s_cbranch_execz .LBB125_28
.LBB125_66:
	s_delay_alu instid0(VALU_DEP_1)
	v_add_nc_u32_e32 v6, v5, v3
	s_wait_kmcnt 0x0
	global_store_b32 v6, v26, s[8:9] scale_offset
	s_wait_xcnt 0x0
	s_or_b32 exec_lo, exec_lo, s3
	s_and_saveexec_b32 s3, s2
	s_cbranch_execnz .LBB125_29
	s_branch .LBB125_30
.LBB125_67:
	s_delay_alu instid0(VALU_DEP_1)
	v_add_nc_u32_e32 v6, v5, v0
	s_wait_kmcnt 0x0
	global_store_b32 v6, v31, s[8:9] scale_offset
	s_wait_xcnt 0x0
	s_or_b32 exec_lo, exec_lo, s3
	s_and_saveexec_b32 s3, s0
	s_cbranch_execz .LBB125_33
.LBB125_68:
	s_delay_alu instid0(VALU_DEP_1)
	v_add_nc_u32_e32 v6, v5, v2
	s_wait_kmcnt 0x0
	global_store_b32 v6, v29, s[8:9] scale_offset
	s_wait_xcnt 0x0
	s_or_b32 exec_lo, exec_lo, s3
	s_and_saveexec_b32 s3, s1
	s_cbranch_execz .LBB125_34
.LBB125_69:
	s_delay_alu instid0(VALU_DEP_1)
	v_add_nc_u32_e32 v6, v5, v3
	s_wait_kmcnt 0x0
	global_store_b32 v6, v27, s[8:9] scale_offset
	s_wait_xcnt 0x0
	s_or_b32 exec_lo, exec_lo, s3
	s_and_saveexec_b32 s3, s2
	s_cbranch_execnz .LBB125_35
	s_branch .LBB125_36
.LBB125_70:
	s_delay_alu instid0(VALU_DEP_1)
	v_add_nc_u32_e32 v6, v5, v0
	s_wait_kmcnt 0x0
	global_store_b32 v6, v22, s[8:9] scale_offset
	s_wait_xcnt 0x0
	s_or_b32 exec_lo, exec_lo, s3
	s_and_saveexec_b32 s3, s0
	s_cbranch_execz .LBB125_39
.LBB125_71:
	s_delay_alu instid0(VALU_DEP_1)
	v_add_nc_u32_e32 v6, v5, v2
	s_wait_kmcnt 0x0
	global_store_b32 v6, v20, s[8:9] scale_offset
	s_wait_xcnt 0x0
	s_or_b32 exec_lo, exec_lo, s3
	s_and_saveexec_b32 s3, s1
	s_cbranch_execz .LBB125_40
.LBB125_72:
	s_delay_alu instid0(VALU_DEP_1)
	v_add_nc_u32_e32 v6, v5, v3
	s_wait_kmcnt 0x0
	global_store_b32 v6, v18, s[8:9] scale_offset
	s_wait_xcnt 0x0
	s_or_b32 exec_lo, exec_lo, s3
	s_and_saveexec_b32 s3, s2
	s_cbranch_execnz .LBB125_41
	s_branch .LBB125_42
.LBB125_73:
	s_delay_alu instid0(VALU_DEP_1)
	v_add_nc_u32_e32 v6, v5, v0
	s_wait_kmcnt 0x0
	global_store_b32 v6, v23, s[8:9] scale_offset
	s_wait_xcnt 0x0
	s_or_b32 exec_lo, exec_lo, s3
	s_and_saveexec_b32 s3, s0
	s_cbranch_execz .LBB125_45
.LBB125_74:
	s_delay_alu instid0(VALU_DEP_1)
	v_add_nc_u32_e32 v6, v5, v2
	s_wait_kmcnt 0x0
	global_store_b32 v6, v21, s[8:9] scale_offset
	s_wait_xcnt 0x0
	s_or_b32 exec_lo, exec_lo, s3
	s_and_saveexec_b32 s3, s1
	s_cbranch_execz .LBB125_46
.LBB125_75:
	s_delay_alu instid0(VALU_DEP_1)
	v_add_nc_u32_e32 v6, v5, v3
	s_wait_kmcnt 0x0
	global_store_b32 v6, v19, s[8:9] scale_offset
	s_wait_xcnt 0x0
	s_or_b32 exec_lo, exec_lo, s3
	s_and_saveexec_b32 s3, s2
	s_cbranch_execnz .LBB125_47
	s_branch .LBB125_48
.LBB125_76:
	s_delay_alu instid0(VALU_DEP_1)
	v_add_nc_u32_e32 v6, v5, v0
	s_wait_kmcnt 0x0
	global_store_b32 v6, v14, s[8:9] scale_offset
	s_wait_xcnt 0x0
	s_or_b32 exec_lo, exec_lo, s3
	s_and_saveexec_b32 s3, s0
	s_cbranch_execz .LBB125_51
.LBB125_77:
	s_delay_alu instid0(VALU_DEP_1)
	v_add_nc_u32_e32 v6, v5, v2
	s_wait_kmcnt 0x0
	global_store_b32 v6, v12, s[8:9] scale_offset
	s_wait_xcnt 0x0
	s_or_b32 exec_lo, exec_lo, s3
	s_and_saveexec_b32 s3, s1
	s_cbranch_execz .LBB125_52
.LBB125_78:
	s_delay_alu instid0(VALU_DEP_1)
	v_add_nc_u32_e32 v6, v5, v3
	s_wait_kmcnt 0x0
	global_store_b32 v6, v10, s[8:9] scale_offset
	s_wait_xcnt 0x0
	s_or_b32 exec_lo, exec_lo, s3
	s_and_saveexec_b32 s3, s2
	s_cbranch_execnz .LBB125_53
	s_branch .LBB125_54
.LBB125_79:
	s_delay_alu instid0(VALU_DEP_1)
	v_add_nc_u32_e32 v0, v1, v0
	s_wait_kmcnt 0x0
	global_store_b32 v0, v15, s[8:9] scale_offset
	s_wait_xcnt 0x0
	s_or_b32 exec_lo, exec_lo, s3
	s_and_saveexec_b32 s3, s0
	s_cbranch_execz .LBB125_57
.LBB125_80:
	s_delay_alu instid0(VALU_DEP_1)
	v_add_nc_u32_e32 v0, v1, v2
	s_wait_kmcnt 0x0
	global_store_b32 v0, v13, s[8:9] scale_offset
	s_wait_xcnt 0x0
	s_or_b32 exec_lo, exec_lo, s3
	s_and_saveexec_b32 s0, s1
	s_cbranch_execz .LBB125_58
.LBB125_81:
	s_delay_alu instid0(VALU_DEP_1) | instskip(SKIP_4) | instid1(SALU_CYCLE_1)
	v_add_nc_u32_e32 v0, v1, v3
	s_wait_kmcnt 0x0
	global_store_b32 v0, v11, s[8:9] scale_offset
	s_wait_xcnt 0x0
	s_or_b32 exec_lo, exec_lo, s0
	s_and_b32 exec_lo, exec_lo, s2
	s_cbranch_execnz .LBB125_59
	s_branch .LBB125_60
	.section	.rodata,"a",@progbits
	.p2align	6, 0x0
	.amdhsa_kernel _ZL12mul_mat_q8_0IfLb0EEvPKvS1_PT_iiiii
		.amdhsa_group_segment_fixed_size 28224
		.amdhsa_private_segment_fixed_size 0
		.amdhsa_kernarg_size 44
		.amdhsa_user_sgpr_count 2
		.amdhsa_user_sgpr_dispatch_ptr 0
		.amdhsa_user_sgpr_queue_ptr 0
		.amdhsa_user_sgpr_kernarg_segment_ptr 1
		.amdhsa_user_sgpr_dispatch_id 0
		.amdhsa_user_sgpr_kernarg_preload_length 0
		.amdhsa_user_sgpr_kernarg_preload_offset 0
		.amdhsa_user_sgpr_private_segment_size 0
		.amdhsa_wavefront_size32 1
		.amdhsa_uses_dynamic_stack 0
		.amdhsa_enable_private_segment 0
		.amdhsa_system_sgpr_workgroup_id_x 1
		.amdhsa_system_sgpr_workgroup_id_y 1
		.amdhsa_system_sgpr_workgroup_id_z 0
		.amdhsa_system_sgpr_workgroup_info 0
		.amdhsa_system_vgpr_workitem_id 1
		.amdhsa_next_free_vgpr 184
		.amdhsa_next_free_sgpr 21
		.amdhsa_named_barrier_count 0
		.amdhsa_reserve_vcc 1
		.amdhsa_float_round_mode_32 0
		.amdhsa_float_round_mode_16_64 0
		.amdhsa_float_denorm_mode_32 3
		.amdhsa_float_denorm_mode_16_64 3
		.amdhsa_fp16_overflow 0
		.amdhsa_memory_ordered 1
		.amdhsa_forward_progress 1
		.amdhsa_inst_pref_size 74
		.amdhsa_round_robin_scheduling 0
		.amdhsa_exception_fp_ieee_invalid_op 0
		.amdhsa_exception_fp_denorm_src 0
		.amdhsa_exception_fp_ieee_div_zero 0
		.amdhsa_exception_fp_ieee_overflow 0
		.amdhsa_exception_fp_ieee_underflow 0
		.amdhsa_exception_fp_ieee_inexact 0
		.amdhsa_exception_int_div_zero 0
	.end_amdhsa_kernel
	.section	.text._ZL12mul_mat_q8_0IfLb0EEvPKvS1_PT_iiiii,"axG",@progbits,_ZL12mul_mat_q8_0IfLb0EEvPKvS1_PT_iiiii,comdat
.Lfunc_end125:
	.size	_ZL12mul_mat_q8_0IfLb0EEvPKvS1_PT_iiiii, .Lfunc_end125-_ZL12mul_mat_q8_0IfLb0EEvPKvS1_PT_iiiii
                                        ; -- End function
	.set _ZL12mul_mat_q8_0IfLb0EEvPKvS1_PT_iiiii.num_vgpr, 184
	.set _ZL12mul_mat_q8_0IfLb0EEvPKvS1_PT_iiiii.num_agpr, 0
	.set _ZL12mul_mat_q8_0IfLb0EEvPKvS1_PT_iiiii.numbered_sgpr, 21
	.set _ZL12mul_mat_q8_0IfLb0EEvPKvS1_PT_iiiii.num_named_barrier, 0
	.set _ZL12mul_mat_q8_0IfLb0EEvPKvS1_PT_iiiii.private_seg_size, 0
	.set _ZL12mul_mat_q8_0IfLb0EEvPKvS1_PT_iiiii.uses_vcc, 1
	.set _ZL12mul_mat_q8_0IfLb0EEvPKvS1_PT_iiiii.uses_flat_scratch, 0
	.set _ZL12mul_mat_q8_0IfLb0EEvPKvS1_PT_iiiii.has_dyn_sized_stack, 0
	.set _ZL12mul_mat_q8_0IfLb0EEvPKvS1_PT_iiiii.has_recursion, 0
	.set _ZL12mul_mat_q8_0IfLb0EEvPKvS1_PT_iiiii.has_indirect_call, 0
	.section	.AMDGPU.csdata,"",@progbits
; Kernel info:
; codeLenInByte = 9360
; TotalNumSgprs: 23
; NumVgprs: 184
; ScratchSize: 0
; MemoryBound: 0
; FloatMode: 240
; IeeeMode: 1
; LDSByteSize: 28224 bytes/workgroup (compile time only)
; SGPRBlocks: 0
; VGPRBlocks: 11
; NumSGPRsForWavesPerEU: 23
; NumVGPRsForWavesPerEU: 184
; NamedBarCnt: 0
; Occupancy: 5
; WaveLimiterHint : 0
; COMPUTE_PGM_RSRC2:SCRATCH_EN: 0
; COMPUTE_PGM_RSRC2:USER_SGPR: 2
; COMPUTE_PGM_RSRC2:TRAP_HANDLER: 0
; COMPUTE_PGM_RSRC2:TGID_X_EN: 1
; COMPUTE_PGM_RSRC2:TGID_Y_EN: 1
; COMPUTE_PGM_RSRC2:TGID_Z_EN: 0
; COMPUTE_PGM_RSRC2:TIDIG_COMP_CNT: 1
	.section	.text._ZL12mul_mat_q8_0IfLb1EEvPKvS1_PT_iiiii,"axG",@progbits,_ZL12mul_mat_q8_0IfLb1EEvPKvS1_PT_iiiii,comdat
	.globl	_ZL12mul_mat_q8_0IfLb1EEvPKvS1_PT_iiiii ; -- Begin function _ZL12mul_mat_q8_0IfLb1EEvPKvS1_PT_iiiii
	.p2align	8
	.type	_ZL12mul_mat_q8_0IfLb1EEvPKvS1_PT_iiiii,@function
_ZL12mul_mat_q8_0IfLb1EEvPKvS1_PT_iiiii: ; @_ZL12mul_mat_q8_0IfLb1EEvPKvS1_PT_iiiii
; %bb.0:
	s_clause 0x1
	s_load_b128 s[4:7], s[0:1], 0x18
	s_load_b32 s12, s[0:1], 0x28
	s_bfe_u32 s2, ttmp6, 0x4000c
	s_bfe_u32 s8, ttmp6, 0x40010
	s_add_co_i32 s2, s2, 1
	s_and_b32 s3, ttmp6, 15
	s_mul_i32 s2, ttmp9, s2
	s_add_co_i32 s8, s8, 1
	s_add_co_i32 s3, s3, s2
	s_mul_i32 s2, ttmp7, s8
	s_bfe_u32 s8, ttmp6, 0x40004
	s_getreg_b32 s9, hwreg(HW_REG_IB_STS2, 6, 4)
	s_add_co_i32 s8, s8, s2
	s_cmp_eq_u32 s9, 0
	v_bfe_u32 v43, v0, 10, 10
	s_cselect_b32 s8, ttmp7, s8
	v_and_b32_e32 v45, 0x3ff, v0
	s_cselect_b32 s2, ttmp9, s3
	s_lshl_b32 s13, s8, 6
	s_mov_b32 s3, 0
	s_wait_kmcnt 0x0
	s_cmp_gt_i32 s4, 31
	s_cbranch_scc1 .LBB126_2
; %bb.1:
	v_bfe_u32 v1, v0, 10, 10
	v_and_b32_e32 v2, 0x3ff, v0
	s_delay_alu instid0(VALU_DEP_2)
	v_add_nc_u32_e32 v47, s13, v1
	s_branch .LBB126_3
.LBB126_2:
	s_mov_b32 s3, -1
                                        ; implicit-def: $vgpr1
                                        ; implicit-def: $vgpr2
                                        ; implicit-def: $vgpr47
.LBB126_3:
	s_load_b64 s[8:9], s[0:1], 0x10
	v_dual_mov_b32 v9, 0 :: v_dual_mov_b32 v8, 0
	v_dual_mov_b32 v17, 0 :: v_dual_mov_b32 v16, 0
	;; [unrolled: 1-line block ×16, first 2 shown]
	s_and_not1_b32 vcc_lo, exec_lo, s3
	s_lshl_b32 s14, s2, 7
	s_cbranch_vccnz .LBB126_9
; %bb.4:
	v_dual_add_nc_u32 v47, s13, v43 :: v_dual_mov_b32 v39, 0
	s_add_co_i32 s15, s6, -1
	v_bfe_u32 v27, v0, 2, 8
	v_cvt_f64_i32_e32 v[2:3], s15
	s_delay_alu instid0(VALU_DEP_3) | instskip(SKIP_3) | instid1(VALU_DEP_4)
	v_dual_add_nc_u32 v1, 8, v47 :: v_dual_add_nc_u32 v8, 16, v47
	v_cvt_f64_u32_e32 v[4:5], v47
	v_dual_add_nc_u32 v10, 24, v47 :: v_dual_add_nc_u32 v12, 32, v47
	v_add_nc_u32_e32 v14, 40, v47
	v_cvt_f64_u32_e32 v[6:7], v1
	v_cvt_f64_u32_e32 v[8:9], v8
	v_dual_add_nc_u32 v1, 48, v47 :: v_dual_add_nc_u32 v18, 56, v47
	v_cvt_f64_u32_e32 v[10:11], v10
	v_cvt_f64_u32_e32 v[12:13], v12
	;; [unrolled: 1-line block ×3, first 2 shown]
	s_delay_alu instid0(VALU_DEP_4)
	v_cvt_f64_u32_e32 v[16:17], v1
	v_lshlrev_b32_e32 v1, 2, v45
	v_cvt_f64_u32_e32 v[18:19], v18
	s_not_b32 s16, s14
	v_dual_add_nc_u32 v20, 8, v43 :: v_dual_add_nc_u32 v21, 16, v43
	s_add_co_i32 s16, s5, s16
	v_lshl_add_u32 v27, v43, 3, v27
	v_dual_add_nc_u32 v24, 40, v43 :: v_dual_add_nc_u32 v25, 48, v43
	v_dual_add_nc_u32 v22, 24, v43 :: v_dual_add_nc_u32 v23, 32, v43
	s_delay_alu instid0(VALU_DEP_3) | instskip(SKIP_2) | instid1(VALU_DEP_4)
	v_min_i32_e32 v36, s16, v27
	v_add_min_i32_e64 v37, v27, 64, s16
	v_dual_add_nc_u32 v26, 56, v43 :: v_dual_bitop2_b32 v42, 3, v0 bitop3:0x40
	v_min_i32_e32 v31, s16, v23
	s_ashr_i32 s10, s4, 31
	s_delay_alu instid0(VALU_DEP_3)
	v_ashrrev_i32_e32 v41, 31, v37
	v_and_b32_e32 v38, 28, v1
	s_ashr_i32 s11, s7, 31
	v_min_num_f64_e32 v[4:5], v[4:5], v[2:3]
	s_wait_xcnt 0x0
	s_load_b128 s[0:3], s[0:1], 0x0
	s_lshr_b32 s10, s10, 27
	v_dual_min_num_f64 v[6:7], v[6:7], v[2:3] :: v_dual_min_i32 v29, s16, v21
	v_dual_min_num_f64 v[8:9], v[8:9], v[2:3] :: v_dual_min_i32 v32, s16, v24
	;; [unrolled: 1-line block ×3, first 2 shown]
	v_min_num_f64_e32 v[12:13], v[12:13], v[2:3]
	v_dual_min_num_f64 v[14:15], v[14:15], v[2:3] :: v_dual_lshlrev_b32 v51, 7, v20
	v_dual_min_num_f64 v[16:17], v[16:17], v[2:3] :: v_dual_lshlrev_b32 v53, 7, v21
	v_dual_min_num_f64 v[2:3], v[18:19], v[2:3] :: v_dual_ashrrev_i32 v40, 31, v36
	v_min_i32_e32 v19, s16, v20
	v_dual_lshlrev_b32 v35, 2, v42 :: v_dual_min_i32 v18, s16, v43
	s_lshr_b32 s11, s11, 27
	s_add_co_i32 s4, s4, s10
	s_add_co_i32 s10, s7, s11
	v_dual_lshlrev_b32 v49, 7, v43 :: v_dual_bitop2_b32 v28, 31, v0 bitop3:0x40
	s_ashr_i32 s17, s10, 5
	v_dual_lshlrev_b32 v55, 7, v22 :: v_dual_min_i32 v30, s16, v22
	v_dual_lshlrev_b32 v57, 7, v23 :: v_dual_min_i32 v34, s16, v26
	s_delay_alu instid0(VALU_DEP_3)
	v_lshl_or_b32 v28, v28, 2, 0x4200
	s_ashr_i32 s7, s4, 5
	v_mad_u32 v139, 0x84, v18, v1
	v_cvt_i32_f64_e32 v4, v[4:5]
	s_mul_i32 s4, s7, s14
	v_mad_u32 v140, 0x84, v19, v1
	v_lshlrev_b32_e32 v59, 7, v24
	v_cvt_i32_f64_e32 v5, v[6:7]
	v_cvt_i32_f64_e32 v6, v[8:9]
	v_lshlrev_b32_e32 v118, 7, v26
	v_mad_u32 v141, 0x84, v29, v1
	v_cvt_i32_f64_e32 v7, v[10:11]
	v_cvt_i32_f64_e32 v8, v[12:13]
	;; [unrolled: 1-line block ×3, first 2 shown]
	v_lshrrev_b32_e32 v11, 29, v40
	v_cvt_i32_f64_e32 v10, v[16:17]
	v_lshrrev_b32_e32 v12, 29, v41
	v_cvt_i32_f64_e32 v2, v[2:3]
	v_dual_lshlrev_b32 v14, 4, v36 :: v_dual_bitop2_b32 v3, 63, v27 bitop3:0x40
	s_delay_alu instid0(VALU_DEP_3) | instskip(SKIP_1) | instid1(VALU_DEP_3)
	v_dual_lshlrev_b32 v15, 4, v37 :: v_dual_add_nc_u32 v12, v37, v12
	v_add_nc_u32_e32 v11, v36, v11
	v_or_b32_e32 v13, s13, v3
	v_lshl_or_b32 v3, v3, 4, v35
	v_mad_u32 v142, 0x84, v30, v1
	s_delay_alu instid0(VALU_DEP_4) | instskip(NEXT) | instid1(VALU_DEP_4)
	v_dual_ashrrev_i32 v12, 3, v12 :: v_dual_ashrrev_i32 v11, 3, v11
	v_min_i32_e32 v13, s15, v13
	s_delay_alu instid0(VALU_DEP_4) | instskip(SKIP_1) | instid1(VALU_DEP_4)
	v_add_nc_u32_e32 v61, 0x6a40, v3
	v_mad_u32 v143, 0x84, v31, v1
	v_dual_lshlrev_b32 v12, 2, v12 :: v_dual_lshlrev_b32 v11, 2, v11
	s_delay_alu instid0(VALU_DEP_4)
	v_mad_u32 v63, v13, s17, v42
	v_mad_u32 v144, 0x84, v32, v1
	v_mul_lo_u32 v65, s17, v4
	v_add_nc_u32_e32 v4, 32, v45
	v_add3_u32 v3, v11, v35, 0x6200
	v_add3_u32 v11, v12, v35, 0x6200
	v_mul_lo_u32 v67, s17, v5
	v_mul_lo_u32 v69, s17, v6
	v_add_nc_u32_e32 v5, 64, v45
	v_add_nc_u32_e32 v6, 0x60, v45
	v_mul_lo_u32 v71, s17, v7
	v_mul_lo_u32 v73, s17, v8
	;; [unrolled: 1-line block ×3, first 2 shown]
	v_lshlrev_b32_e32 v79, 7, v25
	v_mul_lo_u32 v77, s17, v10
	v_dual_lshrrev_b32 v7, 3, v5 :: v_dual_lshrrev_b32 v8, 3, v6
	v_mul_lo_u32 v81, s17, v2
	v_dual_lshrrev_b32 v2, 3, v4 :: v_dual_lshlrev_b32 v125, 4, v26
	v_dual_lshlrev_b32 v126, 4, v4 :: v_dual_lshlrev_b32 v127, 4, v5
	v_lshlrev_b32_e32 v128, 4, v6
	v_dual_add_nc_u32 v129, v3, v14 :: v_dual_add_nc_u32 v131, v28, v49
	v_dual_add_nc_u32 v130, v11, v15 :: v_dual_add_nc_u32 v133, v28, v53
	v_add_min_i32_e64 v3, v43, 64, s16
	v_add_min_i32_e64 v4, 0x48, v43, s16
	;; [unrolled: 1-line block ×8, first 2 shown]
	v_mad_u32 v145, 0x84, v33, v1
	v_mad_u32 v146, 0x84, v34, v1
	;; [unrolled: 1-line block ×10, first 2 shown]
	v_mul_lo_u32 v46, v18, s7
	v_mul_lo_u32 v48, v19, s7
	;; [unrolled: 1-line block ×18, first 2 shown]
	v_bfe_u32 v44, v0, 3, 7
	s_ashr_i32 s5, s4, 31
	v_dual_lshlrev_b32 v119, 4, v20 :: v_dual_lshlrev_b32 v120, 4, v21
	s_mul_u64 s[10:11], s[4:5], 34
	v_dual_lshlrev_b32 v121, 4, v22 :: v_dual_lshlrev_b32 v122, 4, v23
	v_dual_lshlrev_b32 v123, 4, v24 :: v_dual_lshlrev_b32 v124, 4, v25
	s_movk_i32 s4, 0x1080
	s_movk_i32 s5, 0x2100
	;; [unrolled: 1-line block ×3, first 2 shown]
	v_dual_add_nc_u32 v132, v28, v51 :: v_dual_add_nc_u32 v135, v28, v57
	v_dual_add_nc_u32 v134, v28, v55 :: v_dual_add_nc_u32 v138, v28, v118
	v_dual_add_nc_u32 v136, v28, v59 :: v_dual_lshlrev_b32 v155, 2, v1
	v_dual_add_nc_u32 v137, v28, v79 :: v_dual_lshlrev_b32 v156, 2, v2
	v_dual_lshlrev_b32 v157, 2, v7 :: v_dual_lshlrev_b32 v158, 2, v8
	s_wait_kmcnt 0x0
	v_add_nc_u64_e32 v[82:83], s[2:3], v[38:39]
	v_mov_b64_e32 v[40:41], 0
	v_mov_b64_e32 v[30:31], 0
	;; [unrolled: 1-line block ×16, first 2 shown]
	v_dual_lshlrev_b32 v159, 4, v43 :: v_dual_lshlrev_b32 v164, 2, v44
	v_mul_u32_u24_e32 v160, 0x84, v45
	v_mad_u32_u24 v161, 0x84, v45, s4
	v_mad_u32_u24 v162, 0x84, v45, s5
	;; [unrolled: 1-line block ×3, first 2 shown]
	s_mov_b32 s5, 0
	s_add_nc_u64 s[0:1], s[0:1], s[10:11]
	s_mov_b32 s4, s5
.LBB126_5:                              ; =>This Loop Header: Depth=1
                                        ;     Child Loop BB126_6 Depth 2
	s_delay_alu instid0(SALU_CYCLE_1) | instskip(NEXT) | instid1(SALU_CYCLE_1)
	s_mul_u64 s[10:11], s[4:5], 34
	s_add_nc_u64 s[10:11], s[0:1], s[10:11]
	s_delay_alu instid0(SALU_CYCLE_1) | instskip(NEXT) | instid1(VALU_DEP_1)
	v_mad_nc_u64_u32 v[0:1], v44, 34, s[10:11]
	v_mad_nc_i64_i32 v[2:3], v46, 34, v[0:1]
	s_delay_alu instid0(VALU_DEP_1) | instskip(SKIP_4) | instid1(VALU_DEP_1)
	v_add_nc_u64_e32 v[2:3], v[2:3], v[38:39]
	global_load_b32 v2, v[2:3], off offset:2
	s_wait_loadcnt 0x0
	ds_store_b32 v139, v2
	v_mad_nc_i64_i32 v[2:3], v48, 34, v[0:1]
	v_add_nc_u64_e32 v[2:3], v[2:3], v[38:39]
	global_load_b32 v2, v[2:3], off offset:2
	s_wait_loadcnt 0x0
	ds_store_b32 v140, v2
	v_mad_nc_i64_i32 v[2:3], v50, 34, v[0:1]
	s_delay_alu instid0(VALU_DEP_1) | instskip(SKIP_4) | instid1(VALU_DEP_1)
	v_add_nc_u64_e32 v[2:3], v[2:3], v[38:39]
	global_load_b32 v2, v[2:3], off offset:2
	s_wait_loadcnt 0x0
	ds_store_b32 v141, v2
	v_mad_nc_i64_i32 v[2:3], v52, 34, v[0:1]
	v_add_nc_u64_e32 v[2:3], v[2:3], v[38:39]
	global_load_b32 v2, v[2:3], off offset:2
	s_wait_loadcnt 0x0
	ds_store_b32 v142, v2
	;; [unrolled: 11-line block ×7, first 2 shown]
	v_mad_nc_i64_i32 v[2:3], v74, 34, v[0:1]
	v_mad_nc_i64_i32 v[0:1], v76, 34, v[0:1]
	s_delay_alu instid0(VALU_DEP_2) | instskip(NEXT) | instid1(VALU_DEP_2)
	v_add_nc_u64_e32 v[2:3], v[2:3], v[38:39]
	v_add_nc_u64_e32 v[0:1], v[0:1], v[38:39]
	s_clause 0x1
	global_load_b32 v2, v[2:3], off offset:2
	global_load_b32 v0, v[0:1], off offset:2
	s_wait_loadcnt 0x1
	ds_store_b32 v153, v2
	s_wait_loadcnt 0x0
	ds_store_b32 v154, v0
	v_mad_nc_u64_u32 v[0:1], v42, 34, s[10:11]
	s_mov_b32 s10, 0
	s_delay_alu instid0(VALU_DEP_1)
	v_mad_nc_i64_i32 v[2:3], v78, 34, v[0:1]
	v_mad_nc_i64_i32 v[0:1], v80, 34, v[0:1]
	s_clause 0x1
	global_load_u16 v2, v[2:3], off
	global_load_u16 v0, v[0:1], off
	s_wait_loadcnt 0x1
	s_wait_xcnt 0x1
	v_cvt_f32_f16_e32 v2, v2
	s_wait_loadcnt 0x0
	v_cvt_f32_f16_e32 v0, v0
	ds_store_b32 v129, v2
	ds_store_b32 v130, v0
	v_dual_add_nc_u32 v2, s4, v44 :: v_dual_add_nc_u32 v0, s4, v63
	s_delay_alu instid0(VALU_DEP_1) | instskip(SKIP_3) | instid1(VALU_DEP_1)
	v_mad_nc_u64_u32 v[0:1], v0, 36, s[2:3]
	global_load_b32 v3, v[0:1], off
	s_wait_xcnt 0x0
	v_add_nc_u32_e32 v0, v2, v65
	v_mad_nc_i64_i32 v[0:1], v0, 36, v[82:83]
	global_load_b32 v0, v[0:1], off offset:4
	s_wait_loadcnt 0x0
	ds_store_b32 v131, v0
	v_add_nc_u32_e32 v0, v2, v67
	s_delay_alu instid0(VALU_DEP_1) | instskip(SKIP_4) | instid1(VALU_DEP_1)
	v_mad_nc_i64_i32 v[0:1], v0, 36, v[82:83]
	global_load_b32 v0, v[0:1], off offset:4
	s_wait_loadcnt 0x0
	ds_store_b32 v132, v0
	v_add_nc_u32_e32 v0, v2, v69
	v_mad_nc_i64_i32 v[0:1], v0, 36, v[82:83]
	global_load_b32 v0, v[0:1], off offset:4
	s_wait_loadcnt 0x0
	ds_store_b32 v133, v0
	v_add_nc_u32_e32 v0, v2, v71
	s_delay_alu instid0(VALU_DEP_1) | instskip(SKIP_4) | instid1(VALU_DEP_1)
	v_mad_nc_i64_i32 v[0:1], v0, 36, v[82:83]
	global_load_b32 v0, v[0:1], off offset:4
	s_wait_loadcnt 0x0
	ds_store_b32 v134, v0
	;; [unrolled: 11-line block ×3, first 2 shown]
	v_add_nc_u32_e32 v0, v2, v77
	v_mad_nc_i64_i32 v[0:1], v0, 36, v[82:83]
	global_load_b32 v0, v[0:1], off offset:4
	s_wait_loadcnt 0x0
	ds_store_b32 v137, v0
	v_add_nc_u32_e32 v0, v2, v81
	s_delay_alu instid0(VALU_DEP_1)
	v_mad_nc_i64_i32 v[0:1], v0, 36, v[82:83]
	global_load_b32 v0, v[0:1], off offset:4
	s_wait_loadcnt 0x0
	ds_store_b32 v138, v0
	v_cvt_f32_f16_e32 v0, v3
	ds_store_b32 v61, v0
	s_wait_dscnt 0x0
	s_barrier_signal -1
	s_barrier_wait -1
.LBB126_6:                              ;   Parent Loop BB126_5 Depth=1
                                        ; =>  This Inner Loop Header: Depth=2
	s_lshl_b32 s16, s10, 2
	s_lshr_b32 s17, s10, 1
	s_add_co_i32 s11, s16, 0x4200
	s_add_co_i32 s15, s17, 0x6a40
	s_delay_alu instid0(SALU_CYCLE_1)
	v_dual_add_nc_u32 v4, s11, v49 :: v_dual_add_nc_u32 v0, s15, v159
	s_addk_co_i32 s17, 0x6200
	v_add_nc_u32_e32 v84, s16, v160
	ds_load_b32 v116, v0
	v_add3_u32 v0, s17, v164, v155
	ds_load_b32 v117, v0
	ds_load_b128 v[0:3], v4
	ds_load_b128 v[4:7], v4 offset:16
	ds_load_2addr_b32 v[94:95], v84 offset1:1
	ds_load_2addr_b32 v[92:93], v84 offset0:2 offset1:3
	ds_load_2addr_b32 v[90:91], v84 offset0:4 offset1:5
	;; [unrolled: 1-line block ×3, first 2 shown]
	s_wait_dscnt 0x5
	v_perm_b32 v86, v3, v2, 0x5010c0c
	v_perm_b32 v87, v3, v2, 0x7030c0c
	s_wait_dscnt 0x3
	v_perm_b32 v84, v94, v95, 0xc0c0501
	s_wait_dscnt 0x2
	v_perm_b32 v85, v93, v92, 0x5010c0c
	v_perm_b32 v96, v3, v2, 0x4000c0c
	;; [unrolled: 1-line block ×4, first 2 shown]
	s_wait_dscnt 0x0
	v_bfe_i32 v165, v88, 0, 8
	v_or_b32_e32 v84, v85, v84
	v_perm_b32 v85, v0, v1, 0xc0c0501
	v_perm_b32 v174, v88, v88, 0xc030201
	s_delay_alu instid0(VALU_DEP_2) | instskip(SKIP_1) | instid1(VALU_DEP_2)
	v_or_b32_e32 v85, v86, v85
	v_perm_b32 v86, v93, v92, 0x7030c0c
	v_dot4_i32_iu8 v84, v84, v85, 0 neg_lo:[1,1,0]
	v_perm_b32 v85, v94, v95, 0xc0c0703
	s_delay_alu instid0(VALU_DEP_1) | instskip(SKIP_1) | instid1(VALU_DEP_1)
	v_or_b32_e32 v85, v86, v85
	v_perm_b32 v86, v0, v1, 0xc0c0703
	v_or_b32_e32 v86, v87, v86
	v_perm_b32 v87, v93, v92, 0x4000c0c
	s_delay_alu instid0(VALU_DEP_2) | instskip(SKIP_1) | instid1(VALU_DEP_1)
	v_dot4_i32_iu8 v85, v85, v86, 0 neg_lo:[1,1,0]
	v_perm_b32 v86, v94, v95, 0xc0c0400
	v_or_b32_e32 v86, v87, v86
	v_perm_b32 v87, v0, v1, 0xc0c0400
	s_delay_alu instid0(VALU_DEP_1) | instskip(SKIP_1) | instid1(VALU_DEP_2)
	v_or_b32_e32 v87, v96, v87
	v_perm_b32 v96, v93, v92, 0x6020c0c
	v_dot4_i32_iu8 v86, v86, v87, 0 neg_lo:[1,1,0]
	v_perm_b32 v87, v94, v95, 0xc0c0602
	s_delay_alu instid0(VALU_DEP_1) | instskip(SKIP_1) | instid1(VALU_DEP_1)
	v_or_b32_e32 v87, v96, v87
	v_perm_b32 v96, v0, v1, 0xc0c0602
	v_or_b32_e32 v96, v97, v96
	v_perm_b32 v97, v89, v88, 0x6020c0c
	s_delay_alu instid0(VALU_DEP_2) | instskip(SKIP_1) | instid1(VALU_DEP_1)
	v_dot4_i32_iu8 v87, v87, v96, 0 neg_lo:[1,1,0]
	v_perm_b32 v96, v91, v90, 0xc0c0602
	v_or_b32_e32 v96, v97, v96
	v_perm_b32 v97, v5, v4, 0xc0c0602
	s_delay_alu instid0(VALU_DEP_1) | instskip(SKIP_1) | instid1(VALU_DEP_2)
	v_or_b32_e32 v97, v98, v97
	v_perm_b32 v98, v7, v6, 0x4000c0c
	v_dot4_i32_iu8 v87, v96, v97, v87 neg_lo:[1,1,0]
	v_perm_b32 v96, v91, v90, 0xc0c0400
	v_perm_b32 v97, v89, v88, 0x4000c0c
	s_delay_alu instid0(VALU_DEP_1) | instskip(SKIP_1) | instid1(VALU_DEP_1)
	v_or_b32_e32 v96, v97, v96
	v_perm_b32 v97, v5, v4, 0xc0c0400
	v_or_b32_e32 v97, v98, v97
	v_perm_b32 v98, v7, v6, 0x7030c0c
	s_delay_alu instid0(VALU_DEP_2) | instskip(SKIP_2) | instid1(VALU_DEP_1)
	v_dot4_i32_iu8 v86, v96, v97, v86 neg_lo:[1,1,0]
	v_perm_b32 v96, v91, v90, 0xc0c0703
	v_perm_b32 v97, v89, v88, 0x7030c0c
	v_or_b32_e32 v96, v97, v96
	v_perm_b32 v97, v5, v4, 0xc0c0703
	s_delay_alu instid0(VALU_DEP_1) | instskip(SKIP_1) | instid1(VALU_DEP_2)
	v_or_b32_e32 v97, v98, v97
	v_perm_b32 v98, v7, v6, 0x5010c0c
	v_dot4_i32_iu8 v85, v96, v97, v85 neg_lo:[1,1,0]
	v_perm_b32 v96, v91, v90, 0xc0c0501
	v_perm_b32 v97, v89, v88, 0x5010c0c
	s_delay_alu instid0(VALU_DEP_1) | instskip(SKIP_1) | instid1(VALU_DEP_1)
	v_or_b32_e32 v96, v97, v96
	v_perm_b32 v97, v5, v4, 0xc0c0501
	v_or_b32_e32 v97, v98, v97
	s_delay_alu instid0(VALU_DEP_1) | instskip(NEXT) | instid1(VALU_DEP_1)
	v_dot4_i32_iu8 v84, v96, v97, v84 neg_lo:[1,1,0]
	v_add_nc_u32_e32 v84, v84, v85
	v_mul_f32_e32 v85, v116, v117
	s_delay_alu instid0(VALU_DEP_2) | instskip(NEXT) | instid1(VALU_DEP_1)
	v_add3_u32 v84, v86, v87, v84
	v_cvt_f32_i32_e32 v84, v84
	s_delay_alu instid0(VALU_DEP_1)
	v_mul_f32_e32 v172, v85, v84
	v_add3_u32 v85, s17, v156, v126
	v_add_nc_u32_e32 v84, s16, v161
	ds_load_b32 v166, v85
	ds_load_2addr_b32 v[98:99], v84 offset1:1
	ds_load_2addr_b32 v[100:101], v84 offset0:2 offset1:3
	ds_load_2addr_b32 v[102:103], v84 offset0:4 offset1:5
	ds_load_2addr_b32 v[96:97], v84 offset0:6 offset1:7
	s_wait_dscnt 0x3
	v_dot4_i32_iu8 v85, v0, v98, 0 neg_lo:[1,1,0]
	s_wait_dscnt 0x1
	v_perm_b32 v169, v103, v103, 0x7060100
	s_wait_dscnt 0x0
	v_bfe_i32 v167, v96, 0, 8
	v_dot4_i32_iu8 v84, v1, v99, v85 neg_lo:[1,1,0]
	v_mul_f32_e32 v85, v116, v166
	s_delay_alu instid0(VALU_DEP_2) | instskip(NEXT) | instid1(VALU_DEP_1)
	v_dot4_i32_iu8 v84, v2, v100, v84 neg_lo:[1,1,0]
	v_dot4_i32_iu8 v84, v3, v101, v84 neg_lo:[1,1,0]
	s_delay_alu instid0(VALU_DEP_1) | instskip(NEXT) | instid1(VALU_DEP_1)
	v_dot4_i32_iu8 v84, v4, v102, v84 neg_lo:[1,1,0]
	v_dot4_i32_iu8 v84, v5, v169, v84 neg_lo:[1,1,0]
	s_delay_alu instid0(VALU_DEP_1) | instskip(NEXT) | instid1(VALU_DEP_1)
	;; [unrolled: 3-line block ×3, first 2 shown]
	v_cvt_f32_i32_e32 v84, v84
	v_mul_f32_e32 v176, v85, v84
	v_add3_u32 v85, s17, v157, v127
	v_add_nc_u32_e32 v84, s16, v162
	ds_load_b32 v168, v85
	ds_load_2addr_b32 v[108:109], v84 offset1:1
	ds_load_2addr_b32 v[110:111], v84 offset0:2 offset1:3
	ds_load_2addr_b32 v[112:113], v84 offset0:4 offset1:5
	;; [unrolled: 1-line block ×3, first 2 shown]
	s_wait_dscnt 0x3
	v_dot4_i32_iu8 v85, v0, v108, 0 neg_lo:[1,1,0]
	s_wait_dscnt 0x1
	v_perm_b32 v171, v113, v113, 0x7060100
	s_wait_dscnt 0x0
	v_bfe_i32 v170, v106, 0, 8
	v_dot4_i32_iu8 v84, v1, v109, v85 neg_lo:[1,1,0]
	v_mul_f32_e32 v85, v116, v168
	s_delay_alu instid0(VALU_DEP_2) | instskip(NEXT) | instid1(VALU_DEP_1)
	v_dot4_i32_iu8 v84, v2, v110, v84 neg_lo:[1,1,0]
	v_dot4_i32_iu8 v84, v3, v111, v84 neg_lo:[1,1,0]
	s_delay_alu instid0(VALU_DEP_1) | instskip(NEXT) | instid1(VALU_DEP_1)
	v_dot4_i32_iu8 v84, v4, v112, v84 neg_lo:[1,1,0]
	v_dot4_i32_iu8 v84, v5, v171, v84 neg_lo:[1,1,0]
	s_delay_alu instid0(VALU_DEP_1) | instskip(NEXT) | instid1(VALU_DEP_1)
	;; [unrolled: 3-line block ×3, first 2 shown]
	v_cvt_f32_i32_e32 v84, v84
	v_mul_f32_e32 v178, v85, v84
	v_add3_u32 v85, s17, v158, v128
	v_add_nc_u32_e32 v84, s16, v163
	ds_load_b32 v103, v85
	ds_load_2addr_b32 v[114:115], v84 offset1:1
	ds_load_2addr_b32 v[104:105], v84 offset0:2 offset1:3
	ds_load_2addr_b32 v[86:87], v84 offset0:4 offset1:5
	;; [unrolled: 1-line block ×3, first 2 shown]
	s_wait_dscnt 0x3
	v_dot4_i32_iu8 v0, v0, v114, 0 neg_lo:[1,1,0]
	s_wait_dscnt 0x1
	v_perm_b32 v87, v87, v87, 0x7060100
	s_wait_dscnt 0x0
	v_bfe_i32 v113, v84, 0, 8
	v_dot4_i32_iu8 v0, v1, v115, v0 neg_lo:[1,1,0]
	v_mul_f32_e32 v1, v116, v103
	s_delay_alu instid0(VALU_DEP_2) | instskip(NEXT) | instid1(VALU_DEP_1)
	v_dot4_i32_iu8 v0, v2, v104, v0 neg_lo:[1,1,0]
	v_dot4_i32_iu8 v0, v3, v105, v0 neg_lo:[1,1,0]
	s_delay_alu instid0(VALU_DEP_1) | instskip(SKIP_1) | instid1(VALU_DEP_2)
	v_dot4_i32_iu8 v0, v4, v86, v0 neg_lo:[1,1,0]
	v_add_nc_u32_e32 v4, s11, v51
	v_dot4_i32_iu8 v0, v5, v87, v0 neg_lo:[1,1,0]
	s_delay_alu instid0(VALU_DEP_1) | instskip(NEXT) | instid1(VALU_DEP_1)
	v_dot4_i32_iu8 v0, v6, v84, v0 neg_lo:[1,1,0]
	v_dot4_i32_iu8 v0, v7, v85, v0 neg_lo:[1,1,0]
	s_delay_alu instid0(VALU_DEP_1) | instskip(NEXT) | instid1(VALU_DEP_1)
	v_cvt_f32_i32_e32 v0, v0
	v_dual_mul_f32 v180, v1, v0 :: v_dual_add_nc_u32 v0, s15, v119
	ds_load_b32 v116, v0
	ds_load_b128 v[0:3], v4
	ds_load_b128 v[4:7], v4 offset:16
	s_wait_dscnt 0x1
	v_dot4_i32_iu8 v173, v94, v0, 0 neg_lo:[1,1,0]
	s_wait_dscnt 0x0
	v_perm_b32 v5, v5, v5, 0x7060100
	v_bfe_i32 v175, v6, 0, 8
	v_perm_b32 v6, v6, v6, 0xc030201
	v_dot4_i32_iu8 v173, v95, v1, v173 neg_lo:[1,1,0]
	s_delay_alu instid0(VALU_DEP_1) | instskip(NEXT) | instid1(VALU_DEP_1)
	v_dot4_i32_iu8 v173, v92, v2, v173 neg_lo:[1,1,0]
	v_dot4_i32_iu8 v173, v93, v3, v173 neg_lo:[1,1,0]
	s_delay_alu instid0(VALU_DEP_1) | instskip(NEXT) | instid1(VALU_DEP_1)
	v_dot4_i32_iu8 v173, v90, v4, v173 neg_lo:[1,1,0]
	v_dot4_i32_iu8 v173, v91, v5, v173 neg_lo:[1,1,0]
	s_delay_alu instid0(VALU_DEP_1) | instskip(NEXT) | instid1(VALU_DEP_1)
	v_mad_i32_i24 v173, v165, v175, v173
	v_dot4_i32_iu8 v88, v174, v6, v173 neg_lo:[1,1,0]
	v_mul_f32_e32 v173, v117, v116
	s_delay_alu instid0(VALU_DEP_2) | instskip(NEXT) | instid1(VALU_DEP_1)
	v_dot4_i32_iu8 v88, v89, v7, v88 neg_lo:[1,1,0]
	v_cvt_f32_i32_e32 v88, v88
	s_delay_alu instid0(VALU_DEP_1) | instskip(SKIP_1) | instid1(VALU_DEP_2)
	v_mul_f32_e32 v173, v173, v88
	v_dot4_i32_iu8 v88, v0, v98, 0 neg_lo:[1,1,0]
	v_pk_add_f32 v[40:41], v[40:41], v[172:173]
	s_delay_alu instid0(VALU_DEP_2)
	v_dot4_i32_iu8 v88, v1, v99, v88 neg_lo:[1,1,0]
	v_perm_b32 v173, v96, v96, 0xc030201
	v_mul_f32_e32 v96, v166, v116
	v_perm_b32 v172, v106, v106, 0xc030201
	v_perm_b32 v106, v84, v84, 0xc030201
	v_dot4_i32_iu8 v88, v2, v100, v88 neg_lo:[1,1,0]
	s_delay_alu instid0(VALU_DEP_1) | instskip(NEXT) | instid1(VALU_DEP_1)
	v_dot4_i32_iu8 v88, v3, v101, v88 neg_lo:[1,1,0]
	v_dot4_i32_iu8 v88, v4, v102, v88 neg_lo:[1,1,0]
	s_delay_alu instid0(VALU_DEP_1) | instskip(NEXT) | instid1(VALU_DEP_1)
	v_dot4_i32_iu8 v88, v5, v169, v88 neg_lo:[1,1,0]
	v_mad_i32_i24 v88, v175, v167, v88
	s_delay_alu instid0(VALU_DEP_1) | instskip(NEXT) | instid1(VALU_DEP_1)
	v_dot4_i32_iu8 v88, v6, v173, v88 neg_lo:[1,1,0]
	v_dot4_i32_iu8 v88, v7, v97, v88 neg_lo:[1,1,0]
	s_delay_alu instid0(VALU_DEP_1) | instskip(NEXT) | instid1(VALU_DEP_1)
	v_cvt_f32_i32_e32 v88, v88
	v_mul_f32_e32 v177, v96, v88
	v_dot4_i32_iu8 v88, v0, v108, 0 neg_lo:[1,1,0]
	v_dot4_i32_iu8 v0, v0, v114, 0 neg_lo:[1,1,0]
	v_mul_f32_e32 v96, v168, v116
	s_delay_alu instid0(VALU_DEP_4) | instskip(NEXT) | instid1(VALU_DEP_4)
	v_pk_add_f32 v[36:37], v[36:37], v[176:177]
	v_dot4_i32_iu8 v88, v1, v109, v88 neg_lo:[1,1,0]
	s_delay_alu instid0(VALU_DEP_4) | instskip(SKIP_1) | instid1(VALU_DEP_3)
	v_dot4_i32_iu8 v0, v1, v115, v0 neg_lo:[1,1,0]
	v_mul_f32_e32 v1, v103, v116
	v_dot4_i32_iu8 v88, v2, v110, v88 neg_lo:[1,1,0]
	s_delay_alu instid0(VALU_DEP_3) | instskip(NEXT) | instid1(VALU_DEP_2)
	v_dot4_i32_iu8 v0, v2, v104, v0 neg_lo:[1,1,0]
	v_dot4_i32_iu8 v88, v3, v111, v88 neg_lo:[1,1,0]
	s_delay_alu instid0(VALU_DEP_2) | instskip(NEXT) | instid1(VALU_DEP_2)
	v_dot4_i32_iu8 v0, v3, v105, v0 neg_lo:[1,1,0]
	v_dot4_i32_iu8 v88, v4, v112, v88 neg_lo:[1,1,0]
	s_delay_alu instid0(VALU_DEP_2) | instskip(SKIP_1) | instid1(VALU_DEP_3)
	v_dot4_i32_iu8 v0, v4, v86, v0 neg_lo:[1,1,0]
	v_add_nc_u32_e32 v4, s11, v53
	v_dot4_i32_iu8 v88, v5, v171, v88 neg_lo:[1,1,0]
	s_delay_alu instid0(VALU_DEP_3) | instskip(NEXT) | instid1(VALU_DEP_2)
	v_dot4_i32_iu8 v0, v5, v87, v0 neg_lo:[1,1,0]
	v_mad_i32_i24 v88, v175, v170, v88
	s_delay_alu instid0(VALU_DEP_2) | instskip(NEXT) | instid1(VALU_DEP_2)
	v_mad_i32_i24 v0, v175, v113, v0
	v_dot4_i32_iu8 v88, v6, v172, v88 neg_lo:[1,1,0]
	s_delay_alu instid0(VALU_DEP_2) | instskip(NEXT) | instid1(VALU_DEP_2)
	v_dot4_i32_iu8 v0, v6, v106, v0 neg_lo:[1,1,0]
	v_dot4_i32_iu8 v88, v7, v107, v88 neg_lo:[1,1,0]
	s_delay_alu instid0(VALU_DEP_2) | instskip(NEXT) | instid1(VALU_DEP_2)
	v_dot4_i32_iu8 v0, v7, v85, v0 neg_lo:[1,1,0]
	v_cvt_f32_i32_e32 v88, v88
	s_delay_alu instid0(VALU_DEP_2) | instskip(NEXT) | instid1(VALU_DEP_2)
	v_cvt_f32_i32_e32 v0, v0
	v_mul_f32_e32 v179, v96, v88
	s_delay_alu instid0(VALU_DEP_2)
	v_mul_f32_e32 v181, v1, v0
	v_add_nc_u32_e32 v0, s15, v120
	ds_load_b32 v84, v0
	ds_load_b128 v[0:3], v4
	ds_load_b128 v[4:7], v4 offset:16
	v_pk_add_f32 v[34:35], v[34:35], v[178:179]
	s_wait_dscnt 0x2
	v_mul_f32_e32 v116, v117, v84
	s_wait_dscnt 0x1
	v_dot4_i32_iu8 v88, v94, v0, 0 neg_lo:[1,1,0]
	s_wait_dscnt 0x0
	v_perm_b32 v5, v5, v5, 0x7060100
	v_bfe_i32 v96, v6, 0, 8
	v_perm_b32 v6, v6, v6, 0xc030201
	v_dot4_i32_iu8 v88, v95, v1, v88 neg_lo:[1,1,0]
	s_delay_alu instid0(VALU_DEP_1) | instskip(NEXT) | instid1(VALU_DEP_1)
	v_dot4_i32_iu8 v88, v92, v2, v88 neg_lo:[1,1,0]
	v_dot4_i32_iu8 v88, v93, v3, v88 neg_lo:[1,1,0]
	s_delay_alu instid0(VALU_DEP_1) | instskip(NEXT) | instid1(VALU_DEP_1)
	v_dot4_i32_iu8 v88, v90, v4, v88 neg_lo:[1,1,0]
	v_dot4_i32_iu8 v88, v91, v5, v88 neg_lo:[1,1,0]
	s_delay_alu instid0(VALU_DEP_1) | instskip(NEXT) | instid1(VALU_DEP_1)
	v_mad_i32_i24 v88, v165, v96, v88
	v_dot4_i32_iu8 v88, v174, v6, v88 neg_lo:[1,1,0]
	s_delay_alu instid0(VALU_DEP_1) | instskip(NEXT) | instid1(VALU_DEP_1)
	v_dot4_i32_iu8 v88, v89, v7, v88 neg_lo:[1,1,0]
	v_cvt_f32_i32_e32 v88, v88
	s_delay_alu instid0(VALU_DEP_1) | instskip(SKIP_2) | instid1(VALU_DEP_2)
	v_mul_f32_e32 v176, v116, v88
	v_dot4_i32_iu8 v88, v0, v98, 0 neg_lo:[1,1,0]
	v_mul_f32_e32 v116, v166, v84
	v_dot4_i32_iu8 v88, v1, v99, v88 neg_lo:[1,1,0]
	s_delay_alu instid0(VALU_DEP_1) | instskip(NEXT) | instid1(VALU_DEP_1)
	v_dot4_i32_iu8 v88, v2, v100, v88 neg_lo:[1,1,0]
	v_dot4_i32_iu8 v88, v3, v101, v88 neg_lo:[1,1,0]
	s_delay_alu instid0(VALU_DEP_1) | instskip(NEXT) | instid1(VALU_DEP_1)
	v_dot4_i32_iu8 v88, v4, v102, v88 neg_lo:[1,1,0]
	v_dot4_i32_iu8 v88, v5, v169, v88 neg_lo:[1,1,0]
	s_delay_alu instid0(VALU_DEP_1) | instskip(NEXT) | instid1(VALU_DEP_1)
	v_mad_i32_i24 v88, v96, v167, v88
	v_dot4_i32_iu8 v88, v6, v173, v88 neg_lo:[1,1,0]
	s_delay_alu instid0(VALU_DEP_1) | instskip(NEXT) | instid1(VALU_DEP_1)
	v_dot4_i32_iu8 v88, v7, v97, v88 neg_lo:[1,1,0]
	v_cvt_f32_i32_e32 v88, v88
	s_delay_alu instid0(VALU_DEP_1) | instskip(SKIP_3) | instid1(VALU_DEP_3)
	v_mul_f32_e32 v178, v116, v88
	v_dot4_i32_iu8 v88, v0, v108, 0 neg_lo:[1,1,0]
	v_dot4_i32_iu8 v0, v0, v114, 0 neg_lo:[1,1,0]
	v_mul_f32_e32 v116, v168, v84
	v_dot4_i32_iu8 v88, v1, v109, v88 neg_lo:[1,1,0]
	s_delay_alu instid0(VALU_DEP_3) | instskip(SKIP_1) | instid1(VALU_DEP_3)
	v_dot4_i32_iu8 v0, v1, v115, v0 neg_lo:[1,1,0]
	v_mul_f32_e32 v1, v103, v84
	v_dot4_i32_iu8 v88, v2, v110, v88 neg_lo:[1,1,0]
	s_delay_alu instid0(VALU_DEP_3) | instskip(NEXT) | instid1(VALU_DEP_2)
	v_dot4_i32_iu8 v0, v2, v104, v0 neg_lo:[1,1,0]
	v_dot4_i32_iu8 v88, v3, v111, v88 neg_lo:[1,1,0]
	s_delay_alu instid0(VALU_DEP_2) | instskip(NEXT) | instid1(VALU_DEP_2)
	v_dot4_i32_iu8 v0, v3, v105, v0 neg_lo:[1,1,0]
	v_dot4_i32_iu8 v88, v4, v112, v88 neg_lo:[1,1,0]
	s_delay_alu instid0(VALU_DEP_2) | instskip(SKIP_1) | instid1(VALU_DEP_3)
	v_dot4_i32_iu8 v0, v4, v86, v0 neg_lo:[1,1,0]
	v_add_nc_u32_e32 v4, s11, v55
	v_dot4_i32_iu8 v88, v5, v171, v88 neg_lo:[1,1,0]
	s_delay_alu instid0(VALU_DEP_3) | instskip(NEXT) | instid1(VALU_DEP_2)
	v_dot4_i32_iu8 v0, v5, v87, v0 neg_lo:[1,1,0]
	v_mad_i32_i24 v88, v96, v170, v88
	s_delay_alu instid0(VALU_DEP_2) | instskip(NEXT) | instid1(VALU_DEP_2)
	v_mad_i32_i24 v0, v96, v113, v0
	v_dot4_i32_iu8 v88, v6, v172, v88 neg_lo:[1,1,0]
	s_delay_alu instid0(VALU_DEP_2) | instskip(NEXT) | instid1(VALU_DEP_2)
	v_dot4_i32_iu8 v0, v6, v106, v0 neg_lo:[1,1,0]
	v_dot4_i32_iu8 v88, v7, v107, v88 neg_lo:[1,1,0]
	s_delay_alu instid0(VALU_DEP_2) | instskip(NEXT) | instid1(VALU_DEP_2)
	v_dot4_i32_iu8 v0, v7, v85, v0 neg_lo:[1,1,0]
	v_cvt_f32_i32_e32 v88, v88
	s_delay_alu instid0(VALU_DEP_2) | instskip(NEXT) | instid1(VALU_DEP_1)
	v_cvt_f32_i32_e32 v0, v0
	v_dual_mul_f32 v182, v1, v0 :: v_dual_add_nc_u32 v0, s15, v121
	ds_load_b32 v84, v0
	ds_load_b128 v[0:3], v4
	ds_load_b128 v[4:7], v4 offset:16
	v_pk_add_f32 v[32:33], v[32:33], v[180:181]
	v_mul_f32_e32 v180, v116, v88
	s_wait_dscnt 0x2
	v_mul_f32_e32 v116, v117, v84
	s_wait_dscnt 0x1
	v_dot4_i32_iu8 v88, v94, v0, 0 neg_lo:[1,1,0]
	s_wait_dscnt 0x0
	v_perm_b32 v5, v5, v5, 0x7060100
	v_bfe_i32 v96, v6, 0, 8
	v_perm_b32 v6, v6, v6, 0xc030201
	v_dot4_i32_iu8 v88, v95, v1, v88 neg_lo:[1,1,0]
	s_delay_alu instid0(VALU_DEP_1) | instskip(NEXT) | instid1(VALU_DEP_1)
	v_dot4_i32_iu8 v88, v92, v2, v88 neg_lo:[1,1,0]
	v_dot4_i32_iu8 v88, v93, v3, v88 neg_lo:[1,1,0]
	s_delay_alu instid0(VALU_DEP_1) | instskip(NEXT) | instid1(VALU_DEP_1)
	v_dot4_i32_iu8 v88, v90, v4, v88 neg_lo:[1,1,0]
	v_dot4_i32_iu8 v88, v91, v5, v88 neg_lo:[1,1,0]
	s_delay_alu instid0(VALU_DEP_1) | instskip(NEXT) | instid1(VALU_DEP_1)
	v_mad_i32_i24 v88, v165, v96, v88
	v_dot4_i32_iu8 v88, v174, v6, v88 neg_lo:[1,1,0]
	s_delay_alu instid0(VALU_DEP_1) | instskip(NEXT) | instid1(VALU_DEP_1)
	v_dot4_i32_iu8 v88, v89, v7, v88 neg_lo:[1,1,0]
	v_cvt_f32_i32_e32 v88, v88
	s_delay_alu instid0(VALU_DEP_1) | instskip(SKIP_2) | instid1(VALU_DEP_3)
	v_mul_f32_e32 v177, v116, v88
	v_dot4_i32_iu8 v88, v0, v98, 0 neg_lo:[1,1,0]
	v_mul_f32_e32 v116, v166, v84
	v_pk_add_f32 v[30:31], v[30:31], v[176:177]
	s_delay_alu instid0(VALU_DEP_3) | instskip(NEXT) | instid1(VALU_DEP_1)
	v_dot4_i32_iu8 v88, v1, v99, v88 neg_lo:[1,1,0]
	v_dot4_i32_iu8 v88, v2, v100, v88 neg_lo:[1,1,0]
	s_delay_alu instid0(VALU_DEP_1) | instskip(NEXT) | instid1(VALU_DEP_1)
	v_dot4_i32_iu8 v88, v3, v101, v88 neg_lo:[1,1,0]
	v_dot4_i32_iu8 v88, v4, v102, v88 neg_lo:[1,1,0]
	s_delay_alu instid0(VALU_DEP_1) | instskip(NEXT) | instid1(VALU_DEP_1)
	v_dot4_i32_iu8 v88, v5, v169, v88 neg_lo:[1,1,0]
	v_mad_i32_i24 v88, v96, v167, v88
	s_delay_alu instid0(VALU_DEP_1) | instskip(NEXT) | instid1(VALU_DEP_1)
	v_dot4_i32_iu8 v88, v6, v173, v88 neg_lo:[1,1,0]
	v_dot4_i32_iu8 v88, v7, v97, v88 neg_lo:[1,1,0]
	s_delay_alu instid0(VALU_DEP_1) | instskip(NEXT) | instid1(VALU_DEP_1)
	v_cvt_f32_i32_e32 v88, v88
	v_mul_f32_e32 v179, v116, v88
	v_dot4_i32_iu8 v88, v0, v108, 0 neg_lo:[1,1,0]
	v_dot4_i32_iu8 v0, v0, v114, 0 neg_lo:[1,1,0]
	v_mul_f32_e32 v116, v168, v84
	s_delay_alu instid0(VALU_DEP_3) | instskip(NEXT) | instid1(VALU_DEP_3)
	v_dot4_i32_iu8 v88, v1, v109, v88 neg_lo:[1,1,0]
	v_dot4_i32_iu8 v0, v1, v115, v0 neg_lo:[1,1,0]
	v_mul_f32_e32 v1, v103, v84
	s_delay_alu instid0(VALU_DEP_3) | instskip(NEXT) | instid1(VALU_DEP_3)
	v_dot4_i32_iu8 v88, v2, v110, v88 neg_lo:[1,1,0]
	v_dot4_i32_iu8 v0, v2, v104, v0 neg_lo:[1,1,0]
	s_delay_alu instid0(VALU_DEP_2) | instskip(NEXT) | instid1(VALU_DEP_2)
	v_dot4_i32_iu8 v88, v3, v111, v88 neg_lo:[1,1,0]
	v_dot4_i32_iu8 v0, v3, v105, v0 neg_lo:[1,1,0]
	s_delay_alu instid0(VALU_DEP_2) | instskip(NEXT) | instid1(VALU_DEP_2)
	v_dot4_i32_iu8 v88, v4, v112, v88 neg_lo:[1,1,0]
	v_dot4_i32_iu8 v0, v4, v86, v0 neg_lo:[1,1,0]
	v_add_nc_u32_e32 v4, s11, v57
	s_delay_alu instid0(VALU_DEP_3) | instskip(NEXT) | instid1(VALU_DEP_3)
	v_dot4_i32_iu8 v88, v5, v171, v88 neg_lo:[1,1,0]
	v_dot4_i32_iu8 v0, v5, v87, v0 neg_lo:[1,1,0]
	s_delay_alu instid0(VALU_DEP_2) | instskip(NEXT) | instid1(VALU_DEP_2)
	v_mad_i32_i24 v88, v96, v170, v88
	v_mad_i32_i24 v0, v96, v113, v0
	s_delay_alu instid0(VALU_DEP_2) | instskip(NEXT) | instid1(VALU_DEP_2)
	v_dot4_i32_iu8 v88, v6, v172, v88 neg_lo:[1,1,0]
	v_dot4_i32_iu8 v0, v6, v106, v0 neg_lo:[1,1,0]
	s_delay_alu instid0(VALU_DEP_2) | instskip(NEXT) | instid1(VALU_DEP_2)
	v_dot4_i32_iu8 v88, v7, v107, v88 neg_lo:[1,1,0]
	v_dot4_i32_iu8 v0, v7, v85, v0 neg_lo:[1,1,0]
	s_delay_alu instid0(VALU_DEP_2) | instskip(NEXT) | instid1(VALU_DEP_2)
	v_cvt_f32_i32_e32 v88, v88
	v_cvt_f32_i32_e32 v0, v0
	s_delay_alu instid0(VALU_DEP_2) | instskip(NEXT) | instid1(VALU_DEP_2)
	v_mul_f32_e32 v181, v116, v88
	v_dual_mul_f32 v183, v1, v0 :: v_dual_add_nc_u32 v0, s15, v122
	ds_load_b32 v84, v0
	ds_load_b128 v[0:3], v4
	ds_load_b128 v[4:7], v4 offset:16
	v_pk_add_f32 v[28:29], v[28:29], v[178:179]
	v_pk_add_f32 v[24:25], v[24:25], v[182:183]
	;; [unrolled: 1-line block ×3, first 2 shown]
	s_wait_dscnt 0x2
	v_mul_f32_e32 v116, v117, v84
	s_wait_dscnt 0x1
	v_dot4_i32_iu8 v88, v94, v0, 0 neg_lo:[1,1,0]
	s_wait_dscnt 0x0
	v_perm_b32 v5, v5, v5, 0x7060100
	v_bfe_i32 v96, v6, 0, 8
	v_perm_b32 v6, v6, v6, 0xc030201
	v_dot4_i32_iu8 v88, v95, v1, v88 neg_lo:[1,1,0]
	s_delay_alu instid0(VALU_DEP_1) | instskip(NEXT) | instid1(VALU_DEP_1)
	v_dot4_i32_iu8 v88, v92, v2, v88 neg_lo:[1,1,0]
	v_dot4_i32_iu8 v88, v93, v3, v88 neg_lo:[1,1,0]
	s_delay_alu instid0(VALU_DEP_1) | instskip(NEXT) | instid1(VALU_DEP_1)
	v_dot4_i32_iu8 v88, v90, v4, v88 neg_lo:[1,1,0]
	v_dot4_i32_iu8 v88, v91, v5, v88 neg_lo:[1,1,0]
	s_delay_alu instid0(VALU_DEP_1) | instskip(NEXT) | instid1(VALU_DEP_1)
	v_mad_i32_i24 v88, v165, v96, v88
	v_dot4_i32_iu8 v88, v174, v6, v88 neg_lo:[1,1,0]
	s_delay_alu instid0(VALU_DEP_1) | instskip(NEXT) | instid1(VALU_DEP_1)
	v_dot4_i32_iu8 v88, v89, v7, v88 neg_lo:[1,1,0]
	v_cvt_f32_i32_e32 v88, v88
	s_delay_alu instid0(VALU_DEP_1) | instskip(SKIP_2) | instid1(VALU_DEP_2)
	v_mul_f32_e32 v176, v116, v88
	v_dot4_i32_iu8 v88, v0, v98, 0 neg_lo:[1,1,0]
	v_mul_f32_e32 v116, v166, v84
	v_dot4_i32_iu8 v88, v1, v99, v88 neg_lo:[1,1,0]
	s_delay_alu instid0(VALU_DEP_1) | instskip(NEXT) | instid1(VALU_DEP_1)
	v_dot4_i32_iu8 v88, v2, v100, v88 neg_lo:[1,1,0]
	v_dot4_i32_iu8 v88, v3, v101, v88 neg_lo:[1,1,0]
	s_delay_alu instid0(VALU_DEP_1) | instskip(NEXT) | instid1(VALU_DEP_1)
	v_dot4_i32_iu8 v88, v4, v102, v88 neg_lo:[1,1,0]
	v_dot4_i32_iu8 v88, v5, v169, v88 neg_lo:[1,1,0]
	s_delay_alu instid0(VALU_DEP_1) | instskip(NEXT) | instid1(VALU_DEP_1)
	v_mad_i32_i24 v88, v96, v167, v88
	v_dot4_i32_iu8 v88, v6, v173, v88 neg_lo:[1,1,0]
	s_delay_alu instid0(VALU_DEP_1) | instskip(NEXT) | instid1(VALU_DEP_1)
	v_dot4_i32_iu8 v88, v7, v97, v88 neg_lo:[1,1,0]
	v_cvt_f32_i32_e32 v88, v88
	s_delay_alu instid0(VALU_DEP_1) | instskip(SKIP_3) | instid1(VALU_DEP_3)
	v_mul_f32_e32 v178, v116, v88
	v_dot4_i32_iu8 v88, v0, v108, 0 neg_lo:[1,1,0]
	v_dot4_i32_iu8 v0, v0, v114, 0 neg_lo:[1,1,0]
	v_mul_f32_e32 v116, v168, v84
	v_dot4_i32_iu8 v88, v1, v109, v88 neg_lo:[1,1,0]
	s_delay_alu instid0(VALU_DEP_3) | instskip(SKIP_1) | instid1(VALU_DEP_3)
	v_dot4_i32_iu8 v0, v1, v115, v0 neg_lo:[1,1,0]
	v_mul_f32_e32 v1, v103, v84
	v_dot4_i32_iu8 v88, v2, v110, v88 neg_lo:[1,1,0]
	s_delay_alu instid0(VALU_DEP_3) | instskip(NEXT) | instid1(VALU_DEP_2)
	v_dot4_i32_iu8 v0, v2, v104, v0 neg_lo:[1,1,0]
	v_dot4_i32_iu8 v88, v3, v111, v88 neg_lo:[1,1,0]
	s_delay_alu instid0(VALU_DEP_2) | instskip(NEXT) | instid1(VALU_DEP_2)
	v_dot4_i32_iu8 v0, v3, v105, v0 neg_lo:[1,1,0]
	v_dot4_i32_iu8 v88, v4, v112, v88 neg_lo:[1,1,0]
	s_delay_alu instid0(VALU_DEP_2) | instskip(SKIP_1) | instid1(VALU_DEP_3)
	v_dot4_i32_iu8 v0, v4, v86, v0 neg_lo:[1,1,0]
	v_add_nc_u32_e32 v4, s11, v59
	v_dot4_i32_iu8 v88, v5, v171, v88 neg_lo:[1,1,0]
	s_delay_alu instid0(VALU_DEP_3) | instskip(NEXT) | instid1(VALU_DEP_2)
	v_dot4_i32_iu8 v0, v5, v87, v0 neg_lo:[1,1,0]
	v_mad_i32_i24 v88, v96, v170, v88
	s_delay_alu instid0(VALU_DEP_2) | instskip(NEXT) | instid1(VALU_DEP_2)
	v_mad_i32_i24 v0, v96, v113, v0
	v_dot4_i32_iu8 v88, v6, v172, v88 neg_lo:[1,1,0]
	s_delay_alu instid0(VALU_DEP_2) | instskip(NEXT) | instid1(VALU_DEP_2)
	v_dot4_i32_iu8 v0, v6, v106, v0 neg_lo:[1,1,0]
	v_dot4_i32_iu8 v88, v7, v107, v88 neg_lo:[1,1,0]
	s_delay_alu instid0(VALU_DEP_2) | instskip(NEXT) | instid1(VALU_DEP_2)
	v_dot4_i32_iu8 v0, v7, v85, v0 neg_lo:[1,1,0]
	v_cvt_f32_i32_e32 v88, v88
	s_delay_alu instid0(VALU_DEP_2) | instskip(NEXT) | instid1(VALU_DEP_2)
	v_cvt_f32_i32_e32 v0, v0
	v_mul_f32_e32 v180, v116, v88
	s_delay_alu instid0(VALU_DEP_2)
	v_dual_mul_f32 v182, v1, v0 :: v_dual_add_nc_u32 v0, s15, v123
	ds_load_b32 v84, v0
	ds_load_b128 v[0:3], v4
	ds_load_b128 v[4:7], v4 offset:16
	s_wait_dscnt 0x2
	v_mul_f32_e32 v116, v117, v84
	s_wait_dscnt 0x1
	v_dot4_i32_iu8 v88, v94, v0, 0 neg_lo:[1,1,0]
	s_wait_dscnt 0x0
	v_perm_b32 v5, v5, v5, 0x7060100
	v_bfe_i32 v96, v6, 0, 8
	v_perm_b32 v6, v6, v6, 0xc030201
	v_dot4_i32_iu8 v88, v95, v1, v88 neg_lo:[1,1,0]
	s_delay_alu instid0(VALU_DEP_1) | instskip(NEXT) | instid1(VALU_DEP_1)
	v_dot4_i32_iu8 v88, v92, v2, v88 neg_lo:[1,1,0]
	v_dot4_i32_iu8 v88, v93, v3, v88 neg_lo:[1,1,0]
	s_delay_alu instid0(VALU_DEP_1) | instskip(NEXT) | instid1(VALU_DEP_1)
	v_dot4_i32_iu8 v88, v90, v4, v88 neg_lo:[1,1,0]
	v_dot4_i32_iu8 v88, v91, v5, v88 neg_lo:[1,1,0]
	s_delay_alu instid0(VALU_DEP_1) | instskip(NEXT) | instid1(VALU_DEP_1)
	v_mad_i32_i24 v88, v165, v96, v88
	v_dot4_i32_iu8 v88, v174, v6, v88 neg_lo:[1,1,0]
	s_delay_alu instid0(VALU_DEP_1) | instskip(NEXT) | instid1(VALU_DEP_1)
	v_dot4_i32_iu8 v88, v89, v7, v88 neg_lo:[1,1,0]
	v_cvt_f32_i32_e32 v88, v88
	s_delay_alu instid0(VALU_DEP_1) | instskip(SKIP_2) | instid1(VALU_DEP_3)
	v_mul_f32_e32 v177, v116, v88
	v_dot4_i32_iu8 v88, v0, v98, 0 neg_lo:[1,1,0]
	v_mul_f32_e32 v116, v166, v84
	v_pk_add_f32 v[22:23], v[22:23], v[176:177]
	s_delay_alu instid0(VALU_DEP_3) | instskip(NEXT) | instid1(VALU_DEP_1)
	v_dot4_i32_iu8 v88, v1, v99, v88 neg_lo:[1,1,0]
	v_dot4_i32_iu8 v88, v2, v100, v88 neg_lo:[1,1,0]
	s_delay_alu instid0(VALU_DEP_1) | instskip(NEXT) | instid1(VALU_DEP_1)
	v_dot4_i32_iu8 v88, v3, v101, v88 neg_lo:[1,1,0]
	v_dot4_i32_iu8 v88, v4, v102, v88 neg_lo:[1,1,0]
	s_delay_alu instid0(VALU_DEP_1) | instskip(NEXT) | instid1(VALU_DEP_1)
	v_dot4_i32_iu8 v88, v5, v169, v88 neg_lo:[1,1,0]
	v_mad_i32_i24 v88, v96, v167, v88
	s_delay_alu instid0(VALU_DEP_1) | instskip(NEXT) | instid1(VALU_DEP_1)
	v_dot4_i32_iu8 v88, v6, v173, v88 neg_lo:[1,1,0]
	v_dot4_i32_iu8 v88, v7, v97, v88 neg_lo:[1,1,0]
	s_delay_alu instid0(VALU_DEP_1) | instskip(NEXT) | instid1(VALU_DEP_1)
	v_cvt_f32_i32_e32 v88, v88
	v_mul_f32_e32 v179, v116, v88
	v_dot4_i32_iu8 v88, v0, v108, 0 neg_lo:[1,1,0]
	v_dot4_i32_iu8 v0, v0, v114, 0 neg_lo:[1,1,0]
	v_mul_f32_e32 v116, v168, v84
	s_delay_alu instid0(VALU_DEP_3) | instskip(NEXT) | instid1(VALU_DEP_3)
	v_dot4_i32_iu8 v88, v1, v109, v88 neg_lo:[1,1,0]
	v_dot4_i32_iu8 v0, v1, v115, v0 neg_lo:[1,1,0]
	v_mul_f32_e32 v1, v103, v84
	s_delay_alu instid0(VALU_DEP_3) | instskip(NEXT) | instid1(VALU_DEP_3)
	v_dot4_i32_iu8 v88, v2, v110, v88 neg_lo:[1,1,0]
	v_dot4_i32_iu8 v0, v2, v104, v0 neg_lo:[1,1,0]
	s_delay_alu instid0(VALU_DEP_2) | instskip(NEXT) | instid1(VALU_DEP_2)
	v_dot4_i32_iu8 v88, v3, v111, v88 neg_lo:[1,1,0]
	v_dot4_i32_iu8 v0, v3, v105, v0 neg_lo:[1,1,0]
	s_delay_alu instid0(VALU_DEP_2) | instskip(NEXT) | instid1(VALU_DEP_2)
	v_dot4_i32_iu8 v88, v4, v112, v88 neg_lo:[1,1,0]
	v_dot4_i32_iu8 v0, v4, v86, v0 neg_lo:[1,1,0]
	v_add_nc_u32_e32 v4, s11, v79
	s_delay_alu instid0(VALU_DEP_3) | instskip(NEXT) | instid1(VALU_DEP_3)
	v_dot4_i32_iu8 v88, v5, v171, v88 neg_lo:[1,1,0]
	v_dot4_i32_iu8 v0, v5, v87, v0 neg_lo:[1,1,0]
	s_delay_alu instid0(VALU_DEP_2) | instskip(NEXT) | instid1(VALU_DEP_2)
	v_mad_i32_i24 v88, v96, v170, v88
	v_mad_i32_i24 v0, v96, v113, v0
	s_delay_alu instid0(VALU_DEP_2) | instskip(NEXT) | instid1(VALU_DEP_2)
	v_dot4_i32_iu8 v88, v6, v172, v88 neg_lo:[1,1,0]
	v_dot4_i32_iu8 v0, v6, v106, v0 neg_lo:[1,1,0]
	s_delay_alu instid0(VALU_DEP_2) | instskip(NEXT) | instid1(VALU_DEP_2)
	v_dot4_i32_iu8 v88, v7, v107, v88 neg_lo:[1,1,0]
	v_dot4_i32_iu8 v0, v7, v85, v0 neg_lo:[1,1,0]
	s_delay_alu instid0(VALU_DEP_2) | instskip(NEXT) | instid1(VALU_DEP_2)
	v_cvt_f32_i32_e32 v88, v88
	v_cvt_f32_i32_e32 v0, v0
	s_delay_alu instid0(VALU_DEP_1)
	v_mul_f32_e32 v183, v1, v0
	v_add_nc_u32_e32 v0, s15, v124
	ds_load_b32 v84, v0
	ds_load_b128 v[0:3], v4
	ds_load_b128 v[4:7], v4 offset:16
	s_wait_dscnt 0x2
	v_mul_f32_e32 v176, v168, v84
	v_mul_f32_e32 v181, v116, v88
	s_wait_dscnt 0x1
	v_dot4_i32_iu8 v88, v94, v0, 0 neg_lo:[1,1,0]
	s_wait_dscnt 0x0
	v_perm_b32 v5, v5, v5, 0x7060100
	v_bfe_i32 v175, v6, 0, 8
	v_perm_b32 v6, v6, v6, 0xc030201
	v_mul_f32_e32 v96, v117, v84
	v_dot4_i32_iu8 v88, v95, v1, v88 neg_lo:[1,1,0]
	v_pk_add_f32 v[20:21], v[20:21], v[178:179]
	v_pk_add_f32 v[18:19], v[18:19], v[180:181]
	s_delay_alu instid0(VALU_DEP_3) | instskip(NEXT) | instid1(VALU_DEP_1)
	v_dot4_i32_iu8 v88, v92, v2, v88 neg_lo:[1,1,0]
	v_dot4_i32_iu8 v88, v93, v3, v88 neg_lo:[1,1,0]
	s_delay_alu instid0(VALU_DEP_1) | instskip(NEXT) | instid1(VALU_DEP_1)
	v_dot4_i32_iu8 v88, v90, v4, v88 neg_lo:[1,1,0]
	v_dot4_i32_iu8 v88, v91, v5, v88 neg_lo:[1,1,0]
	s_delay_alu instid0(VALU_DEP_1) | instskip(NEXT) | instid1(VALU_DEP_1)
	v_mad_i32_i24 v88, v165, v175, v88
	v_dot4_i32_iu8 v88, v174, v6, v88 neg_lo:[1,1,0]
	s_delay_alu instid0(VALU_DEP_1) | instskip(NEXT) | instid1(VALU_DEP_1)
	v_dot4_i32_iu8 v88, v89, v7, v88 neg_lo:[1,1,0]
	v_cvt_f32_i32_e32 v88, v88
	s_delay_alu instid0(VALU_DEP_1) | instskip(SKIP_2) | instid1(VALU_DEP_2)
	v_mul_f32_e32 v116, v96, v88
	v_dot4_i32_iu8 v88, v0, v98, 0 neg_lo:[1,1,0]
	v_mul_f32_e32 v96, v166, v84
	v_dot4_i32_iu8 v88, v1, v99, v88 neg_lo:[1,1,0]
	s_delay_alu instid0(VALU_DEP_1) | instskip(NEXT) | instid1(VALU_DEP_1)
	v_dot4_i32_iu8 v88, v2, v100, v88 neg_lo:[1,1,0]
	v_dot4_i32_iu8 v88, v3, v101, v88 neg_lo:[1,1,0]
	s_delay_alu instid0(VALU_DEP_1) | instskip(NEXT) | instid1(VALU_DEP_1)
	v_dot4_i32_iu8 v88, v4, v102, v88 neg_lo:[1,1,0]
	v_dot4_i32_iu8 v88, v5, v169, v88 neg_lo:[1,1,0]
	s_delay_alu instid0(VALU_DEP_1) | instskip(NEXT) | instid1(VALU_DEP_1)
	v_mad_i32_i24 v88, v175, v167, v88
	v_dot4_i32_iu8 v88, v6, v173, v88 neg_lo:[1,1,0]
	s_delay_alu instid0(VALU_DEP_1) | instskip(NEXT) | instid1(VALU_DEP_1)
	v_dot4_i32_iu8 v88, v7, v97, v88 neg_lo:[1,1,0]
	v_cvt_f32_i32_e32 v88, v88
	s_delay_alu instid0(VALU_DEP_1) | instskip(SKIP_2) | instid1(VALU_DEP_2)
	v_mul_f32_e32 v96, v96, v88
	v_dot4_i32_iu8 v88, v0, v108, 0 neg_lo:[1,1,0]
	v_dot4_i32_iu8 v0, v0, v114, 0 neg_lo:[1,1,0]
	;; [unrolled: 1-line block ×3, first 2 shown]
	s_delay_alu instid0(VALU_DEP_2) | instskip(SKIP_1) | instid1(VALU_DEP_3)
	v_dot4_i32_iu8 v0, v1, v115, v0 neg_lo:[1,1,0]
	v_mul_f32_e32 v1, v103, v84
	v_dot4_i32_iu8 v88, v2, v110, v88 neg_lo:[1,1,0]
	s_delay_alu instid0(VALU_DEP_3) | instskip(NEXT) | instid1(VALU_DEP_2)
	v_dot4_i32_iu8 v0, v2, v104, v0 neg_lo:[1,1,0]
	v_dot4_i32_iu8 v88, v3, v111, v88 neg_lo:[1,1,0]
	s_delay_alu instid0(VALU_DEP_2) | instskip(NEXT) | instid1(VALU_DEP_2)
	v_dot4_i32_iu8 v0, v3, v105, v0 neg_lo:[1,1,0]
	v_dot4_i32_iu8 v88, v4, v112, v88 neg_lo:[1,1,0]
	s_delay_alu instid0(VALU_DEP_2) | instskip(NEXT) | instid1(VALU_DEP_2)
	;; [unrolled: 3-line block ×3, first 2 shown]
	v_dot4_i32_iu8 v0, v5, v87, v0 neg_lo:[1,1,0]
	v_mad_i32_i24 v88, v175, v170, v88
	s_delay_alu instid0(VALU_DEP_2) | instskip(NEXT) | instid1(VALU_DEP_2)
	v_mad_i32_i24 v0, v175, v113, v0
	v_dot4_i32_iu8 v88, v6, v172, v88 neg_lo:[1,1,0]
	s_delay_alu instid0(VALU_DEP_2) | instskip(NEXT) | instid1(VALU_DEP_2)
	v_dot4_i32_iu8 v0, v6, v106, v0 neg_lo:[1,1,0]
	v_dot4_i32_iu8 v88, v7, v107, v88 neg_lo:[1,1,0]
	s_delay_alu instid0(VALU_DEP_2) | instskip(NEXT) | instid1(VALU_DEP_2)
	v_dot4_i32_iu8 v0, v7, v85, v0 neg_lo:[1,1,0]
	v_cvt_f32_i32_e32 v88, v88
	s_delay_alu instid0(VALU_DEP_2) | instskip(NEXT) | instid1(VALU_DEP_2)
	v_cvt_f32_i32_e32 v0, v0
	v_mul_f32_e32 v88, v176, v88
	s_delay_alu instid0(VALU_DEP_2)
	v_dual_mul_f32 v84, v1, v0 :: v_dual_add_nc_u32 v1, s15, v125
	v_add_nc_u32_e32 v0, s11, v118
	ds_load_b32 v175, v1
	ds_load_b128 v[4:7], v0
	ds_load_b128 v[0:3], v0 offset:16
	v_pk_add_f32 v[16:17], v[16:17], v[182:183]
	s_add_co_i32 s11, s10, 8
	s_cmp_lt_u32 s10, 24
	s_mov_b32 s10, s11
	s_wait_dscnt 0x1
	v_dot4_i32_iu8 v94, v94, v4, 0 neg_lo:[1,1,0]
	s_wait_dscnt 0x0
	v_perm_b32 v1, v1, v1, 0x7060100
	v_bfe_i32 v176, v2, 0, 8
	v_perm_b32 v2, v2, v2, 0xc030201
	v_dot4_i32_iu8 v94, v95, v5, v94 neg_lo:[1,1,0]
	s_delay_alu instid0(VALU_DEP_1) | instskip(NEXT) | instid1(VALU_DEP_1)
	v_dot4_i32_iu8 v92, v92, v6, v94 neg_lo:[1,1,0]
	v_dot4_i32_iu8 v92, v93, v7, v92 neg_lo:[1,1,0]
	s_delay_alu instid0(VALU_DEP_1) | instskip(NEXT) | instid1(VALU_DEP_1)
	v_dot4_i32_iu8 v90, v90, v0, v92 neg_lo:[1,1,0]
	v_dot4_i32_iu8 v90, v91, v1, v90 neg_lo:[1,1,0]
	s_delay_alu instid0(VALU_DEP_1) | instskip(NEXT) | instid1(VALU_DEP_1)
	v_mad_i32_i24 v90, v165, v176, v90
	v_dot4_i32_iu8 v90, v174, v2, v90 neg_lo:[1,1,0]
	s_delay_alu instid0(VALU_DEP_1) | instskip(SKIP_1) | instid1(VALU_DEP_2)
	v_dot4_i32_iu8 v89, v89, v3, v90 neg_lo:[1,1,0]
	v_mul_f32_e32 v90, v117, v175
	v_cvt_f32_i32_e32 v89, v89
	s_delay_alu instid0(VALU_DEP_1) | instskip(SKIP_2) | instid1(VALU_DEP_2)
	v_mul_f32_e32 v117, v90, v89
	v_dot4_i32_iu8 v89, v4, v98, 0 neg_lo:[1,1,0]
	v_mul_f32_e32 v90, v166, v175
	v_dot4_i32_iu8 v89, v5, v99, v89 neg_lo:[1,1,0]
	s_delay_alu instid0(VALU_DEP_1) | instskip(NEXT) | instid1(VALU_DEP_1)
	v_dot4_i32_iu8 v89, v6, v100, v89 neg_lo:[1,1,0]
	v_dot4_i32_iu8 v89, v7, v101, v89 neg_lo:[1,1,0]
	s_delay_alu instid0(VALU_DEP_1) | instskip(NEXT) | instid1(VALU_DEP_1)
	v_dot4_i32_iu8 v89, v0, v102, v89 neg_lo:[1,1,0]
	v_dot4_i32_iu8 v89, v1, v169, v89 neg_lo:[1,1,0]
	s_delay_alu instid0(VALU_DEP_1) | instskip(NEXT) | instid1(VALU_DEP_1)
	v_mad_i32_i24 v89, v176, v167, v89
	v_dot4_i32_iu8 v89, v2, v173, v89 neg_lo:[1,1,0]
	s_delay_alu instid0(VALU_DEP_1) | instskip(NEXT) | instid1(VALU_DEP_1)
	v_dot4_i32_iu8 v89, v3, v97, v89 neg_lo:[1,1,0]
	v_cvt_f32_i32_e32 v89, v89
	s_delay_alu instid0(VALU_DEP_1) | instskip(SKIP_3) | instid1(VALU_DEP_4)
	v_mul_f32_e32 v97, v90, v89
	v_dot4_i32_iu8 v89, v4, v108, 0 neg_lo:[1,1,0]
	v_dot4_i32_iu8 v4, v4, v114, 0 neg_lo:[1,1,0]
	v_pk_add_f32 v[14:15], v[14:15], v[116:117]
	v_pk_add_f32 v[12:13], v[12:13], v[96:97]
	s_delay_alu instid0(VALU_DEP_4) | instskip(NEXT) | instid1(VALU_DEP_4)
	v_dot4_i32_iu8 v89, v5, v109, v89 neg_lo:[1,1,0]
	v_dot4_i32_iu8 v4, v5, v115, v4 neg_lo:[1,1,0]
	s_delay_alu instid0(VALU_DEP_2) | instskip(NEXT) | instid1(VALU_DEP_2)
	v_dot4_i32_iu8 v89, v6, v110, v89 neg_lo:[1,1,0]
	v_dot4_i32_iu8 v4, v6, v104, v4 neg_lo:[1,1,0]
	s_delay_alu instid0(VALU_DEP_2) | instskip(NEXT) | instid1(VALU_DEP_2)
	;; [unrolled: 3-line block ×4, first 2 shown]
	v_dot4_i32_iu8 v89, v1, v171, v89 neg_lo:[1,1,0]
	v_dot4_i32_iu8 v0, v1, v87, v0 neg_lo:[1,1,0]
	v_mul_f32_e32 v1, v103, v175
	s_delay_alu instid0(VALU_DEP_3) | instskip(NEXT) | instid1(VALU_DEP_3)
	v_mad_i32_i24 v89, v176, v170, v89
	v_mad_i32_i24 v0, v176, v113, v0
	s_delay_alu instid0(VALU_DEP_2) | instskip(NEXT) | instid1(VALU_DEP_2)
	v_dot4_i32_iu8 v89, v2, v172, v89 neg_lo:[1,1,0]
	v_dot4_i32_iu8 v0, v2, v106, v0 neg_lo:[1,1,0]
	s_delay_alu instid0(VALU_DEP_2) | instskip(NEXT) | instid1(VALU_DEP_2)
	v_dot4_i32_iu8 v89, v3, v107, v89 neg_lo:[1,1,0]
	v_dot4_i32_iu8 v0, v3, v85, v0 neg_lo:[1,1,0]
	s_delay_alu instid0(VALU_DEP_2) | instskip(NEXT) | instid1(VALU_DEP_2)
	v_cvt_f32_i32_e32 v89, v89
	v_cvt_f32_i32_e32 v0, v0
	s_delay_alu instid0(VALU_DEP_1) | instskip(NEXT) | instid1(VALU_DEP_1)
	v_dual_mul_f32 v90, v168, v175 :: v_dual_mul_f32 v85, v1, v0
	v_mul_f32_e32 v89, v90, v89
	s_delay_alu instid0(VALU_DEP_2) | instskip(NEXT) | instid1(VALU_DEP_2)
	v_pk_add_f32 v[8:9], v[8:9], v[84:85]
	v_pk_add_f32 v[10:11], v[10:11], v[88:89]
	s_cbranch_scc1 .LBB126_6
; %bb.7:                                ;   in Loop: Header=BB126_5 Depth=1
	s_add_co_i32 s4, s4, 4
	s_delay_alu instid0(SALU_CYCLE_1)
	s_cmp_ge_i32 s4, s7
	s_barrier_signal -1
	s_barrier_wait -1
	s_cbranch_scc0 .LBB126_5
; %bb.8:
	v_dual_mov_b32 v1, v43 :: v_dual_mov_b32 v2, v45
.LBB126_9:
	s_wait_xcnt 0x0
	s_mov_b32 s0, exec_lo
	v_cmpx_gt_u32_e64 s6, v47
	s_cbranch_execz .LBB126_60
; %bb.10:
	v_mul_lo_u32 v5, v47, s12
	v_add_nc_u32_e32 v0, s14, v2
	s_delay_alu instid0(VALU_DEP_1)
	v_cmp_gt_u32_e32 vcc_lo, s12, v0
	s_and_saveexec_b32 s0, vcc_lo
	s_cbranch_execz .LBB126_12
; %bb.11:
	s_delay_alu instid0(VALU_DEP_3)
	v_add_nc_u32_e32 v2, v0, v5
	s_wait_kmcnt 0x0
	global_store_b32 v2, v40, s[8:9] scale_offset
.LBB126_12:
	s_wait_xcnt 0x0
	s_or_b32 exec_lo, exec_lo, s0
	v_add_nc_u32_e32 v2, 32, v0
	s_delay_alu instid0(VALU_DEP_1)
	v_cmp_gt_u32_e64 s0, s12, v2
	s_and_saveexec_b32 s1, s0
	s_cbranch_execz .LBB126_14
; %bb.13:
	v_add_nc_u32_e32 v3, v2, v5
	s_wait_kmcnt 0x0
	global_store_b32 v3, v36, s[8:9] scale_offset
.LBB126_14:
	s_wait_xcnt 0x0
	s_or_b32 exec_lo, exec_lo, s1
	v_add_nc_u32_e32 v3, 64, v0
	s_delay_alu instid0(VALU_DEP_1)
	v_cmp_gt_u32_e64 s1, s12, v3
	s_and_saveexec_b32 s2, s1
	s_cbranch_execz .LBB126_16
; %bb.15:
	v_add_nc_u32_e32 v4, v3, v5
	s_wait_kmcnt 0x0
	global_store_b32 v4, v34, s[8:9] scale_offset
.LBB126_16:
	s_wait_xcnt 0x0
	s_or_b32 exec_lo, exec_lo, s2
	v_add_nc_u32_e32 v4, 0x60, v0
	s_delay_alu instid0(VALU_DEP_1)
	v_cmp_gt_u32_e64 s2, s12, v4
	s_and_saveexec_b32 s3, s2
	s_cbranch_execz .LBB126_18
; %bb.17:
	v_add_nc_u32_e32 v5, v4, v5
	s_wait_kmcnt 0x0
	global_store_b32 v5, v32, s[8:9] scale_offset
.LBB126_18:
	s_wait_xcnt 0x0
	s_or_b32 exec_lo, exec_lo, s3
	v_add3_u32 v5, v1, s13, 8
	s_delay_alu instid0(VALU_DEP_1)
	v_cmp_gt_u32_e64 s3, s6, v5
	s_and_b32 exec_lo, exec_lo, s3
	s_cbranch_execz .LBB126_60
; %bb.19:
	v_mul_lo_u32 v5, v5, s12
	s_and_saveexec_b32 s3, vcc_lo
	s_cbranch_execnz .LBB126_61
; %bb.20:
	s_or_b32 exec_lo, exec_lo, s3
	s_and_saveexec_b32 s3, s0
	s_cbranch_execnz .LBB126_62
.LBB126_21:
	s_or_b32 exec_lo, exec_lo, s3
	s_and_saveexec_b32 s3, s1
	s_cbranch_execnz .LBB126_63
.LBB126_22:
	s_or_b32 exec_lo, exec_lo, s3
	s_and_saveexec_b32 s3, s2
	s_cbranch_execz .LBB126_24
.LBB126_23:
	v_add_nc_u32_e32 v5, v5, v4
	s_wait_kmcnt 0x0
	global_store_b32 v5, v33, s[8:9] scale_offset
.LBB126_24:
	s_wait_xcnt 0x0
	s_or_b32 exec_lo, exec_lo, s3
	v_add3_u32 v5, v1, s13, 16
	s_delay_alu instid0(VALU_DEP_1)
	v_cmp_gt_u32_e64 s3, s6, v5
	s_and_b32 exec_lo, exec_lo, s3
	s_cbranch_execz .LBB126_60
; %bb.25:
	v_mul_lo_u32 v5, v5, s12
	s_and_saveexec_b32 s3, vcc_lo
	s_cbranch_execnz .LBB126_64
; %bb.26:
	s_or_b32 exec_lo, exec_lo, s3
	s_and_saveexec_b32 s3, s0
	s_cbranch_execnz .LBB126_65
.LBB126_27:
	s_or_b32 exec_lo, exec_lo, s3
	s_and_saveexec_b32 s3, s1
	s_cbranch_execnz .LBB126_66
.LBB126_28:
	s_or_b32 exec_lo, exec_lo, s3
	s_and_saveexec_b32 s3, s2
	s_cbranch_execz .LBB126_30
.LBB126_29:
	v_add_nc_u32_e32 v5, v5, v4
	s_wait_kmcnt 0x0
	global_store_b32 v5, v24, s[8:9] scale_offset
.LBB126_30:
	s_wait_xcnt 0x0
	s_or_b32 exec_lo, exec_lo, s3
	v_add3_u32 v5, v1, s13, 24
	s_delay_alu instid0(VALU_DEP_1)
	v_cmp_gt_u32_e64 s3, s6, v5
	s_and_b32 exec_lo, exec_lo, s3
	s_cbranch_execz .LBB126_60
; %bb.31:
	v_mul_lo_u32 v5, v5, s12
	s_and_saveexec_b32 s3, vcc_lo
	s_cbranch_execnz .LBB126_67
; %bb.32:
	s_or_b32 exec_lo, exec_lo, s3
	s_and_saveexec_b32 s3, s0
	s_cbranch_execnz .LBB126_68
.LBB126_33:
	s_or_b32 exec_lo, exec_lo, s3
	s_and_saveexec_b32 s3, s1
	s_cbranch_execnz .LBB126_69
.LBB126_34:
	s_or_b32 exec_lo, exec_lo, s3
	s_and_saveexec_b32 s3, s2
	s_cbranch_execz .LBB126_36
.LBB126_35:
	v_add_nc_u32_e32 v5, v5, v4
	s_wait_kmcnt 0x0
	global_store_b32 v5, v25, s[8:9] scale_offset
.LBB126_36:
	s_wait_xcnt 0x0
	s_or_b32 exec_lo, exec_lo, s3
	v_add3_u32 v5, v1, s13, 32
	s_delay_alu instid0(VALU_DEP_1)
	v_cmp_gt_u32_e64 s3, s6, v5
	s_and_b32 exec_lo, exec_lo, s3
	s_cbranch_execz .LBB126_60
; %bb.37:
	v_mul_lo_u32 v5, v5, s12
	s_and_saveexec_b32 s3, vcc_lo
	s_cbranch_execnz .LBB126_70
; %bb.38:
	s_or_b32 exec_lo, exec_lo, s3
	s_and_saveexec_b32 s3, s0
	s_cbranch_execnz .LBB126_71
.LBB126_39:
	s_or_b32 exec_lo, exec_lo, s3
	s_and_saveexec_b32 s3, s1
	s_cbranch_execnz .LBB126_72
.LBB126_40:
	s_or_b32 exec_lo, exec_lo, s3
	s_and_saveexec_b32 s3, s2
	s_cbranch_execz .LBB126_42
.LBB126_41:
	v_add_nc_u32_e32 v5, v5, v4
	s_wait_kmcnt 0x0
	global_store_b32 v5, v16, s[8:9] scale_offset
.LBB126_42:
	s_wait_xcnt 0x0
	s_or_b32 exec_lo, exec_lo, s3
	v_add3_u32 v5, v1, s13, 40
	s_delay_alu instid0(VALU_DEP_1)
	v_cmp_gt_u32_e64 s3, s6, v5
	s_and_b32 exec_lo, exec_lo, s3
	s_cbranch_execz .LBB126_60
; %bb.43:
	v_mul_lo_u32 v5, v5, s12
	s_and_saveexec_b32 s3, vcc_lo
	s_cbranch_execnz .LBB126_73
; %bb.44:
	s_or_b32 exec_lo, exec_lo, s3
	s_and_saveexec_b32 s3, s0
	s_cbranch_execnz .LBB126_74
.LBB126_45:
	s_or_b32 exec_lo, exec_lo, s3
	s_and_saveexec_b32 s3, s1
	s_cbranch_execnz .LBB126_75
.LBB126_46:
	s_or_b32 exec_lo, exec_lo, s3
	s_and_saveexec_b32 s3, s2
	s_cbranch_execz .LBB126_48
.LBB126_47:
	v_add_nc_u32_e32 v5, v5, v4
	s_wait_kmcnt 0x0
	global_store_b32 v5, v17, s[8:9] scale_offset
.LBB126_48:
	s_wait_xcnt 0x0
	s_or_b32 exec_lo, exec_lo, s3
	v_add3_u32 v5, v1, s13, 48
	s_delay_alu instid0(VALU_DEP_1)
	v_cmp_gt_u32_e64 s3, s6, v5
	s_and_b32 exec_lo, exec_lo, s3
	s_cbranch_execz .LBB126_60
; %bb.49:
	v_mul_lo_u32 v5, v5, s12
	s_and_saveexec_b32 s3, vcc_lo
	s_cbranch_execnz .LBB126_76
; %bb.50:
	s_or_b32 exec_lo, exec_lo, s3
	s_and_saveexec_b32 s3, s0
	s_cbranch_execnz .LBB126_77
.LBB126_51:
	s_or_b32 exec_lo, exec_lo, s3
	s_and_saveexec_b32 s3, s1
	s_cbranch_execnz .LBB126_78
.LBB126_52:
	s_or_b32 exec_lo, exec_lo, s3
	s_and_saveexec_b32 s3, s2
	s_cbranch_execz .LBB126_54
.LBB126_53:
	v_add_nc_u32_e32 v5, v5, v4
	s_wait_kmcnt 0x0
	global_store_b32 v5, v8, s[8:9] scale_offset
.LBB126_54:
	s_wait_xcnt 0x0
	s_or_b32 exec_lo, exec_lo, s3
	v_add3_u32 v1, v1, s13, 56
	s_delay_alu instid0(VALU_DEP_1)
	v_cmp_gt_u32_e64 s3, s6, v1
	s_and_b32 exec_lo, exec_lo, s3
	s_cbranch_execz .LBB126_60
; %bb.55:
	v_mul_lo_u32 v1, v1, s12
	s_and_saveexec_b32 s3, vcc_lo
	s_cbranch_execnz .LBB126_79
; %bb.56:
	s_or_b32 exec_lo, exec_lo, s3
	s_and_saveexec_b32 s3, s0
	s_cbranch_execnz .LBB126_80
.LBB126_57:
	s_or_b32 exec_lo, exec_lo, s3
	s_and_saveexec_b32 s0, s1
	s_cbranch_execnz .LBB126_81
.LBB126_58:
	s_or_b32 exec_lo, exec_lo, s0
	s_delay_alu instid0(SALU_CYCLE_1)
	s_and_b32 exec_lo, exec_lo, s2
	s_cbranch_execz .LBB126_60
.LBB126_59:
	v_add_nc_u32_e32 v0, v1, v4
	s_wait_kmcnt 0x0
	global_store_b32 v0, v9, s[8:9] scale_offset
.LBB126_60:
	s_sendmsg sendmsg(MSG_DEALLOC_VGPRS)
	s_endpgm
.LBB126_61:
	s_delay_alu instid0(VALU_DEP_1)
	v_add_nc_u32_e32 v6, v5, v0
	s_wait_kmcnt 0x0
	global_store_b32 v6, v41, s[8:9] scale_offset
	s_wait_xcnt 0x0
	s_or_b32 exec_lo, exec_lo, s3
	s_and_saveexec_b32 s3, s0
	s_cbranch_execz .LBB126_21
.LBB126_62:
	s_delay_alu instid0(VALU_DEP_1)
	v_add_nc_u32_e32 v6, v5, v2
	s_wait_kmcnt 0x0
	global_store_b32 v6, v37, s[8:9] scale_offset
	s_wait_xcnt 0x0
	s_or_b32 exec_lo, exec_lo, s3
	s_and_saveexec_b32 s3, s1
	s_cbranch_execz .LBB126_22
.LBB126_63:
	s_delay_alu instid0(VALU_DEP_1)
	v_add_nc_u32_e32 v6, v5, v3
	s_wait_kmcnt 0x0
	global_store_b32 v6, v35, s[8:9] scale_offset
	s_wait_xcnt 0x0
	s_or_b32 exec_lo, exec_lo, s3
	s_and_saveexec_b32 s3, s2
	s_cbranch_execnz .LBB126_23
	s_branch .LBB126_24
.LBB126_64:
	s_delay_alu instid0(VALU_DEP_1)
	v_add_nc_u32_e32 v6, v5, v0
	s_wait_kmcnt 0x0
	global_store_b32 v6, v30, s[8:9] scale_offset
	s_wait_xcnt 0x0
	s_or_b32 exec_lo, exec_lo, s3
	s_and_saveexec_b32 s3, s0
	s_cbranch_execz .LBB126_27
.LBB126_65:
	s_delay_alu instid0(VALU_DEP_1)
	v_add_nc_u32_e32 v6, v5, v2
	s_wait_kmcnt 0x0
	global_store_b32 v6, v28, s[8:9] scale_offset
	s_wait_xcnt 0x0
	s_or_b32 exec_lo, exec_lo, s3
	s_and_saveexec_b32 s3, s1
	s_cbranch_execz .LBB126_28
.LBB126_66:
	s_delay_alu instid0(VALU_DEP_1)
	v_add_nc_u32_e32 v6, v5, v3
	s_wait_kmcnt 0x0
	global_store_b32 v6, v26, s[8:9] scale_offset
	s_wait_xcnt 0x0
	s_or_b32 exec_lo, exec_lo, s3
	s_and_saveexec_b32 s3, s2
	s_cbranch_execnz .LBB126_29
	s_branch .LBB126_30
.LBB126_67:
	s_delay_alu instid0(VALU_DEP_1)
	v_add_nc_u32_e32 v6, v5, v0
	s_wait_kmcnt 0x0
	global_store_b32 v6, v31, s[8:9] scale_offset
	s_wait_xcnt 0x0
	s_or_b32 exec_lo, exec_lo, s3
	s_and_saveexec_b32 s3, s0
	s_cbranch_execz .LBB126_33
.LBB126_68:
	s_delay_alu instid0(VALU_DEP_1)
	v_add_nc_u32_e32 v6, v5, v2
	s_wait_kmcnt 0x0
	global_store_b32 v6, v29, s[8:9] scale_offset
	s_wait_xcnt 0x0
	s_or_b32 exec_lo, exec_lo, s3
	s_and_saveexec_b32 s3, s1
	s_cbranch_execz .LBB126_34
.LBB126_69:
	s_delay_alu instid0(VALU_DEP_1)
	v_add_nc_u32_e32 v6, v5, v3
	s_wait_kmcnt 0x0
	global_store_b32 v6, v27, s[8:9] scale_offset
	s_wait_xcnt 0x0
	s_or_b32 exec_lo, exec_lo, s3
	s_and_saveexec_b32 s3, s2
	s_cbranch_execnz .LBB126_35
	s_branch .LBB126_36
.LBB126_70:
	s_delay_alu instid0(VALU_DEP_1)
	v_add_nc_u32_e32 v6, v5, v0
	s_wait_kmcnt 0x0
	global_store_b32 v6, v22, s[8:9] scale_offset
	s_wait_xcnt 0x0
	s_or_b32 exec_lo, exec_lo, s3
	s_and_saveexec_b32 s3, s0
	s_cbranch_execz .LBB126_39
.LBB126_71:
	s_delay_alu instid0(VALU_DEP_1)
	v_add_nc_u32_e32 v6, v5, v2
	s_wait_kmcnt 0x0
	global_store_b32 v6, v20, s[8:9] scale_offset
	s_wait_xcnt 0x0
	s_or_b32 exec_lo, exec_lo, s3
	s_and_saveexec_b32 s3, s1
	s_cbranch_execz .LBB126_40
.LBB126_72:
	s_delay_alu instid0(VALU_DEP_1)
	v_add_nc_u32_e32 v6, v5, v3
	s_wait_kmcnt 0x0
	global_store_b32 v6, v18, s[8:9] scale_offset
	s_wait_xcnt 0x0
	s_or_b32 exec_lo, exec_lo, s3
	s_and_saveexec_b32 s3, s2
	s_cbranch_execnz .LBB126_41
	s_branch .LBB126_42
.LBB126_73:
	s_delay_alu instid0(VALU_DEP_1)
	v_add_nc_u32_e32 v6, v5, v0
	s_wait_kmcnt 0x0
	global_store_b32 v6, v23, s[8:9] scale_offset
	s_wait_xcnt 0x0
	s_or_b32 exec_lo, exec_lo, s3
	s_and_saveexec_b32 s3, s0
	s_cbranch_execz .LBB126_45
.LBB126_74:
	s_delay_alu instid0(VALU_DEP_1)
	v_add_nc_u32_e32 v6, v5, v2
	s_wait_kmcnt 0x0
	global_store_b32 v6, v21, s[8:9] scale_offset
	s_wait_xcnt 0x0
	s_or_b32 exec_lo, exec_lo, s3
	s_and_saveexec_b32 s3, s1
	s_cbranch_execz .LBB126_46
.LBB126_75:
	s_delay_alu instid0(VALU_DEP_1)
	v_add_nc_u32_e32 v6, v5, v3
	s_wait_kmcnt 0x0
	global_store_b32 v6, v19, s[8:9] scale_offset
	s_wait_xcnt 0x0
	s_or_b32 exec_lo, exec_lo, s3
	s_and_saveexec_b32 s3, s2
	s_cbranch_execnz .LBB126_47
	s_branch .LBB126_48
.LBB126_76:
	s_delay_alu instid0(VALU_DEP_1)
	v_add_nc_u32_e32 v6, v5, v0
	s_wait_kmcnt 0x0
	global_store_b32 v6, v14, s[8:9] scale_offset
	s_wait_xcnt 0x0
	s_or_b32 exec_lo, exec_lo, s3
	s_and_saveexec_b32 s3, s0
	s_cbranch_execz .LBB126_51
.LBB126_77:
	s_delay_alu instid0(VALU_DEP_1)
	v_add_nc_u32_e32 v6, v5, v2
	s_wait_kmcnt 0x0
	global_store_b32 v6, v12, s[8:9] scale_offset
	s_wait_xcnt 0x0
	s_or_b32 exec_lo, exec_lo, s3
	s_and_saveexec_b32 s3, s1
	s_cbranch_execz .LBB126_52
.LBB126_78:
	s_delay_alu instid0(VALU_DEP_1)
	v_add_nc_u32_e32 v6, v5, v3
	s_wait_kmcnt 0x0
	global_store_b32 v6, v10, s[8:9] scale_offset
	s_wait_xcnt 0x0
	s_or_b32 exec_lo, exec_lo, s3
	s_and_saveexec_b32 s3, s2
	s_cbranch_execnz .LBB126_53
	s_branch .LBB126_54
.LBB126_79:
	s_delay_alu instid0(VALU_DEP_1)
	v_add_nc_u32_e32 v0, v1, v0
	s_wait_kmcnt 0x0
	global_store_b32 v0, v15, s[8:9] scale_offset
	s_wait_xcnt 0x0
	s_or_b32 exec_lo, exec_lo, s3
	s_and_saveexec_b32 s3, s0
	s_cbranch_execz .LBB126_57
.LBB126_80:
	s_delay_alu instid0(VALU_DEP_1)
	v_add_nc_u32_e32 v0, v1, v2
	s_wait_kmcnt 0x0
	global_store_b32 v0, v13, s[8:9] scale_offset
	s_wait_xcnt 0x0
	s_or_b32 exec_lo, exec_lo, s3
	s_and_saveexec_b32 s0, s1
	s_cbranch_execz .LBB126_58
.LBB126_81:
	s_delay_alu instid0(VALU_DEP_1) | instskip(SKIP_4) | instid1(SALU_CYCLE_1)
	v_add_nc_u32_e32 v0, v1, v3
	s_wait_kmcnt 0x0
	global_store_b32 v0, v11, s[8:9] scale_offset
	s_wait_xcnt 0x0
	s_or_b32 exec_lo, exec_lo, s0
	s_and_b32 exec_lo, exec_lo, s2
	s_cbranch_execnz .LBB126_59
	s_branch .LBB126_60
	.section	.rodata,"a",@progbits
	.p2align	6, 0x0
	.amdhsa_kernel _ZL12mul_mat_q8_0IfLb1EEvPKvS1_PT_iiiii
		.amdhsa_group_segment_fixed_size 28224
		.amdhsa_private_segment_fixed_size 0
		.amdhsa_kernarg_size 44
		.amdhsa_user_sgpr_count 2
		.amdhsa_user_sgpr_dispatch_ptr 0
		.amdhsa_user_sgpr_queue_ptr 0
		.amdhsa_user_sgpr_kernarg_segment_ptr 1
		.amdhsa_user_sgpr_dispatch_id 0
		.amdhsa_user_sgpr_kernarg_preload_length 0
		.amdhsa_user_sgpr_kernarg_preload_offset 0
		.amdhsa_user_sgpr_private_segment_size 0
		.amdhsa_wavefront_size32 1
		.amdhsa_uses_dynamic_stack 0
		.amdhsa_enable_private_segment 0
		.amdhsa_system_sgpr_workgroup_id_x 1
		.amdhsa_system_sgpr_workgroup_id_y 1
		.amdhsa_system_sgpr_workgroup_id_z 0
		.amdhsa_system_sgpr_workgroup_info 0
		.amdhsa_system_vgpr_workitem_id 1
		.amdhsa_next_free_vgpr 184
		.amdhsa_next_free_sgpr 18
		.amdhsa_named_barrier_count 0
		.amdhsa_reserve_vcc 1
		.amdhsa_float_round_mode_32 0
		.amdhsa_float_round_mode_16_64 0
		.amdhsa_float_denorm_mode_32 3
		.amdhsa_float_denorm_mode_16_64 3
		.amdhsa_fp16_overflow 0
		.amdhsa_memory_ordered 1
		.amdhsa_forward_progress 1
		.amdhsa_inst_pref_size 76
		.amdhsa_round_robin_scheduling 0
		.amdhsa_exception_fp_ieee_invalid_op 0
		.amdhsa_exception_fp_denorm_src 0
		.amdhsa_exception_fp_ieee_div_zero 0
		.amdhsa_exception_fp_ieee_overflow 0
		.amdhsa_exception_fp_ieee_underflow 0
		.amdhsa_exception_fp_ieee_inexact 0
		.amdhsa_exception_int_div_zero 0
	.end_amdhsa_kernel
	.section	.text._ZL12mul_mat_q8_0IfLb1EEvPKvS1_PT_iiiii,"axG",@progbits,_ZL12mul_mat_q8_0IfLb1EEvPKvS1_PT_iiiii,comdat
.Lfunc_end126:
	.size	_ZL12mul_mat_q8_0IfLb1EEvPKvS1_PT_iiiii, .Lfunc_end126-_ZL12mul_mat_q8_0IfLb1EEvPKvS1_PT_iiiii
                                        ; -- End function
	.set _ZL12mul_mat_q8_0IfLb1EEvPKvS1_PT_iiiii.num_vgpr, 184
	.set _ZL12mul_mat_q8_0IfLb1EEvPKvS1_PT_iiiii.num_agpr, 0
	.set _ZL12mul_mat_q8_0IfLb1EEvPKvS1_PT_iiiii.numbered_sgpr, 18
	.set _ZL12mul_mat_q8_0IfLb1EEvPKvS1_PT_iiiii.num_named_barrier, 0
	.set _ZL12mul_mat_q8_0IfLb1EEvPKvS1_PT_iiiii.private_seg_size, 0
	.set _ZL12mul_mat_q8_0IfLb1EEvPKvS1_PT_iiiii.uses_vcc, 1
	.set _ZL12mul_mat_q8_0IfLb1EEvPKvS1_PT_iiiii.uses_flat_scratch, 0
	.set _ZL12mul_mat_q8_0IfLb1EEvPKvS1_PT_iiiii.has_dyn_sized_stack, 0
	.set _ZL12mul_mat_q8_0IfLb1EEvPKvS1_PT_iiiii.has_recursion, 0
	.set _ZL12mul_mat_q8_0IfLb1EEvPKvS1_PT_iiiii.has_indirect_call, 0
	.section	.AMDGPU.csdata,"",@progbits
; Kernel info:
; codeLenInByte = 9628
; TotalNumSgprs: 20
; NumVgprs: 184
; ScratchSize: 0
; MemoryBound: 0
; FloatMode: 240
; IeeeMode: 1
; LDSByteSize: 28224 bytes/workgroup (compile time only)
; SGPRBlocks: 0
; VGPRBlocks: 11
; NumSGPRsForWavesPerEU: 20
; NumVGPRsForWavesPerEU: 184
; NamedBarCnt: 0
; Occupancy: 5
; WaveLimiterHint : 0
; COMPUTE_PGM_RSRC2:SCRATCH_EN: 0
; COMPUTE_PGM_RSRC2:USER_SGPR: 2
; COMPUTE_PGM_RSRC2:TRAP_HANDLER: 0
; COMPUTE_PGM_RSRC2:TGID_X_EN: 1
; COMPUTE_PGM_RSRC2:TGID_Y_EN: 1
; COMPUTE_PGM_RSRC2:TGID_Z_EN: 0
; COMPUTE_PGM_RSRC2:TIDIG_COMP_CNT: 1
	.section	.text._ZL12mul_mat_q2_KIfLb0EEvPKvS1_PT_iiiii,"axG",@progbits,_ZL12mul_mat_q2_KIfLb0EEvPKvS1_PT_iiiii,comdat
	.globl	_ZL12mul_mat_q2_KIfLb0EEvPKvS1_PT_iiiii ; -- Begin function _ZL12mul_mat_q2_KIfLb0EEvPKvS1_PT_iiiii
	.p2align	8
	.type	_ZL12mul_mat_q2_KIfLb0EEvPKvS1_PT_iiiii,@function
_ZL12mul_mat_q2_KIfLb0EEvPKvS1_PT_iiiii: ; @_ZL12mul_mat_q2_KIfLb0EEvPKvS1_PT_iiiii
; %bb.0:
	s_clause 0x1
	s_load_b32 s10, s[0:1], 0x18
	s_load_b96 s[4:6], s[0:1], 0x20
	s_bfe_u32 s2, ttmp6, 0x4000c
	s_bfe_u32 s7, ttmp6, 0x40010
	s_add_co_i32 s2, s2, 1
	s_and_b32 s3, ttmp6, 15
	s_mul_i32 s2, ttmp9, s2
	s_add_co_i32 s7, s7, 1
	s_add_co_i32 s3, s3, s2
	s_mul_i32 s2, ttmp7, s7
	s_bfe_u32 s7, ttmp6, 0x40004
	s_getreg_b32 s8, hwreg(HW_REG_IB_STS2, 6, 4)
	s_add_co_i32 s7, s7, s2
	s_cmp_eq_u32 s8, 0
	v_bfe_u32 v1, v0, 10, 10
	s_cselect_b32 s7, ttmp7, s7
	s_set_vgpr_msb 64                       ;  msbs: dst=1 src0=0 src1=0 src2=0
	v_and_b32_e32 v167 /*v423*/, 0x3ff, v0
	s_cselect_b32 s2, ttmp9, s3
	s_lshl_b32 s7, s7, 6
	s_mov_b32 s3, 0
	s_wait_kmcnt 0x0
	s_cmp_gt_i32 s10, 0xff
	scratch_store_b32 off, v1, off offset:200 ; 4-byte Folded Spill
	s_set_vgpr_msb 0                        ;  msbs: dst=0 src0=0 src1=0 src2=0
	s_cbranch_scc1 .LBB127_4
; %bb.1:
	s_wait_xcnt 0x0
	v_bfe_u32 v1, v0, 10, 10
	v_and_b32_e32 v2, 0x3ff, v0
	s_delay_alu instid0(VALU_DEP_2)
	v_add_nc_u32_e32 v3, s7, v1
	scratch_store_b32 off, v3, off offset:432 ; 4-byte Folded Spill
	s_load_b64 s[8:9], s[0:1], 0x10
	s_and_not1_b32 vcc_lo, exec_lo, s3
	s_lshl_b32 s14, s2, 7
	s_cbranch_vccz .LBB127_5
; %bb.2:
	v_dual_mov_b32 v72, 0 :: v_dual_mov_b32 v73, 0
	s_set_vgpr_msb 64                       ;  msbs: dst=1 src0=0 src1=0 src2=0
	v_mov_b64_e32 v[168:169] /*v[424:425]*/, 0
	s_set_vgpr_msb 0                        ;  msbs: dst=0 src0=0 src1=0 src2=0
	v_mov_b64_e32 v[98:99], 0
	s_set_vgpr_msb 64                       ;  msbs: dst=1 src0=0 src1=0 src2=0
	v_mov_b64_e32 v[170:171] /*v[426:427]*/, 0
	s_set_vgpr_msb 0                        ;  msbs: dst=0 src0=0 src1=0 src2=0
	v_mov_b64_e32 v[100:101], 0
	v_mov_b64_e32 v[68:69], 0
	;; [unrolled: 1-line block ×3, first 2 shown]
	v_dual_mov_b32 v89, 0 :: v_dual_mov_b32 v77, 0
	v_dual_mov_b32 v76, 0 :: v_dual_mov_b32 v88, 0
	;; [unrolled: 1-line block ×9, first 2 shown]
	scratch_load_b32 v0, off, off offset:432 ; 4-byte Folded Reload
	s_mov_b32 s0, exec_lo
	s_wait_loadcnt 0x0
	v_cmpx_gt_u32_e64 s4, v0
	s_cbranch_execnz .LBB127_16
.LBB127_3:
	s_sendmsg sendmsg(MSG_DEALLOC_VGPRS)
	s_endpgm
.LBB127_4:
                                        ; implicit-def: $vgpr1
                                        ; implicit-def: $vgpr2
                                        ; implicit-def: $vgpr3
                                        ; kill: killed $vgpr3
	s_load_b64 s[8:9], s[0:1], 0x10
	s_lshl_b32 s14, s2, 7
.LBB127_5:
	v_bfe_u32 v38, v0, 10, 10
	s_add_co_i32 s11, s4, -1
	v_and_b32_e32 v36, 1, v0
	v_cvt_f64_i32_e32 v[2:3], s11
	v_bfe_u32 v40, v0, 4, 6
	v_dual_add_nc_u32 v17, s7, v38 :: v_dual_mov_b32 v43, 0
	v_add_nc_u32_e32 v25, 32, v38
	s_set_vgpr_msb 4                        ;  msbs: dst=0 src0=0 src1=1 src2=0
	v_lshlrev_b32_e32 v20, 2, v167 /*v423*/
	v_bfe_u32 v22, v0, 1, 9
	s_set_vgpr_msb 0                        ;  msbs: dst=0 src0=0 src1=0 src2=0
	v_dual_add_nc_u32 v1, 8, v17 :: v_dual_add_nc_u32 v8, 16, v17
	v_add_nc_u32_e32 v10, 24, v17
	v_cvt_f64_u32_e32 v[4:5], v17
	v_dual_add_nc_u32 v14, 40, v17 :: v_dual_add_nc_u32 v16, 48, v17
	s_delay_alu instid0(VALU_DEP_4)
	v_cvt_f64_u32_e32 v[6:7], v1
	v_add_nc_u32_e32 v1, 32, v17
	v_cvt_f64_u32_e32 v[8:9], v8
	v_cvt_f64_u32_e32 v[10:11], v10
	;; [unrolled: 1-line block ×3, first 2 shown]
	v_add_nc_u32_e32 v21, 8, v38
	v_cvt_f64_u32_e32 v[12:13], v1
	v_add_nc_u32_e32 v1, 56, v17
	v_bfe_u32 v26, v0, 3, 7
	v_dual_add_nc_u32 v27, 40, v38 :: v_dual_bitop2_b32 v28, 7, v0 bitop3:0x40
	v_bfe_u32 v31, v0, 2, 8
	s_delay_alu instid0(VALU_DEP_4)
	v_cvt_f64_u32_e32 v[18:19], v1
	v_dual_lshlrev_b32 v34, 7, v38 :: v_dual_bitop2_b32 v32, 3, v0 bitop3:0x40
	v_and_b32_e32 v33, 31, v0
	v_lshl_add_u32 v26, v38, 2, v26
	v_lshl_add_u32 v22, v38, 4, v22
	s_ashr_i32 s12, s10, 31
	s_ashr_i32 s13, s5, 31
	s_lshr_b32 s12, s12, 24
	v_and_b32_e32 v37, 0x7fc, v26
	s_lshr_b32 s13, s13, 27
	s_add_co_i32 s10, s10, s12
	s_add_co_i32 s12, s5, s13
	s_ashr_i32 s5, s10, 8
	s_ashr_i32 s16, s12, 5
	s_lshl_b32 s10, s5, 3
	v_dual_add_nc_u32 v23, 16, v38 :: v_dual_add_nc_u32 v24, 24, v38
	v_dual_min_num_f64 v[0:1], v[4:5], v[2:3] :: v_dual_lshlrev_b32 v35, 2, v36
	v_min_num_f64_e32 v[4:5], v[6:7], v[2:3]
	s_wait_xcnt 0x0
	s_load_b128 s[0:3], s[0:1], 0x0
	v_min_num_f64_e32 v[6:7], v[8:9], v[2:3]
	v_min_num_f64_e32 v[8:9], v[10:11], v[2:3]
	v_mad_u32_u24 v10, 0x84, v38, v20
	s_set_vgpr_msb 64                       ;  msbs: dst=1 src0=0 src1=0 src2=0
	v_dual_lshlrev_b32 v183 /*v439*/, 5, v24 :: v_dual_lshlrev_b32 v184 /*v440*/, 5, v25
	s_lshl_b32 s15, s5, 5
	v_cmp_lt_u32_e32 vcc_lo, 3, v28
	scratch_store_b32 off, v10, off offset:228 ; 4-byte Folded Spill
	s_wait_xcnt 0x0
	s_set_vgpr_msb 0                        ;  msbs: dst=0 src0=0 src1=0 src2=0
	v_min_num_f64_e32 v[10:11], v[12:13], v[2:3]
	v_dual_min_num_f64 v[12:13], v[14:15], v[2:3] :: v_dual_mov_b32 v14, v36
	v_and_b32_e32 v42, 60, v20
	scratch_store_b32 off, v17, off offset:432 ; 4-byte Folded Spill
	s_wait_xcnt 0x0
	v_cvt_f64_u32_e32 v[16:17], v16
	v_lshlrev_b32_e32 v36, 2, v28
	s_clause 0x1
	scratch_store_b64 off, v[14:15], off offset:220
	scratch_store_b64 off, v[42:43], off offset:212
	v_dual_add_nc_u32 v29, 48, v38 :: v_dual_add_nc_u32 v30, 56, v38
	s_mul_i32 s12, s5, s14
	v_mov_b64_e32 v[70:71], 0
	v_mov_b64_e32 v[68:69], 0
	;; [unrolled: 1-line block ×3, first 2 shown]
	s_set_vgpr_msb 64                       ;  msbs: dst=1 src0=0 src1=0 src2=0
	v_mov_b64_e32 v[170:171] /*v[426:427]*/, 0
	s_set_vgpr_msb 0                        ;  msbs: dst=0 src0=0 src1=0 src2=0
	v_mov_b64_e32 v[98:99], 0
	s_set_vgpr_msb 64                       ;  msbs: dst=1 src0=0 src1=0 src2=0
	v_mov_b64_e32 v[168:169] /*v[424:425]*/, 0
	s_set_vgpr_msb 0                        ;  msbs: dst=0 src0=0 src1=0 src2=0
	v_mov_b64_e32 v[102:103], 0
	v_mov_b64_e32 v[76:77], 0
	v_cvt_i32_f64_e32 v0, v[0:1]
	v_mov_b64_e32 v[72:73], 0
	v_cvt_i32_f64_e32 v1, v[4:5]
	v_add_nc_u32_e32 v4, 32, v26
	v_cvt_i32_f64_e32 v5, v[6:7]
	v_lshlrev_b32_e32 v6, 5, v26
	v_cvt_i32_f64_e32 v7, v[8:9]
	v_mov_b64_e32 v[94:95], 0
	v_mov_b64_e32 v[86:87], 0
	;; [unrolled: 1-line block ×7, first 2 shown]
	s_ashr_i32 s13, s12, 31
	s_set_vgpr_msb 64                       ;  msbs: dst=1 src0=0 src1=0 src2=0
	v_dual_lshlrev_b32 v181 /*v437*/, 5, v21 :: v_dual_lshlrev_b32 v182 /*v438*/, 5, v23
	s_wait_xcnt 0x1
	s_set_vgpr_msb 0                        ;  msbs: dst=0 src0=0 src1=0 src2=0
	v_dual_min_num_f64 v[14:15], v[16:17], v[2:3] :: v_dual_mov_b32 v17, v43
	v_dual_min_num_f64 v[2:3], v[18:19], v[2:3] :: v_dual_lshlrev_b32 v19, 2, v32
	v_cvt_i32_f64_e32 v12, v[12:13]
	v_and_b32_e32 v16, 12, v20
	v_lshl_add_u32 v18, v38, 3, v31
	v_cvt_i32_f64_e32 v9, v[10:11]
	v_add_nc_u32_e32 v10, 0x60, v26
	s_set_vgpr_msb 64                       ;  msbs: dst=1 src0=0 src1=0 src2=0
	v_dual_lshlrev_b32 v185 /*v441*/, 5, v27 :: v_dual_lshlrev_b32 v186 /*v442*/, 5, v29
	s_set_vgpr_msb 0                        ;  msbs: dst=0 src0=0 src1=0 src2=0
	v_and_b32_e32 v11, 63, v18
	v_and_b32_e32 v18, 0xffc, v4
	v_add_nc_u32_e32 v8, 64, v26
	s_set_vgpr_msb 64                       ;  msbs: dst=1 src0=0 src1=0 src2=0
	v_dual_lshlrev_b32 v211 /*v467*/, 5, v38 :: v_dual_lshlrev_b32 v215 /*v471*/, 2, v40
	v_mul_lo_u32 v173 /*v429*/, s16, v0
	v_mul_lo_u32 v174 /*v430*/, s16, v1
	s_set_vgpr_msb 0                        ;  msbs: dst=0 src0=0 src1=0 src2=0
	v_lshlrev_b32_e32 v1, 7, v23
	s_set_vgpr_msb 64                       ;  msbs: dst=1 src0=0 src1=0 src2=0
	v_mul_lo_u32 v175 /*v431*/, s16, v5
	s_set_vgpr_msb 0                        ;  msbs: dst=0 src0=0 src1=0 src2=0
	v_lshlrev_b32_e32 v5, 7, v24
	s_set_vgpr_msb 64                       ;  msbs: dst=1 src0=0 src1=0 src2=0
	v_mul_lo_u32 v176 /*v432*/, s16, v7
	s_set_vgpr_msb 0                        ;  msbs: dst=0 src0=0 src1=0 src2=0
	v_lshlrev_b32_e32 v7, 7, v25
	s_set_vgpr_msb 0x44                     ;  msbs: dst=1 src0=0 src1=1 src2=0
	v_mul_u32_u24_e32 v212 /*v468*/, 0x84, v167 /*v423*/
	v_dual_lshlrev_b32 v213 /*v469*/, 5, v167 /*v423*/ :: v_dual_lshlrev_b32 v214 /*v470*/, 3, v167 /*v423*/
	s_set_vgpr_msb 0                        ;  msbs: dst=0 src0=0 src1=0 src2=0
	v_lshlrev_b32_e32 v4, 5, v4
	s_mul_u64 s[12:13], s[12:13], 0x54
	v_lshlrev_b32_e32 v0, 7, v21
	s_wait_kmcnt 0x0
	s_add_nc_u64 s[0:1], s[0:1], s[12:13]
	s_set_vgpr_msb 64                       ;  msbs: dst=1 src0=0 src1=0 src2=0
	v_lshlrev_b32_e32 v204 /*v460*/, 2, v31
	s_set_vgpr_msb 0                        ;  msbs: dst=0 src0=0 src1=0 src2=0
	v_cvt_i32_f64_e32 v13, v[14:15]
	v_cvt_i32_f64_e32 v2, v[2:3]
	v_add3_u32 v3, v37, v36, 0x6200
	v_or_b32_e32 v37, s7, v11
	s_set_vgpr_msb 64                       ;  msbs: dst=1 src0=0 src1=0 src2=0
	v_mul_lo_u32 v178 /*v434*/, s16, v12
	v_mul_lo_u32 v177 /*v433*/, s16, v9
	s_set_vgpr_msb 0                        ;  msbs: dst=0 src0=0 src1=0 src2=0
	v_add_nc_u32_e32 v3, v3, v6
	scratch_store_b64 off, v[16:17], off offset:232 ; 8-byte Folded Spill
	s_wait_xcnt 0x0
	v_and_b32_e32 v16, 28, v20
	v_lshl_or_b32 v20, v33, 2, 0x4200
	v_and_b32_e32 v33, 0x7f, v22
	v_dual_lshrrev_b32 v22, 2, v22 :: v_dual_lshlrev_b32 v9, 7, v27
	s_set_vgpr_msb 64                       ;  msbs: dst=1 src0=0 src1=0 src2=0
	v_add_nc_u64_e32 v[202:203] /*v[458:459]*/, s[2:3], v[16:17]
	v_dual_add_nc_u32 v193 /*v449*/, v20, v0 :: v_dual_add_nc_u32 v194 /*v450*/, v20, v1
	s_set_vgpr_msb 0                        ;  msbs: dst=0 src0=0 src1=0 src2=0
	v_lshl_or_b32 v14, v33, 3, v35
	v_and_b32_e32 v15, 28, v22
	v_and_b32_e32 v22, 0xffc, v8
	;; [unrolled: 1-line block ×3, first 2 shown]
	v_dual_lshlrev_b32 v8, 5, v8 :: v_dual_lshlrev_b32 v10, 5, v10
	s_delay_alu instid0(VALU_DEP_4)
	v_add3_u32 v14, v14, v15, 0x7280
	v_add3_u32 v15, v18, v36, 0x6200
	v_lshl_or_b32 v11, v11, 4, v19
	v_add3_u32 v18, v22, v36, 0x6200
	v_add3_u32 v19, v35, v36, 0x6200
	s_set_vgpr_msb 64                       ;  msbs: dst=1 src0=0 src1=0 src2=0
	v_add_nc_u32_e32 v192 /*v448*/, v20, v34
	s_set_vgpr_msb 0                        ;  msbs: dst=0 src0=0 src1=0 src2=0
	v_add_nc_u32_e32 v4, v15, v4
	scratch_store_b32 off, v14, off offset:240 ; 4-byte Folded Spill
	s_wait_xcnt 0x0
	v_min_i32_e32 v14, s11, v37
	s_set_vgpr_msb 64                       ;  msbs: dst=1 src0=0 src1=0 src2=0
	v_add_nc_u32_e32 v172 /*v428*/, 0x76a0, v11
	v_mul_lo_u32 v180 /*v436*/, s16, v2
	scratch_store_b32 off, v4, off offset:284 ; 4-byte Folded Spill
	v_mul_lo_u32 v179 /*v435*/, s16, v13
	s_set_vgpr_msb 0                        ;  msbs: dst=0 src0=0 src1=0 src2=0
	v_mad_u32 v11, v14, s16, v32
	v_mad_i32_i24 v14, s5, v38, s10
	s_set_vgpr_msb 64                       ;  msbs: dst=1 src0=0 src1=0 src2=0
	v_dual_add_nc_u32 v195 /*v451*/, v20, v5 :: v_dual_add_nc_u32 v196 /*v452*/, v20, v7
	s_mov_b32 s11, 0
	s_set_vgpr_msb 0                        ;  msbs: dst=0 src0=0 src1=0 src2=0
	v_dual_mov_b32 v12, v14 :: v_dual_add_nc_u32 v22, s10, v14
	s_delay_alu instid0(VALU_DEP_1)
	v_add_nc_u32_e32 v42, s10, v22
	s_set_vgpr_msb 4                        ;  msbs: dst=0 src0=0 src1=1 src2=0
	v_dual_add_nc_u32 v2, 64, v167 /*v423*/ :: v_dual_mov_b32 v14, v22
	v_add_nc_u32_e32 v22, 0x60, v167 /*v423*/
	s_set_vgpr_msb 0                        ;  msbs: dst=0 src0=0 src1=0 src2=0
	scratch_store_b64 off, v[12:13], off offset:248 ; 8-byte Folded Spill
	v_dual_mov_b32 v36, v42 :: v_dual_add_nc_u32 v42, s10, v42
	v_lshrrev_b32_e32 v35, 2, v2
	s_set_vgpr_msb 64                       ;  msbs: dst=1 src0=0 src1=0 src2=0
	v_dual_lshlrev_b32 v190 /*v446*/, 5, v2 :: v_dual_lshlrev_b32 v191 /*v447*/, 3, v2
	s_wait_xcnt 0x0
	s_set_vgpr_msb 0                        ;  msbs: dst=0 src0=0 src1=0 src2=0
	v_dual_lshlrev_b32 v12, 7, v29 :: v_dual_lshlrev_b32 v13, 7, v30
	v_dual_mov_b32 v4, v42 :: v_dual_add_nc_u32 v42, s10, v42
	scratch_store_b64 off, v[36:37], off offset:264 ; 8-byte Folded Spill
	s_wait_xcnt 0x0
	v_lshrrev_b32_e32 v36, 4, v2
	scratch_store_b64 off, v[14:15], off offset:256 ; 8-byte Folded Spill
	s_set_vgpr_msb 64                       ;  msbs: dst=1 src0=0 src1=0 src2=0
	v_dual_add_nc_u32 v197 /*v453*/, v20, v9 :: v_dual_add_nc_u32 v198 /*v454*/, v20, v12
	s_set_vgpr_msb 0                        ;  msbs: dst=0 src0=0 src1=0 src2=0
	v_dual_mov_b32 v6, v42 :: v_dual_add_nc_u32 v24, s10, v42
	scratch_store_b64 off, v[4:5], off offset:272 ; 8-byte Folded Spill
	s_set_vgpr_msb 64                       ;  msbs: dst=1 src0=0 src1=0 src2=0
	v_dual_add_nc_u32 v199 /*v455*/, v20, v13 :: v_dual_lshlrev_b32 v200 /*v456*/, 5, v22
	scratch_store_b64 off, v[6:7], off offset:288 ; 8-byte Folded Spill
	s_wait_xcnt 0x0
	s_set_vgpr_msb 0                        ;  msbs: dst=0 src0=0 src1=0 src2=0
	v_mov_b32_e32 v6, v24
	scratch_store_b32 off, v3, off offset:280 ; 4-byte Folded Spill
	s_wait_xcnt 0x0
	v_dual_add_nc_u32 v24, s10, v24 :: v_dual_lshrrev_b32 v3, 2, v22
	s_set_vgpr_msb 64                       ;  msbs: dst=1 src0=0 src1=0 src2=0
	v_lshlrev_b32_e32 v201 /*v457*/, 3, v22
	scratch_store_b64 off, v[6:7], off offset:296 ; 8-byte Folded Spill
	s_wait_xcnt 0x0
	s_set_vgpr_msb 0                        ;  msbs: dst=0 src0=0 src1=0 src2=0
	v_add_nc_u32_e32 v6, v18, v8
	s_set_vgpr_msb 64                       ;  msbs: dst=1 src0=0 src1=0 src2=0
	v_dual_lshlrev_b32 v207 /*v463*/, 2, v35 :: v_dual_lshlrev_b32 v208 /*v464*/, 2, v36
	scratch_store_b32 off, v6, off offset:312 ; 4-byte Folded Spill
	s_wait_xcnt 0x0
	s_set_vgpr_msb 0                        ;  msbs: dst=0 src0=0 src1=0 src2=0
	v_add_nc_u32_e32 v6, v19, v10
	scratch_store_b32 off, v6, off offset:316 ; 4-byte Folded Spill
	s_wait_xcnt 0x0
	v_mov_b32_e32 v6, v24
	scratch_store_b64 off, v[6:7], off offset:304 ; 8-byte Folded Spill
	s_wait_xcnt 0x0
	v_add_nc_u32_e32 v6, s10, v24
	s_delay_alu instid0(VALU_DEP_1)
	v_dual_mov_b32 v0, v6 :: v_dual_add_nc_u32 v2, s10, v6
	scratch_store_b64 off, v[0:1], off offset:320 ; 8-byte Folded Spill
	s_wait_xcnt 0x0
	v_dual_mov_b32 v0, v2 :: v_dual_add_nc_u32 v2, s10, v2
	scratch_store_b64 off, v[0:1], off offset:328 ; 8-byte Folded Spill
	s_wait_xcnt 0x0
	;; [unrolled: 3-line block ×5, first 2 shown]
	v_mul_i32_i24_e32 v0, s5, v33
	scratch_store_b64 off, v[0:1], off offset:368 ; 8-byte Folded Spill
	s_wait_xcnt 0x0
	v_mul_i32_i24_e32 v0, s5, v26
	scratch_store_b64 off, v[0:1], off offset:376 ; 8-byte Folded Spill
	s_wait_xcnt 0x0
	v_dual_mov_b32 v0, v2 :: v_dual_add_nc_u32 v2, s10, v2
	v_lshrrev_b32_e32 v4, 4, v22
	scratch_store_b64 off, v[0:1], off offset:360 ; 8-byte Folded Spill
	s_wait_xcnt 0x0
	v_mov_b32_e32 v0, v40
	scratch_store_b32 off, v11, off offset:244 ; 4-byte Folded Spill
	s_wait_xcnt 0x0
	s_set_vgpr_msb 4                        ;  msbs: dst=0 src0=0 src1=1 src2=0
	v_add_nc_u32_e32 v11, 32, v167 /*v423*/
	s_set_vgpr_msb 64                       ;  msbs: dst=1 src0=0 src1=0 src2=0
	v_lshlrev_b32_e32 v187 /*v443*/, 5, v30
	scratch_store_b64 off, v[0:1], off offset:204 ; 8-byte Folded Spill
	s_wait_xcnt 0x0
	s_set_vgpr_msb 0                        ;  msbs: dst=0 src0=0 src1=0 src2=0
	v_dual_mov_b32 v0, v2 :: v_dual_lshrrev_b32 v32, 4, v11
	s_set_vgpr_msb 64                       ;  msbs: dst=1 src0=0 src1=0 src2=0
	v_dual_lshlrev_b32 v209 /*v465*/, 2, v3 :: v_dual_lshlrev_b32 v210 /*v466*/, 2, v4
	s_set_vgpr_msb 0                        ;  msbs: dst=0 src0=0 src1=0 src2=0
	v_mad_i32_i24 v4, s5, v26, s15
	scratch_store_b64 off, v[0:1], off offset:392 ; 8-byte Folded Spill
	s_wait_xcnt 0x0
	v_dual_add_nc_u32 v0, s10, v2 :: v_dual_lshrrev_b32 v14, 2, v11
	s_set_vgpr_msb 64                       ;  msbs: dst=1 src0=0 src1=0 src2=0
	v_lshlrev_b32_e32 v188 /*v444*/, 5, v11
	s_set_vgpr_msb 0                        ;  msbs: dst=0 src0=0 src1=0 src2=0
	v_add_nc_u32_e32 v2, s15, v4
	s_set_vgpr_msb 64                       ;  msbs: dst=1 src0=0 src1=0 src2=0
	v_lshlrev_b32_e32 v189 /*v445*/, 3, v11
	scratch_store_b64 off, v[0:1], off offset:400 ; 8-byte Folded Spill
	s_wait_xcnt 0x0
	s_set_vgpr_msb 0                        ;  msbs: dst=0 src0=0 src1=0 src2=0
	v_mov_b32_e32 v0, v4
	s_set_vgpr_msb 64                       ;  msbs: dst=1 src0=0 src1=0 src2=0
	v_dual_lshlrev_b32 v205 /*v461*/, 2, v14 :: v_dual_lshlrev_b32 v206 /*v462*/, 2, v32
	s_mov_b32 s10, s11
	scratch_store_b64 off, v[0:1], off offset:384 ; 8-byte Folded Spill
	s_wait_xcnt 0x0
	s_set_vgpr_msb 0                        ;  msbs: dst=0 src0=0 src1=0 src2=0
	v_cndmask_b32_e64 v0, 0, 1, vcc_lo
	scratch_store_b64 off, v[0:1], off offset:416 ; 8-byte Folded Spill
	s_wait_xcnt 0x0
	v_mov_b32_e32 v0, v2
	scratch_store_b64 off, v[0:1], off offset:408 ; 8-byte Folded Spill
	s_wait_xcnt 0x0
	v_add_nc_u32_e32 v0, s15, v2
	s_clause 0x2d
	scratch_store_b64 off, v[0:1], off offset:424
	s_set_vgpr_msb 4                        ;  msbs: dst=0 src0=0 src1=1 src2=0
	scratch_store_b32 off, v167 /*v423*/, off offset:120
	scratch_store_b32 off, v172 /*v428*/, off offset:124
	scratch_store_b32 off, v173 /*v429*/, off offset:128
	scratch_store_b32 off, v174 /*v430*/, off offset:132
	scratch_store_b32 off, v175 /*v431*/, off offset:136
	scratch_store_b32 off, v176 /*v432*/, off offset:140
	scratch_store_b32 off, v177 /*v433*/, off offset:144
	scratch_store_b32 off, v178 /*v434*/, off offset:148
	scratch_store_b32 off, v179 /*v435*/, off offset:152
	scratch_store_b32 off, v180 /*v436*/, off offset:156
	scratch_store_b32 off, v181 /*v437*/, off offset:16
	scratch_store_b32 off, v182 /*v438*/, off offset:20
	scratch_store_b32 off, v183 /*v439*/, off offset:24
	scratch_store_b32 off, v184 /*v440*/, off offset:28
	scratch_store_b32 off, v185 /*v441*/, off offset:32
	scratch_store_b32 off, v186 /*v442*/, off offset:36
	scratch_store_b32 off, v187 /*v443*/, off offset:40
	scratch_store_b32 off, v188 /*v444*/, off offset:44
	scratch_store_b32 off, v189 /*v445*/, off offset:48
	scratch_store_b32 off, v190 /*v446*/, off offset:52
	scratch_store_b32 off, v191 /*v447*/, off offset:56
	scratch_store_b32 off, v192 /*v448*/, off offset:160
	scratch_store_b32 off, v193 /*v449*/, off offset:164
	scratch_store_b32 off, v194 /*v450*/, off offset:168
	scratch_store_b32 off, v195 /*v451*/, off offset:172
	scratch_store_b32 off, v196 /*v452*/, off offset:176
	scratch_store_b32 off, v197 /*v453*/, off offset:180
	scratch_store_b32 off, v198 /*v454*/, off offset:184
	scratch_store_b32 off, v199 /*v455*/, off offset:188
	scratch_store_b32 off, v200 /*v456*/, off offset:60
	scratch_store_b32 off, v201 /*v457*/, off offset:64
	scratch_store_b64 off, v[202:203] /*v[458:459]*/, off offset:192
	scratch_store_b32 off, v204 /*v460*/, off offset:68
	scratch_store_b32 off, v205 /*v461*/, off offset:72
	;; [unrolled: 1-line block ×12, first 2 shown]
	s_set_vgpr_msb 0                        ;  msbs: dst=0 src0=0 src1=0 src2=0
	s_branch .LBB127_7
.LBB127_6:                              ;   in Loop: Header=BB127_7 Depth=1
	s_add_co_i32 s10, s10, 2
	s_delay_alu instid0(SALU_CYCLE_1)
	s_cmp_ge_i32 s10, s5
	s_cbranch_scc1 .LBB127_15
.LBB127_7:                              ; =>This Loop Header: Depth=1
                                        ;     Child Loop BB127_9 Depth 2
                                        ;       Child Loop BB127_11 Depth 3
                                        ;       Child Loop BB127_13 Depth 3
	s_clause 0x2
	scratch_load_b64 v[0:1], off, off offset:204
	scratch_load_b64 v[4:5], off, off offset:212
	scratch_load_b32 v2, off, off offset:200
	s_mul_u64 s[12:13], s[10:11], 0x54
	s_delay_alu instid0(SALU_CYCLE_1) | instskip(SKIP_4) | instid1(VALU_DEP_1)
	s_add_nc_u64 s[12:13], s[0:1], s[12:13]
	s_wait_loadcnt 0x2
	v_mad_nc_u64_u32 v[0:1], 0x54, v0, s[12:13]
	s_wait_loadcnt 0x0
	v_mul_i32_i24_e32 v2, s5, v2
	v_mad_nc_u64_u32 v[2:3], 0x54, v2, v[0:1]
	s_delay_alu instid0(VALU_DEP_1)
	v_add_nc_u64_e32 v[2:3], v[2:3], v[4:5]
	global_load_b32 v2, v[2:3], off offset:16
	scratch_load_b32 v6, off, off offset:228 ; 4-byte Folded Reload
	s_wait_loadcnt 0x0
	ds_store_b32 v6, v2
	scratch_load_b64 v[2:3], off, off offset:248 ; 8-byte Folded Reload
	s_wait_loadcnt 0x0
	v_mad_nc_u64_u32 v[2:3], 0x54, v2, v[0:1]
	s_delay_alu instid0(VALU_DEP_1)
	v_add_nc_u64_e32 v[2:3], v[2:3], v[4:5]
	global_load_b32 v2, v[2:3], off offset:16
	s_wait_xcnt 0x0
	v_add_nc_u32_e32 v3, 0x420, v6
	s_wait_loadcnt 0x0
	ds_store_b32 v3, v2
	scratch_load_b64 v[2:3], off, off offset:256 ; 8-byte Folded Reload
	s_wait_loadcnt 0x0
	v_mad_nc_u64_u32 v[2:3], 0x54, v2, v[0:1]
	s_delay_alu instid0(VALU_DEP_1)
	v_add_nc_u64_e32 v[2:3], v[2:3], v[4:5]
	global_load_b32 v2, v[2:3], off offset:16
	s_wait_xcnt 0x0
	v_add_nc_u32_e32 v3, 0x840, v6
	;; [unrolled: 10-line block ×14, first 2 shown]
	s_wait_loadcnt 0x0
	ds_store_b32 v3, v2
	scratch_load_b64 v[2:3], off, off offset:400 ; 8-byte Folded Reload
	s_wait_loadcnt 0x0
	v_mad_nc_u64_u32 v[0:1], 0x54, v2, v[0:1]
	scratch_load_b64 v[2:3], off, off offset:220 ; 8-byte Folded Reload
	v_add_nc_u64_e32 v[0:1], v[0:1], v[4:5]
	global_load_b32 v0, v[0:1], off offset:16
	s_wait_xcnt 0x0
	v_add_nc_u32_e32 v1, 0x3de0, v6
	s_wait_loadcnt 0x0
	ds_store_b32 v1, v0
	scratch_load_b64 v[0:1], off, off offset:368 ; 8-byte Folded Reload
	s_wait_loadcnt 0x0
	v_mad_nc_u64_u32 v[0:1], 0x54, v0, s[12:13]
	s_delay_alu instid0(VALU_DEP_1)
	v_mad_nc_u64_u32 v[0:1], 0x54, v2, v[0:1]
	global_load_b32 v0, v[0:1], off offset:80
	s_clause 0x1
	scratch_load_b32 v1, off, off offset:240
	scratch_load_b64 v[2:3], off, off offset:232
	s_wait_loadcnt 0x1
	ds_store_b32 v1, v0
	scratch_load_b64 v[0:1], off, off offset:416 ; 8-byte Folded Reload
	s_wait_loadcnt 0x0
	v_mad_nc_u64_u32 v[0:1], 0x54, v0, s[12:13]
	s_lshl_b32 s12, s10, 3
	s_mov_b32 s13, 0
	s_delay_alu instid0(VALU_DEP_1)
	v_add_nc_u64_e32 v[0:1], v[0:1], v[2:3]
	scratch_load_b64 v[2:3], off, off offset:376 ; 8-byte Folded Reload
	s_wait_loadcnt 0x0
	v_mad_nc_u64_u32 v[2:3], 0x54, v2, v[0:1]
	global_load_b32 v2, v[2:3], off
	scratch_load_b32 v3, off, off offset:280 ; 4-byte Folded Reload
	s_wait_loadcnt 0x0
	ds_store_b32 v3, v2
	scratch_load_b64 v[2:3], off, off offset:384 ; 8-byte Folded Reload
	s_wait_loadcnt 0x0
	v_mad_nc_u64_u32 v[2:3], 0x54, v2, v[0:1]
	global_load_b32 v2, v[2:3], off
	scratch_load_b32 v3, off, off offset:284 ; 4-byte Folded Reload
	s_wait_loadcnt 0x0
	ds_store_b32 v3, v2
	;; [unrolled: 7-line block ×4, first 2 shown]
	scratch_load_b32 v0, off, off offset:244 ; 4-byte Folded Reload
	s_wait_loadcnt 0x0
	s_set_vgpr_msb 64                       ;  msbs: dst=1 src0=0 src1=0 src2=0
	v_add_nc_u32_e32 v216 /*v472*/, s12, v0
	s_set_vgpr_msb 4                        ;  msbs: dst=0 src0=0 src1=1 src2=0
	scratch_store_b32 off, v216 /*v472*/, off offset:116 ; 4-byte Folded Spill
	s_set_vgpr_msb 0                        ;  msbs: dst=0 src0=0 src1=0 src2=0
	s_branch .LBB127_9
.LBB127_8:                              ;   in Loop: Header=BB127_9 Depth=2
                                        ; implicit-def: $sgpr13
	s_and_b32 vcc_lo, exec_lo, s15
	s_cbranch_vccnz .LBB127_6
.LBB127_9:                              ;   Parent Loop BB127_7 Depth=1
                                        ; =>  This Loop Header: Depth=2
                                        ;       Child Loop BB127_11 Depth 3
                                        ;       Child Loop BB127_13 Depth 3
	s_lshr_b32 s15, s13, 1
	s_delay_alu instid0(SALU_CYCLE_1) | instskip(NEXT) | instid1(SALU_CYCLE_1)
	s_or_b32 s15, s15, s10
	s_cmp_lt_i32 s15, s5
	s_mov_b32 s15, -1
	s_cbranch_scc0 .LBB127_8
; %bb.10:                               ;   in Loop: Header=BB127_9 Depth=2
	s_wait_loadcnt 0x13
	s_set_vgpr_msb 16                       ;  msbs: dst=0 src0=0 src1=0 src2=1
	v_lshl_add_u32 v0, s13, 5, v167 /*v423*/
	s_or_b32 s16, s13, 1
	s_lshl_b32 s17, s13, 3
	s_lshl_b32 s15, s16, 3
	s_delay_alu instid0(VALU_DEP_1) | instskip(NEXT) | instid1(VALU_DEP_1)
	v_lshrrev_b32_e32 v0, 3, v0
	v_add_nc_u32_e32 v2, s12, v0
	s_wait_loadcnt 0x11
	s_set_vgpr_msb 4                        ;  msbs: dst=0 src0=0 src1=1 src2=0
	s_delay_alu instid0(VALU_DEP_1) | instskip(SKIP_2) | instid1(VALU_DEP_1)
	v_add_nc_u32_e32 v0, v2, v173 /*v429*/
	s_wait_loadcnt 0x1
	s_set_vgpr_msb 16                       ;  msbs: dst=0 src0=0 src1=0 src2=1
	v_mad_nc_i64_i32 v[0:1], v0, 36, v[202:203] /*v[458:459]*/
	global_load_b32 v0, v[0:1], off offset:4
	s_wait_loadcnt 0x0
	s_set_vgpr_msb 1                        ;  msbs: dst=0 src0=1 src1=0 src2=0
	ds_store_b32 v192 /*v448*/, v0
	s_wait_xcnt 0x0
	s_set_vgpr_msb 4                        ;  msbs: dst=0 src0=0 src1=1 src2=0
	v_add_nc_u32_e32 v0, v2, v174 /*v430*/
	s_set_vgpr_msb 16                       ;  msbs: dst=0 src0=0 src1=0 src2=1
	s_delay_alu instid0(VALU_DEP_1)
	v_mad_nc_i64_i32 v[0:1], v0, 36, v[202:203] /*v[458:459]*/
	global_load_b32 v0, v[0:1], off offset:4
	s_wait_loadcnt 0x0
	s_set_vgpr_msb 1                        ;  msbs: dst=0 src0=1 src1=0 src2=0
	ds_store_b32 v193 /*v449*/, v0
	s_wait_xcnt 0x0
	s_set_vgpr_msb 4                        ;  msbs: dst=0 src0=0 src1=1 src2=0
	v_add_nc_u32_e32 v0, v2, v175 /*v431*/
	s_set_vgpr_msb 16                       ;  msbs: dst=0 src0=0 src1=0 src2=1
	s_delay_alu instid0(VALU_DEP_1)
	;; [unrolled: 10-line block ×7, first 2 shown]
	v_mad_nc_i64_i32 v[0:1], v0, 36, v[202:203] /*v[458:459]*/
	global_load_b32 v0, v[0:1], off offset:4
	s_wait_loadcnt 0x0
	s_set_vgpr_msb 1                        ;  msbs: dst=0 src0=1 src1=0 src2=0
	ds_store_b32 v199 /*v455*/, v0
	s_wait_xcnt 0x0
	s_set_vgpr_msb 16                       ;  msbs: dst=0 src0=0 src1=0 src2=1
	v_lshl_add_u32 v0, s13, 2, v216 /*v472*/
	s_delay_alu instid0(VALU_DEP_1)
	v_mad_nc_u64_u32 v[0:1], v0, 36, s[2:3]
	global_load_b32 v0, v[0:1], off
	s_wait_loadcnt 0x0
	s_wait_xcnt 0x0
	v_cvt_f32_f16_e32 v0, v0
	s_set_vgpr_msb 1                        ;  msbs: dst=0 src0=1 src1=0 src2=0
	ds_store_b32 v172 /*v428*/, v0
	s_wait_storecnt_dscnt 0x0
	s_barrier_signal -1
	s_barrier_wait -1
.LBB127_11:                             ;   Parent Loop BB127_7 Depth=1
                                        ;     Parent Loop BB127_9 Depth=2
                                        ; =>    This Inner Loop Header: Depth=3
	s_lshl_b32 s18, s17, 2
	s_and_b32 s19, s17, 0x3ffffff8
	s_and_b32 s18, s18, 24
	s_set_vgpr_msb 16                       ;  msbs: dst=0 src0=0 src1=0 src2=1
	v_lshl_add_u32 v221, s19, 2, v212 /*v468*/
	s_set_vgpr_msb 4                        ;  msbs: dst=0 src0=0 src1=1 src2=0
	v_or_b32_e32 v22, s18, v211 /*v467*/
	v_or_b32_e32 v20, s18, v181 /*v437*/
	;; [unrolled: 1-line block ×5, first 2 shown]
	s_set_vgpr_msb 0                        ;  msbs: dst=0 src0=0 src1=0 src2=0
	v_dual_lshlrev_b32 v4, 2, v22 :: v_dual_lshlrev_b32 v17, 2, v20
	v_lshlrev_b32_e32 v12, 2, v16
	s_set_vgpr_msb 4                        ;  msbs: dst=0 src0=0 src1=1 src2=0
	v_or_b32_e32 v18, s18, v184 /*v440*/
	s_and_b32 s19, s17, 0x7ffffffe
	ds_load_b128 v[0:3], v4 offset:16896
	ds_load_b128 v[4:7], v4 offset:16912
	;; [unrolled: 1-line block ×5, first 2 shown]
	s_addk_co_i32 s19, 0x6200
	s_wait_dscnt 0x4
	s_set_vgpr_msb 64                       ;  msbs: dst=1 src0=0 src1=0 src2=0
	v_bfe_i32 v5 /*v261*/, v0, 0, 8
	s_set_vgpr_msb 0                        ;  msbs: dst=0 src0=0 src1=0 src2=0
	v_bfe_i32 v12, v0, 8, 8
	v_bfe_i32 v13, v0, 16, 8
	s_wait_dscnt 0x3
	v_dual_ashrrev_i32 v14, 24, v0 :: v_dual_ashrrev_i32 v138, 24, v5
	s_set_vgpr_msb 64                       ;  msbs: dst=1 src0=0 src1=0 src2=0
	v_bfe_i32 v9 /*v265*/, v1, 0, 8
	v_bfe_i32 v6 /*v262*/, v1, 8, 8
	;; [unrolled: 1-line block ×3, first 2 shown]
	s_wait_dscnt 0x2
	v_dual_ashrrev_i32 v8 /*v264*/, 24, v1 :: v_dual_ashrrev_i32 v17 /*v273*/, 24, v8
	v_bfe_i32 v10 /*v266*/, v2, 0, 8
	s_set_vgpr_msb 0                        ;  msbs: dst=0 src0=0 src1=0 src2=0
	v_bfe_i32 v15, v2, 8, 8
	v_bfe_i32 v117, v2, 16, 8
	v_ashrrev_i32_e32 v119, 24, v2
	v_bfe_i32 v45, v3, 0, 8
	v_bfe_i32 v46, v3, 8, 8
	v_dual_ashrrev_i32 v123, 24, v6 :: v_dual_ashrrev_i32 v29, 24, v3
	v_bfe_i32 v28, v3, 16, 8
	ds_load_b128 v[0:3], v17 offset:16912
	s_set_vgpr_msb 4                        ;  msbs: dst=0 src0=0 src1=1 src2=0
	v_or_b32_e32 v17, s18, v185 /*v441*/
	s_set_vgpr_msb 64                       ;  msbs: dst=1 src0=0 src1=0 src2=0
	v_bfe_i32 v15 /*v271*/, v8, 0, 8
	v_bfe_i32 v16 /*v272*/, v8, 8, 8
	;; [unrolled: 1-line block ×3, first 2 shown]
	s_wait_dscnt 0x2
	s_set_vgpr_msb 0                        ;  msbs: dst=0 src0=0 src1=0 src2=0
	v_dual_ashrrev_i32 v245, 24, v35 :: v_dual_ashrrev_i32 v128, 24, v36
	v_lshlrev_b32_e32 v8, 2, v17
	v_bfe_i32 v202, v36, 0, 8
	v_bfe_i32 v212, v36, 8, 8
	;; [unrolled: 1-line block ×3, first 2 shown]
	v_ashrrev_i32_e32 v36, 24, v37
	v_bfe_i32 v171, v4, 0, 8
	v_bfe_i32 v174, v4, 8, 8
	v_bfe_i32 v41, v4, 16, 8
	v_dual_ashrrev_i32 v52, 24, v4 :: v_dual_ashrrev_i32 v67, 24, v9
	s_wait_dscnt 0x1
	v_dual_ashrrev_i32 v55, 24, v61 :: v_dual_ashrrev_i32 v254, 24, v34
	v_bfe_i32 v251, v34, 0, 8
	s_wait_dscnt 0x0
	v_ashrrev_i32_e32 v33, 24, v3
	v_bfe_i32 v215, v0, 0, 8
	v_bfe_i32 v216, v0, 8, 8
	;; [unrolled: 1-line block ×3, first 2 shown]
	v_ashrrev_i32_e32 v156, 24, v0
	v_bfe_i32 v218, v1, 0, 8
	v_bfe_i32 v219, v1, 8, 8
	;; [unrolled: 1-line block ×3, first 2 shown]
	v_dual_ashrrev_i32 v158, 24, v1 :: v_dual_ashrrev_i32 v132, 24, v2
	v_bfe_i32 v141, v2, 0, 8
	v_bfe_i32 v143, v2, 8, 8
	;; [unrolled: 1-line block ×6, first 2 shown]
	ds_load_b128 v[0:3], v8 offset:16896
	v_bfe_i32 v252, v34, 8, 8
	v_bfe_i32 v253, v34, 16, 8
	v_lshlrev_b32_e32 v4, 2, v21
	v_bfe_i32 v204, v5, 0, 8
	v_bfe_i32 v205, v5, 8, 8
	;; [unrolled: 1-line block ×8, first 2 shown]
	v_dual_ashrrev_i32 v122, 24, v62 :: v_dual_ashrrev_i32 v25, 24, v7
	v_bfe_i32 v24, v7, 16, 8
	v_bfe_i32 v255, v35, 0, 8
	s_set_vgpr_msb 64                       ;  msbs: dst=1 src0=0 src1=0 src2=0
	v_bfe_i32 v0 /*v256*/, v35, 8, 8
	s_set_vgpr_msb 0                        ;  msbs: dst=0 src0=0 src1=0 src2=0
	v_bfe_i32 v244, v35, 16, 8
	v_bfe_i32 v80, v37, 0, 8
	;; [unrolled: 1-line block ×3, first 2 shown]
	s_wait_dscnt 0x0
	v_ashrrev_i32_e32 v34, 24, v3
	v_bfe_i32 v35, v37, 16, 8
	s_set_vgpr_msb 64                       ;  msbs: dst=1 src0=0 src1=0 src2=0
	v_bfe_i32 v22 /*v278*/, v0, 0, 8
	v_bfe_i32 v23 /*v279*/, v0, 8, 8
	;; [unrolled: 1-line block ×3, first 2 shown]
	v_ashrrev_i32_e32 v25 /*v281*/, 24, v0
	v_bfe_i32 v26 /*v282*/, v1, 0, 8
	v_bfe_i32 v27 /*v283*/, v1, 8, 8
	s_set_vgpr_msb 0                        ;  msbs: dst=0 src0=0 src1=0 src2=0
	v_bfe_i32 v246, v1, 16, 8
	v_dual_ashrrev_i32 v247, 24, v1 :: v_dual_ashrrev_i32 v130, 24, v2
	v_bfe_i32 v137, v2, 0, 8
	v_bfe_i32 v139, v2, 8, 8
	;; [unrolled: 1-line block ×6, first 2 shown]
	ds_load_b128 v[0:3], v4 offset:16896
	ds_load_b128 v[4:7], v4 offset:16912
	v_dual_ashrrev_i32 v31, 24, v63 :: v_dual_ashrrev_i32 v54, 24, v60
	v_bfe_i32 v133, v60, 16, 8
	v_bfe_i32 v145, v60, 8, 8
	;; [unrolled: 1-line block ×3, first 2 shown]
	s_set_vgpr_msb 64                       ;  msbs: dst=1 src0=0 src1=0 src2=0
	v_bfe_i32 v18 /*v274*/, v9, 0, 8
	s_set_vgpr_msb 4                        ;  msbs: dst=0 src0=0 src1=1 src2=0
	v_or_b32_e32 v19, s18, v186 /*v442*/
	v_bfe_i32 v134, v61, 16, 8
	v_bfe_i32 v124, v62, 16, 8
	;; [unrolled: 1-line block ×9, first 2 shown]
	s_and_b32 s18, s17, 6
	v_bfe_i32 v198, v10, 0, 8
	s_wait_dscnt 0x1
	s_set_vgpr_msb 64                       ;  msbs: dst=1 src0=0 src1=0 src2=0
	v_bfe_i32 v30 /*v286*/, v0, 0, 8
	v_bfe_i32 v31 /*v287*/, v0, 8, 8
	;; [unrolled: 1-line block ×3, first 2 shown]
	v_ashrrev_i32_e32 v32 /*v288*/, 24, v0
	v_bfe_i32 v33 /*v289*/, v1, 0, 8
	v_bfe_i32 v34 /*v290*/, v1, 8, 8
	s_set_vgpr_msb 0                        ;  msbs: dst=0 src0=0 src1=0 src2=0
	v_bfe_i32 v249, v1, 16, 8
	v_dual_ashrrev_i32 v250, 24, v1 :: v_dual_ashrrev_i32 v142, 24, v2
	v_bfe_i32 v65, v2, 0, 8
	v_bfe_i32 v191, v2, 8, 8
	;; [unrolled: 1-line block ×5, first 2 shown]
	s_wait_dscnt 0x0
	v_dual_ashrrev_i32 v38, 24, v3 :: v_dual_ashrrev_i32 v165, 24, v4
	v_bfe_i32 v39, v3, 16, 8
	ds_load_b128 v[0:3], v8 offset:16912
	v_bfe_i32 v172, v4, 0, 8
	v_bfe_i32 v173, v4, 8, 8
	;; [unrolled: 1-line block ×3, first 2 shown]
	v_lshlrev_b32_e32 v4, 2, v23
	v_ashrrev_i32_e32 v44, 24, v7
	v_bfe_i32 v227, v5, 0, 8
	v_bfe_i32 v228, v5, 8, 8
	;; [unrolled: 1-line block ×6, first 2 shown]
	v_dual_ashrrev_i32 v166, 24, v5 :: v_dual_ashrrev_i32 v136, 24, v6
	v_bfe_i32 v135, v6, 16, 8
	v_bfe_i32 v109, v7, 8, 8
	;; [unrolled: 1-line block ×5, first 2 shown]
	v_dual_ashrrev_i32 v126, 24, v10 :: v_dual_ashrrev_i32 v27, 24, v11
	s_wait_dscnt 0x0
	v_bfe_i32 v230, v0, 0, 8
	v_bfe_i32 v231, v0, 8, 8
	;; [unrolled: 1-line block ×6, first 2 shown]
	v_dual_ashrrev_i32 v185, 24, v0 :: v_dual_ashrrev_i32 v186, 24, v1
	v_ashrrev_i32_e32 v146, 24, v2
	v_bfe_i32 v144, v2, 16, 8
	v_bfe_i32 v108, v3, 8, 8
	;; [unrolled: 1-line block ×3, first 2 shown]
	v_ashrrev_i32_e32 v42, 24, v3
	v_bfe_i32 v194, v2, 0, 8
	v_bfe_i32 v110, v3, 0, 8
	;; [unrolled: 1-line block ×3, first 2 shown]
	ds_load_b128 v[0:3], v4 offset:16912
	v_bfe_i32 v50, v11, 0, 8
	v_bfe_i32 v49, v11, 8, 8
	;; [unrolled: 1-line block ×3, first 2 shown]
	s_set_vgpr_msb 64                       ;  msbs: dst=1 src0=0 src1=0 src2=0
	v_bfe_i32 v19 /*v275*/, v9, 8, 8
	s_set_vgpr_msb 0                        ;  msbs: dst=0 src0=0 src1=0 src2=0
	v_bfe_i32 v66, v9, 16, 8
	s_wait_dscnt 0x0
	v_bfe_i32 v224, v0, 0, 8
	v_bfe_i32 v222, v0, 8, 8
	;; [unrolled: 1-line block ×3, first 2 shown]
	v_ashrrev_i32_e32 v161, 24, v0
	v_bfe_i32 v225, v1, 0, 8
	v_bfe_i32 v223, v1, 8, 8
	;; [unrolled: 1-line block ×3, first 2 shown]
	v_ashrrev_i32_e32 v163, 24, v1
	v_bfe_i32 v206, v2, 0, 8
	v_bfe_i32 v207, v2, 8, 8
	;; [unrolled: 1-line block ×3, first 2 shown]
	v_dual_ashrrev_i32 v170, 24, v2 :: v_dual_ashrrev_i32 v57, 24, v3
	v_bfe_i32 v111, v3, 0, 8
	v_bfe_i32 v112, v3, 8, 8
	;; [unrolled: 1-line block ×3, first 2 shown]
	ds_load_b128 v[0:3], v4 offset:16896
	v_lshlrev_b32_e32 v4, 2, v18
	s_wait_dscnt 0x0
	s_set_vgpr_msb 64                       ;  msbs: dst=1 src0=0 src1=0 src2=0
	v_bfe_i32 v35 /*v291*/, v0, 0, 8
	v_bfe_i32 v42 /*v298*/, v0, 8, 8
	v_bfe_i32 v43 /*v299*/, v0, 16, 8
	v_dual_ashrrev_i32 v44 /*v300*/, 24, v0 :: v_dual_ashrrev_i32 v2 /*v258*/, 24, v1
	v_bfe_i32 v45 /*v301*/, v1, 0, 8
	v_bfe_i32 v46 /*v302*/, v1, 8, 8
	;; [unrolled: 1-line block ×3, first 2 shown]
	s_set_vgpr_msb 0                        ;  msbs: dst=0 src0=0 src1=0 src2=0
	v_bfe_i32 v208, v2, 0, 8
	v_bfe_i32 v209, v2, 8, 8
	;; [unrolled: 1-line block ×3, first 2 shown]
	v_dual_ashrrev_i32 v176, 24, v2 :: v_dual_ashrrev_i32 v60, 24, v3
	v_bfe_i32 v113, v3, 0, 8
	v_bfe_i32 v114, v3, 8, 8
	;; [unrolled: 1-line block ×3, first 2 shown]
	ds_load_b128 v[0:3], v4 offset:16896
	ds_load_b128 v[4:7], v4 offset:16912
	s_wait_dscnt 0x0
	v_dual_ashrrev_i32 v178, 24, v2 :: v_dual_ashrrev_i32 v187, 24, v4
	v_bfe_i32 v241, v4, 0, 8
	v_bfe_i32 v239, v4, 8, 8
	;; [unrolled: 1-line block ×3, first 2 shown]
	v_lshlrev_b32_e32 v4, 2, v19
	s_set_vgpr_msb 64                       ;  msbs: dst=1 src0=0 src1=0 src2=0
	v_bfe_i32 v47 /*v303*/, v0, 0, 8
	v_bfe_i32 v48 /*v304*/, v0, 8, 8
	;; [unrolled: 1-line block ×3, first 2 shown]
	v_dual_ashrrev_i32 v50 /*v306*/, 24, v0 :: v_dual_ashrrev_i32 v4 /*v260*/, 24, v1
	v_bfe_i32 v51 /*v307*/, v1, 0, 8
	v_bfe_i32 v52 /*v308*/, v1, 8, 8
	;; [unrolled: 1-line block ×3, first 2 shown]
	s_set_vgpr_msb 0                        ;  msbs: dst=0 src0=0 src1=0 src2=0
	v_bfe_i32 v210, v2, 0, 8
	v_bfe_i32 v211, v2, 8, 8
	;; [unrolled: 1-line block ×6, first 2 shown]
	v_ashrrev_i32_e32 v62, 24, v3
	ds_load_i8 v149, v4 offset:16911
	ds_load_b128 v[0:3], v4 offset:16896
	v_dual_ashrrev_i32 v192, 24, v5 :: v_dual_ashrrev_i32 v180, 24, v6
	v_bfe_i32 v213, v6, 0, 8
	v_bfe_i32 v214, v6, 8, 8
	;; [unrolled: 1-line block ×6, first 2 shown]
	v_ashrrev_i32_e32 v148, 24, v7
	v_bfe_i32 v243, v5, 0, 8
	v_bfe_i32 v242, v5, 8, 8
	;; [unrolled: 1-line block ×3, first 2 shown]
	s_wait_dscnt 0x0
	s_set_vgpr_msb 64                       ;  msbs: dst=1 src0=0 src1=0 src2=0
	v_lshrrev_b16 v13 /*v269*/, 8, v0
	v_dual_ashrrev_i32 v56 /*v312*/, 24, v0 :: v_dual_ashrrev_i32 v11 /*v267*/, 24, v1
	v_bfe_i32 v57 /*v313*/, v0, 0, 8
	v_bfe_i32 v58 /*v314*/, v0, 16, 8
	s_set_vgpr_msb 0                        ;  msbs: dst=0 src0=0 src1=0 src2=0
	v_add_nc_u32_e32 v0, 0x1080, v221
	ds_load_2addr_b32 v[6:7], v0 offset1:1
	ds_load_i8 v151, v4 offset:16927
	s_set_vgpr_msb 64                       ;  msbs: dst=1 src0=0 src1=0 src2=0
	v_lshrrev_b16 v53 /*v309*/, 8, v1
	v_lshrrev_b16 v54 /*v310*/, 8, v2
	;; [unrolled: 1-line block ×3, first 2 shown]
	v_bfe_i32 v59 /*v315*/, v1, 0, 8
	v_bfe_i32 v12 /*v268*/, v1, 16, 8
	s_set_vgpr_msb 0                        ;  msbs: dst=0 src0=0 src1=0 src2=0
	v_ashrrev_i32_e32 v181, 24, v2
	v_bfe_i32 v182, v2, 16, 8
	v_bfe_i32 v217, v2, 0, 8
	v_ashrrev_i32_e32 v78, 24, v3
	v_bfe_i32 v150, v3, 16, 8
	v_bfe_i32 v83, v3, 0, 8
	ds_load_b128 v[0:3], v4 offset:16912
	s_set_vgpr_msb 0x41                     ;  msbs: dst=1 src0=1 src1=0 src2=0
	v_bfe_i32 v127 /*v383*/, v13 /*v269*/, 0, 8
	v_bfe_i32 v53 /*v309*/, v53 /*v309*/, 0, 8
	s_wait_dscnt 0x2
	s_set_vgpr_msb 0                        ;  msbs: dst=0 src0=0 src1=0 src2=0
	v_dual_ashrrev_i32 v5, s18, v7 :: v_dual_ashrrev_i32 v6, s18, v6
	s_set_vgpr_msb 64                       ;  msbs: dst=1 src0=0 src1=0 src2=0
	s_delay_alu instid0(VALU_DEP_1) | instskip(SKIP_2) | instid1(VALU_DEP_2)
	v_bfe_u32 v85 /*v341*/, v6, 24, 2
	v_bfe_u32 v86 /*v342*/, v6, 16, 2
	s_set_vgpr_msb 0x45                     ;  msbs: dst=1 src0=1 src1=1 src2=0
	v_mul_i32_i24_e32 v88 /*v344*/, v85 /*v341*/, v17 /*v273*/
	s_delay_alu instid0(VALU_DEP_2)
	v_mul_i32_i24_e32 v87 /*v343*/, v86 /*v342*/, v14 /*v270*/
	s_wait_dscnt 0x0
	s_set_vgpr_msb 0                        ;  msbs: dst=0 src0=0 src1=0 src2=0
	v_ashrrev_i32_e32 v183, 24, v2
	s_set_vgpr_msb 64                       ;  msbs: dst=1 src0=0 src1=0 src2=0
	v_and_b32_e32 v62 /*v318*/, 3, v5
	s_set_vgpr_msb 0                        ;  msbs: dst=0 src0=0 src1=0 src2=0
	v_lshrrev_b16 v7, 8, v0
	v_bfe_i32 v238, v0, 16, 8
	v_bfe_i32 v232, v0, 0, 8
	v_ashrrev_i32_e32 v229, 24, v0
	s_set_vgpr_msb 64                       ;  msbs: dst=1 src0=0 src1=0 src2=0
	v_bfe_u32 v61 /*v317*/, v5, 8, 2
	v_bfe_u32 v63 /*v319*/, v5, 16, 2
	;; [unrolled: 1-line block ×3, first 2 shown]
	s_set_vgpr_msb 5                        ;  msbs: dst=0 src0=1 src1=1 src2=0
	v_mul_i32_i24_e32 v0, v62 /*v318*/, v9 /*v265*/
	s_set_vgpr_msb 64                       ;  msbs: dst=1 src0=0 src1=0 src2=0
	v_lshrrev_b16 v60 /*v316*/, 8, v1
	s_set_vgpr_msb 0                        ;  msbs: dst=0 src0=0 src1=0 src2=0
	v_lshrrev_b16 v248, 8, v2
	v_bfe_i32 v240, v1, 16, 8
	v_bfe_i32 v236, v1, 0, 8
	v_ashrrev_i32_e32 v233, 24, v1
	v_bfe_i32 v184, v2, 16, 8
	v_bfe_i32 v220, v2, 0, 8
	s_set_vgpr_msb 5                        ;  msbs: dst=0 src0=1 src1=1 src2=0
	v_mad_i32_i24 v0, v61 /*v317*/, v6 /*v262*/, v0
	v_mul_i32_i24_e32 v1, v63 /*v319*/, v7 /*v263*/
	v_mul_i32_i24_e32 v2, v64 /*v320*/, v8 /*v264*/
	s_set_vgpr_msb 0                        ;  msbs: dst=0 src0=0 src1=0 src2=0
	v_lshrrev_b16 v226, 8, v3
	v_bfe_i32 v152, v3, 16, 8
	v_bfe_i32 v121, v3, 0, 8
	s_set_vgpr_msb 0x45                     ;  msbs: dst=1 src0=1 src1=1 src2=0
	v_mul_i32_i24_e32 v13 /*v269*/, v56 /*v312*/, v85 /*v341*/
	s_set_vgpr_msb 64                       ;  msbs: dst=1 src0=0 src1=0 src2=0
	v_add3_u32 v29 /*v285*/, v0, v1, v2
	s_set_vgpr_msb 20                       ;  msbs: dst=0 src0=0 src1=1 src2=1
	v_add3_u32 v0, s19, v205 /*v461*/, v188 /*v444*/
	s_set_vgpr_msb 0                        ;  msbs: dst=0 src0=0 src1=0 src2=0
	v_add_nc_u32_e32 v1, 0x1098, v221
	s_set_vgpr_msb 0x41                     ;  msbs: dst=1 src0=1 src1=0 src2=0
	v_bfe_i32 v60 /*v316*/, v60 /*v316*/, 0, 8
	s_set_vgpr_msb 0                        ;  msbs: dst=0 src0=0 src1=0 src2=0
	v_bfe_i32 v248, v248, 0, 8
	v_bfe_i32 v226, v226, 0, 8
	ds_load_u16 v153, v0
	v_add_nc_u32_e32 v0, 0x1090, v221
	ds_load_2addr_b32 v[10:11], v0 offset1:1
	ds_load_2addr_b32 v[0:1], v1 offset1:1
	s_wait_dscnt 0x1
	v_dual_ashrrev_i32 v237, 24, v3 :: v_dual_ashrrev_i32 v2, s18, v10
	s_set_vgpr_msb 64                       ;  msbs: dst=1 src0=0 src1=0 src2=0
	v_ashrrev_i32_e32 v154 /*v410*/, s18, v11
	s_wait_dscnt 0x0
	s_set_vgpr_msb 0                        ;  msbs: dst=0 src0=0 src1=0 src2=0
	v_dual_ashrrev_i32 v0, s18, v0 :: v_dual_bitop2_b32 v10, 3, v2 bitop3:0x40
	s_set_vgpr_msb 64                       ;  msbs: dst=1 src0=0 src1=0 src2=0
	v_bfe_u32 v20 /*v276*/, v2, 8, 2
	v_bfe_u32 v24 /*v280*/, v2, 16, 2
	;; [unrolled: 1-line block ×3, first 2 shown]
	s_set_vgpr_msb 0x41                     ;  msbs: dst=1 src0=1 src1=0 src2=0
	v_bfe_u32 v155 /*v411*/, v154 /*v410*/, 8, 2
	s_set_vgpr_msb 0                        ;  msbs: dst=0 src0=0 src1=0 src2=0
	v_mul_i32_i24_e32 v2, v10, v171
	s_set_vgpr_msb 1                        ;  msbs: dst=0 src0=1 src1=0 src2=0
	v_mul_i32_i24_e32 v3, v24 /*v280*/, v41
	v_mul_i32_i24_e32 v4, v65 /*v321*/, v52
	s_set_vgpr_msb 0x41                     ;  msbs: dst=1 src0=1 src1=0 src2=0
	v_mul_i32_i24_e32 v89 /*v345*/, v65 /*v321*/, v156
	s_set_vgpr_msb 1                        ;  msbs: dst=0 src0=1 src1=0 src2=0
	v_mad_i32_i24 v2, v20 /*v276*/, v174, v2
	v_mul_i32_i24_e32 v11, v155 /*v411*/, v205
	s_set_vgpr_msb 64                       ;  msbs: dst=1 src0=0 src1=0 src2=0
	s_delay_alu instid0(VALU_DEP_2)
	v_add3_u32 v66 /*v322*/, v2, v3, v4
	s_set_vgpr_msb 0                        ;  msbs: dst=0 src0=0 src1=0 src2=0
	v_add_nc_u32_e32 v2, 0x2100, v221
	v_add_nc_u32_e32 v3, 0x2108, v221
	;; [unrolled: 1-line block ×3, first 2 shown]
	ds_load_2addr_b32 v[8:9], v2 offset1:1
	ds_load_2addr_b32 v[2:3], v3 offset1:1
	s_set_vgpr_msb 64                       ;  msbs: dst=1 src0=0 src1=0 src2=0
	ds_load_2addr_b32 v[36:37] /*v[292:293]*/, v4 offset1:1
	s_wait_dscnt 0x1
	s_set_vgpr_msb 0                        ;  msbs: dst=0 src0=0 src1=0 src2=0
	v_dual_ashrrev_i32 v4, s18, v9 :: v_dual_ashrrev_i32 v3, s18, v3
	s_wait_dscnt 0x0
	s_set_vgpr_msb 0x44                     ;  msbs: dst=1 src0=0 src1=1 src2=0
	v_ashrrev_i32_e32 v37 /*v293*/, s18, v37 /*v293*/
	s_set_vgpr_msb 64                       ;  msbs: dst=1 src0=0 src1=0 src2=0
	v_and_b32_e32 v67 /*v323*/, 3, v4
	v_bfe_u32 v68 /*v324*/, v4, 8, 2
	v_bfe_u32 v69 /*v325*/, v4, 16, 2
	v_bfe_u32 v70 /*v326*/, v4, 24, 2
	s_set_vgpr_msb 0x41                     ;  msbs: dst=1 src0=1 src1=0 src2=0
	v_bfe_u32 v156 /*v412*/, v37 /*v293*/, 8, 2
	s_set_vgpr_msb 5                        ;  msbs: dst=0 src0=1 src1=1 src2=0
	v_mul_i32_i24_e32 v4, v67 /*v323*/, v9 /*v265*/
	v_mul_i32_i24_e32 v5, v69 /*v325*/, v7 /*v263*/
	;; [unrolled: 1-line block ×3, first 2 shown]
	s_delay_alu instid0(VALU_DEP_3) | instskip(SKIP_1) | instid1(VALU_DEP_1)
	v_mad_i32_i24 v4, v68 /*v324*/, v6 /*v262*/, v4
	s_set_vgpr_msb 64                       ;  msbs: dst=1 src0=0 src1=0 src2=0
	v_add3_u32 v71 /*v327*/, v4, v5, v9
	s_set_vgpr_msb 4                        ;  msbs: dst=0 src0=0 src1=1 src2=0
	v_ashrrev_i32_e32 v4, s18, v36 /*v292*/
	s_set_vgpr_msb 0                        ;  msbs: dst=0 src0=0 src1=0 src2=0
	s_delay_alu instid0(VALU_DEP_1)
	v_and_b32_e32 v9, 3, v4
	s_set_vgpr_msb 64                       ;  msbs: dst=1 src0=0 src1=0 src2=0
	v_bfe_u32 v36 /*v292*/, v4, 8, 2
	v_bfe_u32 v72 /*v328*/, v4, 16, 2
	;; [unrolled: 1-line block ×3, first 2 shown]
	s_set_vgpr_msb 0                        ;  msbs: dst=0 src0=0 src1=0 src2=0
	v_mul_i32_i24_e32 v4, v9, v171
	s_set_vgpr_msb 1                        ;  msbs: dst=0 src0=1 src1=0 src2=0
	v_mul_i32_i24_e32 v5, v72 /*v328*/, v41
	v_mul_i32_i24_e32 v154, v73 /*v329*/, v52
	s_set_vgpr_msb 0x41                     ;  msbs: dst=1 src0=1 src1=0 src2=0
	v_mul_i32_i24_e32 v94 /*v350*/, v73 /*v329*/, v156
	s_set_vgpr_msb 1                        ;  msbs: dst=0 src0=1 src1=0 src2=0
	v_mad_i32_i24 v4, v36 /*v292*/, v174, v4
	s_set_vgpr_msb 64                       ;  msbs: dst=1 src0=0 src1=0 src2=0
	s_delay_alu instid0(VALU_DEP_1)
	v_add3_u32 v74 /*v330*/, v4, v5, v154
	s_set_vgpr_msb 0                        ;  msbs: dst=0 src0=0 src1=0 src2=0
	v_add_nc_u32_e32 v4, 0x3180, v221
	s_set_vgpr_msb 64                       ;  msbs: dst=1 src0=0 src1=0 src2=0
	ds_load_2addr_b32 v[38:39] /*v[294:295]*/, v4 offset1:1
	s_wait_dscnt 0x0
	s_set_vgpr_msb 4                        ;  msbs: dst=0 src0=0 src1=1 src2=0
	v_ashrrev_i32_e32 v4, s18, v39 /*v295*/
	s_set_vgpr_msb 64                       ;  msbs: dst=1 src0=0 src1=0 src2=0
	s_delay_alu instid0(VALU_DEP_1)
	v_and_b32_e32 v75 /*v331*/, 3, v4
	v_bfe_u32 v76 /*v332*/, v4, 8, 2
	v_bfe_u32 v77 /*v333*/, v4, 16, 2
	;; [unrolled: 1-line block ×3, first 2 shown]
	s_set_vgpr_msb 5                        ;  msbs: dst=0 src0=1 src1=1 src2=0
	v_mul_i32_i24_e32 v4, v75 /*v331*/, v9 /*v265*/
	s_delay_alu instid0(VALU_DEP_3) | instskip(NEXT) | instid1(VALU_DEP_3)
	v_mul_i32_i24_e32 v5, v77 /*v333*/, v7 /*v263*/
	v_mul_i32_i24_e32 v154, v78 /*v334*/, v8 /*v264*/
	s_delay_alu instid0(VALU_DEP_3) | instskip(SKIP_1) | instid1(VALU_DEP_1)
	v_mad_i32_i24 v4, v76 /*v332*/, v6 /*v262*/, v4
	s_set_vgpr_msb 64                       ;  msbs: dst=1 src0=0 src1=0 src2=0
	v_add3_u32 v79 /*v335*/, v4, v5, v154
	s_set_vgpr_msb 20                       ;  msbs: dst=0 src0=0 src1=1 src2=1
	v_add3_u32 v4, s19, v209 /*v465*/, v200 /*v456*/
	s_set_vgpr_msb 0                        ;  msbs: dst=0 src0=0 src1=0 src2=0
	v_add_nc_u32_e32 v5, 0x3198, v221
	ds_load_u16 v154, v4
	v_add_nc_u32_e32 v4, 0x3190, v221
	s_set_vgpr_msb 64                       ;  msbs: dst=1 src0=0 src1=0 src2=0
	ds_load_2addr_b32 v[40:41] /*v[296:297]*/, v4 offset1:1
	s_set_vgpr_msb 0                        ;  msbs: dst=0 src0=0 src1=0 src2=0
	ds_load_2addr_b32 v[4:5], v5 offset1:1
	s_wait_dscnt 0x1
	s_set_vgpr_msb 0x44                     ;  msbs: dst=1 src0=0 src1=1 src2=0
	v_dual_ashrrev_i32 v39 /*v295*/, s18, v40 /*v296*/ :: v_dual_ashrrev_i32 v41 /*v297*/, s18, v41 /*v297*/
	s_wait_dscnt 0x0
	s_set_vgpr_msb 0                        ;  msbs: dst=0 src0=0 src1=0 src2=0
	v_dual_ashrrev_i32 v4, s18, v4 :: v_dual_ashrrev_i32 v5, s18, v5
	s_set_vgpr_msb 0x44                     ;  msbs: dst=1 src0=0 src1=1 src2=0
	v_and_b32_e32 v40 /*v296*/, 3, v39 /*v295*/
	s_set_vgpr_msb 0x51                     ;  msbs: dst=1 src0=1 src1=0 src2=1
	v_bfe_u32 v80 /*v336*/, v39 /*v295*/, 8, 2
	v_bfe_u32 v81 /*v337*/, v39 /*v295*/, 16, 2
	;; [unrolled: 1-line block ×3, first 2 shown]
	v_mul_i32_i24_e32 v82 /*v338*/, v40 /*v296*/, v171
	s_delay_alu instid0(VALU_DEP_3) | instskip(NEXT) | instid1(VALU_DEP_3)
	v_mul_i32_i24_e32 v83 /*v339*/, v81 /*v337*/, v41
	v_mul_i32_i24_e32 v84 /*v340*/, v39 /*v295*/, v52
	s_delay_alu instid0(VALU_DEP_3) | instskip(SKIP_1) | instid1(VALU_DEP_1)
	v_mad_i32_i24 v82 /*v338*/, v80 /*v336*/, v174, v82 /*v338*/
	s_set_vgpr_msb 0x55                     ;  msbs: dst=1 src0=1 src1=1 src2=1
	v_add3_u32 v82 /*v338*/, v82 /*v338*/, v83 /*v339*/, v84 /*v340*/
	s_set_vgpr_msb 64                       ;  msbs: dst=1 src0=0 src1=0 src2=0
	v_and_b32_e32 v83 /*v339*/, 3, v6
	v_bfe_u32 v84 /*v340*/, v6, 8, 2
	s_set_vgpr_msb 5                        ;  msbs: dst=0 src0=1 src1=1 src2=0
	s_delay_alu instid0(VALU_DEP_2) | instskip(NEXT) | instid1(VALU_DEP_1)
	v_mul_i32_i24_e32 v6, v83 /*v339*/, v15 /*v271*/
	v_mad_i32_i24 v6, v84 /*v340*/, v16 /*v272*/, v6
	s_set_vgpr_msb 0x54                     ;  msbs: dst=1 src0=0 src1=1 src2=1
	s_delay_alu instid0(VALU_DEP_1)
	v_add3_u32 v87 /*v343*/, v6, v87 /*v343*/, v88 /*v344*/
	s_set_vgpr_msb 0                        ;  msbs: dst=0 src0=0 src1=0 src2=0
	v_mul_i32_i24_e32 v6, v10, v215
	s_set_vgpr_msb 0x41                     ;  msbs: dst=1 src0=1 src1=0 src2=0
	v_mul_i32_i24_e32 v88 /*v344*/, v24 /*v280*/, v155
	s_set_vgpr_msb 1                        ;  msbs: dst=0 src0=1 src1=0 src2=0
	s_delay_alu instid0(VALU_DEP_2) | instskip(SKIP_1) | instid1(VALU_DEP_1)
	v_mad_i32_i24 v6, v20 /*v276*/, v216, v6
	s_set_vgpr_msb 0x54                     ;  msbs: dst=1 src0=0 src1=1 src2=1
	v_add3_u32 v88 /*v344*/, v6, v88 /*v344*/, v89 /*v345*/
	s_set_vgpr_msb 0                        ;  msbs: dst=0 src0=0 src1=0 src2=0
	v_ashrrev_i32_e32 v6, s18, v8
	s_set_vgpr_msb 64                       ;  msbs: dst=1 src0=0 src1=0 src2=0
	s_delay_alu instid0(VALU_DEP_1)
	v_and_b32_e32 v89 /*v345*/, 3, v6
	v_bfe_u32 v90 /*v346*/, v6, 8, 2
	v_bfe_u32 v91 /*v347*/, v6, 24, 2
	;; [unrolled: 1-line block ×3, first 2 shown]
	s_set_vgpr_msb 5                        ;  msbs: dst=0 src0=1 src1=1 src2=0
	v_mul_i32_i24_e32 v6, v89 /*v345*/, v15 /*v271*/
	s_set_vgpr_msb 0x45                     ;  msbs: dst=1 src0=1 src1=1 src2=0
	v_mul_i32_i24_e32 v93 /*v349*/, v91 /*v347*/, v17 /*v273*/
	s_set_vgpr_msb 5                        ;  msbs: dst=0 src0=1 src1=1 src2=0
	v_mul_i32_i24_e32 v8, v92 /*v348*/, v14 /*v270*/
	v_mad_i32_i24 v6, v90 /*v346*/, v16 /*v272*/, v6
	s_set_vgpr_msb 0x50                     ;  msbs: dst=1 src0=0 src1=0 src2=1
	s_delay_alu instid0(VALU_DEP_1) | instskip(SKIP_4) | instid1(VALU_DEP_2)
	v_add3_u32 v93 /*v349*/, v6, v8, v93 /*v349*/
	s_set_vgpr_msb 0                        ;  msbs: dst=0 src0=0 src1=0 src2=0
	v_mul_i32_i24_e32 v6, v9, v215
	s_set_vgpr_msb 1                        ;  msbs: dst=0 src0=1 src1=0 src2=0
	v_mul_i32_i24_e32 v8, v72 /*v328*/, v155
	v_mad_i32_i24 v6, v36 /*v292*/, v216, v6
	s_set_vgpr_msb 0x50                     ;  msbs: dst=1 src0=0 src1=0 src2=1
	s_delay_alu instid0(VALU_DEP_1) | instskip(SKIP_3) | instid1(VALU_DEP_1)
	v_add3_u32 v94 /*v350*/, v6, v8, v94 /*v350*/
	s_set_vgpr_msb 4                        ;  msbs: dst=0 src0=0 src1=1 src2=0
	v_ashrrev_i32_e32 v6, s18, v38 /*v294*/
	s_set_vgpr_msb 64                       ;  msbs: dst=1 src0=0 src1=0 src2=0
	v_and_b32_e32 v95 /*v351*/, 3, v6
	v_bfe_u32 v96 /*v352*/, v6, 8, 2
	v_bfe_u32 v97 /*v353*/, v6, 24, 2
	;; [unrolled: 1-line block ×3, first 2 shown]
	s_set_vgpr_msb 5                        ;  msbs: dst=0 src0=1 src1=1 src2=0
	v_mul_i32_i24_e32 v6, v95 /*v351*/, v15 /*v271*/
	s_set_vgpr_msb 0x45                     ;  msbs: dst=1 src0=1 src1=1 src2=0
	v_mul_i32_i24_e32 v38 /*v294*/, v97 /*v353*/, v17 /*v273*/
	s_set_vgpr_msb 5                        ;  msbs: dst=0 src0=1 src1=1 src2=0
	v_mul_i32_i24_e32 v8, v98 /*v354*/, v14 /*v270*/
	v_mad_i32_i24 v6, v96 /*v352*/, v16 /*v272*/, v6
	s_set_vgpr_msb 0x50                     ;  msbs: dst=1 src0=0 src1=0 src2=1
	s_delay_alu instid0(VALU_DEP_1)
	v_add3_u32 v99 /*v355*/, v6, v8, v38 /*v294*/
	s_set_vgpr_msb 1                        ;  msbs: dst=0 src0=1 src1=0 src2=0
	v_mul_i32_i24_e32 v6, v40 /*v296*/, v215
	v_mul_i32_i24_e32 v8, v81 /*v337*/, v155
	s_set_vgpr_msb 0x41                     ;  msbs: dst=1 src0=1 src1=0 src2=0
	v_mul_i32_i24_e32 v38 /*v294*/, v39 /*v295*/, v156
	s_set_vgpr_msb 1                        ;  msbs: dst=0 src0=1 src1=0 src2=0
	v_mad_i32_i24 v6, v80 /*v336*/, v216, v6
	s_set_vgpr_msb 0x50                     ;  msbs: dst=1 src0=0 src1=0 src2=1
	s_delay_alu instid0(VALU_DEP_1)
	v_add3_u32 v100 /*v356*/, v6, v8, v38 /*v294*/
	s_set_vgpr_msb 5                        ;  msbs: dst=0 src0=1 src1=1 src2=0
	v_mul_i32_i24_e32 v6, v83 /*v339*/, v30 /*v286*/
	v_mul_i32_i24_e32 v8, v86 /*v342*/, v28 /*v284*/
	s_set_vgpr_msb 0x45                     ;  msbs: dst=1 src0=1 src1=1 src2=0
	v_mul_i32_i24_e32 v38 /*v294*/, v85 /*v341*/, v32 /*v288*/
	s_set_vgpr_msb 5                        ;  msbs: dst=0 src0=1 src1=1 src2=0
	v_mad_i32_i24 v6, v84 /*v340*/, v31 /*v287*/, v6
	s_set_vgpr_msb 0x50                     ;  msbs: dst=1 src0=0 src1=0 src2=1
	s_delay_alu instid0(VALU_DEP_1)
	v_add3_u32 v101 /*v357*/, v6, v8, v38 /*v294*/
	s_set_vgpr_msb 5                        ;  msbs: dst=0 src0=1 src1=1 src2=0
	v_mul_i32_i24_e32 v6, v89 /*v345*/, v30 /*v286*/
	v_mul_i32_i24_e32 v8, v92 /*v348*/, v28 /*v284*/
	s_set_vgpr_msb 0x45                     ;  msbs: dst=1 src0=1 src1=1 src2=0
	v_mul_i32_i24_e32 v38 /*v294*/, v91 /*v347*/, v32 /*v288*/
	s_set_vgpr_msb 5                        ;  msbs: dst=0 src0=1 src1=1 src2=0
	v_mad_i32_i24 v6, v90 /*v346*/, v31 /*v287*/, v6
	;; [unrolled: 10-line block ×4, first 2 shown]
	s_set_vgpr_msb 0x50                     ;  msbs: dst=1 src0=0 src1=0 src2=1
	s_delay_alu instid0(VALU_DEP_1)
	v_add3_u32 v104 /*v360*/, v6, v8, v38 /*v294*/
	s_set_vgpr_msb 0                        ;  msbs: dst=0 src0=0 src1=0 src2=0
	v_mul_i32_i24_e32 v6, v10, v224
	s_set_vgpr_msb 1                        ;  msbs: dst=0 src0=1 src1=0 src2=0
	v_mul_i32_i24_e32 v8, v24 /*v280*/, v162
	s_set_vgpr_msb 0x41                     ;  msbs: dst=1 src0=1 src1=0 src2=0
	v_mul_i32_i24_e32 v38 /*v294*/, v65 /*v321*/, v161
	s_set_vgpr_msb 1                        ;  msbs: dst=0 src0=1 src1=0 src2=0
	v_mad_i32_i24 v6, v20 /*v276*/, v222, v6
	s_set_vgpr_msb 0x50                     ;  msbs: dst=1 src0=0 src1=0 src2=1
	s_delay_alu instid0(VALU_DEP_1)
	v_add3_u32 v105 /*v361*/, v6, v8, v38 /*v294*/
	s_set_vgpr_msb 5                        ;  msbs: dst=0 src0=1 src1=1 src2=0
	v_mul_i32_i24_e32 v6, v89 /*v345*/, v35 /*v291*/
	v_mul_i32_i24_e32 v8, v92 /*v348*/, v43 /*v299*/
	s_set_vgpr_msb 0x45                     ;  msbs: dst=1 src0=1 src1=1 src2=0
	v_mul_i32_i24_e32 v38 /*v294*/, v91 /*v347*/, v44 /*v300*/
	s_set_vgpr_msb 5                        ;  msbs: dst=0 src0=1 src1=1 src2=0
	v_mad_i32_i24 v6, v90 /*v346*/, v42 /*v298*/, v6
	s_set_vgpr_msb 0x50                     ;  msbs: dst=1 src0=0 src1=0 src2=1
	s_delay_alu instid0(VALU_DEP_1)
	v_add3_u32 v106 /*v362*/, v6, v8, v38 /*v294*/
	s_set_vgpr_msb 0                        ;  msbs: dst=0 src0=0 src1=0 src2=0
	v_mul_i32_i24_e32 v6, v9, v224
	s_set_vgpr_msb 1                        ;  msbs: dst=0 src0=1 src1=0 src2=0
	v_mul_i32_i24_e32 v8, v72 /*v328*/, v162
	s_set_vgpr_msb 0x41                     ;  msbs: dst=1 src0=1 src1=0 src2=0
	v_mul_i32_i24_e32 v38 /*v294*/, v73 /*v329*/, v161
	s_set_vgpr_msb 1                        ;  msbs: dst=0 src0=1 src1=0 src2=0
	v_mad_i32_i24 v6, v36 /*v292*/, v222, v6
	s_set_vgpr_msb 0x50                     ;  msbs: dst=1 src0=0 src1=0 src2=1
	s_delay_alu instid0(VALU_DEP_1)
	v_add3_u32 v107 /*v363*/, v6, v8, v38 /*v294*/
	s_set_vgpr_msb 5                        ;  msbs: dst=0 src0=1 src1=1 src2=0
	v_mul_i32_i24_e32 v6, v95 /*v351*/, v35 /*v291*/
	v_mul_i32_i24_e32 v8, v98 /*v354*/, v43 /*v299*/
	s_set_vgpr_msb 0x45                     ;  msbs: dst=1 src0=1 src1=1 src2=0
	v_mul_i32_i24_e32 v38 /*v294*/, v97 /*v353*/, v44 /*v300*/
	s_set_vgpr_msb 5                        ;  msbs: dst=0 src0=1 src1=1 src2=0
	v_mad_i32_i24 v6, v96 /*v352*/, v42 /*v298*/, v6
	s_set_vgpr_msb 0x50                     ;  msbs: dst=1 src0=0 src1=0 src2=1
	s_delay_alu instid0(VALU_DEP_1)
	v_add3_u32 v108 /*v364*/, v6, v8, v38 /*v294*/
	s_set_vgpr_msb 1                        ;  msbs: dst=0 src0=1 src1=0 src2=0
	v_mul_i32_i24_e32 v6, v40 /*v296*/, v224
	v_mul_i32_i24_e32 v8, v81 /*v337*/, v162
	s_set_vgpr_msb 0x41                     ;  msbs: dst=1 src0=1 src1=0 src2=0
	v_mul_i32_i24_e32 v38 /*v294*/, v39 /*v295*/, v161
	s_set_vgpr_msb 1                        ;  msbs: dst=0 src0=1 src1=0 src2=0
	v_mad_i32_i24 v6, v80 /*v336*/, v222, v6
	s_set_vgpr_msb 0x50                     ;  msbs: dst=1 src0=0 src1=0 src2=1
	s_delay_alu instid0(VALU_DEP_1)
	v_add3_u32 v109 /*v365*/, v6, v8, v38 /*v294*/
	s_set_vgpr_msb 5                        ;  msbs: dst=0 src0=1 src1=1 src2=0
	v_mul_i32_i24_e32 v6, v83 /*v339*/, v47 /*v303*/
	v_mul_i32_i24_e32 v8, v86 /*v342*/, v49 /*v305*/
	s_set_vgpr_msb 0x45                     ;  msbs: dst=1 src0=1 src1=1 src2=0
	v_mul_i32_i24_e32 v38 /*v294*/, v85 /*v341*/, v50 /*v306*/
	s_set_vgpr_msb 5                        ;  msbs: dst=0 src0=1 src1=1 src2=0
	v_mad_i32_i24 v6, v84 /*v340*/, v48 /*v304*/, v6
	s_set_vgpr_msb 0x50                     ;  msbs: dst=1 src0=0 src1=0 src2=1
	s_delay_alu instid0(VALU_DEP_1)
	v_add3_u32 v110 /*v366*/, v6, v8, v38 /*v294*/
	s_set_vgpr_msb 0                        ;  msbs: dst=0 src0=0 src1=0 src2=0
	v_mul_i32_i24_e32 v6, v10, v241
	s_set_vgpr_msb 1                        ;  msbs: dst=0 src0=1 src1=0 src2=0
	v_mul_i32_i24_e32 v8, v24 /*v280*/, v189
	s_set_vgpr_msb 0x41                     ;  msbs: dst=1 src0=1 src1=0 src2=0
	v_mul_i32_i24_e32 v38 /*v294*/, v65 /*v321*/, v187
	s_set_vgpr_msb 1                        ;  msbs: dst=0 src0=1 src1=0 src2=0
	v_mad_i32_i24 v6, v20 /*v276*/, v239, v6
	s_set_vgpr_msb 0x50                     ;  msbs: dst=1 src0=0 src1=0 src2=1
	s_delay_alu instid0(VALU_DEP_1)
	v_add3_u32 v111 /*v367*/, v6, v8, v38 /*v294*/
	s_set_vgpr_msb 5                        ;  msbs: dst=0 src0=1 src1=1 src2=0
	v_mul_i32_i24_e32 v6, v89 /*v345*/, v47 /*v303*/
	v_mul_i32_i24_e32 v8, v92 /*v348*/, v49 /*v305*/
	s_set_vgpr_msb 0x45                     ;  msbs: dst=1 src0=1 src1=1 src2=0
	v_mul_i32_i24_e32 v38 /*v294*/, v91 /*v347*/, v50 /*v306*/
	s_set_vgpr_msb 5                        ;  msbs: dst=0 src0=1 src1=1 src2=0
	v_mad_i32_i24 v6, v90 /*v346*/, v48 /*v304*/, v6
	s_set_vgpr_msb 0x50                     ;  msbs: dst=1 src0=0 src1=0 src2=1
	s_delay_alu instid0(VALU_DEP_1)
	v_add3_u32 v112 /*v368*/, v6, v8, v38 /*v294*/
	s_set_vgpr_msb 0                        ;  msbs: dst=0 src0=0 src1=0 src2=0
	v_mul_i32_i24_e32 v6, v9, v241
	s_set_vgpr_msb 1                        ;  msbs: dst=0 src0=1 src1=0 src2=0
	v_mul_i32_i24_e32 v8, v72 /*v328*/, v189
	s_set_vgpr_msb 0x41                     ;  msbs: dst=1 src0=1 src1=0 src2=0
	v_mul_i32_i24_e32 v38 /*v294*/, v73 /*v329*/, v187
	s_set_vgpr_msb 1                        ;  msbs: dst=0 src0=1 src1=0 src2=0
	v_mad_i32_i24 v6, v36 /*v292*/, v239, v6
	s_set_vgpr_msb 0x50                     ;  msbs: dst=1 src0=0 src1=0 src2=1
	s_delay_alu instid0(VALU_DEP_1)
	v_add3_u32 v113 /*v369*/, v6, v8, v38 /*v294*/
	s_set_vgpr_msb 5                        ;  msbs: dst=0 src0=1 src1=1 src2=0
	v_mul_i32_i24_e32 v6, v95 /*v351*/, v47 /*v303*/
	v_mul_i32_i24_e32 v8, v98 /*v354*/, v49 /*v305*/
	s_set_vgpr_msb 0x45                     ;  msbs: dst=1 src0=1 src1=1 src2=0
	v_mul_i32_i24_e32 v38 /*v294*/, v97 /*v353*/, v50 /*v306*/
	s_set_vgpr_msb 5                        ;  msbs: dst=0 src0=1 src1=1 src2=0
	v_mad_i32_i24 v6, v96 /*v352*/, v48 /*v304*/, v6
	s_set_vgpr_msb 0x50                     ;  msbs: dst=1 src0=0 src1=0 src2=1
	s_delay_alu instid0(VALU_DEP_1)
	v_add3_u32 v114 /*v370*/, v6, v8, v38 /*v294*/
	s_set_vgpr_msb 1                        ;  msbs: dst=0 src0=1 src1=0 src2=0
	v_mul_i32_i24_e32 v6, v40 /*v296*/, v241
	v_mul_i32_i24_e32 v8, v81 /*v337*/, v189
	s_set_vgpr_msb 0x41                     ;  msbs: dst=1 src0=1 src1=0 src2=0
	v_mul_i32_i24_e32 v38 /*v294*/, v39 /*v295*/, v187
	s_set_vgpr_msb 1                        ;  msbs: dst=0 src0=1 src1=0 src2=0
	v_mad_i32_i24 v6, v80 /*v336*/, v239, v6
	s_set_vgpr_msb 0x50                     ;  msbs: dst=1 src0=0 src1=0 src2=1
	s_delay_alu instid0(VALU_DEP_1)
	v_add3_u32 v115 /*v371*/, v6, v8, v38 /*v294*/
	s_set_vgpr_msb 5                        ;  msbs: dst=0 src0=1 src1=1 src2=0
	v_mul_i32_i24_e32 v6, v83 /*v339*/, v22 /*v278*/
	v_mul_i32_i24_e32 v8, v86 /*v342*/, v21 /*v277*/
	s_set_vgpr_msb 0x45                     ;  msbs: dst=1 src0=1 src1=1 src2=0
	v_mul_i32_i24_e32 v38 /*v294*/, v85 /*v341*/, v25 /*v281*/
	s_set_vgpr_msb 5                        ;  msbs: dst=0 src0=1 src1=1 src2=0
	v_mad_i32_i24 v6, v84 /*v340*/, v23 /*v279*/, v6
	s_set_vgpr_msb 0x50                     ;  msbs: dst=1 src0=0 src1=0 src2=1
	s_delay_alu instid0(VALU_DEP_1)
	v_add3_u32 v116 /*v372*/, v6, v8, v38 /*v294*/
	s_set_vgpr_msb 5                        ;  msbs: dst=0 src0=1 src1=1 src2=0
	v_mul_i32_i24_e32 v6, v89 /*v345*/, v22 /*v278*/
	v_mul_i32_i24_e32 v8, v92 /*v348*/, v21 /*v277*/
	s_set_vgpr_msb 0x45                     ;  msbs: dst=1 src0=1 src1=1 src2=0
	v_mul_i32_i24_e32 v38 /*v294*/, v91 /*v347*/, v25 /*v281*/
	s_set_vgpr_msb 5                        ;  msbs: dst=0 src0=1 src1=1 src2=0
	v_mad_i32_i24 v6, v90 /*v346*/, v23 /*v279*/, v6
	s_set_vgpr_msb 0x50                     ;  msbs: dst=1 src0=0 src1=0 src2=1
	s_delay_alu instid0(VALU_DEP_1)
	v_add3_u32 v117 /*v373*/, v6, v8, v38 /*v294*/
	s_set_vgpr_msb 0                        ;  msbs: dst=0 src0=0 src1=0 src2=0
	v_mul_i32_i24_e32 v6, v10, v172
	s_set_vgpr_msb 1                        ;  msbs: dst=0 src0=1 src1=0 src2=0
	v_mul_i32_i24_e32 v8, v24 /*v280*/, v159
	s_set_vgpr_msb 0x41                     ;  msbs: dst=1 src0=1 src1=0 src2=0
	v_mul_i32_i24_e32 v38 /*v294*/, v65 /*v321*/, v165
	s_set_vgpr_msb 1                        ;  msbs: dst=0 src0=1 src1=0 src2=0
	v_mad_i32_i24 v6, v20 /*v276*/, v173, v6
	s_set_vgpr_msb 0x50                     ;  msbs: dst=1 src0=0 src1=0 src2=1
	s_delay_alu instid0(VALU_DEP_1)
	v_add3_u32 v118 /*v374*/, v6, v8, v38 /*v294*/
	s_set_vgpr_msb 0                        ;  msbs: dst=0 src0=0 src1=0 src2=0
	v_mul_i32_i24_e32 v6, v9, v172
	s_set_vgpr_msb 1                        ;  msbs: dst=0 src0=1 src1=0 src2=0
	v_mul_i32_i24_e32 v8, v72 /*v328*/, v159
	s_set_vgpr_msb 0x41                     ;  msbs: dst=1 src0=1 src1=0 src2=0
	v_mul_i32_i24_e32 v38 /*v294*/, v73 /*v329*/, v165
	s_set_vgpr_msb 1                        ;  msbs: dst=0 src0=1 src1=0 src2=0
	v_mad_i32_i24 v6, v36 /*v292*/, v173, v6
	s_set_vgpr_msb 0x50                     ;  msbs: dst=1 src0=0 src1=0 src2=1
	s_delay_alu instid0(VALU_DEP_1)
	v_add3_u32 v119 /*v375*/, v6, v8, v38 /*v294*/
	s_set_vgpr_msb 1                        ;  msbs: dst=0 src0=1 src1=0 src2=0
	v_mul_i32_i24_e32 v6, v40 /*v296*/, v172
	v_mul_i32_i24_e32 v8, v81 /*v337*/, v159
	s_set_vgpr_msb 0x41                     ;  msbs: dst=1 src0=1 src1=0 src2=0
	v_mul_i32_i24_e32 v38 /*v294*/, v39 /*v295*/, v165
	s_set_vgpr_msb 1                        ;  msbs: dst=0 src0=1 src1=0 src2=0
	v_mad_i32_i24 v6, v80 /*v336*/, v173, v6
	s_set_vgpr_msb 0x50                     ;  msbs: dst=1 src0=0 src1=0 src2=1
	s_delay_alu instid0(VALU_DEP_1)
	v_add3_u32 v120 /*v376*/, v6, v8, v38 /*v294*/
	s_set_vgpr_msb 0                        ;  msbs: dst=0 src0=0 src1=0 src2=0
	v_mul_i32_i24_e32 v6, v9, v230
	s_set_vgpr_msb 1                        ;  msbs: dst=0 src0=1 src1=0 src2=0
	v_mul_i32_i24_e32 v8, v72 /*v328*/, v167
	s_set_vgpr_msb 0x41                     ;  msbs: dst=1 src0=1 src1=0 src2=0
	v_mul_i32_i24_e32 v38 /*v294*/, v73 /*v329*/, v185
	s_set_vgpr_msb 1                        ;  msbs: dst=0 src0=1 src1=0 src2=0
	v_mad_i32_i24 v6, v36 /*v292*/, v231, v6
	s_set_vgpr_msb 0x50                     ;  msbs: dst=1 src0=0 src1=0 src2=1
	s_delay_alu instid0(VALU_DEP_1)
	v_add3_u32 v121 /*v377*/, v6, v8, v38 /*v294*/
	s_set_vgpr_msb 0                        ;  msbs: dst=0 src0=0 src1=0 src2=0
	v_mul_i32_i24_e32 v6, v10, v230
	s_set_vgpr_msb 1                        ;  msbs: dst=0 src0=1 src1=0 src2=0
	v_mul_i32_i24_e32 v8, v24 /*v280*/, v167
	s_set_vgpr_msb 0x41                     ;  msbs: dst=1 src0=1 src1=0 src2=0
	v_mul_i32_i24_e32 v38 /*v294*/, v65 /*v321*/, v185
	s_set_vgpr_msb 1                        ;  msbs: dst=0 src0=1 src1=0 src2=0
	v_mad_i32_i24 v6, v20 /*v276*/, v231, v6
	s_set_vgpr_msb 0x50                     ;  msbs: dst=1 src0=0 src1=0 src2=1
	s_delay_alu instid0(VALU_DEP_1)
	v_add3_u32 v122 /*v378*/, v6, v8, v38 /*v294*/
	s_set_vgpr_msb 5                        ;  msbs: dst=0 src0=1 src1=1 src2=0
	v_mul_i32_i24_e32 v6, v95 /*v351*/, v22 /*v278*/
	v_mul_i32_i24_e32 v8, v98 /*v354*/, v21 /*v277*/
	s_set_vgpr_msb 0x45                     ;  msbs: dst=1 src0=1 src1=1 src2=0
	v_mul_i32_i24_e32 v38 /*v294*/, v97 /*v353*/, v25 /*v281*/
	s_set_vgpr_msb 5                        ;  msbs: dst=0 src0=1 src1=1 src2=0
	v_mad_i32_i24 v6, v96 /*v352*/, v23 /*v279*/, v6
	s_set_vgpr_msb 0x50                     ;  msbs: dst=1 src0=0 src1=0 src2=1
	s_delay_alu instid0(VALU_DEP_1)
	v_add3_u32 v123 /*v379*/, v6, v8, v38 /*v294*/
	s_set_vgpr_msb 1                        ;  msbs: dst=0 src0=1 src1=0 src2=0
	v_mul_i32_i24_e32 v6, v40 /*v296*/, v230
	v_mul_i32_i24_e32 v8, v81 /*v337*/, v167
	s_set_vgpr_msb 0x41                     ;  msbs: dst=1 src0=1 src1=0 src2=0
	v_mul_i32_i24_e32 v38 /*v294*/, v39 /*v295*/, v185
	s_set_vgpr_msb 1                        ;  msbs: dst=0 src0=1 src1=0 src2=0
	v_mad_i32_i24 v6, v80 /*v336*/, v231, v6
	s_set_vgpr_msb 0x50                     ;  msbs: dst=1 src0=0 src1=0 src2=1
	s_delay_alu instid0(VALU_DEP_1)
	v_add3_u32 v124 /*v380*/, v6, v8, v38 /*v294*/
	s_set_vgpr_msb 1                        ;  msbs: dst=0 src0=1 src1=0 src2=0
	v_mul_i32_i24_e32 v6, v83 /*v339*/, v251
	v_mul_i32_i24_e32 v8, v86 /*v342*/, v253
	s_set_vgpr_msb 0x41                     ;  msbs: dst=1 src0=1 src1=0 src2=0
	v_mul_i32_i24_e32 v38 /*v294*/, v85 /*v341*/, v254
	s_set_vgpr_msb 1                        ;  msbs: dst=0 src0=1 src1=0 src2=0
	v_mad_i32_i24 v6, v84 /*v340*/, v252, v6
	s_set_vgpr_msb 0x50                     ;  msbs: dst=1 src0=0 src1=0 src2=1
	s_delay_alu instid0(VALU_DEP_1)
	v_add3_u32 v125 /*v381*/, v6, v8, v38 /*v294*/
	s_set_vgpr_msb 0                        ;  msbs: dst=0 src0=0 src1=0 src2=0
	v_mul_i32_i24_e32 v6, v10, v64
	s_set_vgpr_msb 1                        ;  msbs: dst=0 src0=1 src1=0 src2=0
	v_mul_i32_i24_e32 v8, v24 /*v280*/, v133
	s_set_vgpr_msb 0x41                     ;  msbs: dst=1 src0=1 src1=0 src2=0
	v_mul_i32_i24_e32 v38 /*v294*/, v65 /*v321*/, v54
	s_set_vgpr_msb 1                        ;  msbs: dst=0 src0=1 src1=0 src2=0
	v_mad_i32_i24 v6, v20 /*v276*/, v145, v6
	s_set_vgpr_msb 0x50                     ;  msbs: dst=1 src0=0 src1=0 src2=1
	s_delay_alu instid0(VALU_DEP_1) | instskip(SKIP_3) | instid1(VALU_DEP_2)
	v_add3_u32 v126 /*v382*/, v6, v8, v38 /*v294*/
	s_set_vgpr_msb 5                        ;  msbs: dst=0 src0=1 src1=1 src2=0
	v_mul_i32_i24_e32 v6, v57 /*v313*/, v83 /*v339*/
	v_mul_i32_i24_e32 v8, v58 /*v314*/, v86 /*v342*/
	v_mad_i32_i24 v6, v127 /*v383*/, v84 /*v340*/, v6
	s_set_vgpr_msb 0x50                     ;  msbs: dst=1 src0=0 src1=0 src2=1
	s_delay_alu instid0(VALU_DEP_1)
	v_add3_u32 v128 /*v384*/, v6, v8, v13 /*v269*/
	s_set_vgpr_msb 5                        ;  msbs: dst=0 src0=1 src1=1 src2=0
	v_mul_i32_i24_e32 v6, v57 /*v313*/, v89 /*v345*/
	v_mul_i32_i24_e32 v8, v58 /*v314*/, v92 /*v348*/
	s_set_vgpr_msb 0x45                     ;  msbs: dst=1 src0=1 src1=1 src2=0
	v_mul_i32_i24_e32 v13 /*v269*/, v56 /*v312*/, v91 /*v347*/
	s_set_vgpr_msb 5                        ;  msbs: dst=0 src0=1 src1=1 src2=0
	v_mad_i32_i24 v6, v127 /*v383*/, v90 /*v346*/, v6
	s_set_vgpr_msb 0x50                     ;  msbs: dst=1 src0=0 src1=0 src2=1
	s_delay_alu instid0(VALU_DEP_1)
	v_add3_u32 v129 /*v385*/, v6, v8, v13 /*v269*/
	s_set_vgpr_msb 5                        ;  msbs: dst=0 src0=1 src1=1 src2=0
	v_mul_i32_i24_e32 v6, v57 /*v313*/, v95 /*v351*/
	v_mul_i32_i24_e32 v8, v58 /*v314*/, v98 /*v354*/
	s_set_vgpr_msb 0x45                     ;  msbs: dst=1 src0=1 src1=1 src2=0
	v_mul_i32_i24_e32 v13 /*v269*/, v56 /*v312*/, v97 /*v353*/
	s_set_vgpr_msb 5                        ;  msbs: dst=0 src0=1 src1=1 src2=0
	v_mad_i32_i24 v6, v127 /*v383*/, v96 /*v352*/, v6
	s_set_vgpr_msb 0x50                     ;  msbs: dst=1 src0=0 src1=0 src2=1
	s_delay_alu instid0(VALU_DEP_1)
	v_add3_u32 v130 /*v386*/, v6, v8, v13 /*v269*/
	s_set_vgpr_msb 1                        ;  msbs: dst=0 src0=1 src1=0 src2=0
	v_mul_i32_i24_e32 v6, v89 /*v345*/, v251
	v_mul_i32_i24_e32 v8, v92 /*v348*/, v253
	s_set_vgpr_msb 0x41                     ;  msbs: dst=1 src0=1 src1=0 src2=0
	v_mul_i32_i24_e32 v13 /*v269*/, v91 /*v347*/, v254
	s_set_vgpr_msb 1                        ;  msbs: dst=0 src0=1 src1=0 src2=0
	v_mad_i32_i24 v6, v90 /*v346*/, v252, v6
	s_set_vgpr_msb 0x50                     ;  msbs: dst=1 src0=0 src1=0 src2=1
	s_delay_alu instid0(VALU_DEP_1)
	v_add3_u32 v131 /*v387*/, v6, v8, v13 /*v269*/
	s_set_vgpr_msb 0                        ;  msbs: dst=0 src0=0 src1=0 src2=0
	v_mul_i32_i24_e32 v6, v9, v64
	s_set_vgpr_msb 1                        ;  msbs: dst=0 src0=1 src1=0 src2=0
	v_mul_i32_i24_e32 v8, v72 /*v328*/, v133
	s_set_vgpr_msb 0x41                     ;  msbs: dst=1 src0=1 src1=0 src2=0
	v_mul_i32_i24_e32 v13 /*v269*/, v73 /*v329*/, v54
	s_set_vgpr_msb 1                        ;  msbs: dst=0 src0=1 src1=0 src2=0
	v_mad_i32_i24 v6, v36 /*v292*/, v145, v6
	s_set_vgpr_msb 0x50                     ;  msbs: dst=1 src0=0 src1=0 src2=1
	s_delay_alu instid0(VALU_DEP_1)
	v_add3_u32 v132 /*v388*/, v6, v8, v13 /*v269*/
	s_set_vgpr_msb 1                        ;  msbs: dst=0 src0=1 src1=0 src2=0
	v_mul_i32_i24_e32 v6, v95 /*v351*/, v251
	v_mul_i32_i24_e32 v8, v98 /*v354*/, v253
	s_set_vgpr_msb 0x41                     ;  msbs: dst=1 src0=1 src1=0 src2=0
	v_mul_i32_i24_e32 v13 /*v269*/, v97 /*v353*/, v254
	s_set_vgpr_msb 0x45                     ;  msbs: dst=1 src0=1 src1=1 src2=0
	v_mul_i32_i24_e32 v95 /*v351*/, v5 /*v261*/, v95 /*v351*/
	s_set_vgpr_msb 1                        ;  msbs: dst=0 src0=1 src1=0 src2=0
	v_mad_i32_i24 v6, v96 /*v352*/, v252, v6
	s_set_vgpr_msb 0x50                     ;  msbs: dst=1 src0=0 src1=0 src2=1
	s_delay_alu instid0(VALU_DEP_1)
	v_add3_u32 v133 /*v389*/, v6, v8, v13 /*v269*/
	s_set_vgpr_msb 1                        ;  msbs: dst=0 src0=1 src1=0 src2=0
	v_mul_i32_i24_e32 v6, v40 /*v296*/, v64
	v_mul_i32_i24_e32 v8, v81 /*v337*/, v133
	s_set_vgpr_msb 0x41                     ;  msbs: dst=1 src0=1 src1=0 src2=0
	v_mul_i32_i24_e32 v13 /*v269*/, v39 /*v295*/, v54
	s_set_vgpr_msb 1                        ;  msbs: dst=0 src0=1 src1=0 src2=0
	v_mad_i32_i24 v6, v80 /*v336*/, v145, v6
	s_set_vgpr_msb 0x50                     ;  msbs: dst=1 src0=0 src1=0 src2=1
	s_delay_alu instid0(VALU_DEP_1)
	v_add3_u32 v134 /*v390*/, v6, v8, v13 /*v269*/
	v_bfe_i32 v13 /*v269*/, v7, 0, 8
	s_set_vgpr_msb 0                        ;  msbs: dst=0 src0=0 src1=0 src2=0
	v_mul_i32_i24_e32 v6, v10, v232
	s_set_vgpr_msb 1                        ;  msbs: dst=0 src0=1 src1=0 src2=0
	v_mul_i32_i24_e32 v7, v24 /*v280*/, v238
	v_mul_i32_i24_e32 v8, v65 /*v321*/, v229
	s_set_vgpr_msb 5                        ;  msbs: dst=0 src0=1 src1=1 src2=0
	v_mad_i32_i24 v6, v20 /*v276*/, v13 /*v269*/, v6
	s_set_vgpr_msb 64                       ;  msbs: dst=1 src0=0 src1=0 src2=0
	s_delay_alu instid0(VALU_DEP_1)
	v_add3_u32 v65 /*v321*/, v6, v7, v8
	s_set_vgpr_msb 0                        ;  msbs: dst=0 src0=0 src1=0 src2=0
	v_mul_i32_i24_e32 v6, v9, v232
	s_set_vgpr_msb 1                        ;  msbs: dst=0 src0=1 src1=0 src2=0
	v_mul_i32_i24_e32 v7, v72 /*v328*/, v238
	v_mul_i32_i24_e32 v8, v73 /*v329*/, v229
	s_set_vgpr_msb 5                        ;  msbs: dst=0 src0=1 src1=1 src2=0
	v_mad_i32_i24 v6, v36 /*v292*/, v13 /*v269*/, v6
	s_set_vgpr_msb 64                       ;  msbs: dst=1 src0=0 src1=0 src2=0
	s_delay_alu instid0(VALU_DEP_1)
	v_add3_u32 v36 /*v292*/, v6, v7, v8
	s_set_vgpr_msb 1                        ;  msbs: dst=0 src0=1 src1=0 src2=0
	v_mul_i32_i24_e32 v6, v40 /*v296*/, v232
	v_mul_i32_i24_e32 v7, v81 /*v337*/, v238
	;; [unrolled: 1-line block ×3, first 2 shown]
	s_set_vgpr_msb 5                        ;  msbs: dst=0 src0=1 src1=1 src2=0
	s_delay_alu instid0(VALU_DEP_3) | instskip(SKIP_1) | instid1(VALU_DEP_1)
	v_mad_i32_i24 v6, v80 /*v336*/, v13 /*v269*/, v6
	s_set_vgpr_msb 64                       ;  msbs: dst=1 src0=0 src1=0 src2=0
	v_add3_u32 v40 /*v296*/, v6, v7, v8
	s_set_vgpr_msb 0                        ;  msbs: dst=0 src0=0 src1=0 src2=0
	ds_load_2addr_b32 v[8:9], v221 offset1:1
	ds_load_2addr_b32 v[6:7], v221 offset0:2 offset1:3
	s_set_vgpr_msb 64                       ;  msbs: dst=1 src0=0 src1=0 src2=0
	ds_load_2addr_b32 v[38:39] /*v[294:295]*/, v221 offset0:4 offset1:5
	s_wait_dscnt 0x2
	s_set_vgpr_msb 0                        ;  msbs: dst=0 src0=0 src1=0 src2=0
	v_dual_ashrrev_i32 v9, s18, v9 :: v_dual_ashrrev_i32 v8, s18, v8
	s_wait_dscnt 0x0
	s_set_vgpr_msb 0x44                     ;  msbs: dst=1 src0=0 src1=1 src2=0
	v_ashrrev_i32_e32 v39 /*v295*/, s18, v39 /*v295*/
	s_set_vgpr_msb 64                       ;  msbs: dst=1 src0=0 src1=0 src2=0
	v_and_b32_e32 v72 /*v328*/, 3, v9
	v_bfe_u32 v73 /*v329*/, v9, 8, 2
	v_bfe_u32 v80 /*v336*/, v9, 16, 2
	v_bfe_u32 v81 /*v337*/, v9, 24, 2
	v_bfe_u32 v138 /*v394*/, v8, 8, 2
	s_set_vgpr_msb 5                        ;  msbs: dst=0 src0=1 src1=1 src2=0
	v_mul_i32_i24_e32 v9, v72 /*v328*/, v9 /*v265*/
	s_set_vgpr_msb 64                       ;  msbs: dst=1 src0=0 src1=0 src2=0
	v_bfe_u32 v139 /*v395*/, v8, 16, 2
	s_set_vgpr_msb 5                        ;  msbs: dst=0 src0=1 src1=1 src2=0
	v_mul_i32_i24_e32 v10, v80 /*v336*/, v7 /*v263*/
	s_set_vgpr_msb 0x45                     ;  msbs: dst=1 src0=1 src1=1 src2=0
	v_mul_i32_i24_e32 v20 /*v276*/, v81 /*v337*/, v8 /*v264*/
	s_set_vgpr_msb 5                        ;  msbs: dst=0 src0=1 src1=1 src2=0
	v_mad_i32_i24 v9, v73 /*v329*/, v6 /*v262*/, v9
	s_set_vgpr_msb 0x45                     ;  msbs: dst=1 src0=1 src1=1 src2=0
	v_mul_i32_i24_e32 v140 /*v396*/, v139 /*v395*/, v14 /*v270*/
	s_set_vgpr_msb 0x44                     ;  msbs: dst=1 src0=0 src1=1 src2=0
	v_add_nc_u32_e32 v14 /*v270*/, v66, v14 /*v270*/
	s_set_vgpr_msb 0x50                     ;  msbs: dst=1 src0=0 src1=0 src2=1
	v_add3_u32 v135 /*v391*/, v9, v10, v20 /*v276*/
	s_set_vgpr_msb 4                        ;  msbs: dst=0 src0=0 src1=1 src2=0
	v_ashrrev_i32_e32 v9, s18, v38 /*v294*/
	s_set_vgpr_msb 0x41                     ;  msbs: dst=1 src0=1 src1=0 src2=0
	v_add3_u32 v14 /*v270*/, v14 /*v270*/, v125, v26
	s_set_vgpr_msb 0                        ;  msbs: dst=0 src0=0 src1=0 src2=0
	s_delay_alu instid0(VALU_DEP_2)
	v_and_b32_e32 v10, 3, v9
	s_set_vgpr_msb 64                       ;  msbs: dst=1 src0=0 src1=0 src2=0
	v_bfe_u32 v24 /*v280*/, v9, 8, 2
	v_bfe_u32 v38 /*v294*/, v9, 16, 2
	s_set_vgpr_msb 0                        ;  msbs: dst=0 src0=0 src1=0 src2=0
	v_bfe_u32 v9, v9, 24, 2
	s_set_vgpr_msb 64                       ;  msbs: dst=1 src0=0 src1=0 src2=0
	v_mul_i32_i24_e32 v20 /*v276*/, v10, v171
	s_set_vgpr_msb 0                        ;  msbs: dst=0 src0=0 src1=0 src2=0
	v_add_nc_u32_e32 v171, v204, v171
	s_set_vgpr_msb 0x41                     ;  msbs: dst=1 src0=1 src1=0 src2=0
	v_mul_i32_i24_e32 v136 /*v392*/, v38 /*v294*/, v41
	s_set_vgpr_msb 64                       ;  msbs: dst=1 src0=0 src1=0 src2=0
	v_mul_i32_i24_e32 v137 /*v393*/, v9, v52
	v_mul_i32_i24_e32 v142 /*v398*/, v9, v156
	s_set_vgpr_msb 0x51                     ;  msbs: dst=1 src0=1 src1=0 src2=1
	v_mad_i32_i24 v20 /*v276*/, v24 /*v280*/, v174, v20 /*v276*/
	s_set_vgpr_msb 64                       ;  msbs: dst=1 src0=0 src1=0 src2=0
	v_mul_i32_i24_e32 v145 /*v401*/, v9, v161
	v_mul_i32_i24_e32 v147 /*v403*/, v9, v54
	;; [unrolled: 1-line block ×4, first 2 shown]
	s_set_vgpr_msb 0x55                     ;  msbs: dst=1 src0=1 src1=1 src2=1
	v_add3_u32 v136 /*v392*/, v20 /*v276*/, v136 /*v392*/, v137 /*v393*/
	s_set_vgpr_msb 64                       ;  msbs: dst=1 src0=0 src1=0 src2=0
	v_and_b32_e32 v137 /*v393*/, 3, v8
	v_bfe_u32 v20 /*v276*/, v8, 24, 2
	v_mul_i32_i24_e32 v152 /*v408*/, v9, v185
	s_set_vgpr_msb 0                        ;  msbs: dst=0 src0=0 src1=0 src2=0
	v_mul_i32_i24_e32 v9, v9, v229
	v_add_nc_u32_e32 v174, v205, v174
	s_set_vgpr_msb 5                        ;  msbs: dst=0 src0=1 src1=1 src2=0
	v_mul_i32_i24_e32 v8, v137 /*v393*/, v15 /*v271*/
	s_set_vgpr_msb 0x45                     ;  msbs: dst=1 src0=1 src1=1 src2=0
	v_mul_i32_i24_e32 v141 /*v397*/, v20 /*v276*/, v17 /*v273*/
	v_mul_i32_i24_e32 v143 /*v399*/, v20 /*v276*/, v32 /*v288*/
	;; [unrolled: 1-line block ×3, first 2 shown]
	s_set_vgpr_msb 0x41                     ;  msbs: dst=1 src0=1 src1=0 src2=0
	v_mul_i32_i24_e32 v146 /*v402*/, v20 /*v276*/, v254
	s_set_vgpr_msb 5                        ;  msbs: dst=0 src0=1 src1=1 src2=0
	v_mad_i32_i24 v8, v138 /*v394*/, v16 /*v272*/, v8
	s_set_vgpr_msb 0x45                     ;  msbs: dst=1 src0=1 src1=1 src2=0
	v_mul_i32_i24_e32 v148 /*v404*/, v20 /*v276*/, v50 /*v306*/
	v_mul_i32_i24_e32 v150 /*v406*/, v20 /*v276*/, v25 /*v281*/
	;; [unrolled: 1-line block ×3, first 2 shown]
	s_set_vgpr_msb 0                        ;  msbs: dst=0 src0=0 src1=0 src2=0
	v_add_nc_u32_e32 v254, v245, v254
	s_set_vgpr_msb 0x54                     ;  msbs: dst=1 src0=0 src1=1 src2=1
	v_add3_u32 v140 /*v396*/, v8, v140 /*v396*/, v141 /*v397*/
	s_set_vgpr_msb 0                        ;  msbs: dst=0 src0=0 src1=0 src2=0
	v_mul_i32_i24_e32 v8, v10, v215
	s_set_vgpr_msb 0x41                     ;  msbs: dst=1 src0=1 src1=0 src2=0
	v_mul_i32_i24_e32 v141 /*v397*/, v38 /*v294*/, v155
	s_set_vgpr_msb 0                        ;  msbs: dst=0 src0=0 src1=0 src2=0
	v_add_nc_u32_e32 v229, v233, v229
	v_add3_u32 v254, v254, v128, v36
	v_add_nc_u32_e32 v54, v55, v54
	s_set_vgpr_msb 1                        ;  msbs: dst=0 src0=1 src1=0 src2=0
	v_mad_i32_i24 v8, v24 /*v280*/, v216, v8
	s_set_vgpr_msb 0                        ;  msbs: dst=0 src0=0 src1=0 src2=0
	v_add3_u32 v229, v229, v183, v237
	s_set_vgpr_msb 0x54                     ;  msbs: dst=1 src0=0 src1=1 src2=1
	s_delay_alu instid0(VALU_DEP_2)
	v_add3_u32 v141 /*v397*/, v8, v141 /*v397*/, v142 /*v398*/
	s_set_vgpr_msb 5                        ;  msbs: dst=0 src0=1 src1=1 src2=0
	v_mul_i32_i24_e32 v8, v137 /*v393*/, v30 /*v286*/
	s_set_vgpr_msb 0x45                     ;  msbs: dst=1 src0=1 src1=1 src2=0
	v_mul_i32_i24_e32 v142 /*v398*/, v139 /*v395*/, v28 /*v284*/
	s_set_vgpr_msb 0x44                     ;  msbs: dst=1 src0=0 src1=1 src2=0
	v_add_nc_u32_e32 v28 /*v284*/, v249, v28 /*v284*/
	s_set_vgpr_msb 5                        ;  msbs: dst=0 src0=1 src1=1 src2=0
	v_mad_i32_i24 v8, v138 /*v394*/, v31 /*v287*/, v8
	s_set_vgpr_msb 0x41                     ;  msbs: dst=1 src0=1 src1=0 src2=0
	s_delay_alu instid0(VALU_DEP_2) | instskip(SKIP_1) | instid1(VALU_DEP_2)
	v_add3_u32 v28 /*v284*/, v28 /*v284*/, v140, v39
	s_set_vgpr_msb 0x54                     ;  msbs: dst=1 src0=0 src1=1 src2=1
	v_add3_u32 v142 /*v398*/, v8, v142 /*v398*/, v143 /*v399*/
	s_set_vgpr_msb 5                        ;  msbs: dst=0 src0=1 src1=1 src2=0
	v_mul_i32_i24_e32 v8, v137 /*v393*/, v35 /*v291*/
	s_set_vgpr_msb 0x45                     ;  msbs: dst=1 src0=1 src1=1 src2=0
	v_mul_i32_i24_e32 v143 /*v399*/, v139 /*v395*/, v43 /*v299*/
	v_add_nc_u32_e32 v35 /*v291*/, v45 /*v301*/, v35 /*v291*/
	s_set_vgpr_msb 5                        ;  msbs: dst=0 src0=1 src1=1 src2=0
	v_mad_i32_i24 v8, v138 /*v394*/, v42 /*v298*/, v8
	s_set_vgpr_msb 0x41                     ;  msbs: dst=1 src0=1 src1=0 src2=0
	s_delay_alu instid0(VALU_DEP_2) | instskip(SKIP_1) | instid1(VALU_DEP_2)
	v_add3_u32 v35 /*v291*/, v35 /*v291*/, v208, v113
	s_set_vgpr_msb 0x54                     ;  msbs: dst=1 src0=0 src1=1 src2=1
	v_add3_u32 v143 /*v399*/, v8, v143 /*v399*/, v144 /*v400*/
	s_set_vgpr_msb 0                        ;  msbs: dst=0 src0=0 src1=0 src2=0
	v_mul_i32_i24_e32 v8, v10, v224
	s_set_vgpr_msb 0x41                     ;  msbs: dst=1 src0=1 src1=0 src2=0
	v_mul_i32_i24_e32 v144 /*v400*/, v38 /*v294*/, v162
	s_set_vgpr_msb 1                        ;  msbs: dst=0 src0=1 src1=0 src2=0
	s_delay_alu instid0(VALU_DEP_2) | instskip(SKIP_1) | instid1(VALU_DEP_1)
	v_mad_i32_i24 v8, v24 /*v280*/, v222, v8
	s_set_vgpr_msb 0x54                     ;  msbs: dst=1 src0=0 src1=1 src2=1
	v_add3_u32 v144 /*v400*/, v8, v144 /*v400*/, v145 /*v401*/
	s_set_vgpr_msb 1                        ;  msbs: dst=0 src0=1 src1=0 src2=0
	v_mul_i32_i24_e32 v8, v137 /*v393*/, v251
	s_set_vgpr_msb 0x41                     ;  msbs: dst=1 src0=1 src1=0 src2=0
	v_mul_i32_i24_e32 v145 /*v401*/, v139 /*v395*/, v253
	s_set_vgpr_msb 0                        ;  msbs: dst=0 src0=0 src1=0 src2=0
	v_dual_add_nc_u32 v251, v255, v251 :: v_dual_add_nc_u32 v253, v244, v253
	s_set_vgpr_msb 1                        ;  msbs: dst=0 src0=1 src1=0 src2=0
	v_mad_i32_i24 v8, v138 /*v394*/, v252, v8
	v_add_nc_u32_e32 v252, v0 /*v256*/, v252
	s_set_vgpr_msb 0                        ;  msbs: dst=0 src0=0 src1=0 src2=0
	v_add3_u32 v251, v251, v202, v80
	v_add3_u32 v253, v253, v127, v35
	s_set_vgpr_msb 0x54                     ;  msbs: dst=1 src0=0 src1=1 src2=1
	v_add3_u32 v145 /*v401*/, v8, v145 /*v401*/, v146 /*v402*/
	s_set_vgpr_msb 0                        ;  msbs: dst=0 src0=0 src1=0 src2=0
	v_mul_i32_i24_e32 v8, v10, v64
	s_set_vgpr_msb 0x41                     ;  msbs: dst=1 src0=1 src1=0 src2=0
	v_mul_i32_i24_e32 v146 /*v402*/, v38 /*v294*/, v133
	s_set_vgpr_msb 0                        ;  msbs: dst=0 src0=0 src1=0 src2=0
	v_add3_u32 v252, v252, v212, v81
	v_add_nc_u32_e32 v64, v193, v64
	s_set_vgpr_msb 1                        ;  msbs: dst=0 src0=1 src1=0 src2=0
	v_mad_i32_i24 v8, v24 /*v280*/, v145, v8
	s_set_vgpr_msb 0                        ;  msbs: dst=0 src0=0 src1=0 src2=0
	v_add_nc_u32_e32 v145, v147, v145
	v_add3_u32 v64, v64, v201, v79
	s_set_vgpr_msb 0x54                     ;  msbs: dst=1 src0=0 src1=1 src2=1
	v_add3_u32 v146 /*v402*/, v8, v146 /*v402*/, v147 /*v403*/
	s_set_vgpr_msb 5                        ;  msbs: dst=0 src0=1 src1=1 src2=0
	v_mul_i32_i24_e32 v8, v137 /*v393*/, v47 /*v303*/
	s_set_vgpr_msb 0x45                     ;  msbs: dst=1 src0=1 src1=1 src2=0
	v_mul_i32_i24_e32 v147 /*v403*/, v139 /*v395*/, v49 /*v305*/
	v_add_nc_u32_e32 v47 /*v303*/, v51 /*v307*/, v47 /*v303*/
	s_set_vgpr_msb 0                        ;  msbs: dst=0 src0=0 src1=0 src2=0
	v_add3_u32 v145, v145, v200, v51
	s_set_vgpr_msb 5                        ;  msbs: dst=0 src0=1 src1=1 src2=0
	v_mad_i32_i24 v8, v138 /*v394*/, v48 /*v304*/, v8
	s_set_vgpr_msb 0x45                     ;  msbs: dst=1 src0=1 src1=1 src2=0
	v_add_nc_u32_e32 v48 /*v304*/, v52 /*v308*/, v48 /*v304*/
	s_set_vgpr_msb 0x41                     ;  msbs: dst=1 src0=1 src1=0 src2=0
	v_add3_u32 v47 /*v303*/, v47 /*v303*/, v210, v115
	s_set_vgpr_msb 0x54                     ;  msbs: dst=1 src0=0 src1=1 src2=1
	v_add3_u32 v147 /*v403*/, v8, v147 /*v403*/, v148 /*v404*/
	s_set_vgpr_msb 0                        ;  msbs: dst=0 src0=0 src1=0 src2=0
	v_mul_i32_i24_e32 v8, v10, v241
	s_set_vgpr_msb 0x41                     ;  msbs: dst=1 src0=1 src1=0 src2=0
	v_mul_i32_i24_e32 v148 /*v404*/, v38 /*v294*/, v189
	v_add3_u32 v48 /*v304*/, v48 /*v304*/, v211, v116
	s_set_vgpr_msb 1                        ;  msbs: dst=0 src0=1 src1=0 src2=0
	v_mad_i32_i24 v8, v24 /*v280*/, v239, v8
	s_set_vgpr_msb 0x54                     ;  msbs: dst=1 src0=0 src1=1 src2=1
	s_delay_alu instid0(VALU_DEP_1)
	v_add3_u32 v148 /*v404*/, v8, v148 /*v404*/, v149 /*v405*/
	s_set_vgpr_msb 5                        ;  msbs: dst=0 src0=1 src1=1 src2=0
	v_mul_i32_i24_e32 v8, v137 /*v393*/, v22 /*v278*/
	s_set_vgpr_msb 0x45                     ;  msbs: dst=1 src0=1 src1=1 src2=0
	v_mul_i32_i24_e32 v149 /*v405*/, v139 /*v395*/, v21 /*v277*/
	s_set_vgpr_msb 0x44                     ;  msbs: dst=1 src0=0 src1=1 src2=0
	v_add_nc_u32_e32 v21 /*v277*/, v246, v21 /*v277*/
	s_set_vgpr_msb 5                        ;  msbs: dst=0 src0=1 src1=1 src2=0
	v_mad_i32_i24 v8, v138 /*v394*/, v23 /*v279*/, v8
	s_set_vgpr_msb 0x41                     ;  msbs: dst=1 src0=1 src1=0 src2=0
	s_delay_alu instid0(VALU_DEP_2) | instskip(SKIP_1) | instid1(VALU_DEP_2)
	v_add3_u32 v21 /*v277*/, v21 /*v277*/, v129, v37
	s_set_vgpr_msb 0x54                     ;  msbs: dst=1 src0=0 src1=1 src2=1
	v_add3_u32 v149 /*v405*/, v8, v149 /*v405*/, v150 /*v406*/
	s_set_vgpr_msb 0                        ;  msbs: dst=0 src0=0 src1=0 src2=0
	v_mul_i32_i24_e32 v8, v10, v172
	s_set_vgpr_msb 0x41                     ;  msbs: dst=1 src0=1 src1=0 src2=0
	v_mul_i32_i24_e32 v150 /*v406*/, v38 /*v294*/, v159
	s_set_vgpr_msb 1                        ;  msbs: dst=0 src0=1 src1=0 src2=0
	s_delay_alu instid0(VALU_DEP_2) | instskip(SKIP_3) | instid1(VALU_DEP_2)
	v_mad_i32_i24 v8, v24 /*v280*/, v173, v8
	s_set_vgpr_msb 0                        ;  msbs: dst=0 src0=0 src1=0 src2=0
	v_add_nc_u32_e32 v173, v228, v173
	s_set_vgpr_msb 0x54                     ;  msbs: dst=1 src0=0 src1=1 src2=1
	v_add3_u32 v150 /*v406*/, v8, v150 /*v406*/, v151 /*v407*/
	s_set_vgpr_msb 0                        ;  msbs: dst=0 src0=0 src1=0 src2=0
	v_mul_i32_i24_e32 v8, v10, v230
	s_set_vgpr_msb 0x41                     ;  msbs: dst=1 src0=1 src1=0 src2=0
	v_mul_i32_i24_e32 v151 /*v407*/, v38 /*v294*/, v167
	s_set_vgpr_msb 0                        ;  msbs: dst=0 src0=0 src1=0 src2=0
	v_mul_i32_i24_e32 v10, v10, v232
	v_dual_add_nc_u32 v230, v234, v230 :: v_dual_add_nc_u32 v232, v236, v232
	s_set_vgpr_msb 1                        ;  msbs: dst=0 src0=1 src1=0 src2=0
	v_mad_i32_i24 v8, v24 /*v280*/, v231, v8
	s_set_vgpr_msb 0                        ;  msbs: dst=0 src0=0 src1=0 src2=0
	v_add_nc_u32_e32 v231, v235, v231
	s_set_vgpr_msb 5                        ;  msbs: dst=0 src0=1 src1=1 src2=0
	v_mad_i32_i24 v10, v24 /*v280*/, v13 /*v269*/, v10
	s_set_vgpr_msb 0                        ;  msbs: dst=0 src0=0 src1=0 src2=0
	v_add3_u32 v230, v230, v194, v110
	v_add3_u32 v232, v232, v220, v121
	s_set_vgpr_msb 0x54                     ;  msbs: dst=1 src0=0 src1=1 src2=1
	v_add3_u32 v151 /*v407*/, v8, v151 /*v407*/, v152 /*v408*/
	s_set_vgpr_msb 5                        ;  msbs: dst=0 src0=1 src1=1 src2=0
	v_mul_i32_i24_e32 v8, v57 /*v313*/, v137 /*v393*/
	s_set_vgpr_msb 0x45                     ;  msbs: dst=1 src0=1 src1=1 src2=0
	v_mul_i32_i24_e32 v152 /*v408*/, v58 /*v314*/, v139 /*v395*/
	v_mul_i32_i24_e32 v137 /*v393*/, v5 /*v261*/, v137 /*v393*/
	s_set_vgpr_msb 0                        ;  msbs: dst=0 src0=0 src1=0 src2=0
	v_add3_u32 v231, v231, v203, v108
	s_set_vgpr_msb 5                        ;  msbs: dst=0 src0=1 src1=1 src2=0
	v_mad_i32_i24 v8, v127 /*v383*/, v138 /*v394*/, v8
	s_set_vgpr_msb 0x54                     ;  msbs: dst=1 src0=0 src1=1 src2=1
	s_delay_alu instid0(VALU_DEP_1) | instskip(SKIP_3) | instid1(VALU_DEP_1)
	v_add3_u32 v152 /*v408*/, v8, v152 /*v408*/, v153 /*v409*/
	s_set_vgpr_msb 1                        ;  msbs: dst=0 src0=1 src1=0 src2=0
	v_mul_i32_i24_e32 v8, v38 /*v294*/, v238
	s_set_vgpr_msb 64                       ;  msbs: dst=1 src0=0 src1=0 src2=0
	v_add3_u32 v38 /*v294*/, v10, v8, v9
	s_set_vgpr_msb 0                        ;  msbs: dst=0 src0=0 src1=0 src2=0
	v_add_nc_u32_e32 v8, 0x1088, v221
	s_set_vgpr_msb 5                        ;  msbs: dst=0 src0=1 src1=1 src2=0
	v_mul_i32_i24_e32 v10, v5 /*v261*/, v83 /*v339*/
	s_set_vgpr_msb 0                        ;  msbs: dst=0 src0=0 src1=0 src2=0
	ds_load_2addr_b32 v[8:9], v8 offset1:1
	s_wait_dscnt 0x0
	s_set_vgpr_msb 64                       ;  msbs: dst=1 src0=0 src1=0 src2=0
	v_ashrrev_i32_e32 v24 /*v280*/, s18, v8
	s_set_vgpr_msb 0x44                     ;  msbs: dst=1 src0=0 src1=1 src2=0
	s_delay_alu instid0(VALU_DEP_1) | instskip(SKIP_1) | instid1(VALU_DEP_1)
	v_and_b32_e32 v83 /*v339*/, 3, v24 /*v280*/
	s_set_vgpr_msb 5                        ;  msbs: dst=0 src0=1 src1=1 src2=0
	v_mul_i32_i24_e32 v8, v83 /*v339*/, v10 /*v266*/
	s_set_vgpr_msb 0x41                     ;  msbs: dst=1 src0=1 src1=0 src2=0
	s_delay_alu instid0(VALU_DEP_1)
	v_add3_u32 v153 /*v409*/, v29 /*v285*/, v8, v10
	s_set_vgpr_msb 4                        ;  msbs: dst=0 src0=0 src1=1 src2=0
	v_and_b32_e32 v8, 3, v154 /*v410*/
	s_set_vgpr_msb 64                       ;  msbs: dst=1 src0=0 src1=0 src2=0
	v_ashrrev_i32_e32 v29 /*v285*/, s18, v2
	s_set_vgpr_msb 0                        ;  msbs: dst=0 src0=0 src1=0 src2=0
	s_delay_alu instid0(VALU_DEP_2) | instskip(SKIP_1) | instid1(VALU_DEP_1)
	v_mul_i32_i24_e32 v10, v8, v204
	s_set_vgpr_msb 0x41                     ;  msbs: dst=1 src0=1 src1=0 src2=0
	v_add3_u32 v66 /*v322*/, v66 /*v322*/, v10, v11
	s_set_vgpr_msb 5                        ;  msbs: dst=0 src0=1 src1=1 src2=0
	v_mul_i32_i24_e32 v10, v5 /*v261*/, v89 /*v345*/
	s_set_vgpr_msb 0x44                     ;  msbs: dst=1 src0=0 src1=1 src2=0
	v_and_b32_e32 v89 /*v345*/, 3, v29 /*v285*/
	s_set_vgpr_msb 1                        ;  msbs: dst=0 src0=1 src1=0 src2=0
	v_mul_i32_i24_e32 v11, v156 /*v412*/, v205
	s_set_vgpr_msb 5                        ;  msbs: dst=0 src0=1 src1=1 src2=0
	s_delay_alu instid0(VALU_DEP_2) | instskip(SKIP_1) | instid1(VALU_DEP_1)
	v_mul_i32_i24_e32 v2, v89 /*v345*/, v10 /*v266*/
	s_set_vgpr_msb 0x41                     ;  msbs: dst=1 src0=1 src1=0 src2=0
	v_add3_u32 v71 /*v327*/, v71 /*v327*/, v2, v10
	s_set_vgpr_msb 4                        ;  msbs: dst=0 src0=0 src1=1 src2=0
	v_and_b32_e32 v2, 3, v37 /*v293*/
	s_set_vgpr_msb 0                        ;  msbs: dst=0 src0=0 src1=0 src2=0
	s_delay_alu instid0(VALU_DEP_1) | instskip(SKIP_1) | instid1(VALU_DEP_1)
	v_mul_i32_i24_e32 v10, v2, v204
	s_set_vgpr_msb 0x41                     ;  msbs: dst=1 src0=1 src1=0 src2=0
	v_add3_u32 v74 /*v330*/, v74 /*v330*/, v10, v11
	s_set_vgpr_msb 0                        ;  msbs: dst=0 src0=0 src1=0 src2=0
	v_add_nc_u32_e32 v10, 0x3188, v221
	ds_load_2addr_b32 v[10:11], v10 offset1:1
	s_wait_dscnt 0x0
	v_ashrrev_i32_e32 v10, s18, v10
	s_set_vgpr_msb 64                       ;  msbs: dst=1 src0=0 src1=0 src2=0
	s_delay_alu instid0(VALU_DEP_1) | instskip(SKIP_1) | instid1(VALU_DEP_1)
	v_and_b32_e32 v157 /*v413*/, 3, v10
	s_set_vgpr_msb 0x55                     ;  msbs: dst=1 src0=1 src1=1 src2=1
	v_mul_i32_i24_e32 v158 /*v414*/, v157 /*v413*/, v10 /*v266*/
	s_delay_alu instid0(VALU_DEP_1) | instskip(SKIP_3) | instid1(VALU_DEP_2)
	v_add3_u32 v79 /*v335*/, v79 /*v335*/, v158 /*v414*/, v95 /*v351*/
	v_and_b32_e32 v95 /*v351*/, 3, v41 /*v297*/
	v_bfe_u32 v158 /*v414*/, v41 /*v297*/, 8, 2
	s_set_vgpr_msb 0x41                     ;  msbs: dst=1 src0=1 src1=0 src2=0
	v_mul_i32_i24_e32 v159 /*v415*/, v95 /*v351*/, v204
	s_delay_alu instid0(VALU_DEP_2) | instskip(SKIP_1) | instid1(VALU_DEP_1)
	v_mul_i32_i24_e32 v160 /*v416*/, v158 /*v414*/, v205
	s_set_vgpr_msb 0x55                     ;  msbs: dst=1 src0=1 src1=1 src2=1
	v_add3_u32 v82 /*v338*/, v82 /*v338*/, v159 /*v415*/, v160 /*v416*/
	v_mul_i32_i24_e32 v159 /*v415*/, v62 /*v318*/, v18 /*v274*/
	v_mul_i32_i24_e32 v160 /*v416*/, v61 /*v317*/, v19 /*v275*/
	s_delay_alu instid0(VALU_DEP_1)
	v_add3_u32 v87 /*v343*/, v87 /*v343*/, v159 /*v415*/, v160 /*v416*/
	s_set_vgpr_msb 64                       ;  msbs: dst=1 src0=0 src1=0 src2=0
	v_mul_i32_i24_e32 v159 /*v415*/, v8, v218
	s_set_vgpr_msb 0x41                     ;  msbs: dst=1 src0=1 src1=0 src2=0
	v_mul_i32_i24_e32 v160 /*v416*/, v155 /*v411*/, v219
	s_set_vgpr_msb 0x55                     ;  msbs: dst=1 src0=1 src1=1 src2=1
	s_delay_alu instid0(VALU_DEP_1) | instskip(SKIP_2) | instid1(VALU_DEP_1)
	v_add3_u32 v88 /*v344*/, v88 /*v344*/, v159 /*v415*/, v160 /*v416*/
	v_mul_i32_i24_e32 v159 /*v415*/, v67 /*v323*/, v18 /*v274*/
	v_mul_i32_i24_e32 v160 /*v416*/, v68 /*v324*/, v19 /*v275*/
	v_add3_u32 v93 /*v349*/, v93 /*v349*/, v159 /*v415*/, v160 /*v416*/
	s_set_vgpr_msb 64                       ;  msbs: dst=1 src0=0 src1=0 src2=0
	v_mul_i32_i24_e32 v159 /*v415*/, v2, v218
	s_set_vgpr_msb 0x41                     ;  msbs: dst=1 src0=1 src1=0 src2=0
	v_mul_i32_i24_e32 v160 /*v416*/, v156 /*v412*/, v219
	s_set_vgpr_msb 0x55                     ;  msbs: dst=1 src0=1 src1=1 src2=1
	s_delay_alu instid0(VALU_DEP_1) | instskip(SKIP_2) | instid1(VALU_DEP_1)
	v_add3_u32 v94 /*v350*/, v94 /*v350*/, v159 /*v415*/, v160 /*v416*/
	v_mul_i32_i24_e32 v159 /*v415*/, v75 /*v331*/, v18 /*v274*/
	v_mul_i32_i24_e32 v160 /*v416*/, v76 /*v332*/, v19 /*v275*/
	v_add3_u32 v99 /*v355*/, v99 /*v355*/, v159 /*v415*/, v160 /*v416*/
	s_set_vgpr_msb 0x41                     ;  msbs: dst=1 src0=1 src1=0 src2=0
	v_mul_i32_i24_e32 v159 /*v415*/, v95 /*v351*/, v218
	v_mul_i32_i24_e32 v160 /*v416*/, v158 /*v414*/, v219
	s_set_vgpr_msb 0x55                     ;  msbs: dst=1 src0=1 src1=1 src2=1
	s_delay_alu instid0(VALU_DEP_1) | instskip(SKIP_2) | instid1(VALU_DEP_1)
	v_add3_u32 v100 /*v356*/, v100 /*v356*/, v159 /*v415*/, v160 /*v416*/
	v_mul_i32_i24_e32 v159 /*v415*/, v62 /*v318*/, v33 /*v289*/
	v_mul_i32_i24_e32 v160 /*v416*/, v61 /*v317*/, v34 /*v290*/
	v_add3_u32 v101 /*v357*/, v101 /*v357*/, v159 /*v415*/, v160 /*v416*/
	v_mul_i32_i24_e32 v159 /*v415*/, v67 /*v323*/, v33 /*v289*/
	v_mul_i32_i24_e32 v160 /*v416*/, v68 /*v324*/, v34 /*v290*/
	s_delay_alu instid0(VALU_DEP_1) | instskip(SKIP_2) | instid1(VALU_DEP_1)
	v_add3_u32 v102 /*v358*/, v102 /*v358*/, v159 /*v415*/, v160 /*v416*/
	v_mul_i32_i24_e32 v159 /*v415*/, v75 /*v331*/, v33 /*v289*/
	v_mul_i32_i24_e32 v160 /*v416*/, v76 /*v332*/, v34 /*v290*/
	v_add3_u32 v103 /*v359*/, v103 /*v359*/, v159 /*v415*/, v160 /*v416*/
	v_mul_i32_i24_e32 v159 /*v415*/, v62 /*v318*/, v45 /*v301*/
	v_mul_i32_i24_e32 v160 /*v416*/, v61 /*v317*/, v46 /*v302*/
	;; [unrolled: 7-line block ×3, first 2 shown]
	v_mul_i32_i24_e32 v45 /*v301*/, v72 /*v328*/, v45 /*v301*/
	s_delay_alu instid0(VALU_DEP_2)
	v_add3_u32 v108 /*v364*/, v108 /*v364*/, v159 /*v415*/, v160 /*v416*/
	s_set_vgpr_msb 64                       ;  msbs: dst=1 src0=0 src1=0 src2=0
	v_mul_i32_i24_e32 v159 /*v415*/, v8, v225
	s_set_vgpr_msb 0x41                     ;  msbs: dst=1 src0=1 src1=0 src2=0
	v_mul_i32_i24_e32 v160 /*v416*/, v155 /*v411*/, v223
	s_set_vgpr_msb 0x55                     ;  msbs: dst=1 src0=1 src1=1 src2=1
	s_delay_alu instid0(VALU_DEP_1)
	v_add3_u32 v105 /*v361*/, v105 /*v361*/, v159 /*v415*/, v160 /*v416*/
	s_set_vgpr_msb 64                       ;  msbs: dst=1 src0=0 src1=0 src2=0
	v_mul_i32_i24_e32 v159 /*v415*/, v2, v225
	s_set_vgpr_msb 0x41                     ;  msbs: dst=1 src0=1 src1=0 src2=0
	v_mul_i32_i24_e32 v160 /*v416*/, v156 /*v412*/, v223
	s_set_vgpr_msb 0x55                     ;  msbs: dst=1 src0=1 src1=1 src2=1
	s_delay_alu instid0(VALU_DEP_1) | instskip(SKIP_4) | instid1(VALU_DEP_1)
	v_add3_u32 v107 /*v363*/, v107 /*v363*/, v159 /*v415*/, v160 /*v416*/
	s_set_vgpr_msb 0x41                     ;  msbs: dst=1 src0=1 src1=0 src2=0
	v_mul_i32_i24_e32 v159 /*v415*/, v95 /*v351*/, v225
	v_mul_i32_i24_e32 v160 /*v416*/, v158 /*v414*/, v223
	s_set_vgpr_msb 0x55                     ;  msbs: dst=1 src0=1 src1=1 src2=1
	v_add3_u32 v109 /*v365*/, v109 /*v365*/, v159 /*v415*/, v160 /*v416*/
	v_mul_i32_i24_e32 v159 /*v415*/, v62 /*v318*/, v51 /*v307*/
	v_mul_i32_i24_e32 v160 /*v416*/, v61 /*v317*/, v52 /*v308*/
	s_delay_alu instid0(VALU_DEP_1)
	v_add3_u32 v110 /*v366*/, v110 /*v366*/, v159 /*v415*/, v160 /*v416*/
	s_set_vgpr_msb 64                       ;  msbs: dst=1 src0=0 src1=0 src2=0
	v_mul_i32_i24_e32 v159 /*v415*/, v8, v243
	s_set_vgpr_msb 0x41                     ;  msbs: dst=1 src0=1 src1=0 src2=0
	v_mul_i32_i24_e32 v160 /*v416*/, v155 /*v411*/, v242
	s_set_vgpr_msb 0x55                     ;  msbs: dst=1 src0=1 src1=1 src2=1
	s_delay_alu instid0(VALU_DEP_1) | instskip(SKIP_2) | instid1(VALU_DEP_1)
	v_add3_u32 v111 /*v367*/, v111 /*v367*/, v159 /*v415*/, v160 /*v416*/
	v_mul_i32_i24_e32 v159 /*v415*/, v67 /*v323*/, v51 /*v307*/
	v_mul_i32_i24_e32 v160 /*v416*/, v68 /*v324*/, v52 /*v308*/
	v_add3_u32 v112 /*v368*/, v112 /*v368*/, v159 /*v415*/, v160 /*v416*/
	s_set_vgpr_msb 64                       ;  msbs: dst=1 src0=0 src1=0 src2=0
	v_mul_i32_i24_e32 v159 /*v415*/, v2, v243
	s_set_vgpr_msb 0x41                     ;  msbs: dst=1 src0=1 src1=0 src2=0
	v_mul_i32_i24_e32 v160 /*v416*/, v156 /*v412*/, v242
	s_set_vgpr_msb 0x55                     ;  msbs: dst=1 src0=1 src1=1 src2=1
	s_delay_alu instid0(VALU_DEP_1) | instskip(SKIP_4) | instid1(VALU_DEP_3)
	v_add3_u32 v113 /*v369*/, v113 /*v369*/, v159 /*v415*/, v160 /*v416*/
	v_mul_i32_i24_e32 v159 /*v415*/, v75 /*v331*/, v51 /*v307*/
	v_mul_i32_i24_e32 v160 /*v416*/, v76 /*v332*/, v52 /*v308*/
	v_mul_i32_i24_e32 v51 /*v307*/, v72 /*v328*/, v51 /*v307*/
	v_mul_i32_i24_e32 v52 /*v308*/, v73 /*v329*/, v52 /*v308*/
	v_add3_u32 v114 /*v370*/, v114 /*v370*/, v159 /*v415*/, v160 /*v416*/
	s_set_vgpr_msb 0x41                     ;  msbs: dst=1 src0=1 src1=0 src2=0
	v_mul_i32_i24_e32 v159 /*v415*/, v95 /*v351*/, v243
	v_mul_i32_i24_e32 v160 /*v416*/, v158 /*v414*/, v242
	s_set_vgpr_msb 0x55                     ;  msbs: dst=1 src0=1 src1=1 src2=1
	v_add3_u32 v51 /*v307*/, v147 /*v403*/, v51 /*v307*/, v52 /*v308*/
	s_delay_alu instid0(VALU_DEP_2) | instskip(SKIP_2) | instid1(VALU_DEP_1)
	v_add3_u32 v115 /*v371*/, v115 /*v371*/, v159 /*v415*/, v160 /*v416*/
	v_mul_i32_i24_e32 v159 /*v415*/, v62 /*v318*/, v26 /*v282*/
	v_mul_i32_i24_e32 v160 /*v416*/, v61 /*v317*/, v27 /*v283*/
	v_add3_u32 v116 /*v372*/, v116 /*v372*/, v159 /*v415*/, v160 /*v416*/
	v_mul_i32_i24_e32 v159 /*v415*/, v67 /*v323*/, v26 /*v282*/
	v_mul_i32_i24_e32 v160 /*v416*/, v68 /*v324*/, v27 /*v283*/
	s_delay_alu instid0(VALU_DEP_1)
	v_add3_u32 v117 /*v373*/, v117 /*v373*/, v159 /*v415*/, v160 /*v416*/
	s_set_vgpr_msb 64                       ;  msbs: dst=1 src0=0 src1=0 src2=0
	v_mul_i32_i24_e32 v159 /*v415*/, v8, v227
	s_set_vgpr_msb 0x41                     ;  msbs: dst=1 src0=1 src1=0 src2=0
	v_mul_i32_i24_e32 v160 /*v416*/, v155 /*v411*/, v228
	s_set_vgpr_msb 0x55                     ;  msbs: dst=1 src0=1 src1=1 src2=1
	s_delay_alu instid0(VALU_DEP_1)
	v_add3_u32 v118 /*v374*/, v118 /*v374*/, v159 /*v415*/, v160 /*v416*/
	s_set_vgpr_msb 64                       ;  msbs: dst=1 src0=0 src1=0 src2=0
	v_mul_i32_i24_e32 v159 /*v415*/, v2, v227
	s_set_vgpr_msb 0x41                     ;  msbs: dst=1 src0=1 src1=0 src2=0
	v_mul_i32_i24_e32 v160 /*v416*/, v156 /*v412*/, v228
	s_set_vgpr_msb 0x55                     ;  msbs: dst=1 src0=1 src1=1 src2=1
	s_delay_alu instid0(VALU_DEP_1) | instskip(SKIP_4) | instid1(VALU_DEP_1)
	v_add3_u32 v119 /*v375*/, v119 /*v375*/, v159 /*v415*/, v160 /*v416*/
	s_set_vgpr_msb 0x41                     ;  msbs: dst=1 src0=1 src1=0 src2=0
	v_mul_i32_i24_e32 v159 /*v415*/, v95 /*v351*/, v227
	v_mul_i32_i24_e32 v160 /*v416*/, v158 /*v414*/, v228
	s_set_vgpr_msb 0x55                     ;  msbs: dst=1 src0=1 src1=1 src2=1
	v_add3_u32 v120 /*v376*/, v120 /*v376*/, v159 /*v415*/, v160 /*v416*/
	s_set_vgpr_msb 64                       ;  msbs: dst=1 src0=0 src1=0 src2=0
	v_mul_i32_i24_e32 v159 /*v415*/, v2, v234
	s_set_vgpr_msb 0x41                     ;  msbs: dst=1 src0=1 src1=0 src2=0
	v_mul_i32_i24_e32 v160 /*v416*/, v156 /*v412*/, v235
	s_set_vgpr_msb 0x55                     ;  msbs: dst=1 src0=1 src1=1 src2=1
	s_delay_alu instid0(VALU_DEP_1)
	v_add3_u32 v121 /*v377*/, v121 /*v377*/, v159 /*v415*/, v160 /*v416*/
	s_set_vgpr_msb 64                       ;  msbs: dst=1 src0=0 src1=0 src2=0
	v_mul_i32_i24_e32 v159 /*v415*/, v8, v234
	s_set_vgpr_msb 0x41                     ;  msbs: dst=1 src0=1 src1=0 src2=0
	v_mul_i32_i24_e32 v160 /*v416*/, v155 /*v411*/, v235
	s_set_vgpr_msb 0x55                     ;  msbs: dst=1 src0=1 src1=1 src2=1
	s_delay_alu instid0(VALU_DEP_1) | instskip(SKIP_2) | instid1(VALU_DEP_1)
	v_add3_u32 v122 /*v378*/, v122 /*v378*/, v159 /*v415*/, v160 /*v416*/
	v_mul_i32_i24_e32 v159 /*v415*/, v75 /*v331*/, v26 /*v282*/
	v_mul_i32_i24_e32 v160 /*v416*/, v76 /*v332*/, v27 /*v283*/
	v_add3_u32 v123 /*v379*/, v123 /*v379*/, v159 /*v415*/, v160 /*v416*/
	s_set_vgpr_msb 0x41                     ;  msbs: dst=1 src0=1 src1=0 src2=0
	v_mul_i32_i24_e32 v159 /*v415*/, v95 /*v351*/, v234
	v_mul_i32_i24_e32 v160 /*v416*/, v158 /*v414*/, v235
	s_set_vgpr_msb 0x55                     ;  msbs: dst=1 src0=1 src1=1 src2=1
	s_delay_alu instid0(VALU_DEP_1)
	v_add3_u32 v124 /*v380*/, v124 /*v380*/, v159 /*v415*/, v160 /*v416*/
	s_set_vgpr_msb 0x41                     ;  msbs: dst=1 src0=1 src1=0 src2=0
	v_mul_i32_i24_e32 v159 /*v415*/, v62 /*v318*/, v255
	s_set_vgpr_msb 0x55                     ;  msbs: dst=1 src0=1 src1=1 src2=1
	v_mul_i32_i24_e32 v160 /*v416*/, v61 /*v317*/, v0 /*v256*/
	v_mul_i32_i24_e32 v62 /*v318*/, v62 /*v318*/, v59 /*v315*/
	v_mul_i32_i24_e32 v61 /*v317*/, v61 /*v317*/, v53 /*v309*/
	s_delay_alu instid0(VALU_DEP_3)
	v_add3_u32 v125 /*v381*/, v125 /*v381*/, v159 /*v415*/, v160 /*v416*/
	s_set_vgpr_msb 64                       ;  msbs: dst=1 src0=0 src1=0 src2=0
	v_mul_i32_i24_e32 v159 /*v415*/, v8, v193
	s_set_vgpr_msb 0x55                     ;  msbs: dst=1 src0=1 src1=1 src2=1
	v_add3_u32 v61 /*v317*/, v128 /*v384*/, v62 /*v318*/, v61 /*v317*/
	v_mul_i32_i24_e32 v62 /*v318*/, v67 /*v323*/, v59 /*v315*/
	v_mul_i32_i24_e32 v128 /*v384*/, v68 /*v324*/, v53 /*v309*/
	s_set_vgpr_msb 0x41                     ;  msbs: dst=1 src0=1 src1=0 src2=0
	v_mul_i32_i24_e32 v67 /*v323*/, v67 /*v323*/, v255
	s_set_vgpr_msb 0x45                     ;  msbs: dst=1 src0=1 src1=1 src2=0
	v_mul_i32_i24_e32 v68 /*v324*/, v68 /*v324*/, v0 /*v256*/
	s_set_vgpr_msb 0                        ;  msbs: dst=0 src0=0 src1=0 src2=0
	v_mul_i32_i24_e32 v8, v8, v236
	s_set_vgpr_msb 0x41                     ;  msbs: dst=1 src0=1 src1=0 src2=0
	v_mul_i32_i24_e32 v160 /*v416*/, v155 /*v411*/, v147
	s_set_vgpr_msb 0x55                     ;  msbs: dst=1 src0=1 src1=1 src2=1
	v_add3_u32 v62 /*v318*/, v129 /*v385*/, v62 /*v318*/, v128 /*v384*/
	v_mul_i32_i24_e32 v128 /*v384*/, v75 /*v331*/, v59 /*v315*/
	v_mul_i32_i24_e32 v129 /*v385*/, v76 /*v332*/, v53 /*v309*/
	v_add3_u32 v67 /*v323*/, v131 /*v387*/, v67 /*v323*/, v68 /*v324*/
	s_set_vgpr_msb 64                       ;  msbs: dst=1 src0=0 src1=0 src2=0
	v_mul_i32_i24_e32 v68 /*v324*/, v2, v193
	s_set_vgpr_msb 0x41                     ;  msbs: dst=1 src0=1 src1=0 src2=0
	v_mul_i32_i24_e32 v75 /*v331*/, v75 /*v331*/, v255
	s_set_vgpr_msb 0x55                     ;  msbs: dst=1 src0=1 src1=1 src2=1
	v_mul_i32_i24_e32 v76 /*v332*/, v76 /*v332*/, v0 /*v256*/
	v_add3_u32 v128 /*v384*/, v130 /*v386*/, v128 /*v384*/, v129 /*v385*/
	s_set_vgpr_msb 0x41                     ;  msbs: dst=1 src0=1 src1=0 src2=0
	v_mul_i32_i24_e32 v129 /*v385*/, v156 /*v412*/, v147
	s_set_vgpr_msb 0                        ;  msbs: dst=0 src0=0 src1=0 src2=0
	v_mul_i32_i24_e32 v2, v2, v236
	s_set_vgpr_msb 0x55                     ;  msbs: dst=1 src0=1 src1=1 src2=1
	v_add3_u32 v126 /*v382*/, v126 /*v382*/, v159 /*v415*/, v160 /*v416*/
	v_add3_u32 v75 /*v331*/, v133 /*v389*/, v75 /*v331*/, v76 /*v332*/
	s_set_vgpr_msb 0x41                     ;  msbs: dst=1 src0=1 src1=0 src2=0
	v_mul_i32_i24_e32 v76 /*v332*/, v95 /*v351*/, v193
	s_set_vgpr_msb 0x55                     ;  msbs: dst=1 src0=1 src1=1 src2=1
	v_add3_u32 v68 /*v324*/, v132 /*v388*/, v68 /*v324*/, v129 /*v385*/
	s_set_vgpr_msb 0x41                     ;  msbs: dst=1 src0=1 src1=0 src2=0
	v_mul_i32_i24_e32 v129 /*v385*/, v158 /*v414*/, v147
	s_set_vgpr_msb 0x55                     ;  msbs: dst=1 src0=1 src1=1 src2=1
	s_delay_alu instid0(VALU_DEP_1) | instskip(SKIP_2) | instid1(VALU_DEP_1)
	v_add3_u32 v76 /*v332*/, v134 /*v390*/, v76 /*v332*/, v129 /*v385*/
	v_mul_i32_i24_e32 v129 /*v385*/, v155 /*v411*/, v60 /*v316*/
	s_set_vgpr_msb 0x51                     ;  msbs: dst=1 src0=1 src1=0 src2=1
	v_add3_u32 v65 /*v321*/, v65 /*v321*/, v8, v129 /*v385*/
	s_set_vgpr_msb 5                        ;  msbs: dst=0 src0=1 src1=1 src2=0
	v_mul_i32_i24_e32 v8, v156 /*v412*/, v60 /*v316*/
	s_set_vgpr_msb 0x41                     ;  msbs: dst=1 src0=1 src1=0 src2=0
	s_delay_alu instid0(VALU_DEP_1)
	v_add3_u32 v36 /*v292*/, v36 /*v292*/, v2, v8
	s_set_vgpr_msb 1                        ;  msbs: dst=0 src0=1 src1=0 src2=0
	v_mul_i32_i24_e32 v2, v95 /*v351*/, v236
	s_set_vgpr_msb 5                        ;  msbs: dst=0 src0=1 src1=1 src2=0
	v_mul_i32_i24_e32 v8, v158 /*v414*/, v60 /*v316*/
	s_set_vgpr_msb 0x41                     ;  msbs: dst=1 src0=1 src1=0 src2=0
	s_delay_alu instid0(VALU_DEP_1)
	v_add3_u32 v40 /*v296*/, v40 /*v296*/, v2, v8
	s_set_vgpr_msb 0                        ;  msbs: dst=0 src0=0 src1=0 src2=0
	v_bfe_u32 v2, v154, 4, 4
	s_set_vgpr_msb 5                        ;  msbs: dst=0 src0=1 src1=1 src2=0
	v_add_nc_u32_e32 v8, v46 /*v302*/, v42 /*v298*/
	s_set_vgpr_msb 0x45                     ;  msbs: dst=1 src0=1 src1=1 src2=0
	v_mul_i32_i24_e32 v46 /*v302*/, v73 /*v329*/, v46 /*v302*/
	s_set_vgpr_msb 64                       ;  msbs: dst=1 src0=0 src1=0 src2=0
	v_mul_lo_u32 v95 /*v351*/, 0x1010101, v2
	s_set_vgpr_msb 5                        ;  msbs: dst=0 src0=1 src1=1 src2=0
	v_add_nc_u32_e32 v2, v1 /*v257*/, v43 /*v299*/
	s_set_vgpr_msb 64                       ;  msbs: dst=1 src0=0 src1=0 src2=0
	v_add3_u32 v43 /*v299*/, v8, v209, v114
	s_set_vgpr_msb 0x55                     ;  msbs: dst=1 src0=1 src1=1 src2=1
	v_add3_u32 v45 /*v301*/, v143 /*v399*/, v45 /*v301*/, v46 /*v302*/
	s_set_vgpr_msb 64                       ;  msbs: dst=1 src0=0 src1=0 src2=0
	v_add3_u32 v42 /*v298*/, v2, v175, v58
	s_set_vgpr_msb 0x41                     ;  msbs: dst=1 src0=1 src1=0 src2=0
	v_bfe_i32 v129 /*v385*/, v95 /*v351*/, 16, 8
	v_bfe_i32 v130 /*v386*/, v95 /*v351*/, 8, 8
	;; [unrolled: 1-line block ×3, first 2 shown]
	s_set_vgpr_msb 5                        ;  msbs: dst=0 src0=1 src1=1 src2=0
	s_delay_alu instid0(VALU_DEP_3) | instskip(NEXT) | instid1(VALU_DEP_3)
	v_mul_i32_i24_e32 v2, v42 /*v298*/, v129 /*v385*/
	v_mul_i32_i24_e32 v8, v43 /*v299*/, v130 /*v386*/
	s_set_vgpr_msb 0x45                     ;  msbs: dst=1 src0=1 src1=1 src2=0
	v_mul_i32_i24_e32 v132 /*v388*/, v35 /*v291*/, v131 /*v387*/
	s_set_vgpr_msb 0x44                     ;  msbs: dst=1 src0=0 src1=1 src2=0
	s_delay_alu instid0(VALU_DEP_1) | instskip(SKIP_3) | instid1(VALU_DEP_1)
	v_add3_u32 v132 /*v388*/, v8, v132 /*v388*/, v2
	s_set_vgpr_msb 0                        ;  msbs: dst=0 src0=0 src1=0 src2=0
	v_bfe_u32 v2, v153, 4, 4
	s_set_vgpr_msb 0x41                     ;  msbs: dst=1 src0=1 src1=0 src2=0
	v_mul_lo_u32 v133 /*v389*/, 0x1010101, v2
	s_delay_alu instid0(VALU_DEP_1) | instskip(SKIP_3) | instid1(VALU_DEP_3)
	v_bfe_i32 v134 /*v390*/, v133 /*v389*/, 16, 8
	v_bfe_i32 v155 /*v411*/, v133 /*v389*/, 8, 8
	;; [unrolled: 1-line block ×3, first 2 shown]
	s_set_vgpr_msb 5                        ;  msbs: dst=0 src0=1 src1=1 src2=0
	v_mul_i32_i24_e32 v2, v42 /*v298*/, v134 /*v390*/
	s_delay_alu instid0(VALU_DEP_3) | instskip(SKIP_3) | instid1(VALU_DEP_1)
	v_mul_i32_i24_e32 v8, v43 /*v299*/, v155 /*v411*/
	s_set_vgpr_msb 0x45                     ;  msbs: dst=1 src0=1 src1=1 src2=0
	v_mul_i32_i24_e32 v158 /*v414*/, v35 /*v291*/, v156 /*v412*/
	s_set_vgpr_msb 0x44                     ;  msbs: dst=1 src0=0 src1=1 src2=0
	v_add3_u32 v158 /*v414*/, v8, v158 /*v414*/, v2
	s_set_vgpr_msb 20                       ;  msbs: dst=0 src0=0 src1=1 src2=1
	v_add3_u32 v2, s19, v207 /*v463*/, v190 /*v446*/
	ds_load_u16 v8, v2
	s_wait_dscnt 0x0
	v_bfe_u32 v2, v8, 4, 4
	s_set_vgpr_msb 64                       ;  msbs: dst=1 src0=0 src1=0 src2=0
	s_delay_alu instid0(VALU_DEP_1) | instskip(SKIP_3) | instid1(VALU_DEP_1)
	v_mul_lo_u32 v159 /*v415*/, 0x1010101, v2
	s_set_vgpr_msb 5                        ;  msbs: dst=0 src0=1 src1=1 src2=0
	v_add_nc_u32_e32 v2, v3 /*v259*/, v49 /*v305*/
	s_set_vgpr_msb 64                       ;  msbs: dst=1 src0=0 src1=0 src2=0
	v_add3_u32 v49 /*v305*/, v2, v177, v61
	s_set_vgpr_msb 0x41                     ;  msbs: dst=1 src0=1 src1=0 src2=0
	s_delay_alu instid0(VALU_DEP_3) | instskip(SKIP_3) | instid1(VALU_DEP_3)
	v_bfe_i32 v160 /*v416*/, v159 /*v415*/, 16, 8
	v_bfe_i32 v161 /*v417*/, v159 /*v415*/, 8, 8
	;; [unrolled: 1-line block ×3, first 2 shown]
	s_set_vgpr_msb 5                        ;  msbs: dst=0 src0=1 src1=1 src2=0
	v_mul_i32_i24_e32 v2, v49 /*v305*/, v160 /*v416*/
	s_set_vgpr_msb 0x45                     ;  msbs: dst=1 src0=1 src1=1 src2=0
	v_mul_i32_i24_e32 v163 /*v419*/, v48 /*v304*/, v161 /*v417*/
	v_mul_i32_i24_e32 v164 /*v420*/, v47 /*v303*/, v162 /*v418*/
	s_delay_alu instid0(VALU_DEP_1) | instskip(SKIP_3) | instid1(VALU_DEP_1)
	v_add3_u32 v163 /*v419*/, v163 /*v419*/, v164 /*v420*/, v2
	s_set_vgpr_msb 0                        ;  msbs: dst=0 src0=0 src1=0 src2=0
	v_ashrrev_i32_e32 v2, s18, v6
	s_set_vgpr_msb 64                       ;  msbs: dst=1 src0=0 src1=0 src2=0
	v_and_b32_e32 v164 /*v420*/, 3, v2
	s_set_vgpr_msb 5                        ;  msbs: dst=0 src0=1 src1=1 src2=0
	s_delay_alu instid0(VALU_DEP_1) | instskip(SKIP_1) | instid1(VALU_DEP_1)
	v_mul_i32_i24_e32 v6, v164 /*v420*/, v10 /*v266*/
	s_set_vgpr_msb 0x51                     ;  msbs: dst=1 src0=1 src1=0 src2=1
	v_add3_u32 v135 /*v391*/, v135 /*v391*/, v6, v137 /*v393*/
	s_set_vgpr_msb 4                        ;  msbs: dst=0 src0=0 src1=1 src2=0
	v_and_b32_e32 v6, 3, v39 /*v295*/
	s_set_vgpr_msb 0x41                     ;  msbs: dst=1 src0=1 src1=0 src2=0
	v_bfe_u32 v137 /*v393*/, v39 /*v295*/, 8, 2
	s_set_vgpr_msb 64                       ;  msbs: dst=1 src0=0 src1=0 src2=0
	s_delay_alu instid0(VALU_DEP_2) | instskip(SKIP_1) | instid1(VALU_DEP_2)
	v_mul_i32_i24_e32 v46 /*v302*/, v6, v225
	s_set_vgpr_msb 0x41                     ;  msbs: dst=1 src0=1 src1=0 src2=0
	v_mul_i32_i24_e32 v143 /*v399*/, v137 /*v393*/, v223
	s_set_vgpr_msb 64                       ;  msbs: dst=1 src0=0 src1=0 src2=0
	v_mul_i32_i24_e32 v165 /*v421*/, v6, v204
	s_set_vgpr_msb 0x41                     ;  msbs: dst=1 src0=1 src1=0 src2=0
	v_mul_i32_i24_e32 v166 /*v422*/, v137 /*v393*/, v205
	s_set_vgpr_msb 64                       ;  msbs: dst=1 src0=0 src1=0 src2=0
	v_mul_i32_i24_e32 v52 /*v308*/, v6, v243
	s_set_vgpr_msb 0x41                     ;  msbs: dst=1 src0=1 src1=0 src2=0
	v_mul_i32_i24_e32 v147 /*v403*/, v137 /*v393*/, v228
	s_set_vgpr_msb 0x55                     ;  msbs: dst=1 src0=1 src1=1 src2=1
	v_add3_u32 v46 /*v302*/, v144 /*v400*/, v46 /*v302*/, v143 /*v399*/
	s_set_vgpr_msb 0x41                     ;  msbs: dst=1 src0=1 src1=0 src2=0
	v_mul_i32_i24_e32 v143 /*v399*/, v72 /*v328*/, v255
	s_set_vgpr_msb 0x55                     ;  msbs: dst=1 src0=1 src1=1 src2=1
	v_mul_i32_i24_e32 v144 /*v400*/, v73 /*v329*/, v0 /*v256*/
	v_add3_u32 v136 /*v392*/, v136 /*v392*/, v165 /*v421*/, v166 /*v422*/
	v_mul_i32_i24_e32 v165 /*v421*/, v72 /*v328*/, v18 /*v274*/
	v_mul_i32_i24_e32 v166 /*v422*/, v73 /*v329*/, v19 /*v275*/
	s_set_vgpr_msb 0                        ;  msbs: dst=0 src0=0 src1=0 src2=0
	v_add3_u32 v204, v171, v197, v48
	s_set_vgpr_msb 0x55                     ;  msbs: dst=1 src0=1 src1=1 src2=1
	v_add3_u32 v143 /*v399*/, v145 /*v401*/, v143 /*v399*/, v144 /*v400*/
	s_set_vgpr_msb 64                       ;  msbs: dst=1 src0=0 src1=0 src2=0
	v_mul_i32_i24_e32 v144 /*v400*/, v6, v193
	s_set_vgpr_msb 0x41                     ;  msbs: dst=1 src0=1 src1=0 src2=0
	v_mul_i32_i24_e32 v145 /*v401*/, v137 /*v393*/, v147
	s_set_vgpr_msb 0x55                     ;  msbs: dst=1 src0=1 src1=1 src2=1
	v_add3_u32 v140 /*v396*/, v140 /*v396*/, v165 /*v421*/, v166 /*v422*/
	s_set_vgpr_msb 64                       ;  msbs: dst=1 src0=0 src1=0 src2=0
	v_mul_i32_i24_e32 v165 /*v421*/, v6, v218
	s_set_vgpr_msb 0x41                     ;  msbs: dst=1 src0=1 src1=0 src2=0
	v_mul_i32_i24_e32 v166 /*v422*/, v137 /*v393*/, v219
	s_set_vgpr_msb 0                        ;  msbs: dst=0 src0=0 src1=0 src2=0
	v_add3_u32 v205, v174, v196, v47
	s_set_vgpr_msb 0x55                     ;  msbs: dst=1 src0=1 src1=1 src2=1
	v_add3_u32 v144 /*v400*/, v146 /*v402*/, v144 /*v400*/, v145 /*v401*/
	s_set_vgpr_msb 0x41                     ;  msbs: dst=1 src0=1 src1=0 src2=0
	v_mul_i32_i24_e32 v145 /*v401*/, v137 /*v393*/, v242
	s_set_vgpr_msb 0x55                     ;  msbs: dst=1 src0=1 src1=1 src2=1
	v_mul_i32_i24_e32 v146 /*v402*/, v73 /*v329*/, v27 /*v283*/
	v_add3_u32 v141 /*v397*/, v141 /*v397*/, v165 /*v421*/, v166 /*v422*/
	v_mul_i32_i24_e32 v165 /*v421*/, v72 /*v328*/, v33 /*v289*/
	v_mul_i32_i24_e32 v166 /*v422*/, v73 /*v329*/, v34 /*v290*/
	v_add3_u32 v52 /*v308*/, v148 /*v404*/, v52 /*v308*/, v145 /*v401*/
	v_mul_i32_i24_e32 v145 /*v401*/, v72 /*v328*/, v26 /*v282*/
	v_mul_i32_i24_e32 v72 /*v328*/, v72 /*v328*/, v59 /*v315*/
	;; [unrolled: 1-line block ×3, first 2 shown]
	s_set_vgpr_msb 0x41                     ;  msbs: dst=1 src0=1 src1=0 src2=0
	v_mul_i32_i24_e32 v148 /*v404*/, v137 /*v393*/, v235
	s_set_vgpr_msb 0x55                     ;  msbs: dst=1 src0=1 src1=1 src2=1
	v_add3_u32 v142 /*v398*/, v142 /*v398*/, v165 /*v421*/, v166 /*v422*/
	v_add3_u32 v145 /*v401*/, v149 /*v405*/, v145 /*v401*/, v146 /*v402*/
	s_set_vgpr_msb 64                       ;  msbs: dst=1 src0=0 src1=0 src2=0
	v_mul_i32_i24_e32 v146 /*v402*/, v6, v227
	s_set_vgpr_msb 0x55                     ;  msbs: dst=1 src0=1 src1=1 src2=1
	v_add3_u32 v72 /*v328*/, v152 /*v408*/, v72 /*v328*/, v73 /*v329*/
	v_mul_i32_i24_e32 v73 /*v329*/, v137 /*v393*/, v60 /*v316*/
	s_set_vgpr_msb 0                        ;  msbs: dst=0 src0=0 src1=0 src2=0
	v_add_nc_u32_e32 v227, v227, v172
	v_lshrrev_b16 v172, 8, v154
	s_set_vgpr_msb 0x55                     ;  msbs: dst=1 src0=1 src1=1 src2=1
	v_add3_u32 v146 /*v402*/, v150 /*v406*/, v146 /*v402*/, v147 /*v403*/
	s_set_vgpr_msb 64                       ;  msbs: dst=1 src0=0 src1=0 src2=0
	v_mul_i32_i24_e32 v147 /*v403*/, v6, v234
	s_set_vgpr_msb 0                        ;  msbs: dst=0 src0=0 src1=0 src2=0
	v_mul_i32_i24_e32 v6, v6, v236
	v_add3_u32 v227, v227, v188, v107
	v_and_b32_e32 v228, 0xffff, v172
	s_set_vgpr_msb 0x55                     ;  msbs: dst=1 src0=1 src1=1 src2=1
	v_add3_u32 v147 /*v403*/, v151 /*v407*/, v147 /*v403*/, v148 /*v404*/
	s_set_vgpr_msb 0x51                     ;  msbs: dst=1 src0=1 src1=0 src2=1
	v_add3_u32 v38 /*v294*/, v38 /*v294*/, v6, v73 /*v329*/
	s_set_vgpr_msb 4                        ;  msbs: dst=0 src0=0 src1=1 src2=0
	v_mul_i32_i24_e32 v6, v12, v84 /*v340*/
	s_set_vgpr_msb 0x44                     ;  msbs: dst=1 src0=0 src1=1 src2=0
	v_mul_i32_i24_e32 v73 /*v329*/, v13, v86 /*v342*/
	s_set_vgpr_msb 0x41                     ;  msbs: dst=1 src0=1 src1=0 src2=0
	v_bfe_u32 v84 /*v340*/, v154 /*v410*/, 24, 2
	s_set_vgpr_msb 0                        ;  msbs: dst=0 src0=0 src1=0 src2=0
	v_lshrrev_b32_e32 v228, 4, v228
	s_set_vgpr_msb 0x51                     ;  msbs: dst=1 src0=1 src1=0 src2=1
	v_add3_u32 v73 /*v329*/, v153 /*v409*/, v6, v73 /*v329*/
	s_set_vgpr_msb 1                        ;  msbs: dst=0 src0=1 src1=0 src2=0
	v_bfe_u32 v6, v154 /*v410*/, 16, 2
	s_set_vgpr_msb 0x41                     ;  msbs: dst=1 src0=1 src1=0 src2=0
	v_mul_i32_i24_e32 v137 /*v393*/, v84 /*v340*/, v138
	s_set_vgpr_msb 0                        ;  msbs: dst=0 src0=0 src1=0 src2=0
	v_mul_lo_u32 v228, 0x1010101, v228
	s_set_vgpr_msb 64                       ;  msbs: dst=1 src0=0 src1=0 src2=0
	v_mul_i32_i24_e32 v86 /*v342*/, v6, v53
	s_set_vgpr_msb 0x55                     ;  msbs: dst=1 src0=1 src1=1 src2=1
	s_delay_alu instid0(VALU_DEP_1) | instskip(SKIP_4) | instid1(VALU_DEP_1)
	v_add3_u32 v66 /*v322*/, v66 /*v322*/, v86 /*v342*/, v137 /*v393*/
	s_set_vgpr_msb 0x44                     ;  msbs: dst=1 src0=0 src1=1 src2=0
	v_mul_i32_i24_e32 v86 /*v342*/, v12, v90 /*v346*/
	v_mul_i32_i24_e32 v90 /*v346*/, v13, v92 /*v348*/
	s_set_vgpr_msb 0x55                     ;  msbs: dst=1 src0=1 src1=1 src2=1
	v_add3_u32 v71 /*v327*/, v71 /*v327*/, v86 /*v342*/, v90 /*v346*/
	v_bfe_u32 v86 /*v342*/, v37 /*v293*/, 16, 2
	v_bfe_u32 v37 /*v293*/, v37 /*v293*/, 24, 2
	s_set_vgpr_msb 0x41                     ;  msbs: dst=1 src0=1 src1=0 src2=0
	s_delay_alu instid0(VALU_DEP_2) | instskip(NEXT) | instid1(VALU_DEP_2)
	v_mul_i32_i24_e32 v90 /*v346*/, v86 /*v342*/, v53
	v_mul_i32_i24_e32 v92 /*v348*/, v37 /*v293*/, v138
	s_set_vgpr_msb 0x55                     ;  msbs: dst=1 src0=1 src1=1 src2=1
	s_delay_alu instid0(VALU_DEP_1) | instskip(SKIP_4) | instid1(VALU_DEP_1)
	v_add3_u32 v74 /*v330*/, v74 /*v330*/, v90 /*v346*/, v92 /*v348*/
	s_set_vgpr_msb 0x44                     ;  msbs: dst=1 src0=0 src1=1 src2=0
	v_mul_i32_i24_e32 v90 /*v346*/, v12, v96 /*v352*/
	v_mul_i32_i24_e32 v92 /*v348*/, v13, v98 /*v354*/
	s_set_vgpr_msb 0x55                     ;  msbs: dst=1 src0=1 src1=1 src2=1
	v_add3_u32 v79 /*v335*/, v79 /*v335*/, v90 /*v346*/, v92 /*v348*/
	v_bfe_u32 v90 /*v346*/, v41 /*v297*/, 16, 2
	v_bfe_u32 v41 /*v297*/, v41 /*v297*/, 24, 2
	s_set_vgpr_msb 0x41                     ;  msbs: dst=1 src0=1 src1=0 src2=0
	s_delay_alu instid0(VALU_DEP_2) | instskip(NEXT) | instid1(VALU_DEP_2)
	v_mul_i32_i24_e32 v92 /*v348*/, v90 /*v346*/, v53
	v_mul_i32_i24_e32 v96 /*v352*/, v41 /*v297*/, v138
	;; [unrolled: 1-line block ×3, first 2 shown]
	s_set_vgpr_msb 0x55                     ;  msbs: dst=1 src0=1 src1=1 src2=1
	s_delay_alu instid0(VALU_DEP_2) | instskip(SKIP_4) | instid1(VALU_DEP_1)
	v_add3_u32 v82 /*v338*/, v82 /*v338*/, v92 /*v348*/, v96 /*v352*/
	s_set_vgpr_msb 0x41                     ;  msbs: dst=1 src0=1 src1=0 src2=0
	v_mul_i32_i24_e32 v92 /*v348*/, v63 /*v319*/, v66
	v_mul_i32_i24_e32 v96 /*v352*/, v64 /*v320*/, v67
	s_set_vgpr_msb 0x55                     ;  msbs: dst=1 src0=1 src1=1 src2=1
	v_add3_u32 v87 /*v343*/, v87 /*v343*/, v92 /*v348*/, v96 /*v352*/
	s_set_vgpr_msb 64                       ;  msbs: dst=1 src0=0 src1=0 src2=0
	v_mul_i32_i24_e32 v92 /*v348*/, v6, v157
	s_set_vgpr_msb 0x41                     ;  msbs: dst=1 src0=1 src1=0 src2=0
	v_mul_i32_i24_e32 v96 /*v352*/, v84 /*v340*/, v158
	s_set_vgpr_msb 0x55                     ;  msbs: dst=1 src0=1 src1=1 src2=1
	s_delay_alu instid0(VALU_DEP_1) | instskip(SKIP_4) | instid1(VALU_DEP_1)
	v_add3_u32 v88 /*v344*/, v88 /*v344*/, v92 /*v348*/, v96 /*v352*/
	s_set_vgpr_msb 0x41                     ;  msbs: dst=1 src0=1 src1=0 src2=0
	v_mul_i32_i24_e32 v92 /*v348*/, v69 /*v325*/, v66
	v_mul_i32_i24_e32 v96 /*v352*/, v70 /*v326*/, v67
	s_set_vgpr_msb 0x55                     ;  msbs: dst=1 src0=1 src1=1 src2=1
	v_add3_u32 v92 /*v348*/, v93 /*v349*/, v92 /*v348*/, v96 /*v352*/
	s_set_vgpr_msb 0x41                     ;  msbs: dst=1 src0=1 src1=0 src2=0
	v_mul_i32_i24_e32 v93 /*v349*/, v86 /*v342*/, v157
	v_mul_i32_i24_e32 v96 /*v352*/, v37 /*v293*/, v158
	s_set_vgpr_msb 0x55                     ;  msbs: dst=1 src0=1 src1=1 src2=1
	s_delay_alu instid0(VALU_DEP_1)
	v_add3_u32 v93 /*v349*/, v94 /*v350*/, v93 /*v349*/, v96 /*v352*/
	s_set_vgpr_msb 0x41                     ;  msbs: dst=1 src0=1 src1=0 src2=0
	v_mul_i32_i24_e32 v94 /*v350*/, v77 /*v333*/, v66
	v_mul_i32_i24_e32 v96 /*v352*/, v78 /*v334*/, v67
	s_set_vgpr_msb 1                        ;  msbs: dst=0 src0=1 src1=0 src2=0
	v_mul_i32_i24_e32 v66, v80 /*v336*/, v66
	s_set_vgpr_msb 0x55                     ;  msbs: dst=1 src0=1 src1=1 src2=1
	s_delay_alu instid0(VALU_DEP_2) | instskip(SKIP_4) | instid1(VALU_DEP_2)
	v_add3_u32 v94 /*v350*/, v99 /*v355*/, v94 /*v350*/, v96 /*v352*/
	s_set_vgpr_msb 0x41                     ;  msbs: dst=1 src0=1 src1=0 src2=0
	v_mul_i32_i24_e32 v96 /*v352*/, v90 /*v346*/, v157
	v_mul_i32_i24_e32 v99 /*v355*/, v64 /*v320*/, v250
	s_set_vgpr_msb 0x55                     ;  msbs: dst=1 src0=1 src1=1 src2=1
	v_add3_u32 v96 /*v352*/, v100 /*v356*/, v96 /*v352*/, v98 /*v354*/
	s_set_vgpr_msb 0x41                     ;  msbs: dst=1 src0=1 src1=0 src2=0
	v_mul_i32_i24_e32 v98 /*v354*/, v63 /*v319*/, v249
	v_mul_i32_i24_e32 v100 /*v356*/, v70 /*v326*/, v250
	s_set_vgpr_msb 0x55                     ;  msbs: dst=1 src0=1 src1=1 src2=1
	s_delay_alu instid0(VALU_DEP_2) | instskip(SKIP_4) | instid1(VALU_DEP_2)
	v_add3_u32 v98 /*v354*/, v101 /*v357*/, v98 /*v354*/, v99 /*v355*/
	s_set_vgpr_msb 0x41                     ;  msbs: dst=1 src0=1 src1=0 src2=0
	v_mul_i32_i24_e32 v99 /*v355*/, v69 /*v325*/, v249
	v_mul_i32_i24_e32 v101 /*v357*/, v78 /*v334*/, v250
	s_set_vgpr_msb 0x55                     ;  msbs: dst=1 src0=1 src1=1 src2=1
	v_add3_u32 v99 /*v355*/, v102 /*v358*/, v99 /*v355*/, v100 /*v356*/
	s_set_vgpr_msb 0x41                     ;  msbs: dst=1 src0=1 src1=0 src2=0
	v_mul_i32_i24_e32 v100 /*v356*/, v77 /*v333*/, v249
	s_set_vgpr_msb 0x45                     ;  msbs: dst=1 src0=1 src1=1 src2=0
	v_mul_i32_i24_e32 v102 /*v358*/, v64 /*v320*/, v2 /*v258*/
	s_set_vgpr_msb 1                        ;  msbs: dst=0 src0=1 src1=0 src2=0
	v_mul_i32_i24_e32 v249, v80 /*v336*/, v249
	s_set_vgpr_msb 0x55                     ;  msbs: dst=1 src0=1 src1=1 src2=1
	v_add3_u32 v100 /*v356*/, v103 /*v359*/, v100 /*v356*/, v101 /*v357*/
	v_mul_i32_i24_e32 v101 /*v357*/, v63 /*v319*/, v1 /*v257*/
	v_mul_i32_i24_e32 v103 /*v359*/, v70 /*v326*/, v2 /*v258*/
	s_delay_alu instid0(VALU_DEP_2) | instskip(SKIP_2) | instid1(VALU_DEP_2)
	v_add3_u32 v101 /*v357*/, v104 /*v360*/, v101 /*v357*/, v102 /*v358*/
	v_mul_i32_i24_e32 v102 /*v358*/, v69 /*v325*/, v1 /*v257*/
	v_mul_i32_i24_e32 v104 /*v360*/, v78 /*v334*/, v2 /*v258*/
	v_add3_u32 v102 /*v358*/, v106 /*v362*/, v102 /*v358*/, v103 /*v359*/
	v_mul_i32_i24_e32 v103 /*v359*/, v77 /*v333*/, v1 /*v257*/
	s_set_vgpr_msb 0x41                     ;  msbs: dst=1 src0=1 src1=0 src2=0
	v_mul_i32_i24_e32 v106 /*v362*/, v84 /*v340*/, v163
	s_set_vgpr_msb 0x55                     ;  msbs: dst=1 src0=1 src1=1 src2=1
	s_delay_alu instid0(VALU_DEP_2) | instskip(SKIP_4) | instid1(VALU_DEP_2)
	v_add3_u32 v103 /*v359*/, v108 /*v364*/, v103 /*v359*/, v104 /*v360*/
	s_set_vgpr_msb 64                       ;  msbs: dst=1 src0=0 src1=0 src2=0
	v_mul_i32_i24_e32 v104 /*v360*/, v6, v164
	s_set_vgpr_msb 0x55                     ;  msbs: dst=1 src0=1 src1=1 src2=1
	v_mul_i32_i24_e32 v108 /*v364*/, v64 /*v320*/, v4 /*v260*/
	v_add3_u32 v104 /*v360*/, v105 /*v361*/, v104 /*v360*/, v106 /*v362*/
	s_set_vgpr_msb 0x41                     ;  msbs: dst=1 src0=1 src1=0 src2=0
	v_mul_i32_i24_e32 v105 /*v361*/, v86 /*v342*/, v164
	v_mul_i32_i24_e32 v106 /*v362*/, v37 /*v293*/, v163
	s_set_vgpr_msb 0x55                     ;  msbs: dst=1 src0=1 src1=1 src2=1
	s_delay_alu instid0(VALU_DEP_1) | instskip(SKIP_4) | instid1(VALU_DEP_1)
	v_add3_u32 v105 /*v361*/, v107 /*v363*/, v105 /*v361*/, v106 /*v362*/
	s_set_vgpr_msb 0x41                     ;  msbs: dst=1 src0=1 src1=0 src2=0
	v_mul_i32_i24_e32 v106 /*v362*/, v90 /*v346*/, v164
	v_mul_i32_i24_e32 v107 /*v363*/, v41 /*v297*/, v163
	s_set_vgpr_msb 0x55                     ;  msbs: dst=1 src0=1 src1=1 src2=1
	v_add3_u32 v106 /*v362*/, v109 /*v365*/, v106 /*v362*/, v107 /*v363*/
	v_mul_i32_i24_e32 v107 /*v363*/, v63 /*v319*/, v3 /*v259*/
	s_set_vgpr_msb 0x41                     ;  msbs: dst=1 src0=1 src1=0 src2=0
	v_mul_i32_i24_e32 v109 /*v365*/, v84 /*v340*/, v192
	s_set_vgpr_msb 0x55                     ;  msbs: dst=1 src0=1 src1=1 src2=1
	s_delay_alu instid0(VALU_DEP_2) | instskip(SKIP_4) | instid1(VALU_DEP_2)
	v_add3_u32 v107 /*v363*/, v110 /*v366*/, v107 /*v363*/, v108 /*v364*/
	s_set_vgpr_msb 64                       ;  msbs: dst=1 src0=0 src1=0 src2=0
	v_mul_i32_i24_e32 v108 /*v364*/, v6, v195
	s_set_vgpr_msb 0x55                     ;  msbs: dst=1 src0=1 src1=1 src2=1
	v_mul_i32_i24_e32 v110 /*v366*/, v70 /*v326*/, v4 /*v260*/
	v_add3_u32 v108 /*v364*/, v111 /*v367*/, v108 /*v364*/, v109 /*v365*/
	v_mul_i32_i24_e32 v109 /*v365*/, v69 /*v325*/, v3 /*v259*/
	s_set_vgpr_msb 0x41                     ;  msbs: dst=1 src0=1 src1=0 src2=0
	v_mul_i32_i24_e32 v111 /*v367*/, v37 /*v293*/, v192
	s_set_vgpr_msb 0x55                     ;  msbs: dst=1 src0=1 src1=1 src2=1
	s_delay_alu instid0(VALU_DEP_2) | instskip(SKIP_4) | instid1(VALU_DEP_2)
	v_add3_u32 v109 /*v365*/, v112 /*v368*/, v109 /*v365*/, v110 /*v366*/
	s_set_vgpr_msb 0x41                     ;  msbs: dst=1 src0=1 src1=0 src2=0
	v_mul_i32_i24_e32 v110 /*v366*/, v86 /*v342*/, v195
	s_set_vgpr_msb 0x55                     ;  msbs: dst=1 src0=1 src1=1 src2=1
	v_mul_i32_i24_e32 v112 /*v368*/, v78 /*v334*/, v4 /*v260*/
	v_add3_u32 v110 /*v366*/, v113 /*v369*/, v110 /*v366*/, v111 /*v367*/
	v_mul_i32_i24_e32 v111 /*v367*/, v77 /*v333*/, v3 /*v259*/
	s_set_vgpr_msb 0x41                     ;  msbs: dst=1 src0=1 src1=0 src2=0
	v_mul_i32_i24_e32 v113 /*v369*/, v41 /*v297*/, v192
	s_set_vgpr_msb 0x55                     ;  msbs: dst=1 src0=1 src1=1 src2=1
	s_delay_alu instid0(VALU_DEP_2) | instskip(SKIP_4) | instid1(VALU_DEP_2)
	v_add3_u32 v111 /*v367*/, v114 /*v370*/, v111 /*v367*/, v112 /*v368*/
	s_set_vgpr_msb 0x41                     ;  msbs: dst=1 src0=1 src1=0 src2=0
	v_mul_i32_i24_e32 v112 /*v368*/, v90 /*v346*/, v195
	v_mul_i32_i24_e32 v114 /*v370*/, v64 /*v320*/, v247
	s_set_vgpr_msb 0x55                     ;  msbs: dst=1 src0=1 src1=1 src2=1
	v_add3_u32 v112 /*v368*/, v115 /*v371*/, v112 /*v368*/, v113 /*v369*/
	s_set_vgpr_msb 0x41                     ;  msbs: dst=1 src0=1 src1=0 src2=0
	v_mul_i32_i24_e32 v113 /*v369*/, v63 /*v319*/, v246
	v_mul_i32_i24_e32 v115 /*v371*/, v70 /*v326*/, v247
	s_set_vgpr_msb 0x55                     ;  msbs: dst=1 src0=1 src1=1 src2=1
	s_delay_alu instid0(VALU_DEP_2) | instskip(SKIP_4) | instid1(VALU_DEP_2)
	v_add3_u32 v113 /*v369*/, v116 /*v372*/, v113 /*v369*/, v114 /*v370*/
	s_set_vgpr_msb 0x41                     ;  msbs: dst=1 src0=1 src1=0 src2=0
	v_mul_i32_i24_e32 v114 /*v370*/, v69 /*v325*/, v246
	v_mul_i32_i24_e32 v116 /*v372*/, v84 /*v340*/, v166
	s_set_vgpr_msb 0x55                     ;  msbs: dst=1 src0=1 src1=1 src2=1
	v_add3_u32 v114 /*v370*/, v117 /*v373*/, v114 /*v370*/, v115 /*v371*/
	s_set_vgpr_msb 64                       ;  msbs: dst=1 src0=0 src1=0 src2=0
	v_mul_i32_i24_e32 v115 /*v371*/, v6, v160
	s_set_vgpr_msb 0x41                     ;  msbs: dst=1 src0=1 src1=0 src2=0
	v_mul_i32_i24_e32 v117 /*v373*/, v37 /*v293*/, v166
	s_set_vgpr_msb 0x55                     ;  msbs: dst=1 src0=1 src1=1 src2=1
	s_delay_alu instid0(VALU_DEP_2) | instskip(SKIP_4) | instid1(VALU_DEP_2)
	v_add3_u32 v115 /*v371*/, v118 /*v374*/, v115 /*v371*/, v116 /*v372*/
	s_set_vgpr_msb 0x41                     ;  msbs: dst=1 src0=1 src1=0 src2=0
	v_mul_i32_i24_e32 v116 /*v372*/, v86 /*v342*/, v160
	v_mul_i32_i24_e32 v118 /*v374*/, v41 /*v297*/, v166
	s_set_vgpr_msb 0x55                     ;  msbs: dst=1 src0=1 src1=1 src2=1
	v_add3_u32 v116 /*v372*/, v119 /*v375*/, v116 /*v372*/, v117 /*v373*/
	s_set_vgpr_msb 0x41                     ;  msbs: dst=1 src0=1 src1=0 src2=0
	v_mul_i32_i24_e32 v117 /*v373*/, v90 /*v346*/, v160
	v_mul_i32_i24_e32 v119 /*v375*/, v37 /*v293*/, v186
	s_set_vgpr_msb 0x55                     ;  msbs: dst=1 src0=1 src1=1 src2=1
	s_delay_alu instid0(VALU_DEP_2) | instskip(SKIP_4) | instid1(VALU_DEP_2)
	v_add3_u32 v117 /*v373*/, v120 /*v376*/, v117 /*v373*/, v118 /*v374*/
	s_set_vgpr_msb 0x41                     ;  msbs: dst=1 src0=1 src1=0 src2=0
	v_mul_i32_i24_e32 v118 /*v374*/, v86 /*v342*/, v168
	v_mul_i32_i24_e32 v120 /*v376*/, v84 /*v340*/, v186
	s_set_vgpr_msb 0x55                     ;  msbs: dst=1 src0=1 src1=1 src2=1
	v_add3_u32 v118 /*v374*/, v121 /*v377*/, v118 /*v374*/, v119 /*v375*/
	s_set_vgpr_msb 64                       ;  msbs: dst=1 src0=0 src1=0 src2=0
	v_mul_i32_i24_e32 v119 /*v375*/, v6, v168
	s_set_vgpr_msb 0x41                     ;  msbs: dst=1 src0=1 src1=0 src2=0
	v_mul_i32_i24_e32 v121 /*v377*/, v78 /*v334*/, v247
	s_set_vgpr_msb 0x55                     ;  msbs: dst=1 src0=1 src1=1 src2=1
	s_delay_alu instid0(VALU_DEP_2)
	v_add3_u32 v119 /*v375*/, v122 /*v378*/, v119 /*v375*/, v120 /*v376*/
	s_set_vgpr_msb 0x41                     ;  msbs: dst=1 src0=1 src1=0 src2=0
	v_mul_i32_i24_e32 v120 /*v376*/, v77 /*v333*/, v246
	v_mul_i32_i24_e32 v122 /*v378*/, v41 /*v297*/, v186
	s_set_vgpr_msb 1                        ;  msbs: dst=0 src0=1 src1=0 src2=0
	v_mul_i32_i24_e32 v246, v80 /*v336*/, v246
	s_set_vgpr_msb 0x55                     ;  msbs: dst=1 src0=1 src1=1 src2=1
	v_add3_u32 v120 /*v376*/, v123 /*v379*/, v120 /*v376*/, v121 /*v377*/
	s_set_vgpr_msb 0x41                     ;  msbs: dst=1 src0=1 src1=0 src2=0
	v_mul_i32_i24_e32 v121 /*v377*/, v90 /*v346*/, v168
	v_mul_i32_i24_e32 v123 /*v379*/, v64 /*v320*/, v245
	s_set_vgpr_msb 0x55                     ;  msbs: dst=1 src0=1 src1=1 src2=1
	v_mul_i32_i24_e32 v64 /*v320*/, v64 /*v320*/, v11 /*v267*/
	s_delay_alu instid0(VALU_DEP_3)
	v_add3_u32 v121 /*v377*/, v124 /*v380*/, v121 /*v377*/, v122 /*v378*/
	s_set_vgpr_msb 0x41                     ;  msbs: dst=1 src0=1 src1=0 src2=0
	v_mul_i32_i24_e32 v122 /*v378*/, v63 /*v319*/, v244
	s_set_vgpr_msb 0x45                     ;  msbs: dst=1 src0=1 src1=1 src2=0
	v_mul_i32_i24_e32 v63 /*v319*/, v63 /*v319*/, v12 /*v268*/
	s_set_vgpr_msb 0x41                     ;  msbs: dst=1 src0=1 src1=0 src2=0
	v_mul_i32_i24_e32 v124 /*v380*/, v84 /*v340*/, v55
	s_set_vgpr_msb 0x55                     ;  msbs: dst=1 src0=1 src1=1 src2=1
	v_add3_u32 v122 /*v378*/, v125 /*v381*/, v122 /*v378*/, v123 /*v379*/
	v_add3_u32 v61 /*v317*/, v61 /*v317*/, v63 /*v319*/, v64 /*v320*/
	v_mul_i32_i24_e32 v63 /*v319*/, v69 /*v325*/, v12 /*v268*/
	v_mul_i32_i24_e32 v64 /*v320*/, v70 /*v326*/, v11 /*v267*/
	s_set_vgpr_msb 64                       ;  msbs: dst=1 src0=0 src1=0 src2=0
	v_mul_i32_i24_e32 v123 /*v379*/, v6, v134
	s_set_vgpr_msb 0                        ;  msbs: dst=0 src0=0 src1=0 src2=0
	v_mul_i32_i24_e32 v6, v6, v240
	s_set_vgpr_msb 0x55                     ;  msbs: dst=1 src0=1 src1=1 src2=1
	v_add3_u32 v62 /*v318*/, v62 /*v318*/, v63 /*v319*/, v64 /*v320*/
	v_mul_i32_i24_e32 v63 /*v319*/, v77 /*v333*/, v12 /*v268*/
	v_mul_i32_i24_e32 v64 /*v320*/, v78 /*v334*/, v11 /*v267*/
	v_add3_u32 v123 /*v379*/, v126 /*v382*/, v123 /*v379*/, v124 /*v380*/
	s_delay_alu instid0(VALU_DEP_2)
	v_add3_u32 v63 /*v319*/, v128 /*v384*/, v63 /*v319*/, v64 /*v320*/
	s_set_vgpr_msb 0x41                     ;  msbs: dst=1 src0=1 src1=0 src2=0
	v_mul_i32_i24_e32 v64 /*v320*/, v69 /*v325*/, v244
	v_mul_i32_i24_e32 v69 /*v325*/, v70 /*v326*/, v245
	;; [unrolled: 1-line block ×3, first 2 shown]
	s_set_vgpr_msb 0x55                     ;  msbs: dst=1 src0=1 src1=1 src2=1
	s_delay_alu instid0(VALU_DEP_2)
	v_add3_u32 v64 /*v320*/, v67 /*v323*/, v64 /*v320*/, v69 /*v325*/
	s_set_vgpr_msb 0x41                     ;  msbs: dst=1 src0=1 src1=0 src2=0
	v_mul_i32_i24_e32 v67 /*v323*/, v86 /*v342*/, v134
	v_mul_i32_i24_e32 v69 /*v325*/, v37 /*v293*/, v55
	;; [unrolled: 1-line block ×3, first 2 shown]
	s_set_vgpr_msb 0x55                     ;  msbs: dst=1 src0=1 src1=1 src2=1
	s_delay_alu instid0(VALU_DEP_2)
	v_add3_u32 v67 /*v323*/, v68 /*v324*/, v67 /*v323*/, v69 /*v325*/
	s_set_vgpr_msb 0x41                     ;  msbs: dst=1 src0=1 src1=0 src2=0
	v_mul_i32_i24_e32 v68 /*v324*/, v77 /*v333*/, v244
	v_mul_i32_i24_e32 v69 /*v325*/, v78 /*v334*/, v245
	s_set_vgpr_msb 1                        ;  msbs: dst=0 src0=1 src1=0 src2=0
	v_mul_i32_i24_e32 v244, v80 /*v336*/, v244
	v_mul_i32_i24_e32 v245, v81 /*v337*/, v245
	s_set_vgpr_msb 0x55                     ;  msbs: dst=1 src0=1 src1=1 src2=1
	v_add3_u32 v68 /*v324*/, v75 /*v331*/, v68 /*v324*/, v69 /*v325*/
	s_set_vgpr_msb 0x41                     ;  msbs: dst=1 src0=1 src1=0 src2=0
	v_mul_i32_i24_e32 v69 /*v325*/, v90 /*v346*/, v134
	s_set_vgpr_msb 1                        ;  msbs: dst=0 src0=1 src1=0 src2=0
	v_add3_u32 v244, v143 /*v399*/, v244, v245
	s_set_vgpr_msb 0x55                     ;  msbs: dst=1 src0=1 src1=1 src2=1
	s_delay_alu instid0(VALU_DEP_2) | instskip(SKIP_2) | instid1(VALU_DEP_1)
	v_add3_u32 v69 /*v325*/, v76 /*v332*/, v69 /*v325*/, v70 /*v326*/
	s_set_vgpr_msb 0x51                     ;  msbs: dst=1 src0=1 src1=0 src2=1
	v_mul_i32_i24_e32 v70 /*v326*/, v84 /*v340*/, v233
	v_add3_u32 v65 /*v321*/, v65 /*v321*/, v6, v70 /*v326*/
	s_set_vgpr_msb 1                        ;  msbs: dst=0 src0=1 src1=0 src2=0
	v_mul_i32_i24_e32 v6, v86 /*v342*/, v240
	s_set_vgpr_msb 0x51                     ;  msbs: dst=1 src0=1 src1=0 src2=1
	s_delay_alu instid0(VALU_DEP_1)
	v_add3_u32 v36 /*v292*/, v36 /*v292*/, v6, v37 /*v293*/
	s_set_vgpr_msb 1                        ;  msbs: dst=0 src0=1 src1=0 src2=0
	v_mul_i32_i24_e32 v6, v90 /*v346*/, v240
	s_set_vgpr_msb 0x41                     ;  msbs: dst=1 src0=1 src1=0 src2=0
	v_mul_i32_i24_e32 v37 /*v293*/, v41 /*v297*/, v233
	s_set_vgpr_msb 0x45                     ;  msbs: dst=1 src0=1 src1=1 src2=0
	v_mul_i32_i24_e32 v41 /*v297*/, v14 /*v270*/, v129 /*v385*/
	s_set_vgpr_msb 0x51                     ;  msbs: dst=1 src0=1 src1=0 src2=1
	s_delay_alu instid0(VALU_DEP_2)
	v_add3_u32 v37 /*v293*/, v40 /*v296*/, v6, v37 /*v293*/
	s_set_vgpr_msb 5                        ;  msbs: dst=0 src0=1 src1=1 src2=0
	v_add_nc_u32_e32 v6, v18 /*v274*/, v15 /*v271*/
	s_set_vgpr_msb 0x45                     ;  msbs: dst=1 src0=1 src1=1 src2=0
	v_add_nc_u32_e32 v15 /*v271*/, v19 /*v275*/, v16 /*v272*/
	s_set_vgpr_msb 0x44                     ;  msbs: dst=1 src0=0 src1=1 src2=0
	v_dual_add_nc_u32 v16 /*v272*/, v67, v17 /*v273*/ :: v_dual_lshrrev_b32 v18 /*v274*/, 24, v159 /*v415*/
	s_set_vgpr_msb 0x45                     ;  msbs: dst=1 src0=1 src1=1 src2=0
	v_mul_i32_i24_e32 v40 /*v296*/, v14 /*v270*/, v160 /*v416*/
	s_set_vgpr_msb 64                       ;  msbs: dst=1 src0=0 src1=0 src2=0
	v_add3_u32 v17 /*v273*/, v6, v198, v50
	s_set_vgpr_msb 0x41                     ;  msbs: dst=1 src0=1 src1=0 src2=0
	v_add3_u32 v15 /*v271*/, v15 /*v271*/, v199, v49
	v_add3_u32 v16 /*v272*/, v16 /*v272*/, v126, v27
	s_set_vgpr_msb 1                        ;  msbs: dst=0 src0=1 src1=0 src2=0
	v_mul_i32_i24_e32 v67, v81 /*v337*/, v67
	s_set_vgpr_msb 5                        ;  msbs: dst=0 src0=1 src1=1 src2=0
	v_mul_i32_i24_e32 v6, v17 /*v273*/, v162 /*v418*/
	s_set_vgpr_msb 0x45                     ;  msbs: dst=1 src0=1 src1=1 src2=0
	v_mul_i32_i24_e32 v19 /*v275*/, v16 /*v272*/, v18 /*v274*/
	s_set_vgpr_msb 1                        ;  msbs: dst=0 src0=1 src1=0 src2=0
	v_add3_u32 v66, v140 /*v396*/, v66, v67
	s_set_vgpr_msb 5                        ;  msbs: dst=0 src0=1 src1=1 src2=0
	v_mad_i32_i24 v6, v15 /*v271*/, v161 /*v417*/, v6
	s_set_vgpr_msb 0x54                     ;  msbs: dst=1 src0=0 src1=1 src2=1
	s_delay_alu instid0(VALU_DEP_1) | instskip(SKIP_3) | instid1(VALU_DEP_1)
	v_add3_u32 v19 /*v275*/, v6, v40 /*v296*/, v19 /*v275*/
	s_set_vgpr_msb 5                        ;  msbs: dst=0 src0=1 src1=1 src2=0
	v_add_nc_u32_e32 v6, v9 /*v265*/, v5 /*v261*/
	s_set_vgpr_msb 0x44                     ;  msbs: dst=1 src0=0 src1=1 src2=0
	v_add3_u32 v5 /*v261*/, v6, v10 /*v266*/, v45
	s_set_vgpr_msb 1                        ;  msbs: dst=0 src0=1 src1=0 src2=0
	v_add_nc_u32_e32 v6, v6 /*v262*/, v12
	s_set_vgpr_msb 0x41                     ;  msbs: dst=1 src0=1 src1=0 src2=0
	v_dual_add_nc_u32 v6 /*v262*/, v7 /*v263*/, v13 :: v_dual_add_nc_u32 v7 /*v263*/, v8 /*v264*/, v14
	s_set_vgpr_msb 4                        ;  msbs: dst=0 src0=0 src1=1 src2=0
	v_mul_i32_i24_e32 v12, v12, v138 /*v394*/
	v_mul_i32_i24_e32 v13, v13, v139 /*v395*/
	s_set_vgpr_msb 64                       ;  msbs: dst=1 src0=0 src1=0 src2=0
	v_add3_u32 v8 /*v264*/, v6, v15, v46
	s_set_vgpr_msb 0x41                     ;  msbs: dst=1 src0=1 src1=0 src2=0
	v_add3_u32 v6 /*v262*/, v6 /*v262*/, v117, v28
	v_add3_u32 v7 /*v263*/, v7 /*v263*/, v119, v29
	s_set_vgpr_msb 5                        ;  msbs: dst=0 src0=1 src1=1 src2=0
	v_mul_i32_i24_e32 v6, v5 /*v261*/, v162 /*v418*/
	s_set_vgpr_msb 0x45                     ;  msbs: dst=1 src0=1 src1=1 src2=0
	v_mul_i32_i24_e32 v9 /*v265*/, v6 /*v262*/, v160 /*v416*/
	v_mul_i32_i24_e32 v10 /*v266*/, v7 /*v263*/, v18 /*v274*/
	s_set_vgpr_msb 5                        ;  msbs: dst=0 src0=1 src1=1 src2=0
	v_mad_i32_i24 v6, v8 /*v264*/, v161 /*v417*/, v6
	s_set_vgpr_msb 0x54                     ;  msbs: dst=1 src0=0 src1=1 src2=1
	s_delay_alu instid0(VALU_DEP_1) | instskip(SKIP_4) | instid1(VALU_DEP_2)
	v_add3_u32 v9 /*v265*/, v6, v9 /*v265*/, v10 /*v266*/
	v_lshrrev_b32_e32 v10 /*v266*/, 24, v95 /*v351*/
	s_set_vgpr_msb 5                        ;  msbs: dst=0 src0=1 src1=1 src2=0
	v_mul_i32_i24_e32 v6, v17 /*v273*/, v131 /*v387*/
	s_set_vgpr_msb 0x45                     ;  msbs: dst=1 src0=1 src1=1 src2=0
	v_mul_i32_i24_e32 v40 /*v296*/, v16 /*v272*/, v10 /*v266*/
	s_set_vgpr_msb 5                        ;  msbs: dst=0 src0=1 src1=1 src2=0
	s_delay_alu instid0(VALU_DEP_2) | instskip(SKIP_3) | instid1(VALU_DEP_2)
	v_mad_i32_i24 v6, v15 /*v271*/, v130 /*v386*/, v6
	s_set_vgpr_msb 0x45                     ;  msbs: dst=1 src0=1 src1=1 src2=0
	v_mul_i32_i24_e32 v70 /*v326*/, v7 /*v263*/, v10 /*v266*/
	s_set_vgpr_msb 0x54                     ;  msbs: dst=1 src0=0 src1=1 src2=1
	v_add3_u32 v40 /*v296*/, v6, v41 /*v297*/, v40 /*v296*/
	s_set_vgpr_msb 5                        ;  msbs: dst=0 src0=1 src1=1 src2=0
	v_mul_i32_i24_e32 v6, v5 /*v261*/, v131 /*v387*/
	s_set_vgpr_msb 0x45                     ;  msbs: dst=1 src0=1 src1=1 src2=0
	v_mul_i32_i24_e32 v41 /*v297*/, v6 /*v262*/, v129 /*v385*/
	s_set_vgpr_msb 5                        ;  msbs: dst=0 src0=1 src1=1 src2=0
	s_delay_alu instid0(VALU_DEP_2) | instskip(SKIP_1) | instid1(VALU_DEP_1)
	v_mad_i32_i24 v6, v8 /*v264*/, v130 /*v386*/, v6
	s_set_vgpr_msb 0x54                     ;  msbs: dst=1 src0=0 src1=1 src2=1
	v_add3_u32 v41 /*v297*/, v6, v41 /*v297*/, v70 /*v326*/
	s_set_vgpr_msb 5                        ;  msbs: dst=0 src0=1 src1=1 src2=0
	v_add_nc_u32_e32 v6, v26 /*v282*/, v22 /*v278*/
	s_set_vgpr_msb 0x45                     ;  msbs: dst=1 src0=1 src1=1 src2=0
	v_add_nc_u32_e32 v22 /*v278*/, v27 /*v283*/, v23 /*v279*/
	s_set_vgpr_msb 0x44                     ;  msbs: dst=1 src0=0 src1=1 src2=0
	v_add_nc_u32_e32 v23 /*v279*/, v247, v25 /*v281*/
	s_set_vgpr_msb 0x45                     ;  msbs: dst=1 src0=1 src1=1 src2=0
	v_mul_i32_i24_e32 v27 /*v283*/, v21 /*v277*/, v160 /*v416*/
	s_set_vgpr_msb 1                        ;  msbs: dst=0 src0=1 src1=0 src2=0
	v_mul_i32_i24_e32 v247, v81 /*v337*/, v247
	s_set_vgpr_msb 64                       ;  msbs: dst=1 src0=0 src1=0 src2=0
	v_add3_u32 v25 /*v281*/, v6, v137, v82
	s_set_vgpr_msb 0x41                     ;  msbs: dst=1 src0=1 src1=0 src2=0
	v_add3_u32 v22 /*v278*/, v22 /*v278*/, v139, v90
	v_add3_u32 v23 /*v279*/, v23 /*v279*/, v130, v34
	s_set_vgpr_msb 1                        ;  msbs: dst=0 src0=1 src1=0 src2=0
	v_add3_u32 v246, v145 /*v401*/, v246, v247
	s_set_vgpr_msb 5                        ;  msbs: dst=0 src0=1 src1=1 src2=0
	v_mul_i32_i24_e32 v6, v25 /*v281*/, v162 /*v418*/
	s_set_vgpr_msb 0x45                     ;  msbs: dst=1 src0=1 src1=1 src2=0
	v_mul_i32_i24_e32 v26 /*v282*/, v23 /*v279*/, v18 /*v274*/
	v_mul_i32_i24_e32 v78 /*v334*/, v23 /*v279*/, v10 /*v266*/
	s_set_vgpr_msb 5                        ;  msbs: dst=0 src0=1 src1=1 src2=0
	v_mad_i32_i24 v6, v22 /*v278*/, v161 /*v417*/, v6
	s_set_vgpr_msb 0x54                     ;  msbs: dst=1 src0=0 src1=1 src2=1
	s_delay_alu instid0(VALU_DEP_1)
	v_add3_u32 v26 /*v282*/, v6, v27 /*v283*/, v26 /*v282*/
	s_set_vgpr_msb 5                        ;  msbs: dst=0 src0=1 src1=1 src2=0
	v_add_nc_u32_e32 v6, v33 /*v289*/, v30 /*v286*/
	s_set_vgpr_msb 0x45                     ;  msbs: dst=1 src0=1 src1=1 src2=0
	v_add_nc_u32_e32 v27 /*v283*/, v34 /*v290*/, v31 /*v287*/
	s_set_vgpr_msb 0x44                     ;  msbs: dst=1 src0=0 src1=1 src2=0
	v_add_nc_u32_e32 v30 /*v286*/, v250, v32 /*v288*/
	s_set_vgpr_msb 0x45                     ;  msbs: dst=1 src0=1 src1=1 src2=0
	v_mul_i32_i24_e32 v32 /*v288*/, v28 /*v284*/, v129 /*v385*/
	v_mul_i32_i24_e32 v34 /*v290*/, v14 /*v270*/, v134 /*v390*/
	s_set_vgpr_msb 64                       ;  msbs: dst=1 src0=0 src1=0 src2=0
	v_add3_u32 v31 /*v287*/, v6, v65, v105
	s_set_vgpr_msb 0x41                     ;  msbs: dst=1 src0=1 src1=0 src2=0
	v_add3_u32 v27 /*v283*/, v27 /*v283*/, v191, v106
	v_add3_u32 v30 /*v286*/, v30 /*v286*/, v142, v38
	s_set_vgpr_msb 1                        ;  msbs: dst=0 src0=1 src1=0 src2=0
	v_mul_i32_i24_e32 v250, v81 /*v337*/, v250
	s_set_vgpr_msb 5                        ;  msbs: dst=0 src0=1 src1=1 src2=0
	v_mul_i32_i24_e32 v6, v31 /*v287*/, v131 /*v387*/
	s_set_vgpr_msb 0x45                     ;  msbs: dst=1 src0=1 src1=1 src2=0
	v_mul_i32_i24_e32 v33 /*v289*/, v30 /*v286*/, v10 /*v266*/
	v_mul_i32_i24_e32 v77 /*v333*/, v30 /*v286*/, v18 /*v274*/
	s_set_vgpr_msb 1                        ;  msbs: dst=0 src0=1 src1=0 src2=0
	v_add3_u32 v249, v142 /*v398*/, v249, v250
	s_set_vgpr_msb 5                        ;  msbs: dst=0 src0=1 src1=1 src2=0
	v_mad_i32_i24 v6, v27 /*v283*/, v130 /*v386*/, v6
	v_mul_i32_i24_e32 v250, v80 /*v336*/, v1 /*v257*/
	s_set_vgpr_msb 0x45                     ;  msbs: dst=1 src0=1 src1=1 src2=0
	v_mul_i32_i24_e32 v1 /*v257*/, v81 /*v337*/, v2 /*v258*/
	s_set_vgpr_msb 0x54                     ;  msbs: dst=1 src0=0 src1=1 src2=1
	v_add3_u32 v32 /*v288*/, v6, v32 /*v288*/, v33 /*v289*/
	v_lshrrev_b32_e32 v33 /*v289*/, 24, v133 /*v389*/
	s_set_vgpr_msb 5                        ;  msbs: dst=0 src0=1 src1=1 src2=0
	v_mul_i32_i24_e32 v6, v17 /*v273*/, v156 /*v412*/
	s_set_vgpr_msb 17                       ;  msbs: dst=0 src0=1 src1=0 src2=1
	v_add3_u32 v250, v45 /*v301*/, v250, v1 /*v257*/
	s_set_vgpr_msb 0x45                     ;  msbs: dst=1 src0=1 src1=1 src2=0
	v_mul_i32_i24_e32 v70 /*v326*/, v16 /*v272*/, v33 /*v289*/
	s_set_vgpr_msb 5                        ;  msbs: dst=0 src0=1 src1=1 src2=0
	v_mad_i32_i24 v6, v15 /*v271*/, v155 /*v411*/, v6
	s_set_vgpr_msb 0x45                     ;  msbs: dst=1 src0=1 src1=1 src2=0
	v_mul_i32_i24_e32 v75 /*v331*/, v30 /*v286*/, v33 /*v289*/
	v_mul_i32_i24_e32 v90 /*v346*/, v23 /*v279*/, v33 /*v289*/
	s_set_vgpr_msb 0x54                     ;  msbs: dst=1 src0=0 src1=1 src2=1
	v_add3_u32 v34 /*v290*/, v6, v34 /*v290*/, v70 /*v326*/
	s_set_vgpr_msb 5                        ;  msbs: dst=0 src0=1 src1=1 src2=0
	v_mul_i32_i24_e32 v6, v31 /*v287*/, v156 /*v412*/
	s_set_vgpr_msb 0x45                     ;  msbs: dst=1 src0=1 src1=1 src2=0
	v_mul_i32_i24_e32 v70 /*v326*/, v28 /*v284*/, v134 /*v390*/
	s_set_vgpr_msb 5                        ;  msbs: dst=0 src0=1 src1=1 src2=0
	s_delay_alu instid0(VALU_DEP_2) | instskip(SKIP_1) | instid1(VALU_DEP_1)
	v_mad_i32_i24 v6, v27 /*v283*/, v155 /*v411*/, v6
	s_set_vgpr_msb 0x54                     ;  msbs: dst=1 src0=0 src1=1 src2=1
	v_add3_u32 v70 /*v326*/, v6, v70 /*v326*/, v75 /*v331*/
	s_set_vgpr_msb 5                        ;  msbs: dst=0 src0=1 src1=1 src2=0
	v_add_nc_u32_e32 v6, v2 /*v258*/, v44 /*v300*/
	s_set_vgpr_msb 0x45                     ;  msbs: dst=1 src0=1 src1=1 src2=0
	v_mul_i32_i24_e32 v75 /*v331*/, v42 /*v298*/, v160 /*v416*/
	s_set_vgpr_msb 64                       ;  msbs: dst=1 src0=0 src1=0 src2=0
	s_delay_alu instid0(VALU_DEP_2) | instskip(SKIP_3) | instid1(VALU_DEP_2)
	v_add3_u32 v44 /*v300*/, v6, v176, v60
	s_set_vgpr_msb 5                        ;  msbs: dst=0 src0=1 src1=1 src2=0
	v_mul_i32_i24_e32 v6, v35 /*v291*/, v162 /*v418*/
	s_set_vgpr_msb 0x45                     ;  msbs: dst=1 src0=1 src1=1 src2=0
	v_mul_i32_i24_e32 v76 /*v332*/, v44 /*v300*/, v18 /*v274*/
	s_set_vgpr_msb 5                        ;  msbs: dst=0 src0=1 src1=1 src2=0
	s_delay_alu instid0(VALU_DEP_2) | instskip(SKIP_1) | instid1(VALU_DEP_1)
	v_mad_i32_i24 v6, v43 /*v299*/, v161 /*v417*/, v6
	s_set_vgpr_msb 0x54                     ;  msbs: dst=1 src0=0 src1=1 src2=1
	v_add3_u32 v75 /*v331*/, v6, v75 /*v331*/, v76 /*v332*/
	s_set_vgpr_msb 5                        ;  msbs: dst=0 src0=1 src1=1 src2=0
	v_mul_i32_i24_e32 v6, v31 /*v287*/, v162 /*v418*/
	s_set_vgpr_msb 0x45                     ;  msbs: dst=1 src0=1 src1=1 src2=0
	v_mul_i32_i24_e32 v76 /*v332*/, v28 /*v284*/, v160 /*v416*/
	s_set_vgpr_msb 5                        ;  msbs: dst=0 src0=1 src1=1 src2=0
	s_delay_alu instid0(VALU_DEP_2) | instskip(SKIP_1) | instid1(VALU_DEP_1)
	v_mad_i32_i24 v6, v27 /*v283*/, v161 /*v417*/, v6
	s_set_vgpr_msb 0x54                     ;  msbs: dst=1 src0=0 src1=1 src2=1
	v_add3_u32 v76 /*v332*/, v6, v76 /*v332*/, v77 /*v333*/
	;; [unrolled: 9-line block ×3, first 2 shown]
	s_set_vgpr_msb 5                        ;  msbs: dst=0 src0=1 src1=1 src2=0
	v_add_nc_u32_e32 v6, v4 /*v260*/, v50 /*v306*/
	s_set_vgpr_msb 0x45                     ;  msbs: dst=1 src0=1 src1=1 src2=0
	v_mul_i32_i24_e32 v78 /*v334*/, v49 /*v305*/, v129 /*v385*/
	s_set_vgpr_msb 64                       ;  msbs: dst=1 src0=0 src1=0 src2=0
	s_delay_alu instid0(VALU_DEP_2) | instskip(SKIP_3) | instid1(VALU_DEP_2)
	v_add3_u32 v50 /*v306*/, v6, v178, v62
	s_set_vgpr_msb 5                        ;  msbs: dst=0 src0=1 src1=1 src2=0
	v_mul_i32_i24_e32 v6, v47 /*v303*/, v131 /*v387*/
	s_set_vgpr_msb 0x45                     ;  msbs: dst=1 src0=1 src1=1 src2=0
	v_mul_i32_i24_e32 v84 /*v340*/, v50 /*v306*/, v10 /*v266*/
	s_set_vgpr_msb 5                        ;  msbs: dst=0 src0=1 src1=1 src2=0
	s_delay_alu instid0(VALU_DEP_2) | instskip(SKIP_3) | instid1(VALU_DEP_2)
	v_mad_i32_i24 v6, v48 /*v304*/, v130 /*v386*/, v6
	s_set_vgpr_msb 0x45                     ;  msbs: dst=1 src0=1 src1=1 src2=0
	v_mul_i32_i24_e32 v86 /*v342*/, v50 /*v306*/, v33 /*v289*/
	s_set_vgpr_msb 0x54                     ;  msbs: dst=1 src0=0 src1=1 src2=1
	v_add3_u32 v78 /*v334*/, v6, v78 /*v334*/, v84 /*v340*/
	s_set_vgpr_msb 5                        ;  msbs: dst=0 src0=1 src1=1 src2=0
	v_mul_i32_i24_e32 v6, v47 /*v303*/, v156 /*v412*/
	s_set_vgpr_msb 0x45                     ;  msbs: dst=1 src0=1 src1=1 src2=0
	v_mul_i32_i24_e32 v84 /*v340*/, v49 /*v305*/, v134 /*v390*/
	s_set_vgpr_msb 5                        ;  msbs: dst=0 src0=1 src1=1 src2=0
	s_delay_alu instid0(VALU_DEP_2) | instskip(SKIP_1) | instid1(VALU_DEP_1)
	v_mad_i32_i24 v6, v48 /*v304*/, v155 /*v411*/, v6
	s_set_vgpr_msb 0x54                     ;  msbs: dst=1 src0=0 src1=1 src2=1
	v_add3_u32 v84 /*v340*/, v6, v84 /*v340*/, v86 /*v342*/
	s_set_vgpr_msb 5                        ;  msbs: dst=0 src0=1 src1=1 src2=0
	v_mul_i32_i24_e32 v6, v25 /*v281*/, v156 /*v412*/
	s_set_vgpr_msb 0x45                     ;  msbs: dst=1 src0=1 src1=1 src2=0
	v_mul_i32_i24_e32 v86 /*v342*/, v21 /*v277*/, v134 /*v390*/
	s_set_vgpr_msb 5                        ;  msbs: dst=0 src0=1 src1=1 src2=0
	s_delay_alu instid0(VALU_DEP_2) | instskip(SKIP_1) | instid1(VALU_DEP_1)
	v_mad_i32_i24 v6, v22 /*v278*/, v155 /*v411*/, v6
	s_set_vgpr_msb 0x54                     ;  msbs: dst=1 src0=0 src1=1 src2=1
	v_add3_u32 v86 /*v342*/, v6, v86 /*v342*/, v90 /*v346*/
	s_set_vgpr_msb 20                       ;  msbs: dst=0 src0=0 src1=1 src2=1
	v_add3_u32 v6, s19, v204 /*v460*/, v213 /*v469*/
	ds_load_u16 v6, v6
	s_wait_dscnt 0x0
	s_set_vgpr_msb 0x44                     ;  msbs: dst=1 src0=0 src1=1 src2=0
	v_bfe_u32 v90 /*v346*/, v6, 4, 4
	s_delay_alu instid0(VALU_DEP_1) | instskip(NEXT) | instid1(VALU_DEP_1)
	v_mul_lo_u32 v90 /*v346*/, 0x1010101, v90 /*v346*/
	v_lshrrev_b16 v95 /*v351*/, 8, v90 /*v346*/
	s_set_vgpr_msb 0x41                     ;  msbs: dst=1 src0=1 src1=0 src2=0
	v_bfe_i32 v124 /*v380*/, v90 /*v346*/, 0, 8
	s_set_vgpr_msb 0x44                     ;  msbs: dst=1 src0=0 src1=1 src2=0
	v_lshrrev_b32_e32 v125 /*v381*/, 24, v90 /*v346*/
	s_set_vgpr_msb 0x55                     ;  msbs: dst=1 src0=1 src1=1 src2=1
	v_bfe_i32 v90 /*v346*/, v90 /*v346*/, 16, 8
	v_bfe_i32 v95 /*v351*/, v95 /*v351*/, 0, 8
	v_mul_i32_i24_e32 v17 /*v273*/, v17 /*v273*/, v124 /*v380*/
	v_mul_i32_i24_e32 v25 /*v281*/, v25 /*v281*/, v124 /*v380*/
	;; [unrolled: 1-line block ×5, first 2 shown]
	v_mad_i32_i24 v15 /*v271*/, v15 /*v271*/, v95 /*v351*/, v17 /*v273*/
	v_mad_i32_i24 v22 /*v278*/, v22 /*v278*/, v95 /*v351*/, v25 /*v281*/
	v_mul_i32_i24_e32 v23 /*v279*/, v23 /*v279*/, v125 /*v381*/
	s_set_vgpr_msb 4                        ;  msbs: dst=0 src0=0 src1=1 src2=0
	v_mul_i32_i24_e32 v255, v251, v124 /*v380*/
	s_set_vgpr_msb 0x44                     ;  msbs: dst=1 src0=0 src1=1 src2=0
	v_mul_i32_i24_e32 v0 /*v256*/, v253, v90 /*v346*/
	s_set_vgpr_msb 0x55                     ;  msbs: dst=1 src0=1 src1=1 src2=1
	v_add3_u32 v14 /*v270*/, v15 /*v271*/, v14 /*v270*/, v16 /*v272*/
	v_mul_i32_i24_e32 v15 /*v271*/, v31 /*v287*/, v124 /*v380*/
	v_add3_u32 v21 /*v277*/, v22 /*v278*/, v21 /*v277*/, v23 /*v279*/
	s_set_vgpr_msb 4                        ;  msbs: dst=0 src0=0 src1=1 src2=0
	v_mad_i32_i24 v255, v252, v95 /*v351*/, v255
	s_set_vgpr_msb 0x44                     ;  msbs: dst=1 src0=0 src1=1 src2=0
	v_mul_i32_i24_e32 v22 /*v278*/, v254, v125 /*v381*/
	s_set_vgpr_msb 0x55                     ;  msbs: dst=1 src0=1 src1=1 src2=1
	v_mul_i32_i24_e32 v16 /*v272*/, v28 /*v284*/, v90 /*v346*/
	v_mad_i32_i24 v15 /*v271*/, v27 /*v283*/, v95 /*v351*/, v15 /*v271*/
	v_mul_i32_i24_e32 v17 /*v273*/, v30 /*v286*/, v125 /*v381*/
	v_mul_i32_i24_e32 v126 /*v382*/, v5 /*v261*/, v124 /*v380*/
	s_set_vgpr_msb 20                       ;  msbs: dst=0 src0=0 src1=1 src2=1
	v_add3_u32 v255, v255, v0 /*v256*/, v22 /*v278*/
	s_set_vgpr_msb 0x55                     ;  msbs: dst=1 src0=1 src1=1 src2=1
	v_mul_i32_i24_e32 v0 /*v256*/, v5 /*v261*/, v156 /*v412*/
	v_mul_i32_i24_e32 v128 /*v384*/, v6 /*v262*/, v90 /*v346*/
	v_add3_u32 v15 /*v271*/, v15 /*v271*/, v16 /*v272*/, v17 /*v273*/
	v_mul_i32_i24_e32 v16 /*v272*/, v35 /*v291*/, v124 /*v380*/
	v_mul_i32_i24_e32 v5 /*v261*/, v6 /*v262*/, v134 /*v390*/
	v_mad_i32_i24 v0 /*v256*/, v8 /*v264*/, v155 /*v411*/, v0 /*v256*/
	v_mul_i32_i24_e32 v6 /*v262*/, v7 /*v263*/, v33 /*v289*/
	v_mul_i32_i24_e32 v17 /*v273*/, v42 /*v298*/, v90 /*v346*/
	v_mad_i32_i24 v16 /*v272*/, v43 /*v299*/, v95 /*v351*/, v16 /*v272*/
	v_mul_i32_i24_e32 v27 /*v283*/, v44 /*v300*/, v125 /*v381*/
	v_mad_i32_i24 v126 /*v382*/, v8 /*v264*/, v95 /*v351*/, v126 /*v382*/
	v_add3_u32 v0 /*v256*/, v0 /*v256*/, v5 /*v261*/, v6 /*v262*/
	v_dual_add_nc_u32 v5 /*v261*/, v59 /*v315*/, v57 /*v313*/ :: v_dual_add_nc_u32 v6 /*v262*/, v53 /*v309*/, v127 /*v383*/
	v_mul_i32_i24_e32 v133 /*v389*/, v7 /*v263*/, v125 /*v381*/
	v_add3_u32 v16 /*v272*/, v16 /*v272*/, v17 /*v273*/, v27 /*v283*/
	v_mul_i32_i24_e32 v17 /*v273*/, v47 /*v303*/, v124 /*v380*/
	v_bfe_i32 v7 /*v263*/, v54 /*v310*/, 0, 8
	v_dual_add_nc_u32 v8 /*v264*/, v11 /*v267*/, v56 /*v312*/ :: v_dual_add_nc_u32 v22 /*v278*/, v12 /*v268*/, v58 /*v314*/
	v_bfe_i32 v23 /*v279*/, v55 /*v311*/, 0, 8
	s_set_vgpr_msb 0x41                     ;  msbs: dst=1 src0=1 src1=0 src2=0
	v_add3_u32 v5 /*v261*/, v5 /*v261*/, v217, v83
	s_set_vgpr_msb 0x55                     ;  msbs: dst=1 src0=1 src1=1 src2=1
	v_mad_i32_i24 v17 /*v273*/, v48 /*v304*/, v95 /*v351*/, v17 /*v273*/
	v_mul_i32_i24_e32 v27 /*v283*/, v49 /*v305*/, v90 /*v346*/
	v_mul_i32_i24_e32 v28 /*v284*/, v50 /*v306*/, v125 /*v381*/
	s_set_vgpr_msb 0x41                     ;  msbs: dst=1 src0=1 src1=0 src2=0
	v_add3_u32 v8 /*v264*/, v8 /*v264*/, v181, v78
	v_add3_u32 v22 /*v278*/, v22 /*v278*/, v182, v150
	s_set_vgpr_msb 0x55                     ;  msbs: dst=1 src0=1 src1=1 src2=1
	v_add3_u32 v6 /*v262*/, v6 /*v262*/, v7 /*v263*/, v23 /*v279*/
	v_mul_i32_i24_e32 v25 /*v281*/, v5 /*v261*/, v156 /*v412*/
	v_add3_u32 v17 /*v273*/, v17 /*v273*/, v27 /*v283*/, v28 /*v284*/
	v_mul_i32_i24_e32 v28 /*v284*/, v8 /*v264*/, v33 /*v289*/
	v_mul_i32_i24_e32 v27 /*v283*/, v22 /*v278*/, v134 /*v390*/
	s_set_vgpr_msb 0x44                     ;  msbs: dst=1 src0=0 src1=1 src2=0
	v_mul_i32_i24_e32 v30 /*v286*/, v254, v33 /*v289*/
	s_set_vgpr_msb 0x55                     ;  msbs: dst=1 src0=1 src1=1 src2=1
	v_mad_i32_i24 v25 /*v281*/, v6 /*v262*/, v155 /*v411*/, v25 /*v281*/
	v_mul_i32_i24_e32 v31 /*v287*/, v8 /*v264*/, v18 /*v274*/
	s_set_vgpr_msb 0x44                     ;  msbs: dst=1 src0=0 src1=1 src2=0
	v_mul_i32_i24_e32 v35 /*v291*/, v254, v18 /*v274*/
	s_set_vgpr_msb 4                        ;  msbs: dst=0 src0=0 src1=1 src2=0
	v_mul_i32_i24_e32 v254, v254, v10 /*v266*/
	s_set_vgpr_msb 0x55                     ;  msbs: dst=1 src0=1 src1=1 src2=1
	v_mul_i32_i24_e32 v12 /*v268*/, v80 /*v336*/, v12 /*v268*/
	v_add3_u32 v25 /*v281*/, v25 /*v281*/, v27 /*v283*/, v28 /*v284*/
	s_set_vgpr_msb 0x44                     ;  msbs: dst=1 src0=0 src1=1 src2=0
	v_mul_i32_i24_e32 v27 /*v283*/, v251, v156 /*v412*/
	v_mul_i32_i24_e32 v28 /*v284*/, v253, v134 /*v390*/
	s_set_vgpr_msb 0x45                     ;  msbs: dst=1 src0=1 src1=1 src2=0
	v_mul_i32_i24_e32 v11 /*v267*/, v81 /*v337*/, v11 /*v267*/
	v_bfe_u32 v43 /*v299*/, v29 /*v285*/, 8, 2
	s_set_vgpr_msb 0x54                     ;  msbs: dst=1 src0=0 src1=1 src2=1
	v_bfe_u32 v53 /*v309*/, v4, 8, 2
	v_mad_i32_i24 v27 /*v283*/, v252, v155 /*v411*/, v27 /*v283*/
	s_set_vgpr_msb 0x55                     ;  msbs: dst=1 src0=1 src1=1 src2=1
	v_add3_u32 v126 /*v382*/, v126 /*v382*/, v128 /*v384*/, v133 /*v389*/
	v_add3_u32 v11 /*v267*/, v72 /*v328*/, v12 /*v268*/, v11 /*v267*/
	s_set_vgpr_msb 0x41                     ;  msbs: dst=1 src0=1 src1=0 src2=0
	v_mul_i32_i24_e32 v58 /*v314*/, v43 /*v299*/, v199
	v_mul_i32_i24_e32 v55 /*v311*/, v53 /*v309*/, v196
	s_set_vgpr_msb 0x55                     ;  msbs: dst=1 src0=1 src1=1 src2=1
	v_add3_u32 v27 /*v283*/, v27 /*v283*/, v28 /*v284*/, v30 /*v286*/
	v_mul_i32_i24_e32 v28 /*v284*/, v5 /*v261*/, v162 /*v418*/
	v_mul_i32_i24_e32 v30 /*v286*/, v22 /*v278*/, v160 /*v416*/
	s_delay_alu instid0(VALU_DEP_2) | instskip(NEXT) | instid1(VALU_DEP_1)
	v_mad_i32_i24 v28 /*v284*/, v6 /*v262*/, v161 /*v417*/, v28 /*v284*/
	v_add3_u32 v28 /*v284*/, v28 /*v284*/, v30 /*v286*/, v31 /*v287*/
	s_set_vgpr_msb 0x44                     ;  msbs: dst=1 src0=0 src1=1 src2=0
	v_mul_i32_i24_e32 v30 /*v286*/, v251, v162 /*v418*/
	s_set_vgpr_msb 4                        ;  msbs: dst=0 src0=0 src1=1 src2=0
	v_mul_i32_i24_e32 v251, v251, v131 /*v387*/
	s_set_vgpr_msb 0x44                     ;  msbs: dst=1 src0=0 src1=1 src2=0
	v_mul_i32_i24_e32 v31 /*v287*/, v253, v160 /*v416*/
	s_set_vgpr_msb 4                        ;  msbs: dst=0 src0=0 src1=1 src2=0
	v_mul_i32_i24_e32 v253, v253, v129 /*v385*/
	s_set_vgpr_msb 0x54                     ;  msbs: dst=1 src0=0 src1=1 src2=1
	v_mad_i32_i24 v30 /*v286*/, v252, v161 /*v417*/, v30 /*v286*/
	s_set_vgpr_msb 4                        ;  msbs: dst=0 src0=0 src1=1 src2=0
	v_mad_i32_i24 v251, v252, v130 /*v386*/, v251
	s_set_vgpr_msb 5                        ;  msbs: dst=0 src0=1 src1=1 src2=0
	v_mul_i32_i24_e32 v252, v5 /*v261*/, v131 /*v387*/
	s_set_vgpr_msb 0x55                     ;  msbs: dst=1 src0=1 src1=1 src2=1
	v_add3_u32 v30 /*v286*/, v30 /*v286*/, v31 /*v287*/, v35 /*v291*/
	s_set_vgpr_msb 0                        ;  msbs: dst=0 src0=0 src1=0 src2=0
	v_add3_u32 v251, v251, v253, v254
	s_set_vgpr_msb 1                        ;  msbs: dst=0 src0=1 src1=0 src2=0
	v_add3_u32 v253, v135 /*v391*/, v12, v13
	v_bfe_u32 v12, v39 /*v295*/, 16, 2
	v_bfe_u32 v13, v39 /*v295*/, 24, 2
	s_set_vgpr_msb 5                        ;  msbs: dst=0 src0=1 src1=1 src2=0
	v_mad_i32_i24 v252, v6 /*v262*/, v130 /*v386*/, v252
	s_set_vgpr_msb 0x45                     ;  msbs: dst=1 src0=1 src1=1 src2=0
	v_mul_i32_i24_e32 v31 /*v287*/, v22 /*v278*/, v129 /*v385*/
	v_mul_i32_i24_e32 v35 /*v291*/, v8 /*v264*/, v10 /*v266*/
	s_set_vgpr_msb 64                       ;  msbs: dst=1 src0=0 src1=0 src2=0
	v_mul_i32_i24_e32 v1 /*v257*/, v12, v164
	v_mul_i32_i24_e32 v2 /*v258*/, v13, v163
	s_set_vgpr_msb 0                        ;  msbs: dst=0 src0=0 src1=0 src2=0
	v_mul_i32_i24_e32 v245, v12, v134
	v_mul_i32_i24_e32 v254, v12, v53
	s_set_vgpr_msb 20                       ;  msbs: dst=0 src0=0 src1=1 src2=1
	v_add3_u32 v252, v252, v31 /*v287*/, v35 /*v291*/
	s_set_vgpr_msb 64                       ;  msbs: dst=1 src0=0 src1=0 src2=0
	v_mul_i32_i24_e32 v31 /*v287*/, v13, v138
	s_set_vgpr_msb 0x55                     ;  msbs: dst=1 src0=1 src1=1 src2=1
	v_add3_u32 v1 /*v257*/, v46 /*v302*/, v1 /*v257*/, v2 /*v258*/
	s_set_vgpr_msb 64                       ;  msbs: dst=1 src0=0 src1=0 src2=0
	v_mul_i32_i24_e32 v2 /*v258*/, v13, v55
	s_set_vgpr_msb 0                        ;  msbs: dst=0 src0=0 src1=0 src2=0
	v_mul_i32_i24_e32 v67, v12, v157
	v_mul_i32_i24_e32 v247, v12, v160
	s_set_vgpr_msb 17                       ;  msbs: dst=0 src0=1 src1=0 src2=1
	v_add3_u32 v254, v136 /*v392*/, v254, v31 /*v287*/
	s_set_vgpr_msb 64                       ;  msbs: dst=1 src0=0 src1=0 src2=0
	v_mul_i32_i24_e32 v31 /*v287*/, v13, v158
	s_set_vgpr_msb 17                       ;  msbs: dst=0 src0=1 src1=0 src2=1
	v_add3_u32 v245, v144 /*v400*/, v245, v2 /*v258*/
	s_set_vgpr_msb 0x45                     ;  msbs: dst=1 src0=1 src1=1 src2=0
	v_mul_i32_i24_e32 v2 /*v258*/, v80 /*v336*/, v3 /*v259*/
	v_mul_i32_i24_e32 v3 /*v259*/, v81 /*v337*/, v4 /*v260*/
	s_set_vgpr_msb 64                       ;  msbs: dst=1 src0=0 src1=0 src2=0
	v_mul_i32_i24_e32 v4 /*v260*/, v13, v192
	s_set_vgpr_msb 17                       ;  msbs: dst=0 src0=1 src1=0 src2=1
	v_add3_u32 v67, v141 /*v397*/, v67, v31 /*v287*/
	s_set_vgpr_msb 64                       ;  msbs: dst=1 src0=0 src1=0 src2=0
	v_mul_i32_i24_e32 v31 /*v287*/, v13, v186
	v_bfe_u32 v39 /*v295*/, v0, 8, 2
	s_set_vgpr_msb 0x55                     ;  msbs: dst=1 src0=1 src1=1 src2=1
	v_add3_u32 v2 /*v258*/, v51 /*v307*/, v2 /*v258*/, v3 /*v259*/
	s_set_vgpr_msb 64                       ;  msbs: dst=1 src0=0 src1=0 src2=0
	v_mul_i32_i24_e32 v3 /*v259*/, v12, v195
	v_bfe_u32 v51 /*v307*/, v10, 8, 2
	s_set_vgpr_msb 0x41                     ;  msbs: dst=1 src0=1 src1=0 src2=0
	v_mul_i32_i24_e32 v80 /*v336*/, v43 /*v299*/, v209
	v_mul_i32_i24_e32 v57 /*v313*/, v39 /*v295*/, v143
	s_set_vgpr_msb 0                        ;  msbs: dst=0 src0=0 src1=0 src2=0
	v_add_nc_u32_e32 v55, v134, v133
	s_set_vgpr_msb 0x55                     ;  msbs: dst=1 src0=1 src1=1 src2=1
	v_add3_u32 v3 /*v259*/, v52 /*v308*/, v3 /*v259*/, v4 /*v260*/
	s_set_vgpr_msb 64                       ;  msbs: dst=1 src0=0 src1=0 src2=0
	v_mul_i32_i24_e32 v4 /*v260*/, v13, v166
	s_set_vgpr_msb 0                        ;  msbs: dst=0 src0=0 src1=0 src2=0
	v_mul_i32_i24_e32 v13, v13, v233
	s_set_vgpr_msb 0x41                     ;  msbs: dst=1 src0=1 src1=0 src2=0
	v_mul_i32_i24_e32 v52 /*v308*/, v51 /*v307*/, v15
	v_mul_i32_i24_e32 v81 /*v337*/, v51 /*v307*/, v209
	s_set_vgpr_msb 0                        ;  msbs: dst=0 src0=0 src1=0 src2=0
	v_add3_u32 v133, v54, v122, v31
	s_set_vgpr_msb 17                       ;  msbs: dst=0 src0=1 src1=0 src2=1
	v_add3_u32 v247, v146 /*v402*/, v247, v4 /*v260*/
	s_set_vgpr_msb 64                       ;  msbs: dst=1 src0=0 src1=0 src2=0
	v_mul_i32_i24_e32 v4 /*v260*/, v12, v168
	s_set_vgpr_msb 0                        ;  msbs: dst=0 src0=0 src1=0 src2=0
	v_mul_i32_i24_e32 v12, v12, v240
	v_add3_u32 v55, v55, v124, v30
	s_set_vgpr_msb 0x55                     ;  msbs: dst=1 src0=1 src1=1 src2=1
	v_add3_u32 v4 /*v260*/, v147 /*v403*/, v4 /*v260*/, v31 /*v287*/
	v_bfe_u32 v31 /*v287*/, v24 /*v280*/, 8, 2
	s_set_vgpr_msb 0x41                     ;  msbs: dst=1 src0=1 src1=0 src2=0
	v_add3_u32 v12 /*v268*/, v38 /*v294*/, v12, v13
	s_set_vgpr_msb 4                        ;  msbs: dst=0 src0=0 src1=1 src2=0
	v_mul_i32_i24_e32 v12, v14, v85 /*v341*/
	s_set_vgpr_msb 64                       ;  msbs: dst=1 src0=0 src1=0 src2=0
	v_and_b32_e32 v38 /*v294*/, 3, v0
	s_set_vgpr_msb 1                        ;  msbs: dst=0 src0=1 src1=0 src2=0
	v_mul_i32_i24_e32 v13, v31 /*v287*/, v15
	s_set_vgpr_msb 0x41                     ;  msbs: dst=1 src0=1 src1=0 src2=0
	v_mul_i32_i24_e32 v56 /*v312*/, v31 /*v287*/, v199
	v_mul_i32_i24_e32 v72 /*v328*/, v31 /*v287*/, v191
	s_delay_alu instid0(VALU_DEP_3)
	v_add3_u32 v35 /*v291*/, v73 /*v329*/, v12, v13
	s_set_vgpr_msb 1                        ;  msbs: dst=0 src0=1 src1=0 src2=0
	v_mul_i32_i24_e32 v12, v38 /*v294*/, v197
	v_mul_i32_i24_e32 v13, v39 /*v295*/, v196
	s_set_vgpr_msb 0x41                     ;  msbs: dst=1 src0=1 src1=0 src2=0
	v_mul_i32_i24_e32 v73 /*v329*/, v43 /*v299*/, v191
	s_delay_alu instid0(VALU_DEP_2)
	v_add3_u32 v42 /*v298*/, v66 /*v322*/, v12, v13
	s_set_vgpr_msb 4                        ;  msbs: dst=0 src0=0 src1=1 src2=0
	v_mul_i32_i24_e32 v12, v14, v91 /*v347*/
	s_set_vgpr_msb 1                        ;  msbs: dst=0 src0=1 src1=0 src2=0
	v_mul_i32_i24_e32 v13, v43 /*v299*/, v15
	s_set_vgpr_msb 0x41                     ;  msbs: dst=1 src0=1 src1=0 src2=0
	v_mul_i32_i24_e32 v66 /*v322*/, v51 /*v307*/, v199
	v_mul_i32_i24_e32 v91 /*v347*/, v39 /*v295*/, v214
	s_delay_alu instid0(VALU_DEP_3)
	v_add3_u32 v45 /*v301*/, v71 /*v327*/, v12, v13
	s_set_vgpr_msb 0                        ;  msbs: dst=0 src0=0 src1=0 src2=0
	v_add_nc_u32_e32 v12, 0x2118, v221
	s_set_vgpr_msb 0x41                     ;  msbs: dst=1 src0=1 src1=0 src2=0
	v_mul_i32_i24_e32 v71 /*v327*/, v53 /*v309*/, v143
	s_set_vgpr_msb 0                        ;  msbs: dst=0 src0=0 src1=0 src2=0
	ds_load_2addr_b32 v[12:13], v12 offset1:1
	s_wait_dscnt 0x0
	v_dual_ashrrev_i32 v12, s18, v12 :: v_dual_ashrrev_i32 v13, s18, v13
	s_set_vgpr_msb 64                       ;  msbs: dst=1 src0=0 src1=0 src2=0
	s_delay_alu instid0(VALU_DEP_1) | instskip(SKIP_2) | instid1(VALU_DEP_2)
	v_and_b32_e32 v46 /*v302*/, 3, v12
	v_bfe_u32 v47 /*v303*/, v12, 8, 2
	s_set_vgpr_msb 0x41                     ;  msbs: dst=1 src0=1 src1=0 src2=0
	v_mul_i32_i24_e32 v48 /*v304*/, v46 /*v302*/, v197
	s_delay_alu instid0(VALU_DEP_2) | instskip(SKIP_3) | instid1(VALU_DEP_3)
	v_mul_i32_i24_e32 v49 /*v305*/, v47 /*v303*/, v196
	v_mul_i32_i24_e32 v59 /*v315*/, v47 /*v303*/, v143
	;; [unrolled: 1-line block ×3, first 2 shown]
	s_set_vgpr_msb 0x55                     ;  msbs: dst=1 src0=1 src1=1 src2=1
	v_add3_u32 v48 /*v304*/, v74 /*v330*/, v48 /*v304*/, v49 /*v305*/
	s_set_vgpr_msb 0x44                     ;  msbs: dst=1 src0=0 src1=1 src2=0
	v_mul_i32_i24_e32 v49 /*v305*/, v14, v97 /*v353*/
	s_set_vgpr_msb 0x41                     ;  msbs: dst=1 src0=1 src1=0 src2=0
	v_mul_i32_i24_e32 v74 /*v330*/, v51 /*v307*/, v191
	v_mul_i32_i24_e32 v97 /*v353*/, v31 /*v287*/, v139
	s_set_vgpr_msb 4                        ;  msbs: dst=0 src0=0 src1=1 src2=0
	v_mul_i32_i24_e32 v14, v14, v20 /*v276*/
	s_set_vgpr_msb 0x55                     ;  msbs: dst=1 src0=1 src1=1 src2=1
	v_add3_u32 v49 /*v305*/, v79 /*v335*/, v49 /*v305*/, v52 /*v308*/
	s_set_vgpr_msb 0x41                     ;  msbs: dst=1 src0=1 src1=0 src2=0
	v_and_b32_e32 v52 /*v308*/, 3, v4
	v_mul_i32_i24_e32 v79 /*v335*/, v31 /*v287*/, v209
	s_delay_alu instid0(VALU_DEP_2) | instskip(SKIP_1) | instid1(VALU_DEP_1)
	v_mul_i32_i24_e32 v54 /*v310*/, v52 /*v308*/, v197
	s_set_vgpr_msb 0x55                     ;  msbs: dst=1 src0=1 src1=1 src2=1
	v_add3_u32 v54 /*v310*/, v82 /*v338*/, v54 /*v310*/, v55 /*v311*/
	s_set_vgpr_msb 0x41                     ;  msbs: dst=1 src0=1 src1=0 src2=0
	v_mul_i32_i24_e32 v55 /*v311*/, v83 /*v339*/, v198
	v_mul_i32_i24_e32 v82 /*v338*/, v39 /*v295*/, v207
	s_set_vgpr_msb 0x55                     ;  msbs: dst=1 src0=1 src1=1 src2=1
	s_delay_alu instid0(VALU_DEP_2) | instskip(SKIP_4) | instid1(VALU_DEP_2)
	v_add3_u32 v55 /*v311*/, v87 /*v343*/, v55 /*v311*/, v56 /*v312*/
	s_set_vgpr_msb 0x41                     ;  msbs: dst=1 src0=1 src1=0 src2=0
	v_mul_i32_i24_e32 v56 /*v312*/, v38 /*v294*/, v141
	v_mul_i32_i24_e32 v87 /*v343*/, v53 /*v309*/, v207
	s_set_vgpr_msb 0x55                     ;  msbs: dst=1 src0=1 src1=1 src2=1
	v_add3_u32 v56 /*v312*/, v88 /*v344*/, v56 /*v312*/, v57 /*v313*/
	s_set_vgpr_msb 0x41                     ;  msbs: dst=1 src0=1 src1=0 src2=0
	v_mul_i32_i24_e32 v57 /*v313*/, v89 /*v345*/, v198
	v_mul_i32_i24_e32 v88 /*v344*/, v31 /*v287*/, v211
	s_set_vgpr_msb 0x55                     ;  msbs: dst=1 src0=1 src1=1 src2=1
	s_delay_alu instid0(VALU_DEP_2) | instskip(SKIP_4) | instid1(VALU_DEP_2)
	v_add3_u32 v57 /*v313*/, v92 /*v348*/, v57 /*v313*/, v58 /*v314*/
	s_set_vgpr_msb 0x41                     ;  msbs: dst=1 src0=1 src1=0 src2=0
	v_mul_i32_i24_e32 v58 /*v314*/, v46 /*v302*/, v141
	;; [unrolled: 11-line block ×4, first 2 shown]
	v_mul_i32_i24_e32 v98 /*v354*/, v43 /*v299*/, v139
	s_set_vgpr_msb 0x55                     ;  msbs: dst=1 src0=1 src1=1 src2=1
	v_add3_u32 v72 /*v328*/, v99 /*v355*/, v72 /*v328*/, v73 /*v329*/
	s_set_vgpr_msb 0x41                     ;  msbs: dst=1 src0=1 src1=0 src2=0
	v_mul_i32_i24_e32 v73 /*v329*/, v157 /*v413*/, v65
	v_mul_i32_i24_e32 v99 /*v355*/, v39 /*v295*/, v190
	s_set_vgpr_msb 1                        ;  msbs: dst=0 src0=1 src1=0 src2=0
	v_mul_i32_i24_e32 v65, v164 /*v420*/, v65
	s_set_vgpr_msb 0x55                     ;  msbs: dst=1 src0=1 src1=1 src2=1
	v_add3_u32 v73 /*v329*/, v100 /*v356*/, v73 /*v329*/, v74 /*v330*/
	s_set_vgpr_msb 0x41                     ;  msbs: dst=1 src0=1 src1=0 src2=0
	v_mul_i32_i24_e32 v74 /*v330*/, v83 /*v339*/, v208
	v_mul_i32_i24_e32 v100 /*v356*/, v47 /*v303*/, v190
	s_set_vgpr_msb 0x55                     ;  msbs: dst=1 src0=1 src1=1 src2=1
	s_delay_alu instid0(VALU_DEP_2) | instskip(SKIP_4) | instid1(VALU_DEP_2)
	v_add3_u32 v74 /*v330*/, v101 /*v357*/, v74 /*v330*/, v79 /*v335*/
	s_set_vgpr_msb 0x41                     ;  msbs: dst=1 src0=1 src1=0 src2=0
	v_mul_i32_i24_e32 v79 /*v335*/, v89 /*v345*/, v208
	v_mul_i32_i24_e32 v101 /*v357*/, v53 /*v309*/, v190
	s_set_vgpr_msb 0x55                     ;  msbs: dst=1 src0=1 src1=1 src2=1
	v_add3_u32 v79 /*v335*/, v102 /*v358*/, v79 /*v335*/, v80 /*v336*/
	s_set_vgpr_msb 0x41                     ;  msbs: dst=1 src0=1 src1=0 src2=0
	v_mul_i32_i24_e32 v80 /*v336*/, v157 /*v413*/, v208
	v_mul_i32_i24_e32 v102 /*v358*/, v47 /*v303*/, v203
	s_set_vgpr_msb 0x55                     ;  msbs: dst=1 src0=1 src1=1 src2=1
	s_delay_alu instid0(VALU_DEP_2) | instskip(SKIP_4) | instid1(VALU_DEP_2)
	v_add3_u32 v80 /*v336*/, v103 /*v359*/, v80 /*v336*/, v81 /*v337*/
	s_set_vgpr_msb 0x41                     ;  msbs: dst=1 src0=1 src1=0 src2=0
	v_mul_i32_i24_e32 v81 /*v337*/, v38 /*v294*/, v206
	v_mul_i32_i24_e32 v103 /*v359*/, v39 /*v295*/, v203
	;; [unrolled: 11-line block ×3, first 2 shown]
	s_set_vgpr_msb 0x55                     ;  msbs: dst=1 src0=1 src1=1 src2=1
	v_add3_u32 v85 /*v341*/, v106 /*v362*/, v85 /*v341*/, v87 /*v343*/
	s_set_vgpr_msb 0x41                     ;  msbs: dst=1 src0=1 src1=0 src2=0
	v_mul_i32_i24_e32 v87 /*v343*/, v83 /*v339*/, v210
	v_mul_i32_i24_e32 v106 /*v362*/, v31 /*v287*/, v212
	s_set_vgpr_msb 0x55                     ;  msbs: dst=1 src0=1 src1=1 src2=1
	v_mul_i32_i24_e32 v31 /*v287*/, v31 /*v287*/, v7 /*v263*/
	s_delay_alu instid0(VALU_DEP_3)
	v_add3_u32 v87 /*v343*/, v107 /*v363*/, v87 /*v343*/, v88 /*v344*/
	s_set_vgpr_msb 0x41                     ;  msbs: dst=1 src0=1 src1=0 src2=0
	v_mul_i32_i24_e32 v88 /*v344*/, v38 /*v294*/, v213
	v_mul_i32_i24_e32 v107 /*v363*/, v39 /*v295*/, v200
	;; [unrolled: 1-line block ×3, first 2 shown]
	s_set_vgpr_msb 0x55                     ;  msbs: dst=1 src0=1 src1=1 src2=1
	s_delay_alu instid0(VALU_DEP_3) | instskip(SKIP_3) | instid1(VALU_DEP_1)
	v_add3_u32 v88 /*v344*/, v108 /*v364*/, v88 /*v344*/, v91 /*v347*/
	s_set_vgpr_msb 0x41                     ;  msbs: dst=1 src0=1 src1=0 src2=0
	v_mul_i32_i24_e32 v91 /*v347*/, v89 /*v345*/, v210
	s_set_vgpr_msb 0x55                     ;  msbs: dst=1 src0=1 src1=1 src2=1
	v_add3_u32 v91 /*v347*/, v109 /*v365*/, v91 /*v347*/, v92 /*v348*/
	s_set_vgpr_msb 0x41                     ;  msbs: dst=1 src0=1 src1=0 src2=0
	v_mul_i32_i24_e32 v92 /*v348*/, v46 /*v302*/, v213
	s_set_vgpr_msb 0x55                     ;  msbs: dst=1 src0=1 src1=1 src2=1
	s_delay_alu instid0(VALU_DEP_1) | instskip(SKIP_3) | instid1(VALU_DEP_1)
	v_add3_u32 v92 /*v348*/, v110 /*v366*/, v92 /*v348*/, v93 /*v349*/
	s_set_vgpr_msb 0x41                     ;  msbs: dst=1 src0=1 src1=0 src2=0
	v_mul_i32_i24_e32 v93 /*v349*/, v157 /*v413*/, v210
	s_set_vgpr_msb 0x55                     ;  msbs: dst=1 src0=1 src1=1 src2=1
	v_add3_u32 v93 /*v349*/, v111 /*v367*/, v93 /*v349*/, v94 /*v350*/
	s_set_vgpr_msb 0x41                     ;  msbs: dst=1 src0=1 src1=0 src2=0
	v_mul_i32_i24_e32 v94 /*v350*/, v52 /*v308*/, v213
	s_set_vgpr_msb 0x55                     ;  msbs: dst=1 src0=1 src1=1 src2=1
	s_delay_alu instid0(VALU_DEP_1) | instskip(SKIP_3) | instid1(VALU_DEP_1)
	;; [unrolled: 9-line block ×5, first 2 shown]
	v_add3_u32 v101 /*v357*/, v118 /*v374*/, v101 /*v357*/, v102 /*v358*/
	s_set_vgpr_msb 0x41                     ;  msbs: dst=1 src0=1 src1=0 src2=0
	v_mul_i32_i24_e32 v102 /*v358*/, v38 /*v294*/, v194
	s_set_vgpr_msb 0x55                     ;  msbs: dst=1 src0=1 src1=1 src2=1
	v_add3_u32 v102 /*v358*/, v119 /*v375*/, v102 /*v358*/, v103 /*v359*/
	s_set_vgpr_msb 0x41                     ;  msbs: dst=1 src0=1 src1=0 src2=0
	v_mul_i32_i24_e32 v103 /*v359*/, v157 /*v413*/, v137
	s_set_vgpr_msb 1                        ;  msbs: dst=0 src0=1 src1=0 src2=0
	v_mul_i32_i24_e32 v137, v164 /*v420*/, v137
	s_set_vgpr_msb 0x55                     ;  msbs: dst=1 src0=1 src1=1 src2=1
	s_delay_alu instid0(VALU_DEP_2) | instskip(SKIP_3) | instid1(VALU_DEP_1)
	v_add3_u32 v103 /*v359*/, v120 /*v376*/, v103 /*v359*/, v104 /*v360*/
	s_set_vgpr_msb 0x41                     ;  msbs: dst=1 src0=1 src1=0 src2=0
	v_mul_i32_i24_e32 v104 /*v360*/, v52 /*v308*/, v194
	s_set_vgpr_msb 0x55                     ;  msbs: dst=1 src0=1 src1=1 src2=1
	v_add3_u32 v104 /*v360*/, v121 /*v377*/, v104 /*v360*/, v105 /*v361*/
	s_set_vgpr_msb 0x41                     ;  msbs: dst=1 src0=1 src1=0 src2=0
	v_mul_i32_i24_e32 v105 /*v361*/, v83 /*v339*/, v202
	v_mul_i32_i24_e32 v83 /*v339*/, v83 /*v339*/, v217
	s_set_vgpr_msb 0x55                     ;  msbs: dst=1 src0=1 src1=1 src2=1
	s_delay_alu instid0(VALU_DEP_2) | instskip(NEXT) | instid1(VALU_DEP_2)
	v_add3_u32 v105 /*v361*/, v122 /*v378*/, v105 /*v361*/, v106 /*v362*/
	v_add3_u32 v31 /*v287*/, v61 /*v317*/, v83 /*v339*/, v31 /*v287*/
	s_set_vgpr_msb 0x41                     ;  msbs: dst=1 src0=1 src1=0 src2=0
	v_mul_i32_i24_e32 v61 /*v317*/, v89 /*v345*/, v217
	s_set_vgpr_msb 0x45                     ;  msbs: dst=1 src0=1 src1=1 src2=0
	v_mul_i32_i24_e32 v83 /*v339*/, v43 /*v299*/, v7 /*v263*/
	s_set_vgpr_msb 0x41                     ;  msbs: dst=1 src0=1 src1=0 src2=0
	v_mul_i32_i24_e32 v106 /*v362*/, v38 /*v294*/, v201
	v_mul_i32_i24_e32 v43 /*v299*/, v43 /*v299*/, v212
	;; [unrolled: 1-line block ×3, first 2 shown]
	s_set_vgpr_msb 0x55                     ;  msbs: dst=1 src0=1 src1=1 src2=1
	v_add3_u32 v61 /*v317*/, v62 /*v318*/, v61 /*v317*/, v83 /*v339*/
	s_set_vgpr_msb 0x41                     ;  msbs: dst=1 src0=1 src1=0 src2=0
	v_mul_i32_i24_e32 v62 /*v318*/, v157 /*v413*/, v217
	s_set_vgpr_msb 0x55                     ;  msbs: dst=1 src0=1 src1=1 src2=1
	v_mul_i32_i24_e32 v83 /*v339*/, v51 /*v307*/, v7 /*v263*/
	v_add3_u32 v38 /*v294*/, v65 /*v321*/, v38 /*v294*/, v39 /*v295*/
	s_set_vgpr_msb 0x41                     ;  msbs: dst=1 src0=1 src1=0 src2=0
	v_mul_i32_i24_e32 v39 /*v295*/, v46 /*v302*/, v220
	v_mul_i32_i24_e32 v51 /*v307*/, v51 /*v307*/, v212
	s_set_vgpr_msb 0x55                     ;  msbs: dst=1 src0=1 src1=1 src2=1
	v_add3_u32 v106 /*v362*/, v123 /*v379*/, v106 /*v362*/, v107 /*v363*/
	v_add3_u32 v62 /*v318*/, v63 /*v319*/, v62 /*v318*/, v83 /*v339*/
	s_set_vgpr_msb 0x41                     ;  msbs: dst=1 src0=1 src1=0 src2=0
	v_mul_i32_i24_e32 v63 /*v319*/, v89 /*v345*/, v202
	s_set_vgpr_msb 0x55                     ;  msbs: dst=1 src0=1 src1=1 src2=1
	s_delay_alu instid0(VALU_DEP_1)
	v_add3_u32 v43 /*v299*/, v64 /*v320*/, v63 /*v319*/, v43 /*v299*/
	s_set_vgpr_msb 0x41                     ;  msbs: dst=1 src0=1 src1=0 src2=0
	v_mul_i32_i24_e32 v63 /*v319*/, v46 /*v302*/, v201
	v_mul_i32_i24_e32 v46 /*v302*/, v47 /*v303*/, v248
	;; [unrolled: 1-line block ×3, first 2 shown]
	s_set_vgpr_msb 64                       ;  msbs: dst=1 src0=0 src1=0 src2=0
	v_bfe_i32 v47 /*v303*/, v228, 8, 8
	s_set_vgpr_msb 0x55                     ;  msbs: dst=1 src0=1 src1=1 src2=1
	v_add3_u32 v36 /*v292*/, v36 /*v292*/, v39 /*v295*/, v46 /*v302*/
	s_set_vgpr_msb 0x41                     ;  msbs: dst=1 src0=1 src1=0 src2=0
	v_mul_i32_i24_e32 v39 /*v295*/, v52 /*v308*/, v220
	v_mul_i32_i24_e32 v46 /*v302*/, v53 /*v309*/, v248
	s_set_vgpr_msb 0x55                     ;  msbs: dst=1 src0=1 src1=1 src2=1
	v_add3_u32 v63 /*v319*/, v67 /*v323*/, v63 /*v319*/, v64 /*v320*/
	s_set_vgpr_msb 0x41                     ;  msbs: dst=1 src0=1 src1=0 src2=0
	v_mul_i32_i24_e32 v64 /*v320*/, v157 /*v413*/, v202
	v_mul_i32_i24_e32 v67 /*v323*/, v53 /*v309*/, v200
	s_set_vgpr_msb 0x55                     ;  msbs: dst=1 src0=1 src1=1 src2=1
	v_add3_u32 v37 /*v293*/, v37 /*v293*/, v39 /*v295*/, v46 /*v302*/
	s_set_vgpr_msb 64                       ;  msbs: dst=1 src0=0 src1=0 src2=0
	v_add3_u32 v39 /*v295*/, v173, v190, v109
	v_bfe_i32 v46 /*v302*/, v228, 0, 8
	s_set_vgpr_msb 0x55                     ;  msbs: dst=1 src0=1 src1=1 src2=1
	v_add3_u32 v51 /*v307*/, v68 /*v324*/, v64 /*v320*/, v51 /*v307*/
	s_set_vgpr_msb 0x41                     ;  msbs: dst=1 src0=1 src1=0 src2=0
	v_mul_i32_i24_e32 v64 /*v320*/, v52 /*v308*/, v201
	s_set_vgpr_msb 0x45                     ;  msbs: dst=1 src0=1 src1=1 src2=0
	v_mul_i32_i24_e32 v52 /*v308*/, v39 /*v295*/, v47 /*v303*/
	s_set_vgpr_msb 4                        ;  msbs: dst=0 src0=0 src1=1 src2=0
	v_mul_i32_i24_e32 v173, v227, v46 /*v302*/
	s_set_vgpr_msb 0x55                     ;  msbs: dst=1 src0=1 src1=1 src2=1
	v_add3_u32 v64 /*v320*/, v69 /*v325*/, v64 /*v320*/, v67 /*v323*/
	s_set_vgpr_msb 0x51                     ;  msbs: dst=1 src0=1 src1=0 src2=1
	s_delay_alu instid0(VALU_DEP_2) | instskip(SKIP_2) | instid1(VALU_DEP_1)
	v_add3_u32 v32 /*v288*/, v32 /*v288*/, v173, v52 /*v308*/
	s_set_vgpr_msb 0                        ;  msbs: dst=0 src0=0 src1=0 src2=0
	v_lshrrev_b16 v173, 8, v8
	v_and_b32_e32 v234, 0xffff, v173
	s_delay_alu instid0(VALU_DEP_1) | instskip(NEXT) | instid1(VALU_DEP_1)
	v_lshrrev_b32_e32 v234, 4, v234
	v_mul_lo_u32 v234, 0x1010101, v234
	s_delay_alu instid0(VALU_DEP_1) | instskip(SKIP_3) | instid1(VALU_DEP_2)
	v_bfe_i32 v235, v234, 0, 8
	s_set_vgpr_msb 64                       ;  msbs: dst=1 src0=0 src1=0 src2=0
	v_bfe_i32 v52 /*v308*/, v234, 8, 8
	s_set_vgpr_msb 0                        ;  msbs: dst=0 src0=0 src1=0 src2=0
	v_mul_i32_i24_e32 v171, v204, v235
	s_set_vgpr_msb 4                        ;  msbs: dst=0 src0=0 src1=1 src2=0
	s_delay_alu instid0(VALU_DEP_2)
	v_mul_i32_i24_e32 v174, v205, v52 /*v308*/
	s_set_vgpr_msb 64                       ;  msbs: dst=1 src0=0 src1=0 src2=0
	v_mul_i32_i24_e32 v53 /*v309*/, v230, v235
	s_set_vgpr_msb 0x44                     ;  msbs: dst=1 src0=0 src1=1 src2=0
	v_mul_i32_i24_e32 v65 /*v321*/, v231, v52 /*v308*/
	s_set_vgpr_msb 0x41                     ;  msbs: dst=1 src0=1 src1=0 src2=0
	v_add3_u32 v9 /*v265*/, v9 /*v265*/, v171, v174
	s_set_vgpr_msb 0                        ;  msbs: dst=0 src0=0 src1=0 src2=0
	v_dual_add_nc_u32 v171, v218, v215 :: v_dual_add_nc_u32 v174, v219, v216
	s_set_vgpr_msb 0x55                     ;  msbs: dst=1 src0=1 src1=1 src2=1
	v_add3_u32 v26 /*v282*/, v26 /*v282*/, v53 /*v309*/, v65 /*v321*/
	s_set_vgpr_msb 0                        ;  msbs: dst=0 src0=0 src1=0 src2=0
	s_delay_alu instid0(VALU_DEP_2) | instskip(SKIP_1) | instid1(VALU_DEP_2)
	v_add3_u32 v215, v171, v141, v91
	v_add3_u32 v216, v174, v143, v104
	v_mul_i32_i24_e32 v171, v215, v235
	s_set_vgpr_msb 4                        ;  msbs: dst=0 src0=0 src1=1 src2=0
	s_delay_alu instid0(VALU_DEP_2) | instskip(SKIP_1) | instid1(VALU_DEP_1)
	v_mul_i32_i24_e32 v174, v216, v52 /*v308*/
	s_set_vgpr_msb 1                        ;  msbs: dst=0 src0=1 src1=0 src2=0
	v_add3_u32 v218, v19 /*v275*/, v171, v174
	s_set_vgpr_msb 4                        ;  msbs: dst=0 src0=0 src1=1 src2=0
	v_mul_i32_i24_e32 v171, v204, v46 /*v302*/
	v_mul_i32_i24_e32 v174, v205, v47 /*v303*/
	s_set_vgpr_msb 1                        ;  msbs: dst=0 src0=1 src1=0 src2=0
	s_delay_alu instid0(VALU_DEP_1) | instskip(SKIP_4) | instid1(VALU_DEP_1)
	v_add3_u32 v219, v41 /*v297*/, v171, v174
	s_set_vgpr_msb 4                        ;  msbs: dst=0 src0=0 src1=1 src2=0
	v_mul_i32_i24_e32 v171, v215, v46 /*v302*/
	v_mul_i32_i24_e32 v174, v216, v47 /*v303*/
	s_set_vgpr_msb 0x41                     ;  msbs: dst=1 src0=1 src1=0 src2=0
	v_add3_u32 v19 /*v275*/, v40 /*v296*/, v171, v174
	s_set_vgpr_msb 0                        ;  msbs: dst=0 src0=0 src1=0 src2=0
	v_lshrrev_b16 v174, 8, v153
	s_delay_alu instid0(VALU_DEP_1) | instskip(NEXT) | instid1(VALU_DEP_1)
	v_and_b32_e32 v171, 0xffff, v174
	v_lshrrev_b32_e32 v171, 4, v171
	s_set_vgpr_msb 0x41                     ;  msbs: dst=1 src0=1 src1=0 src2=0
	s_delay_alu instid0(VALU_DEP_1) | instskip(NEXT) | instid1(VALU_DEP_1)
	v_mul_lo_u32 v40 /*v296*/, 0x1010101, v171
	v_bfe_i32 v41 /*v297*/, v40 /*v296*/, 0, 8
	v_bfe_i32 v53 /*v309*/, v40 /*v296*/, 8, 8
	s_set_vgpr_msb 4                        ;  msbs: dst=0 src0=0 src1=1 src2=0
	s_delay_alu instid0(VALU_DEP_2) | instskip(SKIP_1) | instid1(VALU_DEP_2)
	v_mul_i32_i24_e32 v171, v227, v41 /*v297*/
	s_set_vgpr_msb 0x45                     ;  msbs: dst=1 src0=1 src1=1 src2=0
	v_mul_i32_i24_e32 v65 /*v321*/, v39 /*v295*/, v53 /*v309*/
	s_set_vgpr_msb 0x44                     ;  msbs: dst=1 src0=0 src1=1 src2=0
	v_mul_i32_i24_e32 v67 /*v323*/, v216, v53 /*v309*/
	s_set_vgpr_msb 0x51                     ;  msbs: dst=1 src0=1 src1=0 src2=1
	s_delay_alu instid0(VALU_DEP_2) | instskip(SKIP_3) | instid1(VALU_DEP_1)
	v_add3_u32 v65 /*v321*/, v70 /*v326*/, v171, v65 /*v321*/
	s_set_vgpr_msb 4                        ;  msbs: dst=0 src0=0 src1=1 src2=0
	v_mul_i32_i24_e32 v171, v215, v41 /*v297*/
	s_set_vgpr_msb 0x51                     ;  msbs: dst=1 src0=1 src1=0 src2=1
	v_add3_u32 v34 /*v290*/, v34 /*v290*/, v171, v67 /*v323*/
	s_set_vgpr_msb 0                        ;  msbs: dst=0 src0=0 src1=0 src2=0
	v_add_nc_u32_e32 v171, v225, v224
	s_delay_alu instid0(VALU_DEP_1)
	v_add3_u32 v224, v171, v206, v111
	s_set_vgpr_msb 5                        ;  msbs: dst=0 src0=1 src1=1 src2=0
	v_mul_i32_i24_e32 v171, v44 /*v300*/, v33 /*v289*/
	s_set_vgpr_msb 0x45                     ;  msbs: dst=1 src0=1 src1=1 src2=0
	v_mul_i32_i24_e32 v33 /*v289*/, v39 /*v295*/, v52 /*v308*/
	s_set_vgpr_msb 4                        ;  msbs: dst=0 src0=0 src1=1 src2=0
	v_mul_i32_i24_e32 v225, v224, v41 /*v297*/
	s_set_vgpr_msb 1                        ;  msbs: dst=0 src0=1 src1=0 src2=0
	s_delay_alu instid0(VALU_DEP_1) | instskip(SKIP_3) | instid1(VALU_DEP_1)
	v_add3_u32 v225, v158 /*v414*/, v171, v225
	s_set_vgpr_msb 0                        ;  msbs: dst=0 src0=0 src1=0 src2=0
	v_mul_i32_i24_e32 v171, v227, v235
	s_set_vgpr_msb 0x51                     ;  msbs: dst=1 src0=1 src1=0 src2=1
	v_add3_u32 v33 /*v289*/, v76 /*v332*/, v171, v33 /*v289*/
	s_set_vgpr_msb 0                        ;  msbs: dst=0 src0=0 src1=0 src2=0
	v_add_nc_u32_e32 v171, v223, v222
	s_delay_alu instid0(VALU_DEP_1) | instskip(SKIP_2) | instid1(VALU_DEP_2)
	v_add3_u32 v222, v171, v207, v112
	v_mul_i32_i24_e32 v171, v224, v235
	s_set_vgpr_msb 4                        ;  msbs: dst=0 src0=0 src1=1 src2=0
	v_mul_i32_i24_e32 v223, v222, v52 /*v308*/
	s_set_vgpr_msb 1                        ;  msbs: dst=0 src0=1 src1=0 src2=0
	s_delay_alu instid0(VALU_DEP_1)
	v_add3_u32 v223, v75 /*v331*/, v171, v223
	s_set_vgpr_msb 5                        ;  msbs: dst=0 src0=1 src1=1 src2=0
	v_mul_i32_i24_e32 v171, v44 /*v300*/, v10 /*v266*/
	s_set_vgpr_msb 0x44                     ;  msbs: dst=1 src0=0 src1=1 src2=0
	v_mul_i32_i24_e32 v10 /*v266*/, v224, v46 /*v302*/
	v_mul_i32_i24_e32 v44 /*v300*/, v231, v53 /*v309*/
	s_set_vgpr_msb 0x51                     ;  msbs: dst=1 src0=1 src1=0 src2=1
	s_delay_alu instid0(VALU_DEP_2)
	v_add3_u32 v10 /*v266*/, v132 /*v388*/, v171, v10 /*v266*/
	s_set_vgpr_msb 0                        ;  msbs: dst=0 src0=0 src1=0 src2=0
	v_add_nc_u32_e32 v171, v243, v241
	s_set_vgpr_msb 5                        ;  msbs: dst=0 src0=1 src1=1 src2=0
	v_mul_i32_i24_e32 v241, v50 /*v306*/, v18 /*v274*/
	s_set_vgpr_msb 0x44                     ;  msbs: dst=1 src0=0 src1=1 src2=0
	v_mul_i32_i24_e32 v18 /*v274*/, v231, v47 /*v303*/
	s_set_vgpr_msb 0                        ;  msbs: dst=0 src0=0 src1=0 src2=0
	v_add3_u32 v243, v171, v213, v118
	s_delay_alu instid0(VALU_DEP_1) | instskip(SKIP_1) | instid1(VALU_DEP_1)
	v_mul_i32_i24_e32 v171, v243, v235
	s_set_vgpr_msb 1                        ;  msbs: dst=0 src0=1 src1=0 src2=0
	v_add3_u32 v241, v163 /*v419*/, v241, v171
	s_set_vgpr_msb 0                        ;  msbs: dst=0 src0=0 src1=0 src2=0
	v_add_nc_u32_e32 v171, v242, v239
	s_delay_alu instid0(VALU_DEP_1) | instskip(SKIP_2) | instid1(VALU_DEP_2)
	v_add3_u32 v239, v171, v214, v120
	s_set_vgpr_msb 4                        ;  msbs: dst=0 src0=0 src1=1 src2=0
	v_mul_i32_i24_e32 v171, v243, v46 /*v302*/
	v_mul_i32_i24_e32 v242, v239, v47 /*v303*/
	s_set_vgpr_msb 0x44                     ;  msbs: dst=1 src0=0 src1=1 src2=0
	v_mul_i32_i24_e32 v50 /*v306*/, v239, v53 /*v309*/
	s_set_vgpr_msb 1                        ;  msbs: dst=0 src0=1 src1=0 src2=0
	s_delay_alu instid0(VALU_DEP_2) | instskip(SKIP_3) | instid1(VALU_DEP_1)
	v_add3_u32 v242, v78 /*v334*/, v171, v242
	s_set_vgpr_msb 4                        ;  msbs: dst=0 src0=0 src1=1 src2=0
	v_mul_i32_i24_e32 v171, v230, v46 /*v302*/
	s_set_vgpr_msb 0x51                     ;  msbs: dst=1 src0=1 src1=0 src2=1
	v_add3_u32 v18 /*v274*/, v77 /*v333*/, v171, v18 /*v274*/
	s_set_vgpr_msb 4                        ;  msbs: dst=0 src0=0 src1=1 src2=0
	v_mul_i32_i24_e32 v171, v230, v41 /*v297*/
	s_set_vgpr_msb 0x51                     ;  msbs: dst=1 src0=1 src1=0 src2=1
	s_delay_alu instid0(VALU_DEP_1) | instskip(SKIP_3) | instid1(VALU_DEP_1)
	v_add3_u32 v44 /*v300*/, v86 /*v342*/, v171, v44 /*v300*/
	s_set_vgpr_msb 4                        ;  msbs: dst=0 src0=0 src1=1 src2=0
	v_mul_i32_i24_e32 v171, v243, v41 /*v297*/
	s_set_vgpr_msb 0x51                     ;  msbs: dst=1 src0=1 src1=0 src2=1
	v_add3_u32 v50 /*v306*/, v84 /*v340*/, v171, v50 /*v306*/
	s_set_vgpr_msb 0                        ;  msbs: dst=0 src0=0 src1=0 src2=0
	v_lshrrev_b16 v171, 8, v6
	s_set_vgpr_msb 64                       ;  msbs: dst=1 src0=0 src1=0 src2=0
	s_delay_alu instid0(VALU_DEP_1) | instskip(SKIP_1) | instid1(VALU_DEP_1)
	v_and_b32_e32 v67 /*v323*/, 0xffff, v171
	s_set_vgpr_msb 0x44                     ;  msbs: dst=1 src0=0 src1=1 src2=0
	v_lshrrev_b32_e32 v67 /*v323*/, 4, v67 /*v323*/
	s_delay_alu instid0(VALU_DEP_1) | instskip(SKIP_1) | instid1(VALU_DEP_1)
	v_mul_lo_u32 v67 /*v323*/, 0x1010101, v67 /*v323*/
	s_set_vgpr_msb 0x41                     ;  msbs: dst=1 src0=1 src1=0 src2=0
	v_bfe_i32 v68 /*v324*/, v67 /*v323*/, 0, 8
	v_bfe_i32 v69 /*v325*/, v67 /*v323*/, 8, 8
	s_set_vgpr_msb 4                        ;  msbs: dst=0 src0=0 src1=1 src2=0
	v_lshrrev_b32_e32 v233, 24, v67 /*v323*/
	s_delay_alu instid0(VALU_DEP_3) | instskip(NEXT) | instid1(VALU_DEP_3)
	v_mul_i32_i24_e32 v230, v230, v68 /*v324*/
	v_mul_i32_i24_e32 v231, v231, v69 /*v325*/
	;; [unrolled: 1-line block ×6, first 2 shown]
	s_set_vgpr_msb 1                        ;  msbs: dst=0 src0=1 src1=0 src2=0
	v_add3_u32 v230, v21 /*v277*/, v230, v231
	s_set_vgpr_msb 4                        ;  msbs: dst=0 src0=0 src1=1 src2=0
	v_mul_i32_i24_e32 v231, v243, v68 /*v324*/
	v_mul_i32_i24_e32 v243, v239, v69 /*v325*/
	s_set_vgpr_msb 0                        ;  msbs: dst=0 src0=0 src1=0 src2=0
	v_add3_u32 v147, v255, v147, v193
	v_add_nc_u32_e32 v193, v240, v238
	s_set_vgpr_msb 4                        ;  msbs: dst=0 src0=0 src1=1 src2=0
	v_mul_i32_i24_e32 v240, v64, v41 /*v297*/
	s_set_vgpr_msb 1                        ;  msbs: dst=0 src0=1 src1=0 src2=0
	v_add3_u32 v215, v14 /*v270*/, v215, v216
	v_add3_u32 v231, v17 /*v273*/, v231, v243
	s_set_vgpr_msb 4                        ;  msbs: dst=0 src0=0 src1=1 src2=0
	v_mul_i32_i24_e32 v243, v145, v53 /*v309*/
	v_mul_i32_i24_e32 v216, v204, v68 /*v324*/
	s_set_vgpr_msb 0x44                     ;  msbs: dst=1 src0=0 src1=1 src2=0
	v_mul_i32_i24_e32 v14 /*v270*/, v205, v69 /*v325*/
	s_set_vgpr_msb 4                        ;  msbs: dst=0 src0=0 src1=1 src2=0
	v_mul_i32_i24_e32 v204, v204, v41 /*v297*/
	v_mul_i32_i24_e32 v205, v205, v53 /*v309*/
	s_set_vgpr_msb 1                        ;  msbs: dst=0 src0=1 src1=0 src2=0
	v_add3_u32 v240, v27 /*v283*/, v240, v243
	s_set_vgpr_msb 5                        ;  msbs: dst=0 src0=1 src1=1 src2=0
	v_add_nc_u32_e32 v243, v60 /*v316*/, v13 /*v269*/
	s_set_vgpr_msb 4                        ;  msbs: dst=0 src0=0 src1=1 src2=0
	v_mul_i32_i24_e32 v236, v232, v68 /*v324*/
	v_mul_i32_i24_e32 v255, v232, v41 /*v297*/
	s_set_vgpr_msb 1                        ;  msbs: dst=0 src0=1 src1=0 src2=0
	v_add3_u32 v204, v0 /*v256*/, v204, v205
	s_set_vgpr_msb 0                        ;  msbs: dst=0 src0=0 src1=0 src2=0
	v_mul_i32_i24_e32 v237, v229, v233
	v_add3_u32 v243, v243, v248, v226
	s_set_vgpr_msb 5                        ;  msbs: dst=0 src0=1 src1=1 src2=0
	v_mad_i32_i24 v236, v5 /*v261*/, v124 /*v380*/, v236
	s_set_vgpr_msb 0x44                     ;  msbs: dst=1 src0=0 src1=1 src2=0
	v_mul_i32_i24_e32 v5 /*v261*/, v145, v52 /*v308*/
	s_set_vgpr_msb 4                        ;  msbs: dst=0 src0=0 src1=1 src2=0
	v_mul_i32_i24_e32 v145, v145, v47 /*v303*/
	s_set_vgpr_msb 5                        ;  msbs: dst=0 src0=1 src1=1 src2=0
	v_mad_i32_i24 v237, v8 /*v264*/, v125 /*v381*/, v237
	s_set_vgpr_msb 0x44                     ;  msbs: dst=1 src0=0 src1=1 src2=0
	v_mul_i32_i24_e32 v0 /*v256*/, v243, v53 /*v309*/
	s_set_vgpr_msb 17                       ;  msbs: dst=0 src0=1 src1=0 src2=1
	v_add3_u32 v216, v126 /*v382*/, v216, v14 /*v270*/
	s_set_vgpr_msb 4                        ;  msbs: dst=0 src0=0 src1=1 src2=0
	v_mul_i32_i24_e32 v224, v224, v68 /*v324*/
	s_set_vgpr_msb 0x44                     ;  msbs: dst=1 src0=0 src1=1 src2=0
	v_mul_i32_i24_e32 v14 /*v270*/, v222, v69 /*v325*/
	s_set_vgpr_msb 4                        ;  msbs: dst=0 src0=0 src1=1 src2=0
	v_mul_i32_i24_e32 v227, v227, v68 /*v324*/
	s_set_vgpr_msb 17                       ;  msbs: dst=0 src0=1 src1=0 src2=1
	v_add3_u32 v255, v25 /*v281*/, v255, v0 /*v256*/
	s_set_vgpr_msb 64                       ;  msbs: dst=1 src0=0 src1=0 src2=0
	v_mul_i32_i24_e32 v0 /*v256*/, v64, v235
	s_set_vgpr_msb 4                        ;  msbs: dst=0 src0=0 src1=1 src2=0
	v_mul_i32_i24_e32 v64, v64, v46 /*v302*/
	s_set_vgpr_msb 0                        ;  msbs: dst=0 src0=0 src1=0 src2=0
	v_mul_i32_i24_e32 v235, v232, v235
	s_set_vgpr_msb 17                       ;  msbs: dst=0 src0=1 src1=0 src2=1
	v_add3_u32 v224, v16 /*v272*/, v224, v14 /*v270*/
	s_set_vgpr_msb 0x55                     ;  msbs: dst=1 src0=1 src1=1 src2=1
	v_mul_i32_i24_e32 v14 /*v270*/, v39 /*v295*/, v69 /*v325*/
	v_add3_u32 v0 /*v256*/, v30 /*v286*/, v0 /*v256*/, v5 /*v261*/
	s_set_vgpr_msb 0                        ;  msbs: dst=0 src0=0 src1=0 src2=0
	v_add3_u32 v64, v251, v64, v145
	s_set_vgpr_msb 4                        ;  msbs: dst=0 src0=0 src1=1 src2=0
	v_mul_i32_i24_e32 v145, v232, v46 /*v302*/
	v_mul_i32_i24_e32 v232, v243, v47 /*v303*/
	s_set_vgpr_msb 0x44                     ;  msbs: dst=1 src0=0 src1=1 src2=0
	v_mul_i32_i24_e32 v5 /*v261*/, v243, v52 /*v308*/
	s_set_vgpr_msb 17                       ;  msbs: dst=0 src0=1 src1=0 src2=1
	v_add3_u32 v227, v15 /*v271*/, v227, v14 /*v270*/
	s_set_vgpr_msb 0                        ;  msbs: dst=0 src0=0 src1=0 src2=0
	v_add3_u32 v193, v193, v184, v152
	s_set_vgpr_msb 1                        ;  msbs: dst=0 src0=1 src1=0 src2=0
	v_bfe_i32 v205, v67 /*v323*/, 16, 8
	s_set_vgpr_msb 0                        ;  msbs: dst=0 src0=0 src1=0 src2=0
	v_add3_u32 v145, v252, v145, v232
	v_bfe_u32 v232, v2, 8, 2
	s_set_vgpr_msb 17                       ;  msbs: dst=0 src0=1 src1=0 src2=1
	v_add3_u32 v235, v28 /*v284*/, v235, v5 /*v261*/
	s_set_vgpr_msb 0x41                     ;  msbs: dst=1 src0=1 src1=0 src2=0
	v_bfe_i32 v30 /*v286*/, v40 /*v296*/, 16, 8
	s_set_vgpr_msb 0                        ;  msbs: dst=0 src0=0 src1=0 src2=0
	v_mul_i32_i24_e32 v238, v193, v205
	v_mul_i32_i24_e32 v54, v133, v233
	;; [unrolled: 1-line block ×5, first 2 shown]
	s_set_vgpr_msb 5                        ;  msbs: dst=0 src0=1 src1=1 src2=0
	v_mad_i32_i24 v238, v22 /*v278*/, v90 /*v346*/, v238
	s_set_vgpr_msb 0                        ;  msbs: dst=0 src0=0 src1=0 src2=0
	v_add3_u32 v251, v253, v14, v15
	ds_load_2addr_b32 v[14:15], v221 offset0:6 offset1:7
	v_add3_u32 v137, v246, v137, v139
	s_wait_dscnt 0x0
	v_ashrrev_i32_e32 v221, s18, v14
	s_delay_alu instid0(VALU_DEP_1) | instskip(SKIP_1) | instid1(VALU_DEP_2)
	v_and_b32_e32 v14, 3, v221
	v_bfe_u32 v252, v221, 8, 2
	v_mul_i32_i24_e32 v141, v14, v141
	s_delay_alu instid0(VALU_DEP_2)
	v_mul_i32_i24_e32 v143, v252, v143
	v_mul_i32_i24_e32 v197, v14, v197
	;; [unrolled: 1-line block ×5, first 2 shown]
	v_add3_u32 v67, v67, v141, v143
	v_mul_i32_i24_e32 v141, v232, v191
	v_mul_i32_i24_e32 v143, v232, v209
	v_add3_u32 v196, v254, v197, v196
	s_set_vgpr_msb 1                        ;  msbs: dst=0 src0=1 src1=0 src2=0
	v_mul_i32_i24_e32 v197, v164 /*v420*/, v198
	s_set_vgpr_msb 0                        ;  msbs: dst=0 src0=0 src1=0 src2=0
	v_mul_i32_i24_e32 v198, v232, v199
	v_add3_u32 v65, v249, v65, v141
	s_set_vgpr_msb 1                        ;  msbs: dst=0 src0=1 src1=0 src2=0
	v_mul_i32_i24_e32 v141, v164 /*v420*/, v208
	s_set_vgpr_msb 0                        ;  msbs: dst=0 src0=0 src1=0 src2=0
	v_mul_i32_i24_e32 v191, v252, v207
	v_add3_u32 v139, v247, v139, v188
	v_add3_u32 v66, v66, v197, v198
	v_mul_i32_i24_e32 v197, v232, v212
	v_add3_u32 v141, v250, v141, v143
	v_mul_i32_i24_e32 v143, v14, v206
	v_mul_i32_i24_e32 v198, v252, v200
	v_mul_i32_i24_e32 v188, v14, v194
	v_mul_i32_i24_e32 v190, v252, v203
	v_mul_i32_i24_e32 v199, v232, v211
	s_set_vgpr_msb 1                        ;  msbs: dst=0 src0=1 src1=0 src2=0
	v_add3_u32 v143, v1 /*v257*/, v143, v191
	v_mul_i32_i24_e32 v191, v164 /*v420*/, v202
	s_set_vgpr_msb 4                        ;  msbs: dst=0 src0=0 src1=1 src2=0
	v_mul_i32_i24_e32 v194, v232, v7 /*v263*/
	s_set_vgpr_msb 1                        ;  msbs: dst=0 src0=1 src1=0 src2=0
	v_add3_u32 v188, v4 /*v260*/, v188, v190
	v_mul_i32_i24_e32 v190, v164 /*v420*/, v217
	s_set_vgpr_msb 0                        ;  msbs: dst=0 src0=0 src1=0 src2=0
	v_mul_i32_i24_e32 v200, v252, v214
	v_add3_u32 v191, v244, v191, v197
	v_mul_i32_i24_e32 v197, v14, v201
	s_set_vgpr_msb 1                        ;  msbs: dst=0 src0=1 src1=0 src2=0
	v_bfe_u32 v203, v29 /*v285*/, 24, 2
	v_add3_u32 v190, v11 /*v267*/, v190, v194
	s_set_vgpr_msb 0                        ;  msbs: dst=0 src0=0 src1=0 src2=0
	v_mul_i32_i24_e32 v194, v252, v248
	v_add3_u32 v197, v245, v197, v198
	s_set_vgpr_msb 1                        ;  msbs: dst=0 src0=1 src1=0 src2=0
	v_mul_i32_i24_e32 v198, v164 /*v420*/, v210
	s_set_vgpr_msb 0                        ;  msbs: dst=0 src0=0 src1=0 src2=0
	v_mul_i32_i24_e32 v207, v203, v119
	v_mul_i32_i24_e32 v246, v203, v142
	;; [unrolled: 1-line block ×3, first 2 shown]
	s_set_vgpr_msb 64                       ;  msbs: dst=1 src0=0 src1=0 src2=0
	v_mul_i32_i24_e32 v7 /*v263*/, v203, v178
	s_set_vgpr_msb 1                        ;  msbs: dst=0 src0=1 src1=0 src2=0
	v_add3_u32 v198, v2 /*v258*/, v198, v199
	s_set_vgpr_msb 0                        ;  msbs: dst=0 src0=0 src1=0 src2=0
	v_mul_i32_i24_e32 v199, v14, v213
	v_mul_i32_i24_e32 v14, v14, v220
	;; [unrolled: 1-line block ×3, first 2 shown]
	s_set_vgpr_msb 64                       ;  msbs: dst=1 src0=0 src1=0 src2=0
	v_mul_i32_i24_e32 v14 /*v270*/, v203, v130
	s_set_vgpr_msb 1                        ;  msbs: dst=0 src0=1 src1=0 src2=0
	v_add3_u32 v199, v3 /*v259*/, v199, v200
	v_add3_u32 v194, v12 /*v268*/, v14, v194
	v_bfe_u32 v14, v24 /*v280*/, 16, 2
	v_bfe_u32 v200, v24 /*v280*/, 24, 2
	s_set_vgpr_msb 0                        ;  msbs: dst=0 src0=0 src1=0 src2=0
	s_delay_alu instid0(VALU_DEP_2) | instskip(NEXT) | instid1(VALU_DEP_2)
	v_mul_i32_i24_e32 v201, v14, v117
	v_mul_i32_i24_e32 v202, v200, v119
	;; [unrolled: 1-line block ×5, first 2 shown]
	s_set_vgpr_msb 64                       ;  msbs: dst=1 src0=0 src1=0 src2=0
	v_mul_i32_i24_e32 v4 /*v260*/, v200, v178
	s_set_vgpr_msb 1                        ;  msbs: dst=0 src0=1 src1=0 src2=0
	v_add3_u32 v201, v35 /*v291*/, v201, v202
	v_bfe_u32 v202, v29 /*v285*/, 16, 2
	s_set_vgpr_msb 64                       ;  msbs: dst=1 src0=0 src1=0 src2=0
	v_mul_i32_i24_e32 v13 /*v269*/, v200, v130
	v_mul_i32_i24_e32 v25 /*v281*/, v200, v128
	s_set_vgpr_msb 0                        ;  msbs: dst=0 src0=0 src1=0 src2=0
	v_mul_i32_i24_e32 v200, v200, v181
	v_mul_i32_i24_e32 v206, v202, v117
	s_set_vgpr_msb 1                        ;  msbs: dst=0 src0=1 src1=0 src2=0
	s_delay_alu instid0(VALU_DEP_1) | instskip(SKIP_3) | instid1(VALU_DEP_2)
	v_add3_u32 v206, v45 /*v301*/, v206, v207
	s_set_vgpr_msb 0                        ;  msbs: dst=0 src0=0 src1=0 src2=0
	v_bfe_u32 v207, v10, 16, 2
	v_bfe_u32 v10, v10, 24, 2
	v_mul_i32_i24_e32 v208, v207, v117
	s_delay_alu instid0(VALU_DEP_2)
	v_mul_i32_i24_e32 v209, v10, v119
	v_mul_i32_i24_e32 v220, v10, v126
	;; [unrolled: 1-line block ×4, first 2 shown]
	s_set_vgpr_msb 64                       ;  msbs: dst=1 src0=0 src1=0 src2=0
	v_mul_i32_i24_e32 v11 /*v267*/, v10, v178
	s_set_vgpr_msb 1                        ;  msbs: dst=0 src0=1 src1=0 src2=0
	v_add3_u32 v208, v49 /*v305*/, v208, v209
	s_set_vgpr_msb 0                        ;  msbs: dst=0 src0=0 src1=0 src2=0
	v_mul_i32_i24_e32 v209, v14, v125
	s_set_vgpr_msb 64                       ;  msbs: dst=1 src0=0 src1=0 src2=0
	v_mul_i32_i24_e32 v22 /*v278*/, v10, v130
	v_mul_i32_i24_e32 v28 /*v284*/, v10, v181
	s_set_vgpr_msb 0                        ;  msbs: dst=0 src0=0 src1=0 src2=0
	v_mul_i32_i24_e32 v10, v10, v128
	s_set_vgpr_msb 1                        ;  msbs: dst=0 src0=1 src1=0 src2=0
	v_add3_u32 v209, v55 /*v311*/, v209, v210
	s_set_vgpr_msb 0                        ;  msbs: dst=0 src0=0 src1=0 src2=0
	v_bfe_u32 v210, v0, 16, 2
	v_bfe_u32 v0, v0, 24, 2
	s_delay_alu instid0(VALU_DEP_2) | instskip(NEXT) | instid1(VALU_DEP_2)
	v_mul_i32_i24_e32 v211, v210, v131
	v_mul_i32_i24_e32 v212, v0, v132
	;; [unrolled: 1-line block ×3, first 2 shown]
	s_set_vgpr_msb 64                       ;  msbs: dst=1 src0=0 src1=0 src2=0
	v_mul_i32_i24_e32 v1 /*v257*/, v0, v170
	v_mul_i32_i24_e32 v5 /*v261*/, v0, v180
	;; [unrolled: 1-line block ×3, first 2 shown]
	s_set_vgpr_msb 1                        ;  msbs: dst=0 src0=1 src1=0 src2=0
	v_add3_u32 v211, v56 /*v312*/, v211, v212
	s_set_vgpr_msb 0                        ;  msbs: dst=0 src0=0 src1=0 src2=0
	v_mul_i32_i24_e32 v212, v202, v125
	s_set_vgpr_msb 64                       ;  msbs: dst=1 src0=0 src1=0 src2=0
	v_mul_i32_i24_e32 v21 /*v277*/, v0, v146
	v_mul_i32_i24_e32 v27 /*v283*/, v0, v122
	s_set_vgpr_msb 0                        ;  msbs: dst=0 src0=0 src1=0 src2=0
	v_mul_i32_i24_e32 v0, v0, v183
	s_set_vgpr_msb 1                        ;  msbs: dst=0 src0=1 src1=0 src2=0
	v_add3_u32 v212, v57 /*v313*/, v212, v213
	s_set_vgpr_msb 0                        ;  msbs: dst=0 src0=0 src1=0 src2=0
	v_bfe_u32 v213, v12, 16, 2
	v_bfe_u32 v12, v12, 24, 2
	s_delay_alu instid0(VALU_DEP_2) | instskip(NEXT) | instid1(VALU_DEP_2)
	v_mul_i32_i24_e32 v214, v213, v131
	v_mul_i32_i24_e32 v217, v12, v132
	;; [unrolled: 1-line block ×3, first 2 shown]
	s_set_vgpr_msb 64                       ;  msbs: dst=1 src0=0 src1=0 src2=0
	v_mul_i32_i24_e32 v2 /*v258*/, v12, v170
	v_mul_i32_i24_e32 v8 /*v264*/, v12, v180
	;; [unrolled: 1-line block ×3, first 2 shown]
	s_set_vgpr_msb 1                        ;  msbs: dst=0 src0=1 src1=0 src2=0
	v_add3_u32 v214, v58 /*v314*/, v214, v217
	s_set_vgpr_msb 0                        ;  msbs: dst=0 src0=0 src1=0 src2=0
	v_mul_i32_i24_e32 v217, v207, v125
	s_set_vgpr_msb 64                       ;  msbs: dst=1 src0=0 src1=0 src2=0
	v_mul_i32_i24_e32 v20 /*v276*/, v12, v146
	s_set_vgpr_msb 1                        ;  msbs: dst=0 src0=1 src1=0 src2=0
	s_delay_alu instid0(VALU_DEP_2) | instskip(SKIP_3) | instid1(VALU_DEP_2)
	v_add3_u32 v217, v59 /*v315*/, v217, v220
	s_set_vgpr_msb 0                        ;  msbs: dst=0 src0=0 src1=0 src2=0
	v_bfe_u32 v220, v4, 16, 2
	v_bfe_u32 v4, v4, 24, 2
	v_mul_i32_i24_e32 v232, v220, v131
	s_delay_alu instid0(VALU_DEP_2)
	v_mul_i32_i24_e32 v244, v4, v132
	v_mul_i32_i24_e32 v254, v4, v123
	s_set_vgpr_msb 64                       ;  msbs: dst=1 src0=0 src1=0 src2=0
	v_mul_i32_i24_e32 v3 /*v259*/, v4, v170
	v_mul_i32_i24_e32 v12 /*v268*/, v4, v180
	;; [unrolled: 1-line block ×3, first 2 shown]
	s_set_vgpr_msb 1                        ;  msbs: dst=0 src0=1 src1=0 src2=0
	v_add3_u32 v232, v66 /*v322*/, v232, v244
	s_set_vgpr_msb 0                        ;  msbs: dst=0 src0=0 src1=0 src2=0
	v_mul_i32_i24_e32 v244, v14, v140
	s_set_vgpr_msb 64                       ;  msbs: dst=1 src0=0 src1=0 src2=0
	v_mul_i32_i24_e32 v24 /*v280*/, v4, v146
	s_set_vgpr_msb 1                        ;  msbs: dst=0 src0=1 src1=0 src2=0
	s_delay_alu instid0(VALU_DEP_2) | instskip(SKIP_3) | instid1(VALU_DEP_1)
	v_add3_u32 v244, v71 /*v327*/, v244, v245
	s_set_vgpr_msb 0                        ;  msbs: dst=0 src0=0 src1=0 src2=0
	v_mul_i32_i24_e32 v245, v202, v140
	s_set_vgpr_msb 1                        ;  msbs: dst=0 src0=1 src1=0 src2=0
	v_add3_u32 v245, v72 /*v328*/, v245, v246
	s_set_vgpr_msb 0                        ;  msbs: dst=0 src0=0 src1=0 src2=0
	v_mul_i32_i24_e32 v246, v207, v140
	s_set_vgpr_msb 1                        ;  msbs: dst=0 src0=1 src1=0 src2=0
	s_delay_alu instid0(VALU_DEP_1) | instskip(SKIP_3) | instid1(VALU_DEP_1)
	v_add3_u32 v246, v73 /*v329*/, v246, v247
	s_set_vgpr_msb 0                        ;  msbs: dst=0 src0=0 src1=0 src2=0
	v_mul_i32_i24_e32 v247, v14, v175
	s_set_vgpr_msb 1                        ;  msbs: dst=0 src0=1 src1=0 src2=0
	v_add3_u32 v247, v74 /*v330*/, v247, v248
	s_set_vgpr_msb 0                        ;  msbs: dst=0 src0=0 src1=0 src2=0
	v_mul_i32_i24_e32 v248, v202, v175
	s_set_vgpr_msb 1                        ;  msbs: dst=0 src0=1 src1=0 src2=0
	s_delay_alu instid0(VALU_DEP_1) | instskip(SKIP_3) | instid1(VALU_DEP_1)
	;; [unrolled: 9-line block ×4, first 2 shown]
	v_add3_u32 v253, v54 /*v310*/, v253, v254
	s_set_vgpr_msb 0                        ;  msbs: dst=0 src0=0 src1=0 src2=0
	v_mul_i32_i24_e32 v254, v210, v169
	s_set_vgpr_msb 17                       ;  msbs: dst=0 src0=1 src1=0 src2=1
	v_add3_u32 v254, v81 /*v337*/, v254, v1 /*v257*/
	s_set_vgpr_msb 64                       ;  msbs: dst=1 src0=0 src1=0 src2=0
	v_mul_i32_i24_e32 v1 /*v257*/, v213, v169
	s_set_vgpr_msb 0x55                     ;  msbs: dst=1 src0=1 src1=1 src2=1
	s_delay_alu instid0(VALU_DEP_1) | instskip(SKIP_3) | instid1(VALU_DEP_1)
	v_add3_u32 v1 /*v257*/, v82 /*v338*/, v1 /*v257*/, v2 /*v258*/
	s_set_vgpr_msb 64                       ;  msbs: dst=1 src0=0 src1=0 src2=0
	v_mul_i32_i24_e32 v2 /*v258*/, v220, v169
	s_set_vgpr_msb 0x55                     ;  msbs: dst=1 src0=1 src1=1 src2=1
	v_add3_u32 v2 /*v258*/, v85 /*v341*/, v2 /*v258*/, v3 /*v259*/
	s_set_vgpr_msb 64                       ;  msbs: dst=1 src0=0 src1=0 src2=0
	v_mul_i32_i24_e32 v3 /*v259*/, v14, v177
	s_set_vgpr_msb 0x55                     ;  msbs: dst=1 src0=1 src1=1 src2=1
	s_delay_alu instid0(VALU_DEP_1) | instskip(SKIP_3) | instid1(VALU_DEP_1)
	v_add3_u32 v3 /*v259*/, v87 /*v343*/, v3 /*v259*/, v4 /*v260*/
	s_set_vgpr_msb 64                       ;  msbs: dst=1 src0=0 src1=0 src2=0
	v_mul_i32_i24_e32 v4 /*v260*/, v210, v179
	s_set_vgpr_msb 0x55                     ;  msbs: dst=1 src0=1 src1=1 src2=1
	v_add3_u32 v4 /*v260*/, v88 /*v344*/, v4 /*v260*/, v5 /*v261*/
	;; [unrolled: 9-line block ×8, first 2 shown]
	s_set_vgpr_msb 64                       ;  msbs: dst=1 src0=0 src1=0 src2=0
	v_mul_i32_i24_e32 v22 /*v278*/, v220, v144
	s_set_vgpr_msb 0x55                     ;  msbs: dst=1 src0=1 src1=1 src2=1
	s_delay_alu instid0(VALU_DEP_1)
	v_add3_u32 v22 /*v278*/, v104 /*v360*/, v22 /*v278*/, v24 /*v280*/
	s_set_vgpr_msb 64                       ;  msbs: dst=1 src0=0 src1=0 src2=0
	v_mul_i32_i24_e32 v24 /*v280*/, v14, v127
	s_set_vgpr_msb 0                        ;  msbs: dst=0 src0=0 src1=0 src2=0
	v_mul_i32_i24_e32 v14, v14, v182
	s_set_vgpr_msb 0x55                     ;  msbs: dst=1 src0=1 src1=1 src2=1
	s_delay_alu instid0(VALU_DEP_2)
	v_add3_u32 v24 /*v280*/, v105 /*v361*/, v24 /*v280*/, v25 /*v281*/
	s_set_vgpr_msb 64                       ;  msbs: dst=1 src0=0 src1=0 src2=0
	v_mul_i32_i24_e32 v25 /*v281*/, v210, v124
	s_set_vgpr_msb 1                        ;  msbs: dst=0 src0=1 src1=0 src2=0
	v_add3_u32 v200, v31 /*v287*/, v14, v200
	s_set_vgpr_msb 0                        ;  msbs: dst=0 src0=0 src1=0 src2=0
	v_mul_i32_i24_e32 v14, v202, v182
	s_set_vgpr_msb 0x55                     ;  msbs: dst=1 src0=1 src1=1 src2=1
	v_add3_u32 v25 /*v281*/, v106 /*v362*/, v25 /*v281*/, v27 /*v283*/
	s_set_vgpr_msb 64                       ;  msbs: dst=1 src0=0 src1=0 src2=0
	v_mul_i32_i24_e32 v27 /*v283*/, v203, v181
	s_set_vgpr_msb 0x51                     ;  msbs: dst=1 src0=1 src1=0 src2=1
	s_delay_alu instid0(VALU_DEP_1) | instskip(SKIP_3) | instid1(VALU_DEP_1)
	v_add3_u32 v27 /*v283*/, v61 /*v317*/, v14, v27 /*v283*/
	s_set_vgpr_msb 0                        ;  msbs: dst=0 src0=0 src1=0 src2=0
	v_mul_i32_i24_e32 v14, v207, v182
	s_set_vgpr_msb 0x51                     ;  msbs: dst=1 src0=1 src1=0 src2=1
	v_add3_u32 v28 /*v284*/, v62 /*v318*/, v14, v28 /*v284*/
	s_set_vgpr_msb 0                        ;  msbs: dst=0 src0=0 src1=0 src2=0
	v_mul_i32_i24_e32 v14, v202, v127
	v_mul_i32_i24_e32 v202, v203, v128
	;; [unrolled: 1-line block ×4, first 2 shown]
	s_set_vgpr_msb 1                        ;  msbs: dst=0 src0=1 src1=0 src2=0
	s_delay_alu instid0(VALU_DEP_3) | instskip(SKIP_3) | instid1(VALU_DEP_1)
	v_add3_u32 v202, v43 /*v299*/, v14, v202
	s_set_vgpr_msb 0                        ;  msbs: dst=0 src0=0 src1=0 src2=0
	v_mul_i32_i24_e32 v14, v213, v124
	s_set_vgpr_msb 1                        ;  msbs: dst=0 src0=1 src1=0 src2=0
	v_add3_u32 v203, v63 /*v319*/, v14, v203
	s_set_vgpr_msb 0                        ;  msbs: dst=0 src0=0 src1=0 src2=0
	v_mul_i32_i24_e32 v14, v207, v127
	s_set_vgpr_msb 1                        ;  msbs: dst=0 src0=1 src1=0 src2=0
	s_delay_alu instid0(VALU_DEP_1)
	v_add3_u32 v207, v51 /*v307*/, v14, v10
	s_set_vgpr_msb 0                        ;  msbs: dst=0 src0=0 src1=0 src2=0
	v_mul_i32_i24_e32 v10, v220, v124
	v_mul_i32_i24_e32 v14, v4, v122
	;; [unrolled: 1-line block ×3, first 2 shown]
	s_set_vgpr_msb 0x41                     ;  msbs: dst=1 src0=1 src1=0 src2=0
	s_delay_alu instid0(VALU_DEP_2) | instskip(SKIP_4) | instid1(VALU_DEP_2)
	v_add3_u32 v29 /*v285*/, v64 /*v320*/, v10, v14
	s_set_vgpr_msb 0                        ;  msbs: dst=0 src0=0 src1=0 src2=0
	v_mul_i32_i24_e32 v10, v210, v184
	v_add_nc_u32_e32 v14, v160, v159
	s_set_vgpr_msb 1                        ;  msbs: dst=0 src0=1 src1=0 src2=0
	v_add3_u32 v0, v38 /*v294*/, v10, v0
	s_set_vgpr_msb 0                        ;  msbs: dst=0 src0=0 src1=0 src2=0
	v_mul_i32_i24_e32 v10, v213, v184
	v_lshrrev_b32_e32 v213, 24, v228
	s_set_vgpr_msb 1                        ;  msbs: dst=0 src0=1 src1=0 src2=0
	s_delay_alu instid0(VALU_DEP_2)
	v_add3_u32 v210, v36 /*v292*/, v10, v12
	s_set_vgpr_msb 0                        ;  msbs: dst=0 src0=0 src1=0 src2=0
	v_mul_i32_i24_e32 v10, v220, v184
	v_add_nc_u32_e32 v12, v168, v167
	v_bfe_i32 v220, v228, 16, 8
	s_set_vgpr_msb 1                        ;  msbs: dst=0 src0=1 src1=0 src2=0
	s_delay_alu instid0(VALU_DEP_3)
	v_add3_u32 v4, v37 /*v293*/, v10, v4
	s_set_vgpr_msb 0                        ;  msbs: dst=0 src0=0 src1=0 src2=0
	v_add_nc_u32_e32 v10, v186, v185
	v_add3_u32 v168, v12, v144, v40
	v_lshrrev_b32_e32 v185, 24, v234
	v_bfe_i32 v186, v234, 16, 8
	s_delay_alu instid0(VALU_DEP_4) | instskip(NEXT) | instid1(VALU_DEP_2)
	v_add3_u32 v167, v10, v146, v42
	v_mul_i32_i24_e32 v12, v168, v186
	s_delay_alu instid0(VALU_DEP_2) | instskip(SKIP_1) | instid1(VALU_DEP_1)
	v_mul_i32_i24_e32 v10, v167, v185
	s_set_vgpr_msb 1                        ;  msbs: dst=0 src0=1 src1=0 src2=0
	v_add3_u32 v10, v26 /*v282*/, v12, v10
	s_set_vgpr_msb 0                        ;  msbs: dst=0 src0=0 src1=0 src2=0
	v_add_nc_u32_e32 v12, v166, v165
	v_add3_u32 v166, v14, v135, v43
	s_set_vgpr_msb 0x44                     ;  msbs: dst=1 src0=0 src1=1 src2=0
	v_lshrrev_b32_e32 v26 /*v282*/, 24, v40 /*v296*/
	s_set_vgpr_msb 0                        ;  msbs: dst=0 src0=0 src1=0 src2=0
	v_add3_u32 v165, v12, v136, v44
	v_mul_i32_i24_e32 v14, v166, v220
	s_delay_alu instid0(VALU_DEP_2) | instskip(SKIP_1) | instid1(VALU_DEP_1)
	v_mul_i32_i24_e32 v12, v165, v213
	s_set_vgpr_msb 1                        ;  msbs: dst=0 src0=1 src1=0 src2=0
	v_add3_u32 v159, v32 /*v288*/, v14, v12
	s_set_vgpr_msb 0                        ;  msbs: dst=0 src0=0 src1=0 src2=0
	v_dual_add_nc_u32 v12, v157, v155 :: v_dual_add_nc_u32 v14, v158, v156
	s_set_vgpr_msb 4                        ;  msbs: dst=0 src0=0 src1=1 src2=0
	v_mul_i32_i24_e32 v155, v166, v30 /*v286*/
	s_set_vgpr_msb 0                        ;  msbs: dst=0 src0=0 src1=0 src2=0
	s_delay_alu instid0(VALU_DEP_2) | instskip(SKIP_2) | instid1(VALU_DEP_2)
	v_add3_u32 v228, v12, v131, v32
	v_add3_u32 v234, v14, v132, v33
	s_set_vgpr_msb 4                        ;  msbs: dst=0 src0=0 src1=1 src2=0
	v_mul_i32_i24_e32 v14, v228, v30 /*v286*/
	s_delay_alu instid0(VALU_DEP_2) | instskip(SKIP_1) | instid1(VALU_DEP_1)
	v_mul_i32_i24_e32 v12, v234, v26 /*v282*/
	s_set_vgpr_msb 1                        ;  msbs: dst=0 src0=1 src1=0 src2=0
	v_add3_u32 v14, v34 /*v290*/, v14, v12
	s_set_vgpr_msb 4                        ;  msbs: dst=0 src0=0 src1=1 src2=0
	v_mul_i32_i24_e32 v12, v165, v26 /*v282*/
	s_delay_alu instid0(VALU_DEP_2) | instskip(SKIP_1) | instid1(VALU_DEP_2)
	v_cvt_f32_i32_e32 v14, v14
	s_set_vgpr_msb 1                        ;  msbs: dst=0 src0=1 src1=0 src2=0
	v_add3_u32 v157, v65 /*v321*/, v155, v12
	s_set_vgpr_msb 0                        ;  msbs: dst=0 src0=0 src1=0 src2=0
	v_mul_i32_i24_e32 v12, v228, v186
	v_mul_i32_i24_e32 v155, v234, v185
	s_delay_alu instid0(VALU_DEP_1) | instskip(SKIP_1) | instid1(VALU_DEP_1)
	v_add3_u32 v155, v218, v12, v155
	v_dual_add_nc_u32 v12, v53, v41 :: v_dual_add_nc_u32 v41, v138, v52
	v_add3_u32 v138, v12, v59, v24
	s_delay_alu instid0(VALU_DEP_2) | instskip(NEXT) | instid1(VALU_DEP_2)
	v_add3_u32 v218, v41, v123, v25
	v_mul_i32_i24_e32 v12, v138, v186
	s_delay_alu instid0(VALU_DEP_2) | instskip(SKIP_2) | instid1(VALU_DEP_2)
	v_mul_i32_i24_e32 v41, v218, v185
	v_mul_i32_i24_e32 v52, v218, v213
	s_set_vgpr_msb 1                        ;  msbs: dst=0 src0=1 src1=0 src2=0
	v_add3_u32 v160, v9 /*v265*/, v12, v41
	s_set_vgpr_msb 0                        ;  msbs: dst=0 src0=0 src1=0 src2=0
	v_mul_i32_i24_e32 v12, v228, v220
	v_mul_i32_i24_e32 v41, v234, v213
	s_set_vgpr_msb 1                        ;  msbs: dst=0 src0=1 src1=0 src2=0
	s_delay_alu instid0(VALU_DEP_1) | instskip(SKIP_2) | instid1(VALU_DEP_1)
	v_add3_u32 v12, v19 /*v275*/, v12, v41
	s_set_vgpr_msb 0                        ;  msbs: dst=0 src0=0 src1=0 src2=0
	v_mul_i32_i24_e32 v41, v138, v220
	v_add3_u32 v41, v219, v41, v52
	v_add_nc_u32_e32 v52, v164, v162
	s_delay_alu instid0(VALU_DEP_1) | instskip(SKIP_2) | instid1(VALU_DEP_2)
	v_add3_u32 v164, v52, v169, v56
	s_set_vgpr_msb 4                        ;  msbs: dst=0 src0=0 src1=1 src2=0
	v_mul_i32_i24_e32 v52, v222, v53 /*v309*/
	v_mul_i32_i24_e32 v53, v164, v30 /*v286*/
	s_set_vgpr_msb 0                        ;  msbs: dst=0 src0=0 src1=0 src2=0
	s_delay_alu instid0(VALU_DEP_1) | instskip(SKIP_2) | instid1(VALU_DEP_2)
	v_add3_u32 v219, v225, v52, v53
	v_add_nc_u32_e32 v52, v163, v161
	v_mul_i32_i24_e32 v53, v164, v186
	v_add3_u32 v225, v52, v170, v57
	s_delay_alu instid0(VALU_DEP_1) | instskip(NEXT) | instid1(VALU_DEP_1)
	v_mul_i32_i24_e32 v52, v225, v185
	v_add3_u32 v156, v223, v53, v52
	v_mul_i32_i24_e32 v52, v165, v185
	v_mul_i32_i24_e32 v53, v166, v186
	;; [unrolled: 1-line block ×4, first 2 shown]
	s_set_vgpr_msb 1                        ;  msbs: dst=0 src0=1 src1=0 src2=0
	s_delay_alu instid0(VALU_DEP_3)
	v_add3_u32 v161, v33 /*v289*/, v53, v52
	s_set_vgpr_msb 4                        ;  msbs: dst=0 src0=0 src1=1 src2=0
	v_mul_i32_i24_e32 v52, v222, v47 /*v303*/
	s_set_vgpr_msb 0                        ;  msbs: dst=0 src0=0 src1=0 src2=0
	v_mul_i32_i24_e32 v53, v164, v220
	v_mul_i32_i24_e32 v164, v164, v205
	s_set_vgpr_msb 1                        ;  msbs: dst=0 src0=1 src1=0 src2=0
	s_delay_alu instid0(VALU_DEP_2)
	v_add3_u32 v222, v10 /*v266*/, v52, v53
	s_set_vgpr_msb 0                        ;  msbs: dst=0 src0=0 src1=0 src2=0
	v_add_nc_u32_e32 v52, v195, v189
	s_set_vgpr_msb 4                        ;  msbs: dst=0 src0=0 src1=1 src2=0
	v_mul_i32_i24_e32 v53, v239, v52 /*v308*/
	s_set_vgpr_msb 0                        ;  msbs: dst=0 src0=0 src1=0 src2=0
	v_mul_i32_i24_e32 v195, v218, v233
	v_add3_u32 v163, v52, v179, v63
	s_delay_alu instid0(VALU_DEP_1) | instskip(NEXT) | instid1(VALU_DEP_1)
	v_mul_i32_i24_e32 v52, v163, v186
	v_add3_u32 v189, v241, v53, v52
	v_add_nc_u32_e32 v52, v192, v187
	s_delay_alu instid0(VALU_DEP_1) | instskip(SKIP_2) | instid1(VALU_DEP_2)
	v_add3_u32 v187, v52, v180, v148
	s_set_vgpr_msb 4                        ;  msbs: dst=0 src0=0 src1=1 src2=0
	v_mul_i32_i24_e32 v52, v163, v30 /*v286*/
	v_mul_i32_i24_e32 v53, v187, v26 /*v282*/
	s_set_vgpr_msb 0                        ;  msbs: dst=0 src0=0 src1=0 src2=0
	v_mul_i32_i24_e32 v192, v187, v213
	s_set_vgpr_msb 1                        ;  msbs: dst=0 src0=1 src1=0 src2=0
	s_delay_alu instid0(VALU_DEP_2) | instskip(SKIP_4) | instid1(VALU_DEP_1)
	v_add3_u32 v158, v50 /*v306*/, v52, v53
	s_set_vgpr_msb 4                        ;  msbs: dst=0 src0=0 src1=1 src2=0
	v_mul_i32_i24_e32 v52, v168, v30 /*v286*/
	v_mul_i32_i24_e32 v53, v167, v26 /*v282*/
	s_set_vgpr_msb 1                        ;  msbs: dst=0 src0=1 src1=0 src2=0
	v_add3_u32 v162, v44 /*v300*/, v52, v53
	s_set_vgpr_msb 0                        ;  msbs: dst=0 src0=0 src1=0 src2=0
	v_mul_i32_i24_e32 v52, v168, v220
	v_mul_i32_i24_e32 v53, v167, v213
	s_set_vgpr_msb 1                        ;  msbs: dst=0 src0=1 src1=0 src2=0
	s_delay_alu instid0(VALU_DEP_1) | instskip(SKIP_3) | instid1(VALU_DEP_2)
	v_add3_u32 v52, v18 /*v274*/, v52, v53
	s_set_vgpr_msb 0                        ;  msbs: dst=0 src0=0 src1=0 src2=0
	v_mul_i32_i24_e32 v53, v163, v220
	v_mul_i32_i24_e32 v163, v163, v205
	v_add3_u32 v53, v242, v53, v192
	v_mul_i32_i24_e32 v192, v138, v205
	s_delay_alu instid0(VALU_DEP_1) | instskip(SKIP_2) | instid1(VALU_DEP_1)
	v_add3_u32 v192, v216, v192, v195
	v_mul_i32_i24_e32 v195, v228, v205
	v_mul_i32_i24_e32 v216, v234, v233
	v_add3_u32 v195, v215, v195, v216
	v_add3_u32 v215, v227, v166, v165
	v_mul_i32_i24_e32 v165, v225, v233
	s_delay_alu instid0(VALU_DEP_1) | instskip(SKIP_2) | instid1(VALU_DEP_1)
	v_add3_u32 v216, v224, v164, v165
	v_mul_i32_i24_e32 v164, v187, v233
	s_set_vgpr_msb 64                       ;  msbs: dst=1 src0=0 src1=0 src2=0
	v_add3_u32 v18 /*v274*/, v231, v163, v164
	s_set_vgpr_msb 0                        ;  msbs: dst=0 src0=0 src1=0 src2=0
	v_mul_i32_i24_e32 v163, v168, v205
	v_mul_i32_i24_e32 v164, v167, v233
	s_set_vgpr_msb 64                       ;  msbs: dst=1 src0=0 src1=0 src2=0
	s_delay_alu instid0(VALU_DEP_1)
	v_add3_u32 v19 /*v275*/, v230, v163, v164
	s_set_vgpr_msb 0                        ;  msbs: dst=0 src0=0 src1=0 src2=0
	v_add3_u32 v163, v147, v134, v54
	s_set_vgpr_msb 4                        ;  msbs: dst=0 src0=0 src1=1 src2=0
	v_mul_i32_i24_e32 v54, v218, v26 /*v282*/
	v_mul_i32_i24_e32 v134, v138, v30 /*v286*/
	;; [unrolled: 1-line block ×3, first 2 shown]
	s_set_vgpr_msb 0                        ;  msbs: dst=0 src0=0 src1=0 src2=0
	s_delay_alu instid0(VALU_DEP_2)
	v_add3_u32 v164, v204, v134, v54
	s_set_vgpr_msb 5                        ;  msbs: dst=0 src0=1 src1=1 src2=0
	v_mul_i32_i24_e32 v54, v6 /*v262*/, v95 /*v351*/
	s_set_vgpr_msb 4                        ;  msbs: dst=0 src0=0 src1=1 src2=0
	v_mul_i32_i24_e32 v134, v243, v69 /*v325*/
	s_set_vgpr_msb 0                        ;  msbs: dst=0 src0=0 src1=0 src2=0
	s_delay_alu instid0(VALU_DEP_1) | instskip(SKIP_3) | instid1(VALU_DEP_1)
	v_add3_u32 v134, v54, v134, v237
	s_set_vgpr_msb 4                        ;  msbs: dst=0 src0=0 src1=1 src2=0
	v_mul_i32_i24_e32 v54, v193, v30 /*v286*/
	s_set_vgpr_msb 0                        ;  msbs: dst=0 src0=0 src1=0 src2=0
	v_add3_u32 v165, v255, v54, v138
	s_set_vgpr_msb 4                        ;  msbs: dst=0 src0=0 src1=1 src2=0
	v_mul_i32_i24_e32 v54, v55, v30 /*v286*/
	v_mul_i32_i24_e32 v138, v133, v26 /*v282*/
	s_set_vgpr_msb 0                        ;  msbs: dst=0 src0=0 src1=0 src2=0
	s_delay_alu instid0(VALU_DEP_1) | instskip(SKIP_2) | instid1(VALU_DEP_1)
	v_add3_u32 v166, v240, v54, v138
	v_mul_i32_i24_e32 v54, v193, v186
	v_mul_i32_i24_e32 v138, v229, v185
	v_add3_u32 v167, v235, v54, v138
	v_mul_i32_i24_e32 v54, v55, v186
	v_mul_i32_i24_e32 v138, v133, v185
	;; [unrolled: 1-line block ×4, first 2 shown]
	s_set_vgpr_msb 1                        ;  msbs: dst=0 src0=1 src1=0 src2=0
	s_delay_alu instid0(VALU_DEP_3)
	v_add3_u32 v168, v0 /*v256*/, v54, v138
	s_set_vgpr_msb 0                        ;  msbs: dst=0 src0=0 src1=0 src2=0
	v_mul_i32_i24_e32 v54, v229, v213
	v_add3_u32 v55, v64, v55, v133
	v_bfe_u32 v64, v2, 16, 2
	v_bfe_u32 v2, v2, 24, 2
	v_mul_i32_i24_e32 v138, v193, v220
	v_dual_ashrrev_i32 v220, s18, v15 :: v_dual_ashrrev_i32 v1, s18, v1
	s_delay_alu instid0(VALU_DEP_4) | instskip(NEXT) | instid1(VALU_DEP_4)
	v_mul_i32_i24_e32 v117, v64, v117
	v_mul_i32_i24_e32 v119, v2, v119
	s_delay_alu instid0(VALU_DEP_4) | instskip(SKIP_2) | instid1(VALU_DEP_4)
	v_add3_u32 v54, v145, v138, v54
	v_bfe_u32 v138, v13, 8, 2
	v_and_b32_e32 v15, 3, v220
	v_add3_u32 v117, v251, v117, v119
	v_mul_i32_i24_e32 v119, v64, v125
	v_mul_i32_i24_e32 v125, v2, v126
	s_delay_alu instid0(VALU_DEP_1) | instskip(SKIP_2) | instid1(VALU_DEP_2)
	v_add3_u32 v66, v66, v119, v125
	v_bfe_u32 v119, v221, 16, 2
	v_bfe_u32 v125, v221, 24, 2
	v_mul_i32_i24_e32 v59, v119, v59
	s_delay_alu instid0(VALU_DEP_2)
	v_mul_i32_i24_e32 v123, v125, v123
	v_mul_i32_i24_e32 v126, v119, v131
	;; [unrolled: 1-line block ×5, first 2 shown]
	v_add3_u32 v123, v196, v59, v123
	v_mul_i32_i24_e32 v59, v64, v127
	v_mul_i32_i24_e32 v127, v2, v128
	v_add3_u32 v67, v67, v126, v131
	v_mul_i32_i24_e32 v126, v64, v140
	v_mul_i32_i24_e32 v131, v2, v142
	;; [unrolled: 1-line block ×3, first 2 shown]
	v_add3_u32 v127, v191, v59, v127
	v_mul_i32_i24_e32 v59, v119, v124
	v_mul_i32_i24_e32 v124, v125, v170
	v_add3_u32 v65, v65, v126, v131
	v_mul_i32_i24_e32 v126, v64, v175
	v_mul_i32_i24_e32 v131, v2, v176
	;; [unrolled: 3-line block ×3, first 2 shown]
	v_bfe_u32 v146, v5, 8, 2
	v_add3_u32 v126, v141, v126, v131
	v_mul_i32_i24_e32 v131, v125, v180
	v_add3_u32 v124, v143, v59, v124
	v_mul_i32_i24_e32 v59, v64, v177
	v_bfe_u32 v141, v3, 8, 2
	v_mul_i32_i24_e32 v169, v146, v104
	s_delay_alu instid0(VALU_DEP_3) | instskip(SKIP_1) | instid1(VALU_DEP_4)
	v_add3_u32 v128, v198, v59, v128
	v_mul_i32_i24_e32 v59, v119, v179
	v_mul_i32_i24_e32 v143, v141, v46
	;; [unrolled: 1-line block ×3, first 2 shown]
	s_delay_alu instid0(VALU_DEP_3) | instskip(SKIP_4) | instid1(VALU_DEP_3)
	v_add3_u32 v131, v199, v59, v131
	v_mul_i32_i24_e32 v59, v64, v129
	v_mul_i32_i24_e32 v129, v2, v130
	;; [unrolled: 1-line block ×4, first 2 shown]
	v_add3_u32 v129, v137, v59, v129
	v_mul_i32_i24_e32 v59, v119, v135
	s_delay_alu instid0(VALU_DEP_1) | instskip(SKIP_2) | instid1(VALU_DEP_2)
	v_add3_u32 v130, v139, v59, v130
	v_mul_i32_i24_e32 v59, v119, v144
	v_mul_i32_i24_e32 v144, v138, v47
	v_add3_u32 v132, v188, v59, v132
	v_mul_i32_i24_e32 v59, v64, v182
	v_mul_i32_i24_e32 v64, v125, v183
	s_delay_alu instid0(VALU_DEP_2) | instskip(SKIP_2) | instid1(VALU_DEP_2)
	v_add3_u32 v2, v190, v59, v2
	v_mul_i32_i24_e32 v59, v119, v184
	v_ashrrev_i32_e32 v119, s18, v9
	v_add3_u32 v64, v194, v59, v64
	s_delay_alu instid0(VALU_DEP_2) | instskip(SKIP_1) | instid1(VALU_DEP_2)
	v_and_b32_e32 v9, 3, v119
	v_bfe_u32 v59, v119, 8, 2
	v_mul_i32_i24_e32 v125, v9, v113
	s_delay_alu instid0(VALU_DEP_2) | instskip(NEXT) | instid1(VALU_DEP_1)
	v_mul_i32_i24_e32 v133, v59, v114
	v_add3_u32 v125, v247, v125, v133
	v_ashrrev_i32_e32 v133, s18, v11
	s_delay_alu instid0(VALU_DEP_1) | instskip(SKIP_1) | instid1(VALU_DEP_2)
	v_and_b32_e32 v11, 3, v133
	v_bfe_u32 v135, v133, 8, 2
	v_mul_i32_i24_e32 v136, v11, v113
	s_delay_alu instid0(VALU_DEP_2) | instskip(SKIP_1) | instid1(VALU_DEP_2)
	v_mul_i32_i24_e32 v137, v135, v114
	v_mul_i32_i24_e32 v170, v135, v46
	v_add3_u32 v136, v249, v136, v137
	v_and_b32_e32 v137, 3, v13
	s_delay_alu instid0(VALU_DEP_1) | instskip(NEXT) | instid1(VALU_DEP_1)
	v_mul_i32_i24_e32 v139, v137, v91
	v_add3_u32 v139, v214, v139, v140
	v_and_b32_e32 v140, 3, v3
	s_delay_alu instid0(VALU_DEP_1) | instskip(NEXT) | instid1(VALU_DEP_1)
	v_mul_i32_i24_e32 v142, v140, v45
	v_add3_u32 v142, v206, v142, v143
	v_mul_i32_i24_e32 v143, v137, v48
	s_delay_alu instid0(VALU_DEP_1) | instskip(SKIP_1) | instid1(VALU_DEP_1)
	v_add3_u32 v143, v252, v143, v144
	v_mul_i32_i24_e32 v144, v140, v50
	v_add3_u32 v144, v212, v144, v145
	v_and_b32_e32 v145, 3, v5
	s_delay_alu instid0(VALU_DEP_1) | instskip(NEXT) | instid1(VALU_DEP_1)
	v_mul_i32_i24_e32 v147, v145, v91
	v_add3_u32 v147, v232, v147, v169
	v_mul_i32_i24_e32 v169, v11, v45
	s_delay_alu instid0(VALU_DEP_1) | instskip(SKIP_2) | instid1(VALU_DEP_1)
	v_add3_u32 v188, v208, v169, v170
	v_mul_i32_i24_e32 v169, v145, v48
	v_mul_i32_i24_e32 v170, v146, v47
	v_add3_u32 v190, v253, v169, v170
	v_mul_i32_i24_e32 v169, v11, v50
	v_mul_i32_i24_e32 v170, v135, v49
	s_delay_alu instid0(VALU_DEP_1) | instskip(SKIP_2) | instid1(VALU_DEP_1)
	v_add3_u32 v191, v217, v169, v170
	v_mul_i32_i24_e32 v169, v9, v45
	v_mul_i32_i24_e32 v170, v59, v46
	v_add3_u32 v176, v201, v169, v170
	v_and_b32_e32 v169, 3, v1
	v_bfe_u32 v170, v1, 8, 2
	s_delay_alu instid0(VALU_DEP_2) | instskip(NEXT) | instid1(VALU_DEP_2)
	v_mul_i32_i24_e32 v175, v169, v48
	v_mul_i32_i24_e32 v177, v170, v47
	s_delay_alu instid0(VALU_DEP_1) | instskip(SKIP_2) | instid1(VALU_DEP_1)
	v_add3_u32 v178, v250, v175, v177
	v_mul_i32_i24_e32 v175, v169, v111
	v_mul_i32_i24_e32 v177, v170, v112
	v_add3_u32 v193, v254, v175, v177
	v_mul_i32_i24_e32 v175, v145, v111
	v_mul_i32_i24_e32 v177, v146, v112
	s_set_vgpr_msb 1                        ;  msbs: dst=0 src0=1 src1=0 src2=0
	s_delay_alu instid0(VALU_DEP_1) | instskip(SKIP_4) | instid1(VALU_DEP_1)
	v_add3_u32 v194, v2 /*v258*/, v175, v177
	s_set_vgpr_msb 0                        ;  msbs: dst=0 src0=0 src1=0 src2=0
	v_mul_i32_i24_e32 v175, v140, v115
	v_mul_i32_i24_e32 v177, v141, v116
	s_set_vgpr_msb 1                        ;  msbs: dst=0 src0=1 src1=0 src2=0
	v_add3_u32 v196, v5 /*v261*/, v175, v177
	s_set_vgpr_msb 0                        ;  msbs: dst=0 src0=0 src1=0 src2=0
	v_mul_i32_i24_e32 v175, v137, v118
	v_mul_i32_i24_e32 v177, v138, v120
	s_set_vgpr_msb 1                        ;  msbs: dst=0 src0=1 src1=0 src2=0
	s_delay_alu instid0(VALU_DEP_1) | instskip(SKIP_3) | instid1(VALU_DEP_1)
	v_add3_u32 v197, v7 /*v263*/, v175, v177
	s_set_vgpr_msb 0                        ;  msbs: dst=0 src0=0 src1=0 src2=0
	v_mul_i32_i24_e32 v175, v11, v105
	v_mul_i32_i24_e32 v177, v135, v106
	v_add3_u32 v179, v246, v175, v177
	v_mul_i32_i24_e32 v175, v140, v82
	v_mul_i32_i24_e32 v177, v141, v90
	s_set_vgpr_msb 1                        ;  msbs: dst=0 src0=1 src1=0 src2=0
	s_delay_alu instid0(VALU_DEP_1) | instskip(SKIP_4) | instid1(VALU_DEP_1)
	v_add3_u32 v198, v13 /*v269*/, v175, v177
	s_set_vgpr_msb 0                        ;  msbs: dst=0 src0=0 src1=0 src2=0
	v_mul_i32_i24_e32 v175, v137, v110
	v_mul_i32_i24_e32 v177, v138, v108
	s_set_vgpr_msb 1                        ;  msbs: dst=0 src0=1 src1=0 src2=0
	v_add3_u32 v199, v17 /*v273*/, v175, v177
	s_set_vgpr_msb 0                        ;  msbs: dst=0 src0=0 src1=0 src2=0
	v_mul_i32_i24_e32 v175, v145, v107
	v_mul_i32_i24_e32 v177, v146, v109
	s_set_vgpr_msb 1                        ;  msbs: dst=0 src0=1 src1=0 src2=0
	s_delay_alu instid0(VALU_DEP_1) | instskip(SKIP_3) | instid1(VALU_DEP_1)
	v_add3_u32 v201, v16 /*v272*/, v175, v177
	s_set_vgpr_msb 0                        ;  msbs: dst=0 src0=0 src1=0 src2=0
	v_mul_i32_i24_e32 v175, v9, v105
	v_mul_i32_i24_e32 v177, v59, v106
	v_add3_u32 v204, v244, v175, v177
	v_mul_i32_i24_e32 v175, v9, v50
	v_mul_i32_i24_e32 v177, v59, v49
	s_delay_alu instid0(VALU_DEP_1) | instskip(SKIP_2) | instid1(VALU_DEP_1)
	v_add3_u32 v205, v209, v175, v177
	v_mul_i32_i24_e32 v175, v169, v91
	v_mul_i32_i24_e32 v177, v170, v104
	v_add3_u32 v206, v211, v175, v177
	v_mul_i32_i24_e32 v175, v169, v107
	v_mul_i32_i24_e32 v177, v170, v109
	s_set_vgpr_msb 1                        ;  msbs: dst=0 src0=1 src1=0 src2=0
	s_delay_alu instid0(VALU_DEP_1) | instskip(SKIP_4) | instid1(VALU_DEP_1)
	v_add3_u32 v208, v14 /*v270*/, v175, v177
	s_set_vgpr_msb 0                        ;  msbs: dst=0 src0=0 src1=0 src2=0
	v_mul_i32_i24_e32 v175, v137, v111
	v_mul_i32_i24_e32 v177, v138, v112
	s_set_vgpr_msb 1                        ;  msbs: dst=0 src0=1 src1=0 src2=0
	v_add3_u32 v209, v1 /*v257*/, v175, v177
	s_set_vgpr_msb 0                        ;  msbs: dst=0 src0=0 src1=0 src2=0
	v_mul_i32_i24_e32 v175, v140, v105
	v_mul_i32_i24_e32 v177, v141, v106
	s_delay_alu instid0(VALU_DEP_1) | instskip(SKIP_3) | instid1(VALU_DEP_1)
	v_add3_u32 v211, v245, v175, v177
	v_mul_i32_i24_e32 v175, v137, v107
	v_mul_i32_i24_e32 v177, v138, v109
	s_set_vgpr_msb 1                        ;  msbs: dst=0 src0=1 src1=0 src2=0
	v_add3_u32 v212, v15 /*v271*/, v175, v177
	s_set_vgpr_msb 0                        ;  msbs: dst=0 src0=0 src1=0 src2=0
	v_mul_i32_i24_e32 v175, v140, v113
	v_mul_i32_i24_e32 v177, v141, v114
	s_delay_alu instid0(VALU_DEP_1) | instskip(SKIP_3) | instid1(VALU_DEP_1)
	v_add3_u32 v214, v248, v175, v177
	v_mul_i32_i24_e32 v175, v145, v118
	v_mul_i32_i24_e32 v177, v146, v120
	s_set_vgpr_msb 1                        ;  msbs: dst=0 src0=1 src1=0 src2=0
	v_add3_u32 v217, v11 /*v267*/, v175, v177
	s_set_vgpr_msb 0                        ;  msbs: dst=0 src0=0 src1=0 src2=0
	v_mul_i32_i24_e32 v175, v11, v82
	v_mul_i32_i24_e32 v177, v135, v90
	s_set_vgpr_msb 1                        ;  msbs: dst=0 src0=1 src1=0 src2=0
	s_delay_alu instid0(VALU_DEP_1) | instskip(SKIP_4) | instid1(VALU_DEP_1)
	v_add3_u32 v240, v21 /*v277*/, v175, v177
	s_set_vgpr_msb 0                        ;  msbs: dst=0 src0=0 src1=0 src2=0
	v_mul_i32_i24_e32 v175, v145, v110
	v_mul_i32_i24_e32 v177, v146, v108
	s_set_vgpr_msb 1                        ;  msbs: dst=0 src0=1 src1=0 src2=0
	v_add3_u32 v247, v22 /*v278*/, v175, v177
	s_set_vgpr_msb 0                        ;  msbs: dst=0 src0=0 src1=0 src2=0
	v_mul_i32_i24_e32 v175, v11, v115
	v_mul_i32_i24_e32 v177, v135, v116
	s_set_vgpr_msb 1                        ;  msbs: dst=0 src0=1 src1=0 src2=0
	s_delay_alu instid0(VALU_DEP_1) | instskip(SKIP_4) | instid1(VALU_DEP_1)
	v_add3_u32 v239, v8 /*v264*/, v175, v177
	s_set_vgpr_msb 0                        ;  msbs: dst=0 src0=0 src1=0 src2=0
	;; [unrolled: 11-line block ×3, first 2 shown]
	v_mul_i32_i24_e32 v175, v169, v118
	v_mul_i32_i24_e32 v177, v170, v120
	s_set_vgpr_msb 1                        ;  msbs: dst=0 src0=1 src1=0 src2=0
	v_add3_u32 v253, v4 /*v260*/, v175, v177
	s_set_vgpr_msb 0                        ;  msbs: dst=0 src0=0 src1=0 src2=0
	v_mul_i32_i24_e32 v175, v169, v110
	v_mul_i32_i24_e32 v177, v170, v108
	s_set_vgpr_msb 1                        ;  msbs: dst=0 src0=1 src1=0 src2=0
	s_delay_alu instid0(VALU_DEP_1)
	v_add3_u32 v254, v20 /*v276*/, v175, v177
	s_set_vgpr_msb 0                        ;  msbs: dst=0 src0=0 src1=0 src2=0
	v_mul_i32_i24_e32 v175, v9, v80
	v_mul_i32_i24_e32 v177, v59, v81
	;; [unrolled: 1-line block ×3, first 2 shown]
	s_set_vgpr_msb 4                        ;  msbs: dst=0 src0=0 src1=1 src2=0
	v_mul_i32_i24_e32 v59, v59, v23 /*v279*/
	s_set_vgpr_msb 1                        ;  msbs: dst=0 src0=1 src1=0 src2=0
	v_add3_u32 v255, v24 /*v280*/, v175, v177
	s_set_vgpr_msb 0                        ;  msbs: dst=0 src0=0 src1=0 src2=0
	s_delay_alu instid0(VALU_DEP_2) | instskip(SKIP_4) | instid1(VALU_DEP_1)
	v_add3_u32 v200, v200, v9, v59
	v_mul_i32_i24_e32 v9, v140, v83
	s_set_vgpr_msb 4                        ;  msbs: dst=0 src0=0 src1=1 src2=0
	v_mul_i32_i24_e32 v59, v141, v23 /*v279*/
	s_set_vgpr_msb 0x41                     ;  msbs: dst=1 src0=1 src1=0 src2=0
	v_add3_u32 v2 /*v258*/, v27 /*v283*/, v9, v59
	s_set_vgpr_msb 0                        ;  msbs: dst=0 src0=0 src1=0 src2=0
	v_mul_i32_i24_e32 v9, v137, v79
	v_mul_i32_i24_e32 v59, v138, v51
	s_delay_alu instid0(VALU_DEP_1) | instskip(SKIP_2) | instid1(VALU_DEP_1)
	v_add3_u32 v203, v203, v9, v59
	v_mul_i32_i24_e32 v9, v169, v121
	v_mul_i32_i24_e32 v59, v170, v226
	v_add3_u32 v0, v0, v9, v59
	v_mul_i32_i24_e32 v9, v169, v79
	v_mul_i32_i24_e32 v59, v170, v51
	v_mad_i32_i24 v169, v187, v185, v189
	v_ashrrev_i32_e32 v185, s18, v7
	s_set_vgpr_msb 4                        ;  msbs: dst=0 src0=0 src1=1 src2=0
	v_mad_i32_i24 v170, v225, v26 /*v282*/, v219
	s_lshr_b32 s18, s17, 2
	s_set_vgpr_msb 0x41                     ;  msbs: dst=1 src0=1 src1=0 src2=0
	v_add3_u32 v5 /*v261*/, v25 /*v281*/, v9, v59
	s_set_vgpr_msb 0                        ;  msbs: dst=0 src0=0 src1=0 src2=0
	v_mul_i32_i24_e32 v9, v140, v80
	v_mul_i32_i24_e32 v59, v141, v81
	s_and_b32 s18, s18, 0x3ffffffc
	s_add_co_i32 s17, s17, 2
	s_addk_co_i32 s18, 0x7280
	s_cmp_lt_u32 s17, s15
	v_add3_u32 v140, v202, v9, v59
	v_mul_i32_i24_e32 v9, v137, v121
	v_mul_i32_i24_e32 v59, v138, v226
	s_delay_alu instid0(VALU_DEP_1) | instskip(SKIP_2) | instid1(VALU_DEP_1)
	v_add3_u32 v137, v210, v9, v59
	v_mul_i32_i24_e32 v9, v11, v80
	v_mul_i32_i24_e32 v59, v135, v81
	v_add3_u32 v138, v207, v9, v59
	v_mul_i32_i24_e32 v9, v145, v121
	v_mul_i32_i24_e32 v59, v146, v226
	s_delay_alu instid0(VALU_DEP_1)
	v_add3_u32 v4, v4, v9, v59
	v_mul_i32_i24_e32 v9, v11, v83
	s_set_vgpr_msb 4                        ;  msbs: dst=0 src0=0 src1=1 src2=0
	v_mul_i32_i24_e32 v11, v135, v23 /*v279*/
	s_set_vgpr_msb 0                        ;  msbs: dst=0 src0=0 src1=0 src2=0
	v_add3_u32 v59, v236, v238, v134
	v_and_b32_e32 v134, 3, v185
	s_set_vgpr_msb 1                        ;  msbs: dst=0 src0=1 src1=0 src2=0
	v_add3_u32 v135, v28 /*v284*/, v9, v11
	s_set_vgpr_msb 0                        ;  msbs: dst=0 src0=0 src1=0 src2=0
	v_mul_i32_i24_e32 v9, v145, v79
	v_mul_i32_i24_e32 v11, v146, v51
	;; [unrolled: 1-line block ×3, first 2 shown]
	v_bfe_u32 v50, v185, 8, 2
	s_set_vgpr_msb 1                        ;  msbs: dst=0 src0=1 src1=0 src2=0
	s_delay_alu instid0(VALU_DEP_3) | instskip(SKIP_3) | instid1(VALU_DEP_1)
	v_add3_u32 v141, v29 /*v285*/, v9, v11
	s_set_vgpr_msb 0                        ;  msbs: dst=0 src0=0 src1=0 src2=0
	v_mad_i32_i24 v11, v225, v213, v222
	v_mul_i32_i24_e32 v9, v50, v49
	v_add3_u32 v9, v66, v7, v9
	v_mul_i32_i24_e32 v7, v134, v45
	v_mul_i32_i24_e32 v45, v50, v46
	s_delay_alu instid0(VALU_DEP_1) | instskip(SKIP_2) | instid1(VALU_DEP_2)
	v_add3_u32 v180, v117, v7, v45
	v_bfe_u32 v45, v220, 8, 2
	v_mul_i32_i24_e32 v7, v15, v48
	v_mul_i32_i24_e32 v46, v45, v47
	;; [unrolled: 1-line block ×3, first 2 shown]
	s_delay_alu instid0(VALU_DEP_2) | instskip(SKIP_1) | instid1(VALU_DEP_1)
	v_add3_u32 v7, v123, v7, v46
	v_mul_i32_i24_e32 v46, v15, v91
	v_add3_u32 v175, v67, v46, v47
	v_mul_i32_i24_e32 v46, v134, v80
	v_mul_i32_i24_e32 v47, v50, v81
	s_delay_alu instid0(VALU_DEP_1) | instskip(SKIP_2) | instid1(VALU_DEP_1)
	v_add3_u32 v230, v127, v46, v47
	v_mul_i32_i24_e32 v46, v15, v79
	v_mul_i32_i24_e32 v47, v45, v51
	v_add3_u32 v229, v122, v46, v47
	v_mul_i32_i24_e32 v46, v134, v113
	v_mul_i32_i24_e32 v47, v50, v114
	s_delay_alu instid0(VALU_DEP_1) | instskip(SKIP_2) | instid1(VALU_DEP_1)
	v_add3_u32 v177, v126, v46, v47
	v_mul_i32_i24_e32 v46, v134, v105
	;; [unrolled: 7-line block ×5, first 2 shown]
	v_mul_i32_i24_e32 v47, v45, v108
	v_add3_u32 v224, v132, v46, v47
	v_mul_i32_i24_e32 v46, v134, v83
	s_set_vgpr_msb 4                        ;  msbs: dst=0 src0=0 src1=1 src2=0
	v_mul_i32_i24_e32 v47, v50, v23 /*v279*/
	s_set_vgpr_msb 0                        ;  msbs: dst=0 src0=0 src1=0 src2=0
	s_delay_alu instid0(VALU_DEP_1) | instskip(SKIP_3) | instid1(VALU_DEP_2)
	v_add3_u32 v187, v2, v46, v47
	v_mul_i32_i24_e32 v2, v15, v121
	v_mul_i32_i24_e32 v15, v45, v226
	v_bfe_u32 v45, v119, 16, 2
	v_add3_u32 v218, v64, v2, v15
	v_lshrrev_b32_e32 v2, 24, v119
	s_delay_alu instid0(VALU_DEP_3) | instskip(NEXT) | instid1(VALU_DEP_2)
	v_mul_i32_i24_e32 v15, v45, v28
	v_and_b32_e32 v2, 3, v2
	s_delay_alu instid0(VALU_DEP_1) | instskip(NEXT) | instid1(VALU_DEP_1)
	v_mul_i32_i24_e32 v46, v2, v29
	v_add3_u32 v221, v176, v15, v46
	v_lshrrev_b32_e32 v15, 24, v1
	v_bfe_u32 v1, v1, 16, 2
	s_delay_alu instid0(VALU_DEP_2) | instskip(NEXT) | instid1(VALU_DEP_2)
	v_and_b32_e32 v46, 3, v15
	v_mul_i32_i24_e32 v15, v1, v24
	s_delay_alu instid0(VALU_DEP_2) | instskip(NEXT) | instid1(VALU_DEP_1)
	v_mul_i32_i24_e32 v47, v46, v25
	v_add3_u32 v186, v178, v15, v47
	v_dual_lshrrev_b32 v15, 24, v3 :: v_dual_lshrrev_b32 v3, 16, v3
	s_delay_alu instid0(VALU_DEP_1) | instskip(NEXT) | instid1(VALU_DEP_2)
	v_and_b32_e32 v47, 3, v15
	v_and_b32_e32 v3, 3, v3
	s_delay_alu instid0(VALU_DEP_2) | instskip(NEXT) | instid1(VALU_DEP_2)
	v_mul_i32_i24_e32 v15, v47, v29
	v_mul_i32_i24_e32 v48, v3, v28
	;; [unrolled: 1-line block ×3, first 2 shown]
	s_delay_alu instid0(VALU_DEP_2) | instskip(SKIP_1) | instid1(VALU_DEP_1)
	v_add3_u32 v178, v142, v48, v15
	v_dual_lshrrev_b32 v15, 24, v13 :: v_dual_lshrrev_b32 v13, 16, v13
	v_and_b32_e32 v48, 3, v15
	s_delay_alu instid0(VALU_DEP_2) | instskip(NEXT) | instid1(VALU_DEP_2)
	v_and_b32_e32 v13, 3, v13
	v_mul_i32_i24_e32 v15, v48, v33
	s_delay_alu instid0(VALU_DEP_2) | instskip(NEXT) | instid1(VALU_DEP_1)
	v_mul_i32_i24_e32 v49, v13, v32
	v_add3_u32 v15, v139, v49, v15
	v_mul_i32_i24_e32 v49, v47, v27
	s_delay_alu instid0(VALU_DEP_1) | instskip(SKIP_2) | instid1(VALU_DEP_1)
	v_add3_u32 v184, v144, v50, v49
	v_mul_i32_i24_e32 v49, v48, v25
	v_mul_i32_i24_e32 v50, v13, v24
	v_add3_u32 v225, v143, v50, v49
	v_mul_i32_i24_e32 v49, v3, v37
	v_mul_i32_i24_e32 v50, v47, v34
	s_delay_alu instid0(VALU_DEP_1) | instskip(SKIP_1) | instid1(VALU_DEP_1)
	v_add3_u32 v222, v198, v49, v50
	v_dual_lshrrev_b32 v49, 16, v133 :: v_dual_lshrrev_b32 v50, 24, v133
	v_and_b32_e32 v49, 3, v49
	s_delay_alu instid0(VALU_DEP_2) | instskip(NEXT) | instid1(VALU_DEP_2)
	v_and_b32_e32 v50, 3, v50
	v_mul_i32_i24_e32 v51, v49, v39
	s_delay_alu instid0(VALU_DEP_2) | instskip(NEXT) | instid1(VALU_DEP_1)
	v_mul_i32_i24_e32 v64, v50, v38
	v_add3_u32 v176, v179, v51, v64
	v_dual_lshrrev_b32 v51, 16, v5 :: v_dual_lshrrev_b32 v5, 24, v5
	s_delay_alu instid0(VALU_DEP_1) | instskip(NEXT) | instid1(VALU_DEP_2)
	v_and_b32_e32 v51, 3, v51
	v_and_b32_e32 v5, 3, v5
	s_delay_alu instid0(VALU_DEP_2) | instskip(NEXT) | instid1(VALU_DEP_2)
	v_mul_i32_i24_e32 v64, v51, v43
	v_mul_i32_i24_e32 v65, v5, v44
	s_delay_alu instid0(VALU_DEP_1) | instskip(SKIP_2) | instid1(VALU_DEP_1)
	v_add3_u32 v179, v201, v64, v65
	v_mul_i32_i24_e32 v64, v13, v40
	v_mul_i32_i24_e32 v65, v48, v42
	v_add3_u32 v231, v199, v64, v65
	v_mul_i32_i24_e32 v64, v50, v29
	v_mul_i32_i24_e32 v65, v49, v28
	s_delay_alu instid0(VALU_DEP_1) | instskip(SKIP_2) | instid1(VALU_DEP_1)
	v_add3_u32 v226, v188, v65, v64
	v_mul_i32_i24_e32 v64, v5, v33
	v_mul_i32_i24_e32 v65, v51, v32
	v_add3_u32 v219, v147, v65, v64
	;; [unrolled: 7-line block ×11, first 2 shown]
	v_mul_i32_i24_e32 v64, v51, v63
	v_mul_i32_i24_e32 v65, v5, v148
	s_delay_alu instid0(VALU_DEP_1) | instskip(SKIP_3) | instid1(VALU_DEP_1)
	v_add3_u32 v247, v217, v64, v65
	v_mul_i32_i24_e32 v64, v45, v61
	v_mul_i32_i24_e32 v65, v2, v62
	s_set_vgpr_msb 64                       ;  msbs: dst=1 src0=0 src1=0 src2=0
	v_add3_u32 v1 /*v257*/, v252, v64, v65
	s_set_vgpr_msb 0                        ;  msbs: dst=0 src0=0 src1=0 src2=0
	v_mul_i32_i24_e32 v64, v45, v37
	v_mul_i32_i24_e32 v65, v2, v34
	s_set_vgpr_msb 64                       ;  msbs: dst=1 src0=0 src1=0 src2=0
	s_delay_alu instid0(VALU_DEP_1) | instskip(SKIP_3) | instid1(VALU_DEP_1)
	v_add3_u32 v4 /*v260*/, v251, v64, v65
	s_set_vgpr_msb 0                        ;  msbs: dst=0 src0=0 src1=0 src2=0
	v_mul_i32_i24_e32 v64, v13, v63
	v_mul_i32_i24_e32 v65, v48, v148
	v_add3_u32 v251, v197, v64, v65
	v_mul_i32_i24_e32 v64, v1, v40
	v_mul_i32_i24_e32 v65, v46, v42
	s_set_vgpr_msb 64                       ;  msbs: dst=1 src0=0 src1=0 src2=0
	s_delay_alu instid0(VALU_DEP_1) | instskip(SKIP_4) | instid1(VALU_DEP_1)
	v_add3_u32 v0 /*v256*/, v254, v64, v65
	s_set_vgpr_msb 0                        ;  msbs: dst=0 src0=0 src1=0 src2=0
	v_mul_i32_i24_e32 v64, v1, v63
	v_mul_i32_i24_e32 v65, v46, v148
	s_set_vgpr_msb 64                       ;  msbs: dst=1 src0=0 src1=0 src2=0
	v_add3_u32 v3 /*v259*/, v253, v64, v65
	s_set_vgpr_msb 0                        ;  msbs: dst=0 src0=0 src1=0 src2=0
	v_mul_i32_i24_e32 v64, v45, v150
	v_mul_i32_i24_e32 v65, v2, v149
	;; [unrolled: 1-line block ×4, first 2 shown]
	s_set_vgpr_msb 64                       ;  msbs: dst=1 src0=0 src1=0 src2=0
	s_delay_alu instid0(VALU_DEP_3) | instskip(NEXT) | instid1(VALU_DEP_2)
	v_add3_u32 v8 /*v264*/, v200, v64, v65
	v_add3_u32 v10 /*v266*/, v255, v45, v2
	s_set_vgpr_msb 0                        ;  msbs: dst=0 src0=0 src1=0 src2=0
	v_mul_i32_i24_e32 v2, v13, v30
	v_mul_i32_i24_e32 v45, v48, v31
	s_delay_alu instid0(VALU_DEP_1) | instskip(SKIP_3) | instid1(VALU_DEP_1)
	v_add3_u32 v252, v203, v2, v45
	v_mul_i32_i24_e32 v2, v3, v150
	v_mul_i32_i24_e32 v45, v47, v78
	s_set_vgpr_msb 0x41                     ;  msbs: dst=1 src0=1 src1=0 src2=0
	v_add3_u32 v2 /*v258*/, v2 /*v258*/, v2, v45
	s_set_vgpr_msb 0                        ;  msbs: dst=0 src0=0 src1=0 src2=0
	v_mul_i32_i24_e32 v2, v1, v30
	v_mul_i32_i24_e32 v45, v46, v31
	;; [unrolled: 1-line block ×3, first 2 shown]
	s_set_vgpr_msb 0x41                     ;  msbs: dst=1 src0=1 src1=0 src2=0
	s_delay_alu instid0(VALU_DEP_2) | instskip(SKIP_3) | instid1(VALU_DEP_1)
	v_add3_u32 v9 /*v265*/, v5 /*v261*/, v2, v45
	s_set_vgpr_msb 0                        ;  msbs: dst=0 src0=0 src1=0 src2=0
	v_mul_i32_i24_e32 v2, v46, v151
	s_set_vgpr_msb 64                       ;  msbs: dst=1 src0=0 src1=0 src2=0
	v_add3_u32 v11 /*v267*/, v0, v1, v2
	s_set_vgpr_msb 0                        ;  msbs: dst=0 src0=0 src1=0 src2=0
	v_mul_i32_i24_e32 v0, v13, v152
	s_set_vgpr_msb 20                       ;  msbs: dst=0 src0=0 src1=1 src2=1
	v_add3_u32 v13, s18, v215 /*v471*/, v214 /*v470*/
	s_set_vgpr_msb 0                        ;  msbs: dst=0 src0=0 src1=0 src2=0
	v_mul_i32_i24_e32 v1, v48, v151
	v_cvt_f32_i32_e32 v2, v215
	ds_load_b32 v64, v13
	s_set_vgpr_msb 64                       ;  msbs: dst=1 src0=0 src1=0 src2=0
	v_add3_u32 v7 /*v263*/, v137, v0, v1
	s_set_vgpr_msb 0                        ;  msbs: dst=0 src0=0 src1=0 src2=0
	v_mul_i32_i24_e32 v0, v3, v35
	v_mul_i32_i24_e32 v1, v47, v36
	v_cvt_f32_i32_e32 v3, v216
	s_set_vgpr_msb 64                       ;  msbs: dst=1 src0=0 src1=0 src2=0
	s_delay_alu instid0(VALU_DEP_2) | instskip(SKIP_3) | instid1(VALU_DEP_1)
	v_add3_u32 v6 /*v262*/, v140, v0, v1
	s_set_vgpr_msb 0                        ;  msbs: dst=0 src0=0 src1=0 src2=0
	v_mul_i32_i24_e32 v0, v51, v152
	v_mul_i32_i24_e32 v1, v5, v151
	v_add3_u32 v255, v4, v0, v1
	v_mul_i32_i24_e32 v1, v50, v36
	s_set_vgpr_msb 1                        ;  msbs: dst=0 src0=1 src1=0 src2=0
	v_cvt_f32_i32_e32 v4, v18 /*v274*/
	s_wait_dscnt 0x0
	v_lshrrev_b32_e32 v13, 16, v64
	s_set_vgpr_msb 0                        ;  msbs: dst=0 src0=0 src1=0 src2=0
	v_mul_i32_i24_e32 v0, v49, v35
	s_delay_alu instid0(VALU_DEP_2) | instskip(NEXT) | instid1(VALU_DEP_2)
	v_cvt_f32_f16_e32 v45, v13
	v_add3_u32 v254, v138, v0, v1
	v_mul_i32_i24_e32 v0, v51, v30
	v_mul_i32_i24_e32 v1, v5, v31
	s_set_vgpr_msb 1                        ;  msbs: dst=0 src0=1 src1=0 src2=0
	v_cvt_f32_i32_e32 v5, v19 /*v275*/
	s_set_vgpr_msb 0                        ;  msbs: dst=0 src0=0 src1=0 src2=0
	v_mov_b32_e32 v46, v45
	v_add3_u32 v253, v141, v0, v1
	v_mul_i32_i24_e32 v0, v50, v78
	v_mul_i32_i24_e32 v1, v49, v150
	s_delay_alu instid0(VALU_DEP_4)
	v_pk_mul_f32 v[48:49], v[46:47], v[2:3] op_sel_hi:[0,1]
	v_cvt_f32_i32_e32 v2, v52
	v_cvt_f32_i32_e32 v3, v53
	s_set_vgpr_msb 64                       ;  msbs: dst=1 src0=0 src1=0 src2=0
	v_add3_u32 v5 /*v261*/, v135, v1, v0
	s_set_vgpr_msb 0                        ;  msbs: dst=0 src0=0 src1=0 src2=0
	v_cvt_f32_i32_e32 v1, v195
	v_cvt_f32_i32_e32 v0, v192
	s_delay_alu instid0(VALU_DEP_1)
	v_pk_mul_f32 v[50:51], v[46:47], v[0:1] op_sel_hi:[0,1]
	v_cvt_f32_i32_e32 v0, v12
	s_set_vgpr_msb 20                       ;  msbs: dst=0 src0=0 src1=1 src2=1
	v_add3_u32 v12, s18, v210 /*v466*/, v201 /*v457*/
	v_cvt_f32_i32_e32 v1, v41
	s_set_vgpr_msb 0                        ;  msbs: dst=0 src0=0 src1=0 src2=0
	v_pk_mul_f32 v[46:47], v[46:47], v[4:5] op_sel_hi:[0,1]
	v_cvt_f32_i32_e32 v4, v55
	v_cvt_f32_i32_e32 v5, v54
	ds_load_b32 v65, v12
	s_wait_dscnt 0x0
	v_lshrrev_b32_e32 v12, 16, v65
	s_delay_alu instid0(VALU_DEP_1) | instskip(NEXT) | instid1(VALU_DEP_1)
	v_cvt_f32_f16_e32 v41, v12
	v_mov_b32_e32 v52, v41
	s_delay_alu instid0(VALU_DEP_1)
	v_pk_mul_f32 v[12:13], v[52:53], v[0:1] op_sel_hi:[0,1]
	v_lshrrev_b32_e32 v0, 24, v185
	v_bfe_u32 v1, v185, 16, 2
	v_pk_mul_f32 v[54:55], v[52:53], v[2:3] op_sel_hi:[0,1]
	v_pk_mul_f32 v[52:53], v[52:53], v[4:5] op_sel_hi:[0,1]
	v_bfe_u32 v4, v220, 16, 2
	v_and_b32_e32 v0, 3, v0
	v_mul_i32_i24_e32 v2, v1, v35
	v_mul_i32_i24_e32 v26, v1, v26
	;; [unrolled: 1-line block ×8, first 2 shown]
	s_delay_alu instid0(VALU_DEP_4) | instskip(SKIP_4) | instid1(VALU_DEP_4)
	v_add3_u32 v2, v230, v2, v3
	v_lshrrev_b32_e32 v3, 24, v220
	v_add3_u32 v9, v9, v26, v27
	v_mul_i32_i24_e32 v26, v4, v56
	v_add3_u32 v28, v180, v28, v29
	v_and_b32_e32 v3, 3, v3
	s_delay_alu instid0(VALU_DEP_1)
	v_mul_i32_i24_e32 v27, v3, v57
	v_mul_i32_i24_e32 v30, v3, v31
	;; [unrolled: 1-line block ×5, first 2 shown]
	v_add3_u32 v26, v232, v26, v27
	v_mul_i32_i24_e32 v27, v4, v43
	v_add3_u32 v5, v229, v5, v30
	v_mul_i32_i24_e32 v30, v3, v33
	;; [unrolled: 2-line block ×4, first 2 shown]
	v_mul_i32_i24_e32 v25, v0, v38
	v_mul_i32_i24_e32 v32, v0, v34
	;; [unrolled: 1-line block ×4, first 2 shown]
	v_add3_u32 v29, v175, v29, v30
	v_add3_u32 v24, v181, v24, v25
	v_mul_i32_i24_e32 v25, v1, v58
	v_mul_i32_i24_e32 v30, v0, v60
	;; [unrolled: 1-line block ×3, first 2 shown]
	v_cvt_f32_f16_e32 v57, v64
	s_delay_alu instid0(VALU_DEP_3) | instskip(SKIP_1) | instid1(VALU_DEP_1)
	v_add3_u32 v25, v177, v25, v30
	v_mul_i32_i24_e32 v30, v1, v61
	v_add3_u32 v30, v223, v30, v31
	v_mul_i32_i24_e32 v31, v1, v37
	v_mul_i32_i24_e32 v1, v1, v150
	s_delay_alu instid0(VALU_DEP_2) | instskip(SKIP_2) | instid1(VALU_DEP_2)
	v_add3_u32 v31, v182, v31, v32
	v_mul_i32_i24_e32 v32, v4, v40
	v_and_b32_e32 v40, 15, v174
	v_add3_u32 v32, v224, v32, v33
	v_mul_i32_i24_e32 v33, v4, v63
	s_delay_alu instid0(VALU_DEP_3) | instskip(NEXT) | instid1(VALU_DEP_2)
	v_and_b32_e32 v40, 0xffff, v40
	v_add3_u32 v33, v183, v33, v34
	v_add3_u32 v34, v187, v1, v0
	v_mul_i32_i24_e32 v0, v4, v152
	v_mul_i32_i24_e32 v1, v3, v151
	s_delay_alu instid0(VALU_DEP_1) | instskip(SKIP_1) | instid1(VALU_DEP_1)
	v_add3_u32 v4, v218, v0, v1
	v_and_b32_e32 v0, 15, v153
	v_and_b32_e32 v0, 0xffff, v0
	s_delay_alu instid0(VALU_DEP_1)
	v_mul_lo_u32 v1, v221, v0
	v_mul_lo_u32 v3, v248, v0
	;; [unrolled: 1-line block ×4, first 2 shown]
	s_set_vgpr_msb 1                        ;  msbs: dst=0 src0=1 src1=0 src2=0
	v_mul_lo_u32 v37, v4 /*v260*/, v0
	v_mul_lo_u32 v38, v1 /*v257*/, v0
	v_mul_lo_u32 v39, v10 /*v266*/, v0
	v_mul_lo_u32 v0, v8 /*v264*/, v0
	s_set_vgpr_msb 0                        ;  msbs: dst=0 src0=0 src1=0 src2=0
	v_mad_u32 v62, v186, v40, v1
	v_and_b32_e32 v1, 15, v173
	v_mad_u32 v42, v242, v40, v3
	v_mad_u32 v35, v245, v40, v35
	;; [unrolled: 1-line block ×3, first 2 shown]
	s_set_vgpr_msb 1                        ;  msbs: dst=0 src0=1 src1=0 src2=0
	v_mad_u32 v38, v3 /*v259*/, v40, v38
	v_and_b32_e32 v1, 0xffff, v1
	v_mad_u32 v63, v11 /*v267*/, v40, v0
	v_and_b32_e32 v0, 15, v8
	v_mad_u32 v66, v9 /*v265*/, v40, v39
	v_mad_u32 v37, v0 /*v256*/, v40, v37
	s_set_vgpr_msb 0                        ;  msbs: dst=0 src0=0 src1=0 src2=0
	v_mul_lo_u32 v3, v225, v1
	v_cvt_f32_i32_e32 v62, v62
	v_and_b32_e32 v0, 0xffff, v0
	s_delay_alu instid0(VALU_DEP_1)
	v_mul_lo_u32 v8, v222, v0
	v_mul_lo_u32 v40, v238, v0
	;; [unrolled: 1-line block ×3, first 2 shown]
	v_cvt_f32_i32_e32 v37, v37
	v_mad_u32 v39, v178, v0, v3
	v_mul_lo_u32 v3, v243, v1
	v_mad_u32 v60, v241, v1, v40
	v_mad_u32 v78, v251, v1, v44
	s_delay_alu instid0(VALU_DEP_3) | instskip(SKIP_2) | instid1(VALU_DEP_1)
	v_mad_u32 v43, v246, v0, v3
	s_set_vgpr_msb 1                        ;  msbs: dst=0 src0=1 src1=0 src2=0
	v_mul_lo_u32 v3, v7 /*v263*/, v1
	v_mad_u32 v67, v2 /*v258*/, v0, v3
	s_set_vgpr_msb 0                        ;  msbs: dst=0 src0=0 src1=0 src2=0
	v_mul_lo_u32 v3, v184, v0
	s_set_vgpr_msb 1                        ;  msbs: dst=0 src0=1 src1=0 src2=0
	v_mul_lo_u32 v0, v6 /*v262*/, v0
	s_set_vgpr_msb 0                        ;  msbs: dst=0 src0=0 src1=0 src2=0
	s_delay_alu instid0(VALU_DEP_2) | instskip(SKIP_1) | instid1(VALU_DEP_3)
	v_mad_u32 v58, v15, v1, v3
	v_mad_u32 v15, v231, v1, v8
	;; [unrolled: 1-line block ×3, first 2 shown]
	v_and_b32_e32 v1, 15, v172
	v_and_b32_e32 v0, 15, v154
	v_cvt_f32_i32_e32 v154, v63
	s_delay_alu instid0(VALU_DEP_3) | instskip(NEXT) | instid1(VALU_DEP_3)
	v_and_b32_e32 v1, 0xffff, v1
	v_and_b32_e32 v0, 0xffff, v0
	s_delay_alu instid0(VALU_DEP_2) | instskip(NEXT) | instid1(VALU_DEP_2)
	v_mul_lo_u32 v3, v233, v1
	v_mul_lo_u32 v8, v227, v0
	;; [unrolled: 1-line block ×4, first 2 shown]
	s_delay_alu instid0(VALU_DEP_4) | instskip(SKIP_4) | instid1(VALU_DEP_4)
	v_mad_u32 v61, v226, v0, v3
	v_mul_lo_u32 v3, v247, v1
	v_mad_u32 v82, v219, v1, v8
	v_mad_u32 v83, v235, v1, v40
	;; [unrolled: 1-line block ×4, first 2 shown]
	v_mul_lo_u32 v3, v255, v1
	s_delay_alu instid0(VALU_DEP_3) | instskip(NEXT) | instid1(VALU_DEP_3)
	v_cvt_f32_i32_e32 v152, v90
	v_cvt_f32_i32_e32 v153, v80
	s_set_vgpr_msb 1                        ;  msbs: dst=0 src0=1 src1=0 src2=0
	s_delay_alu instid0(VALU_DEP_3) | instskip(SKIP_3) | instid1(VALU_DEP_2)
	v_mad_u32 v81, v5 /*v261*/, v0, v3
	s_set_vgpr_msb 0                        ;  msbs: dst=0 src0=0 src1=0 src2=0
	v_mul_lo_u32 v3, v176, v0
	v_mul_lo_u32 v0, v254, v0
	v_mad_u32 v56, v179, v1, v3
	s_delay_alu instid0(VALU_DEP_2) | instskip(SKIP_4) | instid1(VALU_DEP_1)
	v_mad_u32 v91, v253, v1, v0
	v_dual_lshrrev_b32 v0, 1, v22 :: v_dual_lshrrev_b32 v3, 1, v20
	ds_load_b32 v1, v0 offset:30368
	ds_load_b32 v0, v3 offset:30368
	v_and_b32_e32 v3, 15, v6
	v_and_b32_e32 v3, 0xffff, v3
	s_delay_alu instid0(VALU_DEP_1)
	v_mul_lo_u32 v2, v2, v3
	v_mul_lo_u32 v6, v9, v3
	;; [unrolled: 1-line block ×8, first 2 shown]
	v_and_b32_e32 v3, 15, v171
	v_cvt_f32_i32_e32 v31, v43
	v_cvt_f32_i32_e32 v30, v60
	;; [unrolled: 1-line block ×3, first 2 shown]
	s_delay_alu instid0(VALU_DEP_4) | instskip(SKIP_3) | instid1(VALU_DEP_2)
	v_and_b32_e32 v28, 0xffff, v3
	s_set_vgpr_msb 20                       ;  msbs: dst=0 src0=0 src1=1 src2=1
	v_add3_u32 v3, s18, v208 /*v464*/, v191 /*v447*/
	s_set_vgpr_msb 0                        ;  msbs: dst=0 src0=0 src1=0 src2=0
	v_mad_u32 v104, v5, v28, v2
	s_set_vgpr_msb 20                       ;  msbs: dst=0 src0=0 src1=1 src2=1
	v_add3_u32 v2, s18, v206 /*v462*/, v189 /*v445*/
	s_set_vgpr_msb 0                        ;  msbs: dst=0 src0=0 src1=0 src2=0
	v_mad_u32 v149, v7, v28, v8
	v_mad_u32 v172, v29, v28, v6
	v_dual_lshrrev_b32 v6, 1, v23 :: v_dual_lshrrev_b32 v8, 1, v18
	ds_load_b32 v18, v3
	ds_load_b32 v23, v2
	v_lshrrev_b32_e32 v5, 1, v21
	v_mad_u32 v171, v27, v28, v20
	v_lshrrev_b32_e32 v20, 1, v19
	v_mad_u32 v176, v32, v28, v22
	v_cvt_f32_i32_e32 v19, v56
	ds_load_b32 v3, v5 offset:30368
	v_cvt_f32_i32_e32 v22, v155
	v_mad_u32 v174, v26, v28, v9
	v_mad_u32 v173, v33, v28, v24
	v_dual_lshrrev_b32 v9, 1, v17 :: v_dual_lshrrev_b32 v21, 1, v16
	v_mad_u32 v175, v4, v28, v25
	v_cvt_f32_f16_e32 v17, v65
	v_cvt_f32_i32_e32 v25, v39
	v_cvt_f32_i32_e32 v24, v58
	ds_load_b32 v7, v6 offset:30368
	ds_load_b32 v4, v8 offset:30368
	;; [unrolled: 1-line block ×3, first 2 shown]
	v_cvt_f32_i32_e32 v9, v159
	v_cvt_f32_i32_e32 v8, v10
	s_wait_dscnt 0x5
	v_lshrrev_b32_e32 v5, 16, v18
	s_wait_dscnt 0x4
	v_cvt_f32_f16_e32 v56, v23
	v_cvt_f32_f16_e32 v16, v18
	v_mov_b32_e32 v148, v17
	v_cvt_f32_i32_e32 v27, v170
	v_cvt_f32_f16_e32 v40, v5
	s_wait_dscnt 0x3
	v_dual_mov_b32 v6, v3 :: v_dual_lshrrev_b32 v5, 16, v23
	v_cvt_f32_i32_e32 v23, v160
	v_cvt_f32_i32_e32 v26, v36
	;; [unrolled: 1-line block ×3, first 2 shown]
	s_delay_alu instid0(VALU_DEP_4)
	v_cvt_f32_f16_e32 v44, v5
	v_pk_mul_f32 v[8:9], v[40:41], v[8:9]
	v_pk_mul_f32 v[22:23], v[40:41], v[22:23] op_sel_hi:[0,1]
	ds_load_b32 v10, v20 offset:30368
	v_mov_b32_e32 v28, v0
	v_cvt_f32_i32_e32 v33, v11
	v_pk_fma_f32 v[18:19], v[16:17], v[18:19], v[8:9] neg_lo:[0,0,1] neg_hi:[0,0,1]
	v_pk_fma_f32 v[22:23], v[16:17], v[24:25], v[22:23] op_sel_hi:[0,1,1] neg_lo:[0,0,1] neg_hi:[0,0,1]
	v_cvt_f32_i32_e32 v25, v61
	v_cvt_f32_i32_e32 v24, v82
	ds_load_b32 v9, v21 offset:30368
	v_cvt_f32_i32_e32 v32, v83
	v_cvt_f32_i32_e32 v36, v38
	;; [unrolled: 1-line block ×3, first 2 shown]
	v_pk_fma_f32 v[24:25], v[148:149], v[24:25], v[12:13] op_sel_hi:[0,1,1] neg_lo:[0,0,1] neg_hi:[0,0,1]
	v_dual_mov_b32 v12, v56 :: v_dual_mov_b32 v13, v44
	v_cvt_f32_i32_e32 v39, v167
	v_cvt_f32_i32_e32 v15, v157
	;; [unrolled: 1-line block ×4, first 2 shown]
	v_pk_mul_f32 v[26:27], v[12:13], v[26:27]
	v_cvt_f32_i32_e32 v13, v161
	v_cvt_f32_i32_e32 v12, v156
	v_pk_mul_f32 v[38:39], v[40:41], v[38:39] op_sel_hi:[0,1]
	v_pk_mul_f32 v[14:15], v[44:45], v[14:15] op_sel_hi:[0,1]
	v_cvt_f32_i32_e32 v20, v35
	v_mov_b32_e32 v58, v57
	v_pk_mul_f32 v[12:13], v[40:41], v[12:13] op_sel_hi:[0,1]
	v_pk_mul_f32 v[150:151], v[44:45], v[42:43] op_sel_hi:[0,1]
	v_cvt_f32_i32_e32 v155, v66
	v_cvt_f32_i32_e32 v43, v67
	;; [unrolled: 1-line block ×3, first 2 shown]
	v_pk_fma_f32 v[30:31], v[16:17], v[30:31], v[12:13] op_sel_hi:[0,1,1] neg_lo:[0,0,1] neg_hi:[0,0,1]
	v_dual_mov_b32 v12, v17 :: v_dual_mov_b32 v13, v41
	v_mov_b32_e32 v17, v40
	v_cvt_f32_i32_e32 v40, v164
	v_cvt_f32_i32_e32 v41, v163
	;; [unrolled: 1-line block ×3, first 2 shown]
	v_pk_mul_f32 v[32:33], v[12:13], v[32:33]
	v_cvt_f32_i32_e32 v13, v162
	v_cvt_f32_i32_e32 v12, v158
	v_pk_mul_f32 v[60:61], v[44:45], v[40:41]
	v_cvt_f32_i32_e32 v41, v169
	v_cvt_f32_i32_e32 v40, v78
	;; [unrolled: 1-line block ×3, first 2 shown]
	v_pk_mul_f32 v[12:13], v[44:45], v[12:13] op_sel_hi:[0,1]
	v_mov_b32_e32 v44, v57
	v_cvt_f32_i32_e32 v158, v175
	v_mov_b32_e32 v8, v1
	v_pk_fma_f32 v[20:21], v[56:57], v[20:21], v[14:15] op_sel_hi:[0,1,1] neg_lo:[0,0,1] neg_hi:[0,0,1]
	v_dual_mov_b32 v14, v1 :: v_dual_mov_b32 v15, v0
	s_wait_dscnt 0x0
	v_dual_mov_b32 v29, v3 :: v_dual_mov_b32 v11, v9
	v_cvt_f32_i32_e32 v42, v79
	v_cvt_f32_i32_e32 v65, v172
	;; [unrolled: 1-line block ×5, first 2 shown]
	v_pk_fma_f32 v[150:151], v[56:57], v[154:155], v[150:151] op_sel_hi:[0,1,1] neg_lo:[0,0,1] neg_hi:[0,0,1]
	v_pk_fma_f32 v[48:49], v[58:59], v[66:67], v[48:49] op_sel_hi:[0,1,1] neg_lo:[0,0,1] neg_hi:[0,0,1]
	v_pk_mul_f32 v[44:45], v[44:45], v[158:159]
	v_pk_fma_f32 v[100:101], v[0:1], v[22:23], v[100:101]
	v_pk_fma_f32 v[98:99], v[0:1], v[24:25], v[98:99]
	v_pk_mul_f32 v[0:1], v[16:17], v[40:41]
	v_mov_b32_e32 v5, v2
	v_pk_fma_f32 v[36:37], v[56:57], v[36:37], v[12:13] op_sel_hi:[0,1,1] neg_lo:[0,0,1] neg_hi:[0,0,1]
	v_cvt_f32_i32_e32 v156, v91
	v_cvt_f32_i32_e32 v157, v81
	;; [unrolled: 1-line block ×3, first 2 shown]
	v_pk_fma_f32 v[50:51], v[58:59], v[64:65], v[50:51] op_sel_hi:[0,1,1] neg_lo:[0,0,1] neg_hi:[0,0,1]
	v_pk_fma_f32 v[58:59], v[58:59], v[78:79], v[46:47] op_sel_hi:[0,1,1] neg_lo:[0,0,1] neg_hi:[0,0,1]
	v_pk_fma_f32 v[96:97], v[28:29], v[20:21], v[96:97]
	v_dual_sub_f32 v20, v26, v27 :: v_dual_sub_f32 v21, v32, v33
	v_pk_fma_f32 v[68:69], v[10:11], v[150:151], v[68:69]
	v_pk_fma_f32 v[94:95], v[6:7], v[48:49], v[94:95]
	v_sub_f32_e32 v6, v44, v45
	v_dual_sub_f32 v11, v0, v1 :: v_dual_mov_b32 v34, v7
	v_dual_mov_b32 v12, v9 :: v_dual_mov_b32 v35, v3
	v_mov_b32_e32 v13, v10
	v_pk_fma_f32 v[54:55], v[148:149], v[152:153], v[54:55] op_sel_hi:[0,1,1] neg_lo:[0,0,1] neg_hi:[0,0,1]
	v_pk_fma_f32 v[52:53], v[148:149], v[156:157], v[52:53] op_sel_hi:[0,1,1] neg_lo:[0,0,1] neg_hi:[0,0,1]
	v_pk_fma_f32 v[46:47], v[56:57], v[62:63], v[60:61] neg_lo:[0,0,1] neg_hi:[0,0,1]
	v_pk_fma_f32 v[76:77], v[2:3], v[18:19], v[76:77]
	v_dual_mov_b32 v3, v4 :: v_dual_mul_f32 v1, v7, v20
	v_pk_fma_f32 v[84:85], v[4:5], v[36:37], v[84:85]
	v_pk_fma_f32 v[16:17], v[16:17], v[42:43], v[38:39] op_sel_hi:[0,1,1] neg_lo:[0,0,1] neg_hi:[0,0,1]
	v_pk_fma_f32 v[86:87], v[4:5], v[58:59], v[86:87]
	v_dual_mul_f32 v0, v10, v6 :: v_dual_mul_f32 v5, v7, v21
	v_mul_f32_e32 v4, v4, v11
	v_pk_fma_f32 v[92:93], v[34:35], v[30:31], v[92:93]
	s_set_vgpr_msb 0x50                     ;  msbs: dst=1 src0=0 src1=0 src2=1
	v_pk_fma_f32 v[168:169] /*v[424:425]*/, v[12:13], v[52:53], v[168:169] /*v[424:425]*/
	s_set_vgpr_msb 0                        ;  msbs: dst=0 src0=0 src1=0 src2=0
	v_pk_fma_f32 v[102:103], v[14:15], v[50:51], v[102:103]
	v_pk_fma_f32 v[70:71], v[8:9], v[46:47], v[70:71]
	;; [unrolled: 1-line block ×3, first 2 shown]
	s_set_vgpr_msb 0x50                     ;  msbs: dst=1 src0=0 src1=0 src2=1
	v_pk_fma_f32 v[170:171] /*v[426:427]*/, v[12:13], v[16:17], v[170:171] /*v[426:427]*/
	s_set_vgpr_msb 0                        ;  msbs: dst=0 src0=0 src1=0 src2=0
	v_pk_add_f32 v[74:75], v[74:75], v[0:1]
	v_pk_add_f32 v[88:89], v[88:89], v[4:5]
	s_cbranch_scc1 .LBB127_11
; %bb.12:                               ;   in Loop: Header=BB127_9 Depth=2
	s_set_vgpr_msb 16                       ;  msbs: dst=0 src0=0 src1=0 src2=1
	v_lshl_add_u32 v0, s16, 5, v167 /*v423*/
	v_lshl_add_u32 v1, s16, 2, v216 /*v472*/
	s_barrier_signal -1
	s_barrier_wait -1
	s_delay_alu instid0(VALU_DEP_2) | instskip(SKIP_1) | instid1(SALU_CYCLE_1)
	v_lshrrev_b32_e32 v0, 3, v0
	s_add_co_i32 s13, s13, 2
	s_lshl_b32 s16, s13, 3
	s_delay_alu instid0(VALU_DEP_1) | instskip(SKIP_2) | instid1(VALU_DEP_2)
	v_add_nc_u32_e32 v2, s12, v0
	v_mad_nc_u64_u32 v[0:1], v1, 36, s[2:3]
	s_set_vgpr_msb 4                        ;  msbs: dst=0 src0=0 src1=1 src2=0
	v_dual_add_nc_u32 v8, v2, v175 /*v431*/ :: v_dual_add_nc_u32 v3, v2, v180 /*v436*/
	v_dual_add_nc_u32 v4, v2, v173 /*v429*/ :: v_dual_add_nc_u32 v6, v2, v174 /*v430*/
	;; [unrolled: 1-line block ×4, first 2 shown]
	s_set_vgpr_msb 16                       ;  msbs: dst=0 src0=0 src1=0 src2=1
	v_mad_nc_i64_i32 v[2:3], v3, 36, v[202:203] /*v[458:459]*/
	v_mad_nc_i64_i32 v[4:5], v4, 36, v[202:203] /*v[458:459]*/
	;; [unrolled: 1-line block ×8, first 2 shown]
	s_clause 0x8
	global_load_b32 v18, v[0:1], off
	global_load_b32 v19, v[2:3], off offset:4
	global_load_b32 v20, v[4:5], off offset:4
	;; [unrolled: 1-line block ×8, first 2 shown]
	s_wait_loadcnt 0x8
	s_wait_xcnt 0x8
	v_cvt_f32_f16_e32 v0, v18
	s_wait_loadcnt 0x7
	s_set_vgpr_msb 1                        ;  msbs: dst=0 src0=1 src1=0 src2=0
	ds_store_b32 v199 /*v455*/, v19
	s_wait_loadcnt 0x6
	ds_store_b32 v192 /*v448*/, v20
	s_wait_loadcnt 0x5
	ds_store_b32 v193 /*v449*/, v21
	s_wait_loadcnt 0x4
	ds_store_b32 v194 /*v450*/, v22
	s_wait_loadcnt 0x3
	ds_store_b32 v195 /*v451*/, v23
	s_wait_loadcnt 0x2
	ds_store_b32 v196 /*v452*/, v24
	s_wait_loadcnt 0x1
	ds_store_b32 v197 /*v453*/, v25
	s_wait_loadcnt 0x0
	ds_store_b32 v198 /*v454*/, v26
	ds_store_b32 v172 /*v428*/, v0
	s_wait_dscnt 0x0
	s_barrier_signal -1
	s_barrier_wait -1
.LBB127_13:                             ;   Parent Loop BB127_7 Depth=1
                                        ;     Parent Loop BB127_9 Depth=2
                                        ; =>    This Inner Loop Header: Depth=3
	s_and_b32 s18, s15, 0x3ffffff8
	s_lshl_b32 s20, s15, 2
	s_wait_loadcnt 0x5
	s_set_vgpr_msb 16                       ;  msbs: dst=0 src0=0 src1=0 src2=1
	v_lshl_add_u32 v0, s18, 2, v212 /*v468*/
	s_and_b32 s19, s15, 0x7ffffffe
	s_and_b32 s20, s20, 24
	s_set_vgpr_msb 20                       ;  msbs: dst=0 src0=0 src1=1 src2=1
	s_clause 0x1
	scratch_store_b64 off, v[170:171] /*v[426:427]*/, off offset:8
	scratch_store_b64 off, v[168:169] /*v[424:425]*/, off
	s_lshr_b32 s21, s15, 2
	s_addk_co_i32 s19, 0x6200
	v_or_b32_e32 v1, s20, v211 /*v467*/
	v_or_b32_e32 v6, s20, v181 /*v437*/
	;; [unrolled: 1-line block ×5, first 2 shown]
	s_wait_loadcnt 0x0
	v_or_b32_e32 v12, s20, v187 /*v443*/
	ds_load_2addr_b32 v[64:65], v0 offset0:6 offset1:7
	s_and_b32 s18, s21, 0x3ffffffc
	v_add3_u32 v2, s19, v204 /*v460*/, v213 /*v469*/
	v_or_b32_e32 v10, s20, v185 /*v441*/
	v_or_b32_e32 v11, s20, v186 /*v442*/
	v_add3_u32 v3, s19, v205 /*v461*/, v188 /*v444*/
	ds_load_2addr_b32 v[66:67], v0 offset1:1
	ds_load_2addr_b32 v[162:163], v0 offset0:2 offset1:3
	ds_load_2addr_b32 v[160:161], v0 offset0:4 offset1:5
	s_addk_co_i32 s18, 0x7280
	v_add3_u32 v4, s19, v207 /*v463*/, v190 /*v446*/
	v_add3_u32 v5, s19, v209 /*v465*/, v200 /*v456*/
	;; [unrolled: 1-line block ×6, first 2 shown]
	s_set_vgpr_msb 0                        ;  msbs: dst=0 src0=0 src1=0 src2=0
	v_add_nc_u32_e32 v17, 0x1080, v0
	v_add_nc_u32_e32 v18, 0x1088, v0
	;; [unrolled: 1-line block ×12, first 2 shown]
	v_dual_lshlrev_b32 v0, 2, v1 :: v_dual_lshrrev_b32 v1, 1, v1
	v_dual_lshlrev_b32 v29, 2, v6 :: v_dual_lshrrev_b32 v6, 1, v6
	;; [unrolled: 1-line block ×8, first 2 shown]
	ds_load_u16 v83, v2
	ds_load_u16 v91, v3
	;; [unrolled: 1-line block ×4, first 2 shown]
	ds_load_b32 v107, v13
	ds_load_b32 v108, v15
	;; [unrolled: 1-line block ×4, first 2 shown]
	ds_load_2addr_b32 v[180:181], v21 offset1:1
	ds_load_2addr_b32 v[172:173], v22 offset1:1
	;; [unrolled: 1-line block ×12, first 2 shown]
	ds_load_b128 v[56:59], v0 offset:16896
	ds_load_b128 v[52:55], v0 offset:16912
	ds_load_b32 v157, v1 offset:30368
	ds_load_b128 v[60:63], v29 offset:16896
	ds_load_b32 v156, v6 offset:30368
	ds_load_b128 v[40:43], v29 offset:16912
	ds_load_b128 v[32:35], v30 offset:16896
	;; [unrolled: 1-line block ×3, first 2 shown]
	ds_load_b32 v149, v7 offset:30368
	ds_load_b128 v[8:11], v31 offset:16896
	ds_load_b32 v151, v36 offset:30368
	ds_load_b128 v[12:15], v31 offset:16912
	ds_load_b128 v[44:47], v39 offset:16896
	;; [unrolled: 1-line block ×3, first 2 shown]
	ds_load_b32 v153, v82 offset:30368
	ds_load_b128 v[16:19], v37 offset:16896
	ds_load_b128 v[20:23], v37 offset:16912
	ds_load_b32 v154, v38 offset:30368
	ds_load_b128 v[36:39], v78 offset:16896
	ds_load_b32 v148, v79 offset:30368
	ds_load_b128 v[28:31], v78 offset:16912
	ds_load_b128 v[4:7], v80 offset:16896
	ds_load_i8 v219, v80 offset:16911
	ds_load_b32 v158, v81 offset:30368
	ds_load_b128 v[0:3], v80 offset:16912
	ds_load_i8 v218, v80 offset:16927
	s_and_b32 s17, s15, 6
	s_wait_dscnt 0x19
	s_set_vgpr_msb 64                       ;  msbs: dst=1 src0=0 src1=0 src2=0
	v_bfe_i32 v121 /*v377*/, v57, 0, 8
	s_set_vgpr_msb 0                        ;  msbs: dst=0 src0=0 src1=0 src2=0
	v_dual_ashrrev_i32 v82, s17, v64 :: v_dual_ashrrev_i32 v78, s17, v65
	v_dual_ashrrev_i32 v64, s17, v66 :: v_dual_ashrrev_i32 v65, s17, v67
	;; [unrolled: 1-line block ×4, first 2 shown]
	s_delay_alu instid0(VALU_DEP_3)
	v_dual_ashrrev_i32 v245, 24, v58 :: v_dual_bitop2_b32 v152, 3, v65 bitop3:0x40
	v_bfe_u32 v67, v105, 4, 4
	v_bfe_u32 v79, v106, 4, 4
	v_dual_lshrrev_b32 v142, 16, v109 :: v_dual_bitop2_b32 v120, 15, v83 bitop3:0x40
	s_wait_dscnt 0x4
	v_lshrrev_b16 v145, 8, v5
	s_wait_dscnt 0x1
	s_set_vgpr_msb 64                       ;  msbs: dst=1 src0=0 src1=0 src2=0
	v_dual_ashrrev_i32 v90 /*v346*/, 24, v5 :: v_dual_ashrrev_i32 v32 /*v288*/, 24, v3
	v_bfe_i32 v146 /*v402*/, v5, 0, 8
	v_bfe_i32 v92 /*v348*/, v5, 16, 8
	s_set_vgpr_msb 0                        ;  msbs: dst=0 src0=0 src1=0 src2=0
	v_lshrrev_b16 v5, 8, v0
	v_dual_lshrrev_b32 v144, 16, v108 :: v_dual_bitop2_b32 v122, 15, v91 bitop3:0x40
	v_lshrrev_b16 v116, 8, v105
	v_dual_lshrrev_b32 v138, 16, v107 :: v_dual_bitop2_b32 v118, 15, v105 bitop3:0x40
	;; [unrolled: 2-line block ×3, first 2 shown]
	v_cvt_f32_f16_e64 v161, v109
	v_cvt_f32_f16_e64 v160, v108
	v_dual_ashrrev_i32 v117, s17, v184 :: v_dual_ashrrev_i32 v121, s17, v181
	v_dual_ashrrev_i32 v119, s17, v180 :: v_dual_ashrrev_i32 v123, s17, v178
	;; [unrolled: 1-line block ×3, first 2 shown]
	v_dual_ashrrev_i32 v127, s17, v166 :: v_dual_bitop2_b32 v81, 3, v64 bitop3:0x40
	s_set_vgpr_msb 64                       ;  msbs: dst=1 src0=0 src1=0 src2=0
	v_bfe_u32 v34 /*v290*/, v64, 24, 2
	s_set_vgpr_msb 0                        ;  msbs: dst=0 src0=0 src1=0 src2=0
	v_bfe_u32 v108, v64, 8, 2
	v_bfe_u32 v109, v64, 16, 2
	;; [unrolled: 1-line block ×5, first 2 shown]
	v_dual_ashrrev_i32 v132, 24, v57 :: v_dual_bitop2_b32 v64, 3, v66 bitop3:0x40
	v_bfe_i32 v128, v57, 8, 8
	v_bfe_i32 v130, v57, 16, 8
	s_set_vgpr_msb 64                       ;  msbs: dst=1 src0=0 src1=0 src2=0
	v_bfe_i32 v109 /*v365*/, v52, 0, 8
	v_bfe_i32 v33 /*v289*/, v5, 0, 8
	s_set_vgpr_msb 4                        ;  msbs: dst=0 src0=0 src1=1 src2=0
	v_mul_i32_i24_e32 v5, v152, v121 /*v377*/
	s_set_vgpr_msb 0                        ;  msbs: dst=0 src0=0 src1=0 src2=0
	v_lshrrev_b16 v113, 8, v83
	v_lshrrev_b16 v114, 8, v91
	v_bfe_u32 v133, v83, 4, 4
	v_bfe_u32 v83, v91, 4, 4
	v_cvt_f32_f16_e64 v162, v111
	v_dual_ashrrev_i32 v111, s17, v186 :: v_dual_ashrrev_i32 v115, s17, v187
	s_set_vgpr_msb 64                       ;  msbs: dst=1 src0=0 src1=0 src2=0
	v_dual_ashrrev_i32 v142 /*v398*/, s17, v176 :: v_dual_ashrrev_i32 v136 /*v392*/, s17, v185
	v_dual_ashrrev_i32 v131 /*v387*/, s17, v172 :: v_dual_ashrrev_i32 v128 /*v384*/, s17, v179
	s_set_vgpr_msb 0                        ;  msbs: dst=0 src0=0 src1=0 src2=0
	v_bfe_u32 v65, v66, 8, 2
	v_bfe_u32 v129, v66, 16, 2
	;; [unrolled: 1-line block ×3, first 2 shown]
	s_set_vgpr_msb 64                       ;  msbs: dst=1 src0=0 src1=0 src2=0
	v_bfe_i32 v104 /*v360*/, v52, 8, 8
	v_bfe_i32 v99 /*v355*/, v52, 16, 8
	v_dual_ashrrev_i32 v54 /*v310*/, 24, v52 :: v_dual_ashrrev_i32 v116 /*v372*/, 24, v61
	v_bfe_i32 v123 /*v379*/, v60, 0, 8
	s_set_vgpr_msb 0                        ;  msbs: dst=0 src0=0 src1=0 src2=0
	v_bfe_i32 v91, v60, 8, 8
	v_bfe_i32 v135, v60, 16, 8
	v_dual_ashrrev_i32 v134, 24, v60 :: v_dual_ashrrev_i32 v240, 24, v42
	s_set_vgpr_msb 64                       ;  msbs: dst=1 src0=0 src1=0 src2=0
	v_bfe_i32 v173 /*v429*/, v61, 0, 8
	s_set_vgpr_msb 0                        ;  msbs: dst=0 src0=0 src1=0 src2=0
	v_bfe_i32 v159, v61, 8, 8
	s_set_vgpr_msb 64                       ;  msbs: dst=1 src0=0 src1=0 src2=0
	v_bfe_i32 v115 /*v371*/, v61, 16, 8
	v_bfe_i32 v89 /*v345*/, v25, 0, 8
	;; [unrolled: 1-line block ×7, first 2 shown]
	s_set_vgpr_msb 0                        ;  msbs: dst=0 src0=0 src1=0 src2=0
	v_bfe_i32 v131, v8, 8, 8
	v_bfe_i32 v137, v8, 16, 8
	v_dual_ashrrev_i32 v192, 24, v8 :: v_dual_ashrrev_i32 v186, 24, v10
	v_bfe_i32 v8, v9, 0, 8
	s_set_vgpr_msb 64                       ;  msbs: dst=1 src0=0 src1=0 src2=0
	v_bfe_i32 v122 /*v378*/, v9, 8, 8
	v_bfe_i32 v117 /*v373*/, v9, 16, 8
	v_dual_ashrrev_i32 v118 /*v374*/, 24, v9 :: v_dual_ashrrev_i32 v66 /*v322*/, 24, v48
	s_set_vgpr_msb 0                        ;  msbs: dst=0 src0=0 src1=0 src2=0
	v_dual_ashrrev_i32 v57, 24, v59 :: v_dual_ashrrev_i32 v60, 24, v50
	s_set_vgpr_msb 64                       ;  msbs: dst=1 src0=0 src1=0 src2=0
	v_dual_ashrrev_i32 v78 /*v334*/, 24, v13 :: v_dual_ashrrev_i32 v145 /*v401*/, 24, v44
	v_dual_ashrrev_i32 v67 /*v323*/, 24, v49 :: v_dual_ashrrev_i32 v180 /*v436*/, 24, v16
	s_set_vgpr_msb 0                        ;  msbs: dst=0 src0=0 src1=0 src2=0
	v_bfe_i32 v61, v50, 16, 8
	v_bfe_i32 v252, v50, 8, 8
	s_set_vgpr_msb 64                       ;  msbs: dst=1 src0=0 src1=0 src2=0
	v_bfe_i32 v147 /*v403*/, v44, 0, 8
	v_bfe_i32 v149 /*v405*/, v44, 8, 8
	;; [unrolled: 1-line block ×3, first 2 shown]
	s_set_vgpr_msb 0                        ;  msbs: dst=0 src0=0 src1=0 src2=0
	v_bfe_i32 v254, v50, 0, 8
	v_bfe_i32 v222, v15, 0, 8
	v_bfe_i32 v224, v15, 8, 8
	v_bfe_i32 v44, v15, 16, 8
	v_bfe_i32 v9, v16, 0, 8
	v_bfe_i32 v139, v16, 8, 8
	v_bfe_i32 v141, v16, 16, 8
	s_set_vgpr_msb 64                       ;  msbs: dst=1 src0=0 src1=0 src2=0
	v_bfe_i32 v111 /*v367*/, v17, 16, 8
	v_dual_ashrrev_i32 v112 /*v368*/, 24, v17 :: v_dual_ashrrev_i32 v188 /*v444*/, 24, v36
	v_bfe_i32 v182 /*v438*/, v36, 0, 8
	s_set_vgpr_msb 0                        ;  msbs: dst=0 src0=0 src1=0 src2=0
	v_bfe_i32 v16, v36, 8, 8
	s_set_vgpr_msb 64                       ;  msbs: dst=1 src0=0 src1=0 src2=0
	v_bfe_i32 v187 /*v443*/, v36, 16, 8
	v_bfe_i32 v245 /*v501*/, v37, 0, 8
	v_bfe_i32 v189 /*v445*/, v37, 8, 8
	v_bfe_i32 v107 /*v363*/, v37, 16, 8
	v_dual_ashrrev_i32 v108 /*v364*/, 24, v37 :: v_dual_ashrrev_i32 v45 /*v301*/, 24, v28
	s_set_vgpr_msb 0                        ;  msbs: dst=0 src0=0 src1=0 src2=0
	v_bfe_i32 v228, v39, 8, 8
	v_dual_ashrrev_i32 v50, 24, v38 :: v_dual_ashrrev_i32 v36, 24, v39
	v_bfe_i32 v237, v39, 0, 8
	v_bfe_i32 v37, v39, 16, 8
	s_set_vgpr_msb 64                       ;  msbs: dst=1 src0=0 src1=0 src2=0
	v_dual_ashrrev_i32 v47 /*v303*/, 24, v25 :: v_dual_ashrrev_i32 v140 /*v396*/, 24, v4
	v_mul_lo_u32 v153 /*v409*/, 0x1010101, v67
	s_set_vgpr_msb 0                        ;  msbs: dst=0 src0=0 src1=0 src2=0
	v_bfe_i32 v172, v26, 16, 8
	v_dual_ashrrev_i32 v176, 24, v26 :: v_dual_bitop2_b32 v67, 3, v119 bitop3:0x40
	v_bfe_i32 v235, v31, 8, 8
	v_bfe_i32 v26, v31, 16, 8
	v_ashrrev_i32_e32 v25, 24, v31
	v_bfe_i32 v234, v31, 0, 8
	v_ashrrev_i32_e32 v31, 24, v15
	v_ashrrev_i32_e32 v15, 24, v19
	s_set_vgpr_msb 64                       ;  msbs: dst=1 src0=0 src1=0 src2=0
	v_bfe_u32 v29 /*v285*/, v119, 24, 2
	v_bfe_u32 v124 /*v380*/, v125, 16, 2
	;; [unrolled: 1-line block ×3, first 2 shown]
	v_lshrrev_b16 v80 /*v336*/, 8, v3
	v_bfe_u32 v162 /*v418*/, v117, 16, 2
	s_set_vgpr_msb 0                        ;  msbs: dst=0 src0=0 src1=0 src2=0
	v_bfe_u32 v203, v117, 24, 2
	s_set_vgpr_msb 64                       ;  msbs: dst=1 src0=0 src1=0 src2=0
	v_bfe_u32 v159 /*v415*/, v117, 8, 2
	s_set_vgpr_msb 0                        ;  msbs: dst=0 src0=0 src1=0 src2=0
	v_bfe_i32 v39, v3, 16, 8
	s_set_vgpr_msb 64                       ;  msbs: dst=1 src0=0 src1=0 src2=0
	v_bfe_i32 v28 /*v284*/, v3, 0, 8
	v_bfe_u32 v31 /*v287*/, v125, 24, 2
	v_dual_ashrrev_i32 v243 /*v499*/, s17, v175 :: v_dual_bitop2_b32 v199 /*v455*/, 3, v117 bitop3:0x40
	v_bfe_u32 v129 /*v385*/, v119, 8, 2
	s_set_vgpr_msb 0                        ;  msbs: dst=0 src0=0 src1=0 src2=0
	v_mul_i32_i24_e32 v117, v105, v130
	v_and_b32_e32 v3, 3, v125
	s_set_vgpr_msb 64                       ;  msbs: dst=1 src0=0 src1=0 src2=0
	v_bfe_u32 v127 /*v383*/, v125, 8, 2
	s_set_vgpr_msb 0                        ;  msbs: dst=0 src0=0 src1=0 src2=0
	v_mul_i32_i24_e32 v119, v106, v132
	s_set_vgpr_msb 4                        ;  msbs: dst=0 src0=0 src1=1 src2=0
	v_mul_i32_i24_e32 v125, v64, v109 /*v365*/
	s_set_vgpr_msb 0                        ;  msbs: dst=0 src0=0 src1=0 src2=0
	v_mad_i32_i24 v5, v150, v128, v5
	v_dual_ashrrev_i32 v242, 24, v62 :: v_dual_bitop2_b32 v80, 3, v136 bitop3:0x40
	v_bfe_i32 v155, v56, 0, 8
	s_set_vgpr_msb 64                       ;  msbs: dst=1 src0=0 src1=0 src2=0
	v_bfe_i32 v119 /*v375*/, v56, 8, 8
	v_bfe_i32 v120 /*v376*/, v56, 16, 8
	v_dual_ashrrev_i32 v25 /*v281*/, 24, v56 :: v_dual_ashrrev_i32 v58 /*v314*/, 24, v53
	s_set_vgpr_msb 0                        ;  msbs: dst=0 src0=0 src1=0 src2=0
	v_bfe_i32 v124, v58, 0, 8
	s_set_vgpr_msb 64                       ;  msbs: dst=1 src0=0 src1=0 src2=0
	v_bfe_i32 v24 /*v280*/, v58, 8, 8
	s_set_vgpr_msb 0                        ;  msbs: dst=0 src0=0 src1=0 src2=0
	v_bfe_i32 v244, v58, 16, 8
	v_bfe_i32 v246, v59, 0, 8
	;; [unrolled: 1-line block ×3, first 2 shown]
	s_set_vgpr_msb 64                       ;  msbs: dst=1 src0=0 src1=0 src2=0
	v_bfe_i32 v110 /*v366*/, v53, 0, 8
	v_bfe_i32 v106 /*v362*/, v53, 8, 8
	;; [unrolled: 1-line block ×5, first 2 shown]
	s_set_vgpr_msb 0                        ;  msbs: dst=0 src0=0 src1=0 src2=0
	v_bfe_i32 v229, v54, 16, 8
	v_bfe_i32 v250, v55, 0, 8
	;; [unrolled: 1-line block ×3, first 2 shown]
	s_set_vgpr_msb 64                       ;  msbs: dst=1 src0=0 src1=0 src2=0
	v_bfe_i32 v8 /*v264*/, v62, 0, 8
	v_bfe_i32 v9 /*v265*/, v62, 8, 8
	s_set_vgpr_msb 0                        ;  msbs: dst=0 src0=0 src1=0 src2=0
	v_bfe_i32 v241, v62, 16, 8
	v_bfe_i32 v243, v63, 0, 8
	;; [unrolled: 1-line block ×3, first 2 shown]
	s_set_vgpr_msb 64                       ;  msbs: dst=1 src0=0 src1=0 src2=0
	v_bfe_i32 v103 /*v359*/, v40, 0, 8
	v_bfe_i32 v96 /*v352*/, v40, 8, 8
	;; [unrolled: 1-line block ×3, first 2 shown]
	v_dual_ashrrev_i32 v95 /*v351*/, 24, v40 :: v_dual_ashrrev_i32 v97 /*v353*/, 24, v41
	v_bfe_i32 v10 /*v266*/, v42, 0, 8
	v_bfe_i32 v11 /*v267*/, v42, 8, 8
	s_set_vgpr_msb 0                        ;  msbs: dst=0 src0=0 src1=0 src2=0
	v_bfe_i32 v249, v42, 16, 8
	v_bfe_i32 v248, v43, 0, 8
	;; [unrolled: 1-line block ×4, first 2 shown]
	s_set_vgpr_msb 64                       ;  msbs: dst=1 src0=0 src1=0 src2=0
	v_bfe_i32 v174 /*v430*/, v32, 0, 8
	v_bfe_i32 v175 /*v431*/, v32, 8, 8
	s_set_vgpr_msb 0                        ;  msbs: dst=0 src0=0 src1=0 src2=0
	v_bfe_i32 v146, v32, 16, 8
	v_dual_ashrrev_i32 v189, 24, v32 :: v_dual_ashrrev_i32 v232, 24, v34
	s_set_vgpr_msb 64                       ;  msbs: dst=1 src0=0 src1=0 src2=0
	v_bfe_i32 v176 /*v432*/, v33, 0, 8
	v_bfe_i32 v181 /*v437*/, v33, 8, 8
	;; [unrolled: 1-line block ×3, first 2 shown]
	v_dual_ashrrev_i32 v114 /*v370*/, 24, v33 :: v_dual_ashrrev_i32 v76 /*v332*/, 24, v12
	v_bfe_i32 v2 /*v258*/, v34, 0, 8
	v_bfe_i32 v3 /*v259*/, v34, 8, 8
	s_set_vgpr_msb 0                        ;  msbs: dst=0 src0=0 src1=0 src2=0
	v_bfe_i32 v233, v34, 16, 8
	s_set_vgpr_msb 64                       ;  msbs: dst=1 src0=0 src1=0 src2=0
	v_bfe_i32 v82 /*v338*/, v12, 0, 8
	v_bfe_i32 v77 /*v333*/, v12, 8, 8
	;; [unrolled: 1-line block ×4, first 2 shown]
	s_set_vgpr_msb 0                        ;  msbs: dst=0 src0=0 src1=0 src2=0
	v_dual_ashrrev_i32 v184, 24, v54 :: v_dual_ashrrev_i32 v52, 24, v63
	v_bfe_i32 v53, v63, 16, 8
	v_bfe_i32 v56, v59, 16, 8
	s_set_vgpr_msb 64                       ;  msbs: dst=1 src0=0 src1=0 src2=0
	v_bfe_i32 v79 /*v335*/, v13, 8, 8
	v_bfe_i32 v75 /*v331*/, v13, 16, 8
	;; [unrolled: 1-line block ×4, first 2 shown]
	s_set_vgpr_msb 0                        ;  msbs: dst=0 src0=0 src1=0 src2=0
	v_bfe_i32 v182, v14, 16, 8
	v_bfe_i32 v33, v51, 16, 8
	;; [unrolled: 1-line block ×3, first 2 shown]
	v_dual_ashrrev_i32 v55, 24, v55 :: v_dual_ashrrev_i32 v58, 24, v46
	v_dual_ashrrev_i32 v32, 24, v51 :: v_dual_ashrrev_i32 v183, 24, v14
	s_set_vgpr_msb 64                       ;  msbs: dst=1 src0=0 src1=0 src2=0
	v_bfe_i32 v64 /*v320*/, v48, 16, 8
	v_bfe_i32 v65 /*v321*/, v49, 16, 8
	;; [unrolled: 1-line block ×5, first 2 shown]
	s_set_vgpr_msb 0                        ;  msbs: dst=0 src0=0 src1=0 src2=0
	v_bfe_i32 v253, v46, 0, 8
	v_bfe_i32 v13, v46, 8, 8
	;; [unrolled: 1-line block ×3, first 2 shown]
	s_set_vgpr_msb 64                       ;  msbs: dst=1 src0=0 src1=0 src2=0
	v_bfe_i32 v17 /*v273*/, v47, 0, 8
	v_bfe_i32 v16 /*v272*/, v47, 8, 8
	s_set_vgpr_msb 0                        ;  msbs: dst=0 src0=0 src1=0 src2=0
	v_bfe_i32 v40, v47, 16, 8
	s_set_vgpr_msb 64                       ;  msbs: dst=1 src0=0 src1=0 src2=0
	v_bfe_i32 v68 /*v324*/, v48, 0, 8
	v_bfe_i32 v70 /*v326*/, v49, 0, 8
	;; [unrolled: 1-line block ×3, first 2 shown]
	s_set_vgpr_msb 0                        ;  msbs: dst=0 src0=0 src1=0 src2=0
	v_dual_ashrrev_i32 v34, 24, v47 :: v_dual_ashrrev_i32 v179, 24, v18
	v_dual_ashrrev_i32 v46, 24, v43 :: v_dual_ashrrev_i32 v181, 24, v22
	v_bfe_i32 v12, v17, 8, 8
	v_bfe_i32 v178, v18, 16, 8
	;; [unrolled: 1-line block ×3, first 2 shown]
	s_set_vgpr_msb 64                       ;  msbs: dst=1 src0=0 src1=0 src2=0
	v_bfe_i32 v59 /*v315*/, v21, 0, 8
	v_bfe_i32 v39 /*v295*/, v21, 8, 8
	;; [unrolled: 1-line block ×3, first 2 shown]
	v_dual_ashrrev_i32 v52 /*v308*/, 24, v21 :: v_dual_ashrrev_i32 v43 /*v299*/, 24, v24
	v_bfe_i32 v14 /*v270*/, v22, 0, 8
	v_bfe_i32 v15 /*v271*/, v22, 8, 8
	s_set_vgpr_msb 0                        ;  msbs: dst=0 src0=0 src1=0 src2=0
	v_bfe_i32 v180, v22, 16, 8
	v_bfe_i32 v21, v38, 8, 8
	;; [unrolled: 1-line block ×4, first 2 shown]
	v_dual_ashrrev_i32 v38, 24, v35 :: v_dual_ashrrev_i32 v62, 24, v30
	v_bfe_i32 v51, v30, 16, 8
	s_set_vgpr_msb 1                        ;  msbs: dst=0 src0=1 src1=0 src2=0
	v_add_nc_u32_e32 v14, v111 /*v367*/, v141
	s_set_vgpr_msb 64                       ;  msbs: dst=1 src0=0 src1=0 src2=0
	v_bfe_i32 v18 /*v274*/, v30, 0, 8
	v_bfe_i32 v19 /*v275*/, v30, 8, 8
	s_set_vgpr_msb 0                        ;  msbs: dst=0 src0=0 src1=0 src2=0
	v_dual_ashrrev_i32 v30, 24, v11 :: v_dual_ashrrev_i32 v166, 24, v2
	s_set_vgpr_msb 64                       ;  msbs: dst=1 src0=0 src1=0 src2=0
	v_lshrrev_b16 v138 /*v394*/, 8, v6
	s_set_vgpr_msb 0                        ;  msbs: dst=0 src0=0 src1=0 src2=0
	v_ashrrev_i32_e32 v47, 24, v6
	s_set_vgpr_msb 64                       ;  msbs: dst=1 src0=0 src1=0 src2=0
	v_bfe_u32 v126 /*v382*/, v111, 16, 2
	v_bfe_u32 v30 /*v286*/, v111, 24, 2
	s_set_vgpr_msb 0                        ;  msbs: dst=0 src0=0 src1=0 src2=0
	v_bfe_i32 v48, v6, 16, 8
	s_set_vgpr_msb 64                       ;  msbs: dst=1 src0=0 src1=0 src2=0
	v_bfe_i32 v21 /*v277*/, v6, 0, 8
	v_bfe_u32 v91 /*v347*/, v126, 16, 2
	v_lshrrev_b16 v49 /*v305*/, 8, v2
	v_dual_ashrrev_i32 v61 /*v317*/, 24, v1 :: v_dual_bitop2_b32 v252 /*v508*/, 3, v126 bitop3:0x40
	s_set_vgpr_msb 0                        ;  msbs: dst=0 src0=0 src1=0 src2=0
	v_bfe_i32 v63, v2, 16, 8
	v_bfe_i32 v255, v2, 0, 8
	s_set_vgpr_msb 64                       ;  msbs: dst=1 src0=0 src1=0 src2=0
	v_bfe_u32 v94 /*v350*/, v126, 24, 2
	s_set_vgpr_msb 0                        ;  msbs: dst=0 src0=0 src1=0 src2=0
	v_and_b32_e32 v2, 3, v111
	s_set_vgpr_msb 64                       ;  msbs: dst=1 src0=0 src1=0 src2=0
	v_bfe_u32 v130 /*v386*/, v111, 8, 2
	s_set_vgpr_msb 4                        ;  msbs: dst=0 src0=0 src1=1 src2=0
	v_mul_i32_i24_e32 v6, v66, v54 /*v310*/
	v_mul_i32_i24_e32 v111, v129, v99 /*v355*/
	s_set_vgpr_msb 64                       ;  msbs: dst=1 src0=0 src1=0 src2=0
	v_bfe_u32 v255 /*v511*/, v126, 8, 2
	s_set_vgpr_msb 4                        ;  msbs: dst=0 src0=0 src1=1 src2=0
	v_mul_i32_i24_e32 v126, v81, v123 /*v379*/
	s_set_vgpr_msb 64                       ;  msbs: dst=1 src0=0 src1=0 src2=0
	v_add3_u32 v192 /*v448*/, v5, v117, v119
	s_set_vgpr_msb 4                        ;  msbs: dst=0 src0=0 src1=1 src2=0
	v_mad_i32_i24 v5, v65, v104 /*v360*/, v125
	v_cvt_f32_f16_e64 v163, v107
	v_bfe_i32 v236, v27, 0, 8
	s_set_vgpr_msb 64                       ;  msbs: dst=1 src0=0 src1=0 src2=0
	v_bfe_i32 v13 /*v269*/, v18, 8, 8
	s_set_vgpr_msb 0                        ;  msbs: dst=0 src0=0 src1=0 src2=0
	v_bfe_i32 v227, v19, 8, 8
	s_set_vgpr_msb 64                       ;  msbs: dst=1 src0=0 src1=0 src2=0
	v_bfe_i32 v44 /*v300*/, v28, 0, 8
	v_bfe_i32 v62 /*v318*/, v28, 8, 8
	;; [unrolled: 1-line block ×3, first 2 shown]
	s_set_vgpr_msb 0                        ;  msbs: dst=0 src0=0 src1=0 src2=0
	v_bfe_i32 v230, v27, 8, 8
	v_bfe_i32 v28, v27, 16, 8
	v_ashrrev_i32_e32 v27, 24, v27
	s_set_vgpr_msb 64                       ;  msbs: dst=1 src0=0 src1=0 src2=0
	v_add3_u32 v156 /*v412*/, v14, v178, v43
	s_set_vgpr_msb 0                        ;  msbs: dst=0 src0=0 src1=0 src2=0
	v_lshrrev_b16 v143, 8, v4
	v_add_nc_u32_e32 v14, v12, v139
	v_bfe_u32 v107, v127, 16, 2
	v_bfe_u32 v214, v127, 24, 2
	v_mul_i32_i24_e32 v213, v109, v135
	s_set_vgpr_msb 1                        ;  msbs: dst=0 src0=1 src1=0 src2=0
	v_mul_i32_i24_e32 v215, v34 /*v290*/, v134
	s_set_vgpr_msb 64                       ;  msbs: dst=1 src0=0 src1=0 src2=0
	v_dual_ashrrev_i32 v228 /*v484*/, s17, v170 :: v_dual_bitop2_b32 v163 /*v419*/, 3, v127 bitop3:0x40
	v_bfe_u32 v185 /*v441*/, v127, 8, 2
	s_set_vgpr_msb 4                        ;  msbs: dst=0 src0=0 src1=1 src2=0
	v_mul_i32_i24_e32 v127, v64, v103 /*v359*/
	s_set_vgpr_msb 64                       ;  msbs: dst=1 src0=0 src1=0 src2=0
	v_add3_u32 v166 /*v422*/, v5, v111, v6
	s_set_vgpr_msb 0                        ;  msbs: dst=0 src0=0 src1=0 src2=0
	v_mad_i32_i24 v111, v108, v91, v126
	s_set_vgpr_msb 64                       ;  msbs: dst=1 src0=0 src1=0 src2=0
	v_bfe_i32 v105 /*v361*/, v41, 0, 8
	v_bfe_i32 v98 /*v354*/, v41, 8, 8
	;; [unrolled: 1-line block ×3, first 2 shown]
	s_set_vgpr_msb 0                        ;  msbs: dst=0 src0=0 src1=0 src2=0
	v_bfe_i32 v220, v10, 16, 8
	v_bfe_i32 v41, v11, 16, 8
	s_set_vgpr_msb 64                       ;  msbs: dst=1 src0=0 src1=0 src2=0
	v_dual_ashrrev_i32 v240 /*v496*/, s17, v177 :: v_dual_bitop2_b32 v197 /*v453*/, 3, v115 bitop3:0x40
	s_set_vgpr_msb 4                        ;  msbs: dst=0 src0=0 src1=1 src2=0
	v_mul_i32_i24_e32 v212, v66, v95 /*v351*/
	s_set_vgpr_msb 64                       ;  msbs: dst=1 src0=0 src1=0 src2=0
	v_bfe_i32 v151 /*v407*/, v143, 0, 8
	s_set_vgpr_msb 4                        ;  msbs: dst=0 src0=0 src1=1 src2=0
	v_mul_i32_i24_e32 v143, v129, v85 /*v341*/
	v_mul_i32_i24_e32 v216, v81, v174 /*v430*/
	s_set_vgpr_msb 64                       ;  msbs: dst=1 src0=0 src1=0 src2=0
	v_add3_u32 v178 /*v434*/, v111, v213, v215
	s_set_vgpr_msb 4                        ;  msbs: dst=0 src0=0 src1=1 src2=0
	v_mad_i32_i24 v111, v65, v96 /*v352*/, v127
	s_set_vgpr_msb 0                        ;  msbs: dst=0 src0=0 src1=0 src2=0
	v_and_b32_e32 v177, 15, v114
	s_set_vgpr_msb 0x44                     ;  msbs: dst=1 src0=0 src1=1 src2=0
	v_add3_u32 v158 /*v414*/, v14, v13 /*v269*/, v227
	s_set_vgpr_msb 1                        ;  msbs: dst=0 src0=1 src1=0 src2=0
	v_add_nc_u32_e32 v14, v117 /*v373*/, v137
	s_set_vgpr_msb 64                       ;  msbs: dst=1 src0=0 src1=0 src2=0
	v_bfe_u32 v86 /*v342*/, v121, 16, 2
	v_bfe_u32 v93 /*v349*/, v121, 24, 2
	;; [unrolled: 1-line block ×4, first 2 shown]
	v_add3_u32 v161 /*v417*/, v14, v220, v41
	v_bfe_u32 v102 /*v358*/, v115, 24, 2
	s_set_vgpr_msb 0                        ;  msbs: dst=0 src0=0 src1=0 src2=0
	v_bfe_u32 v14, v115, 8, 2
	s_set_vgpr_msb 64                       ;  msbs: dst=1 src0=0 src1=0 src2=0
	v_dual_ashrrev_i32 v244 /*v500*/, s17, v174 :: v_dual_bitop2_b32 v195 /*v451*/, 3, v121 bitop3:0x40
	s_set_vgpr_msb 1                        ;  msbs: dst=0 src0=1 src1=0 src2=0
	v_mul_i32_i24_e32 v121, v34 /*v290*/, v189
	s_set_vgpr_msb 0                        ;  msbs: dst=0 src0=0 src1=0 src2=0
	v_mul_i32_i24_e32 v115, v109, v146
	s_set_vgpr_msb 0x44                     ;  msbs: dst=1 src0=0 src1=1 src2=0
	v_mul_i32_i24_e32 v135 /*v391*/, v81, v167 /*v423*/
	s_set_vgpr_msb 64                       ;  msbs: dst=1 src0=0 src1=0 src2=0
	v_add3_u32 v177 /*v433*/, v111, v143, v212
	s_set_vgpr_msb 4                        ;  msbs: dst=0 src0=0 src1=1 src2=0
	v_mad_i32_i24 v111, v108, v175 /*v431*/, v216
	s_set_vgpr_msb 1                        ;  msbs: dst=0 src0=1 src1=0 src2=0
	v_mul_i32_i24_e32 v211, v34 /*v290*/, v192
	s_set_vgpr_msb 64                       ;  msbs: dst=1 src0=0 src1=0 src2=0
	v_mul_i32_i24_e32 v154 /*v410*/, v109, v137
	s_set_vgpr_msb 0x44                     ;  msbs: dst=1 src0=0 src1=1 src2=0
	v_mul_i32_i24_e32 v157 /*v413*/, v64, v82 /*v338*/
	v_bfe_i32 v88 /*v344*/, v24, 0, 8
	s_set_vgpr_msb 64                       ;  msbs: dst=1 src0=0 src1=0 src2=0
	v_add3_u32 v164 /*v420*/, v111, v115, v121
	s_set_vgpr_msb 16                       ;  msbs: dst=0 src0=0 src1=0 src2=1
	v_mad_i32_i24 v111, v108, v131, v135 /*v391*/
	s_set_vgpr_msb 64                       ;  msbs: dst=1 src0=0 src1=0 src2=0
	v_bfe_i32 v55 /*v311*/, v20, 0, 8
	v_bfe_i32 v143 /*v399*/, v4, 0, 8
	;; [unrolled: 1-line block ×3, first 2 shown]
	s_set_vgpr_msb 0                        ;  msbs: dst=0 src0=0 src1=0 src2=0
	v_lshrrev_b16 v4, 8, v1
	s_set_vgpr_msb 64                       ;  msbs: dst=1 src0=0 src1=0 src2=0
	v_bfe_i32 v57 /*v313*/, v0, 0, 8
	v_bfe_i32 v53 /*v309*/, v1, 16, 8
	;; [unrolled: 1-line block ×3, first 2 shown]
	s_set_vgpr_msb 4                        ;  msbs: dst=0 src0=0 src1=1 src2=0
	v_mul_i32_i24_e32 v1, v66, v76 /*v332*/
	s_wait_xcnt 0x0
	s_set_vgpr_msb 0x44                     ;  msbs: dst=1 src0=0 src1=1 src2=0
	v_mul_i32_i24_e32 v169 /*v425*/, v129, v72 /*v328*/
	v_mul_i32_i24_e32 v172 /*v428*/, v81, v147 /*v403*/
	v_add3_u32 v165 /*v421*/, v111, v154 /*v410*/, v211
	s_set_vgpr_msb 20                       ;  msbs: dst=0 src0=0 src1=1 src2=1
	v_mad_i32_i24 v111, v65, v77 /*v333*/, v157 /*v413*/
	s_set_vgpr_msb 64                       ;  msbs: dst=1 src0=0 src1=0 src2=0
	v_dual_ashrrev_i32 v71 /*v327*/, 24, v45 :: v_dual_ashrrev_i32 v51 /*v307*/, 24, v20
	v_dual_ashrrev_i32 v48 /*v304*/, 24, v29 :: v_dual_ashrrev_i32 v56 /*v312*/, 24, v0
	v_bfe_i32 v50 /*v306*/, v0, 16, 8
	s_set_vgpr_msb 5                        ;  msbs: dst=0 src0=1 src1=1 src2=0
	v_mul_i32_i24_e32 v210, v34 /*v290*/, v145 /*v401*/
	s_set_vgpr_msb 4                        ;  msbs: dst=0 src0=0 src1=1 src2=0
	v_mul_i32_i24_e32 v217, v64, v88 /*v344*/
	s_set_vgpr_msb 0x44                     ;  msbs: dst=1 src0=0 src1=1 src2=0
	v_mul_i32_i24_e32 v179 /*v435*/, v109, v144 /*v400*/
	v_mul_i32_i24_e32 v201 /*v457*/, v64, v68 /*v324*/
	;; [unrolled: 1-line block ×3, first 2 shown]
	s_set_vgpr_msb 4                        ;  msbs: dst=0 src0=0 src1=1 src2=0
	v_mul_i32_i24_e32 v117, v64, v44 /*v300*/
	v_mul_i32_i24_e32 v64, v64, v57 /*v313*/
	v_add3_u32 v1, v111, v169 /*v425*/, v1
	s_set_vgpr_msb 20                       ;  msbs: dst=0 src0=0 src1=1 src2=1
	v_mad_i32_i24 v111, v108, v149 /*v405*/, v172 /*v428*/
	v_mul_i32_i24_e32 v204, v129, v50 /*v306*/
	v_mul_i32_i24_e32 v208, v66, v51 /*v307*/
	;; [unrolled: 1-line block ×3, first 2 shown]
	s_set_vgpr_msb 0x44                     ;  msbs: dst=1 src0=0 src1=1 src2=0
	v_mul_i32_i24_e32 v202 /*v458*/, v129, v64 /*v320*/
	s_set_vgpr_msb 64                       ;  msbs: dst=1 src0=0 src1=0 src2=0
	v_mul_i32_i24_e32 v203 /*v459*/, v81, v9
	s_set_vgpr_msb 0x44                     ;  msbs: dst=1 src0=0 src1=1 src2=0
	v_mul_i32_i24_e32 v210 /*v466*/, v66, v43 /*v299*/
	v_mul_i32_i24_e32 v211 /*v467*/, v66, v45 /*v301*/
	s_set_vgpr_msb 4                        ;  msbs: dst=0 src0=0 src1=1 src2=0
	v_mul_i32_i24_e32 v66, v66, v56 /*v312*/
	s_set_vgpr_msb 0x44                     ;  msbs: dst=1 src0=0 src1=1 src2=0
	v_add3_u32 v179 /*v435*/, v111, v179 /*v435*/, v210
	s_set_vgpr_msb 20                       ;  msbs: dst=0 src0=0 src1=1 src2=1
	v_mad_i32_i24 v111, v65, v73 /*v329*/, v201 /*v457*/
	s_set_vgpr_msb 5                        ;  msbs: dst=0 src0=1 src1=1 src2=0
	v_mul_i32_i24_e32 v115, v197 /*v453*/, v121 /*v377*/
	s_set_vgpr_msb 4                        ;  msbs: dst=0 src0=0 src1=1 src2=0
	v_mad_i32_i24 v64, v65, v33 /*v289*/, v64
	s_set_vgpr_msb 64                       ;  msbs: dst=1 src0=0 src1=0 src2=0
	v_bfe_i32 v35 /*v291*/, v24, 16, 8
	v_bfe_i32 v37 /*v293*/, v20, 8, 8
	;; [unrolled: 1-line block ×3, first 2 shown]
	s_set_vgpr_msb 1                        ;  msbs: dst=0 src0=1 src1=0 src2=0
	v_mul_i32_i24_e32 v201, v101 /*v357*/, v130
	v_mul_i32_i24_e32 v202, v102 /*v358*/, v132
	s_set_vgpr_msb 64                       ;  msbs: dst=1 src0=0 src1=0 src2=0
	v_dual_ashrrev_i32 v237 /*v493*/, s17, v173 :: v_dual_bitop2_b32 v194 /*v450*/, 3, v123 bitop3:0x40
	v_mul_i32_i24_e32 v204 /*v460*/, v109, v141
	s_set_vgpr_msb 0x45                     ;  msbs: dst=1 src0=1 src1=1 src2=0
	v_mul_i32_i24_e32 v205 /*v461*/, v34 /*v290*/, v180 /*v436*/
	s_set_vgpr_msb 0x44                     ;  msbs: dst=1 src0=0 src1=1 src2=0
	v_add3_u32 v227 /*v483*/, v111, v202 /*v458*/, v209
	s_set_vgpr_msb 16                       ;  msbs: dst=0 src0=0 src1=0 src2=1
	v_mad_i32_i24 v111, v108, v139, v203 /*v459*/
	s_set_vgpr_msb 64                       ;  msbs: dst=1 src0=0 src1=0 src2=0
	v_add3_u32 v220 /*v476*/, v64, v204, v66
	s_set_vgpr_msb 5                        ;  msbs: dst=0 src0=1 src1=1 src2=0
	v_mul_i32_i24_e32 v66, v199 /*v455*/, v109 /*v365*/
	s_set_vgpr_msb 0                        ;  msbs: dst=0 src0=0 src1=0 src2=0
	v_mad_i32_i24 v115, v14, v128, v115
	s_set_vgpr_msb 64                       ;  msbs: dst=1 src0=0 src1=0 src2=0
	v_bfe_u32 v155 /*v411*/, v123, 24, 2
	v_bfe_u32 v160 /*v416*/, v123, 16, 2
	s_set_vgpr_msb 5                        ;  msbs: dst=0 src0=1 src1=1 src2=0
	v_mul_i32_i24_e32 v199, v162 /*v418*/, v99 /*v355*/
	s_set_vgpr_msb 4                        ;  msbs: dst=0 src0=0 src1=1 src2=0
	v_mul_i32_i24_e32 v200, v203, v54 /*v310*/
	v_mul_i32_i24_e32 v206, v129, v38 /*v294*/
	v_mul_i32_i24_e32 v0, v129, v35 /*v291*/
	s_set_vgpr_msb 64                       ;  msbs: dst=1 src0=0 src1=0 src2=0
	v_bfe_u32 v196 /*v452*/, v123, 8, 2
	s_set_vgpr_msb 4                        ;  msbs: dst=0 src0=0 src1=1 src2=0
	v_mul_i32_i24_e32 v129, v129, v41 /*v297*/
	s_set_vgpr_msb 0x54                     ;  msbs: dst=1 src0=0 src1=1 src2=1
	v_mul_i32_i24_e32 v208 /*v464*/, v81, v182 /*v438*/
	v_add3_u32 v229 /*v485*/, v111, v204 /*v460*/, v205 /*v461*/
	s_set_vgpr_msb 20                       ;  msbs: dst=0 src0=0 src1=1 src2=1
	v_mad_i32_i24 v111, v65, v37 /*v293*/, v206 /*v462*/
	s_set_vgpr_msb 64                       ;  msbs: dst=1 src0=0 src1=0 src2=0
	v_add3_u32 v172 /*v428*/, v115, v201, v202
	s_set_vgpr_msb 5                        ;  msbs: dst=0 src0=1 src1=1 src2=0
	v_mul_i32_i24_e32 v201, v194 /*v450*/, v109 /*v365*/
	v_mad_i32_i24 v66, v159 /*v415*/, v104 /*v360*/, v66
	s_set_vgpr_msb 64                       ;  msbs: dst=1 src0=0 src1=0 src2=0
	v_bfe_i32 v81 /*v337*/, v24, 8, 8
	v_bfe_i32 v4 /*v260*/, v10, 0, 8
	;; [unrolled: 1-line block ×3, first 2 shown]
	s_set_vgpr_msb 0                        ;  msbs: dst=0 src0=0 src1=0 src2=0
	v_bfe_i32 v187, v11, 0, 8
	v_bfe_i32 v185, v11, 8, 8
	s_set_vgpr_msb 64                       ;  msbs: dst=1 src0=0 src1=0 src2=0
	v_bfe_i32 v148 /*v404*/, v45, 0, 8
	v_bfe_i32 v150 /*v406*/, v45, 8, 8
	;; [unrolled: 1-line block ×3, first 2 shown]
	s_set_vgpr_msb 0                        ;  msbs: dst=0 src0=0 src1=0 src2=0
	v_bfe_i32 v10, v17, 0, 8
	v_bfe_i32 v226, v23, 0, 8
	;; [unrolled: 1-line block ×4, first 2 shown]
	s_set_vgpr_msb 64                       ;  msbs: dst=1 src0=0 src1=0 src2=0
	v_bfe_i32 v46 /*v302*/, v29, 0, 8
	v_bfe_i32 v63 /*v319*/, v29, 8, 8
	;; [unrolled: 1-line block ×3, first 2 shown]
	s_set_vgpr_msb 0                        ;  msbs: dst=0 src0=0 src1=0 src2=0
	v_ashrrev_i32_e32 v11, 24, v23
	s_set_vgpr_msb 64                       ;  msbs: dst=1 src0=0 src1=0 src2=0
	v_lshrrev_b16 v139 /*v395*/, 8, v7
	s_set_vgpr_msb 0                        ;  msbs: dst=0 src0=0 src1=0 src2=0
	v_ashrrev_i32_e32 v23, 24, v7
	v_bfe_i32 v29, v7, 16, 8
	s_set_vgpr_msb 5                        ;  msbs: dst=0 src0=1 src1=1 src2=0
	v_mul_i32_i24_e32 v196, v160 /*v416*/, v99 /*v355*/
	s_set_vgpr_msb 64                       ;  msbs: dst=1 src0=0 src1=0 src2=0
	v_bfe_i32 v27 /*v283*/, v7, 0, 8
	s_set_vgpr_msb 5                        ;  msbs: dst=0 src0=1 src1=1 src2=0
	v_mul_i32_i24_e32 v7, v155 /*v411*/, v54 /*v310*/
	s_set_vgpr_msb 4                        ;  msbs: dst=0 src0=0 src1=1 src2=0
	v_mul_i32_i24_e32 v207, v109, v187 /*v443*/
	s_set_vgpr_msb 0x45                     ;  msbs: dst=1 src0=1 src1=1 src2=0
	v_mul_i32_i24_e32 v209 /*v465*/, v34 /*v290*/, v188 /*v444*/
	s_set_vgpr_msb 64                       ;  msbs: dst=1 src0=0 src1=0 src2=0
	v_add3_u32 v225 /*v481*/, v111, v129, v208
	s_set_vgpr_msb 16                       ;  msbs: dst=0 src0=0 src1=0 src2=1
	v_mad_i32_i24 v111, v108, v16, v208 /*v464*/
	s_set_vgpr_msb 5                        ;  msbs: dst=0 src0=1 src1=1 src2=0
	v_mul_i32_i24_e32 v115, v195 /*v451*/, v121 /*v377*/
	s_set_vgpr_msb 64                       ;  msbs: dst=1 src0=0 src1=0 src2=0
	v_add3_u32 v208 /*v464*/, v66, v199, v200
	s_set_vgpr_msb 5                        ;  msbs: dst=0 src0=1 src1=1 src2=0
	v_mul_i32_i24_e32 v66, v252 /*v508*/, v121 /*v377*/
	v_mad_i32_i24 v200, v196 /*v452*/, v104 /*v360*/, v201
	s_set_vgpr_msb 1                        ;  msbs: dst=0 src0=1 src1=0 src2=0
	v_mul_i32_i24_e32 v195, v91 /*v347*/, v130
	v_mul_i32_i24_e32 v197, v86 /*v342*/, v130
	;; [unrolled: 1-line block ×3, first 2 shown]
	s_set_vgpr_msb 0x50                     ;  msbs: dst=1 src0=0 src1=0 src2=1
	v_add3_u32 v226 /*v482*/, v111, v207, v209 /*v465*/
	s_set_vgpr_msb 4                        ;  msbs: dst=0 src0=0 src1=1 src2=0
	v_mad_i32_i24 v111, v65, v81 /*v337*/, v217
	s_set_vgpr_msb 1                        ;  msbs: dst=0 src0=1 src1=0 src2=0
	v_mul_i32_i24_e32 v64, v94 /*v350*/, v132
	s_set_vgpr_msb 5                        ;  msbs: dst=0 src0=1 src1=1 src2=0
	v_mul_i32_i24_e32 v199, v163 /*v419*/, v109 /*v365*/
	s_set_vgpr_msb 1                        ;  msbs: dst=0 src0=1 src1=0 src2=0
	v_mad_i32_i24 v115, v193 /*v449*/, v128, v115
	s_set_vgpr_msb 64                       ;  msbs: dst=1 src0=0 src1=0 src2=0
	v_add3_u32 v201 /*v457*/, v200, v196, v7
	s_set_vgpr_msb 1                        ;  msbs: dst=0 src0=1 src1=0 src2=0
	v_mad_i32_i24 v7, v255 /*v511*/, v128, v66
	s_set_vgpr_msb 4                        ;  msbs: dst=0 src0=0 src1=1 src2=0
	v_mul_i32_i24_e32 v194, v107, v99 /*v355*/
	s_set_vgpr_msb 16                       ;  msbs: dst=0 src0=0 src1=0 src2=1
	v_add3_u32 v0, v111, v0, v210 /*v466*/
	s_set_vgpr_msb 4                        ;  msbs: dst=0 src0=0 src1=1 src2=0
	v_mad_i32_i24 v111, v65, v62 /*v318*/, v117
	v_mul_i32_i24_e32 v65, v214, v54 /*v310*/
	s_set_vgpr_msb 0                        ;  msbs: dst=0 src0=0 src1=0 src2=0
	v_add3_u32 v115, v115, v197, v198
	s_set_vgpr_msb 4                        ;  msbs: dst=0 src0=0 src1=1 src2=0
	v_mul_i32_i24_e32 v197, v2, v123 /*v379*/
	v_mul_i32_i24_e32 v196, v67, v123 /*v379*/
	s_set_vgpr_msb 0                        ;  msbs: dst=0 src0=0 src1=0 src2=0
	v_add3_u32 v7, v7, v195, v64
	s_set_vgpr_msb 5                        ;  msbs: dst=0 src0=1 src1=1 src2=0
	v_mad_i32_i24 v195, v185 /*v441*/, v104 /*v360*/, v199
	s_set_vgpr_msb 1                        ;  msbs: dst=0 src0=1 src1=0 src2=0
	v_mul_i32_i24_e32 v190, v125 /*v381*/, v135
	v_mul_i32_i24_e32 v191, v126 /*v382*/, v135
	;; [unrolled: 1-line block ×5, first 2 shown]
	s_set_vgpr_msb 5                        ;  msbs: dst=0 src0=1 src1=1 src2=0
	v_mul_i32_i24_e32 v198, v199 /*v455*/, v103 /*v359*/
	v_mul_i32_i24_e32 v200, v194 /*v450*/, v103 /*v359*/
	s_set_vgpr_msb 64                       ;  msbs: dst=1 src0=0 src1=0 src2=0
	v_add3_u32 v202 /*v458*/, v195, v194, v65
	s_set_vgpr_msb 4                        ;  msbs: dst=0 src0=0 src1=1 src2=0
	v_mul_i32_i24_e32 v65, v3, v123 /*v379*/
	s_set_vgpr_msb 1                        ;  msbs: dst=0 src0=1 src1=0 src2=0
	v_mad_i32_i24 v195, v130 /*v386*/, v91, v197
	v_mad_i32_i24 v196, v129 /*v385*/, v91, v196
	v_mul_i32_i24_e32 v188, v124 /*v380*/, v135
	s_set_vgpr_msb 0x41                     ;  msbs: dst=1 src0=1 src1=0 src2=0
	v_mul_i32_i24_e32 v205 /*v461*/, v31 /*v287*/, v134
	s_set_vgpr_msb 0x50                     ;  msbs: dst=1 src0=0 src1=0 src2=1
	v_add3_u32 v135 /*v391*/, v111, v206, v211 /*v467*/
	s_set_vgpr_msb 4                        ;  msbs: dst=0 src0=0 src1=1 src2=0
	v_mul_i32_i24_e32 v206, v203, v95 /*v351*/
	s_set_vgpr_msb 1                        ;  msbs: dst=0 src0=1 src1=0 src2=0
	v_mad_i32_i24 v111, v151 /*v407*/, v108, v119
	s_set_vgpr_msb 5                        ;  msbs: dst=0 src0=1 src1=1 src2=0
	v_mul_i32_i24_e32 v119, v162 /*v418*/, v85 /*v341*/
	v_mul_i32_i24_e32 v64, v160 /*v416*/, v85 /*v341*/
	;; [unrolled: 1-line block ×4, first 2 shown]
	s_set_vgpr_msb 64                       ;  msbs: dst=1 src0=0 src1=0 src2=0
	v_add3_u32 v203 /*v459*/, v195, v191, v193
	s_set_vgpr_msb 5                        ;  msbs: dst=0 src0=1 src1=1 src2=0
	v_mad_i32_i24 v195, v159 /*v415*/, v96 /*v352*/, v198
	s_set_vgpr_msb 64                       ;  msbs: dst=1 src0=0 src1=0 src2=0
	v_add3_u32 v209 /*v465*/, v196, v190, v117
	s_set_vgpr_msb 4                        ;  msbs: dst=0 src0=0 src1=1 src2=0
	v_mul_i32_i24_e32 v117, v67, v174 /*v430*/
	s_set_vgpr_msb 5                        ;  msbs: dst=0 src0=1 src1=1 src2=0
	v_mad_i32_i24 v196, v196 /*v452*/, v96 /*v352*/, v200
	s_set_vgpr_msb 1                        ;  msbs: dst=0 src0=1 src1=0 src2=0
	v_mad_i32_i24 v65, v127 /*v383*/, v91, v65
	s_set_vgpr_msb 4                        ;  msbs: dst=0 src0=0 src1=1 src2=0
	v_mul_i32_i24_e32 v191, v107, v85 /*v341*/
	v_mul_i32_i24_e32 v193, v214, v95 /*v351*/
	s_set_vgpr_msb 64                       ;  msbs: dst=1 src0=0 src1=0 src2=0
	v_add3_u32 v204 /*v460*/, v195, v119, v206
	s_set_vgpr_msb 4                        ;  msbs: dst=0 src0=0 src1=1 src2=0
	v_mul_i32_i24_e32 v119, v2, v174 /*v430*/
	s_set_vgpr_msb 64                       ;  msbs: dst=1 src0=0 src1=0 src2=0
	v_add3_u32 v210 /*v466*/, v196, v64, v66
	s_set_vgpr_msb 1                        ;  msbs: dst=0 src0=1 src1=0 src2=0
	v_mul_i32_i24_e32 v64, v125 /*v381*/, v146
	v_mul_i32_i24_e32 v66, v29 /*v285*/, v189
	s_set_vgpr_msb 0x50                     ;  msbs: dst=1 src0=0 src1=0 src2=1
	v_add3_u32 v212 /*v468*/, v65, v188, v205 /*v461*/
	s_set_vgpr_msb 4                        ;  msbs: dst=0 src0=0 src1=1 src2=0
	v_mul_i32_i24_e32 v65, v3, v174 /*v430*/
	s_set_vgpr_msb 5                        ;  msbs: dst=0 src0=1 src1=1 src2=0
	v_mad_i32_i24 v194, v185 /*v441*/, v96 /*v352*/, v194
	v_mad_i32_i24 v117, v129 /*v385*/, v175 /*v431*/, v117
	s_set_vgpr_msb 0x41                     ;  msbs: dst=1 src0=1 src1=0 src2=0
	v_mul_i32_i24_e32 v169 /*v425*/, v30 /*v286*/, v189
	s_set_vgpr_msb 1                        ;  msbs: dst=0 src0=1 src1=0 src2=0
	v_mul_i32_i24_e32 v217, v126 /*v382*/, v146
	v_mul_i32_i24_e32 v188, v124 /*v380*/, v146
	s_set_vgpr_msb 64                       ;  msbs: dst=1 src0=0 src1=0 src2=0
	v_add3_u32 v215 /*v471*/, v194, v191, v193
	s_set_vgpr_msb 1                        ;  msbs: dst=0 src0=1 src1=0 src2=0
	v_mul_i32_i24_e32 v191, v31 /*v287*/, v189
	s_set_vgpr_msb 4                        ;  msbs: dst=0 src0=0 src1=1 src2=0
	v_mul_i32_i24_e32 v193, v2, v167 /*v423*/
	s_set_vgpr_msb 5                        ;  msbs: dst=0 src0=1 src1=1 src2=0
	v_mad_i32_i24 v119, v130 /*v386*/, v175 /*v431*/, v119
	s_set_vgpr_msb 64                       ;  msbs: dst=1 src0=0 src1=0 src2=0
	v_add3_u32 v218 /*v474*/, v117, v64, v66
	s_set_vgpr_msb 5                        ;  msbs: dst=0 src0=1 src1=1 src2=0
	v_mul_i32_i24_e32 v64, v199 /*v455*/, v82 /*v338*/
	v_mad_i32_i24 v65, v127 /*v383*/, v175 /*v431*/, v65
	s_set_vgpr_msb 4                        ;  msbs: dst=0 src0=0 src1=1 src2=0
	v_mul_i32_i24_e32 v207, v203, v76 /*v332*/
	s_set_vgpr_msb 0x50                     ;  msbs: dst=1 src0=0 src1=0 src2=1
	v_add3_u32 v217 /*v473*/, v119, v217, v169 /*v425*/
	s_set_vgpr_msb 1                        ;  msbs: dst=0 src0=1 src1=0 src2=0
	v_mul_i32_i24_e32 v119, v126 /*v382*/, v137
	v_mul_i32_i24_e32 v194, v30 /*v286*/, v192
	s_set_vgpr_msb 5                        ;  msbs: dst=0 src0=1 src1=1 src2=0
	v_mul_i32_i24_e32 v66, v162 /*v418*/, v72 /*v328*/
	s_set_vgpr_msb 64                       ;  msbs: dst=1 src0=0 src1=0 src2=0
	v_add3_u32 v216 /*v472*/, v65, v188, v191
	s_set_vgpr_msb 4                        ;  msbs: dst=0 src0=0 src1=1 src2=0
	v_mul_i32_i24_e32 v65, v67, v167 /*v423*/
	s_set_vgpr_msb 1                        ;  msbs: dst=0 src0=1 src1=0 src2=0
	v_mad_i32_i24 v188, v130 /*v386*/, v131, v193
	s_set_vgpr_msb 5                        ;  msbs: dst=0 src0=1 src1=1 src2=0
	v_mad_i32_i24 v64, v159 /*v415*/, v77 /*v333*/, v64
	s_set_vgpr_msb 1                        ;  msbs: dst=0 src0=1 src1=0 src2=0
	v_add_nc_u32_e32 v123, v122 /*v378*/, v131
	v_mul_i32_i24_e32 v129, v124 /*v380*/, v137
	v_mul_i32_i24_e32 v208, v29 /*v285*/, v192
	;; [unrolled: 1-line block ×3, first 2 shown]
	s_set_vgpr_msb 5                        ;  msbs: dst=0 src0=1 src1=1 src2=0
	v_mul_i32_i24_e32 v137, v194 /*v450*/, v82 /*v338*/
	s_set_vgpr_msb 64                       ;  msbs: dst=1 src0=0 src1=0 src2=0
	v_add3_u32 v219 /*v475*/, v188, v119, v194
	s_set_vgpr_msb 4                        ;  msbs: dst=0 src0=0 src1=1 src2=0
	v_mul_i32_i24_e32 v188, v3, v167 /*v423*/
	s_set_vgpr_msb 64                       ;  msbs: dst=1 src0=0 src1=0 src2=0
	v_add3_u32 v205 /*v461*/, v64, v66, v207
	s_set_vgpr_msb 5                        ;  msbs: dst=0 src0=1 src1=1 src2=0
	v_mul_i32_i24_e32 v64, v163 /*v419*/, v82 /*v338*/
	s_set_vgpr_msb 1                        ;  msbs: dst=0 src0=1 src1=0 src2=0
	v_mad_i32_i24 v65, v129 /*v385*/, v131, v65
	s_set_vgpr_msb 5                        ;  msbs: dst=0 src0=1 src1=1 src2=0
	v_mul_i32_i24_e32 v147, v155 /*v411*/, v76 /*v332*/
	s_set_vgpr_msb 0x41                     ;  msbs: dst=1 src0=1 src1=0 src2=0
	v_mul_i32_i24_e32 v154 /*v410*/, v31 /*v287*/, v192
	s_set_vgpr_msb 5                        ;  msbs: dst=0 src0=1 src1=1 src2=0
	v_mul_i32_i24_e32 v119, v160 /*v416*/, v72 /*v328*/
	s_set_vgpr_msb 4                        ;  msbs: dst=0 src0=0 src1=1 src2=0
	v_mul_i32_i24_e32 v66, v107, v72 /*v328*/
	s_set_vgpr_msb 64                       ;  msbs: dst=1 src0=0 src1=0 src2=0
	v_add3_u32 v221 /*v477*/, v65, v117, v208
	s_set_vgpr_msb 4                        ;  msbs: dst=0 src0=0 src1=1 src2=0
	v_mul_i32_i24_e32 v65, v214, v76 /*v332*/
	s_set_vgpr_msb 0x44                     ;  msbs: dst=1 src0=0 src1=1 src2=0
	v_add3_u32 v169 /*v425*/, v123, v5 /*v261*/, v185
	s_set_vgpr_msb 0                        ;  msbs: dst=0 src0=0 src1=0 src2=0
	v_mul_i32_i24_e32 v117, v2, v9
	s_set_vgpr_msb 5                        ;  msbs: dst=0 src0=1 src1=1 src2=0
	v_mad_i32_i24 v123, v196 /*v452*/, v77 /*v333*/, v137
	s_set_vgpr_msb 1                        ;  msbs: dst=0 src0=1 src1=0 src2=0
	v_mad_i32_i24 v131, v127 /*v383*/, v131, v188
	s_set_vgpr_msb 5                        ;  msbs: dst=0 src0=1 src1=1 src2=0
	v_mad_i32_i24 v64, v185 /*v441*/, v77 /*v333*/, v64
	s_set_vgpr_msb 64                       ;  msbs: dst=1 src0=0 src1=0 src2=0
	v_mul_lo_u32 v184 /*v440*/, 0x1010101, v83
	s_set_vgpr_msb 5                        ;  msbs: dst=0 src0=1 src1=1 src2=0
	v_mul_i32_i24_e32 v83, v29 /*v285*/, v180 /*v436*/
	s_set_vgpr_msb 64                       ;  msbs: dst=1 src0=0 src1=0 src2=0
	v_add3_u32 v213 /*v469*/, v123, v119, v147
	s_set_vgpr_msb 1                        ;  msbs: dst=0 src0=1 src1=0 src2=0
	v_mul_i32_i24_e32 v119, v126 /*v382*/, v141
	s_set_vgpr_msb 5                        ;  msbs: dst=0 src0=1 src1=1 src2=0
	v_mul_i32_i24_e32 v123, v30 /*v286*/, v180 /*v436*/
	s_set_vgpr_msb 0x50                     ;  msbs: dst=1 src0=0 src1=0 src2=1
	v_add3_u32 v222 /*v478*/, v131, v129, v154 /*v410*/
	s_set_vgpr_msb 0                        ;  msbs: dst=0 src0=0 src1=0 src2=0
	v_mul_i32_i24_e32 v147, v67, v9
	v_add3_u32 v129, v64, v66, v65
	s_set_vgpr_msb 1                        ;  msbs: dst=0 src0=1 src1=0 src2=0
	v_mad_i32_i24 v66, v130 /*v386*/, v139, v117
	s_set_vgpr_msb 5                        ;  msbs: dst=0 src0=1 src1=1 src2=0
	v_mul_i32_i24_e32 v137, v199 /*v455*/, v55 /*v311*/
	s_set_vgpr_msb 1                        ;  msbs: dst=0 src0=1 src1=0 src2=0
	v_mul_i32_i24_e32 v64, v125 /*v381*/, v141
	s_set_vgpr_msb 0x44                     ;  msbs: dst=1 src0=0 src1=1 src2=0
	v_mul_i32_i24_e32 v214 /*v470*/, v203, v51 /*v307*/
	s_set_vgpr_msb 5                        ;  msbs: dst=0 src0=1 src1=1 src2=0
	v_mul_i32_i24_e32 v131, v162 /*v418*/, v41 /*v297*/
	s_set_vgpr_msb 0                        ;  msbs: dst=0 src0=0 src1=0 src2=0
	v_add3_u32 v123, v66, v119, v123
	s_set_vgpr_msb 1                        ;  msbs: dst=0 src0=1 src1=0 src2=0
	v_mad_i32_i24 v119, v129 /*v385*/, v139, v147
	s_set_vgpr_msb 5                        ;  msbs: dst=0 src0=1 src1=1 src2=0
	v_mul_i32_i24_e32 v65, v194 /*v450*/, v55 /*v311*/
	v_mad_i32_i24 v117, v159 /*v415*/, v37 /*v293*/, v137
	s_set_vgpr_msb 1                        ;  msbs: dst=0 src0=1 src1=0 src2=0
	v_mul_i32_i24_e32 v205, v141 /*v397*/, v109
	s_set_vgpr_msb 0x45                     ;  msbs: dst=1 src0=1 src1=1 src2=0
	v_mul_i32_i24_e32 v207 /*v463*/, v140 /*v396*/, v34 /*v290*/
	s_set_vgpr_msb 64                       ;  msbs: dst=1 src0=0 src1=0 src2=0
	v_add3_u32 v206 /*v462*/, v119, v64, v83
	s_set_vgpr_msb 0                        ;  msbs: dst=0 src0=0 src1=0 src2=0
	v_mul_i32_i24_e32 v64, v3, v9
	s_set_vgpr_msb 5                        ;  msbs: dst=0 src0=1 src1=1 src2=0
	v_mul_i32_i24_e32 v209, v31 /*v287*/, v180 /*v436*/
	v_mul_i32_i24_e32 v66, v160 /*v416*/, v41 /*v297*/
	s_set_vgpr_msb 0x50                     ;  msbs: dst=1 src0=0 src1=0 src2=1
	v_add3_u32 v214 /*v470*/, v117, v131, v214 /*v470*/
	s_set_vgpr_msb 5                        ;  msbs: dst=0 src0=1 src1=1 src2=0
	v_mul_i32_i24_e32 v117, v155 /*v411*/, v51 /*v307*/
	s_set_vgpr_msb 1                        ;  msbs: dst=0 src0=1 src1=0 src2=0
	v_mul_i32_i24_e32 v83, v124 /*v380*/, v141
	s_set_vgpr_msb 5                        ;  msbs: dst=0 src0=1 src1=1 src2=0
	v_mul_i32_i24_e32 v119, v163 /*v419*/, v55 /*v311*/
	v_mad_i32_i24 v65, v196 /*v452*/, v37 /*v293*/, v65
	s_set_vgpr_msb 1                        ;  msbs: dst=0 src0=1 src1=0 src2=0
	v_mad_i32_i24 v64, v127 /*v383*/, v139, v64
	s_set_vgpr_msb 16                       ;  msbs: dst=0 src0=0 src1=0 src2=1
	v_add3_u32 v111, v111, v205, v207 /*v463*/
	s_set_vgpr_msb 4                        ;  msbs: dst=0 src0=0 src1=1 src2=0
	v_mul_i32_i24_e32 v131, v2, v182 /*v438*/
	s_set_vgpr_msb 5                        ;  msbs: dst=0 src0=1 src1=1 src2=0
	v_mul_i32_i24_e32 v121, v30 /*v286*/, v188 /*v444*/
	s_set_vgpr_msb 64                       ;  msbs: dst=1 src0=0 src1=0 src2=0
	v_add3_u32 v207 /*v463*/, v65, v66, v117
	s_set_vgpr_msb 4                        ;  msbs: dst=0 src0=0 src1=1 src2=0
	v_mul_i32_i24_e32 v65, v214, v51 /*v307*/
	v_mul_i32_i24_e32 v66, v107, v41 /*v297*/
	s_set_vgpr_msb 64                       ;  msbs: dst=1 src0=0 src1=0 src2=0
	v_add3_u32 v211 /*v467*/, v64, v83, v209
	s_set_vgpr_msb 4                        ;  msbs: dst=0 src0=0 src1=1 src2=0
	v_mul_i32_i24_e32 v83, v67, v182 /*v438*/
	s_set_vgpr_msb 5                        ;  msbs: dst=0 src0=1 src1=1 src2=0
	v_mad_i32_i24 v117, v185 /*v441*/, v37 /*v293*/, v119
	v_mul_i32_i24_e32 v195, v199 /*v455*/, v88 /*v344*/
	v_mul_i32_i24_e32 v64, v126 /*v382*/, v187 /*v443*/
	s_set_vgpr_msb 1                        ;  msbs: dst=0 src0=1 src1=0 src2=0
	v_mad_i32_i24 v119, v130 /*v386*/, v16, v131
	v_mad_i32_i24 v83, v129 /*v385*/, v16, v83
	s_set_vgpr_msb 0                        ;  msbs: dst=0 src0=0 src1=0 src2=0
	v_add3_u32 v117, v117, v66, v65
	s_set_vgpr_msb 5                        ;  msbs: dst=0 src0=1 src1=1 src2=0
	v_mul_i32_i24_e32 v65, v125 /*v381*/, v187 /*v443*/
	v_mul_i32_i24_e32 v66, v29 /*v285*/, v188 /*v444*/
	s_set_vgpr_msb 4                        ;  msbs: dst=0 src0=0 src1=1 src2=0
	v_mul_i32_i24_e32 v125, v203, v43 /*v299*/
	s_set_vgpr_msb 5                        ;  msbs: dst=0 src0=1 src1=1 src2=0
	v_mul_i32_i24_e32 v190, v162 /*v418*/, v35 /*v291*/
	s_set_vgpr_msb 0                        ;  msbs: dst=0 src0=0 src1=0 src2=0
	v_add3_u32 v119, v119, v64, v121
	s_set_vgpr_msb 5                        ;  msbs: dst=0 src0=1 src1=1 src2=0
	v_mul_i32_i24_e32 v139, v194 /*v450*/, v44 /*v300*/
	s_set_vgpr_msb 0                        ;  msbs: dst=0 src0=0 src1=0 src2=0
	v_add3_u32 v121, v83, v65, v66
	s_set_vgpr_msb 5                        ;  msbs: dst=0 src0=1 src1=1 src2=0
	v_mul_i32_i24_e32 v65, v163 /*v419*/, v88 /*v344*/
	v_mad_i32_i24 v83, v159 /*v415*/, v81 /*v337*/, v195
	s_set_vgpr_msb 4                        ;  msbs: dst=0 src0=0 src1=1 src2=0
	v_mul_i32_i24_e32 v66, v214, v43 /*v299*/
	s_set_vgpr_msb 5                        ;  msbs: dst=0 src0=1 src1=1 src2=0
	v_mul_i32_i24_e32 v216, v155 /*v411*/, v45 /*v301*/
	s_set_vgpr_msb 0x45                     ;  msbs: dst=1 src0=1 src1=1 src2=0
	v_mul_i32_i24_e32 v157 /*v413*/, v160 /*v416*/, v38 /*v294*/
	s_set_vgpr_msb 5                        ;  msbs: dst=0 src0=1 src1=1 src2=0
	v_mad_i32_i24 v65, v185 /*v441*/, v81 /*v337*/, v65
	s_set_vgpr_msb 0                        ;  msbs: dst=0 src0=0 src1=0 src2=0
	v_add3_u32 v125, v83, v190, v125
	s_set_vgpr_msb 4                        ;  msbs: dst=0 src0=0 src1=1 src2=0
	v_mul_i32_i24_e32 v83, v107, v35 /*v291*/
	s_set_vgpr_msb 5                        ;  msbs: dst=0 src0=1 src1=1 src2=0
	v_mul_i32_i24_e32 v64, v194 /*v450*/, v88 /*v344*/
	v_mul_i32_i24_e32 v213, v31 /*v287*/, v188 /*v444*/
	;; [unrolled: 1-line block ×4, first 2 shown]
	s_set_vgpr_msb 0                        ;  msbs: dst=0 src0=0 src1=0 src2=0
	v_add3_u32 v195, v65, v83, v66
	s_set_vgpr_msb 4                        ;  msbs: dst=0 src0=0 src1=1 src2=0
	v_mul_i32_i24_e32 v65, v3, v182 /*v438*/
	s_set_vgpr_msb 5                        ;  msbs: dst=0 src0=1 src1=1 src2=0
	v_mad_i32_i24 v83, v196 /*v452*/, v62 /*v318*/, v139
	v_mul_i32_i24_e32 v131, v160 /*v416*/, v35 /*v291*/
	v_mul_i32_i24_e32 v137, v199 /*v455*/, v44 /*v300*/
	v_mad_i32_i24 v64, v196 /*v452*/, v81 /*v337*/, v64
	s_set_vgpr_msb 1                        ;  msbs: dst=0 src0=1 src1=0 src2=0
	v_mad_i32_i24 v65, v127 /*v383*/, v16, v65
	s_set_vgpr_msb 4                        ;  msbs: dst=0 src0=0 src1=1 src2=0
	v_add3_u32 v197, v83, v157 /*v413*/, v216
	s_set_vgpr_msb 5                        ;  msbs: dst=0 src0=1 src1=1 src2=0
	v_mul_i32_i24_e32 v83, v163 /*v419*/, v44 /*v300*/
	s_set_vgpr_msb 4                        ;  msbs: dst=0 src0=0 src1=1 src2=0
	v_mul_i32_i24_e32 v143, v214, v45 /*v301*/
	v_mul_i32_i24_e32 v212, v107, v38 /*v294*/
	;; [unrolled: 1-line block ×3, first 2 shown]
	s_set_vgpr_msb 0                        ;  msbs: dst=0 src0=0 src1=0 src2=0
	v_add3_u32 v131, v64, v131, v210
	s_set_vgpr_msb 5                        ;  msbs: dst=0 src0=1 src1=1 src2=0
	v_mul_i32_i24_e32 v64, v162 /*v418*/, v38 /*v294*/
	s_set_vgpr_msb 4                        ;  msbs: dst=0 src0=0 src1=1 src2=0
	v_mul_i32_i24_e32 v139, v2, v147 /*v403*/
	s_set_vgpr_msb 5                        ;  msbs: dst=0 src0=1 src1=1 src2=0
	v_mad_i32_i24 v137, v159 /*v415*/, v62 /*v318*/, v137
	s_set_vgpr_msb 0                        ;  msbs: dst=0 src0=0 src1=0 src2=0
	v_add3_u32 v199, v65, v211, v213
	s_set_vgpr_msb 1                        ;  msbs: dst=0 src0=1 src1=0 src2=0
	v_mul_i32_i24_e32 v65, v143 /*v399*/, v2
	s_set_vgpr_msb 5                        ;  msbs: dst=0 src0=1 src1=1 src2=0
	v_mad_i32_i24 v83, v185 /*v441*/, v62 /*v318*/, v83
	v_mul_i32_i24_e32 v126, v140 /*v396*/, v30 /*v286*/
	v_mul_i32_i24_e32 v127, v30 /*v286*/, v145 /*v401*/
	;; [unrolled: 1-line block ×3, first 2 shown]
	s_set_vgpr_msb 0                        ;  msbs: dst=0 src0=0 src1=0 src2=0
	v_add3_u32 v198, v137, v64, v215
	s_set_vgpr_msb 5                        ;  msbs: dst=0 src0=1 src1=1 src2=0
	v_mul_i32_i24_e32 v64, v199 /*v455*/, v68 /*v324*/
	v_mul_i32_i24_e32 v141, v141 /*v397*/, v126 /*v382*/
	s_set_vgpr_msb 0                        ;  msbs: dst=0 src0=0 src1=0 src2=0
	v_add3_u32 v201, v83, v212, v143
	s_set_vgpr_msb 1                        ;  msbs: dst=0 src0=1 src1=0 src2=0
	v_mul_i32_i24_e32 v143, v143 /*v399*/, v67
	s_set_vgpr_msb 5                        ;  msbs: dst=0 src0=1 src1=1 src2=0
	v_mad_i32_i24 v83, v130 /*v386*/, v149 /*v405*/, v139
	v_mad_i32_i24 v65, v151 /*v407*/, v130 /*v386*/, v65
	s_set_vgpr_msb 64                       ;  msbs: dst=1 src0=0 src1=0 src2=0
	v_mul_i32_i24_e32 v200 /*v456*/, v155, v67
	v_bfe_i32 v152 /*v408*/, v145, 0, 8
	s_set_vgpr_msb 4                        ;  msbs: dst=0 src0=0 src1=1 src2=0
	v_mul_i32_i24_e32 v145, v203, v66 /*v322*/
	s_set_vgpr_msb 5                        ;  msbs: dst=0 src0=1 src1=1 src2=0
	v_mul_i32_i24_e32 v137, v162 /*v418*/, v64 /*v320*/
	v_mul_i32_i24_e32 v147, v141 /*v397*/, v125 /*v381*/
	s_set_vgpr_msb 0                        ;  msbs: dst=0 src0=0 src1=0 src2=0
	v_add3_u32 v83, v83, v66, v127
	s_set_vgpr_msb 5                        ;  msbs: dst=0 src0=1 src1=1 src2=0
	v_mul_i32_i24_e32 v66, v140 /*v396*/, v29 /*v285*/
	s_set_vgpr_msb 1                        ;  msbs: dst=0 src0=1 src1=0 src2=0
	v_mul_i32_i24_e32 v139, v143 /*v399*/, v3
	s_set_vgpr_msb 5                        ;  msbs: dst=0 src0=1 src1=1 src2=0
	v_mad_i32_i24 v64, v159 /*v415*/, v73 /*v329*/, v64
	s_set_vgpr_msb 4                        ;  msbs: dst=0 src0=0 src1=1 src2=0
	v_mul_i32_i24_e32 v67, v67, v147 /*v403*/
	s_set_vgpr_msb 0                        ;  msbs: dst=0 src0=0 src1=0 src2=0
	v_add3_u32 v200, v65, v141, v126
	s_set_vgpr_msb 5                        ;  msbs: dst=0 src0=1 src1=1 src2=0
	v_mad_i32_i24 v141, v151 /*v407*/, v129 /*v385*/, v143
	v_mul_i32_i24_e32 v65, v125 /*v381*/, v144 /*v400*/
	s_set_vgpr_msb 0                        ;  msbs: dst=0 src0=0 src1=0 src2=0
	v_add3_u32 v127, v64, v137, v145
	s_set_vgpr_msb 5                        ;  msbs: dst=0 src0=1 src1=1 src2=0
	v_mul_i32_i24_e32 v64, v141 /*v397*/, v124 /*v380*/
	v_mul_i32_i24_e32 v137, v140 /*v396*/, v31 /*v287*/
	;; [unrolled: 1-line block ×3, first 2 shown]
	s_set_vgpr_msb 0                        ;  msbs: dst=0 src0=0 src1=0 src2=0
	v_add3_u32 v217, v141, v147, v66
	s_set_vgpr_msb 5                        ;  msbs: dst=0 src0=1 src1=1 src2=0
	v_mul_i32_i24_e32 v66, v194 /*v450*/, v68 /*v324*/
	v_mad_i32_i24 v139, v151 /*v407*/, v127 /*v383*/, v139
	v_mad_i32_i24 v67, v129 /*v385*/, v149 /*v405*/, v67
	v_mul_i32_i24_e32 v141, v155 /*v411*/, v66 /*v322*/
	v_mul_i32_i24_e32 v143, v194 /*v450*/, v57 /*v313*/
	v_mad_i32_i24 v66, v196 /*v452*/, v73 /*v329*/, v66
	s_set_vgpr_msb 0                        ;  msbs: dst=0 src0=0 src1=0 src2=0
	v_add3_u32 v213, v139, v64, v137
	s_set_vgpr_msb 5                        ;  msbs: dst=0 src0=1 src1=1 src2=0
	v_mul_i32_i24_e32 v64, v160 /*v416*/, v64 /*v320*/
	s_set_vgpr_msb 0                        ;  msbs: dst=0 src0=0 src1=0 src2=0
	v_add3_u32 v126, v67, v65, v126
	s_set_vgpr_msb 4                        ;  msbs: dst=0 src0=0 src1=1 src2=0
	v_mul_i32_i24_e32 v67, v3, v147 /*v403*/
	s_set_vgpr_msb 5                        ;  msbs: dst=0 src0=1 src1=1 src2=0
	v_mul_i32_i24_e32 v137, v31 /*v287*/, v145 /*v401*/
	v_mul_i32_i24_e32 v65, v124 /*v380*/, v144 /*v400*/
	s_set_vgpr_msb 0                        ;  msbs: dst=0 src0=0 src1=0 src2=0
	v_add3_u32 v202, v66, v64, v141
	s_set_vgpr_msb 4                        ;  msbs: dst=0 src0=0 src1=1 src2=0
	v_mul_i32_i24_e32 v66, v107, v64 /*v320*/
	s_set_vgpr_msb 5                        ;  msbs: dst=0 src0=1 src1=1 src2=0
	v_mad_i32_i24 v64, v127 /*v383*/, v149 /*v405*/, v67
	s_set_vgpr_msb 4                        ;  msbs: dst=0 src0=0 src1=1 src2=0
	v_mul_i32_i24_e32 v139, v214, v66 /*v322*/
	s_set_vgpr_msb 5                        ;  msbs: dst=0 src0=1 src1=1 src2=0
	v_mul_i32_i24_e32 v141, v155 /*v411*/, v56 /*v312*/
	v_mad_i32_i24 v143, v196 /*v452*/, v33 /*v289*/, v143
	s_set_vgpr_msb 0                        ;  msbs: dst=0 src0=0 src1=0 src2=0
	v_mul_i32_i24_e32 v81, v155, v81
	v_add3_u32 v212, v64, v65, v137
	s_set_vgpr_msb 5                        ;  msbs: dst=0 src0=1 src1=1 src2=0
	v_mul_i32_i24_e32 v65, v163 /*v419*/, v68 /*v324*/
	v_mul_i32_i24_e32 v137, v199 /*v455*/, v57 /*v313*/
	s_set_vgpr_msb 64                       ;  msbs: dst=1 src0=0 src1=0 src2=0
	v_ashrrev_i32_e32 v194 /*v450*/, s17, v169
	s_set_vgpr_msb 5                        ;  msbs: dst=0 src0=1 src1=1 src2=0
	v_mul_i32_i24_e32 v147, v163 /*v419*/, v57 /*v313*/
	s_set_vgpr_msb 64                       ;  msbs: dst=1 src0=0 src1=0 src2=0
	v_dual_ashrrev_i32 v199 /*v455*/, s17, v171 :: v_dual_bitop2_b32 v157 /*v413*/, 3, v82 bitop3:0x40
	s_set_vgpr_msb 5                        ;  msbs: dst=0 src0=1 src1=1 src2=0
	v_mad_i32_i24 v65, v185 /*v441*/, v73 /*v329*/, v65
	v_mad_i32_i24 v137, v159 /*v415*/, v33 /*v289*/, v137
	s_set_vgpr_msb 64                       ;  msbs: dst=1 src0=0 src1=0 src2=0
	v_and_b32_e32 v159 /*v415*/, 3, v104
	s_set_vgpr_msb 4                        ;  msbs: dst=0 src0=0 src1=1 src2=0
	v_mul_i32_i24_e32 v107, v107, v50 /*v306*/
	v_mul_i32_i24_e32 v145, v214, v56 /*v312*/
	s_set_vgpr_msb 0                        ;  msbs: dst=0 src0=0 src1=0 src2=0
	v_add3_u32 v196, v65, v66, v139
	s_set_vgpr_msb 5                        ;  msbs: dst=0 src0=1 src1=1 src2=0
	v_mul_i32_i24_e32 v139, v160 /*v416*/, v50 /*v306*/
	s_set_vgpr_msb 0                        ;  msbs: dst=0 src0=0 src1=0 src2=0
	v_bfe_u32 v65, v136, 8, 2
	s_set_vgpr_msb 5                        ;  msbs: dst=0 src0=1 src1=1 src2=0
	v_mul_i32_i24_e32 v66, v162 /*v418*/, v50 /*v306*/
	s_set_vgpr_msb 64                       ;  msbs: dst=1 src0=0 src1=0 src2=0
	v_bfe_u32 v160 /*v416*/, v82, 8, 2
	s_set_vgpr_msb 5                        ;  msbs: dst=0 src0=1 src1=1 src2=0
	v_mad_i32_i24 v147, v185 /*v441*/, v33 /*v289*/, v147
	s_set_vgpr_msb 0                        ;  msbs: dst=0 src0=0 src1=0 src2=0
	v_add3_u32 v139, v143, v139, v141
	s_set_vgpr_msb 1                        ;  msbs: dst=0 src0=1 src1=0 src2=0
	v_mul_i32_i24_e32 v141, v159 /*v415*/, v124
	s_set_vgpr_msb 4                        ;  msbs: dst=0 src0=0 src1=1 src2=0
	v_mul_i32_i24_e32 v174, v65, v106 /*v362*/
	s_set_vgpr_msb 64                       ;  msbs: dst=1 src0=0 src1=0 src2=0
	v_bfe_u32 v162 /*v418*/, v82, 16, 2
	v_bfe_u32 v163 /*v419*/, v82, 24, 2
	s_set_vgpr_msb 4                        ;  msbs: dst=0 src0=0 src1=1 src2=0
	v_mul_i32_i24_e32 v82, v65, v98 /*v354*/
	s_set_vgpr_msb 1                        ;  msbs: dst=0 src0=1 src1=0 src2=0
	v_add3_u32 v141, v192 /*v448*/, v141, v81
	s_set_vgpr_msb 4                        ;  msbs: dst=0 src0=0 src1=1 src2=0
	v_mul_i32_i24_e32 v81, v80, v110 /*v366*/
	s_set_vgpr_msb 0                        ;  msbs: dst=0 src0=0 src1=0 src2=0
	v_add3_u32 v145, v147, v107, v145
	v_mul_i32_i24_e32 v107, v152, v8
	s_set_vgpr_msb 4                        ;  msbs: dst=0 src0=0 src1=1 src2=0
	v_mul_i32_i24_e32 v64, v203, v56 /*v312*/
	v_mul_i32_i24_e32 v143, v152, v148 /*v404*/
	s_set_vgpr_msb 1                        ;  msbs: dst=0 src0=1 src1=0 src2=0
	v_add3_u32 v188, v166 /*v422*/, v81, v174
	s_set_vgpr_msb 4                        ;  msbs: dst=0 src0=0 src1=1 src2=0
	v_mul_i32_i24_e32 v81, v80, v105 /*v361*/
	v_mul_i32_i24_e32 v147, v152, v173 /*v429*/
	s_set_vgpr_msb 0                        ;  msbs: dst=0 src0=0 src1=0 src2=0
	v_add3_u32 v64, v137, v66, v64
	s_set_vgpr_msb 4                        ;  msbs: dst=0 src0=0 src1=1 src2=0
	v_mul_i32_i24_e32 v66, v80, v70 /*v326*/
	s_set_vgpr_msb 0                        ;  msbs: dst=0 src0=0 src1=0 src2=0
	v_mul_i32_i24_e32 v173, v150, v159
	s_set_vgpr_msb 1                        ;  msbs: dst=0 src0=1 src1=0 src2=0
	v_add3_u32 v190, v177 /*v433*/, v81, v82
	s_set_vgpr_msb 4                        ;  msbs: dst=0 src0=0 src1=1 src2=0
	v_mul_i32_i24_e32 v81, v150, v122 /*v378*/
	v_mul_i32_i24_e32 v82, v80, v84 /*v340*/
	s_set_vgpr_msb 64                       ;  msbs: dst=1 src0=0 src1=0 src2=0
	v_dual_ashrrev_i32 v196 /*v452*/, s17, v168 :: v_dual_bitop2_b32 v166 /*v422*/, 3, v78 bitop3:0x40
	s_set_vgpr_msb 4                        ;  msbs: dst=0 src0=0 src1=1 src2=0
	v_mul_i32_i24_e32 v168, v152, v176 /*v432*/
	s_set_vgpr_msb 1                        ;  msbs: dst=0 src0=1 src1=0 src2=0
	v_add3_u32 v193, v165 /*v421*/, v107, v81
	s_set_vgpr_msb 4                        ;  msbs: dst=0 src0=0 src1=1 src2=0
	v_mul_i32_i24_e32 v81, v65, v79 /*v335*/
	v_mul_i32_i24_e32 v107, v150, v150 /*v406*/
	s_set_vgpr_msb 64                       ;  msbs: dst=1 src0=0 src1=0 src2=0
	v_dual_ashrrev_i32 v185 /*v441*/, s17, v167 :: v_dual_ashrrev_i32 v192 /*v448*/, s17, v164
	s_set_vgpr_msb 4                        ;  msbs: dst=0 src0=0 src1=1 src2=0
	v_mul_i32_i24_e32 v167, v150, v181 /*v437*/
	s_set_vgpr_msb 64                       ;  msbs: dst=1 src0=0 src1=0 src2=0
	v_add3_u32 v241 /*v497*/, v1, v82, v81
	s_set_vgpr_msb 4                        ;  msbs: dst=0 src0=0 src1=1 src2=0
	v_mul_i32_i24_e32 v1, v65, v74 /*v330*/
	s_set_vgpr_msb 1                        ;  msbs: dst=0 src0=1 src1=0 src2=0
	v_add3_u32 v82, v179 /*v435*/, v143, v107
	s_set_vgpr_msb 0                        ;  msbs: dst=0 src0=0 src1=0 src2=0
	v_mul_i32_i24_e32 v81, v152, v10
	v_mul_i32_i24_e32 v107, v150, v12
	s_set_vgpr_msb 1                        ;  msbs: dst=0 src0=1 src1=0 src2=0
	v_add3_u32 v147, v178 /*v434*/, v147, v173
	s_set_vgpr_msb 0                        ;  msbs: dst=0 src0=0 src1=0 src2=0
	v_bfe_u32 v169, v78, 8, 2
	s_set_vgpr_msb 1                        ;  msbs: dst=0 src0=1 src1=0 src2=0
	v_add3_u32 v191, v164 /*v420*/, v168, v167
	s_set_vgpr_msb 64                       ;  msbs: dst=1 src0=0 src1=0 src2=0
	v_bfe_u32 v164 /*v420*/, v78, 16, 2
	v_dual_ashrrev_i32 v177 /*v433*/, s17, v165 :: v_dual_lshrrev_b32 v178 /*v434*/, 24, v78
	v_bfe_u32 v165 /*v421*/, v104, 8, 2
	s_set_vgpr_msb 1                        ;  msbs: dst=0 src0=1 src1=0 src2=0
	v_add3_u32 v78, v227 /*v483*/, v66, v1
	s_set_vgpr_msb 0                        ;  msbs: dst=0 src0=0 src1=0 src2=0
	v_bfe_u32 v175, v104, 16, 2
	v_bfe_u32 v173, v104, 24, 2
	s_set_vgpr_msb 1                        ;  msbs: dst=0 src0=1 src1=0 src2=0
	v_add3_u32 v104, v229 /*v485*/, v81, v107
	s_set_vgpr_msb 4                        ;  msbs: dst=0 src0=0 src1=1 src2=0
	v_mul_i32_i24_e32 v66, v152, v245 /*v501*/
	v_mul_i32_i24_e32 v81, v150, v189 /*v445*/
	v_mul_i32_i24_e32 v5, v80, v60 /*v316*/
	v_mul_i32_i24_e32 v67, v65, v63 /*v319*/
	v_mul_i32_i24_e32 v137, v80, v59 /*v315*/
	s_set_vgpr_msb 64                       ;  msbs: dst=1 src0=0 src1=0 src2=0
	v_dual_lshrrev_b32 v179 /*v435*/, 24, v90 :: v_dual_bitop2_b32 v155 /*v411*/, 3, v90 bitop3:0x40
	s_set_vgpr_msb 0                        ;  msbs: dst=0 src0=0 src1=0 src2=0
	v_bfe_u32 v170, v90, 8, 2
	v_bfe_u32 v171, v90, 16, 2
	s_set_vgpr_msb 1                        ;  msbs: dst=0 src0=1 src1=0 src2=0
	v_add3_u32 v90, v226 /*v482*/, v66, v81
	s_set_vgpr_msb 4                        ;  msbs: dst=0 src0=0 src1=1 src2=0
	v_mul_i32_i24_e32 v66, v80, v89 /*v345*/
	v_mul_i32_i24_e32 v80, v80, v46 /*v302*/
	v_and_b32_e32 v24, 3, v142 /*v398*/
	v_mul_i32_i24_e32 v1, v65, v39 /*v295*/
	s_set_vgpr_msb 0                        ;  msbs: dst=0 src0=0 src1=0 src2=0
	v_mul_lo_u32 v20, 0x1010101, v79
	s_set_vgpr_msb 4                        ;  msbs: dst=0 src0=0 src1=1 src2=0
	v_mul_i32_i24_e32 v6, v152, v146 /*v402*/
	s_set_vgpr_msb 1                        ;  msbs: dst=0 src0=1 src1=0 src2=0
	v_add3_u32 v80, v135 /*v391*/, v80, v67
	s_set_vgpr_msb 64                       ;  msbs: dst=1 src0=0 src1=0 src2=0
	v_bfe_i32 v135 /*v391*/, v4, 0, 8
	s_set_vgpr_msb 0                        ;  msbs: dst=0 src0=0 src1=0 src2=0
	v_mul_i32_i24_e32 v79, v24, v124
	s_set_vgpr_msb 0x44                     ;  msbs: dst=1 src0=0 src1=1 src2=0
	v_mul_i32_i24_e32 v224 /*v480*/, v150, v152 /*v408*/
	s_set_vgpr_msb 0x41                     ;  msbs: dst=1 src0=1 src1=0 src2=0
	v_add3_u32 v242 /*v498*/, v225 /*v481*/, v137, v1
	s_set_vgpr_msb 4                        ;  msbs: dst=0 src0=0 src1=1 src2=0
	v_mul_i32_i24_e32 v1, v65, v83 /*v339*/
	v_mul_i32_i24_e32 v65, v65, v135 /*v391*/
	s_set_vgpr_msb 1                        ;  msbs: dst=0 src0=1 src1=0 src2=0
	v_and_b32_e32 v165, 0xffff, v122
	v_add_nc_u32_e32 v122, v114 /*v370*/, v189
	s_set_vgpr_msb 0                        ;  msbs: dst=0 src0=0 src1=0 src2=0
	v_mul_i32_i24_e32 v67, v155, v2
	s_set_vgpr_msb 64                       ;  msbs: dst=1 src0=0 src1=0 src2=0
	v_bfe_i32 v12 /*v268*/, v18, 0, 8
	s_set_vgpr_msb 16                       ;  msbs: dst=0 src0=0 src1=0 src2=1
	v_bfe_i32 v239, v19, 0, 8
	v_add_nc_u32_e32 v9, v10, v9
	v_add3_u32 v81, v111, v6, v224 /*v480*/
	s_set_vgpr_msb 1                        ;  msbs: dst=0 src0=1 src1=0 src2=0
	v_add3_u32 v111, v220 /*v476*/, v5, v65
	s_set_vgpr_msb 0x41                     ;  msbs: dst=1 src0=1 src1=0 src2=0
	v_add3_u32 v238 /*v494*/, v172 /*v428*/, v79, v67
	s_set_vgpr_msb 4                        ;  msbs: dst=0 src0=0 src1=1 src2=0
	v_and_b32_e32 v174, 3, v196 /*v452*/
	v_and_b32_e32 v65, 3, v185 /*v441*/
	s_set_vgpr_msb 1                        ;  msbs: dst=0 src0=1 src1=0 src2=0
	v_bfe_u32 v67, v185 /*v441*/, 8, 2
	s_set_vgpr_msb 0x44                     ;  msbs: dst=1 src0=0 src1=1 src2=0
	v_and_b32_e32 v190 /*v446*/, 3, v136 /*v392*/
	s_set_vgpr_msb 0x41                     ;  msbs: dst=1 src0=1 src1=0 src2=0
	v_bfe_u32 v191 /*v447*/, v136 /*v392*/, 8, 2
	s_set_vgpr_msb 0x44                     ;  msbs: dst=1 src0=0 src1=1 src2=0
	v_add3_u32 v253 /*v509*/, v9, v12 /*v268*/, v239
	s_set_vgpr_msb 0                        ;  msbs: dst=0 src0=0 src1=0 src2=0
	v_mul_i32_i24_e32 v6, v174, v124
	v_mul_i32_i24_e32 v3, v155, v3
	s_set_vgpr_msb 4                        ;  msbs: dst=0 src0=0 src1=1 src2=0
	v_mul_i32_i24_e32 v9, v65, v110 /*v366*/
	v_mul_i32_i24_e32 v79, v67, v106 /*v362*/
	s_set_vgpr_msb 0x44                     ;  msbs: dst=1 src0=0 src1=1 src2=0
	v_and_b32_e32 v251 /*v507*/, 3, v128 /*v384*/
	s_set_vgpr_msb 0                        ;  msbs: dst=0 src0=0 src1=0 src2=0
	v_add3_u32 v107, v0, v66, v1
	s_set_vgpr_msb 1                        ;  msbs: dst=0 src0=1 src1=0 src2=0
	v_bfe_u32 v66, v128 /*v384*/, 8, 2
	s_set_vgpr_msb 4                        ;  msbs: dst=0 src0=0 src1=1 src2=0
	v_add_nc_u32_e32 v4, v8, v167 /*v423*/
	s_set_vgpr_msb 64                       ;  msbs: dst=1 src0=0 src1=0 src2=0
	v_add3_u32 v229 /*v485*/, v7, v6, v3
	s_set_vgpr_msb 5                        ;  msbs: dst=0 src0=1 src1=1 src2=0
	v_mul_i32_i24_e32 v3, v197 /*v453*/, v173 /*v429*/
	s_set_vgpr_msb 0                        ;  msbs: dst=0 src0=0 src1=0 src2=0
	v_mul_i32_i24_e32 v6, v14, v159
	s_set_vgpr_msb 0x41                     ;  msbs: dst=1 src0=1 src1=0 src2=0
	v_add3_u32 v230 /*v486*/, v202 /*v458*/, v9, v79
	s_set_vgpr_msb 5                        ;  msbs: dst=0 src0=1 src1=1 src2=0
	v_mul_i32_i24_e32 v7, v190 /*v446*/, v105 /*v361*/
	v_mul_i32_i24_e32 v9, v191 /*v447*/, v98 /*v354*/
	s_set_vgpr_msb 0x44                     ;  msbs: dst=1 src0=0 src1=1 src2=0
	v_bfe_i32 v132 /*v388*/, v20, 16, 8
	v_bfe_i32 v154 /*v410*/, v20, 8, 8
	v_add3_u32 v254 /*v510*/, v4, v4 /*v260*/, v187
	v_bfe_i32 v246 /*v502*/, v20, 0, 8
	s_set_vgpr_msb 0x41                     ;  msbs: dst=1 src0=1 src1=0 src2=0
	v_add3_u32 v231 /*v487*/, v203 /*v459*/, v3, v6
	s_set_vgpr_msb 5                        ;  msbs: dst=0 src0=1 src1=1 src2=0
	v_mul_i32_i24_e32 v3, v195 /*v451*/, v173 /*v429*/
	s_set_vgpr_msb 1                        ;  msbs: dst=0 src0=1 src1=0 src2=0
	v_mul_i32_i24_e32 v6, v193 /*v449*/, v159
	s_set_vgpr_msb 0x41                     ;  msbs: dst=1 src0=1 src1=0 src2=0
	v_add3_u32 v232 /*v488*/, v204 /*v460*/, v7, v9
	s_set_vgpr_msb 5                        ;  msbs: dst=0 src0=1 src1=1 src2=0
	v_mul_i32_i24_e32 v7, v251 /*v507*/, v105 /*v361*/
	s_set_vgpr_msb 4                        ;  msbs: dst=0 src0=0 src1=1 src2=0
	v_mul_i32_i24_e32 v9, v66, v98 /*v354*/
	s_set_vgpr_msb 0x45                     ;  msbs: dst=1 src0=1 src1=1 src2=0
	v_mul_i32_i24_e32 v186 /*v442*/, v251 /*v507*/, v110 /*v366*/
	v_bfe_i32 v137 /*v393*/, v184 /*v440*/, 16, 8
	v_mul_i32_i24_e32 v171 /*v427*/, v161 /*v417*/, v132 /*v388*/
	v_mul_i32_i24_e32 v223 /*v479*/, v169 /*v425*/, v154 /*v410*/
	s_set_vgpr_msb 4                        ;  msbs: dst=0 src0=0 src1=1 src2=0
	v_mul_i32_i24_e32 v137, v66, v106 /*v362*/
	s_set_vgpr_msb 0x41                     ;  msbs: dst=1 src0=1 src1=0 src2=0
	v_bfe_i32 v249 /*v505*/, v184 /*v440*/, 8, 8
	s_set_vgpr_msb 5                        ;  msbs: dst=0 src0=1 src1=1 src2=0
	v_mul_i32_i24_e32 v4, v254 /*v510*/, v246 /*v502*/
	s_set_vgpr_msb 0x41                     ;  msbs: dst=1 src0=1 src1=0 src2=0
	v_bfe_i32 v250 /*v506*/, v184 /*v440*/, 0, 8
	v_add3_u32 v233 /*v489*/, v209 /*v465*/, v3, v6
	s_set_vgpr_msb 5                        ;  msbs: dst=0 src0=1 src1=1 src2=0
	v_mul_i32_i24_e32 v3, v252 /*v508*/, v173 /*v429*/
	s_set_vgpr_msb 1                        ;  msbs: dst=0 src0=1 src1=0 src2=0
	v_mul_i32_i24_e32 v6, v255 /*v511*/, v159
	s_set_vgpr_msb 0x41                     ;  msbs: dst=1 src0=1 src1=0 src2=0
	v_add3_u32 v234 /*v490*/, v210 /*v466*/, v7, v9
	s_set_vgpr_msb 4                        ;  msbs: dst=0 src0=0 src1=1 src2=0
	v_mul_i32_i24_e32 v7, v65, v105 /*v361*/
	v_mul_i32_i24_e32 v9, v67, v98 /*v354*/
	v_and_b32_e32 v17, 3, v131 /*v387*/
	s_set_vgpr_msb 0x45                     ;  msbs: dst=1 src0=1 src1=1 src2=0
	v_bfe_i32 v133 /*v389*/, v153 /*v409*/, 16, 8
	v_bfe_i32 v134 /*v390*/, v153 /*v409*/, 8, 8
	v_mul_i32_i24_e32 v170 /*v426*/, v161 /*v417*/, v137 /*v393*/
	s_set_vgpr_msb 5                        ;  msbs: dst=0 src0=1 src1=1 src2=0
	v_mul_i32_i24_e32 v2, v169 /*v425*/, v249 /*v505*/
	s_set_vgpr_msb 0x51                     ;  msbs: dst=1 src0=1 src1=0 src2=1
	v_add3_u32 v167 /*v423*/, v223 /*v479*/, v4, v171 /*v427*/
	s_set_vgpr_msb 5                        ;  msbs: dst=0 src0=1 src1=1 src2=0
	v_mul_i32_i24_e32 v4, v254 /*v510*/, v250 /*v506*/
	s_set_vgpr_msb 0x41                     ;  msbs: dst=1 src0=1 src1=0 src2=0
	v_bfe_i32 v248 /*v504*/, v153 /*v409*/, 0, 8
	v_and_b32_e32 v172 /*v428*/, 0xffff, v114
	v_and_b32_e32 v171 /*v427*/, 0xffff, v113
	s_set_vgpr_msb 0x45                     ;  msbs: dst=1 src0=1 src1=1 src2=0
	v_add3_u32 v236 /*v492*/, v201 /*v457*/, v186 /*v442*/, v137
	s_set_vgpr_msb 1                        ;  msbs: dst=0 src0=1 src1=0 src2=0
	v_add_nc_u32_e32 v137, v121 /*v377*/, v155
	s_set_vgpr_msb 0x41                     ;  msbs: dst=1 src0=1 src1=0 src2=0
	v_add3_u32 v224 /*v480*/, v212 /*v468*/, v3, v6
	s_set_vgpr_msb 5                        ;  msbs: dst=0 src0=1 src1=1 src2=0
	v_mul_i32_i24_e32 v3, v197 /*v453*/, v176 /*v432*/
	s_set_vgpr_msb 4                        ;  msbs: dst=0 src0=0 src1=1 src2=0
	v_mul_i32_i24_e32 v6, v14, v181 /*v437*/
	s_set_vgpr_msb 0x41                     ;  msbs: dst=1 src0=1 src1=0 src2=0
	v_add3_u32 v225 /*v481*/, v215 /*v471*/, v7, v9
	s_set_vgpr_msb 5                        ;  msbs: dst=0 src0=1 src1=1 src2=0
	v_mul_i32_i24_e32 v7, v195 /*v451*/, v176 /*v432*/
	v_mul_i32_i24_e32 v9, v193 /*v449*/, v181 /*v437*/
	s_set_vgpr_msb 64                       ;  msbs: dst=1 src0=0 src1=0 src2=0
	v_and_b32_e32 v121 /*v377*/, 15, v113
	s_set_vgpr_msb 5                        ;  msbs: dst=0 src0=1 src1=1 src2=0
	v_mul_i32_i24_e32 v113, v190 /*v446*/, v59 /*v315*/
	v_mul_i32_i24_e32 v114, v191 /*v447*/, v39 /*v295*/
	s_set_vgpr_msb 0x45                     ;  msbs: dst=1 src0=1 src1=1 src2=0
	v_mul_i32_i24_e32 v168 /*v424*/, v156 /*v412*/, v133 /*v389*/
	s_set_vgpr_msb 5                        ;  msbs: dst=0 src0=1 src1=1 src2=0
	v_mul_i32_i24_e32 v19, v158 /*v414*/, v134 /*v390*/
	s_set_vgpr_msb 0x50                     ;  msbs: dst=1 src0=0 src1=0 src2=1
	v_add3_u32 v170 /*v426*/, v2, v4, v170 /*v426*/
	s_set_vgpr_msb 5                        ;  msbs: dst=0 src0=1 src1=1 src2=0
	v_mul_i32_i24_e32 v2, v253 /*v509*/, v248 /*v504*/
	s_set_vgpr_msb 0x41                     ;  msbs: dst=1 src0=1 src1=0 src2=0
	v_add3_u32 v226 /*v482*/, v217 /*v473*/, v3, v6
	v_add3_u32 v227 /*v483*/, v218 /*v474*/, v7, v9
	s_set_vgpr_msb 5                        ;  msbs: dst=0 src0=1 src1=1 src2=0
	v_mul_i32_i24_e32 v6, v252 /*v508*/, v176 /*v432*/
	v_mul_i32_i24_e32 v7, v255 /*v511*/, v181 /*v437*/
	s_set_vgpr_msb 0x41                     ;  msbs: dst=1 src0=1 src1=0 src2=0
	v_add3_u32 v217 /*v473*/, v214 /*v470*/, v113, v114
	s_set_vgpr_msb 5                        ;  msbs: dst=0 src0=1 src1=1 src2=0
	v_add_nc_u32_e32 v114, v176 /*v432*/, v174 /*v430*/
	s_set_vgpr_msb 0x50                     ;  msbs: dst=1 src0=0 src1=0 src2=1
	v_mul_i32_i24_e32 v198 /*v454*/, v17, v124
	v_add3_u32 v168 /*v424*/, v19, v2, v168 /*v424*/
	s_set_vgpr_msb 4                        ;  msbs: dst=0 src0=0 src1=1 src2=0
	v_cvt_f32_f16_e64 v19, v138
	v_mul_i32_i24_e32 v138, v14, v122 /*v378*/
	s_set_vgpr_msb 0                        ;  msbs: dst=0 src0=0 src1=0 src2=0
	v_add_nc_u32_e32 v79, v159, v91
	s_set_vgpr_msb 0x54                     ;  msbs: dst=1 src0=0 src1=1 src2=1
	v_add3_u32 v235 /*v491*/, v115, v198 /*v454*/, v200 /*v456*/
	s_set_vgpr_msb 1                        ;  msbs: dst=0 src0=1 src1=0 src2=0
	v_mul_i32_i24_e32 v115, v197 /*v453*/, v8
	s_set_vgpr_msb 0x41                     ;  msbs: dst=1 src0=1 src1=0 src2=0
	v_add3_u32 v223 /*v479*/, v216 /*v472*/, v6, v7
	s_set_vgpr_msb 1                        ;  msbs: dst=0 src0=1 src1=0 src2=0
	v_mul_i32_i24_e32 v7, v195 /*v451*/, v8
	s_set_vgpr_msb 5                        ;  msbs: dst=0 src0=1 src1=1 src2=0
	v_mul_i32_i24_e32 v91, v255 /*v511*/, v122 /*v378*/
	s_set_vgpr_msb 1                        ;  msbs: dst=0 src0=1 src1=0 src2=0
	v_mul_i32_i24_e32 v8, v252 /*v508*/, v8
	s_set_vgpr_msb 0x41                     ;  msbs: dst=1 src0=1 src1=0 src2=0
	v_add3_u32 v220 /*v476*/, v219 /*v475*/, v115, v138
	s_set_vgpr_msb 4                        ;  msbs: dst=0 src0=0 src1=1 src2=0
	v_mul_i32_i24_e32 v115, v67, v79 /*v335*/
	s_set_vgpr_msb 5                        ;  msbs: dst=0 src0=1 src1=1 src2=0
	v_mul_i32_i24_e32 v18, v190 /*v446*/, v110 /*v366*/
	s_set_vgpr_msb 0x45                     ;  msbs: dst=1 src0=1 src1=1 src2=0
	v_mul_i32_i24_e32 v183 /*v439*/, v191 /*v447*/, v106 /*v362*/
	s_set_vgpr_msb 0x41                     ;  msbs: dst=1 src0=1 src1=0 src2=0
	v_add3_u32 v222 /*v478*/, v222 /*v478*/, v8, v91
	s_set_vgpr_msb 4                        ;  msbs: dst=0 src0=0 src1=1 src2=0
	v_mul_i32_i24_e32 v91, v65, v84 /*v340*/
	s_set_vgpr_msb 0                        ;  msbs: dst=0 src0=0 src1=0 src2=0
	v_mul_lo_u32 v133, 0x1010101, v133
	s_set_vgpr_msb 5                        ;  msbs: dst=0 src0=1 src1=1 src2=0
	v_mul_i32_i24_e32 v9, v193 /*v449*/, v122 /*v378*/
	s_set_vgpr_msb 0x51                     ;  msbs: dst=1 src0=1 src1=0 src2=1
	v_add3_u32 v239 /*v495*/, v208 /*v464*/, v18, v183 /*v439*/
	v_and_b32_e32 v183 /*v439*/, 0xffff, v116
	s_set_vgpr_msb 64                       ;  msbs: dst=1 src0=0 src1=0 src2=0
	v_add3_u32 v216 /*v472*/, v129, v91, v115
	s_set_vgpr_msb 1                        ;  msbs: dst=0 src0=1 src1=0 src2=0
	v_mul_i32_i24_e32 v91, v197 /*v453*/, v10
	s_set_vgpr_msb 0                        ;  msbs: dst=0 src0=0 src1=0 src2=0
	v_mul_i32_i24_e32 v115, v14, v12
	s_set_vgpr_msb 64                       ;  msbs: dst=1 src0=0 src1=0 src2=0
	v_and_b32_e32 v122 /*v378*/, 15, v116
	s_set_vgpr_msb 1                        ;  msbs: dst=0 src0=1 src1=0 src2=0
	v_mul_i32_i24_e32 v116, v193 /*v449*/, v12
	v_mul_i32_i24_e32 v12, v255 /*v511*/, v12
	s_set_vgpr_msb 0x41                     ;  msbs: dst=1 src0=1 src1=0 src2=0
	v_add3_u32 v221 /*v477*/, v221 /*v477*/, v7, v9
	s_set_vgpr_msb 64                       ;  msbs: dst=1 src0=0 src1=0 src2=0
	v_add3_u32 v215 /*v471*/, v123, v91, v115
	s_set_vgpr_msb 1                        ;  msbs: dst=0 src0=1 src1=0 src2=0
	v_mul_i32_i24_e32 v115, v195 /*v451*/, v10
	v_mul_i32_i24_e32 v10, v252 /*v508*/, v10
	s_set_vgpr_msb 5                        ;  msbs: dst=0 src0=1 src1=1 src2=0
	v_add_nc_u32_e32 v123, v108 /*v364*/, v188 /*v444*/
	v_mul_i32_i24_e32 v7, v190 /*v446*/, v84 /*v340*/
	v_mul_i32_i24_e32 v9, v191 /*v447*/, v79 /*v335*/
	s_set_vgpr_msb 0x41                     ;  msbs: dst=1 src0=1 src1=0 src2=0
	v_add3_u32 v206 /*v462*/, v206 /*v462*/, v115, v116
	s_set_vgpr_msb 5                        ;  msbs: dst=0 src0=1 src1=1 src2=0
	v_mul_i32_i24_e32 v115, v251 /*v507*/, v59 /*v315*/
	s_set_vgpr_msb 4                        ;  msbs: dst=0 src0=0 src1=1 src2=0
	v_mul_i32_i24_e32 v116, v66, v39 /*v295*/
	s_set_vgpr_msb 0x41                     ;  msbs: dst=1 src0=1 src1=0 src2=0
	v_add3_u32 v208 /*v464*/, v211 /*v467*/, v10, v12
	s_set_vgpr_msb 5                        ;  msbs: dst=0 src0=1 src1=1 src2=0
	v_mul_i32_i24_e32 v10, v197 /*v453*/, v245 /*v501*/
	s_set_vgpr_msb 4                        ;  msbs: dst=0 src0=0 src1=1 src2=0
	v_mul_i32_i24_e32 v12, v14, v189 /*v445*/
	s_set_vgpr_msb 5                        ;  msbs: dst=0 src0=1 src1=1 src2=0
	v_mul_i32_i24_e32 v8, v251 /*v507*/, v84 /*v340*/
	s_set_vgpr_msb 0x41                     ;  msbs: dst=1 src0=1 src1=0 src2=0
	v_add3_u32 v207 /*v463*/, v207 /*v463*/, v115, v116
	s_set_vgpr_msb 4                        ;  msbs: dst=0 src0=0 src1=1 src2=0
	v_mul_i32_i24_e32 v115, v65, v59 /*v315*/
	v_mul_i32_i24_e32 v116, v67, v39 /*v295*/
	s_set_vgpr_msb 0x41                     ;  msbs: dst=1 src0=1 src1=0 src2=0
	v_add3_u32 v219 /*v475*/, v205 /*v461*/, v7, v9
	s_set_vgpr_msb 4                        ;  msbs: dst=0 src0=0 src1=1 src2=0
	v_mul_i32_i24_e32 v9, v66, v79 /*v335*/
	s_set_vgpr_msb 64                       ;  msbs: dst=1 src0=0 src1=0 src2=0
	v_add3_u32 v210 /*v466*/, v119, v10, v12
	s_set_vgpr_msb 5                        ;  msbs: dst=0 src0=1 src1=1 src2=0
	v_mul_i32_i24_e32 v10, v191 /*v447*/, v83 /*v339*/
	s_set_vgpr_msb 64                       ;  msbs: dst=1 src0=0 src1=0 src2=0
	v_add3_u32 v209 /*v465*/, v117, v115, v116
	s_set_vgpr_msb 5                        ;  msbs: dst=0 src0=1 src1=1 src2=0
	v_mul_i32_i24_e32 v115, v193 /*v449*/, v189 /*v445*/
	v_mul_i32_i24_e32 v116, v195 /*v451*/, v245 /*v501*/
	;; [unrolled: 1-line block ×3, first 2 shown]
	s_set_vgpr_msb 0x41                     ;  msbs: dst=1 src0=1 src1=0 src2=0
	v_add3_u32 v218 /*v474*/, v213 /*v469*/, v8, v9
	v_and_b32_e32 v186 /*v442*/, 0xffff, v110
	s_set_vgpr_msb 5                        ;  msbs: dst=0 src0=1 src1=1 src2=0
	v_add_nc_u32_e32 v91, v173 /*v429*/, v123 /*v379*/
	s_set_vgpr_msb 64                       ;  msbs: dst=1 src0=0 src1=0 src2=0
	v_add3_u32 v211 /*v467*/, v121, v116, v115
	s_set_vgpr_msb 5                        ;  msbs: dst=0 src0=1 src1=1 src2=0
	v_mul_i32_i24_e32 v115, v251 /*v507*/, v89 /*v345*/
	s_set_vgpr_msb 4                        ;  msbs: dst=0 src0=0 src1=1 src2=0
	v_mul_i32_i24_e32 v116, v66, v83 /*v339*/
	s_set_vgpr_msb 64                       ;  msbs: dst=1 src0=0 src1=0 src2=0
	v_add3_u32 v212 /*v468*/, v125, v12, v10
	s_set_vgpr_msb 4                        ;  msbs: dst=0 src0=0 src1=1 src2=0
	v_mul_i32_i24_e32 v10, v65, v89 /*v345*/
	v_mul_i32_i24_e32 v12, v67, v83 /*v339*/
	s_set_vgpr_msb 5                        ;  msbs: dst=0 src0=1 src1=1 src2=0
	v_mul_i32_i24_e32 v117, v195 /*v451*/, v148 /*v404*/
	s_set_vgpr_msb 64                       ;  msbs: dst=1 src0=0 src1=0 src2=0
	v_add3_u32 v213 /*v469*/, v131, v115, v116
	s_set_vgpr_msb 4                        ;  msbs: dst=0 src0=0 src1=1 src2=0
	v_mul_i32_i24_e32 v115, v66, v63 /*v319*/
	s_set_vgpr_msb 5                        ;  msbs: dst=0 src0=1 src1=1 src2=0
	v_mul_i32_i24_e32 v116, v251 /*v507*/, v46 /*v302*/
	s_set_vgpr_msb 64                       ;  msbs: dst=1 src0=0 src1=0 src2=0
	v_add3_u32 v214 /*v470*/, v195, v10, v12
	s_set_vgpr_msb 5                        ;  msbs: dst=0 src0=1 src1=1 src2=0
	v_mul_i32_i24_e32 v10, v191 /*v447*/, v63 /*v319*/
	v_mul_i32_i24_e32 v12, v190 /*v446*/, v46 /*v302*/
	s_set_vgpr_msb 64                       ;  msbs: dst=1 src0=0 src1=0 src2=0
	v_and_b32_e32 v123 /*v379*/, 15, v110
	v_add3_u32 v204 /*v460*/, v197, v116, v115
	s_set_vgpr_msb 5                        ;  msbs: dst=0 src0=1 src1=1 src2=0
	v_mul_i32_i24_e32 v115, v252 /*v508*/, v245 /*v501*/
	v_mul_i32_i24_e32 v116, v255 /*v511*/, v189 /*v445*/
	s_set_vgpr_msb 64                       ;  msbs: dst=1 src0=0 src1=0 src2=0
	v_add3_u32 v205 /*v461*/, v198, v12, v10
	s_set_vgpr_msb 4                        ;  msbs: dst=0 src0=0 src1=1 src2=0
	v_mul_i32_i24_e32 v10, v67, v63 /*v319*/
	v_mul_i32_i24_e32 v12, v65, v46 /*v302*/
	s_set_vgpr_msb 5                        ;  msbs: dst=0 src0=1 src1=1 src2=0
	v_mul_i32_i24_e32 v110, v193 /*v449*/, v150 /*v406*/
	s_set_vgpr_msb 64                       ;  msbs: dst=1 src0=0 src1=0 src2=0
	v_add3_u32 v203 /*v459*/, v199, v115, v116
	s_set_vgpr_msb 4                        ;  msbs: dst=0 src0=0 src1=1 src2=0
	v_mul_i32_i24_e32 v115, v14, v150 /*v406*/
	s_set_vgpr_msb 5                        ;  msbs: dst=0 src0=1 src1=1 src2=0
	v_mul_i32_i24_e32 v116, v197 /*v453*/, v148 /*v404*/
	s_set_vgpr_msb 64                       ;  msbs: dst=1 src0=0 src1=0 src2=0
	v_add3_u32 v202 /*v458*/, v201, v12, v10
	s_set_vgpr_msb 5                        ;  msbs: dst=0 src0=1 src1=1 src2=0
	v_mul_i32_i24_e32 v10, v190 /*v446*/, v70 /*v326*/
	v_mul_i32_i24_e32 v12, v191 /*v447*/, v74 /*v330*/
	s_set_vgpr_msb 4                        ;  msbs: dst=0 src0=0 src1=1 src2=0
	v_mul_i32_i24_e32 v14, v14, v152 /*v408*/
	s_set_vgpr_msb 64                       ;  msbs: dst=1 src0=0 src1=0 src2=0
	v_add3_u32 v201 /*v457*/, v83, v116, v115
	s_set_vgpr_msb 5                        ;  msbs: dst=0 src0=1 src1=1 src2=0
	v_mul_i32_i24_e32 v83, v255 /*v511*/, v152 /*v408*/
	v_mul_i32_i24_e32 v115, v252 /*v508*/, v146 /*v402*/
	s_set_vgpr_msb 64                       ;  msbs: dst=1 src0=0 src1=0 src2=0
	v_add3_u32 v200 /*v456*/, v127, v10, v12
	s_set_vgpr_msb 5                        ;  msbs: dst=0 src0=1 src1=1 src2=0
	v_mul_i32_i24_e32 v10, v193 /*v449*/, v152 /*v408*/
	v_mul_i32_i24_e32 v12, v195 /*v451*/, v146 /*v402*/
	;; [unrolled: 1-line block ×3, first 2 shown]
	s_set_vgpr_msb 0                        ;  msbs: dst=0 src0=0 src1=0 src2=0
	v_and_b32_e32 v167, 0xffff, v112
	s_set_vgpr_msb 64                       ;  msbs: dst=1 src0=0 src1=0 src2=0
	v_add3_u32 v195 /*v451*/, v213, v115, v83
	s_set_vgpr_msb 1                        ;  msbs: dst=0 src0=1 src1=0 src2=0
	v_add_nc_u32_e32 v83, v189 /*v445*/, v16
	s_set_vgpr_msb 5                        ;  msbs: dst=0 src0=1 src1=1 src2=0
	v_mul_i32_i24_e32 v112, v252 /*v508*/, v148 /*v404*/
	s_set_vgpr_msb 64                       ;  msbs: dst=1 src0=0 src1=0 src2=0
	v_add3_u32 v193 /*v449*/, v126, v117, v110
	s_set_vgpr_msb 5                        ;  msbs: dst=0 src0=1 src1=1 src2=0
	v_mul_i32_i24_e32 v16, v251 /*v507*/, v70 /*v326*/
	s_set_vgpr_msb 4                        ;  msbs: dst=0 src0=0 src1=1 src2=0
	v_mul_i32_i24_e32 v110, v66, v74 /*v330*/
	s_set_vgpr_msb 5                        ;  msbs: dst=0 src0=1 src1=1 src2=0
	v_mul_i32_i24_e32 v115, v255 /*v511*/, v150 /*v406*/
	s_set_vgpr_msb 64                       ;  msbs: dst=1 src0=0 src1=0 src2=0
	v_bfe_u32 v247 /*v503*/, v136, 16, 2
	s_set_vgpr_msb 0                        ;  msbs: dst=0 src0=0 src1=0 src2=0
	v_bfe_u32 v136, v136, 24, 2
	s_set_vgpr_msb 64                       ;  msbs: dst=1 src0=0 src1=0 src2=0
	v_add3_u32 v198 /*v454*/, v200, v116, v14
	s_set_vgpr_msb 5                        ;  msbs: dst=0 src0=1 src1=1 src2=0
	v_mul_i32_i24_e32 v116, v190 /*v446*/, v60 /*v316*/
	s_set_vgpr_msb 64                       ;  msbs: dst=1 src0=0 src1=0 src2=0
	v_add3_u32 v190 /*v446*/, v202, v16, v110
	v_add3_u32 v189 /*v445*/, v212, v112, v115
	s_set_vgpr_msb 4                        ;  msbs: dst=0 src0=0 src1=1 src2=0
	v_mul_i32_i24_e32 v110, v65, v70 /*v326*/
	v_mul_i32_i24_e32 v115, v67, v74 /*v330*/
	s_set_vgpr_msb 5                        ;  msbs: dst=0 src0=1 src1=1 src2=0
	v_mul_i32_i24_e32 v119, v191 /*v447*/, v135 /*v391*/
	s_set_vgpr_msb 4                        ;  msbs: dst=0 src0=0 src1=1 src2=0
	v_mul_i32_i24_e32 v121, v136, v97 /*v353*/
	s_set_vgpr_msb 5                        ;  msbs: dst=0 src0=1 src1=1 src2=0
	v_mul_i32_i24_e32 v129, v247 /*v503*/, v87 /*v343*/
	s_set_vgpr_msb 4                        ;  msbs: dst=0 src0=0 src1=1 src2=0
	v_mul_i32_i24_e32 v131, v106, v116 /*v372*/
	s_set_vgpr_msb 64                       ;  msbs: dst=1 src0=0 src1=0 src2=0
	v_add3_u32 v191 /*v447*/, v196, v110, v115
	v_add3_u32 v188 /*v444*/, v64, v116, v119
	s_set_vgpr_msb 4                        ;  msbs: dst=0 src0=0 src1=1 src2=0
	v_mul_i32_i24_e32 v64, v105, v115 /*v371*/
	s_set_vgpr_msb 5                        ;  msbs: dst=0 src0=1 src1=1 src2=0
	v_mul_i32_i24_e32 v110, v251 /*v507*/, v60 /*v316*/
	s_set_vgpr_msb 4                        ;  msbs: dst=0 src0=0 src1=1 src2=0
	v_mul_i32_i24_e32 v66, v66, v135 /*v391*/
	v_mul_i32_i24_e32 v65, v65, v60 /*v316*/
	;; [unrolled: 1-line block ×3, first 2 shown]
	v_cvt_f32_f16_e64 v5, v142
	s_set_vgpr_msb 0                        ;  msbs: dst=0 src0=0 src1=0 src2=0
	v_and_b32_e32 v168, 0xffff, v120
	v_and_b32_e32 v164, 0xffff, v118
	s_set_vgpr_msb 4                        ;  msbs: dst=0 src0=0 src1=1 src2=0
	v_mul_i32_i24_e32 v142, v106, v118 /*v374*/
	s_set_vgpr_msb 5                        ;  msbs: dst=0 src0=1 src1=1 src2=0
	v_add_nc_u32_e32 v113, v181 /*v437*/, v175 /*v431*/
	s_set_vgpr_msb 4                        ;  msbs: dst=0 src0=0 src1=1 src2=0
	v_mul_i32_i24_e32 v138, v106, v114 /*v370*/
	v_mul_i32_i24_e32 v143, v105, v113 /*v369*/
	s_set_vgpr_msb 1                        ;  msbs: dst=0 src0=1 src1=0 src2=0
	v_dual_add_nc_u32 v120, v115 /*v371*/, v135 :: v_dual_add_nc_u32 v126, v113 /*v369*/, v146
	s_set_vgpr_msb 4                        ;  msbs: dst=0 src0=0 src1=1 src2=0
	v_dual_add_nc_u32 v118, v132, v25 /*v281*/ :: v_dual_add_nc_u32 v112, v130, v120 /*v376*/
	v_add_nc_u32_e32 v125, v128, v119 /*v375*/
	s_set_vgpr_msb 1                        ;  msbs: dst=0 src0=1 src1=0 src2=0
	v_add_nc_u32_e32 v117, v116 /*v372*/, v134
	s_set_vgpr_msb 4                        ;  msbs: dst=0 src0=0 src1=1 src2=0
	v_mul_i32_i24_e32 v115, v136, v58 /*v314*/
	s_set_vgpr_msb 5                        ;  msbs: dst=0 src0=1 src1=1 src2=0
	v_dual_add_nc_u32 v128, v112 /*v368*/, v180 /*v436*/ :: v_dual_add_nc_u32 v130, v107 /*v363*/, v187 /*v443*/
	s_set_vgpr_msb 64                       ;  msbs: dst=1 src0=0 src1=0 src2=0
	v_add3_u32 v187 /*v443*/, v139, v110, v66
	s_set_vgpr_msb 5                        ;  msbs: dst=0 src0=1 src1=1 src2=0
	v_mul_i32_i24_e32 v66, v247 /*v503*/, v100 /*v356*/
	s_set_vgpr_msb 1                        ;  msbs: dst=0 src0=1 src1=0 src2=0
	v_mul_i32_i24_e32 v108, v119 /*v375*/, v108
	v_mul_i32_i24_e32 v110, v120 /*v376*/, v109
	s_set_vgpr_msb 4                        ;  msbs: dst=0 src0=0 src1=1 src2=0
	v_mul_i32_i24_e32 v139, v105, v117 /*v373*/
	s_set_vgpr_msb 5                        ;  msbs: dst=0 src0=1 src1=1 src2=0
	v_add_nc_u32_e32 v109, v245 /*v501*/, v182 /*v438*/
	s_set_vgpr_msb 64                       ;  msbs: dst=1 src0=0 src1=0 src2=0
	v_add3_u32 v182 /*v438*/, v145, v65, v67
	v_add3_u32 v176 /*v432*/, v147, v64, v131
	;; [unrolled: 1-line block ×3, first 2 shown]
	s_set_vgpr_msb 4                        ;  msbs: dst=0 src0=0 src1=1 src2=0
	v_mul_i32_i24_e32 v129, v136, v47 /*v303*/
	s_set_vgpr_msb 5                        ;  msbs: dst=0 src0=1 src1=1 src2=0
	v_mul_i32_i24_e32 v131, v247 /*v503*/, v36 /*v292*/
	s_set_vgpr_msb 4                        ;  msbs: dst=0 src0=0 src1=1 src2=0
	v_add3_u32 v145, v91, v8 /*v264*/, v243
	v_bfe_i32 v231, v35, 0, 8
	v_bfe_i32 v221, v35, 8, 8
	;; [unrolled: 1-line block ×3, first 2 shown]
	v_cvt_f32_f16_e64 v4, v144
	s_set_vgpr_msb 1                        ;  msbs: dst=0 src0=1 src1=0 src2=0
	v_add_nc_u32_e32 v127, v118 /*v374*/, v192
	s_set_vgpr_msb 4                        ;  msbs: dst=0 src0=0 src1=1 src2=0
	v_mul_i32_i24_e32 v132, v106, v71 /*v327*/
	s_set_vgpr_msb 64                       ;  msbs: dst=1 src0=0 src1=0 src2=0
	v_add3_u32 v181 /*v437*/, v141, v108, v110
	s_set_vgpr_msb 4                        ;  msbs: dst=0 src0=0 src1=1 src2=0
	v_mul_i32_i24_e32 v110, v136, v61 /*v317*/
	s_set_vgpr_msb 64                       ;  msbs: dst=1 src0=0 src1=0 src2=0
	v_add3_u32 v180 /*v436*/, v188, v66, v115
	s_set_vgpr_msb 5                        ;  msbs: dst=0 src0=1 src1=1 src2=0
	v_mul_i32_i24_e32 v115, v247 /*v503*/, v53 /*v309*/
	s_set_vgpr_msb 4                        ;  msbs: dst=0 src0=0 src1=1 src2=0
	v_mul_i32_i24_e32 v108, v106, v90 /*v346*/
	s_set_vgpr_msb 64                       ;  msbs: dst=1 src0=0 src1=0 src2=0
	v_add3_u32 v174 /*v430*/, v191, v143, v138
	s_set_vgpr_msb 4                        ;  msbs: dst=0 src0=0 src1=1 src2=0
	v_mul_i32_i24_e32 v138, v106, v108 /*v364*/
	s_set_vgpr_msb 64                       ;  msbs: dst=1 src0=0 src1=0 src2=0
	v_add3_u32 v173 /*v429*/, v193, v139, v142
	;; [unrolled: 4-line block ×3, first 2 shown]
	s_set_vgpr_msb 4                        ;  msbs: dst=0 src0=0 src1=1 src2=0
	v_mul_i32_i24_e32 v106, v106, v112 /*v368*/
	v_mul_i32_i24_e32 v192, v105, v111 /*v367*/
	s_set_vgpr_msb 0                        ;  msbs: dst=0 src0=0 src1=0 src2=0
	v_add3_u32 v139, v120, v241, v53
	v_add3_u32 v195, v118, v245, v57
	s_set_vgpr_msb 4                        ;  msbs: dst=0 src0=0 src1=1 src2=0
	v_add3_u32 v143, v79, v9 /*v265*/, v223
	s_set_vgpr_msb 0                        ;  msbs: dst=0 src0=0 src1=0 src2=0
	v_add3_u32 v141, v117, v242, v52
	s_set_vgpr_msb 4                        ;  msbs: dst=0 src0=0 src1=1 src2=0
	v_lshrrev_b32_e32 v144, 24, v184 /*v440*/
	s_set_vgpr_msb 0                        ;  msbs: dst=0 src0=0 src1=0 src2=0
	v_add3_u32 v91, v109, v22, v237
	s_set_vgpr_msb 4                        ;  msbs: dst=0 src0=0 src1=1 src2=0
	v_lshrrev_b32_e32 v109, 24, v153 /*v409*/
	s_set_vgpr_msb 0                        ;  msbs: dst=0 src0=0 src1=0 src2=0
	v_add3_u32 v118, v107, v131, v129
	s_set_vgpr_msb 4                        ;  msbs: dst=0 src0=0 src1=1 src2=0
	v_mul_i32_i24_e32 v107, v145, v248 /*v504*/
	v_mul_i32_i24_e32 v135, v105, v69 /*v325*/
	;; [unrolled: 1-line block ×3, first 2 shown]
	s_set_vgpr_msb 5                        ;  msbs: dst=0 src0=1 src1=1 src2=0
	v_mul_i32_i24_e32 v189, v247 /*v503*/, v42 /*v298*/
	s_set_vgpr_msb 0                        ;  msbs: dst=0 src0=0 src1=0 src2=0
	v_add3_u32 v64, v122, v232, v38
	v_add3_u32 v196, v123, v50, v36
	s_set_vgpr_msb 4                        ;  msbs: dst=0 src0=0 src1=1 src2=0
	v_add3_u32 v123, v125, v24 /*v280*/, v247
	s_set_vgpr_msb 0                        ;  msbs: dst=0 src0=0 src1=0 src2=0
	v_add3_u32 v125, v112, v244, v56
	v_add3_u32 v65, v126, v233, v35
	v_add3_u32 v117, v130, v49, v37
	v_add3_u32 v130, v104, v192, v106
	s_set_vgpr_msb 4                        ;  msbs: dst=0 src0=0 src1=1 src2=0
	v_mul_i32_i24_e32 v104, v139, v133 /*v389*/
	s_set_vgpr_msb 0                        ;  msbs: dst=0 src0=0 src1=0 src2=0
	v_add3_u32 v122, v90, v142, v138
	s_set_vgpr_msb 5                        ;  msbs: dst=0 src0=1 src1=1 src2=0
	v_mul_i32_i24_e32 v90, v251 /*v507*/, v248 /*v504*/
	s_set_vgpr_msb 0                        ;  msbs: dst=0 src0=0 src1=0 src2=0
	v_mul_i32_i24_e32 v126, v141, v109
	v_add3_u32 v110, v111, v115, v110
	s_set_vgpr_msb 4                        ;  msbs: dst=0 src0=0 src1=1 src2=0
	v_mul_i32_i24_e32 v115, v145, v246 /*v502*/
	v_mad_i32_i24 v107, v143, v134 /*v390*/, v107
	v_mul_i32_i24_e32 v116, v105, v92 /*v348*/
	v_mul_i32_i24_e32 v66, v136, v67 /*v323*/
	s_set_vgpr_msb 5                        ;  msbs: dst=0 src0=1 src1=1 src2=0
	v_mul_i32_i24_e32 v67, v247 /*v503*/, v65 /*v321*/
	s_set_vgpr_msb 4                        ;  msbs: dst=0 src0=0 src1=1 src2=0
	v_add3_u32 v79, v113, v3 /*v259*/, v221
	v_add3_u32 v137, v114, v2 /*v258*/, v231
	s_set_vgpr_msb 0                        ;  msbs: dst=0 src0=0 src1=0 src2=0
	v_add3_u32 v83, v83, v21, v228
	v_lshrrev_b32_e32 v113, 24, v20
	v_add3_u32 v124, v82, v135, v132
	v_mul_i32_i24_e32 v82, v195, v109
	s_set_vgpr_msb 1                        ;  msbs: dst=0 src0=1 src1=0 src2=0
	v_add3_u32 v120, v242 /*v498*/, v189, v146
	s_set_vgpr_msb 4                        ;  msbs: dst=0 src0=0 src1=1 src2=0
	v_mul_i32_i24_e32 v106, v125, v133 /*v389*/
	s_set_vgpr_msb 0                        ;  msbs: dst=0 src0=0 src1=0 src2=0
	v_add3_u32 v146, v107, v104, v126
	s_set_vgpr_msb 4                        ;  msbs: dst=0 src0=0 src1=1 src2=0
	v_mad_i32_i24 v90, v123, v134 /*v390*/, v90
	v_mad_i32_i24 v104, v143, v154 /*v410*/, v115
	v_mul_i32_i24_e32 v115, v91, v248 /*v504*/
	s_set_vgpr_msb 64                       ;  msbs: dst=1 src0=0 src1=0 src2=0
	v_add3_u32 v255 /*v511*/, v128, v179, v15
	s_set_vgpr_msb 0                        ;  msbs: dst=0 src0=0 src1=0 src2=0
	v_add3_u32 v128, v78, v67, v66
	v_mul_i32_i24_e32 v66, v196, v109
	s_set_vgpr_msb 4                        ;  msbs: dst=0 src0=0 src1=1 src2=0
	v_mul_i32_i24_e32 v78, v139, v132 /*v388*/
	s_set_vgpr_msb 0                        ;  msbs: dst=0 src0=0 src1=0 src2=0
	v_add3_u32 v108, v81, v116, v108
	s_set_vgpr_msb 5                        ;  msbs: dst=0 src0=1 src1=1 src2=0
	v_mul_i32_i24_e32 v116, v251 /*v507*/, v246 /*v502*/
	s_set_vgpr_msb 0                        ;  msbs: dst=0 src0=0 src1=0 src2=0
	v_mul_i32_i24_e32 v111, v141, v113
	s_set_vgpr_msb 4                        ;  msbs: dst=0 src0=0 src1=1 src2=0
	v_mul_i32_i24_e32 v107, v137, v246 /*v502*/
	s_set_vgpr_msb 0                        ;  msbs: dst=0 src0=0 src1=0 src2=0
	v_add3_u32 v82, v90, v106, v82
	s_set_vgpr_msb 4                        ;  msbs: dst=0 src0=0 src1=1 src2=0
	v_mul_i32_i24_e32 v106, v117, v133 /*v389*/
	v_mad_i32_i24 v115, v83, v134 /*v390*/, v115
	v_mul_i32_i24_e32 v119, v136, v48 /*v304*/
	s_set_vgpr_msb 5                        ;  msbs: dst=0 src0=1 src1=1 src2=0
	v_mul_i32_i24_e32 v121, v247 /*v503*/, v40 /*v296*/
	s_set_vgpr_msb 0                        ;  msbs: dst=0 src0=0 src1=0 src2=0
	v_mul_i32_i24_e32 v114, v64, v113
	s_set_vgpr_msb 4                        ;  msbs: dst=0 src0=0 src1=1 src2=0
	v_mul_i32_i24_e32 v90, v145, v250 /*v506*/
	s_set_vgpr_msb 0                        ;  msbs: dst=0 src0=0 src1=0 src2=0
	v_add3_u32 v78, v104, v78, v111
	s_set_vgpr_msb 4                        ;  msbs: dst=0 src0=0 src1=1 src2=0
	v_mad_i32_i24 v104, v123, v154 /*v410*/, v116
	s_set_vgpr_msb 0                        ;  msbs: dst=0 src0=0 src1=0 src2=0
	v_add3_u32 v116, v115, v106, v66
	s_set_vgpr_msb 4                        ;  msbs: dst=0 src0=0 src1=1 src2=0
	v_mul_i32_i24_e32 v66, v65, v132 /*v388*/
	v_mad_i32_i24 v106, v79, v154 /*v410*/, v107
	s_set_vgpr_msb 0                        ;  msbs: dst=0 src0=0 src1=0 src2=0
	v_add3_u32 v112, v80, v121, v119
	s_set_vgpr_msb 4                        ;  msbs: dst=0 src0=0 src1=1 src2=0
	v_mul_i32_i24_e32 v121, v139, v137 /*v393*/
	v_mul_i32_i24_e32 v111, v137, v250 /*v506*/
	v_mad_i32_i24 v90, v143, v249 /*v505*/, v90
	s_set_vgpr_msb 0                        ;  msbs: dst=0 src0=0 src1=0 src2=0
	v_add3_u32 v138, v106, v66, v114
	v_mul_i32_i24_e32 v106, v141, v144
	v_add3_u32 v105, v127, v186, v30
	s_set_vgpr_msb 5                        ;  msbs: dst=0 src0=1 src1=1 src2=0
	v_mul_i32_i24_e32 v119, v254 /*v510*/, v248 /*v504*/
	s_set_vgpr_msb 4                        ;  msbs: dst=0 src0=0 src1=1 src2=0
	v_mul_i32_i24_e32 v107, v65, v137 /*v393*/
	v_mad_i32_i24 v111, v79, v249 /*v505*/, v111
	s_set_vgpr_msb 0                        ;  msbs: dst=0 src0=0 src1=0 src2=0
	v_add3_u32 v106, v90, v121, v106
	v_mul_i32_i24_e32 v90, v64, v144
	v_cvt_f32_f16_e64 v18, v140
	s_set_vgpr_msb 4                        ;  msbs: dst=0 src0=0 src1=1 src2=0
	v_mul_i32_i24_e32 v134, v136, v78 /*v334*/
	s_set_vgpr_msb 5                        ;  msbs: dst=0 src0=1 src1=1 src2=0
	v_mul_i32_i24_e32 v140, v247 /*v503*/, v75 /*v331*/
	s_set_vgpr_msb 4                        ;  msbs: dst=0 src0=0 src1=1 src2=0
	v_mul_i32_i24_e32 v127, v137, v248 /*v504*/
	s_set_vgpr_msb 5                        ;  msbs: dst=0 src0=1 src1=1 src2=0
	v_mul_i32_i24_e32 v80, v161 /*v417*/, v133 /*v389*/
	s_set_vgpr_msb 0                        ;  msbs: dst=0 src0=0 src1=0 src2=0
	v_add3_u32 v114, v111, v107, v90
	v_mul_i32_i24_e32 v107, v105, v109
	s_set_vgpr_msb 5                        ;  msbs: dst=0 src0=1 src1=1 src2=0
	v_mad_i32_i24 v111, v169 /*v425*/, v134 /*v390*/, v119
	s_set_vgpr_msb 1                        ;  msbs: dst=0 src0=1 src1=0 src2=0
	v_add3_u32 v136, v241 /*v497*/, v140, v134
	s_set_vgpr_msb 4                        ;  msbs: dst=0 src0=0 src1=1 src2=0
	v_mul_i32_i24_e32 v90, v65, v133 /*v389*/
	s_set_vgpr_msb 0                        ;  msbs: dst=0 src0=0 src1=0 src2=0
	v_mul_i32_i24_e32 v67, v195, v113
	s_set_vgpr_msb 4                        ;  msbs: dst=0 src0=0 src1=1 src2=0
	v_mul_i32_i24_e32 v81, v125, v132 /*v388*/
	s_set_vgpr_msb 0                        ;  msbs: dst=0 src0=0 src1=0 src2=0
	v_add3_u32 v134, v111, v80, v107
	v_mul_i32_i24_e32 v80, v64, v109
	s_set_vgpr_msb 4                        ;  msbs: dst=0 src0=0 src1=1 src2=0
	v_mul_i32_i24_e32 v107, v91, v246 /*v502*/
	v_mad_i32_i24 v111, v79, v134 /*v390*/, v127
	s_set_vgpr_msb 5                        ;  msbs: dst=0 src0=1 src1=1 src2=0
	v_mul_i32_i24_e32 v66, v253 /*v509*/, v246 /*v502*/
	s_set_vgpr_msb 64                       ;  msbs: dst=1 src0=0 src1=0 src2=0
	v_lshrrev_b32_e32 v245 /*v501*/, 24, v133
	s_set_vgpr_msb 0                        ;  msbs: dst=0 src0=0 src1=0 src2=0
	v_lshrrev_b16 v20, 8, v133
	s_set_vgpr_msb 4                        ;  msbs: dst=0 src0=0 src1=1 src2=0
	v_mad_i32_i24 v107, v83, v154 /*v410*/, v107
	s_set_vgpr_msb 0                        ;  msbs: dst=0 src0=0 src1=0 src2=0
	v_add3_u32 v140, v111, v90, v80
	s_set_vgpr_msb 4                        ;  msbs: dst=0 src0=0 src1=1 src2=0
	v_mul_i32_i24_e32 v80, v117, v132 /*v388*/
	s_set_vgpr_msb 0                        ;  msbs: dst=0 src0=0 src1=0 src2=0
	v_mul_i32_i24_e32 v90, v196, v113
	s_set_vgpr_msb 64                       ;  msbs: dst=1 src0=0 src1=0 src2=0
	v_bfe_i32 v247 /*v503*/, v133, 0, 8
	v_bfe_i32 v252 /*v508*/, v133, 16, 8
	s_set_vgpr_msb 0                        ;  msbs: dst=0 src0=0 src1=0 src2=0
	v_add3_u32 v104, v104, v81, v67
	s_set_vgpr_msb 5                        ;  msbs: dst=0 src0=1 src1=1 src2=0
	v_mul_i32_i24_e32 v81, v253 /*v509*/, v250 /*v506*/
	v_mul_i32_i24_e32 v115, v156 /*v412*/, v132 /*v388*/
	s_set_vgpr_msb 0                        ;  msbs: dst=0 src0=0 src1=0 src2=0
	v_add3_u32 v133, v107, v80, v90
	s_set_vgpr_msb 1                        ;  msbs: dst=0 src0=1 src1=0 src2=0
	v_mul_i32_i24_e32 v90, v255 /*v511*/, v113
	s_set_vgpr_msb 5                        ;  msbs: dst=0 src0=1 src1=1 src2=0
	v_mad_i32_i24 v66, v158 /*v414*/, v154 /*v410*/, v66
	v_mul_i32_i24_e32 v67, v156 /*v412*/, v137 /*v393*/
	s_set_vgpr_msb 4                        ;  msbs: dst=0 src0=0 src1=1 src2=0
	v_mul_i32_i24_e32 v80, v91, v250 /*v506*/
	s_set_vgpr_msb 5                        ;  msbs: dst=0 src0=1 src1=1 src2=0
	v_mad_i32_i24 v81, v158 /*v414*/, v249 /*v505*/, v81
	s_set_vgpr_msb 64                       ;  msbs: dst=1 src0=0 src1=0 src2=0
	v_bfe_i32 v153 /*v409*/, v20, 0, 8
	s_set_vgpr_msb 0                        ;  msbs: dst=0 src0=0 src1=0 src2=0
	v_add3_u32 v192, v66, v115, v90
	s_set_vgpr_msb 1                        ;  msbs: dst=0 src0=1 src1=0 src2=0
	v_mul_i32_i24_e32 v90, v255 /*v511*/, v144
	s_set_vgpr_msb 4                        ;  msbs: dst=0 src0=0 src1=1 src2=0
	v_mul_i32_i24_e32 v66, v117, v137 /*v393*/
	s_set_vgpr_msb 5                        ;  msbs: dst=0 src0=1 src1=1 src2=0
	v_mul_i32_i24_e32 v20, v251 /*v507*/, v247 /*v503*/
	s_set_vgpr_msb 4                        ;  msbs: dst=0 src0=0 src1=1 src2=0
	v_mad_i32_i24 v80, v83, v249 /*v505*/, v80
	v_mul_i32_i24_e32 v64, v64, v245 /*v501*/
	s_set_vgpr_msb 0                        ;  msbs: dst=0 src0=0 src1=0 src2=0
	v_add3_u32 v135, v81, v67, v90
	v_mul_i32_i24_e32 v67, v196, v144
	s_set_vgpr_msb 4                        ;  msbs: dst=0 src0=0 src1=1 src2=0
	v_mad_i32_i24 v20, v123, v153 /*v409*/, v20
	v_mul_i32_i24_e32 v65, v65, v252 /*v508*/
	s_set_vgpr_msb 5                        ;  msbs: dst=0 src0=1 src1=1 src2=0
	v_add_nc_u32_e32 v90, v71 /*v327*/, v145 /*v401*/
	s_set_vgpr_msb 0x41                     ;  msbs: dst=1 src0=1 src1=0 src2=0
	v_bfe_i32 v139 /*v395*/, v139 /*v395*/, 0, 8
	s_set_vgpr_msb 0                        ;  msbs: dst=0 src0=0 src1=0 src2=0
	v_add3_u32 v132, v80, v66, v67
	s_set_vgpr_msb 4                        ;  msbs: dst=0 src0=0 src1=1 src2=0
	v_mul_i32_i24_e32 v66, v125, v252 /*v508*/
	v_mul_i32_i24_e32 v67, v195, v245 /*v501*/
	;; [unrolled: 1-line block ×3, first 2 shown]
	s_set_vgpr_msb 0                        ;  msbs: dst=0 src0=0 src1=0 src2=0
	v_add3_u32 v127, v90, v58, v34
	s_set_vgpr_msb 4                        ;  msbs: dst=0 src0=0 src1=1 src2=0
	v_mul_i32_i24_e32 v90, v196, v245 /*v501*/
	s_set_vgpr_msb 1                        ;  msbs: dst=0 src0=1 src1=0 src2=0
	v_bfe_u32 v121, v185 /*v441*/, 24, 2
	s_set_vgpr_msb 0                        ;  msbs: dst=0 src0=0 src1=0 src2=0
	v_add3_u32 v189, v20, v66, v67
	s_set_vgpr_msb 4                        ;  msbs: dst=0 src0=0 src1=1 src2=0
	v_mul_i32_i24_e32 v66, v145, v247 /*v503*/
	v_mul_i32_i24_e32 v67, v141, v245 /*v501*/
	s_set_vgpr_msb 5                        ;  msbs: dst=0 src0=1 src1=1 src2=0
	v_bfe_u32 v214, v185 /*v441*/, 16, 2
	v_mul_i32_i24_e32 v145, v94 /*v350*/, v112 /*v368*/
	v_mul_i32_i24_e32 v190, v91 /*v347*/, v107 /*v363*/
	s_set_vgpr_msb 4                        ;  msbs: dst=0 src0=0 src1=1 src2=0
	v_mad_i32_i24 v66, v143, v153 /*v409*/, v66
	s_set_vgpr_msb 5                        ;  msbs: dst=0 src0=1 src1=1 src2=0
	v_mul_i32_i24_e32 v143, v91 /*v347*/, v111 /*v367*/
	v_add_nc_u32_e32 v211, v98 /*v354*/, v96 /*v352*/
	s_set_vgpr_msb 4                        ;  msbs: dst=0 src0=0 src1=1 src2=0
	v_mul_i32_i24_e32 v188, v214, v40 /*v296*/
	v_mul_i32_i24_e32 v191, v121, v48 /*v304*/
	s_set_vgpr_msb 0                        ;  msbs: dst=0 src0=0 src1=0 src2=0
	v_add3_u32 v81, v66, v80, v67
	s_set_vgpr_msb 4                        ;  msbs: dst=0 src0=0 src1=1 src2=0
	v_mul_i32_i24_e32 v66, v137, v247 /*v503*/
	s_set_vgpr_msb 5                        ;  msbs: dst=0 src0=1 src1=1 src2=0
	v_mul_i32_i24_e32 v67, v255 /*v511*/, v245 /*v501*/
	v_mul_i32_i24_e32 v80, v156 /*v412*/, v252 /*v508*/
	s_set_vgpr_msb 0x41                     ;  msbs: dst=1 src0=1 src1=0 src2=0
	v_bfe_u32 v156 /*v412*/, v244 /*v500*/, 24, 2
	s_set_vgpr_msb 64                       ;  msbs: dst=1 src0=0 src1=0 src2=0
	v_add3_u32 v197 /*v453*/, v217, v12, v10
	s_set_vgpr_msb 4                        ;  msbs: dst=0 src0=0 src1=1 src2=0
	v_mad_i32_i24 v66, v79, v153 /*v409*/, v66
	s_set_vgpr_msb 5                        ;  msbs: dst=0 src0=1 src1=1 src2=0
	v_dual_add_nc_u32 v137, v110 /*v366*/, v109 /*v365*/ :: v_dual_add_nc_u32 v141, v105 /*v361*/, v103 /*v359*/
	s_set_vgpr_msb 0x44                     ;  msbs: dst=1 src0=0 src1=1 src2=0
	v_and_b32_e32 v110 /*v366*/, 3, v178 /*v434*/
	s_set_vgpr_msb 5                        ;  msbs: dst=0 src0=1 src1=1 src2=0
	v_add_nc_u32_e32 v205, v89 /*v345*/, v88 /*v344*/
	s_set_vgpr_msb 0                        ;  msbs: dst=0 src0=0 src1=0 src2=0
	v_add3_u32 v79, v66, v65, v64
	s_set_vgpr_msb 5                        ;  msbs: dst=0 src0=1 src1=1 src2=0
	v_mul_i32_i24_e32 v64, v254 /*v510*/, v247 /*v503*/
	s_set_vgpr_msb 4                        ;  msbs: dst=0 src0=0 src1=1 src2=0
	v_mul_i32_i24_e32 v65, v105, v245 /*v501*/
	s_set_vgpr_msb 5                        ;  msbs: dst=0 src0=1 src1=1 src2=0
	v_mul_i32_i24_e32 v66, v161 /*v417*/, v252 /*v508*/
	s_set_vgpr_msb 0x44                     ;  msbs: dst=1 src0=0 src1=1 src2=0
	v_and_b32_e32 v161 /*v417*/, 3, v244 /*v500*/
	v_add3_u32 v88 /*v344*/, v141, v10 /*v266*/, v248
	s_set_vgpr_msb 5                        ;  msbs: dst=0 src0=1 src1=1 src2=0
	v_mad_i32_i24 v64, v169 /*v425*/, v153 /*v409*/, v64
	s_set_vgpr_msb 0x44                     ;  msbs: dst=1 src0=0 src1=1 src2=0
	v_and_b32_e32 v169 /*v425*/, 3, v228 /*v484*/
	s_set_vgpr_msb 5                        ;  msbs: dst=0 src0=1 src1=1 src2=0
	v_mul_i32_i24_e32 v141, v94 /*v350*/, v90 /*v346*/
	s_set_vgpr_msb 4                        ;  msbs: dst=0 src0=0 src1=1 src2=0
	v_mul_i32_i24_e32 v209, v214, v65 /*v321*/
	s_set_vgpr_msb 5                        ;  msbs: dst=0 src0=1 src1=1 src2=0
	v_mul_i32_i24_e32 v208, v86 /*v342*/, v69 /*v325*/
	s_set_vgpr_msb 0                        ;  msbs: dst=0 src0=0 src1=0 src2=0
	v_add3_u32 v107, v64, v66, v65
	s_set_vgpr_msb 5                        ;  msbs: dst=0 src0=1 src1=1 src2=0
	v_mul_i32_i24_e32 v66, v253 /*v509*/, v247 /*v503*/
	v_bfe_u32 v64, v136 /*v392*/, 16, 2
	v_bfe_u32 v65, v136 /*v392*/, 24, 2
	s_set_vgpr_msb 0x41                     ;  msbs: dst=1 src0=1 src1=0 src2=0
	v_bfe_u32 v136 /*v392*/, v244 /*v500*/, 16, 2
	s_set_vgpr_msb 5                        ;  msbs: dst=0 src0=1 src1=1 src2=0
	v_mul_i32_i24_e32 v139, v157 /*v413*/, v22 /*v278*/
	v_mad_i32_i24 v66, v158 /*v414*/, v153 /*v409*/, v66
	s_set_vgpr_msb 0x41                     ;  msbs: dst=1 src0=1 src1=0 src2=0
	v_bfe_u32 v158 /*v414*/, v244 /*v500*/, 8, 2
	v_bfe_i32 v244 /*v500*/, v138 /*v394*/, 0, 8
	s_set_vgpr_msb 5                        ;  msbs: dst=0 src0=1 src1=1 src2=0
	v_mul_i32_i24_e32 v147, v157 /*v413*/, v10 /*v266*/
	v_mul_i32_i24_e32 v194, v160 /*v416*/, v7 /*v263*/
	s_set_vgpr_msb 64                       ;  msbs: dst=1 src0=0 src1=0 src2=0
	v_add3_u32 v254 /*v510*/, v66, v80, v67
	s_set_vgpr_msb 5                        ;  msbs: dst=0 src0=1 src1=1 src2=0
	v_dual_add_nc_u32 v66, v150 /*v406*/, v149 /*v405*/ :: v_dual_add_nc_u32 v67, v148 /*v404*/, v147 /*v403*/
	v_add_nc_u32_e32 v80, v69 /*v325*/, v144 /*v400*/
	s_set_vgpr_msb 0x44                     ;  msbs: dst=1 src0=0 src1=1 src2=0
	v_and_b32_e32 v149 /*v405*/, 3, v243 /*v499*/
	s_set_vgpr_msb 0x41                     ;  msbs: dst=1 src0=1 src1=0 src2=0
	v_bfe_u32 v148 /*v404*/, v199 /*v455*/, 8, 2
	s_set_vgpr_msb 16                       ;  msbs: dst=0 src0=0 src1=0 src2=1
	v_add3_u32 v126, v66, v13, v16 /*v272*/
	v_add3_u32 v129, v67, v253, v17 /*v273*/
	s_set_vgpr_msb 4                        ;  msbs: dst=0 src0=0 src1=1 src2=0
	v_mul_i32_i24_e32 v66, v91, v247 /*v503*/
	s_set_vgpr_msb 0                        ;  msbs: dst=0 src0=0 src1=0 src2=0
	v_add3_u32 v80, v80, v59, v40
	s_set_vgpr_msb 4                        ;  msbs: dst=0 src0=0 src1=1 src2=0
	v_mul_i32_i24_e32 v67, v117, v252 /*v508*/
	s_set_vgpr_msb 0x44                     ;  msbs: dst=1 src0=0 src1=1 src2=0
	v_lshrrev_b32_e32 v150 /*v406*/, 24, v199 /*v455*/
	v_and_b32_e32 v109 /*v365*/, 3, v179 /*v435*/
	s_set_vgpr_msb 4                        ;  msbs: dst=0 src0=0 src1=1 src2=0
	v_mad_i32_i24 v66, v83, v153 /*v409*/, v66
	v_mul_i32_i24_e32 v83, v129, v247 /*v503*/
	s_set_vgpr_msb 5                        ;  msbs: dst=0 src0=1 src1=1 src2=0
	v_dual_add_nc_u32 v210, v106 /*v362*/, v104 /*v360*/ :: v_dual_add_nc_u32 v193, v83 /*v339*/, v81 /*v337*/
	v_mul_i32_i24_e32 v206, v157 /*v413*/, v0 /*v256*/
	s_set_vgpr_msb 0                        ;  msbs: dst=0 src0=0 src1=0 src2=0
	v_add3_u32 v115, v66, v67, v90
	s_set_vgpr_msb 4                        ;  msbs: dst=0 src0=0 src1=1 src2=0
	v_mul_i32_i24_e32 v66, v80, v252 /*v508*/
	v_mul_i32_i24_e32 v67, v127, v245 /*v501*/
	v_mad_i32_i24 v83, v126, v153 /*v409*/, v83
	s_set_vgpr_msb 5                        ;  msbs: dst=0 src0=1 src1=1 src2=0
	v_add_nc_u32_e32 v90, v92 /*v348*/, v141 /*v397*/
	s_set_vgpr_msb 0x41                     ;  msbs: dst=1 src0=1 src1=0 src2=0
	v_bfe_u32 v141 /*v397*/, v237 /*v493*/, 8, 2
	s_set_vgpr_msb 5                        ;  msbs: dst=0 src0=1 src1=1 src2=0
	v_mul_i32_i24_e32 v207, v160 /*v416*/, v1 /*v257*/
	s_set_vgpr_msb 0x45                     ;  msbs: dst=1 src0=1 src1=1 src2=0
	v_add_nc_u32_e32 v98 /*v354*/, v74 /*v330*/, v73 /*v329*/
	s_set_vgpr_msb 0                        ;  msbs: dst=0 src0=0 src1=0 src2=0
	v_add3_u32 v111, v83, v66, v67
	s_set_vgpr_msb 5                        ;  msbs: dst=0 src0=1 src1=1 src2=0
	v_add_nc_u32_e32 v66, v146 /*v402*/, v143 /*v399*/
	v_dual_add_nc_u32 v67, v152 /*v408*/, v151 /*v407*/ :: v_dual_add_nc_u32 v83, v90 /*v346*/, v140 /*v396*/
	s_set_vgpr_msb 0x44                     ;  msbs: dst=1 src0=0 src1=1 src2=0
	v_and_b32_e32 v152 /*v408*/, 3, v194 /*v450*/
	s_set_vgpr_msb 0x41                     ;  msbs: dst=1 src0=1 src1=0 src2=0
	v_bfe_u32 v151 /*v407*/, v194 /*v450*/, 8, 2
	s_set_vgpr_msb 0x54                     ;  msbs: dst=1 src0=0 src1=1 src2=1
	v_add3_u32 v253 /*v509*/, v66, v21 /*v277*/, v27 /*v283*/
	s_set_vgpr_msb 5                        ;  msbs: dst=0 src0=1 src1=1 src2=0
	v_mul_i32_i24_e32 v66, v251 /*v507*/, v250 /*v506*/
	s_set_vgpr_msb 0                        ;  msbs: dst=0 src0=0 src1=0 src2=0
	v_add3_u32 v91, v83, v47, v23
	v_add3_u32 v83, v90, v48, v29
	s_set_vgpr_msb 0x54                     ;  msbs: dst=1 src0=0 src1=1 src2=1
	v_add3_u32 v138 /*v394*/, v67, v244 /*v500*/, v139 /*v395*/
	s_set_vgpr_msb 0                        ;  msbs: dst=0 src0=0 src1=0 src2=0
	v_mul_i32_i24_e32 v67, v195, v144
	s_set_vgpr_msb 4                        ;  msbs: dst=0 src0=0 src1=1 src2=0
	v_mul_i32_i24_e32 v90, v125, v137 /*v393*/
	v_mad_i32_i24 v66, v123, v249 /*v505*/, v66
	s_set_vgpr_msb 5                        ;  msbs: dst=0 src0=1 src1=1 src2=0
	v_mul_i32_i24_e32 v117, v253 /*v509*/, v250 /*v506*/
	v_mul_i32_i24_e32 v123, v253 /*v509*/, v248 /*v504*/
	s_set_vgpr_msb 4                        ;  msbs: dst=0 src0=0 src1=1 src2=0
	v_mul_i32_i24_e32 v125, v80, v133 /*v389*/
	s_set_vgpr_msb 0x44                     ;  msbs: dst=1 src0=0 src1=1 src2=0
	v_and_b32_e32 v146 /*v402*/, 3, v237 /*v493*/
	s_set_vgpr_msb 0                        ;  msbs: dst=0 src0=0 src1=0 src2=0
	v_add3_u32 v119, v66, v90, v67
	s_set_vgpr_msb 4                        ;  msbs: dst=0 src0=0 src1=1 src2=0
	v_mul_i32_i24_e32 v66, v83, v137 /*v393*/
	s_set_vgpr_msb 0                        ;  msbs: dst=0 src0=0 src1=0 src2=0
	v_mul_i32_i24_e32 v67, v91, v144
	s_set_vgpr_msb 5                        ;  msbs: dst=0 src0=1 src1=1 src2=0
	v_mad_i32_i24 v90, v138 /*v394*/, v249 /*v505*/, v117
	s_set_vgpr_msb 4                        ;  msbs: dst=0 src0=0 src1=1 src2=0
	v_mul_i32_i24_e32 v117, v80, v137 /*v393*/
	v_mul_i32_i24_e32 v80, v80, v132 /*v388*/
	s_set_vgpr_msb 0x44                     ;  msbs: dst=1 src0=0 src1=1 src2=0
	v_dual_lshrrev_b32 v137 /*v393*/, 16, v237 /*v493*/ :: v_dual_lshrrev_b32 v140 /*v396*/, 24, v237 /*v493*/
	s_set_vgpr_msb 0                        ;  msbs: dst=0 src0=0 src1=0 src2=0
	v_add3_u32 v90, v90, v66, v67
	s_set_vgpr_msb 4                        ;  msbs: dst=0 src0=0 src1=1 src2=0
	v_mul_i32_i24_e32 v66, v129, v250 /*v506*/
	s_set_vgpr_msb 0                        ;  msbs: dst=0 src0=0 src1=0 src2=0
	v_mul_i32_i24_e32 v67, v127, v144
	s_set_vgpr_msb 0x41                     ;  msbs: dst=1 src0=1 src1=0 src2=0
	v_bfe_u32 v237 /*v493*/, v228 /*v484*/, 8, 2
	v_mul_i32_i24_e32 v74 /*v330*/, v160 /*v416*/, v252
	s_set_vgpr_msb 0x44                     ;  msbs: dst=1 src0=0 src1=1 src2=0
	v_add3_u32 v179 /*v435*/, v137, v22 /*v278*/, v250
	s_set_vgpr_msb 4                        ;  msbs: dst=0 src0=0 src1=1 src2=0
	v_mad_i32_i24 v66, v126, v249 /*v505*/, v66
	s_set_vgpr_msb 5                        ;  msbs: dst=0 src0=1 src1=1 src2=0
	v_mul_i32_i24_e32 v137, v157 /*v413*/, v14 /*v270*/
	s_set_vgpr_msb 0x41                     ;  msbs: dst=1 src0=1 src1=0 src2=0
	v_mul_i32_i24_e32 v81 /*v337*/, v166 /*v422*/, v248
	s_set_vgpr_msb 0x45                     ;  msbs: dst=1 src0=1 src1=1 src2=0
	v_add_nc_u32_e32 v103 /*v359*/, v70 /*v326*/, v68 /*v324*/
	v_add_nc_u32_e32 v70 /*v326*/, v42 /*v298*/, v41 /*v297*/
	s_set_vgpr_msb 64                       ;  msbs: dst=1 src0=0 src1=0 src2=0
	v_add3_u32 v250 /*v506*/, v66, v117, v67
	s_set_vgpr_msb 0                        ;  msbs: dst=0 src0=0 src1=0 src2=0
	v_mul_i32_i24_e32 v66, v91, v109
	s_set_vgpr_msb 4                        ;  msbs: dst=0 src0=0 src1=1 src2=0
	v_mul_i32_i24_e32 v67, v83, v133 /*v389*/
	s_set_vgpr_msb 5                        ;  msbs: dst=0 src0=1 src1=1 src2=0
	v_mad_i32_i24 v117, v138 /*v394*/, v134 /*v390*/, v123
	s_set_vgpr_msb 0                        ;  msbs: dst=0 src0=0 src1=0 src2=0
	v_mul_i32_i24_e32 v123, v127, v109
	s_set_vgpr_msb 0x41                     ;  msbs: dst=1 src0=1 src1=0 src2=0
	v_bfe_u32 v133 /*v389*/, v228 /*v484*/, 24, 2
	v_mul_i32_i24_e32 v41 /*v297*/, v166 /*v422*/, v234
	v_bfe_i32 v68 /*v324*/, v80 /*v336*/, 0, 8
	s_set_vgpr_msb 64                       ;  msbs: dst=1 src0=0 src1=0 src2=0
	v_add3_u32 v249 /*v505*/, v117, v67, v66
	s_set_vgpr_msb 4                        ;  msbs: dst=0 src0=0 src1=1 src2=0
	v_mul_i32_i24_e32 v117, v129, v248 /*v504*/
	s_set_vgpr_msb 1                        ;  msbs: dst=0 src0=1 src1=0 src2=0
	v_bfe_u32 v66, v128 /*v384*/, 24, 2
	v_bfe_u32 v67, v128 /*v384*/, 16, 2
	s_set_vgpr_msb 0x41                     ;  msbs: dst=1 src0=1 src1=0 src2=0
	v_bfe_u32 v128 /*v384*/, v228 /*v484*/, 16, 2
	s_set_vgpr_msb 1                        ;  msbs: dst=0 src0=1 src1=0 src2=0
	v_bfe_u32 v142, v142 /*v398*/, 8, 2
	s_set_vgpr_msb 4                        ;  msbs: dst=0 src0=0 src1=1 src2=0
	v_mad_i32_i24 v117, v126, v134 /*v390*/, v117
	s_set_vgpr_msb 0x44                     ;  msbs: dst=1 src0=0 src1=1 src2=0
	v_and_b32_e32 v134 /*v390*/, 3, v199 /*v455*/
	s_set_vgpr_msb 4                        ;  msbs: dst=0 src0=0 src1=1 src2=0
	v_mul_i32_i24_e32 v203, v67, v65 /*v321*/
	v_mul_i32_i24_e32 v204, v66, v67 /*v323*/
	s_set_vgpr_msb 0x41                     ;  msbs: dst=1 src0=1 src1=0 src2=0
	v_bfe_u32 v147 /*v403*/, v243 /*v499*/, 8, 2
	s_set_vgpr_msb 64                       ;  msbs: dst=1 src0=0 src1=0 src2=0
	v_add3_u32 v248 /*v504*/, v117, v125, v123
	s_set_vgpr_msb 4                        ;  msbs: dst=0 src0=0 src1=1 src2=0
	v_mul_i32_i24_e32 v117, v129, v246 /*v502*/
	s_set_vgpr_msb 5                        ;  msbs: dst=0 src0=1 src1=1 src2=0
	v_mul_i32_i24_e32 v123, v253 /*v509*/, v246 /*v502*/
	s_set_vgpr_msb 0                        ;  msbs: dst=0 src0=0 src1=0 src2=0
	v_mul_i32_i24_e32 v125, v91, v113
	s_set_vgpr_msb 5                        ;  msbs: dst=0 src0=1 src1=1 src2=0
	v_mul_i32_i24_e32 v129, v101 /*v357*/, v111 /*v367*/
	s_set_vgpr_msb 0x41                     ;  msbs: dst=1 src0=1 src1=0 src2=0
	v_bfe_u32 v144 /*v400*/, v243 /*v499*/, 16, 2
	s_set_vgpr_msb 4                        ;  msbs: dst=0 src0=0 src1=1 src2=0
	v_mad_i32_i24 v117, v126, v154 /*v410*/, v117
	s_set_vgpr_msb 5                        ;  msbs: dst=0 src0=1 src1=1 src2=0
	v_mad_i32_i24 v123, v138 /*v394*/, v154 /*v410*/, v123
	s_set_vgpr_msb 4                        ;  msbs: dst=0 src0=0 src1=1 src2=0
	v_mul_i32_i24_e32 v126, v83, v132 /*v388*/
	s_set_vgpr_msb 0x44                     ;  msbs: dst=1 src0=0 src1=1 src2=0
	v_lshrrev_b32_e32 v132 /*v388*/, 16, v199 /*v455*/
	s_set_vgpr_msb 0x41                     ;  msbs: dst=1 src0=1 src1=0 src2=0
	v_bfe_u32 v199 /*v455*/, v196 /*v452*/, 8, 2
	s_set_vgpr_msb 0x44                     ;  msbs: dst=1 src0=0 src1=1 src2=0
	v_dual_lshrrev_b32 v145 /*v401*/, 24, v243 /*v499*/ :: v_dual_bitop2_b32 v154 /*v410*/, 3, v192 /*v448*/ bitop3:0x40
	s_set_vgpr_msb 64                       ;  msbs: dst=1 src0=0 src1=0 src2=0
	v_add3_u32 v246 /*v502*/, v123, v126, v125
	s_set_vgpr_msb 0                        ;  msbs: dst=0 src0=0 src1=0 src2=0
	v_mul_i32_i24_e32 v123, v127, v113
	s_set_vgpr_msb 5                        ;  msbs: dst=0 src0=1 src1=1 src2=0
	v_mul_i32_i24_e32 v125, v102 /*v358*/, v118 /*v374*/
	v_mul_i32_i24_e32 v126, v93 /*v349*/, v118 /*v374*/
	s_set_vgpr_msb 0x41                     ;  msbs: dst=1 src0=1 src1=0 src2=0
	v_bfe_u32 v243 /*v499*/, v131 /*v387*/, 8, 2
	v_mul_i32_i24_e32 v178 /*v434*/, v162 /*v418*/, v249
	s_set_vgpr_msb 0                        ;  msbs: dst=0 src0=0 src1=0 src2=0
	v_add3_u32 v80, v117, v80, v123
	s_set_vgpr_msb 5                        ;  msbs: dst=0 src0=1 src1=1 src2=0
	v_mul_i32_i24_e32 v117, v120 /*v376*/, v126 /*v382*/
	v_mul_i32_i24_e32 v123, v119 /*v375*/, v130 /*v386*/
	s_set_vgpr_msb 0x41                     ;  msbs: dst=1 src0=1 src1=0 src2=0
	v_bfe_u32 v130 /*v386*/, v196 /*v452*/, 16, 2
	v_bfe_u32 v126 /*v382*/, v196 /*v452*/, 24, 2
	s_set_vgpr_msb 1                        ;  msbs: dst=0 src0=1 src1=0 src2=0
	v_mul_i32_i24_e32 v217, v162 /*v418*/, v182
	s_set_vgpr_msb 0x44                     ;  msbs: dst=1 src0=0 src1=1 src2=0
	v_and_b32_e32 v241 /*v497*/, 3, v240 /*v496*/
	s_set_vgpr_msb 0x41                     ;  msbs: dst=1 src0=1 src1=0 src2=0
	v_add3_u32 v251 /*v507*/, v238 /*v494*/, v123, v117
	s_set_vgpr_msb 4                        ;  msbs: dst=0 src0=0 src1=1 src2=0
	v_mul_i32_i24_e32 v117, v65, v58 /*v314*/
	v_mul_i32_i24_e32 v123, v64, v100 /*v356*/
	s_set_vgpr_msb 0x41                     ;  msbs: dst=1 src0=1 src1=0 src2=0
	v_bfe_u32 v184 /*v440*/, v142 /*v398*/, 16, 2
	v_bfe_u32 v185 /*v441*/, v142 /*v398*/, 24, 2
	;; [unrolled: 1-line block ×4, first 2 shown]
	v_add3_u32 v238 /*v494*/, v239 /*v495*/, v123, v117
	s_set_vgpr_msb 5                        ;  msbs: dst=0 src0=1 src1=1 src2=0
	v_mul_i32_i24_e32 v117, v120 /*v376*/, v125 /*v381*/
	v_mul_i32_i24_e32 v123, v119 /*v375*/, v129 /*v385*/
	s_set_vgpr_msb 0x44                     ;  msbs: dst=1 src0=0 src1=1 src2=0
	v_dual_lshrrev_b32 v125 /*v381*/, 16, v194 /*v450*/ :: v_dual_lshrrev_b32 v129 /*v385*/, 24, v194 /*v450*/
	v_lshrrev_b32_e32 v240 /*v496*/, 24, v240 /*v496*/
	s_set_vgpr_msb 0x41                     ;  msbs: dst=1 src0=1 src1=0 src2=0
	v_bfe_u32 v143 /*v399*/, v131 /*v387*/, 16, 2
	v_add3_u32 v239 /*v495*/, v235 /*v491*/, v123, v117
	s_set_vgpr_msb 4                        ;  msbs: dst=0 src0=0 src1=1 src2=0
	v_mul_i32_i24_e32 v117, v66, v58 /*v314*/
	v_mul_i32_i24_e32 v123, v67, v100 /*v356*/
	s_set_vgpr_msb 0x41                     ;  msbs: dst=1 src0=1 src1=0 src2=0
	v_bfe_u32 v131 /*v387*/, v131 /*v387*/, 24, 2
	v_add3_u32 v70 /*v326*/, v70 /*v326*/, v180, v45
	s_set_vgpr_msb 64                       ;  msbs: dst=1 src0=0 src1=0 src2=0
	v_mul_i32_i24_e32 v83 /*v339*/, v169, v225
	s_set_vgpr_msb 0x45                     ;  msbs: dst=1 src0=1 src1=1 src2=0
	v_mul_i32_i24_e32 v138 /*v394*/, v138 /*v394*/, v153 /*v409*/
	s_set_vgpr_msb 0x41                     ;  msbs: dst=1 src0=1 src1=0 src2=0
	v_add3_u32 v235 /*v491*/, v236 /*v492*/, v123, v117
	s_set_vgpr_msb 5                        ;  msbs: dst=0 src0=1 src1=1 src2=0
	v_mul_i32_i24_e32 v117, v120 /*v376*/, v124 /*v380*/
	v_mul_i32_i24_e32 v123, v119 /*v375*/, v127 /*v383*/
	s_set_vgpr_msb 0x45                     ;  msbs: dst=1 src0=1 src1=1 src2=0
	v_bfe_u32 v127 /*v383*/, v192 /*v448*/, 8, 2
	v_bfe_u32 v119 /*v375*/, v192 /*v448*/, 16, 2
	;; [unrolled: 1-line block ×3, first 2 shown]
	v_add_nc_u32_e32 v192 /*v448*/, v87 /*v343*/, v85 /*v341*/
	s_set_vgpr_msb 0x41                     ;  msbs: dst=1 src0=1 src1=0 src2=0
	v_add3_u32 v194 /*v450*/, v229 /*v485*/, v123, v117
	s_set_vgpr_msb 4                        ;  msbs: dst=0 src0=0 src1=1 src2=0
	v_mul_i32_i24_e32 v117, v121, v58 /*v314*/
	v_mul_i32_i24_e32 v123, v214, v100 /*v356*/
	s_set_vgpr_msb 0x41                     ;  msbs: dst=1 src0=1 src1=0 src2=0
	v_add3_u32 v229 /*v485*/, v202 /*v458*/, v188, v191
	s_set_vgpr_msb 5                        ;  msbs: dst=0 src0=1 src1=1 src2=0
	v_mul_i32_i24_e32 v188, v86 /*v342*/, v92 /*v348*/
	v_mul_i32_i24_e32 v191, v157 /*v413*/, v6 /*v262*/
	s_set_vgpr_msb 0x45                     ;  msbs: dst=1 src0=1 src1=1 src2=0
	v_add_nc_u32_e32 v85 /*v341*/, v79 /*v335*/, v77 /*v333*/
	s_set_vgpr_msb 0x41                     ;  msbs: dst=1 src0=1 src1=0 src2=0
	v_add3_u32 v196 /*v452*/, v230 /*v486*/, v123, v117
	s_set_vgpr_msb 5                        ;  msbs: dst=0 src0=1 src1=1 src2=0
	v_mul_i32_i24_e32 v117, v102 /*v358*/, v116 /*v372*/
	v_mul_i32_i24_e32 v123, v101 /*v357*/, v115 /*v371*/
	s_set_vgpr_msb 0                        ;  msbs: dst=0 src0=0 src1=0 src2=0
	v_add3_u32 v216, v136, v191, v194
	s_set_vgpr_msb 1                        ;  msbs: dst=0 src0=1 src1=0 src2=0
	v_mul_i32_i24_e32 v136, v165 /*v421*/, v13
	s_set_vgpr_msb 0x45                     ;  msbs: dst=1 src0=1 src1=1 src2=0
	v_add_nc_u32_e32 v79 /*v335*/, v58 /*v314*/, v54 /*v310*/
	s_set_vgpr_msb 0x41                     ;  msbs: dst=1 src0=1 src1=0 src2=0
	v_mul_i32_i24_e32 v54 /*v310*/, v164 /*v420*/, v54
	v_add3_u32 v228 /*v484*/, v231 /*v487*/, v123, v117
	s_set_vgpr_msb 4                        ;  msbs: dst=0 src0=0 src1=1 src2=0
	v_mul_i32_i24_e32 v117, v65, v97 /*v353*/
	v_mul_i32_i24_e32 v123, v64, v87 /*v343*/
	s_set_vgpr_msb 0x41                     ;  msbs: dst=1 src0=1 src1=0 src2=0
	v_mul_i32_i24_e32 v58 /*v314*/, v164 /*v420*/, v42
	s_set_vgpr_msb 0x45                     ;  msbs: dst=1 src0=1 src1=1 src2=0
	v_dual_add_nc_u32 v100 /*v356*/, v100 /*v356*/, v99 /*v355*/ :: v_dual_bitop2_b32 v124 /*v380*/, 3, v177 /*v433*/ bitop3:0x40
	s_set_vgpr_msb 0x41                     ;  msbs: dst=1 src0=1 src1=0 src2=0
	v_mul_i32_i24_e32 v231 /*v487*/, v162 /*v418*/, v172
	s_set_vgpr_msb 1                        ;  msbs: dst=0 src0=1 src1=0 src2=0
	v_add3_u32 v199, v232 /*v488*/, v123, v117
	s_set_vgpr_msb 5                        ;  msbs: dst=0 src0=1 src1=1 src2=0
	v_mul_i32_i24_e32 v117, v93 /*v349*/, v116 /*v372*/
	v_mul_i32_i24_e32 v123, v86 /*v342*/, v115 /*v371*/
	s_set_vgpr_msb 0x41                     ;  msbs: dst=1 src0=1 src1=0 src2=0
	v_mul_i32_i24_e32 v232 /*v488*/, v162 /*v418*/, v180
	s_set_vgpr_msb 0x45                     ;  msbs: dst=1 src0=1 src1=1 src2=0
	v_mul_i32_i24_e32 v99 /*v355*/, v124 /*v380*/, v26 /*v282*/
	s_set_vgpr_msb 0x41                     ;  msbs: dst=1 src0=1 src1=0 src2=0
	v_add3_u32 v100 /*v356*/, v100 /*v356*/, v229, v54
	s_set_vgpr_msb 0x44                     ;  msbs: dst=1 src0=0 src1=1 src2=0
	v_and_b32_e32 v132 /*v388*/, 3, v132 /*v388*/
	s_set_vgpr_msb 1                        ;  msbs: dst=0 src0=1 src1=0 src2=0
	v_add3_u32 v200, v233 /*v489*/, v123, v117
	s_set_vgpr_msb 4                        ;  msbs: dst=0 src0=0 src1=1 src2=0
	v_mul_i32_i24_e32 v117, v66, v97 /*v353*/
	v_mul_i32_i24_e32 v123, v67, v87 /*v343*/
	s_set_vgpr_msb 0x41                     ;  msbs: dst=1 src0=1 src1=0 src2=0
	v_mul_i32_i24_e32 v233 /*v489*/, v163 /*v419*/, v176
	s_set_vgpr_msb 0x44                     ;  msbs: dst=1 src0=0 src1=1 src2=0
	v_and_b32_e32 v125 /*v381*/, 3, v125 /*v381*/
	v_and_b32_e32 v137 /*v393*/, 3, v137 /*v393*/
	s_set_vgpr_msb 1                        ;  msbs: dst=0 src0=1 src1=0 src2=0
	v_and_b32_e32 v177, 0xffff, v177
	v_add3_u32 v131, v234 /*v490*/, v123, v117
	s_set_vgpr_msb 5                        ;  msbs: dst=0 src0=1 src1=1 src2=0
	v_mul_i32_i24_e32 v117, v94 /*v350*/, v116 /*v372*/
	v_mul_i32_i24_e32 v123, v91 /*v347*/, v115 /*v371*/
	s_set_vgpr_msb 0x44                     ;  msbs: dst=1 src0=0 src1=1 src2=0
	v_lshrrev_b32_e32 v115 /*v371*/, 24, v177 /*v433*/
	s_set_vgpr_msb 0x41                     ;  msbs: dst=1 src0=1 src1=0 src2=0
	v_bfe_u32 v116 /*v372*/, v177 /*v433*/, 8, 2
	v_mul_i32_i24_e32 v234 /*v490*/, v163 /*v419*/, v181
	s_set_vgpr_msb 0                        ;  msbs: dst=0 src0=0 src1=0 src2=0
	v_mov_b32_e32 v14, v163
	s_set_vgpr_msb 1                        ;  msbs: dst=0 src0=1 src1=0 src2=0
	v_add3_u32 v201, v224 /*v480*/, v123, v117
	s_set_vgpr_msb 4                        ;  msbs: dst=0 src0=0 src1=1 src2=0
	v_mul_i32_i24_e32 v117, v121, v97 /*v353*/
	v_mul_i32_i24_e32 v123, v214, v87 /*v343*/
	s_set_vgpr_msb 0x45                     ;  msbs: dst=1 src0=1 src1=1 src2=0
	v_mul_i32_i24_e32 v77 /*v333*/, v116 /*v372*/, v23 /*v279*/
	v_and_b32_e32 v115 /*v371*/, 3, v115 /*v371*/
	s_set_vgpr_msb 0                        ;  msbs: dst=0 src0=0 src1=0 src2=0
	v_dual_mov_b32 v12, v162 :: v_dual_mov_b32 v20, v163
	s_set_vgpr_msb 1                        ;  msbs: dst=0 src0=1 src1=0 src2=0
	v_add3_u32 v202, v225 /*v481*/, v123, v117
	s_set_vgpr_msb 5                        ;  msbs: dst=0 src0=1 src1=1 src2=0
	v_mul_i32_i24_e32 v117, v102 /*v358*/, v114 /*v370*/
	v_mul_i32_i24_e32 v123, v101 /*v357*/, v113 /*v369*/
	s_set_vgpr_msb 0                        ;  msbs: dst=0 src0=0 src1=0 src2=0
	v_dual_mov_b32 v0, v157 :: v_dual_mov_b32 v1, v156
	v_dual_mov_b32 v10, v161 :: v_dual_mov_b32 v16, v161
	s_set_vgpr_msb 1                        ;  msbs: dst=0 src0=1 src1=0 src2=0
	v_add3_u32 v212, v226 /*v482*/, v123, v117
	s_set_vgpr_msb 5                        ;  msbs: dst=0 src0=1 src1=1 src2=0
	v_mul_i32_i24_e32 v117, v93 /*v349*/, v114 /*v370*/
	v_mul_i32_i24_e32 v123, v86 /*v342*/, v113 /*v369*/
	s_set_vgpr_msb 0                        ;  msbs: dst=0 src0=0 src1=0 src2=0
	v_dual_mov_b32 v6, v151 :: v_dual_mov_b32 v7, v149
	v_dual_mov_b32 v2, v156 :: v_dual_mov_b32 v3, v149
	s_set_vgpr_msb 1                        ;  msbs: dst=0 src0=1 src1=0 src2=0
	v_add3_u32 v127, v227 /*v483*/, v123, v117
	s_set_vgpr_msb 5                        ;  msbs: dst=0 src0=1 src1=1 src2=0
	v_mul_i32_i24_e32 v117, v91 /*v347*/, v113 /*v369*/
	v_mul_i32_i24_e32 v123, v94 /*v350*/, v114 /*v370*/
	s_set_vgpr_msb 0x44                     ;  msbs: dst=1 src0=0 src1=1 src2=0
	v_lshrrev_b32_e32 v114 /*v370*/, 16, v177 /*v433*/
	s_set_vgpr_msb 0x41                     ;  msbs: dst=1 src0=1 src1=0 src2=0
	v_mul_i32_i24_e32 v177 /*v433*/, v162 /*v418*/, v229
	s_set_vgpr_msb 64                       ;  msbs: dst=1 src0=0 src1=0 src2=0
	v_mul_i32_i24_e32 v113 /*v369*/, v171, v40
	s_set_vgpr_msb 0                        ;  msbs: dst=0 src0=0 src1=0 src2=0
	v_mov_b32_e32 v152, v157
	s_set_vgpr_msb 1                        ;  msbs: dst=0 src0=1 src1=0 src2=0
	v_add3_u32 v197, v223 /*v479*/, v117, v123
	s_set_vgpr_msb 5                        ;  msbs: dst=0 src0=1 src1=1 src2=0
	v_mul_i32_i24_e32 v117, v101 /*v357*/, v117 /*v373*/
	v_mul_i32_i24_e32 v123, v94 /*v350*/, v118 /*v374*/
	s_set_vgpr_msb 0x44                     ;  msbs: dst=1 src0=0 src1=1 src2=0
	v_and_b32_e32 v114 /*v370*/, 3, v114 /*v370*/
	s_set_vgpr_msb 0                        ;  msbs: dst=0 src0=0 src1=0 src2=0
	v_dual_mov_b32 v150, v149 :: v_dual_mov_b32 v155, v148
	s_set_vgpr_msb 1                        ;  msbs: dst=0 src0=1 src1=0 src2=0
	v_add3_u32 v198, v220 /*v476*/, v117, v125
	s_set_vgpr_msb 5                        ;  msbs: dst=0 src0=1 src1=1 src2=0
	v_mul_i32_i24_e32 v125, v91 /*v347*/, v117 /*v373*/
	v_mul_i32_i24_e32 v117, v86 /*v342*/, v117 /*v373*/
	s_set_vgpr_msb 0x45                     ;  msbs: dst=1 src0=1 src1=1 src2=0
	v_add_nc_u32_e32 v117 /*v373*/, v97 /*v353*/, v95 /*v351*/
	s_set_vgpr_msb 0x41                     ;  msbs: dst=1 src0=1 src1=0 src2=0
	v_mul_i32_i24_e32 v95 /*v351*/, v166 /*v422*/, v250
	s_set_vgpr_msb 0                        ;  msbs: dst=0 src0=0 src1=0 src2=0
	v_mov_b32_e32 v159, v153
	s_set_vgpr_msb 1                        ;  msbs: dst=0 src0=1 src1=0 src2=0
	v_add3_u32 v196, v222 /*v478*/, v125, v123
	s_set_vgpr_msb 4                        ;  msbs: dst=0 src0=0 src1=1 src2=0
	v_mul_i32_i24_e32 v123, v65, v78 /*v334*/
	v_mul_i32_i24_e32 v125, v64, v75 /*v331*/
	s_set_vgpr_msb 1                        ;  msbs: dst=0 src0=1 src1=0 src2=0
	v_add3_u32 v195, v221 /*v477*/, v117, v126
	s_set_vgpr_msb 4                        ;  msbs: dst=0 src0=0 src1=1 src2=0
	v_mul_i32_i24_e32 v126, v66, v78 /*v334*/
	v_mul_i32_i24_e32 v117, v65, v52 /*v308*/
	v_mov_b32_e32 v8, v153
	s_set_vgpr_msb 1                        ;  msbs: dst=0 src0=1 src1=0 src2=0
	v_add3_u32 v213, v219 /*v475*/, v125, v123
	s_set_vgpr_msb 4                        ;  msbs: dst=0 src0=0 src1=1 src2=0
	v_mul_i32_i24_e32 v123, v67, v75 /*v331*/
	s_set_vgpr_msb 5                        ;  msbs: dst=0 src0=1 src1=1 src2=0
	v_mul_i32_i24_e32 v125, v102 /*v358*/, v112 /*v368*/
	s_set_vgpr_msb 0                        ;  msbs: dst=0 src0=0 src1=0 src2=0
	v_mov_b32_e32 v9, v158
	s_add_co_i32 s15, s15, 2
	s_set_vgpr_msb 0x41                     ;  msbs: dst=1 src0=1 src1=0 src2=0
	v_add3_u32 v118 /*v374*/, v218 /*v474*/, v123, v126
	s_set_vgpr_msb 4                        ;  msbs: dst=0 src0=0 src1=1 src2=0
	v_mul_i32_i24_e32 v123, v121, v78 /*v334*/
	v_mul_i32_i24_e32 v126, v214, v75 /*v331*/
	s_set_vgpr_msb 0x41                     ;  msbs: dst=1 src0=1 src1=0 src2=0
	v_add3_u32 v218 /*v474*/, v208 /*v464*/, v143, v145
	s_set_vgpr_msb 5                        ;  msbs: dst=0 src0=1 src1=1 src2=0
	v_mul_i32_i24_e32 v143, v101 /*v357*/, v107 /*v363*/
	v_mul_i32_i24_e32 v145, v102 /*v358*/, v108 /*v364*/
	s_set_vgpr_msb 0x41                     ;  msbs: dst=1 src0=1 src1=0 src2=0
	v_add3_u32 v215 /*v471*/, v215 /*v471*/, v129, v125
	v_add3_u32 v216 /*v472*/, v216 /*v472*/, v126, v123
	s_set_vgpr_msb 4                        ;  msbs: dst=0 src0=0 src1=1 src2=0
	v_mul_i32_i24_e32 v126, v64, v42 /*v298*/
	v_mul_i32_i24_e32 v125, v65, v67 /*v323*/
	s_set_vgpr_msb 0x41                     ;  msbs: dst=1 src0=1 src1=0 src2=0
	v_add3_u32 v220 /*v476*/, v210 /*v466*/, v143, v145
	s_set_vgpr_msb 4                        ;  msbs: dst=0 src0=0 src1=1 src2=0
	v_mul_i32_i24_e32 v143, v65, v47 /*v303*/
	v_mul_i32_i24_e32 v145, v64, v36 /*v292*/
	s_set_vgpr_msb 0x41                     ;  msbs: dst=1 src0=1 src1=0 src2=0
	v_add3_u32 v217 /*v473*/, v217 /*v473*/, v126, v117
	s_set_vgpr_msb 5                        ;  msbs: dst=0 src0=1 src1=1 src2=0
	v_mul_i32_i24_e32 v117, v93 /*v349*/, v112 /*v368*/
	v_mul_i32_i24_e32 v126, v86 /*v342*/, v111 /*v367*/
	s_set_vgpr_msb 4                        ;  msbs: dst=0 src0=0 src1=1 src2=0
	v_mul_i32_i24_e32 v129, v64, v65 /*v321*/
	s_set_vgpr_msb 0x41                     ;  msbs: dst=1 src0=1 src1=0 src2=0
	v_add3_u32 v222 /*v478*/, v212 /*v468*/, v145, v143
	s_set_vgpr_msb 4                        ;  msbs: dst=0 src0=0 src1=1 src2=0
	v_mul_i32_i24_e32 v143, v121, v47 /*v303*/
	v_mul_i32_i24_e32 v145, v214, v36 /*v292*/
	s_set_vgpr_msb 0x41                     ;  msbs: dst=1 src0=1 src1=0 src2=0
	v_add3_u32 v223 /*v479*/, v206 /*v462*/, v126, v117
	s_set_vgpr_msb 4                        ;  msbs: dst=0 src0=0 src1=1 src2=0
	v_mul_i32_i24_e32 v117, v66, v52 /*v308*/
	v_mul_i32_i24_e32 v126, v67, v42 /*v298*/
	s_set_vgpr_msb 0x41                     ;  msbs: dst=1 src0=1 src1=0 src2=0
	v_add3_u32 v200 /*v456*/, v200 /*v456*/, v129, v125
	v_add3_u32 v210 /*v466*/, v214 /*v470*/, v145, v143
	s_set_vgpr_msb 4                        ;  msbs: dst=0 src0=0 src1=1 src2=0
	v_mul_i32_i24_e32 v145, v64, v40 /*v296*/
	v_mul_i32_i24_e32 v143, v67, v40 /*v296*/
	s_set_vgpr_msb 0x41                     ;  msbs: dst=1 src0=1 src1=0 src2=0
	v_add3_u32 v224 /*v480*/, v207 /*v463*/, v126, v117
	s_set_vgpr_msb 4                        ;  msbs: dst=0 src0=0 src1=1 src2=0
	v_mul_i32_i24_e32 v117, v121, v52 /*v308*/
	v_mul_i32_i24_e32 v126, v214, v42 /*v298*/
	;; [unrolled: 1-line block ×3, first 2 shown]
	s_set_vgpr_msb 5                        ;  msbs: dst=0 src0=1 src1=1 src2=0
	v_mul_i32_i24_e32 v125, v93 /*v349*/, v90 /*v346*/
	v_mul_i32_i24_e32 v129, v102 /*v358*/, v90 /*v346*/
	;; [unrolled: 1-line block ×3, first 2 shown]
	s_set_vgpr_msb 0x41                     ;  msbs: dst=1 src0=1 src1=0 src2=0
	v_add3_u32 v219 /*v475*/, v209 /*v465*/, v126, v117
	s_set_vgpr_msb 5                        ;  msbs: dst=0 src0=1 src1=1 src2=0
	v_mul_i32_i24_e32 v117, v86 /*v342*/, v107 /*v363*/
	v_mul_i32_i24_e32 v126, v93 /*v349*/, v108 /*v364*/
	s_set_vgpr_msb 1                        ;  msbs: dst=0 src0=1 src1=0 src2=0
	v_add3_u32 v215, v197 /*v453*/, v188, v125
	s_set_vgpr_msb 5                        ;  msbs: dst=0 src0=1 src1=1 src2=0
	v_mul_i32_i24_e32 v188, v91 /*v347*/, v92 /*v348*/
	s_set_vgpr_msb 0x41                     ;  msbs: dst=1 src0=1 src1=0 src2=0
	v_add3_u32 v180 /*v436*/, v180 /*v436*/, v139, v123
	s_set_vgpr_msb 5                        ;  msbs: dst=0 src0=1 src1=1 src2=0
	v_mul_i32_i24_e32 v139, v159 /*v415*/, v4 /*v260*/
	s_set_vgpr_msb 0x41                     ;  msbs: dst=1 src0=1 src1=0 src2=0
	v_add3_u32 v221 /*v477*/, v211 /*v467*/, v117, v126
	s_set_vgpr_msb 4                        ;  msbs: dst=0 src0=0 src1=1 src2=0
	v_mul_i32_i24_e32 v117, v66, v47 /*v303*/
	v_mul_i32_i24_e32 v126, v67, v36 /*v292*/
	;; [unrolled: 1-line block ×3, first 2 shown]
	s_set_vgpr_msb 0x45                     ;  msbs: dst=1 src0=1 src1=1 src2=0
	v_add_nc_u32_e32 v75 /*v331*/, v75 /*v331*/, v72 /*v328*/
	v_add_nc_u32_e32 v90 /*v346*/, v46 /*v302*/, v44 /*v300*/
	s_set_vgpr_msb 5                        ;  msbs: dst=0 src0=1 src1=1 src2=0
	v_add_nc_u32_e32 v123, v39 /*v295*/, v37 /*v293*/
	s_set_vgpr_msb 0x41                     ;  msbs: dst=1 src0=1 src1=0 src2=0
	v_add3_u32 v208 /*v464*/, v213 /*v469*/, v126, v117
	s_set_vgpr_msb 4                        ;  msbs: dst=0 src0=0 src1=1 src2=0
	v_mul_i32_i24_e32 v117, v65, v48 /*v304*/
	v_mul_i32_i24_e32 v126, v66, v48 /*v304*/
	;; [unrolled: 1-line block ×4, first 2 shown]
	s_set_vgpr_msb 0x41                     ;  msbs: dst=1 src0=1 src1=0 src2=0
	v_mul_i32_i24_e32 v39 /*v295*/, v166 /*v422*/, v226
	v_add3_u32 v214 /*v470*/, v205 /*v461*/, v145, v117
	s_set_vgpr_msb 5                        ;  msbs: dst=0 src0=1 src1=1 src2=0
	v_mul_i32_i24_e32 v117, v94 /*v350*/, v108 /*v364*/
	s_set_vgpr_msb 0x41                     ;  msbs: dst=1 src0=1 src1=0 src2=0
	v_add3_u32 v204 /*v460*/, v204 /*v460*/, v143, v126
	s_set_vgpr_msb 5                        ;  msbs: dst=0 src0=1 src1=1 src2=0
	v_mul_i32_i24_e32 v126, v101 /*v357*/, v69 /*v325*/
	v_mul_i32_i24_e32 v145, v102 /*v358*/, v71 /*v327*/
	s_set_vgpr_msb 0x41                     ;  msbs: dst=1 src0=1 src1=0 src2=0
	v_add3_u32 v226 /*v482*/, v188 /*v444*/, v64, v65
	v_add3_u32 v225 /*v481*/, v203 /*v459*/, v190, v117
	s_set_vgpr_msb 5                        ;  msbs: dst=0 src0=1 src1=1 src2=0
	v_add_nc_u32_e32 v190, v84 /*v340*/, v82 /*v338*/
	s_set_vgpr_msb 0x41                     ;  msbs: dst=1 src0=1 src1=0 src2=0
	v_add3_u32 v227 /*v483*/, v187 /*v443*/, v67, v66
	v_add3_u32 v230 /*v486*/, v201 /*v457*/, v126, v145
	s_set_vgpr_msb 5                        ;  msbs: dst=0 src0=1 src1=1 src2=0
	v_mul_i32_i24_e32 v145, v101 /*v357*/, v92 /*v348*/
	s_set_vgpr_msb 4                        ;  msbs: dst=0 src0=0 src1=1 src2=0
	v_mul_i32_i24_e32 v64, v214, v53 /*v309*/
	s_set_vgpr_msb 0x44                     ;  msbs: dst=1 src0=0 src1=1 src2=0
	v_add3_u32 v97 /*v353*/, v190, v6 /*v262*/, v222
	s_set_vgpr_msb 5                        ;  msbs: dst=0 src0=1 src1=1 src2=0
	v_dual_lshrrev_b32 v190, 4, v183 /*v439*/ :: v_dual_add_nc_u32 v65, v63 /*v319*/, v62 /*v318*/
	v_add_nc_u32_e32 v214, v48 /*v304*/, v45 /*v301*/
	s_set_vgpr_msb 4                        ;  msbs: dst=0 src0=0 src1=1 src2=0
	v_mul_i32_i24_e32 v66, v121, v61 /*v317*/
	s_set_vgpr_msb 0x41                     ;  msbs: dst=1 src0=1 src1=0 src2=0
	v_add3_u32 v236 /*v492*/, v198 /*v454*/, v145, v129
	s_set_vgpr_msb 0                        ;  msbs: dst=0 src0=0 src1=0 src2=0
	v_mul_lo_u32 v129, 0x1010101, v190
	s_set_vgpr_msb 4                        ;  msbs: dst=0 src0=0 src1=1 src2=0
	v_mul_i32_i24_e32 v190, v121, v67 /*v323*/
	v_add3_u32 v121, v65, v19 /*v275*/, v235
	s_set_vgpr_msb 5                        ;  msbs: dst=0 src0=1 src1=1 src2=0
	v_mul_i32_i24_e32 v65, v25 /*v281*/, v34 /*v290*/
	s_set_vgpr_msb 0x41                     ;  msbs: dst=1 src0=1 src1=0 src2=0
	v_add3_u32 v182 /*v438*/, v182 /*v438*/, v64, v66
	s_set_vgpr_msb 5                        ;  msbs: dst=0 src0=1 src1=1 src2=0
	v_mul_i32_i24_e32 v64, v165 /*v421*/, v24 /*v280*/
	v_dual_lshrrev_b32 v145, 4, v186 /*v442*/ :: v_dual_add_nc_u32 v67, v59 /*v315*/, v55 /*v311*/
	s_set_vgpr_msb 0x41                     ;  msbs: dst=1 src0=1 src1=0 src2=0
	v_add3_u32 v186 /*v442*/, v195 /*v451*/, v188, v141
	s_set_vgpr_msb 5                        ;  msbs: dst=0 src0=1 src1=1 src2=0
	v_mul_i32_i24_e32 v141, v93 /*v349*/, v71 /*v327*/
	s_set_vgpr_msb 0x41                     ;  msbs: dst=1 src0=1 src1=0 src2=0
	v_add3_u32 v181 /*v437*/, v181 /*v437*/, v65, v64
	s_set_vgpr_msb 5                        ;  msbs: dst=0 src0=1 src1=1 src2=0
	v_mul_i32_i24_e32 v65, v165 /*v421*/, v9 /*v265*/
	v_mul_i32_i24_e32 v66, v159 /*v415*/, v8 /*v264*/
	s_set_vgpr_msb 64                       ;  msbs: dst=1 src0=0 src1=0 src2=0
	v_mul_lo_u32 v183 /*v439*/, 0x1010101, v145
	s_set_vgpr_msb 5                        ;  msbs: dst=0 src0=1 src1=1 src2=0
	v_mul_i32_i24_e32 v145, v91 /*v347*/, v69 /*v325*/
	v_mul_i32_i24_e32 v188, v94 /*v350*/, v71 /*v327*/
	s_set_vgpr_msb 0x41                     ;  msbs: dst=1 src0=1 src1=0 src2=0
	v_add3_u32 v197 /*v453*/, v193 /*v449*/, v208, v141
	s_set_vgpr_msb 5                        ;  msbs: dst=0 src0=1 src1=1 src2=0
	v_mul_i32_i24_e32 v64, v165 /*v421*/, v3 /*v259*/
	s_set_vgpr_msb 1                        ;  msbs: dst=0 src0=1 src1=0 src2=0
	v_add3_u32 v141, v176 /*v432*/, v66, v65
	s_set_vgpr_msb 5                        ;  msbs: dst=0 src0=1 src1=1 src2=0
	v_mul_i32_i24_e32 v66, v159 /*v415*/, v2 /*v258*/
	v_mul_i32_i24_e32 v143, v160 /*v416*/, v11 /*v267*/
	s_set_vgpr_msb 0x41                     ;  msbs: dst=1 src0=1 src1=0 src2=0
	v_add3_u32 v201 /*v457*/, v189 /*v445*/, v145, v188
	s_set_vgpr_msb 1                        ;  msbs: dst=0 src0=1 src1=0 src2=0
	v_mul_i32_i24_e32 v208, v157 /*v413*/, v254
	s_set_vgpr_msb 0x41                     ;  msbs: dst=1 src0=1 src1=0 src2=0
	v_add3_u32 v202 /*v458*/, v191 /*v447*/, v209, v190
	s_set_vgpr_msb 1                        ;  msbs: dst=0 src0=1 src1=0 src2=0
	v_add3_u32 v145, v174 /*v430*/, v66, v64
	s_set_vgpr_msb 5                        ;  msbs: dst=0 src0=1 src1=1 src2=0
	v_mul_i32_i24_e32 v66, v165 /*v421*/, v5 /*v261*/
	v_mul_i32_i24_e32 v65, v160 /*v416*/, v15 /*v271*/
	s_set_vgpr_msb 1                        ;  msbs: dst=0 src0=1 src1=0 src2=0
	v_add3_u32 v188, v175 /*v431*/, v147, v143
	s_set_vgpr_msb 5                        ;  msbs: dst=0 src0=1 src1=1 src2=0
	v_mul_i32_i24_e32 v147, v159 /*v415*/, v12 /*v268*/
	s_set_vgpr_msb 1                        ;  msbs: dst=0 src0=1 src1=0 src2=0
	v_mul_i32_i24_e32 v190, v159 /*v415*/, v253
	s_set_vgpr_msb 0x41                     ;  msbs: dst=1 src0=1 src1=0 src2=0
	v_add3_u32 v173 /*v429*/, v173 /*v429*/, v139, v66
	s_set_vgpr_msb 5                        ;  msbs: dst=0 src0=1 src1=1 src2=0
	v_mul_i32_i24_e32 v139, v165 /*v421*/, v13 /*v269*/
	s_set_vgpr_msb 0x41                     ;  msbs: dst=1 src0=1 src1=0 src2=0
	v_add3_u32 v198 /*v454*/, v190 /*v446*/, v203, v204
	s_set_vgpr_msb 16                       ;  msbs: dst=0 src0=0 src1=0 src2=1
	v_add3_u32 v203, v128, v208, v74 /*v330*/
	s_set_vgpr_msb 0                        ;  msbs: dst=0 src0=0 src1=0 src2=0
	v_add3_u32 v194, v124, v190, v136
	s_set_vgpr_msb 0x44                     ;  msbs: dst=1 src0=0 src1=1 src2=0
	v_add3_u32 v102 /*v358*/, v193, v1 /*v257*/, v230
	s_set_vgpr_msb 0                        ;  msbs: dst=0 src0=0 src1=0 src2=0
	v_add3_u32 v190, v130, v147, v139
	s_set_vgpr_msb 5                        ;  msbs: dst=0 src0=1 src1=1 src2=0
	v_mul_i32_i24_e32 v130, v157 /*v413*/, v18 /*v274*/
	v_mul_i32_i24_e32 v208, v160 /*v416*/, v19 /*v275*/
	s_set_vgpr_msb 0                        ;  msbs: dst=0 src0=0 src1=0 src2=0
	v_add3_u32 v204, v120, v137, v65
	v_add3_u32 v193, v118, v206, v207
	s_set_vgpr_msb 5                        ;  msbs: dst=0 src0=1 src1=1 src2=0
	v_bfe_i32 v65, v49 /*v305*/, 0, 8
	v_mul_i32_i24_e32 v206, v159 /*v415*/, v21 /*v277*/
	v_mul_i32_i24_e32 v209, v165 /*v421*/, v244 /*v500*/
	s_set_vgpr_msb 0x41                     ;  msbs: dst=1 src0=1 src1=0 src2=0
	v_bfe_i32 v195 /*v451*/, v183 /*v439*/, 0, 8
	v_bfe_i32 v74 /*v330*/, v183 /*v439*/, 8, 8
	s_set_vgpr_msb 1                        ;  msbs: dst=0 src0=1 src1=0 src2=0
	v_mul_i32_i24_e32 v118, v157 /*v413*/, v255
	s_set_vgpr_msb 0                        ;  msbs: dst=0 src0=0 src1=0 src2=0
	v_add3_u32 v207, v112, v130, v208
	s_set_vgpr_msb 1                        ;  msbs: dst=0 src0=1 src1=0 src2=0
	v_mul_i32_i24_e32 v130, v160 /*v416*/, v65
	s_set_vgpr_msb 0                        ;  msbs: dst=0 src0=0 src1=0 src2=0
	v_add3_u32 v209, v108, v206, v209
	s_set_vgpr_msb 4                        ;  msbs: dst=0 src0=0 src1=1 src2=0
	v_add3_u32 v108, v205, v0 /*v256*/, v236
	s_set_vgpr_msb 1                        ;  msbs: dst=0 src0=1 src1=0 src2=0
	v_mul_i32_i24_e32 v143, v165 /*v421*/, v21
	v_mul_i32_i24_e32 v124, v159 /*v415*/, v22
	s_set_vgpr_msb 5                        ;  msbs: dst=0 src0=1 src1=1 src2=0
	v_mul_i32_i24_e32 v120, v102 /*v358*/, v74 /*v330*/
	s_set_vgpr_msb 0                        ;  msbs: dst=0 src0=0 src1=0 src2=0
	v_add3_u32 v208, v110, v118, v130
	s_set_vgpr_msb 4                        ;  msbs: dst=0 src0=0 src1=1 src2=0
	v_mul_i32_i24_e32 v110, v108, v195 /*v451*/
	s_set_vgpr_msb 0x41                     ;  msbs: dst=1 src0=1 src1=0 src2=0
	v_mul_i32_i24_e32 v82 /*v338*/, v166 /*v422*/, v236
	s_set_vgpr_msb 64                       ;  msbs: dst=1 src0=0 src1=0 src2=0
	v_bfe_i32 v203 /*v459*/, v129, 0, 8
	s_set_vgpr_msb 0x45                     ;  msbs: dst=1 src0=1 src1=1 src2=0
	v_dual_add_nc_u32 v71 /*v327*/, v67 /*v323*/, v66 /*v322*/ :: v_dual_add_nc_u32 v69 /*v325*/, v65 /*v321*/, v64 /*v320*/
	v_mul_i32_i24_e32 v65 /*v321*/, v166 /*v422*/, v26 /*v282*/
	v_mul_i32_i24_e32 v66 /*v322*/, v166 /*v422*/, v28 /*v284*/
	s_set_vgpr_msb 0x41                     ;  msbs: dst=1 src0=1 src1=0 src2=0
	v_mul_i32_i24_e32 v62 /*v318*/, v166 /*v422*/, v222
	s_set_vgpr_msb 0x45                     ;  msbs: dst=1 src0=1 src1=1 src2=0
	v_add_nc_u32_e32 v63 /*v319*/, v52 /*v308*/, v51 /*v307*/
	s_set_vgpr_msb 64                       ;  msbs: dst=1 src0=0 src1=0 src2=0
	v_bfe_i32 v73 /*v329*/, v129, 8, 8
	s_set_vgpr_msb 0x45                     ;  msbs: dst=1 src0=1 src1=1 src2=0
	v_add_nc_u32_e32 v166 /*v422*/, v40 /*v296*/, v38 /*v294*/
	s_set_vgpr_msb 0                        ;  msbs: dst=0 src0=0 src1=0 src2=0
	v_add3_u32 v191, v122, v124, v143
	s_set_vgpr_msb 5                        ;  msbs: dst=0 src0=1 src1=1 src2=0
	v_dual_add_nc_u32 v122, v53 /*v309*/, v50 /*v306*/ :: v_dual_lshrrev_b32 v124, 4, v172 /*v428*/
	s_set_vgpr_msb 0                        ;  msbs: dst=0 src0=0 src1=0 src2=0
	v_add3_u32 v205, v138, v110, v120
	s_set_vgpr_msb 5                        ;  msbs: dst=0 src0=1 src1=1 src2=0
	v_add3_u32 v110, v90 /*v346*/, v18 /*v274*/, v234
	s_set_vgpr_msb 0x44                     ;  msbs: dst=1 src0=0 src1=1 src2=0
	v_mul_i32_i24_e32 v80 /*v336*/, v121, v73 /*v329*/
	s_set_vgpr_msb 4                        ;  msbs: dst=0 src0=0 src1=1 src2=0
	v_add3_u32 v118, v210, v20 /*v276*/, v251
	s_set_vgpr_msb 0                        ;  msbs: dst=0 src0=0 src1=0 src2=0
	v_mul_lo_u32 v206, 0x1010101, v124
	s_set_vgpr_msb 0x45                     ;  msbs: dst=1 src0=1 src1=1 src2=0
	v_mul_i32_i24_e32 v89 /*v345*/, v179 /*v435*/, v203 /*v459*/
	s_set_vgpr_msb 4                        ;  msbs: dst=0 src0=0 src1=1 src2=0
	v_mul_i32_i24_e32 v124, v110, v203 /*v459*/
	v_add3_u32 v120, v211, v11 /*v267*/, v225
	s_set_vgpr_msb 0x45                     ;  msbs: dst=1 src0=1 src1=1 src2=0
	v_mul_i32_i24_e32 v87 /*v343*/, v88 /*v344*/, v203 /*v459*/
	v_mul_i32_i24_e32 v86 /*v342*/, v179 /*v435*/, v195 /*v451*/
	v_mul_i32_i24_e32 v84 /*v340*/, v88 /*v344*/, v195 /*v451*/
	s_set_vgpr_msb 16                       ;  msbs: dst=0 src0=0 src1=0 src2=1
	v_add3_u32 v210, v116, v124, v80 /*v336*/
	s_set_vgpr_msb 4                        ;  msbs: dst=0 src0=0 src1=1 src2=0
	v_mul_i32_i24_e32 v116, v118, v73 /*v329*/
	s_set_vgpr_msb 5                        ;  msbs: dst=0 src0=1 src1=1 src2=0
	v_add_nc_u32_e32 v66, v36 /*v292*/, v35 /*v291*/
	s_set_vgpr_msb 0x44                     ;  msbs: dst=1 src0=0 src1=1 src2=0
	v_add3_u32 v107 /*v363*/, v123, v15 /*v271*/, v238
	v_bfe_i32 v80 /*v336*/, v206, 8, 8
	s_set_vgpr_msb 0x45                     ;  msbs: dst=1 src0=1 src1=1 src2=0
	v_add_nc_u32_e32 v78 /*v334*/, v78 /*v334*/, v76 /*v332*/
	s_set_vgpr_msb 0x44                     ;  msbs: dst=1 src0=0 src1=1 src2=0
	v_add3_u32 v108 /*v364*/, v82, v89 /*v345*/, v116
	s_set_vgpr_msb 4                        ;  msbs: dst=0 src0=0 src1=1 src2=0
	v_mul_i32_i24_e32 v82, v120, v73 /*v329*/
	v_bfe_i32 v116, v206, 0, 8
	s_set_vgpr_msb 5                        ;  msbs: dst=0 src0=1 src1=1 src2=0
	v_mul_i32_i24_e32 v124, v102 /*v358*/, v80 /*v336*/
	v_dual_add_nc_u32 v136, v61 /*v317*/, v56 /*v312*/ :: v_dual_lshrrev_b32 v112, 4, v171 /*v427*/
	s_set_vgpr_msb 0x44                     ;  msbs: dst=1 src0=0 src1=1 src2=0
	v_add3_u32 v111 /*v367*/, v146, v87 /*v343*/, v82
	s_set_vgpr_msb 4                        ;  msbs: dst=0 src0=0 src1=1 src2=0
	v_mul_i32_i24_e32 v82, v118, v74 /*v330*/
	s_set_vgpr_msb 0x45                     ;  msbs: dst=1 src0=1 src1=1 src2=0
	v_add3_u32 v105 /*v361*/, v85 /*v341*/, v7 /*v263*/, v224
	s_set_vgpr_msb 5                        ;  msbs: dst=0 src0=1 src1=1 src2=0
	v_mul_i32_i24_e32 v125, v97 /*v353*/, v203 /*v459*/
	v_dual_add_nc_u32 v64, v47 /*v303*/, v43 /*v299*/ :: v_dual_add_nc_u32 v128, v60 /*v316*/, v57 /*v313*/
	s_set_vgpr_msb 4                        ;  msbs: dst=0 src0=0 src1=1 src2=0
	v_add3_u32 v146, v104, v86 /*v342*/, v82
	v_mul_i32_i24_e32 v82, v120, v74 /*v330*/
	s_set_vgpr_msb 0                        ;  msbs: dst=0 src0=0 src1=0 src2=0
	v_mul_i32_i24_e32 v104, v108, v116
	s_set_vgpr_msb 64                       ;  msbs: dst=1 src0=0 src1=0 src2=0
	v_add3_u32 v86 /*v342*/, v122, v63, v39
	s_set_vgpr_msb 0x41                     ;  msbs: dst=1 src0=1 src1=0 src2=0
	v_mul_i32_i24_e32 v64 /*v320*/, v164 /*v420*/, v33
	v_mul_i32_i24_e32 v34 /*v290*/, v164 /*v420*/, v28
	s_set_vgpr_msb 0x44                     ;  msbs: dst=1 src0=0 src1=1 src2=0
	v_add3_u32 v84 /*v340*/, v78, v84 /*v340*/, v82
	s_set_vgpr_msb 4                        ;  msbs: dst=0 src0=0 src1=1 src2=0
	v_mul_i32_i24_e32 v82, v120, v80 /*v336*/
	s_set_vgpr_msb 64                       ;  msbs: dst=1 src0=0 src1=0 src2=0
	v_add3_u32 v112 /*v368*/, v114, v104, v124
	s_set_vgpr_msb 1                        ;  msbs: dst=0 src0=1 src1=0 src2=0
	v_mul_i32_i24_e32 v114, v88 /*v344*/, v116
	s_set_vgpr_msb 0                        ;  msbs: dst=0 src0=0 src1=0 src2=0
	v_mul_i32_i24_e32 v104, v105, v144
	s_set_vgpr_msb 4                        ;  msbs: dst=0 src0=0 src1=1 src2=0
	v_mul_i32_i24_e32 v78, v108, v203 /*v459*/
	s_set_vgpr_msb 0x41                     ;  msbs: dst=1 src0=1 src1=0 src2=0
	v_mul_i32_i24_e32 v35 /*v291*/, v164 /*v420*/, v44
	v_mul_i32_i24_e32 v36 /*v292*/, v164 /*v420*/, v45
	s_set_vgpr_msb 0                        ;  msbs: dst=0 src0=0 src1=0 src2=0
	v_add3_u32 v211, v106, v114, v82
	s_set_vgpr_msb 4                        ;  msbs: dst=0 src0=0 src1=1 src2=0
	v_add3_u32 v114, v67, v14 /*v270*/, v226
	s_set_vgpr_msb 0                        ;  msbs: dst=0 src0=0 src1=0 src2=0
	v_mul_i32_i24_e32 v106, v105, v113
	s_set_vgpr_msb 1                        ;  msbs: dst=0 src0=1 src1=0 src2=0
	v_mul_i32_i24_e32 v113, v255 /*v511*/, v109
	s_set_vgpr_msb 5                        ;  msbs: dst=0 src0=1 src1=1 src2=0
	v_mul_i32_i24_e32 v109, v97 /*v353*/, v195 /*v451*/
	s_set_vgpr_msb 1                        ;  msbs: dst=0 src0=1 src1=0 src2=0
	v_mul_i32_i24_e32 v82, v97 /*v353*/, v116
	s_set_vgpr_msb 4                        ;  msbs: dst=0 src0=0 src1=1 src2=0
	v_mul_i32_i24_e32 v67, v114, v203 /*v459*/
	s_set_vgpr_msb 0x41                     ;  msbs: dst=1 src0=1 src1=0 src2=0
	v_mul_i32_i24_e32 v37 /*v293*/, v164 /*v420*/, v26
	v_mul_i32_i24_e32 v38 /*v294*/, v164 /*v420*/, v39
	v_add3_u32 v91 /*v347*/, v167 /*v423*/, v106, v109
	s_set_vgpr_msb 5                        ;  msbs: dst=0 src0=1 src1=1 src2=0
	v_mul_i32_i24_e32 v106, v107 /*v363*/, v74 /*v330*/
	s_set_vgpr_msb 0x41                     ;  msbs: dst=1 src0=1 src1=0 src2=0
	v_add3_u32 v92 /*v348*/, v168 /*v424*/, v113, v67
	s_set_vgpr_msb 4                        ;  msbs: dst=0 src0=0 src1=1 src2=0
	v_mul_i32_i24_e32 v67, v114, v195 /*v451*/
	s_set_vgpr_msb 0x41                     ;  msbs: dst=1 src0=1 src1=0 src2=0
	v_add3_u32 v61 /*v317*/, v170 /*v426*/, v104, v82
	s_set_vgpr_msb 5                        ;  msbs: dst=0 src0=1 src1=1 src2=0
	v_mul_i32_i24_e32 v82, v102 /*v358*/, v73 /*v329*/
	s_set_vgpr_msb 4                        ;  msbs: dst=0 src0=0 src1=1 src2=0
	v_mul_i32_i24_e32 v104, v121, v74 /*v330*/
	s_set_vgpr_msb 1                        ;  msbs: dst=0 src0=1 src1=0 src2=0
	v_mul_i32_i24_e32 v117, v163 /*v419*/, v240
	s_set_vgpr_msb 64                       ;  msbs: dst=1 src0=0 src1=0 src2=0
	v_add3_u32 v87 /*v343*/, v192, v67, v106
	s_set_vgpr_msb 4                        ;  msbs: dst=0 src0=0 src1=1 src2=0
	v_mul_i32_i24_e32 v106, v110, v195 /*v451*/
	s_set_vgpr_msb 64                       ;  msbs: dst=1 src0=0 src1=0 src2=0
	v_add3_u32 v90 /*v346*/, v140, v78, v82
	s_set_vgpr_msb 5                        ;  msbs: dst=0 src0=1 src1=1 src2=0
	v_mul_i32_i24_e32 v78, v105 /*v361*/, v73 /*v329*/
	v_mul_i32_i24_e32 v82, v107 /*v363*/, v80 /*v336*/
	s_set_vgpr_msb 1                        ;  msbs: dst=0 src0=1 src1=0 src2=0
	v_mul_i32_i24_e32 v126, v163 /*v419*/, v184
	s_set_vgpr_msb 64                       ;  msbs: dst=1 src0=0 src1=0 src2=0
	v_add3_u32 v89 /*v345*/, v133, v106, v104
	s_set_vgpr_msb 0                        ;  msbs: dst=0 src0=0 src1=0 src2=0
	v_mul_lo_u32 v104, 0x1010101, v112
	s_set_vgpr_msb 64                       ;  msbs: dst=1 src0=0 src1=0 src2=0
	v_add3_u32 v96 /*v352*/, v134, v125, v78
	s_set_vgpr_msb 4                        ;  msbs: dst=0 src0=0 src1=1 src2=0
	v_mul_i32_i24_e32 v78, v121, v80 /*v336*/
	s_set_vgpr_msb 0                        ;  msbs: dst=0 src0=0 src1=0 src2=0
	v_mul_i32_i24_e32 v106, v110, v116
	s_set_vgpr_msb 0x41                     ;  msbs: dst=1 src0=1 src1=0 src2=0
	v_mul_i32_i24_e32 v190 /*v446*/, v162 /*v418*/, v61
	v_mul_i32_i24_e32 v193 /*v449*/, v163 /*v419*/, v60
	;; [unrolled: 1-line block ×3, first 2 shown]
	s_set_vgpr_msb 1                        ;  msbs: dst=0 src0=1 src1=0 src2=0
	v_mul_i32_i24_e32 v137, v162 /*v418*/, v51
	s_set_vgpr_msb 64                       ;  msbs: dst=1 src0=0 src1=0 src2=0
	v_add3_u32 v93 /*v349*/, v132, v106, v78
	s_set_vgpr_msb 0                        ;  msbs: dst=0 src0=0 src1=0 src2=0
	v_mul_i32_i24_e32 v106, v114, v116
	s_set_vgpr_msb 1                        ;  msbs: dst=0 src0=1 src1=0 src2=0
	v_mul_i32_i24_e32 v139, v163 /*v419*/, v62
	s_set_vgpr_msb 0                        ;  msbs: dst=0 src0=0 src1=0 src2=0
	v_bfe_i32 v192, v104, 8, 8
	v_lshrrev_b32_e32 v125, 24, v104
	s_set_vgpr_msb 1                        ;  msbs: dst=0 src0=1 src1=0 src2=0
	v_mul_i32_i24_e32 v143, v162 /*v418*/, v63
	s_set_vgpr_msb 64                       ;  msbs: dst=1 src0=0 src1=0 src2=0
	v_add3_u32 v94 /*v350*/, v135, v106, v82
	s_set_vgpr_msb 0                        ;  msbs: dst=0 src0=0 src1=0 src2=0
	v_bfe_i32 v106, v104, 0, 8
	v_mul_i32_i24_e32 v78, v120, v192
	v_mul_i32_i24_e32 v82, v118, v192
	s_set_vgpr_msb 1                        ;  msbs: dst=0 src0=1 src1=0 src2=0
	v_mul_i32_i24_e32 v147, v163 /*v419*/, v166
	s_set_vgpr_msb 0x45                     ;  msbs: dst=1 src0=1 src1=1 src2=0
	v_mul_i32_i24_e32 v55 /*v311*/, v155 /*v411*/, v27 /*v283*/
	s_set_vgpr_msb 1                        ;  msbs: dst=0 src0=1 src1=0 src2=0
	v_mul_i32_i24_e32 v112, v88 /*v344*/, v106
	s_set_vgpr_msb 0x41                     ;  msbs: dst=1 src0=1 src1=0 src2=0
	v_mul_i32_i24_e32 v43 /*v299*/, v155 /*v411*/, v239
	v_mul_i32_i24_e32 v47 /*v303*/, v155 /*v411*/, v237
	;; [unrolled: 1-line block ×4, first 2 shown]
	s_set_vgpr_msb 64                       ;  msbs: dst=1 src0=0 src1=0 src2=0
	v_add3_u32 v85 /*v341*/, v81, v112, v78
	s_set_vgpr_msb 17                       ;  msbs: dst=0 src0=1 src1=0 src2=1
	v_mul_i32_i24_e32 v81, v179 /*v435*/, v106
	v_mul_i32_i24_e32 v78, v105 /*v361*/, v192
	v_add3_u32 v112, v103 /*v359*/, v254, v26 /*v282*/
	s_set_vgpr_msb 64                       ;  msbs: dst=1 src0=0 src1=0 src2=0
	v_bfe_i32 v103 /*v359*/, v104, 16, 8
	s_set_vgpr_msb 0x45                     ;  msbs: dst=1 src0=1 src1=1 src2=0
	v_mul_i32_i24_e32 v53 /*v309*/, v155 /*v411*/, v17 /*v273*/
	s_set_vgpr_msb 64                       ;  msbs: dst=1 src0=0 src1=0 src2=0
	v_add3_u32 v88 /*v344*/, v189, v81, v82
	s_set_vgpr_msb 1                        ;  msbs: dst=0 src0=1 src1=0 src2=0
	v_mul_i32_i24_e32 v81, v97 /*v353*/, v106
	s_set_vgpr_msb 0                        ;  msbs: dst=0 src0=0 src1=0 src2=0
	v_mul_i32_i24_e32 v82, v121, v192
	s_set_vgpr_msb 0x41                     ;  msbs: dst=1 src0=1 src1=0 src2=0
	v_mul_i32_i24_e32 v56 /*v312*/, v155 /*v411*/, v246
	s_set_vgpr_msb 1                        ;  msbs: dst=0 src0=1 src1=0 src2=0
	v_mul_i32_i24_e32 v109, v155 /*v411*/, v243
	s_set_vgpr_msb 0x45                     ;  msbs: dst=1 src0=1 src1=1 src2=0
	v_mul_i32_i24_e32 v57 /*v313*/, v152 /*v408*/, v27 /*v283*/
	s_set_vgpr_msb 64                       ;  msbs: dst=1 src0=0 src1=0 src2=0
	v_add3_u32 v101 /*v357*/, v107, v81, v78
	s_set_vgpr_msb 1                        ;  msbs: dst=0 src0=1 src1=0 src2=0
	v_mul_i32_i24_e32 v78, v102 /*v358*/, v192
	s_set_vgpr_msb 0                        ;  msbs: dst=0 src0=0 src1=0 src2=0
	v_mul_i32_i24_e32 v107, v108, v106
	s_set_vgpr_msb 4                        ;  msbs: dst=0 src0=0 src1=1 src2=0
	v_mul_i32_i24_e32 v108, v118, v80 /*v336*/
	s_set_vgpr_msb 0                        ;  msbs: dst=0 src0=0 src1=0 src2=0
	v_mul_i32_i24_e32 v67, v175, v244
	v_mul_i32_i24_e32 v81, v175, v241
	s_set_vgpr_msb 5                        ;  msbs: dst=0 src0=1 src1=1 src2=0
	v_mul_i32_i24_e32 v138, v146 /*v402*/, v27 /*v283*/
	s_set_vgpr_msb 64                       ;  msbs: dst=1 src0=0 src1=0 src2=0
	v_add3_u32 v104 /*v360*/, v79, v107, v78
	s_set_vgpr_msb 0                        ;  msbs: dst=0 src0=0 src1=0 src2=0
	v_mul_i32_i24_e32 v78, v110, v106
	s_set_vgpr_msb 17                       ;  msbs: dst=0 src0=1 src1=0 src2=1
	v_add3_u32 v79, v98 /*v354*/, v252, v23 /*v279*/
	s_set_vgpr_msb 0x45                     ;  msbs: dst=1 src0=1 src1=1 src2=0
	v_mul_i32_i24_e32 v60 /*v316*/, v124 /*v380*/, v28 /*v284*/
	s_set_vgpr_msb 5                        ;  msbs: dst=0 src0=1 src1=1 src2=0
	v_mul_i32_i24_e32 v135, v134 /*v390*/, v28 /*v284*/
	v_mul_i32_i24_e32 v124, v149 /*v405*/, v28 /*v284*/
	s_set_vgpr_msb 64                       ;  msbs: dst=1 src0=0 src1=0 src2=0
	v_add3_u32 v102 /*v358*/, v115, v78, v82
	s_set_vgpr_msb 1                        ;  msbs: dst=0 src0=1 src1=0 src2=0
	v_mul_i32_i24_e32 v78, v107 /*v363*/, v192
	s_set_vgpr_msb 0                        ;  msbs: dst=0 src0=0 src1=0 src2=0
	v_mul_i32_i24_e32 v82, v114, v106
	v_mul_i32_i24_e32 v107, v79, v192
	s_set_vgpr_msb 0x44                     ;  msbs: dst=1 src0=0 src1=1 src2=0
	v_mul_i32_i24_e32 v67 /*v323*/, v169, v23 /*v279*/
	s_set_vgpr_msb 5                        ;  msbs: dst=0 src0=1 src1=1 src2=0
	v_mul_i32_i24_e32 v122, v147 /*v403*/, v23 /*v279*/
	s_set_vgpr_msb 64                       ;  msbs: dst=1 src0=0 src1=0 src2=0
	v_mul_i32_i24_e32 v165 /*v421*/, v173, v245
	s_set_vgpr_msb 0x41                     ;  msbs: dst=1 src0=1 src1=0 src2=0
	v_add3_u32 v106 /*v362*/, v254 /*v510*/, v82, v78
	s_set_vgpr_msb 1                        ;  msbs: dst=0 src0=1 src1=0 src2=0
	v_mul_i32_i24_e32 v78, v179 /*v435*/, v116
	s_set_vgpr_msb 0x50                     ;  msbs: dst=1 src0=0 src1=0 src2=1
	v_add3_u32 v179 /*v435*/, v136, v166, v32 /*v288*/
	v_mul_i32_i24_e32 v254 /*v510*/, v175, v233
	s_set_vgpr_msb 5                        ;  msbs: dst=0 src0=1 src1=1 src2=0
	v_mul_i32_i24_e32 v136, v148 /*v404*/, v23 /*v279*/
	v_mul_i32_i24_e32 v118, v149 /*v405*/, v26 /*v282*/
	s_set_vgpr_msb 64                       ;  msbs: dst=1 src0=0 src1=0 src2=0
	v_add3_u32 v97 /*v353*/, v119, v78, v108
	s_set_vgpr_msb 0                        ;  msbs: dst=0 src0=0 src1=0 src2=0
	v_mul_i32_i24_e32 v78, v112, v106
	s_set_vgpr_msb 1                        ;  msbs: dst=0 src0=1 src1=0 src2=0
	v_mul_i32_i24_e32 v104, v179 /*v435*/, v125
	s_set_vgpr_msb 5                        ;  msbs: dst=0 src0=1 src1=1 src2=0
	v_mul_i32_i24_e32 v130, v134 /*v390*/, v26 /*v282*/
	s_set_vgpr_msb 0x45                     ;  msbs: dst=1 src0=1 src1=1 src2=0
	v_add3_u32 v177 /*v433*/, v180 /*v436*/, v177 /*v433*/, v126
	s_set_vgpr_msb 0x50                     ;  msbs: dst=1 src0=0 src1=0 src2=1
	v_add3_u32 v180 /*v436*/, v216, v217, v188 /*v444*/
	s_set_vgpr_msb 64                       ;  msbs: dst=1 src0=0 src1=0 src2=0
	v_add3_u32 v98 /*v354*/, v111, v78, v107
	s_set_vgpr_msb 5                        ;  msbs: dst=0 src0=1 src1=1 src2=0
	v_mul_i32_i24_e32 v78, v86 /*v342*/, v103 /*v359*/
	s_set_vgpr_msb 16                       ;  msbs: dst=0 src0=0 src1=0 src2=1
	v_add3_u32 v107, v128, v255, v28 /*v284*/
	s_set_vgpr_msb 4                        ;  msbs: dst=0 src0=0 src1=1 src2=0
	v_mad_i32_i24 v119, v91, v245 /*v501*/, v104
	s_set_vgpr_msb 0                        ;  msbs: dst=0 src0=0 src1=0 src2=0
	v_mul_i32_i24_e32 v91, v112, v116
	s_set_vgpr_msb 4                        ;  msbs: dst=0 src0=0 src1=1 src2=0
	v_mul_i32_i24_e32 v111, v112, v195 /*v451*/
	v_mad_i32_i24 v140, v83, v252 /*v508*/, v78
	s_set_vgpr_msb 5                        ;  msbs: dst=0 src0=1 src1=1 src2=0
	v_add_nc_u32_e32 v83, v135 /*v391*/, v33 /*v289*/
	s_set_vgpr_msb 0                        ;  msbs: dst=0 src0=0 src1=0 src2=0
	v_mul_i32_i24_e32 v82, v107, v106
	v_mul_i32_i24_e32 v110, v107, v116
	s_set_vgpr_msb 64                       ;  msbs: dst=1 src0=0 src1=0 src2=0
	v_mul_i32_i24_e32 v252 /*v508*/, v175, v220
	v_mul_i32_i24_e32 v245 /*v501*/, v175, v59
	s_set_vgpr_msb 16                       ;  msbs: dst=0 src0=0 src1=0 src2=1
	v_add3_u32 v83, v83, v65, v68 /*v324*/
	s_set_vgpr_msb 5                        ;  msbs: dst=0 src0=1 src1=1 src2=0
	v_mad_i32_i24 v108, v253 /*v509*/, v247 /*v503*/, v82
	s_set_vgpr_msb 4                        ;  msbs: dst=0 src0=0 src1=1 src2=0
	v_mul_i32_i24_e32 v82, v79, v80 /*v336*/
	v_bfe_i32 v216, v129, 16, 8
	s_set_vgpr_msb 0x44                     ;  msbs: dst=1 src0=0 src1=1 src2=0
	v_add3_u32 v168 /*v424*/, v188, v178 /*v434*/, v117
	s_set_vgpr_msb 4                        ;  msbs: dst=0 src0=0 src1=1 src2=0
	v_mul_i32_i24_e32 v104, v83, v80 /*v336*/
	s_set_vgpr_msb 64                       ;  msbs: dst=1 src0=0 src1=0 src2=0
	v_mul_i32_i24_e32 v167 /*v423*/, v173, v242
	s_set_vgpr_msb 0x41                     ;  msbs: dst=1 src0=1 src1=0 src2=0
	v_add3_u32 v213 /*v469*/, v250 /*v506*/, v91, v82
	s_set_vgpr_msb 4                        ;  msbs: dst=0 src0=0 src1=1 src2=0
	v_mul_i32_i24_e32 v91, v79, v73 /*v329*/
	v_mul_i32_i24_e32 v79, v79, v74 /*v330*/
	s_set_vgpr_msb 0                        ;  msbs: dst=0 src0=0 src1=0 src2=0
	v_add3_u32 v123, v90, v110, v104
	s_set_vgpr_msb 4                        ;  msbs: dst=0 src0=0 src1=1 src2=0
	v_mul_i32_i24_e32 v104, v112, v203 /*v459*/
	v_mul_i32_i24_e32 v90, v83, v73 /*v329*/
	s_set_vgpr_msb 0x41                     ;  msbs: dst=1 src0=1 src1=0 src2=0
	v_add3_u32 v79 /*v335*/, v79 /*v335*/, v184, v55
	s_set_vgpr_msb 64                       ;  msbs: dst=1 src0=0 src1=0 src2=0
	v_add3_u32 v189 /*v445*/, v80, v111, v79
	s_set_vgpr_msb 5                        ;  msbs: dst=0 src0=1 src1=1 src2=0
	v_mul_i32_i24_e32 v79, v25 /*v281*/, v30 /*v286*/
	s_set_vgpr_msb 0x41                     ;  msbs: dst=1 src0=1 src1=0 src2=0
	v_add3_u32 v207 /*v463*/, v248 /*v504*/, v104, v91
	s_set_vgpr_msb 4                        ;  msbs: dst=0 src0=0 src1=1 src2=0
	v_mul_i32_i24_e32 v91, v107, v203 /*v459*/
	v_mul_i32_i24_e32 v107, v107, v195 /*v451*/
	;; [unrolled: 1-line block ×3, first 2 shown]
	s_set_vgpr_msb 64                       ;  msbs: dst=1 src0=0 src1=0 src2=0
	v_mul_i32_i24_e32 v248 /*v504*/, v173, v58
	v_mul_i32_i24_e32 v59 /*v315*/, v169, v235
	s_set_vgpr_msb 1                        ;  msbs: dst=0 src0=1 src1=0 src2=0
	v_add3_u32 v121, v249 /*v505*/, v91, v90
	s_set_vgpr_msb 4                        ;  msbs: dst=0 src0=0 src1=1 src2=0
	v_mul_i32_i24_e32 v91, v142, v24 /*v280*/
	s_set_vgpr_msb 0x41                     ;  msbs: dst=1 src0=1 src1=0 src2=0
	v_add3_u32 v205 /*v461*/, v246 /*v502*/, v107, v80
	s_set_vgpr_msb 5                        ;  msbs: dst=0 src0=1 src1=1 src2=0
	v_mul_i32_i24_e32 v80, v158 /*v414*/, v20 /*v276*/
	v_mul_i32_i24_e32 v90, v243 /*v499*/, v24 /*v280*/
	s_set_vgpr_msb 4                        ;  msbs: dst=0 src0=0 src1=1 src2=0
	v_mul_i32_i24_e32 v107, v17, v8 /*v264*/
	s_set_vgpr_msb 0x41                     ;  msbs: dst=1 src0=1 src1=0 src2=0
	v_add3_u32 v187 /*v443*/, v251 /*v507*/, v79, v91
	s_set_vgpr_msb 5                        ;  msbs: dst=0 src0=1 src1=1 src2=0
	v_mul_i32_i24_e32 v79, v161 /*v417*/, v22 /*v278*/
	v_mul_i32_i24_e32 v91, v25 /*v281*/, v29 /*v285*/
	s_set_vgpr_msb 64                       ;  msbs: dst=1 src0=0 src1=0 src2=0
	v_mul_i32_i24_e32 v246 /*v502*/, v175, v178
	s_set_vgpr_msb 0x54                     ;  msbs: dst=1 src0=0 src1=1 src2=1
	v_add3_u32 v178 /*v434*/, v194, v245 /*v501*/, v248 /*v504*/
	s_set_vgpr_msb 1                        ;  msbs: dst=0 src0=1 src1=0 src2=0
	v_mul_i32_i24_e32 v194, v133 /*v389*/, v240
	s_set_vgpr_msb 0x41                     ;  msbs: dst=1 src0=1 src1=0 src2=0
	v_add3_u32 v29 /*v285*/, v238 /*v494*/, v79, v80
	s_set_vgpr_msb 5                        ;  msbs: dst=0 src0=1 src1=1 src2=0
	v_mul_i32_i24_e32 v79, v237 /*v493*/, v20 /*v276*/
	v_mul_i32_i24_e32 v80, v169 /*v425*/, v22 /*v278*/
	s_set_vgpr_msb 0x41                     ;  msbs: dst=1 src0=1 src1=0 src2=0
	v_add3_u32 v171 /*v427*/, v239 /*v495*/, v91, v90
	s_set_vgpr_msb 5                        ;  msbs: dst=0 src0=1 src1=1 src2=0
	v_mul_i32_i24_e32 v91, v199 /*v455*/, v24 /*v280*/
	v_mul_i32_i24_e32 v90, v25 /*v281*/, v31 /*v287*/
	s_set_vgpr_msb 64                       ;  msbs: dst=1 src0=0 src1=0 src2=0
	v_mul_i32_i24_e32 v239 /*v495*/, v175, v49
	s_set_vgpr_msb 0x41                     ;  msbs: dst=1 src0=1 src1=0 src2=0
	v_add3_u32 v24 /*v280*/, v235 /*v491*/, v80, v79
	s_set_vgpr_msb 5                        ;  msbs: dst=0 src0=1 src1=1 src2=0
	v_mul_i32_i24_e32 v79, v154 /*v410*/, v22 /*v278*/
	v_mul_i32_i24_e32 v80, v127 /*v383*/, v20 /*v276*/
	s_set_vgpr_msb 0x41                     ;  msbs: dst=1 src0=1 src1=0 src2=0
	v_add3_u32 v206 /*v462*/, v194 /*v450*/, v90, v91
	s_set_vgpr_msb 4                        ;  msbs: dst=0 src0=0 src1=1 src2=0
	v_mul_i32_i24_e32 v90, v24, v8 /*v264*/
	v_mul_i32_i24_e32 v91, v142, v9 /*v265*/
	s_set_vgpr_msb 64                       ;  msbs: dst=1 src0=0 src1=0 src2=0
	v_mul_i32_i24_e32 v194 /*v450*/, v175, v48
	s_set_vgpr_msb 0x41                     ;  msbs: dst=1 src0=1 src1=0 src2=0
	v_add3_u32 v32 /*v288*/, v196 /*v452*/, v79, v80
	s_set_vgpr_msb 5                        ;  msbs: dst=0 src0=1 src1=1 src2=0
	v_mul_i32_i24_e32 v79, v161 /*v417*/, v10 /*v266*/
	v_mul_i32_i24_e32 v80, v158 /*v414*/, v11 /*v267*/
	s_set_vgpr_msb 0x41                     ;  msbs: dst=1 src0=1 src1=0 src2=0
	v_add3_u32 v203 /*v459*/, v228 /*v484*/, v90, v91
	s_set_vgpr_msb 5                        ;  msbs: dst=0 src0=1 src1=1 src2=0
	v_mul_i32_i24_e32 v90, v243 /*v499*/, v9 /*v265*/
	v_mul_i32_i24_e32 v91, v127 /*v383*/, v11 /*v267*/
	;; [unrolled: 1-line block ×3, first 2 shown]
	s_set_vgpr_msb 0                        ;  msbs: dst=0 src0=0 src1=0 src2=0
	v_add3_u32 v115, v199, v79, v80
	s_set_vgpr_msb 5                        ;  msbs: dst=0 src0=1 src1=1 src2=0
	v_mul_i32_i24_e32 v79, v169 /*v425*/, v10 /*v266*/
	v_mul_i32_i24_e32 v80, v237 /*v493*/, v11 /*v267*/
	s_set_vgpr_msb 64                       ;  msbs: dst=1 src0=0 src1=0 src2=0
	v_add3_u32 v209 /*v465*/, v200, v107, v90
	s_set_vgpr_msb 5                        ;  msbs: dst=0 src0=1 src1=1 src2=0
	v_mul_i32_i24_e32 v90, v154 /*v410*/, v10 /*v266*/
	s_set_vgpr_msb 1                        ;  msbs: dst=0 src0=1 src1=0 src2=0
	v_mul_i32_i24_e32 v199, v120 /*v376*/, v240
	s_set_vgpr_msb 64                       ;  msbs: dst=1 src0=0 src1=0 src2=0
	v_mul_i32_i24_e32 v249 /*v505*/, v173, v50
	v_add3_u32 v212 /*v468*/, v131, v79, v80
	s_set_vgpr_msb 4                        ;  msbs: dst=0 src0=0 src1=1 src2=0
	v_mul_i32_i24_e32 v79, v174, v8 /*v264*/
	s_set_vgpr_msb 5                        ;  msbs: dst=0 src0=1 src1=1 src2=0
	v_mul_i32_i24_e32 v80, v199 /*v455*/, v9 /*v265*/
	s_set_vgpr_msb 64                       ;  msbs: dst=1 src0=0 src1=0 src2=0
	v_add3_u32 v174 /*v430*/, v202, v90, v91
	s_set_vgpr_msb 4                        ;  msbs: dst=0 src0=0 src1=1 src2=0
	v_mul_i32_i24_e32 v90, v17, v2 /*v258*/
	s_set_vgpr_msb 5                        ;  msbs: dst=0 src0=1 src1=1 src2=0
	v_mul_i32_i24_e32 v91, v199 /*v455*/, v5 /*v261*/
	s_set_vgpr_msb 1                        ;  msbs: dst=0 src0=1 src1=0 src2=0
	v_mul_i32_i24_e32 v131, v127 /*v383*/, v252
	s_set_vgpr_msb 64                       ;  msbs: dst=1 src0=0 src1=0 src2=0
	v_add3_u32 v211 /*v467*/, v201, v79, v80
	s_set_vgpr_msb 4                        ;  msbs: dst=0 src0=0 src1=1 src2=0
	v_mul_i32_i24_e32 v79, v24, v2 /*v258*/
	v_mul_i32_i24_e32 v80, v142, v3 /*v259*/
	s_set_vgpr_msb 1                        ;  msbs: dst=0 src0=1 src1=0 src2=0
	v_mul_i32_i24_e32 v201, v156 /*v412*/, v240
	s_set_vgpr_msb 64                       ;  msbs: dst=1 src0=0 src1=0 src2=0
	v_mul_i32_i24_e32 v238 /*v494*/, v173, v179
	v_mul_i32_i24_e32 v228 /*v484*/, v173, v47
	s_set_vgpr_msb 0x54                     ;  msbs: dst=1 src0=0 src1=1 src2=1
	v_add3_u32 v188 /*v444*/, v191, v239 /*v495*/, v249 /*v505*/
	s_set_vgpr_msb 64                       ;  msbs: dst=1 src0=0 src1=0 src2=0
	v_add3_u32 v170 /*v426*/, v212, v79, v80
	s_set_vgpr_msb 5                        ;  msbs: dst=0 src0=1 src1=1 src2=0
	v_mul_i32_i24_e32 v79, v243 /*v499*/, v3 /*v259*/
	v_mul_i32_i24_e32 v80, v199 /*v455*/, v3 /*v259*/
	s_set_vgpr_msb 64                       ;  msbs: dst=1 src0=0 src1=0 src2=0
	v_mul_i32_i24_e32 v42 /*v298*/, v169, v238
	v_mul_i32_i24_e32 v45 /*v301*/, v169, v230
	;; [unrolled: 1-line block ×3, first 2 shown]
	v_add3_u32 v195 /*v451*/, v127, v90, v79
	s_set_vgpr_msb 4                        ;  msbs: dst=0 src0=0 src1=1 src2=0
	v_mul_i32_i24_e32 v79, v174, v2 /*v258*/
	v_mul_i32_i24_e32 v90, v24, v4 /*v260*/
	s_set_vgpr_msb 5                        ;  msbs: dst=0 src0=1 src1=1 src2=0
	v_mul_i32_i24_e32 v127, v237 /*v493*/, v19 /*v275*/
	s_set_vgpr_msb 0x50                     ;  msbs: dst=1 src0=0 src1=0 src2=1
	v_add3_u32 v167 /*v423*/, v141, v81, v167 /*v423*/
	s_set_vgpr_msb 1                        ;  msbs: dst=0 src0=1 src1=0 src2=0
	v_mul_i32_i24_e32 v212, v184 /*v440*/, v241
	s_set_vgpr_msb 64                       ;  msbs: dst=1 src0=0 src1=0 src2=0
	v_add3_u32 v191 /*v447*/, v197, v79, v80
	s_set_vgpr_msb 4                        ;  msbs: dst=0 src0=0 src1=1 src2=0
	v_mul_i32_i24_e32 v79, v142, v5 /*v261*/
	s_set_vgpr_msb 5                        ;  msbs: dst=0 src0=1 src1=1 src2=0
	v_mul_i32_i24_e32 v80, v243 /*v499*/, v5 /*v261*/
	s_set_vgpr_msb 1                        ;  msbs: dst=0 src0=1 src1=0 src2=0
	v_mul_i32_i24_e32 v197, v154 /*v410*/, v254
	s_set_vgpr_msb 0x41                     ;  msbs: dst=1 src0=1 src1=0 src2=0
	v_mul_i32_i24_e32 v5 /*v261*/, v147 /*v403*/, v238
	s_set_vgpr_msb 1                        ;  msbs: dst=0 src0=1 src1=0 src2=0
	v_mul_i32_i24_e32 v200, v143 /*v399*/, v241
	s_set_vgpr_msb 64                       ;  msbs: dst=1 src0=0 src1=0 src2=0
	v_add3_u32 v176 /*v432*/, v198, v90, v79
	s_set_vgpr_msb 4                        ;  msbs: dst=0 src0=0 src1=1 src2=0
	v_mul_i32_i24_e32 v79, v17, v4 /*v260*/
	v_mul_i32_i24_e32 v90, v174, v4 /*v260*/
	s_set_vgpr_msb 0x41                     ;  msbs: dst=1 src0=1 src1=0 src2=0
	v_add3_u32 v202 /*v458*/, v202 /*v458*/, v197, v131
	s_set_vgpr_msb 1                        ;  msbs: dst=0 src0=1 src1=0 src2=0
	v_mul_i32_i24_e32 v131, v154 /*v410*/, v255
	s_set_vgpr_msb 0x41                     ;  msbs: dst=1 src0=1 src1=0 src2=0
	v_mul_i32_i24_e32 v4 /*v260*/, v147 /*v403*/, v235
	s_set_vgpr_msb 64                       ;  msbs: dst=1 src0=0 src1=0 src2=0
	v_add3_u32 v175 /*v431*/, v195, v79, v80
	s_set_vgpr_msb 5                        ;  msbs: dst=0 src0=1 src1=1 src2=0
	v_mul_i32_i24_e32 v79, v161 /*v417*/, v6 /*v262*/
	v_mul_i32_i24_e32 v80, v158 /*v414*/, v7 /*v263*/
	s_set_vgpr_msb 64                       ;  msbs: dst=1 src0=0 src1=0 src2=0
	v_add3_u32 v172 /*v428*/, v196, v90, v91
	s_set_vgpr_msb 5                        ;  msbs: dst=0 src0=1 src1=1 src2=0
	v_mul_i32_i24_e32 v90, v154 /*v410*/, v6 /*v262*/
	v_mul_i32_i24_e32 v91, v127 /*v383*/, v7 /*v263*/
	s_set_vgpr_msb 0                        ;  msbs: dst=0 src0=0 src1=0 src2=0
	v_mul_i32_i24_e32 v195, v174, v253
	s_set_vgpr_msb 64                       ;  msbs: dst=1 src0=0 src1=0 src2=0
	v_add3_u32 v164 /*v420*/, v213, v79, v80
	s_set_vgpr_msb 5                        ;  msbs: dst=0 src0=1 src1=1 src2=0
	v_mul_i32_i24_e32 v79, v169 /*v425*/, v6 /*v262*/
	v_mul_i32_i24_e32 v80, v237 /*v493*/, v7 /*v263*/
	s_set_vgpr_msb 0x41                     ;  msbs: dst=1 src0=1 src1=0 src2=0
	v_add3_u32 v162 /*v418*/, v216 /*v472*/, v90, v91
	s_set_vgpr_msb 5                        ;  msbs: dst=0 src0=1 src1=1 src2=0
	v_mul_i32_i24_e32 v90, v161 /*v417*/, v14 /*v270*/
	v_mul_i32_i24_e32 v91, v158 /*v414*/, v15 /*v271*/
	s_set_vgpr_msb 1                        ;  msbs: dst=0 src0=1 src1=0 src2=0
	v_mul_i32_i24_e32 v196, v169 /*v425*/, v254
	s_set_vgpr_msb 0x41                     ;  msbs: dst=1 src0=1 src1=0 src2=0
	v_add3_u32 v163 /*v419*/, v118 /*v374*/, v79, v80
	s_set_vgpr_msb 4                        ;  msbs: dst=0 src0=0 src1=1 src2=0
	v_mul_i32_i24_e32 v79, v24, v12 /*v268*/
	v_mul_i32_i24_e32 v80, v142, v13 /*v269*/
	s_set_vgpr_msb 0x41                     ;  msbs: dst=1 src0=1 src1=0 src2=0
	v_add3_u32 v159 /*v415*/, v217 /*v473*/, v90, v91
	s_set_vgpr_msb 5                        ;  msbs: dst=0 src0=1 src1=1 src2=0
	v_mul_i32_i24_e32 v90, v169 /*v425*/, v14 /*v270*/
	v_mul_i32_i24_e32 v91, v237 /*v493*/, v15 /*v271*/
	s_set_vgpr_msb 1                        ;  msbs: dst=0 src0=1 src1=0 src2=0
	v_mul_i32_i24_e32 v141, v130 /*v386*/, v241
	s_set_vgpr_msb 0x41                     ;  msbs: dst=1 src0=1 src1=0 src2=0
	v_add3_u32 v160 /*v416*/, v215 /*v471*/, v79, v80
	s_set_vgpr_msb 4                        ;  msbs: dst=0 src0=0 src1=1 src2=0
	v_mul_i32_i24_e32 v79, v17, v12 /*v268*/
	s_set_vgpr_msb 5                        ;  msbs: dst=0 src0=1 src1=1 src2=0
	v_mul_i32_i24_e32 v80, v243 /*v499*/, v13 /*v269*/
	s_set_vgpr_msb 0x41                     ;  msbs: dst=1 src0=1 src1=0 src2=0
	v_add3_u32 v155 /*v411*/, v224 /*v480*/, v90, v91
	s_set_vgpr_msb 5                        ;  msbs: dst=0 src0=1 src1=1 src2=0
	v_mul_i32_i24_e32 v90, v154 /*v410*/, v14 /*v270*/
	v_mul_i32_i24_e32 v91, v127 /*v383*/, v15 /*v271*/
	s_set_vgpr_msb 0x41                     ;  msbs: dst=1 src0=1 src1=0 src2=0
	v_add3_u32 v224 /*v480*/, v192 /*v448*/, v249, v42
	s_set_vgpr_msb 1                        ;  msbs: dst=0 src0=1 src1=0 src2=0
	v_add3_u32 v111, v223 /*v479*/, v79, v80
	s_set_vgpr_msb 4                        ;  msbs: dst=0 src0=0 src1=1 src2=0
	v_mul_i32_i24_e32 v79, v174, v12 /*v268*/
	s_set_vgpr_msb 5                        ;  msbs: dst=0 src0=1 src1=1 src2=0
	v_mul_i32_i24_e32 v80, v199 /*v455*/, v13 /*v269*/
	s_set_vgpr_msb 0x41                     ;  msbs: dst=1 src0=1 src1=0 src2=0
	v_add3_u32 v135 /*v391*/, v219 /*v475*/, v90, v91
	s_set_vgpr_msb 0                        ;  msbs: dst=0 src0=0 src1=0 src2=0
	v_mul_i32_i24_e32 v90, v17, v22
	s_set_vgpr_msb 1                        ;  msbs: dst=0 src0=1 src1=0 src2=0
	v_mul_i32_i24_e32 v91, v243 /*v499*/, v21
	s_set_vgpr_msb 0x41                     ;  msbs: dst=1 src0=1 src1=0 src2=0
	v_bfe_i32 v219 /*v475*/, v183 /*v439*/, 16, 8
	v_add3_u32 v157 /*v413*/, v218 /*v474*/, v79, v80
	s_set_vgpr_msb 0                        ;  msbs: dst=0 src0=0 src1=0 src2=0
	v_mul_i32_i24_e32 v79, v24, v22
	v_mul_i32_i24_e32 v80, v142, v21
	;; [unrolled: 1-line block ×3, first 2 shown]
	s_set_vgpr_msb 1                        ;  msbs: dst=0 src0=1 src1=0 src2=0
	v_mul_i32_i24_e32 v21, v199 /*v455*/, v21
	s_set_vgpr_msb 0x41                     ;  msbs: dst=1 src0=1 src1=0 src2=0
	v_add3_u32 v118 /*v374*/, v221 /*v477*/, v90, v91
	s_set_vgpr_msb 5                        ;  msbs: dst=0 src0=1 src1=1 src2=0
	v_mul_i32_i24_e32 v90, v154 /*v410*/, v0 /*v256*/
	s_set_vgpr_msb 1                        ;  msbs: dst=0 src0=1 src1=0 src2=0
	v_add3_u32 v107, v220 /*v476*/, v79, v80
	s_set_vgpr_msb 5                        ;  msbs: dst=0 src0=1 src1=1 src2=0
	v_mul_i32_i24_e32 v79, v161 /*v417*/, v0 /*v256*/
	v_mul_i32_i24_e32 v80, v158 /*v414*/, v1 /*v257*/
	s_set_vgpr_msb 0x41                     ;  msbs: dst=1 src0=1 src1=0 src2=0
	v_add3_u32 v25 /*v281*/, v225 /*v481*/, v22, v21
	s_set_vgpr_msb 0                        ;  msbs: dst=0 src0=0 src1=0 src2=0
	v_mul_i32_i24_e32 v21, v24, v253
	v_mul_i32_i24_e32 v22, v142, v13
	s_set_vgpr_msb 5                        ;  msbs: dst=0 src0=1 src1=1 src2=0
	v_mul_i32_i24_e32 v91, v127 /*v383*/, v1 /*v257*/
	s_set_vgpr_msb 0x41                     ;  msbs: dst=1 src0=1 src1=0 src2=0
	v_add3_u32 v33 /*v289*/, v222 /*v478*/, v79, v80
	s_set_vgpr_msb 5                        ;  msbs: dst=0 src0=1 src1=1 src2=0
	v_mul_i32_i24_e32 v79, v169 /*v425*/, v0 /*v256*/
	v_mul_i32_i24_e32 v80, v237 /*v493*/, v1 /*v257*/
	s_set_vgpr_msb 0x41                     ;  msbs: dst=1 src0=1 src1=0 src2=0
	v_add3_u32 v27 /*v283*/, v230 /*v486*/, v21, v22
	s_set_vgpr_msb 1                        ;  msbs: dst=0 src0=1 src1=0 src2=0
	v_mul_i32_i24_e32 v21, v158 /*v414*/, v252
	v_mul_i32_i24_e32 v22, v161 /*v417*/, v254
	s_set_vgpr_msb 0x41                     ;  msbs: dst=1 src0=1 src1=0 src2=0
	v_add3_u32 v20 /*v276*/, v210 /*v466*/, v90, v91
	s_set_vgpr_msb 1                        ;  msbs: dst=0 src0=1 src1=0 src2=0
	v_add3_u32 v79, v208 /*v464*/, v79, v80
	s_set_vgpr_msb 5                        ;  msbs: dst=0 src0=1 src1=1 src2=0
	v_mul_i32_i24_e32 v80, v169 /*v425*/, v18 /*v274*/
	v_mul_i32_i24_e32 v90, v161 /*v417*/, v18 /*v274*/
	;; [unrolled: 1-line block ×3, first 2 shown]
	s_set_vgpr_msb 0x41                     ;  msbs: dst=1 src0=1 src1=0 src2=0
	v_add3_u32 v28 /*v284*/, v200 /*v456*/, v22, v21
	s_set_vgpr_msb 5                        ;  msbs: dst=0 src0=1 src1=1 src2=0
	v_mul_i32_i24_e32 v21, v243 /*v499*/, v244 /*v500*/
	s_set_vgpr_msb 4                        ;  msbs: dst=0 src0=0 src1=1 src2=0
	v_mul_i32_i24_e32 v22, v17, v21 /*v277*/
	s_set_vgpr_msb 0x41                     ;  msbs: dst=1 src0=1 src1=0 src2=0
	v_add3_u32 v22 /*v278*/, v204 /*v460*/, v80, v127
	v_add3_u32 v23 /*v279*/, v214 /*v470*/, v90, v91
	s_set_vgpr_msb 5                        ;  msbs: dst=0 src0=1 src1=1 src2=0
	v_mul_i32_i24_e32 v80, v154 /*v410*/, v18 /*v274*/
	v_mul_i32_i24_e32 v91, v127 /*v383*/, v19 /*v275*/
	s_set_vgpr_msb 64                       ;  msbs: dst=1 src0=0 src1=0 src2=0
	v_add3_u32 v31 /*v287*/, v215, v22, v21
	s_set_vgpr_msb 4                        ;  msbs: dst=0 src0=0 src1=1 src2=0
	v_mul_i32_i24_e32 v21, v174, v21 /*v277*/
	s_set_vgpr_msb 64                       ;  msbs: dst=1 src0=0 src1=0 src2=0
	v_add3_u32 v218 /*v474*/, v66, v172, v28
	s_set_vgpr_msb 1                        ;  msbs: dst=0 src0=1 src1=0 src2=0
	v_mul_i32_i24_e32 v22, v243 /*v499*/, v13
	v_mul_i32_i24_e32 v66, v199 /*v455*/, v13
	s_set_vgpr_msb 5                        ;  msbs: dst=0 src0=1 src1=1 src2=0
	v_mul_i32_i24_e32 v13, v199 /*v455*/, v244 /*v500*/
	s_set_vgpr_msb 0x41                     ;  msbs: dst=1 src0=1 src1=0 src2=0
	v_add3_u32 v26 /*v282*/, v229 /*v485*/, v80, v91
	s_set_vgpr_msb 4                        ;  msbs: dst=0 src0=0 src1=1 src2=0
	v_mul_i32_i24_e32 v80, v142, v244 /*v500*/
	s_set_vgpr_msb 1                        ;  msbs: dst=0 src0=1 src1=0 src2=0
	v_mul_i32_i24_e32 v174, v237 /*v493*/, v252
	s_set_vgpr_msb 64                       ;  msbs: dst=1 src0=0 src1=0 src2=0
	v_add3_u32 v222 /*v478*/, v64, v176, v27
	s_set_vgpr_msb 0x41                     ;  msbs: dst=1 src0=1 src1=0 src2=0
	v_add3_u32 v196 /*v452*/, v186 /*v442*/, v21, v13
	v_add3_u32 v221 /*v477*/, v166 /*v422*/, v51, v26
	s_set_vgpr_msb 64                       ;  msbs: dst=1 src0=0 src1=0 src2=0
	v_add3_u32 v223 /*v479*/, v214, v62, v25
	v_lshrrev_b32_e32 v186 /*v442*/, 24, v129
	s_set_vgpr_msb 4                        ;  msbs: dst=0 src0=0 src1=1 src2=0
	v_and_b32_e32 v142, 0xffff, v123 /*v379*/
	s_set_vgpr_msb 0x44                     ;  msbs: dst=1 src0=0 src1=1 src2=0
	v_lshrrev_b32_e32 v123 /*v379*/, 24, v183 /*v439*/
	s_set_vgpr_msb 0x41                     ;  msbs: dst=1 src0=1 src1=0 src2=0
	v_add3_u32 v200 /*v456*/, v198 /*v454*/, v196, v174
	v_add3_u32 v201 /*v457*/, v201 /*v457*/, v195, v66
	s_set_vgpr_msb 5                        ;  msbs: dst=0 src0=1 src1=1 src2=0
	v_mul_i32_i24_e32 v66, v218 /*v474*/, v219 /*v475*/
	s_set_vgpr_msb 0x51                     ;  msbs: dst=1 src0=1 src1=0 src2=1
	v_add3_u32 v166 /*v422*/, v181 /*v437*/, v67, v165 /*v421*/
	s_set_vgpr_msb 0x45                     ;  msbs: dst=1 src0=1 src1=1 src2=0
	v_mul_i32_i24_e32 v198 /*v454*/, v222 /*v478*/, v123 /*v379*/
	s_set_vgpr_msb 1                        ;  msbs: dst=0 src0=1 src1=0 src2=0
	v_mul_i32_i24_e32 v67, v221 /*v477*/, v216
	s_set_vgpr_msb 5                        ;  msbs: dst=0 src0=1 src1=1 src2=0
	v_mul_i32_i24_e32 v129, v223 /*v479*/, v186 /*v442*/
	s_set_vgpr_msb 0x41                     ;  msbs: dst=1 src0=1 src1=0 src2=0
	v_add3_u32 v225 /*v481*/, v117 /*v373*/, v240, v46
	s_set_vgpr_msb 64                       ;  msbs: dst=1 src0=0 src1=0 src2=0
	v_bfe_i32 v220 /*v476*/, v206, 16, 8
	s_set_vgpr_msb 0                        ;  msbs: dst=0 src0=0 src1=0 src2=0
	v_lshrrev_b32_e32 v240, 24, v206
	s_set_vgpr_msb 4                        ;  msbs: dst=0 src0=0 src1=1 src2=0
	v_mul_i32_i24_e32 v24, v24, v21 /*v277*/
	s_set_vgpr_msb 0x54                     ;  msbs: dst=1 src0=0 src1=1 src2=1
	v_add3_u32 v181 /*v437*/, v203, v190 /*v446*/, v193 /*v449*/
	s_set_vgpr_msb 64                       ;  msbs: dst=1 src0=0 src1=0 src2=0
	v_add3_u32 v190 /*v446*/, v207, v137, v139
	v_add3_u32 v117 /*v373*/, v210, v67, v129
	s_set_vgpr_msb 5                        ;  msbs: dst=0 src0=1 src1=1 src2=0
	v_mul_i32_i24_e32 v67, v224 /*v480*/, v220 /*v476*/
	s_set_vgpr_msb 1                        ;  msbs: dst=0 src0=1 src1=0 src2=0
	v_mul_i32_i24_e32 v129, v225 /*v481*/, v240
	s_set_vgpr_msb 0x50                     ;  msbs: dst=1 src0=0 src1=0 src2=1
	v_add3_u32 v198 /*v454*/, v205, v66, v198 /*v454*/
	s_set_vgpr_msb 5                        ;  msbs: dst=0 src0=1 src1=1 src2=0
	v_mul_i32_i24_e32 v66, v218 /*v474*/, v220 /*v476*/
	s_set_vgpr_msb 1                        ;  msbs: dst=0 src0=1 src1=0 src2=0
	v_mul_i32_i24_e32 v139, v222 /*v478*/, v240
	s_set_vgpr_msb 0x41                     ;  msbs: dst=1 src0=1 src1=0 src2=0
	v_add3_u32 v30 /*v286*/, v236 /*v492*/, v24, v80
	s_set_vgpr_msb 1                        ;  msbs: dst=0 src0=1 src1=0 src2=0
	v_mul_i32_i24_e32 v80, v158 /*v414*/, v65
	v_mul_i32_i24_e32 v127, v161 /*v417*/, v255
	;; [unrolled: 1-line block ×3, first 2 shown]
	s_set_vgpr_msb 64                       ;  msbs: dst=1 src0=0 src1=0 src2=0
	v_add3_u32 v199 /*v455*/, v211, v67, v129
	s_set_vgpr_msb 1                        ;  msbs: dst=0 src0=1 src1=0 src2=0
	v_add3_u32 v191, v112 /*v368*/, v66, v139
	s_set_vgpr_msb 5                        ;  msbs: dst=0 src0=1 src1=1 src2=0
	v_mul_i32_i24_e32 v66, v225 /*v481*/, v186 /*v442*/
	s_set_vgpr_msb 1                        ;  msbs: dst=0 src0=1 src1=0 src2=0
	v_mul_i32_i24_e32 v67, v224 /*v480*/, v216
	s_set_vgpr_msb 0x41                     ;  msbs: dst=1 src0=1 src1=0 src2=0
	v_mul_i32_i24_e32 v12 /*v268*/, v116 /*v372*/, v235
	v_mul_i32_i24_e32 v15 /*v271*/, v116 /*v372*/, v238
	;; [unrolled: 1-line block ×3, first 2 shown]
	v_add3_u32 v204 /*v460*/, v226 /*v482*/, v127, v80
	s_set_vgpr_msb 1                        ;  msbs: dst=0 src0=1 src1=0 src2=0
	v_mul_i32_i24_e32 v80, v169 /*v425*/, v255
	v_mul_i32_i24_e32 v65, v237 /*v493*/, v65
	s_set_vgpr_msb 0x41                     ;  msbs: dst=1 src0=1 src1=0 src2=0
	v_add3_u32 v210 /*v466*/, v182 /*v438*/, v131, v64
	s_set_vgpr_msb 0x54                     ;  msbs: dst=1 src0=0 src1=1 src2=1
	v_add3_u32 v182 /*v438*/, v190, v246 /*v502*/, v238 /*v494*/
	s_set_vgpr_msb 1                        ;  msbs: dst=0 src0=1 src1=0 src2=0
	v_mul_i32_i24_e32 v241, v149 /*v405*/, v236
	s_set_vgpr_msb 0x54                     ;  msbs: dst=1 src0=0 src1=1 src2=1
	v_add3_u32 v193 /*v449*/, v209, v194 /*v450*/, v228 /*v484*/
	s_set_vgpr_msb 64                       ;  msbs: dst=1 src0=0 src1=0 src2=0
	v_add3_u32 v194 /*v450*/, v208, v143, v147
	s_set_vgpr_msb 1                        ;  msbs: dst=0 src0=1 src1=0 src2=0
	v_mul_i32_i24_e32 v129, v134 /*v390*/, v236
	s_set_vgpr_msb 5                        ;  msbs: dst=0 src0=1 src1=1 src2=0
	v_mul_i32_i24_e32 v190, v79 /*v335*/, v186 /*v442*/
	s_set_vgpr_msb 1                        ;  msbs: dst=0 src0=1 src1=0 src2=0
	v_add3_u32 v203, v111 /*v367*/, v67, v66
	v_mul_i32_i24_e32 v66, v100 /*v356*/, v216
	v_mul_i32_i24_e32 v147, v124 /*v380*/, v236
	;; [unrolled: 1-line block ×9, first 2 shown]
	s_set_vgpr_msb 5                        ;  msbs: dst=0 src0=1 src1=1 src2=0
	v_mul_i32_i24_e32 v220, v225 /*v481*/, v123 /*v379*/
	v_mul_i32_i24_e32 v230, v224 /*v480*/, v219 /*v475*/
	s_set_vgpr_msb 64                       ;  msbs: dst=1 src0=0 src1=0 src2=0
	v_mul_i32_i24_e32 v76 /*v332*/, v169, v251
	v_mul_i32_i24_e32 v40 /*v296*/, v170, v227
	s_set_vgpr_msb 0                        ;  msbs: dst=0 src0=0 src1=0 src2=0
	v_mul_i32_i24_e32 v105, v170, v247
	v_mul_i32_i24_e32 v113, v170, v223
	s_set_vgpr_msb 5                        ;  msbs: dst=0 src0=1 src1=1 src2=0
	v_mul_i32_i24_e32 v133, v152 /*v408*/, v17 /*v273*/
	s_set_vgpr_msb 64                       ;  msbs: dst=1 src0=0 src1=0 src2=0
	v_mul_i32_i24_e32 v247 /*v503*/, v173, v186
	s_set_vgpr_msb 5                        ;  msbs: dst=0 src0=1 src1=1 src2=0
	v_mul_i32_i24_e32 v106, v146 /*v402*/, v17 /*v273*/
	s_set_vgpr_msb 0                        ;  msbs: dst=0 src0=0 src1=0 src2=0
	v_mul_i32_i24_e32 v82, v171, v56
	v_mul_i32_i24_e32 v104, v171, v53
	;; [unrolled: 1-line block ×6, first 2 shown]
	s_set_vgpr_msb 5                        ;  msbs: dst=0 src0=1 src1=1 src2=0
	v_mul_i32_i24_e32 v189, v241 /*v497*/, v17 /*v273*/
	s_set_vgpr_msb 0x41                     ;  msbs: dst=1 src0=1 src1=0 src2=0
	v_mul_i32_i24_e32 v3 /*v259*/, v149 /*v405*/, v234
	v_mul_i32_i24_e32 v7 /*v263*/, v242 /*v498*/, v227
	;; [unrolled: 1-line block ×5, first 2 shown]
	s_set_vgpr_msb 1                        ;  msbs: dst=0 src0=1 src1=0 src2=0
	v_mul_i32_i24_e32 v90, v152 /*v408*/, v237
	s_set_vgpr_msb 0x41                     ;  msbs: dst=1 src0=1 src1=0 src2=0
	v_mul_i32_i24_e32 v17 /*v273*/, v146 /*v402*/, v187
	s_set_vgpr_msb 0                        ;  msbs: dst=0 src0=0 src1=0 src2=0
	v_mul_i32_i24_e32 v17, v17, v253
	s_set_vgpr_msb 64                       ;  msbs: dst=1 src0=0 src1=0 src2=0
	v_mul_i32_i24_e32 v19 /*v275*/, v171, v29
	s_set_vgpr_msb 4                        ;  msbs: dst=0 src0=0 src1=1 src2=0
	v_and_b32_e32 v91, 0xffff, v121 /*v377*/
	v_and_b32_e32 v171, 0xffff, v122 /*v378*/
	s_set_vgpr_msb 0x41                     ;  msbs: dst=1 src0=1 src1=0 src2=0
	v_mul_i32_i24_e32 v216 /*v472*/, v184 /*v440*/, v244
	v_mul_i32_i24_e32 v217 /*v473*/, v185 /*v441*/, v245
	s_set_vgpr_msb 1                        ;  msbs: dst=0 src0=1 src1=0 src2=0
	v_mul_i32_i24_e32 v252, v241 /*v497*/, v246
	v_mul_i32_i24_e32 v253, v242 /*v498*/, v247
	;; [unrolled: 1-line block ×3, first 2 shown]
	s_set_vgpr_msb 0x41                     ;  msbs: dst=1 src0=1 src1=0 src2=0
	v_add3_u32 v208 /*v464*/, v227 /*v483*/, v80, v65
	s_set_vgpr_msb 1                        ;  msbs: dst=0 src0=1 src1=0 src2=0
	v_mul_i32_i24_e32 v255, v147 /*v403*/, v251
	v_mul_i32_i24_e32 v202, v143 /*v399*/, v244
	;; [unrolled: 1-line block ×3, first 2 shown]
	s_set_vgpr_msb 0x41                     ;  msbs: dst=1 src0=1 src1=0 src2=0
	v_mul_i32_i24_e32 v21 /*v277*/, v146 /*v402*/, v246
	v_mul_i32_i24_e32 v121 /*v377*/, v141 /*v397*/, v247
	s_set_vgpr_msb 1                        ;  msbs: dst=0 src0=1 src1=0 src2=0
	v_mul_i32_i24_e32 v80, v134 /*v390*/, v250
	s_set_vgpr_msb 0x41                     ;  msbs: dst=1 src0=1 src1=0 src2=0
	v_mul_i32_i24_e32 v122 /*v378*/, v148 /*v404*/, v251
	v_mul_i32_i24_e32 v214 /*v470*/, v130 /*v386*/, v244
	;; [unrolled: 1-line block ×3, first 2 shown]
	s_set_vgpr_msb 1                        ;  msbs: dst=0 src0=1 src1=0 src2=0
	v_mul_i32_i24_e32 v245, v152 /*v408*/, v246
	v_mul_i32_i24_e32 v246, v151 /*v407*/, v247
	;; [unrolled: 1-line block ×4, first 2 shown]
	s_set_vgpr_msb 0x54                     ;  msbs: dst=1 src0=0 src1=1 src2=1
	v_add3_u32 v169 /*v425*/, v145, v254 /*v510*/, v255 /*v511*/
	s_set_vgpr_msb 1                        ;  msbs: dst=0 src0=1 src1=0 src2=0
	v_mul_i32_i24_e32 v215, v185 /*v441*/, v242
	v_mul_i32_i24_e32 v244, v241 /*v497*/, v243
	;; [unrolled: 1-line block ×6, first 2 shown]
	s_set_vgpr_msb 0x41                     ;  msbs: dst=1 src0=1 src1=0 src2=0
	v_mul_i32_i24_e32 v127 /*v383*/, v141 /*v397*/, v223
	s_set_vgpr_msb 1                        ;  msbs: dst=0 src0=1 src1=0 src2=0
	v_mul_i32_i24_e32 v188, v128 /*v384*/, v249
	s_set_vgpr_msb 0x41                     ;  msbs: dst=1 src0=1 src1=0 src2=0
	v_mul_i32_i24_e32 v154 /*v410*/, v134 /*v390*/, v248
	s_set_vgpr_msb 0x54                     ;  msbs: dst=1 src0=0 src1=1 src2=1
	v_add3_u32 v183 /*v439*/, v204, v232 /*v488*/, v234 /*v490*/
	s_set_vgpr_msb 1                        ;  msbs: dst=0 src0=1 src1=0 src2=0
	v_mul_i32_i24_e32 v145, v126 /*v382*/, v242
	v_mul_i32_i24_e32 v242, v152 /*v408*/, v243
	s_set_vgpr_msb 0x41                     ;  msbs: dst=1 src0=1 src1=0 src2=0
	v_mul_i32_i24_e32 v161 /*v417*/, v151 /*v407*/, v223
	s_set_vgpr_msb 1                        ;  msbs: dst=0 src0=1 src1=0 src2=0
	v_mul_i32_i24_e32 v198, v119 /*v375*/, v249
	v_mul_i32_i24_e32 v249, v124 /*v380*/, v248
	;; [unrolled: 1-line block ×5, first 2 shown]
	v_add3_u32 v204, v108 /*v364*/, v66, v190
	v_mul_i32_i24_e32 v209, v242 /*v498*/, v223
	v_mul_i32_i24_e32 v210, v146 /*v402*/, v237
	;; [unrolled: 1-line block ×7, first 2 shown]
	s_set_vgpr_msb 5                        ;  msbs: dst=0 src0=1 src1=1 src2=0
	v_mul_i32_i24_e32 v231, v105 /*v361*/, v80 /*v336*/
	s_set_vgpr_msb 0x41                     ;  msbs: dst=1 src0=1 src1=0 src2=0
	v_mul_i32_i24_e32 v80 /*v336*/, v126 /*v382*/, v186
	s_set_vgpr_msb 1                        ;  msbs: dst=0 src0=1 src1=0 src2=0
	v_mul_i32_i24_e32 v186, v152 /*v408*/, v187
	v_add3_u32 v187, v84 /*v340*/, v230, v220
	s_set_vgpr_msb 5                        ;  msbs: dst=0 src0=1 src1=1 src2=0
	v_mul_i32_i24_e32 v230, v100 /*v356*/, v219 /*v475*/
	s_set_vgpr_msb 0x44                     ;  msbs: dst=1 src0=0 src1=1 src2=0
	v_and_b32_e32 v84 /*v340*/, 3, v240 /*v496*/
	s_set_vgpr_msb 5                        ;  msbs: dst=0 src0=1 src1=1 src2=0
	v_mul_i32_i24_e32 v220, v79 /*v335*/, v123 /*v379*/
	s_set_vgpr_msb 0x41                     ;  msbs: dst=1 src0=1 src1=0 src2=0
	v_add3_u32 v75 /*v331*/, v75 /*v331*/, v182, v44
	v_mul_i32_i24_e32 v8 /*v264*/, v241 /*v497*/, v239
	v_mul_i32_i24_e32 v11 /*v267*/, v152 /*v408*/, v239
	s_set_vgpr_msb 1                        ;  msbs: dst=0 src0=1 src1=0 src2=0
	v_mul_i32_i24_e32 v197, v185 /*v441*/, v232
	s_set_vgpr_msb 0                        ;  msbs: dst=0 src0=0 src1=0 src2=0
	v_add3_u32 v220, v146, v230, v220
	s_set_vgpr_msb 1                        ;  msbs: dst=0 src0=1 src1=0 src2=0
	v_add3_u32 v230, v78 /*v334*/, v183, v31
	v_mul_i32_i24_e32 v195, v131 /*v387*/, v232
	s_set_vgpr_msb 0x41                     ;  msbs: dst=1 src0=1 src1=0 src2=0
	v_mul_i32_i24_e32 v112 /*v368*/, v126 /*v382*/, v232
	s_set_vgpr_msb 1                        ;  msbs: dst=0 src0=1 src1=0 src2=0
	v_mul_i32_i24_e32 v206, v146 /*v402*/, v239
	s_set_vgpr_msb 5                        ;  msbs: dst=0 src0=1 src1=1 src2=0
	v_mul_i32_i24_e32 v239, v107 /*v363*/, v73 /*v329*/
	v_mul_i32_i24_e32 v232, v75 /*v331*/, v220 /*v476*/
	s_set_vgpr_msb 0x41                     ;  msbs: dst=1 src0=1 src1=0 src2=0
	v_mul_i32_i24_e32 v107 /*v363*/, v75 /*v331*/, v216
	s_set_vgpr_msb 4                        ;  msbs: dst=0 src0=0 src1=1 src2=0
	v_mul_i32_i24_e32 v146, v230, v186 /*v442*/
	s_set_vgpr_msb 0x41                     ;  msbs: dst=1 src0=1 src1=0 src2=0
	v_mul_i32_i24_e32 v78 /*v334*/, v218 /*v474*/, v216
	s_set_vgpr_msb 0x45                     ;  msbs: dst=1 src0=1 src1=1 src2=0
	v_mul_i32_i24_e32 v74 /*v330*/, v105 /*v361*/, v74 /*v330*/
	s_set_vgpr_msb 1                        ;  msbs: dst=0 src0=1 src1=0 src2=0
	v_add3_u32 v231, v61 /*v317*/, v231, v232
	s_set_vgpr_msb 0x45                     ;  msbs: dst=1 src0=1 src1=1 src2=0
	v_mul_i32_i24_e32 v61 /*v317*/, v75 /*v331*/, v219 /*v475*/
	s_set_vgpr_msb 5                        ;  msbs: dst=0 src0=1 src1=1 src2=0
	v_add3_u32 v232, v96 /*v352*/, v107 /*v363*/, v146
	v_mul_i32_i24_e32 v146, v222 /*v478*/, v186 /*v442*/
	s_set_vgpr_msb 0x41                     ;  msbs: dst=1 src0=1 src1=0 src2=0
	v_add3_u32 v63 /*v319*/, v63 /*v319*/, v181, v11
	s_set_vgpr_msb 64                       ;  msbs: dst=1 src0=0 src1=0 src2=0
	v_mul_i32_i24_e32 v44 /*v300*/, v169, v224
	s_set_vgpr_msb 0x55                     ;  msbs: dst=1 src0=1 src1=1 src2=1
	v_add3_u32 v61 /*v317*/, v91 /*v347*/, v74 /*v330*/, v61 /*v317*/
	v_mul_i32_i24_e32 v91 /*v347*/, v221 /*v477*/, v220 /*v476*/
	s_set_vgpr_msb 0x45                     ;  msbs: dst=1 src0=1 src1=1 src2=0
	v_add3_u32 v78 /*v334*/, v90 /*v346*/, v78 /*v334*/, v146
	s_set_vgpr_msb 1                        ;  msbs: dst=0 src0=1 src1=0 src2=0
	v_mul_i32_i24_e32 v146, v70 /*v326*/, v216
	s_set_vgpr_msb 5                        ;  msbs: dst=0 src0=1 src1=1 src2=0
	v_mul_i32_i24_e32 v132, v116 /*v372*/, v68 /*v324*/
	s_set_vgpr_msb 0x41                     ;  msbs: dst=1 src0=1 src1=0 src2=0
	v_mul_i32_i24_e32 v6 /*v262*/, v149 /*v405*/, v226
	v_mul_i32_i24_e32 v14 /*v270*/, v124 /*v380*/, v226
	;; [unrolled: 1-line block ×3, first 2 shown]
	s_set_vgpr_msb 1                        ;  msbs: dst=0 src0=1 src1=0 src2=0
	v_add3_u32 v239, v92 /*v348*/, v239, v146
	v_mul_i32_i24_e32 v146, v223 /*v479*/, v240
	s_set_vgpr_msb 0x41                     ;  msbs: dst=1 src0=1 src1=0 src2=0
	v_mul_i32_i24_e32 v165 /*v421*/, v116 /*v372*/, v225
	s_set_vgpr_msb 1                        ;  msbs: dst=0 src0=1 src1=0 src2=0
	v_mul_i32_i24_e32 v139, v148 /*v404*/, v224
	v_mul_i32_i24_e32 v207, v147 /*v403*/, v225
	;; [unrolled: 1-line block ×5, first 2 shown]
	s_set_vgpr_msb 0x41                     ;  msbs: dst=1 src0=1 src1=0 src2=0
	v_mul_i32_i24_e32 v108 /*v364*/, v156 /*v412*/, v184
	v_mul_i32_i24_e32 v96 /*v352*/, v133 /*v389*/, v184
	;; [unrolled: 1-line block ×3, first 2 shown]
	s_set_vgpr_msb 1                        ;  msbs: dst=0 src0=1 src1=0 src2=0
	v_mul_i32_i24_e32 v184, v63 /*v319*/, v240
	s_set_vgpr_msb 0x45                     ;  msbs: dst=1 src0=1 src1=1 src2=0
	v_mul_i32_i24_e32 v74 /*v330*/, v70 /*v326*/, v220 /*v476*/
	v_add3_u32 v91 /*v347*/, v93 /*v349*/, v91 /*v347*/, v146
	s_set_vgpr_msb 5                        ;  msbs: dst=0 src0=1 src1=1 src2=0
	v_mul_i32_i24_e32 v146, v63 /*v319*/, v123 /*v379*/
	s_set_vgpr_msb 0x45                     ;  msbs: dst=1 src0=1 src1=1 src2=0
	v_mul_i32_i24_e32 v93 /*v349*/, v70 /*v326*/, v219 /*v475*/
	s_set_vgpr_msb 0                        ;  msbs: dst=0 src0=0 src1=0 src2=0
	v_mov_b32_e32 v24, v19
	s_set_vgpr_msb 0x41                     ;  msbs: dst=1 src0=1 src1=0 src2=0
	v_mul_i32_i24_e32 v73 /*v329*/, v225 /*v481*/, v125
	s_set_vgpr_msb 0x45                     ;  msbs: dst=1 src0=1 src1=1 src2=0
	v_add3_u32 v74 /*v330*/, v94 /*v350*/, v74 /*v330*/, v184
	s_set_vgpr_msb 5                        ;  msbs: dst=0 src0=1 src1=1 src2=0
	v_mul_i32_i24_e32 v184, v223 /*v479*/, v123 /*v379*/
	s_set_vgpr_msb 0x45                     ;  msbs: dst=1 src0=1 src1=1 src2=0
	v_mul_i32_i24_e32 v92 /*v348*/, v221 /*v477*/, v219 /*v475*/
	v_add3_u32 v87 /*v343*/, v87 /*v343*/, v93 /*v349*/, v146
	v_mul_i32_i24_e32 v93 /*v349*/, v224 /*v480*/, v103 /*v359*/
	s_set_vgpr_msb 5                        ;  msbs: dst=0 src0=1 src1=1 src2=0
	v_mul_i32_i24_e32 v146, v100 /*v356*/, v103 /*v359*/
	s_set_vgpr_msb 0x45                     ;  msbs: dst=1 src0=1 src1=1 src2=0
	v_mul_i32_i24_e32 v100 /*v356*/, v100 /*v356*/, v220 /*v476*/
	v_add3_u32 v89 /*v345*/, v89 /*v345*/, v92 /*v348*/, v184
	s_set_vgpr_msb 1                        ;  msbs: dst=0 src0=1 src1=0 src2=0
	v_mul_i32_i24_e32 v184, v79 /*v335*/, v125
	s_set_vgpr_msb 0x55                     ;  msbs: dst=1 src0=1 src1=1 src2=1
	v_add3_u32 v73 /*v329*/, v85 /*v341*/, v93 /*v349*/, v73 /*v329*/
	v_mul_i32_i24_e32 v85 /*v341*/, v218 /*v474*/, v103 /*v359*/
	s_set_vgpr_msb 0x41                     ;  msbs: dst=1 src0=1 src1=0 src2=0
	v_mul_i32_i24_e32 v93 /*v349*/, v222 /*v478*/, v125
	v_mul_i32_i24_e32 v79 /*v335*/, v79 /*v335*/, v240
	s_set_vgpr_msb 0                        ;  msbs: dst=0 src0=0 src1=0 src2=0
	v_mul_i32_i24_e32 v83, v83, v192
	s_set_vgpr_msb 0x45                     ;  msbs: dst=1 src0=1 src1=1 src2=0
	v_mul_i32_i24_e32 v75 /*v331*/, v75 /*v331*/, v103 /*v359*/
	s_set_vgpr_msb 0x41                     ;  msbs: dst=1 src0=1 src1=0 src2=0
	v_add3_u32 v71 /*v327*/, v71 /*v327*/, v60, v32
	s_set_vgpr_msb 0x55                     ;  msbs: dst=1 src0=1 src1=1 src2=1
	v_add3_u32 v85 /*v341*/, v104 /*v360*/, v85 /*v341*/, v93 /*v349*/
	s_set_vgpr_msb 64                       ;  msbs: dst=1 src0=0 src1=0 src2=0
	v_mul_i32_i24_e32 v93 /*v349*/, v230, v125
	s_set_vgpr_msb 0x41                     ;  msbs: dst=1 src0=1 src1=0 src2=0
	v_add3_u32 v69 /*v325*/, v69 /*v325*/, v61, v33
	s_set_vgpr_msb 0x55                     ;  msbs: dst=1 src0=1 src1=1 src2=1
	v_add3_u32 v79 /*v335*/, v97 /*v353*/, v100 /*v356*/, v79 /*v335*/
	v_mul_i32_i24_e32 v100 /*v356*/, v86 /*v342*/, v220 /*v476*/
	s_set_vgpr_msb 1                        ;  msbs: dst=0 src0=1 src1=0 src2=0
	v_add3_u32 v83, v138 /*v394*/, v83, v119
	v_mul_i32_i24_e32 v119, v179 /*v435*/, v240
	s_set_vgpr_msb 0x45                     ;  msbs: dst=1 src0=1 src1=1 src2=0
	v_mul_i32_i24_e32 v72 /*v328*/, v151 /*v407*/, v139 /*v395*/
	s_set_vgpr_msb 64                       ;  msbs: dst=1 src0=0 src1=0 src2=0
	v_mul_i32_i24_e32 v46 /*v302*/, v170, v228
	v_mul_i32_i24_e32 v48 /*v304*/, v170, v221
	;; [unrolled: 1-line block ×3, first 2 shown]
	s_set_vgpr_msb 0x44                     ;  msbs: dst=1 src0=0 src1=1 src2=0
	v_mul_i32_i24_e32 v52 /*v308*/, v170, v16 /*v272*/
	s_set_vgpr_msb 5                        ;  msbs: dst=0 src0=1 src1=1 src2=0
	v_mul_i32_i24_e32 v134, v151 /*v407*/, v16 /*v272*/
	v_mul_i32_i24_e32 v110, v141 /*v397*/, v16 /*v272*/
	;; [unrolled: 1-line block ×4, first 2 shown]
	s_set_vgpr_msb 0x45                     ;  msbs: dst=1 src0=1 src1=1 src2=0
	v_mul_i32_i24_e32 v2 /*v258*/, v242 /*v498*/, v16 /*v272*/
	s_set_vgpr_msb 0x41                     ;  msbs: dst=1 src0=1 src1=0 src2=0
	v_mul_i32_i24_e32 v16 /*v272*/, v141 /*v397*/, v185
	s_set_vgpr_msb 1                        ;  msbs: dst=0 src0=1 src1=0 src2=0
	v_mul_i32_i24_e32 v137, v141 /*v397*/, v221
	v_mul_i32_i24_e32 v67, v141 /*v397*/, v228
	s_set_vgpr_msb 0x55                     ;  msbs: dst=1 src0=1 src1=1 src2=1
	v_and_b32_e32 v107 /*v363*/, 3, v140 /*v396*/
	v_add3_u32 v75 /*v331*/, v101 /*v357*/, v75 /*v331*/, v93 /*v349*/
	s_set_vgpr_msb 0x41                     ;  msbs: dst=1 src0=1 src1=0 src2=0
	v_mul_i32_i24_e32 v101 /*v357*/, v63 /*v319*/, v125
	s_set_vgpr_msb 0x45                     ;  msbs: dst=1 src0=1 src1=1 src2=0
	v_mul_i32_i24_e32 v70 /*v326*/, v70 /*v326*/, v103 /*v359*/
	s_set_vgpr_msb 0x41                     ;  msbs: dst=1 src0=1 src1=0 src2=0
	v_mul_i32_i24_e32 v140 /*v396*/, v223 /*v479*/, v125
	s_set_vgpr_msb 0x45                     ;  msbs: dst=1 src0=1 src1=1 src2=0
	v_mul_i32_i24_e32 v141 /*v397*/, v221 /*v477*/, v103 /*v359*/
	s_set_vgpr_msb 1                        ;  msbs: dst=0 src0=1 src1=0 src2=0
	v_mul_i32_i24_e32 v125, v71 /*v327*/, v125
	s_set_vgpr_msb 0x45                     ;  msbs: dst=1 src0=1 src1=1 src2=0
	v_mul_i32_i24_e32 v103 /*v359*/, v69 /*v325*/, v103 /*v359*/
	s_set_vgpr_msb 4                        ;  msbs: dst=0 src0=0 src1=1 src2=0
	v_add3_u32 v119, v123, v100 /*v356*/, v119
	s_set_vgpr_msb 1                        ;  msbs: dst=0 src0=1 src1=0 src2=0
	v_mul_i32_i24_e32 v123, v86 /*v342*/, v216
	s_set_vgpr_msb 0x45                     ;  msbs: dst=1 src0=1 src1=1 src2=0
	v_mul_i32_i24_e32 v100 /*v356*/, v179 /*v435*/, v186 /*v442*/
	s_set_vgpr_msb 4                        ;  msbs: dst=0 src0=0 src1=1 src2=0
	v_mul_i32_i24_e32 v170, v170, v139 /*v395*/
	s_set_vgpr_msb 0x45                     ;  msbs: dst=1 src0=1 src1=1 src2=0
	v_mul_i32_i24_e32 v139 /*v395*/, v71 /*v327*/, v186 /*v442*/
	s_set_vgpr_msb 1                        ;  msbs: dst=0 src0=1 src1=0 src2=0
	v_mul_i32_i24_e32 v216, v69 /*v325*/, v216
	s_set_vgpr_msb 5                        ;  msbs: dst=0 src0=1 src1=1 src2=0
	v_mul_i32_i24_e32 v78, v148 /*v404*/, v68 /*v324*/
	v_mul_i32_i24_e32 v128, v147 /*v403*/, v68 /*v324*/
	s_set_vgpr_msb 1                        ;  msbs: dst=0 src0=1 src1=0 src2=0
	v_mul_i32_i24_e32 v127, v136 /*v392*/, v229
	v_mul_i32_i24_e32 v131, v128 /*v384*/, v229
	;; [unrolled: 1-line block ×3, first 2 shown]
	s_set_vgpr_msb 0x54                     ;  msbs: dst=1 src0=0 src1=1 src2=1
	v_add3_u32 v192 /*v448*/, v193, v231 /*v487*/, v233 /*v489*/
	s_set_vgpr_msb 1                        ;  msbs: dst=0 src0=1 src1=0 src2=0
	v_mul_i32_i24_e32 v196, v184 /*v440*/, v233
	v_mul_i32_i24_e32 v193, v134 /*v390*/, v222
	;; [unrolled: 1-line block ×4, first 2 shown]
	s_set_vgpr_msb 0x44                     ;  msbs: dst=1 src0=0 src1=1 src2=0
	v_and_b32_e32 v105 /*v361*/, 3, v145 /*v401*/
	v_and_b32_e32 v111 /*v367*/, 3, v150 /*v406*/
	;; [unrolled: 1-line block ×3, first 2 shown]
	s_set_vgpr_msb 0x41                     ;  msbs: dst=1 src0=1 src1=0 src2=0
	v_mul_i32_i24_e32 v90 /*v346*/, v136 /*v392*/, v182
	v_mul_i32_i24_e32 v129 /*v385*/, v156 /*v412*/, v183
	;; [unrolled: 1-line block ×4, first 2 shown]
	s_set_vgpr_msb 0x55                     ;  msbs: dst=1 src0=1 src1=1 src2=1
	v_add3_u32 v70 /*v326*/, v106 /*v362*/, v70 /*v326*/, v101 /*v357*/
	s_set_vgpr_msb 0x41                     ;  msbs: dst=1 src0=1 src1=0 src2=0
	v_mul_i32_i24_e32 v101 /*v357*/, v136 /*v392*/, v180
	v_mul_i32_i24_e32 v106 /*v362*/, v156 /*v412*/, v181
	s_set_vgpr_msb 0x55                     ;  msbs: dst=1 src0=1 src1=1 src2=1
	v_add3_u32 v102 /*v358*/, v102 /*v358*/, v141 /*v397*/, v140 /*v396*/
	s_set_vgpr_msb 0x41                     ;  msbs: dst=1 src0=1 src1=0 src2=0
	v_mul_i32_i24_e32 v140 /*v396*/, v143 /*v399*/, v178
	v_mul_i32_i24_e32 v141 /*v397*/, v131 /*v387*/, v179
	s_set_vgpr_msb 5                        ;  msbs: dst=0 src0=1 src1=1 src2=0
	v_add3_u32 v125, v98 /*v354*/, v103 /*v359*/, v125
	s_set_vgpr_msb 0x41                     ;  msbs: dst=1 src0=1 src1=0 src2=0
	v_mul_i32_i24_e32 v98 /*v354*/, v128 /*v384*/, v180
	v_mul_i32_i24_e32 v103 /*v359*/, v133 /*v389*/, v181
	;; [unrolled: 1-line block ×3, first 2 shown]
	s_set_vgpr_msb 1                        ;  msbs: dst=0 src0=1 src1=0 src2=0
	v_mul_i32_i24_e32 v192, v185 /*v441*/, v50
	s_set_vgpr_msb 0x45                     ;  msbs: dst=1 src0=1 src1=1 src2=0
	v_mul_i32_i24_e32 v138 /*v394*/, v69 /*v325*/, v220 /*v476*/
	s_set_vgpr_msb 0x41                     ;  msbs: dst=1 src0=1 src1=0 src2=0
	v_mul_i32_i24_e32 v146 /*v402*/, v71 /*v327*/, v240
	v_mul_i32_i24_e32 v147 /*v403*/, v136 /*v392*/, v172
	s_set_vgpr_msb 16                       ;  msbs: dst=0 src0=0 src1=0 src2=1
	v_add3_u32 v121, v121, v123, v100 /*v356*/
	s_set_vgpr_msb 1                        ;  msbs: dst=0 src0=1 src1=0 src2=0
	v_mul_i32_i24_e32 v123, v156 /*v412*/, v176
	s_set_vgpr_msb 0x41                     ;  msbs: dst=1 src0=1 src1=0 src2=0
	v_mul_i32_i24_e32 v100 /*v356*/, v128 /*v384*/, v172
	s_set_vgpr_msb 4                        ;  msbs: dst=0 src0=0 src1=1 src2=0
	v_mul_i32_i24_e32 v169, v169, v68 /*v324*/
	s_set_vgpr_msb 0x41                     ;  msbs: dst=1 src0=1 src1=0 src2=0
	v_mul_i32_i24_e32 v68 /*v324*/, v133 /*v389*/, v176
	s_set_vgpr_msb 17                       ;  msbs: dst=0 src0=1 src1=0 src2=1
	v_mul_i32_i24_e32 v172, v119 /*v375*/, v172
	v_mul_i32_i24_e32 v176, v120 /*v376*/, v176
	v_add3_u32 v216, v207 /*v463*/, v216, v139 /*v395*/
	s_set_vgpr_msb 0x41                     ;  msbs: dst=1 src0=1 src1=0 src2=0
	v_mul_i32_i24_e32 v139 /*v395*/, v128 /*v384*/, v51
	v_mul_i32_i24_e32 v148 /*v404*/, v133 /*v389*/, v62
	s_set_vgpr_msb 0x45                     ;  msbs: dst=1 src0=1 src1=1 src2=0
	v_mul_i32_i24_e32 v86 /*v342*/, v86 /*v342*/, v219 /*v475*/
	v_mul_i32_i24_e32 v149 /*v405*/, v179 /*v435*/, v123 /*v379*/
	v_mul_i32_i24_e32 v69 /*v325*/, v69 /*v325*/, v219 /*v475*/
	v_mul_i32_i24_e32 v71 /*v327*/, v71 /*v327*/, v123 /*v379*/
	s_set_vgpr_msb 0x41                     ;  msbs: dst=1 src0=1 src1=0 src2=0
	v_mul_i32_i24_e32 v9 /*v265*/, v242 /*v498*/, v228
	v_mul_i32_i24_e32 v13 /*v269*/, v151 /*v407*/, v228
	v_add3_u32 v197 /*v453*/, v197 /*v453*/, v17, v22
	s_set_vgpr_msb 0                        ;  msbs: dst=0 src0=0 src1=0 src2=0
	v_dual_mov_b32 v22, v5 :: v_dual_mov_b32 v21, v19
	s_set_vgpr_msb 1                        ;  msbs: dst=0 src0=1 src1=0 src2=0
	v_mul_i32_i24_e32 v126, v143 /*v399*/, v233
	v_mul_i32_i24_e32 v233, v130 /*v386*/, v233
	;; [unrolled: 1-line block ×6, first 2 shown]
	s_set_vgpr_msb 0x41                     ;  msbs: dst=1 src0=1 src1=0 src2=0
	v_mul_i32_i24_e32 v92 /*v348*/, v128 /*v384*/, v182
	v_mul_i32_i24_e32 v94 /*v350*/, v119 /*v375*/, v182
	s_set_vgpr_msb 1                        ;  msbs: dst=0 src0=1 src1=0 src2=0
	v_mul_i32_i24_e32 v182, v144 /*v400*/, v54
	s_set_vgpr_msb 0x41                     ;  msbs: dst=1 src0=1 src1=0 src2=0
	v_add3_u32 v88 /*v344*/, v88 /*v344*/, v146, v184
	s_set_vgpr_msb 1                        ;  msbs: dst=0 src0=1 src1=0 src2=0
	v_mul_i32_i24_e32 v184, v110 /*v366*/, v32
	v_mul_i32_i24_e32 v146, v144 /*v400*/, v44
	s_set_vgpr_msb 0x41                     ;  msbs: dst=1 src0=1 src1=0 src2=0
	v_mul_i32_i24_e32 v134 /*v390*/, v133 /*v389*/, v183
	s_set_vgpr_msb 1                        ;  msbs: dst=0 src0=1 src1=0 src2=0
	v_mul_i32_i24_e32 v183, v120 /*v376*/, v183
	v_mul_i32_i24_e32 v178, v130 /*v386*/, v178
	;; [unrolled: 1-line block ×5, first 2 shown]
	s_set_vgpr_msb 0x41                     ;  msbs: dst=1 src0=1 src1=0 src2=0
	v_mul_i32_i24_e32 v97 /*v353*/, v143 /*v399*/, v49
	s_set_vgpr_msb 0x55                     ;  msbs: dst=1 src0=1 src1=1 src2=1
	v_add3_u32 v138 /*v394*/, v213 /*v469*/, v138 /*v394*/, v146 /*v402*/
	s_set_vgpr_msb 0x41                     ;  msbs: dst=1 src0=1 src1=0 src2=0
	v_mul_i32_i24_e32 v146 /*v402*/, v131 /*v387*/, v50
	v_mul_i32_i24_e32 v150 /*v406*/, v110 /*v366*/, v27
	s_set_vgpr_msb 0x55                     ;  msbs: dst=1 src0=1 src1=1 src2=1
	v_add3_u32 v86 /*v342*/, v205 /*v461*/, v86 /*v342*/, v149 /*v405*/
	s_set_vgpr_msb 0x41                     ;  msbs: dst=1 src0=1 src1=0 src2=0
	v_mul_i32_i24_e32 v149 /*v405*/, v110 /*v366*/, v31
	v_mul_i32_i24_e32 v151 /*v407*/, v110 /*v366*/, v55
	s_set_vgpr_msb 0x55                     ;  msbs: dst=1 src0=1 src1=1 src2=1
	v_add3_u32 v69 /*v325*/, v189 /*v445*/, v69 /*v325*/, v71 /*v327*/
	s_set_vgpr_msb 0x41                     ;  msbs: dst=1 src0=1 src1=0 src2=0
	v_mul_i32_i24_e32 v71 /*v327*/, v110 /*v366*/, v46
	s_set_vgpr_msb 0x55                     ;  msbs: dst=1 src0=1 src1=1 src2=1
	v_add3_u32 v153 /*v409*/, v187 /*v443*/, v216 /*v472*/, v217 /*v473*/
	s_set_vgpr_msb 0x41                     ;  msbs: dst=1 src0=1 src1=0 src2=0
	v_mul_i32_i24_e32 v187 /*v443*/, v144 /*v400*/, v42
	s_set_vgpr_msb 1                        ;  msbs: dst=0 src0=1 src1=0 src2=0
	v_add3_u32 v202, v171 /*v427*/, v202, v213
	v_mul_i32_i24_e32 v213, v144 /*v400*/, v28
	s_set_vgpr_msb 0x41                     ;  msbs: dst=1 src0=1 src1=0 src2=0
	v_mul_i32_i24_e32 v171 /*v427*/, v136 /*v392*/, v51
	s_set_vgpr_msb 0x55                     ;  msbs: dst=1 src0=1 src1=1 src2=1
	v_add3_u32 v189 /*v445*/, v206 /*v462*/, v214 /*v470*/, v215 /*v471*/
	s_set_vgpr_msb 0x41                     ;  msbs: dst=1 src0=1 src1=0 src2=0
	v_mul_i32_i24_e32 v205 /*v461*/, v156 /*v412*/, v62
	s_set_vgpr_msb 1                        ;  msbs: dst=0 src0=1 src1=0 src2=0
	v_mul_i32_i24_e32 v49, v130 /*v386*/, v49
	v_mul_i32_i24_e32 v50, v126 /*v382*/, v50
	;; [unrolled: 1-line block ×4, first 2 shown]
	s_set_vgpr_msb 0x41                     ;  msbs: dst=1 src0=1 src1=0 src2=0
	v_mul_i32_i24_e32 v206 /*v462*/, v110 /*v366*/, v11
	s_set_vgpr_msb 1                        ;  msbs: dst=0 src0=1 src1=0 src2=0
	v_add3_u32 v212, v203 /*v459*/, v212, v215
	v_mul_i32_i24_e32 v215, v110 /*v366*/, v25
	s_set_vgpr_msb 0                        ;  msbs: dst=0 src0=0 src1=0 src2=0
	v_add3_u32 v65, v115, v65, v201
	s_set_vgpr_msb 1                        ;  msbs: dst=0 src0=1 src1=0 src2=0
	v_mul_i32_i24_e32 v201, v144 /*v400*/, v45
	v_add3_u32 v64, v209 /*v465*/, v200, v64
	v_mul_i32_i24_e32 v200, v144 /*v400*/, v26
	s_set_vgpr_msb 0x41                     ;  msbs: dst=1 src0=1 src1=0 src2=0
	v_mul_i32_i24_e32 v207 /*v463*/, v184 /*v440*/, v59
	s_set_vgpr_msb 1                        ;  msbs: dst=0 src0=1 src1=0 src2=0
	v_add3_u32 v188, v212 /*v468*/, v188, v194
	v_mul_i32_i24_e32 v194, v185 /*v441*/, v58
	s_set_vgpr_msb 0x41                     ;  msbs: dst=1 src0=1 src1=0 src2=0
	v_mul_i32_i24_e32 v209 /*v465*/, v136 /*v392*/, v61
	s_set_vgpr_msb 1                        ;  msbs: dst=0 src0=1 src1=0 src2=0
	v_add3_u32 v141, v211 /*v467*/, v141, v145
	v_mul_i32_i24_e32 v145, v156 /*v412*/, v60
	s_set_vgpr_msb 0x41                     ;  msbs: dst=1 src0=1 src1=0 src2=0
	v_mul_i32_i24_e32 v184 /*v440*/, v184 /*v440*/, v48
	v_mul_i32_i24_e32 v185 /*v441*/, v185 /*v441*/, v47
	;; [unrolled: 1-line block ×5, first 2 shown]
	s_set_vgpr_msb 1                        ;  msbs: dst=0 src0=1 src1=0 src2=0
	v_mul_i32_i24_e32 v166, v120 /*v376*/, v166
	v_mul_i32_i24_e32 v60, v120 /*v376*/, v60
	s_set_vgpr_msb 0x41                     ;  msbs: dst=1 src0=1 src1=0 src2=0
	v_mul_i32_i24_e32 v120 /*v376*/, v128 /*v384*/, v61
	v_mul_i32_i24_e32 v136 /*v392*/, v136 /*v392*/, v63
	;; [unrolled: 1-line block ×3, first 2 shown]
	s_set_vgpr_msb 1                        ;  msbs: dst=0 src0=1 src1=0 src2=0
	v_mul_i32_i24_e32 v63, v119 /*v375*/, v63
	v_mul_i32_i24_e32 v61, v119 /*v375*/, v61
	s_set_vgpr_msb 0x41                     ;  msbs: dst=1 src0=1 src1=0 src2=0
	v_mul_i32_i24_e32 v119 /*v375*/, v143 /*v399*/, v48
	s_set_vgpr_msb 1                        ;  msbs: dst=0 src0=1 src1=0 src2=0
	v_mul_i32_i24_e32 v48, v130 /*v386*/, v48
	s_set_vgpr_msb 0x41                     ;  msbs: dst=1 src0=1 src1=0 src2=0
	v_mul_i32_i24_e32 v143 /*v399*/, v143 /*v399*/, v59
	s_set_vgpr_msb 1                        ;  msbs: dst=0 src0=1 src1=0 src2=0
	;; [unrolled: 4-line block ×4, first 2 shown]
	v_mul_i32_i24_e32 v58, v126 /*v382*/, v58
	v_add3_u32 v198, v174 /*v430*/, v198, v199
	v_mul_i32_i24_e32 v199, v144 /*v400*/, v39
	s_set_vgpr_msb 0x41                     ;  msbs: dst=1 src0=1 src1=0 src2=0
	v_mul_i32_i24_e32 v144 /*v400*/, v144 /*v400*/, v33
	s_wait_dscnt 0x0
	v_mul_i32_i24_e32 v110 /*v366*/, v110 /*v366*/, v218
	s_set_vgpr_msb 1                        ;  msbs: dst=0 src0=1 src1=0 src2=0
	v_add3_u32 v196, v170 /*v426*/, v196, v197
	s_set_vgpr_msb 0x41                     ;  msbs: dst=1 src0=1 src1=0 src2=0
	v_mul_i32_i24_e32 v170 /*v426*/, v109 /*v365*/, v52
	s_set_vgpr_msb 1                        ;  msbs: dst=0 src0=1 src1=0 src2=0
	v_add3_u32 v234, v176 /*v432*/, v235, v234
	s_set_vgpr_msb 0x41                     ;  msbs: dst=1 src0=1 src1=0 src2=0
	v_mul_i32_i24_e32 v176 /*v432*/, v105 /*v361*/, v55
	s_set_vgpr_msb 1                        ;  msbs: dst=0 src0=1 src1=0 src2=0
	v_add3_u32 v236, v175 /*v431*/, v236, v237
	v_mul_i32_i24_e32 v237, v111 /*v367*/, v46
	s_set_vgpr_msb 17                       ;  msbs: dst=0 src0=1 src1=0 src2=1
	v_add3_u32 v238, v172 /*v428*/, v238, v80 /*v336*/
	s_set_vgpr_msb 0x41                     ;  msbs: dst=1 src0=1 src1=0 src2=0
	v_mul_i32_i24_e32 v80 /*v336*/, v111 /*v367*/, v55
	s_set_vgpr_msb 17                       ;  msbs: dst=0 src0=1 src1=0 src2=1
	v_add3_u32 v127, v29 /*v285*/, v127, v108 /*v364*/
	s_set_vgpr_msb 0x41                     ;  msbs: dst=1 src0=1 src1=0 src2=0
	v_mul_i32_i24_e32 v29 /*v285*/, v115 /*v371*/, v46
	v_mul_i32_i24_e32 v108 /*v364*/, v115 /*v371*/, v55
	s_set_vgpr_msb 17                       ;  msbs: dst=0 src0=1 src1=0 src2=1
	v_add3_u32 v117, v32 /*v288*/, v117, v116 /*v372*/
	s_set_vgpr_msb 0x55                     ;  msbs: dst=1 src0=1 src1=1 src2=1
	v_add3_u32 v90 /*v346*/, v164 /*v420*/, v90 /*v346*/, v129 /*v385*/
	s_set_vgpr_msb 0x41                     ;  msbs: dst=1 src0=1 src1=0 src2=0
	v_mul_i32_i24_e32 v116 /*v372*/, v132 /*v388*/, v54
	v_mul_i32_i24_e32 v129 /*v385*/, v114 /*v370*/, v42
	s_set_vgpr_msb 0x55                     ;  msbs: dst=1 src0=1 src1=1 src2=1
	v_add3_u32 v93 /*v349*/, v160 /*v416*/, v104 /*v360*/, v93 /*v349*/
	s_set_vgpr_msb 0x41                     ;  msbs: dst=1 src0=1 src1=0 src2=0
	v_mul_i32_i24_e32 v104 /*v360*/, v114 /*v370*/, v28
	v_mul_i32_i24_e32 v160 /*v416*/, v111 /*v367*/, v25
	s_set_vgpr_msb 0x55                     ;  msbs: dst=1 src0=1 src1=1 src2=1
	v_add3_u32 v101 /*v357*/, v159 /*v415*/, v101 /*v357*/, v106 /*v362*/
	s_set_vgpr_msb 0x41                     ;  msbs: dst=1 src0=1 src1=0 src2=0
	v_mul_i32_i24_e32 v106 /*v362*/, v115 /*v371*/, v27
	s_set_vgpr_msb 1                        ;  msbs: dst=0 src0=1 src1=0 src2=0
	v_mul_i32_i24_e32 v54, v114 /*v370*/, v54
	s_set_vgpr_msb 0x41                     ;  msbs: dst=1 src0=1 src1=0 src2=0
	v_mul_i32_i24_e32 v213 /*v469*/, v105 /*v361*/, v31
	s_set_vgpr_msb 20                       ;  msbs: dst=0 src0=0 src1=1 src2=1
	v_add3_u32 v111, v111, v140 /*v396*/, v141 /*v397*/
	s_set_vgpr_msb 0x41                     ;  msbs: dst=1 src0=1 src1=0 src2=0
	v_mul_i32_i24_e32 v140 /*v396*/, v115 /*v371*/, v31
	v_mul_i32_i24_e32 v215 /*v471*/, v105 /*v361*/, v46
	s_set_vgpr_msb 0x55                     ;  msbs: dst=1 src0=1 src1=1 src2=1
	v_add3_u32 v98 /*v354*/, v155 /*v411*/, v98 /*v354*/, v103 /*v359*/
	s_set_vgpr_msb 0x41                     ;  msbs: dst=1 src0=1 src1=0 src2=0
	v_mul_i32_i24_e32 v103 /*v359*/, v105 /*v361*/, v27
	v_mul_i32_i24_e32 v217 /*v473*/, v111 /*v367*/, v31
	;; [unrolled: 1-line block ×4, first 2 shown]
	s_set_vgpr_msb 4                        ;  msbs: dst=0 src0=0 src1=1 src2=0
	v_add3_u32 v107, v107, v145 /*v401*/, v192
	s_set_vgpr_msb 0x41                     ;  msbs: dst=1 src0=1 src1=0 src2=0
	v_mul_i32_i24_e32 v145 /*v401*/, v114 /*v370*/, v45
	v_mul_i32_i24_e32 v225 /*v481*/, v114 /*v370*/, v26
	;; [unrolled: 1-line block ×3, first 2 shown]
	s_set_vgpr_msb 5                        ;  msbs: dst=0 src0=1 src1=1 src2=0
	v_add3_u32 v123, v33 /*v289*/, v147 /*v403*/, v123
	s_set_vgpr_msb 0x41                     ;  msbs: dst=1 src0=1 src1=0 src2=0
	v_mul_i32_i24_e32 v33 /*v289*/, v115 /*v371*/, v11
	v_mul_i32_i24_e32 v228 /*v484*/, v111 /*v367*/, v11
	s_set_vgpr_msb 1                        ;  msbs: dst=0 src0=1 src1=0 src2=0
	v_mul_i32_i24_e32 v11, v105 /*v361*/, v11
	s_set_vgpr_msb 0x41                     ;  msbs: dst=1 src0=1 src1=0 src2=0
	v_mul_i32_i24_e32 v229 /*v485*/, v105 /*v361*/, v25
	s_set_vgpr_msb 20                       ;  msbs: dst=0 src0=0 src1=1 src2=1
	v_add3_u32 v25, v79, v100 /*v356*/, v68 /*v324*/
	s_set_vgpr_msb 0x41                     ;  msbs: dst=1 src0=1 src1=0 src2=0
	v_mul_i32_i24_e32 v68 /*v324*/, v132 /*v388*/, v33
	v_mul_i32_i24_e32 v230 /*v486*/, v111 /*v367*/, v32
	;; [unrolled: 1-line block ×7, first 2 shown]
	s_set_vgpr_msb 1                        ;  msbs: dst=0 src0=1 src1=0 src2=0
	v_mul_i32_i24_e32 v218, v115 /*v371*/, v218
	s_set_vgpr_msb 0x41                     ;  msbs: dst=1 src0=1 src1=0 src2=0
	v_mul_i32_i24_e32 v115 /*v371*/, v115 /*v371*/, v32
	v_mul_i32_i24_e32 v233 /*v489*/, v107 /*v363*/, v23
	;; [unrolled: 1-line block ×3, first 2 shown]
	s_set_vgpr_msb 1                        ;  msbs: dst=0 src0=1 src1=0 src2=0
	v_add3_u32 v23, v20 /*v276*/, v172, v176
	s_set_vgpr_msb 21                       ;  msbs: dst=0 src0=1 src1=1 src2=1
	v_add3_u32 v172, v22 /*v278*/, v139 /*v395*/, v148 /*v404*/
	s_set_vgpr_msb 1                        ;  msbs: dst=0 src0=1 src1=0 src2=0
	v_add3_u32 v109, v167 /*v423*/, v109, v113
	s_set_vgpr_msb 0                        ;  msbs: dst=0 src0=0 src1=0 src2=0
	v_cvt_f32_i32_e32 v33, v220
	v_cvt_f32_i32_e32 v32, v187
	v_mad_i32_i24 v187, v230, v240, v231
	s_set_vgpr_msb 0x41                     ;  msbs: dst=1 src0=1 src1=0 src2=0
	v_mul_i32_i24_e32 v152 /*v408*/, v142 /*v398*/, v53
	v_mul_i32_i24_e32 v179 /*v435*/, v142 /*v398*/, v35
	s_set_vgpr_msb 1                        ;  msbs: dst=0 src0=1 src1=0 src2=0
	v_add3_u32 v126, v195 /*v451*/, v126, v195
	v_mul_i32_i24_e32 v195, v109 /*v365*/, v38
	s_set_vgpr_msb 17                       ;  msbs: dst=0 src0=1 src1=0 src2=1
	v_add3_u32 v233, v191 /*v447*/, v233, v112 /*v368*/
	s_set_vgpr_msb 0x41                     ;  msbs: dst=1 src0=1 src1=0 src2=0
	v_mul_i32_i24_e32 v191 /*v447*/, v109 /*v365*/, v15
	v_mul_i32_i24_e32 v175 /*v431*/, v107 /*v363*/, v57
	;; [unrolled: 1-line block ×4, first 2 shown]
	s_set_vgpr_msb 17                       ;  msbs: dst=0 src0=1 src1=0 src2=1
	v_add3_u32 v55, v24 /*v280*/, v131, v96 /*v352*/
	s_set_vgpr_msb 0x41                     ;  msbs: dst=1 src0=1 src1=0 src2=0
	v_mul_i32_i24_e32 v24 /*v280*/, v132 /*v388*/, v42
	v_mul_i32_i24_e32 v32 /*v288*/, v137 /*v393*/, v56
	;; [unrolled: 1-line block ×3, first 2 shown]
	s_set_vgpr_msb 5                        ;  msbs: dst=0 src0=1 src1=1 src2=0
	v_add3_u32 v183, v162 /*v418*/, v94 /*v350*/, v183
	s_set_vgpr_msb 0x41                     ;  msbs: dst=1 src0=1 src1=0 src2=0
	v_mul_i32_i24_e32 v94 /*v350*/, v124 /*v380*/, v38
	v_mul_i32_i24_e32 v162 /*v418*/, v132 /*v388*/, v26
	;; [unrolled: 1-line block ×5, first 2 shown]
	s_set_vgpr_msb 1                        ;  msbs: dst=0 src0=1 src1=0 src2=0
	v_add3_u32 v178, v157 /*v413*/, v178, v179
	s_set_vgpr_msb 0x41                     ;  msbs: dst=1 src0=1 src1=0 src2=0
	v_mul_i32_i24_e32 v157 /*v413*/, v132 /*v388*/, v28
	v_mul_i32_i24_e32 v218 /*v474*/, v107 /*v363*/, v38
	;; [unrolled: 1-line block ×3, first 2 shown]
	s_set_vgpr_msb 1                        ;  msbs: dst=0 src0=1 src1=0 src2=0
	v_add3_u32 v180, v135 /*v391*/, v180, v181
	s_set_vgpr_msb 0x41                     ;  msbs: dst=1 src0=1 src1=0 src2=0
	v_mul_i32_i24_e32 v135 /*v391*/, v132 /*v388*/, v45
	v_mul_i32_i24_e32 v132 /*v388*/, v132 /*v388*/, v39
	s_set_vgpr_msb 21                       ;  msbs: dst=0 src0=1 src1=1 src2=1
	v_add3_u32 v176, v23 /*v279*/, v171 /*v427*/, v205 /*v461*/
	s_set_vgpr_msb 0x41                     ;  msbs: dst=1 src0=1 src1=0 src2=0
	scratch_load_b32 v205 /*v461*/, off, off offset:72 ; 4-byte Folded Reload
	v_add3_u32 v20 /*v276*/, v25 /*v281*/, v49, v50
	s_set_vgpr_msb 1                        ;  msbs: dst=0 src0=1 src1=0 src2=0
	v_add3_u32 v62, v26 /*v282*/, v51, v62
	s_set_vgpr_msb 5                        ;  msbs: dst=0 src0=1 src1=1 src2=0
	v_add3_u32 v194, v27 /*v283*/, v207 /*v463*/, v194
	s_set_vgpr_msb 64                       ;  msbs: dst=1 src0=0 src1=0 src2=0
	scratch_load_b32 v207 /*v463*/, off, off offset:80 ; 4-byte Folded Reload
	s_set_vgpr_msb 5                        ;  msbs: dst=0 src0=1 src1=1 src2=0
	v_add3_u32 v145, v28 /*v284*/, v209 /*v465*/, v145
	s_set_vgpr_msb 0x55                     ;  msbs: dst=1 src0=1 src1=1 src2=1
	scratch_load_b32 v209 /*v465*/, off, off offset:88 ; 4-byte Folded Reload
	v_add3_u32 v22 /*v278*/, v30 /*v286*/, v184 /*v440*/, v185 /*v441*/
	s_clause 0x1
	scratch_load_b32 v185 /*v441*/, off, off offset:32
	scratch_load_b32 v184 /*v440*/, off, off offset:28
	s_set_vgpr_msb 0x41                     ;  msbs: dst=1 src0=1 src1=0 src2=0
	v_add3_u32 v25 /*v281*/, v196 /*v452*/, v48, v47
	s_set_vgpr_msb 0x55                     ;  msbs: dst=1 src0=1 src1=1 src2=1
	v_add3_u32 v27 /*v283*/, v200 /*v456*/, v120 /*v376*/, v211 /*v467*/
	s_clause 0x1
	scratch_load_b32 v211 /*v467*/, off, off offset:96
	scratch_load_b32 v200 /*v456*/, off, off offset:60
	s_set_vgpr_msb 1                        ;  msbs: dst=0 src0=1 src1=0 src2=0
	v_add3_u32 v58, v201 /*v457*/, v59, v58
	v_add3_u32 v59, v202 /*v458*/, v61, v60
	s_set_vgpr_msb 21                       ;  msbs: dst=0 src0=1 src1=1 src2=1
	v_add3_u32 v61, v208 /*v464*/, v128 /*v384*/, v133 /*v389*/
	s_set_vgpr_msb 1                        ;  msbs: dst=0 src0=1 src1=0 src2=0
	v_add3_u32 v63, v210 /*v466*/, v63, v166
	s_set_vgpr_msb 21                       ;  msbs: dst=0 src0=1 src1=1 src2=1
	v_add3_u32 v166, v168 /*v424*/, v81 /*v337*/, v83 /*v339*/
	s_set_vgpr_msb 0x55                     ;  msbs: dst=1 src0=1 src1=1 src2=1
	v_add3_u32 v30 /*v286*/, v181 /*v437*/, v65 /*v321*/, v67 /*v323*/
	scratch_load_b32 v181 /*v437*/, off, off offset:16 ; 4-byte Folded Reload
	v_add3_u32 v48 /*v304*/, v169 /*v425*/, v49 /*v305*/, v48 /*v304*/
	scratch_load_b64 v[168:169] /*v[424:425]*/, off, off th:TH_LOAD_LU ; 8-byte Folded Reload
	v_add3_u32 v40 /*v296*/, v182 /*v438*/, v43 /*v299*/, v40 /*v296*/
	scratch_load_b32 v182 /*v438*/, off, off offset:20 ; 4-byte Folded Reload
	v_add3_u32 v39 /*v295*/, v183 /*v439*/, v39 /*v295*/, v42 /*v298*/
	s_set_vgpr_msb 1                        ;  msbs: dst=0 src0=1 src1=0 src2=0
	v_cvt_f32_i32_e32 v39, v87 /*v343*/
	v_cvt_f32_i32_e32 v38, v89 /*v345*/
	s_set_vgpr_msb 0                        ;  msbs: dst=0 src0=0 src1=0 src2=0
	v_cvt_f32_i32_e32 v47, v125
	v_cvt_f32_i32_e32 v51, v121
	s_set_vgpr_msb 1                        ;  msbs: dst=0 src0=1 src1=0 src2=0
	v_cvt_f32_i32_e32 v52, v69 /*v325*/
	v_cvt_f32_i32_e32 v53, v86 /*v342*/
	s_set_vgpr_msb 20                       ;  msbs: dst=0 src0=0 src1=1 src2=1
	v_add3_u32 v121, v188, v154 /*v410*/, v158 /*v414*/
	v_add3_u32 v125, v202, v21 /*v277*/, v121 /*v377*/
	s_set_vgpr_msb 0                        ;  msbs: dst=0 src0=0 src1=0 src2=0
	v_add3_u32 v117, v117, v247, v250
	s_set_vgpr_msb 16                       ;  msbs: dst=0 src0=0 src1=0 src2=1
	v_add3_u32 v141, v141, v242, v161 /*v417*/
	s_set_vgpr_msb 1                        ;  msbs: dst=0 src0=1 src1=0 src2=0
	v_add3_u32 v188, v90 /*v346*/, v222, v226
	s_set_vgpr_msb 0                        ;  msbs: dst=0 src0=0 src1=0 src2=0
	v_add3_u32 v66, v172, v66, v214
	v_add3_u32 v147, v23, v147, v217
	;; [unrolled: 1-line block ×4, first 2 shown]
	s_set_vgpr_msb 16                       ;  msbs: dst=0 src0=0 src1=0 src2=1
	v_add3_u32 v104, v109, v104, v170 /*v426*/
	s_set_vgpr_msb 64                       ;  msbs: dst=1 src0=0 src1=0 src2=0
	scratch_load_b64 v[170:171] /*v[426:427]*/, off, off offset:8 th:TH_LOAD_LU ; 8-byte Folded Reload
	s_set_vgpr_msb 0                        ;  msbs: dst=0 src0=0 src1=0 src2=0
	v_pk_mul_f32 v[32:33], v[22:23], v[32:33] op_sel_hi:[0,1]
	v_cvt_f32_i32_e32 v23, v187
	s_set_vgpr_msb 0x41                     ;  msbs: dst=1 src0=1 src1=0 src2=0
	v_mul_i32_i24_e32 v195 /*v451*/, v109 /*v365*/, v30
	v_mul_i32_i24_e32 v155 /*v411*/, v124 /*v380*/, v30
	s_set_vgpr_msb 1                        ;  msbs: dst=0 src0=1 src1=0 src2=0
	v_mul_i32_i24_e32 v179, v84 /*v340*/, v30
	s_set_vgpr_msb 0x41                     ;  msbs: dst=1 src0=1 src1=0 src2=0
	v_mul_i32_i24_e32 v219 /*v475*/, v107 /*v363*/, v30
	s_clause 0x1
	scratch_load_b32 v201 /*v457*/, off, off offset:64
	scratch_load_b32 v183 /*v439*/, off, off offset:24
	s_set_vgpr_msb 21                       ;  msbs: dst=0 src0=1 src1=1 src2=1
	v_add3_u32 v60, v204 /*v460*/, v136 /*v392*/, v156 /*v412*/
	s_set_vgpr_msb 0x55                     ;  msbs: dst=1 src0=1 src1=1 src2=1
	s_clause 0x2
	scratch_load_b32 v204 /*v460*/, off, off offset:68
	scratch_load_b32 v208 /*v464*/, off, off offset:84
	;; [unrolled: 1-line block ×3, first 2 shown]
	v_add3_u32 v46 /*v302*/, v188 /*v444*/, v47 /*v303*/, v46 /*v302*/
	scratch_load_b32 v188 /*v444*/, off, off offset:44 ; 4-byte Folded Reload
	v_add3_u32 v41 /*v297*/, v190 /*v446*/, v41 /*v297*/, v59 /*v315*/
	scratch_load_b32 v190 /*v446*/, off, off offset:52 ; 4-byte Folded Reload
	s_set_vgpr_msb 0                        ;  msbs: dst=0 src0=0 src1=0 src2=0
	v_cvt_f32_i32_e32 v30, v203
	s_set_vgpr_msb 5                        ;  msbs: dst=0 src0=1 src1=1 src2=0
	v_mad_i32_i24 v203, v63 /*v319*/, v186 /*v442*/, v239
	s_set_vgpr_msb 0                        ;  msbs: dst=0 src0=0 src1=0 src2=0
	v_cvt_f32_i32_e32 v48, v119
	v_add3_u32 v119, v238, v186, v185
	s_set_vgpr_msb 1                        ;  msbs: dst=0 src0=1 src1=0 src2=0
	v_add3_u32 v185, v189 /*v445*/, v245, v246
	s_set_vgpr_msb 0                        ;  msbs: dst=0 src0=0 src1=0 src2=0
	v_add3_u32 v61, v61, v135, v78
	s_set_vgpr_msb 4                        ;  msbs: dst=0 src0=0 src1=1 src2=0
	v_add3_u32 v63, v63, v60 /*v316*/, v132
	s_set_vgpr_msb 17                       ;  msbs: dst=0 src0=1 src1=0 src2=1
	v_add3_u32 v120, v40 /*v296*/, v120, v191 /*v447*/
	s_set_vgpr_msb 64                       ;  msbs: dst=1 src0=0 src1=0 src2=0
	s_clause 0x2
	scratch_load_b32 v191 /*v447*/, off, off offset:56
	scratch_load_b32 v189 /*v445*/, off, off offset:48
	;; [unrolled: 1-line block ×3, first 2 shown]
	s_set_vgpr_msb 21                       ;  msbs: dst=0 src0=1 src1=1 src2=1
	v_add3_u32 v132, v39 /*v295*/, v36 /*v292*/, v206 /*v462*/
	s_set_vgpr_msb 0                        ;  msbs: dst=0 src0=0 src1=0 src2=0
	v_pk_mul_f32 v[38:39], v[22:23], v[38:39] op_sel_hi:[0,1]
	v_pk_mul_f32 v[52:53], v[22:23], v[52:53] op_sel_hi:[0,1]
	s_set_vgpr_msb 20                       ;  msbs: dst=0 src0=0 src1=1 src2=1
	v_add3_u32 v22, v125, v32 /*v288*/, v175 /*v431*/
	v_add3_u32 v125, v141, v159 /*v415*/, v212 /*v468*/
	s_set_vgpr_msb 64                       ;  msbs: dst=1 src0=0 src1=0 src2=0
	scratch_load_b32 v212 /*v468*/, off, off offset:100 ; 4-byte Folded Reload
	s_set_vgpr_msb 16                       ;  msbs: dst=0 src0=0 src1=0 src2=1
	v_add3_u32 v54, v117, v54, v108 /*v364*/
	v_add3_u32 v117, v188, v146, v213 /*v469*/
	s_set_vgpr_msb 64                       ;  msbs: dst=1 src0=0 src1=0 src2=0
	scratch_load_b32 v213 /*v469*/, off, off offset:104 ; 4-byte Folded Reload
	s_set_vgpr_msb 20                       ;  msbs: dst=0 src0=0 src1=1 src2=1
	v_add3_u32 v135, v172, v179 /*v435*/, v214 /*v470*/
	s_set_vgpr_msb 64                       ;  msbs: dst=1 src0=0 src1=0 src2=0
	s_clause 0x1
	scratch_load_b32 v214 /*v470*/, off, off offset:108
	scratch_load_b32 v206 /*v462*/, off, off offset:76
	s_set_vgpr_msb 20                       ;  msbs: dst=0 src0=0 src1=1 src2=1
	v_add3_u32 v65, v65, v187 /*v443*/, v215 /*v471*/
	s_set_vgpr_msb 64                       ;  msbs: dst=1 src0=0 src1=0 src2=0
	s_clause 0x1
	scratch_load_b32 v215 /*v471*/, off, off offset:112
	scratch_load_b32 v187 /*v443*/, off, off offset:40
	s_set_vgpr_msb 1                        ;  msbs: dst=0 src0=1 src1=0 src2=0
	v_mul_i32_i24_e32 v174, v142 /*v398*/, v56
	s_set_vgpr_msb 0x55                     ;  msbs: dst=1 src0=1 src1=1 src2=1
	v_add3_u32 v173 /*v429*/, v173 /*v429*/, v252 /*v508*/, v247 /*v503*/
	s_set_vgpr_msb 1                        ;  msbs: dst=0 src0=1 src1=0 src2=0
	v_mul_i32_i24_e32 v190, v142 /*v398*/, v41
	s_set_vgpr_msb 0x41                     ;  msbs: dst=1 src0=1 src1=0 src2=0
	v_mul_i32_i24_e32 v203 /*v459*/, v142 /*v398*/, v37
	s_set_vgpr_msb 1                        ;  msbs: dst=0 src0=1 src1=0 src2=0
	v_mul_i32_i24_e32 v115, v142 /*v398*/, v43
	s_set_vgpr_msb 0x41                     ;  msbs: dst=1 src0=1 src1=0 src2=0
	v_mul_i32_i24_e32 v126 /*v382*/, v142 /*v398*/, v40
	v_mul_i32_i24_e32 v142 /*v398*/, v142 /*v398*/, v29
	;; [unrolled: 1-line block ×3, first 2 shown]
	s_set_vgpr_msb 1                        ;  msbs: dst=0 src0=1 src1=0 src2=0
	v_mul_i32_i24_e32 v131, v125 /*v381*/, v41
	v_mul_i32_i24_e32 v56, v125 /*v381*/, v56
	s_set_vgpr_msb 0x41                     ;  msbs: dst=1 src0=1 src1=0 src2=0
	v_mul_i32_i24_e32 v164 /*v420*/, v137 /*v393*/, v37
	s_set_vgpr_msb 0x55                     ;  msbs: dst=1 src0=1 src1=1 src2=1
	v_add3_u32 v92 /*v348*/, v163 /*v419*/, v92 /*v348*/, v134 /*v390*/
	s_set_vgpr_msb 0x41                     ;  msbs: dst=1 src0=1 src1=0 src2=0
	v_mul_i32_i24_e32 v134 /*v390*/, v125 /*v381*/, v35
	v_mul_i32_i24_e32 v163 /*v419*/, v107 /*v363*/, v36
	;; [unrolled: 1-line block ×4, first 2 shown]
	s_set_vgpr_msb 1                        ;  msbs: dst=0 src0=1 src1=0 src2=0
	v_mul_i32_i24_e32 v181, v137 /*v393*/, v43
	s_set_vgpr_msb 0x41                     ;  msbs: dst=1 src0=1 src1=0 src2=0
	v_mul_i32_i24_e32 v224 /*v480*/, v125 /*v381*/, v37
	v_mul_i32_i24_e32 v226 /*v482*/, v125 /*v381*/, v43
	s_set_vgpr_msb 0x55                     ;  msbs: dst=1 src0=1 src1=1 src2=1
	v_add3_u32 v97 /*v353*/, v118 /*v374*/, v97 /*v353*/, v146 /*v402*/
	s_set_vgpr_msb 0x41                     ;  msbs: dst=1 src0=1 src1=0 src2=0
	v_mul_i32_i24_e32 v146 /*v402*/, v124 /*v380*/, v36
	v_mul_i32_i24_e32 v147 /*v403*/, v84 /*v340*/, v36
	s_set_vgpr_msb 1                        ;  msbs: dst=0 src0=1 src1=0 src2=0
	v_mul_i32_i24_e32 v79, v137 /*v393*/, v29
	s_set_vgpr_msb 0x41                     ;  msbs: dst=1 src0=1 src1=0 src2=0
	v_mul_i32_i24_e32 v100 /*v356*/, v137 /*v393*/, v40
	v_mul_i32_i24_e32 v137 /*v393*/, v125 /*v381*/, v40
	;; [unrolled: 1-line block ×3, first 2 shown]
	s_set_vgpr_msb 0                        ;  msbs: dst=0 src0=0 src1=0 src2=0
	v_cvt_f32_i32_e32 v29, v191
	s_set_vgpr_msb 1                        ;  msbs: dst=0 src0=1 src1=0 src2=0
	v_cvt_f32_i32_e32 v28, v199 /*v455*/
	v_cvt_f32_i32_e32 v37, v91 /*v347*/
	;; [unrolled: 1-line block ×4, first 2 shown]
	s_set_vgpr_msb 0                        ;  msbs: dst=0 src0=0 src1=0 src2=0
	v_add3_u32 v83, v108, v140, v83
	s_set_vgpr_msb 0x41                     ;  msbs: dst=1 src0=1 src1=0 src2=0
	v_mul_i32_i24_e32 v174 /*v430*/, v109 /*v365*/, v34
	s_set_vgpr_msb 1                        ;  msbs: dst=0 src0=1 src1=0 src2=0
	v_mul_i32_i24_e32 v197, v109 /*v365*/, v57
	s_set_vgpr_msb 0x41                     ;  msbs: dst=1 src0=1 src1=0 src2=0
	v_mul_i32_i24_e32 v109 /*v365*/, v109 /*v365*/, v219
	s_set_vgpr_msb 0x55                     ;  msbs: dst=1 src0=1 src1=1 src2=1
	v_add3_u32 v23 /*v279*/, v31 /*v287*/, v119 /*v375*/, v130 /*v386*/
	v_add3_u32 v26 /*v282*/, v197 /*v453*/, v143 /*v399*/, v131 /*v387*/
	s_set_vgpr_msb 5                        ;  msbs: dst=0 src0=1 src1=1 src2=0
	v_add3_u32 v105, v166 /*v422*/, v56 /*v312*/, v105
	s_set_vgpr_msb 0x55                     ;  msbs: dst=1 src0=1 src1=1 src2=1
	v_add3_u32 v28 /*v284*/, v178 /*v434*/, v53 /*v309*/, v52 /*v308*/
	v_add3_u32 v31 /*v287*/, v173 /*v429*/, v51 /*v307*/, v50 /*v306*/
	s_set_vgpr_msb 5                        ;  msbs: dst=0 src0=1 src1=1 src2=0
	v_add3_u32 v170, v193 /*v449*/, v55 /*v311*/, v170
	v_cvt_f32_i32_e32 v49, v138 /*v394*/
	s_set_vgpr_msb 0                        ;  msbs: dst=0 src0=0 src1=0 src2=0
	v_add3_u32 v108, v234, v227, v228
	s_set_vgpr_msb 16                       ;  msbs: dst=0 src0=0 src1=0 src2=1
	v_add3_u32 v80, v55, v80, v122 /*v378*/
	v_add3_u32 v64, v64, v251, v127 /*v383*/
	s_set_vgpr_msb 0                        ;  msbs: dst=0 src0=0 src1=0 src2=0
	v_add3_u32 v127, v127, v254, v255
	v_add3_u32 v143, v233, v143, v221
	s_set_vgpr_msb 1                        ;  msbs: dst=0 src0=1 src1=0 src2=0
	v_add3_u32 v67, v97 /*v353*/, v210, v67
	s_set_vgpr_msb 0                        ;  msbs: dst=0 src0=0 src1=0 src2=0
	v_add3_u32 v196, v212, v244, v209
	v_add3_u32 v126, v126, v248, v137
	s_set_vgpr_msb 16                       ;  msbs: dst=0 src0=0 src1=0 src2=1
	v_add3_u32 v129, v25, v129, v18 /*v274*/
	s_set_vgpr_msb 20                       ;  msbs: dst=0 src0=0 src1=1 src2=1
	v_add3_u32 v137, v236, v17 /*v273*/, v16 /*v272*/
	s_set_vgpr_msb 0                        ;  msbs: dst=0 src0=0 src1=0 src2=0
	v_pk_mul_f32 v[28:29], v[18:19], v[28:29] op_sel_hi:[0,1]
	v_pk_mul_f32 v[36:37], v[18:19], v[36:37] op_sel_hi:[0,1]
	v_pk_mul_f32 v[46:47], v[18:19], v[46:47]
	v_cvt_f32_i32_e32 v19, v83
	v_mov_b32_e32 v13, v18
	s_set_vgpr_msb 1                        ;  msbs: dst=0 src0=1 src1=0 src2=0
	v_mul_i32_i24_e32 v192, v107 /*v363*/, v15
	s_set_vgpr_msb 0x41                     ;  msbs: dst=1 src0=1 src1=0 src2=0
	v_mul_i32_i24_e32 v118 /*v374*/, v124 /*v380*/, v15
	s_set_vgpr_msb 1                        ;  msbs: dst=0 src0=1 src1=0 src2=0
	v_mul_i32_i24_e32 v15, v84 /*v340*/, v15
	s_set_vgpr_msb 0                        ;  msbs: dst=0 src0=0 src1=0 src2=0
	v_add3_u32 v111, v111, v206, v223
	v_add3_u32 v81, v123, v241, v205
	s_set_vgpr_msb 1                        ;  msbs: dst=0 src0=1 src1=0 src2=0
	v_add3_u32 v123, v92 /*v348*/, v193, v139
	s_set_vgpr_msb 20                       ;  msbs: dst=0 src0=0 src1=1 src2=1
	v_add3_u32 v139, v180, v14 /*v270*/, v15 /*v271*/
	v_add3_u32 v107, v107, v10 /*v266*/, v9 /*v265*/
	s_set_vgpr_msb 21                       ;  msbs: dst=0 src0=1 src1=1 src2=1
	v_add3_u32 v180, v93 /*v349*/, v8 /*v264*/, v7 /*v263*/
	s_set_vgpr_msb 1                        ;  msbs: dst=0 src0=1 src1=0 src2=0
	v_add3_u32 v106, v26 /*v282*/, v106, v110
	s_set_vgpr_msb 0                        ;  msbs: dst=0 src0=0 src1=0 src2=0
	v_add3_u32 v58, v58, v133, v134
	s_set_vgpr_msb 21                       ;  msbs: dst=0 src0=1 src1=1 src2=1
	v_add3_u32 v110, v28 /*v284*/, v113 /*v369*/, v174 /*v430*/
	s_set_vgpr_msb 0                        ;  msbs: dst=0 src0=0 src1=0 src2=0
	v_add3_u32 v82, v105, v82, v197
	s_set_vgpr_msb 1                        ;  msbs: dst=0 src0=1 src1=0 src2=0
	v_add3_u32 v114, v48 /*v304*/, v114, v195
	s_set_vgpr_msb 17                       ;  msbs: dst=0 src0=1 src1=0 src2=1
	v_add3_u32 v112, v31 /*v287*/, v112, v195 /*v451*/
	v_add3_u32 v116, v46 /*v302*/, v116, v112 /*v368*/
	s_set_vgpr_msb 20                       ;  msbs: dst=0 src0=0 src1=1 src2=1
	v_add3_u32 v133, v170, v19 /*v275*/, v109 /*v365*/
	s_set_vgpr_msb 16                       ;  msbs: dst=0 src0=0 src1=0 src2=1
	v_pk_mul_f32 v[48:49], v[18:19], v[48:49] op_sel_hi:[0,1]
	v_add3_u32 v18, v127, v182, v176 /*v432*/
	s_set_vgpr_msb 20                       ;  msbs: dst=0 src0=0 src1=1 src2=1
	v_add3_u32 v64, v64, v96 /*v352*/, v172 /*v428*/
	v_add3_u32 v80, v80, v116 /*v372*/, v80 /*v336*/
	;; [unrolled: 1-line block ×5, first 2 shown]
	s_set_vgpr_msb 0                        ;  msbs: dst=0 src0=0 src1=0 src2=0
	v_add3_u32 v108, v108, v190, v179
	s_set_vgpr_msb 16                       ;  msbs: dst=0 src0=0 src1=0 src2=1
	v_add3_u32 v119, v119, v131, v155 /*v411*/
	s_set_vgpr_msb 20                       ;  msbs: dst=0 src0=0 src1=1 src2=1
	v_add3_u32 v131, v137, v216 /*v472*/, v219 /*v475*/
	v_add3_u32 v129, v129, v157 /*v413*/, v220 /*v476*/
	v_mad_i32_i24 v191, v230, v123 /*v379*/, v61 /*v317*/
	s_set_vgpr_msb 0                        ;  msbs: dst=0 src0=0 src1=0 src2=0
	v_add3_u32 v111, v111, v181, v192
	v_add3_u32 v15, v180, v115, v15
	s_set_vgpr_msb 20                       ;  msbs: dst=0 src0=0 src1=1 src2=1
	v_add3_u32 v107, v107, v203 /*v459*/, v147 /*v403*/
	s_set_vgpr_msb 0                        ;  msbs: dst=0 src0=0 src1=0 src2=0
	v_mul_lo_u32 v110, v110, v168
	v_mul_lo_u32 v104, v104, v168
	;; [unrolled: 1-line block ×18, first 2 shown]
	s_set_vgpr_msb 1                        ;  msbs: dst=0 src0=1 src1=0 src2=0
	v_mul_i32_i24_e32 v235, v84 /*v340*/, v57
	v_mul_i32_i24_e32 v57, v124 /*v380*/, v57
	;; [unrolled: 1-line block ×3, first 2 shown]
	s_set_vgpr_msb 0x41                     ;  msbs: dst=1 src0=1 src1=0 src2=0
	v_mul_i32_i24_e32 v84 /*v340*/, v84 /*v340*/, v34
	v_mul_i32_i24_e32 v107 /*v363*/, v107 /*v363*/, v34
	;; [unrolled: 1-line block ×3, first 2 shown]
	s_set_vgpr_msb 21                       ;  msbs: dst=0 src0=1 src1=1 src2=1
	v_add3_u32 v113, v177 /*v433*/, v95 /*v351*/, v76 /*v332*/
	s_set_vgpr_msb 0x55                     ;  msbs: dst=1 src0=1 src1=1 src2=1
	v_add3_u32 v45 /*v301*/, v192 /*v448*/, v82 /*v338*/, v45 /*v301*/
	v_add3_u32 v44 /*v300*/, v180 /*v436*/, v62 /*v318*/, v44 /*v300*/
	s_set_vgpr_msb 5                        ;  msbs: dst=0 src0=1 src1=1 src2=0
	v_add3_u32 v169, v194 /*v450*/, v66 /*v322*/, v169
	v_cvt_f32_i32_e32 v27, v198 /*v454*/
	v_cvt_f32_i32_e32 v26, v117 /*v373*/
	s_set_vgpr_msb 0                        ;  msbs: dst=0 src0=0 src1=0 src2=0
	v_cvt_f32_i32_e32 v31, v204
	s_set_vgpr_msb 1                        ;  msbs: dst=0 src0=1 src1=0 src2=0
	v_cvt_f32_i32_e32 v35, v78 /*v334*/
	s_set_vgpr_msb 0                        ;  msbs: dst=0 src0=0 src1=0 src2=0
	v_cvt_f32_i32_e32 v34, v232
	s_set_vgpr_msb 1                        ;  msbs: dst=0 src0=1 src1=0 src2=0
	v_cvt_f32_i32_e32 v41, v73 /*v329*/
	v_cvt_f32_i32_e32 v40, v88 /*v344*/
	;; [unrolled: 1-line block ×6, first 2 shown]
	s_set_vgpr_msb 16                       ;  msbs: dst=0 src0=0 src1=0 src2=1
	v_cvt_f32_i32_e32 v50, v216
	v_add3_u32 v140, v198, v249, v165 /*v421*/
	s_set_vgpr_msb 1                        ;  msbs: dst=0 src0=1 src1=0 src2=0
	v_add3_u32 v186, v153 /*v409*/, v252, v253
	s_set_vgpr_msb 0                        ;  msbs: dst=0 src0=0 src1=0 src2=0
	v_cvt_f32_i32_e32 v25, v191
	s_set_vgpr_msb 17                       ;  msbs: dst=0 src0=1 src1=0 src2=1
	v_add3_u32 v90, v20 /*v276*/, v90, v13 /*v269*/
	s_set_vgpr_msb 16                       ;  msbs: dst=0 src0=0 src1=0 src2=1
	v_add3_u32 v189, v194, v189, v2 /*v258*/
	s_set_vgpr_msb 1                        ;  msbs: dst=0 src0=1 src1=0 src2=0
	v_add3_u32 v173, v22 /*v278*/, v175, v173
	s_set_vgpr_msb 0                        ;  msbs: dst=0 src0=0 src1=0 src2=0
	v_mul_lo_u32 v54, v54, v142
	v_mul_lo_u32 v119, v119, v167
	;; [unrolled: 1-line block ×5, first 2 shown]
	v_mov_b32_e32 v17, v5
	v_add3_u32 v183, v183, v229, v224
	s_set_vgpr_msb 1                        ;  msbs: dst=0 src0=1 src1=0 src2=0
	v_add3_u32 v198, v98 /*v354*/, v225, v208
	s_set_vgpr_msb 21                       ;  msbs: dst=0 src0=1 src1=1 src2=1
	v_add3_u32 v193, v101 /*v357*/, v6 /*v262*/, v5 /*v261*/
	s_set_vgpr_msb 20                       ;  msbs: dst=0 src0=0 src1=1 src2=1
	v_add3_u32 v176, v176, v3 /*v259*/, v4 /*v260*/
	s_set_vgpr_msb 0                        ;  msbs: dst=0 src0=0 src1=0 src2=0
	v_add3_u32 v60, v60, v124, v128
	v_add3_u32 v118, v145, v118, v122
	s_set_vgpr_msb 5                        ;  msbs: dst=0 src0=1 src1=1 src2=0
	v_add3_u32 v122, v30 /*v286*/, v64 /*v320*/, v184
	s_set_vgpr_msb 21                       ;  msbs: dst=0 src0=1 src1=1 src2=1
	v_add3_u32 v105, v44 /*v300*/, v35 /*v291*/, v149 /*v405*/
	v_add3_u32 v109, v45 /*v301*/, v34 /*v290*/, v150 /*v406*/
	s_set_vgpr_msb 20                       ;  msbs: dst=0 src0=0 src1=1 src2=1
	v_add3_u32 v124, v166, v58 /*v314*/, v71 /*v327*/
	v_add3_u32 v113, v113, v54 /*v310*/, v151 /*v407*/
	s_set_vgpr_msb 5                        ;  msbs: dst=0 src0=1 src1=1 src2=0
	v_add3_u32 v128, v41 /*v297*/, v37 /*v293*/, v215
	s_set_vgpr_msb 20                       ;  msbs: dst=0 src0=0 src1=1 src2=1
	v_add3_u32 v134, v169, v38 /*v294*/, v110 /*v366*/
	s_set_vgpr_msb 0                        ;  msbs: dst=0 src0=0 src1=0 src2=0
	v_pk_mul_f32 v[26:27], v[4:5], v[26:27]
	v_pk_mul_f32 v[30:31], v[4:5], v[30:31] op_sel_hi:[0,1]
	v_pk_mul_f32 v[34:35], v[4:5], v[34:35] op_sel_hi:[0,1]
	;; [unrolled: 1-line block ×6, first 2 shown]
	v_add3_u32 v5, v186, v174, v235
	s_set_vgpr_msb 4                        ;  msbs: dst=0 src0=0 src1=1 src2=0
	v_add3_u32 v24, v121, v24 /*v280*/, v237
	s_set_vgpr_msb 20                       ;  msbs: dst=0 src0=0 src1=1 src2=1
	v_add3_u32 v121, v147, v104 /*v360*/, v106 /*v362*/
	v_add3_u32 v66, v66, v162 /*v418*/, v160 /*v416*/
	s_set_vgpr_msb 0                        ;  msbs: dst=0 src0=0 src1=0 src2=0
	v_add3_u32 v56, v185, v56, v57
	s_set_vgpr_msb 20                       ;  msbs: dst=0 src0=0 src1=1 src2=1
	v_add3_u32 v57, v140, v129 /*v385*/, v29 /*v285*/
	s_set_vgpr_msb 16                       ;  msbs: dst=0 src0=0 src1=0 src2=1
	v_add3_u32 v81, v81, v213, v103 /*v359*/
	s_set_vgpr_msb 20                       ;  msbs: dst=0 src0=0 src1=1 src2=1
	v_add3_u32 v126, v126, v222 /*v478*/, v218 /*v474*/
	v_add3_u32 v123, v123, v221 /*v477*/, v217 /*v473*/
	s_set_vgpr_msb 4                        ;  msbs: dst=0 src0=0 src1=1 src2=0
	v_add3_u32 v63, v63, v231 /*v487*/, v218
	s_set_vgpr_msb 20                       ;  msbs: dst=0 src0=0 src1=1 src2=1
	v_add3_u32 v58, v58, v137 /*v393*/, v124 /*v380*/
	s_set_vgpr_msb 1                        ;  msbs: dst=0 src0=1 src1=0 src2=0
	v_add3_u32 v138, v23 /*v279*/, v138, v144
	s_set_vgpr_msb 20                       ;  msbs: dst=0 src0=0 src1=1 src2=1
	v_add3_u32 v90, v90, v224 /*v480*/, v146 /*v402*/
	v_add3_u32 v139, v139, v145 /*v401*/, v33 /*v289*/
	s_set_vgpr_msb 4                        ;  msbs: dst=0 src0=0 src1=1 src2=0
	v_add3_u32 v141, v173, v142 /*v398*/, v219
	s_set_vgpr_msb 20                       ;  msbs: dst=0 src0=0 src1=1 src2=1
	v_add3_u32 v143, v189, v126 /*v382*/, v84 /*v340*/
	v_add3_u32 v61, v61, v132 /*v388*/, v111 /*v367*/
	;; [unrolled: 1-line block ×3, first 2 shown]
	s_set_vgpr_msb 1                        ;  msbs: dst=0 src0=1 src1=0 src2=0
	v_add3_u32 v130, v27 /*v283*/, v130, v136
	s_set_vgpr_msb 20                       ;  msbs: dst=0 src0=0 src1=1 src2=1
	v_add3_u32 v136, v183, v223 /*v479*/, v140 /*v396*/
	v_add3_u32 v115, v198, v135 /*v391*/, v228 /*v484*/
	s_set_vgpr_msb 16                       ;  msbs: dst=0 src0=0 src1=0 src2=1
	v_add3_u32 v140, v176, v200, v229 /*v485*/
	s_set_vgpr_msb 0                        ;  msbs: dst=0 src0=0 src1=0 src2=0
	v_add3_u32 v11, v193, v201, v11
	v_mul_lo_u32 v5, v5, v165
	v_mul_lo_u32 v58, v58, v167
	;; [unrolled: 1-line block ×3, first 2 shown]
	v_mad_u32 v110, v122, v91, v110
	v_mad_u32 v82, v113, v91, v82
	;; [unrolled: 1-line block ×18, first 2 shown]
	s_set_vgpr_msb 21                       ;  msbs: dst=0 src0=1 src1=1 src2=1
	v_add3_u32 v78, v25 /*v281*/, v57 /*v313*/, v72 /*v328*/
	s_set_vgpr_msb 20                       ;  msbs: dst=0 src0=0 src1=1 src2=1
	v_add3_u32 v59, v59, v99 /*v355*/, v77 /*v333*/
	s_set_vgpr_msb 16                       ;  msbs: dst=0 src0=0 src1=0 src2=1
	v_add3_u32 v79, v138, v79, v233 /*v489*/
	v_mul_lo_u32 v138, v139, v142
	v_mul_lo_u32 v90, v90, v167
	;; [unrolled: 1-line block ×6, first 2 shown]
	s_set_vgpr_msb 20                       ;  msbs: dst=0 src0=0 src1=1 src2=1
	v_add3_u32 v62, v62, v1 /*v257*/, v12 /*v268*/
	v_add3_u32 v178, v178, v11 /*v267*/, v0 /*v256*/
	s_set_vgpr_msb 0                        ;  msbs: dst=0 src0=0 src1=0 src2=0
	v_mad_u32 v54, v56, v167, v54
	v_mad_u32 v117, v136, v142, v119
	;; [unrolled: 1-line block ×5, first 2 shown]
	s_set_vgpr_msb 20                       ;  msbs: dst=0 src0=0 src1=1 src2=1
	v_add3_u32 v59, v59, v114 /*v370*/, v115 /*v371*/
	v_add3_u32 v78, v78, v125 /*v381*/, v234 /*v490*/
	;; [unrolled: 1-line block ×6, first 2 shown]
	s_set_vgpr_msb 16                       ;  msbs: dst=0 src0=0 src1=0 src2=1
	v_add3_u32 v60, v60, v199, v232 /*v488*/
	s_set_vgpr_msb 0                        ;  msbs: dst=0 src0=0 src1=0 src2=0
	v_mad_u32 v5, v18, v177, v5
	v_mad_u32 v121, v78, v167, v63
	v_mad_u32 v122, v59, v142, v58
	v_cvt_f32_i32_e32 v59, v104
	v_cvt_f32_i32_e32 v58, v82
	;; [unrolled: 1-line block ×13, first 2 shown]
	v_mad_u32 v90, v62, v142, v90
	v_mad_u32 v119, v137, v167, v138
	;; [unrolled: 1-line block ×6, first 2 shown]
	v_cvt_f32_i32_e32 v55, v203
	v_cvt_f32_i32_e32 v79, v54
	;; [unrolled: 1-line block ×4, first 2 shown]
	v_pk_fma_f32 v[40:41], v[14:15], v[58:59], v[40:41] op_sel_hi:[0,1,1] neg_lo:[0,0,1] neg_hi:[0,0,1]
	v_pk_mul_f32 v[18:19], v[20:21], v[18:19]
	v_pk_fma_f32 v[20:21], v[160:161], v[66:67], v[26:27] neg_lo:[0,0,1] neg_hi:[0,0,1]
	v_pk_fma_f32 v[26:27], v[162:163], v[80:81], v[28:29] op_sel_hi:[0,1,1] neg_lo:[0,0,1] neg_hi:[0,0,1]
	v_pk_fma_f32 v[28:29], v[160:161], v[64:65], v[30:31] op_sel_hi:[0,1,1] neg_lo:[0,0,1] neg_hi:[0,0,1]
	v_pk_mul_f32 v[12:13], v[12:13], v[22:23]
	v_pk_fma_f32 v[22:23], v[160:161], v[82:83], v[34:35] op_sel_hi:[0,1,1] neg_lo:[0,0,1] neg_hi:[0,0,1]
	v_mov_b32_e32 v161, v4
	v_pk_mul_f32 v[16:17], v[16:17], v[24:25]
	v_pk_fma_f32 v[102:103], v[0:1], v[40:41], v[102:103]
	v_cvt_f32_i32_e32 v57, v110
	v_cvt_f32_i32_e32 v61, v105
	v_pk_mul_f32 v[0:1], v[160:161], v[54:55]
	v_cvt_f32_i32_e32 v60, v109
	v_cvt_f32_i32_e32 v63, v113
	;; [unrolled: 1-line block ×14, first 2 shown]
	v_dual_sub_f32 v18, v18, v19 :: v_dual_sub_f32 v12, v12, v13
	v_pk_fma_f32 v[92:93], v[6:7], v[22:23], v[92:93]
	v_sub_f32_e32 v6, v16, v17
	s_delay_alu instid0(VALU_DEP_3)
	v_dual_sub_f32 v13, v0, v1 :: v_dual_mul_f32 v0, v158, v18
	v_pk_fma_f32 v[42:43], v[14:15], v[60:61], v[42:43] op_sel_hi:[0,1,1] neg_lo:[0,0,1] neg_hi:[0,0,1]
	v_pk_fma_f32 v[14:15], v[14:15], v[62:63], v[44:45] op_sel_hi:[0,1,1] neg_lo:[0,0,1] neg_hi:[0,0,1]
	v_pk_fma_f32 v[30:31], v[10:11], v[78:79], v[32:33] op_sel_hi:[0,1,1] neg_lo:[0,0,1] neg_hi:[0,0,1]
	v_pk_fma_f32 v[24:25], v[162:163], v[104:105], v[36:37] op_sel_hi:[0,1,1] neg_lo:[0,0,1] neg_hi:[0,0,1]
	v_pk_fma_f32 v[4:5], v[10:11], v[90:91], v[38:39] op_sel_hi:[0,1,1] neg_lo:[0,0,1] neg_hi:[0,0,1]
	v_pk_fma_f32 v[32:33], v[162:163], v[106:107], v[48:49] op_sel_hi:[0,1,1] neg_lo:[0,0,1] neg_hi:[0,0,1]
	v_pk_fma_f32 v[10:11], v[10:11], v[110:111], v[52:53] op_sel_hi:[0,1,1] neg_lo:[0,0,1] neg_hi:[0,0,1]
	v_pk_fma_f32 v[34:35], v[162:163], v[56:57], v[46:47] neg_lo:[0,0,1] neg_hi:[0,0,1]
	v_pk_fma_f32 v[96:97], v[2:3], v[26:27], v[96:97]
	v_pk_fma_f32 v[76:77], v[148:149], v[20:21], v[76:77]
	v_mov_b32_e32 v149, v154
	v_pk_fma_f32 v[2:3], v[160:161], v[108:109], v[50:51] op_sel_hi:[0,1,1] neg_lo:[0,0,1] neg_hi:[0,0,1]
	v_dual_mul_f32 v1, v151, v12 :: v_dual_mul_f32 v7, v151, v6
	v_mul_f32_e32 v6, v154, v13
	v_pk_fma_f32 v[94:95], v[150:151], v[42:43], v[94:95]
	v_pk_fma_f32 v[86:87], v[154:155], v[14:15], v[86:87]
	;; [unrolled: 1-line block ×6, first 2 shown]
	s_wait_loadcnt 0x12
	s_set_vgpr_msb 0x50                     ;  msbs: dst=1 src0=0 src1=0 src2=1
	v_pk_fma_f32 v[168:169] /*v[424:425]*/, v[8:9], v[10:11], v[168:169] /*v[424:425]*/
	s_set_vgpr_msb 0                        ;  msbs: dst=0 src0=0 src1=0 src2=0
	v_pk_fma_f32 v[70:71], v[152:153], v[34:35], v[70:71]
	v_pk_fma_f32 v[72:73], v[148:149], v[4:5], v[72:73]
	s_wait_loadcnt 0x10
	s_set_vgpr_msb 0x50                     ;  msbs: dst=1 src0=0 src1=0 src2=1
	v_pk_fma_f32 v[170:171] /*v[426:427]*/, v[8:9], v[2:3], v[170:171] /*v[426:427]*/
	s_set_vgpr_msb 0                        ;  msbs: dst=0 src0=0 src1=0 src2=0
	v_pk_add_f32 v[74:75], v[74:75], v[0:1]
	v_pk_add_f32 v[88:89], v[88:89], v[6:7]
	s_cmp_lt_u32 s15, s16
	s_cbranch_scc1 .LBB127_13
; %bb.14:                               ;   in Loop: Header=BB127_9 Depth=2
	s_wait_loadcnt 0x0
	s_wait_storecnt 0x0
	s_barrier_signal -1
	s_barrier_wait -1
	s_set_vgpr_msb 64                       ;  msbs: dst=1 src0=0 src1=0 src2=0
	s_clause 0x13
	scratch_load_b32 v167 /*v423*/, off, off offset:120
	scratch_load_b32 v172 /*v428*/, off, off offset:124
	;; [unrolled: 1-line block ×18, first 2 shown]
	scratch_load_b64 v[202:203] /*v[458:459]*/, off, off offset:192
	scratch_load_b32 v216 /*v472*/, off, off offset:116
	s_cmp_eq_u32 s13, 4
	s_cselect_b32 s15, -1, 0
	s_delay_alu instid0(SALU_CYCLE_1)
	s_and_b32 vcc_lo, exec_lo, s15
	s_set_vgpr_msb 0                        ;  msbs: dst=0 src0=0 src1=0 src2=0
	s_cbranch_vccz .LBB127_9
	s_branch .LBB127_6
.LBB127_15:
	scratch_load_b32 v1, off, off offset:200 th:TH_LOAD_LU ; 4-byte Folded Reload
	s_wait_loadcnt 0x14
	s_set_vgpr_msb 1                        ;  msbs: dst=0 src0=1 src1=0 src2=0
	v_mov_b32_e32 v2, v167 /*v423*/
	scratch_load_b32 v0, off, off offset:432 ; 4-byte Folded Reload
	s_mov_b32 s0, exec_lo
	s_wait_loadcnt 0x0
	v_cmpx_gt_u32_e64 s4, v0
	s_set_vgpr_msb 0                        ;  msbs: dst=0 src0=0 src1=0 src2=0
	s_cbranch_execz .LBB127_3
.LBB127_16:
	v_mul_lo_u32 v5, v0, s6
	v_add_nc_u32_e32 v0, s14, v2
	s_delay_alu instid0(VALU_DEP_1)
	v_cmp_gt_u32_e32 vcc_lo, s6, v0
	s_and_saveexec_b32 s0, vcc_lo
	s_cbranch_execz .LBB127_18
; %bb.17:
	s_delay_alu instid0(VALU_DEP_3)
	v_add_nc_u32_e32 v2, v0, v5
	s_wait_kmcnt 0x0
	global_store_b32 v2, v102, s[8:9] scale_offset
.LBB127_18:
	s_wait_xcnt 0x0
	s_or_b32 exec_lo, exec_lo, s0
	v_add_nc_u32_e32 v2, 32, v0
	s_delay_alu instid0(VALU_DEP_1)
	v_cmp_gt_u32_e64 s0, s6, v2
	s_and_saveexec_b32 s1, s0
	s_cbranch_execz .LBB127_20
; %bb.19:
	v_add_nc_u32_e32 v3, v2, v5
	s_wait_kmcnt 0x0
	global_store_b32 v3, v70, s[8:9] scale_offset
.LBB127_20:
	s_wait_xcnt 0x0
	s_or_b32 exec_lo, exec_lo, s1
	v_add_nc_u32_e32 v3, 64, v0
	s_delay_alu instid0(VALU_DEP_1)
	v_cmp_gt_u32_e64 s1, s6, v3
	s_and_saveexec_b32 s2, s1
	s_cbranch_execz .LBB127_22
; %bb.21:
	v_add_nc_u32_e32 v4, v3, v5
	s_wait_kmcnt 0x0
	global_store_b32 v4, v101, s[8:9] scale_offset
.LBB127_22:
	;; [unrolled: 12-line block ×3, first 2 shown]
	s_wait_xcnt 0x0
	s_or_b32 exec_lo, exec_lo, s3
	v_add3_u32 v5, v1, s7, 8
	s_delay_alu instid0(VALU_DEP_1)
	v_cmp_gt_u32_e64 s3, s4, v5
	s_and_b32 exec_lo, exec_lo, s3
	s_cbranch_execz .LBB127_3
; %bb.25:
	v_mul_lo_u32 v5, v5, s6
	s_and_saveexec_b32 s3, vcc_lo
	s_cbranch_execnz .LBB127_65
; %bb.26:
	s_or_b32 exec_lo, exec_lo, s3
	s_and_saveexec_b32 s3, s0
	s_cbranch_execnz .LBB127_66
.LBB127_27:
	s_or_b32 exec_lo, exec_lo, s3
	s_and_saveexec_b32 s3, s1
	s_cbranch_execnz .LBB127_67
.LBB127_28:
	s_or_b32 exec_lo, exec_lo, s3
	s_and_saveexec_b32 s3, s2
	s_cbranch_execz .LBB127_30
.LBB127_29:
	v_add_nc_u32_e32 v5, v5, v4
	s_wait_kmcnt 0x0
	global_store_b32 v5, v98, s[8:9] scale_offset
.LBB127_30:
	s_wait_xcnt 0x0
	s_or_b32 exec_lo, exec_lo, s3
	v_add3_u32 v5, v1, s7, 16
	s_delay_alu instid0(VALU_DEP_1)
	v_cmp_gt_u32_e64 s3, s4, v5
	s_and_b32 exec_lo, exec_lo, s3
	s_cbranch_execz .LBB127_3
; %bb.31:
	v_mul_lo_u32 v5, v5, s6
	s_and_saveexec_b32 s3, vcc_lo
	s_cbranch_execnz .LBB127_68
; %bb.32:
	s_or_b32 exec_lo, exec_lo, s3
	s_and_saveexec_b32 s3, s0
	s_cbranch_execnz .LBB127_69
.LBB127_33:
	s_or_b32 exec_lo, exec_lo, s3
	s_and_saveexec_b32 s3, s1
	s_cbranch_execnz .LBB127_70
.LBB127_34:
	s_or_b32 exec_lo, exec_lo, s3
	s_and_saveexec_b32 s3, s2
	s_cbranch_execz .LBB127_36
.LBB127_35:
	v_add_nc_u32_e32 v5, v5, v4
	s_wait_kmcnt 0x0
	global_store_b32 v5, v77, s[8:9] scale_offset
.LBB127_36:
	s_wait_xcnt 0x0
	s_or_b32 exec_lo, exec_lo, s3
	v_add3_u32 v5, v1, s7, 24
	s_delay_alu instid0(VALU_DEP_1)
	v_cmp_gt_u32_e64 s3, s4, v5
	s_and_b32 exec_lo, exec_lo, s3
	s_cbranch_execz .LBB127_3
; %bb.37:
	v_mul_lo_u32 v5, v5, s6
	s_and_saveexec_b32 s3, vcc_lo
	s_cbranch_execnz .LBB127_71
; %bb.38:
	s_or_b32 exec_lo, exec_lo, s3
	s_and_saveexec_b32 s3, s0
	s_cbranch_execnz .LBB127_72
.LBB127_39:
	s_or_b32 exec_lo, exec_lo, s3
	s_and_saveexec_b32 s3, s1
	s_cbranch_execnz .LBB127_73
.LBB127_40:
	s_or_b32 exec_lo, exec_lo, s3
	s_and_saveexec_b32 s3, s2
	s_cbranch_execz .LBB127_42
.LBB127_41:
	v_add_nc_u32_e32 v5, v5, v4
	s_wait_kmcnt 0x0
	global_store_b32 v5, v89, s[8:9] scale_offset
.LBB127_42:
	s_wait_xcnt 0x0
	s_or_b32 exec_lo, exec_lo, s3
	v_add3_u32 v5, v1, s7, 32
	s_delay_alu instid0(VALU_DEP_1)
	v_cmp_gt_u32_e64 s3, s4, v5
	s_and_b32 exec_lo, exec_lo, s3
	s_cbranch_execz .LBB127_3
; %bb.43:
	v_mul_lo_u32 v5, v5, s6
	s_and_saveexec_b32 s3, vcc_lo
	s_cbranch_execnz .LBB127_74
; %bb.44:
	s_or_b32 exec_lo, exec_lo, s3
	s_and_saveexec_b32 s3, s0
	s_cbranch_execnz .LBB127_75
.LBB127_45:
	s_or_b32 exec_lo, exec_lo, s3
	s_and_saveexec_b32 s3, s1
	s_cbranch_execnz .LBB127_76
.LBB127_46:
	s_or_b32 exec_lo, exec_lo, s3
	s_and_saveexec_b32 s3, s2
	s_cbranch_execz .LBB127_48
.LBB127_47:
	v_add_nc_u32_e32 v5, v5, v4
	s_wait_kmcnt 0x0
	global_store_b32 v5, v73, s[8:9] scale_offset
.LBB127_48:
	s_wait_xcnt 0x0
	s_or_b32 exec_lo, exec_lo, s3
	v_add3_u32 v5, v1, s7, 40
	s_delay_alu instid0(VALU_DEP_1)
	v_cmp_gt_u32_e64 s3, s4, v5
	s_and_b32 exec_lo, exec_lo, s3
	s_cbranch_execz .LBB127_3
; %bb.49:
	v_mul_lo_u32 v5, v5, s6
	s_and_saveexec_b32 s3, vcc_lo
	s_cbranch_execnz .LBB127_77
; %bb.50:
	s_or_b32 exec_lo, exec_lo, s3
	s_and_saveexec_b32 s3, s0
	s_cbranch_execnz .LBB127_78
.LBB127_51:
	s_or_b32 exec_lo, exec_lo, s3
	s_and_saveexec_b32 s3, s1
	s_cbranch_execnz .LBB127_79
.LBB127_52:
	s_or_b32 exec_lo, exec_lo, s3
	s_and_saveexec_b32 s3, s2
	s_cbranch_execz .LBB127_54
.LBB127_53:
	v_add_nc_u32_e32 v5, v5, v4
	s_wait_kmcnt 0x0
	global_store_b32 v5, v72, s[8:9] scale_offset
.LBB127_54:
	s_wait_xcnt 0x0
	s_or_b32 exec_lo, exec_lo, s3
	v_add3_u32 v5, v1, s7, 48
	s_delay_alu instid0(VALU_DEP_1)
	v_cmp_gt_u32_e64 s3, s4, v5
	s_and_b32 exec_lo, exec_lo, s3
	s_cbranch_execz .LBB127_3
; %bb.55:
	v_mul_lo_u32 v5, v5, s6
	s_and_saveexec_b32 s3, vcc_lo
	s_cbranch_execnz .LBB127_80
; %bb.56:
	s_or_b32 exec_lo, exec_lo, s3
	s_and_saveexec_b32 s3, s0
	s_cbranch_execnz .LBB127_81
.LBB127_57:
	s_or_b32 exec_lo, exec_lo, s3
	s_and_saveexec_b32 s3, s1
	s_cbranch_execnz .LBB127_82
.LBB127_58:
	s_or_b32 exec_lo, exec_lo, s3
	s_and_saveexec_b32 s3, s2
	s_cbranch_execz .LBB127_60
.LBB127_59:
	v_add_nc_u32_e32 v5, v5, v4
	s_wait_kmcnt 0x0
	s_set_vgpr_msb 4                        ;  msbs: dst=0 src0=0 src1=1 src2=0
	global_store_b32 v5, v169 /*v425*/, s[8:9] scale_offset
.LBB127_60:
	s_wait_xcnt 0x0
	s_or_b32 exec_lo, exec_lo, s3
	s_set_vgpr_msb 0                        ;  msbs: dst=0 src0=0 src1=0 src2=0
	v_add3_u32 v1, v1, s7, 56
	s_delay_alu instid0(VALU_DEP_1)
	v_cmp_gt_u32_e64 s3, s4, v1
	s_and_b32 exec_lo, exec_lo, s3
	s_cbranch_execz .LBB127_3
; %bb.61:
	v_mul_lo_u32 v1, v1, s6
	s_and_saveexec_b32 s3, vcc_lo
	s_cbranch_execnz .LBB127_83
; %bb.62:
	s_or_b32 exec_lo, exec_lo, s3
	s_and_saveexec_b32 s3, s0
	s_cbranch_execnz .LBB127_84
.LBB127_63:
	s_or_b32 exec_lo, exec_lo, s3
	s_and_saveexec_b32 s0, s1
	s_cbranch_execnz .LBB127_85
.LBB127_64:
	s_or_b32 exec_lo, exec_lo, s0
	s_delay_alu instid0(SALU_CYCLE_1)
	s_and_b32 exec_lo, exec_lo, s2
	s_cbranch_execz .LBB127_3
	s_branch .LBB127_86
.LBB127_65:
	s_delay_alu instid0(VALU_DEP_1)
	v_add_nc_u32_e32 v6, v5, v0
	s_wait_kmcnt 0x0
	global_store_b32 v6, v103, s[8:9] scale_offset
	s_wait_xcnt 0x0
	s_or_b32 exec_lo, exec_lo, s3
	s_and_saveexec_b32 s3, s0
	s_cbranch_execz .LBB127_27
.LBB127_66:
	s_delay_alu instid0(VALU_DEP_1)
	v_add_nc_u32_e32 v6, v5, v2
	s_wait_kmcnt 0x0
	global_store_b32 v6, v96, s[8:9] scale_offset
	s_wait_xcnt 0x0
	s_or_b32 exec_lo, exec_lo, s3
	s_and_saveexec_b32 s3, s1
	s_cbranch_execz .LBB127_28
.LBB127_67:
	s_delay_alu instid0(VALU_DEP_1)
	v_add_nc_u32_e32 v6, v5, v3
	s_wait_kmcnt 0x0
	global_store_b32 v6, v100, s[8:9] scale_offset
	s_wait_xcnt 0x0
	s_or_b32 exec_lo, exec_lo, s3
	s_and_saveexec_b32 s3, s2
	s_cbranch_execnz .LBB127_29
	s_branch .LBB127_30
.LBB127_68:
	s_delay_alu instid0(VALU_DEP_1)
	v_add_nc_u32_e32 v6, v5, v0
	s_wait_kmcnt 0x0
	global_store_b32 v6, v94, s[8:9] scale_offset
	s_wait_xcnt 0x0
	s_or_b32 exec_lo, exec_lo, s3
	s_and_saveexec_b32 s3, s0
	s_cbranch_execz .LBB127_33
.LBB127_69:
	s_delay_alu instid0(VALU_DEP_1)
	v_add_nc_u32_e32 v6, v5, v2
	s_wait_kmcnt 0x0
	global_store_b32 v6, v97, s[8:9] scale_offset
	s_wait_xcnt 0x0
	s_or_b32 exec_lo, exec_lo, s3
	s_and_saveexec_b32 s3, s1
	s_cbranch_execz .LBB127_34
.LBB127_70:
	s_delay_alu instid0(VALU_DEP_1)
	v_add_nc_u32_e32 v6, v5, v3
	s_wait_kmcnt 0x0
	global_store_b32 v6, v93, s[8:9] scale_offset
	s_wait_xcnt 0x0
	s_or_b32 exec_lo, exec_lo, s3
	s_and_saveexec_b32 s3, s2
	s_cbranch_execnz .LBB127_35
	s_branch .LBB127_36
.LBB127_71:
	s_delay_alu instid0(VALU_DEP_1)
	v_add_nc_u32_e32 v6, v5, v0
	s_wait_kmcnt 0x0
	global_store_b32 v6, v95, s[8:9] scale_offset
	s_wait_xcnt 0x0
	s_or_b32 exec_lo, exec_lo, s3
	s_and_saveexec_b32 s3, s0
	s_cbranch_execz .LBB127_39
.LBB127_72:
	s_delay_alu instid0(VALU_DEP_1)
	v_add_nc_u32_e32 v6, v5, v2
	s_wait_kmcnt 0x0
	global_store_b32 v6, v75, s[8:9] scale_offset
	s_wait_xcnt 0x0
	s_or_b32 exec_lo, exec_lo, s3
	s_and_saveexec_b32 s3, s1
	s_cbranch_execz .LBB127_40
.LBB127_73:
	s_delay_alu instid0(VALU_DEP_1)
	v_add_nc_u32_e32 v6, v5, v3
	s_wait_kmcnt 0x0
	global_store_b32 v6, v92, s[8:9] scale_offset
	s_wait_xcnt 0x0
	s_or_b32 exec_lo, exec_lo, s3
	s_and_saveexec_b32 s3, s2
	s_cbranch_execnz .LBB127_41
	s_branch .LBB127_42
.LBB127_74:
	s_delay_alu instid0(VALU_DEP_1)
	v_add_nc_u32_e32 v6, v5, v0
	s_wait_kmcnt 0x0
	global_store_b32 v6, v86, s[8:9] scale_offset
	s_wait_xcnt 0x0
	s_or_b32 exec_lo, exec_lo, s3
	s_and_saveexec_b32 s3, s0
	s_cbranch_execz .LBB127_45
.LBB127_75:
	s_delay_alu instid0(VALU_DEP_1)
	v_add_nc_u32_e32 v6, v5, v2
	s_wait_kmcnt 0x0
	global_store_b32 v6, v84, s[8:9] scale_offset
	s_wait_xcnt 0x0
	s_or_b32 exec_lo, exec_lo, s3
	s_and_saveexec_b32 s3, s1
	s_cbranch_execz .LBB127_46
.LBB127_76:
	s_delay_alu instid0(VALU_DEP_1)
	v_add_nc_u32_e32 v6, v5, v3
	s_wait_kmcnt 0x0
	global_store_b32 v6, v88, s[8:9] scale_offset
	s_wait_xcnt 0x0
	s_or_b32 exec_lo, exec_lo, s3
	s_and_saveexec_b32 s3, s2
	s_cbranch_execnz .LBB127_47
	s_branch .LBB127_48
.LBB127_77:
	s_delay_alu instid0(VALU_DEP_1)
	v_add_nc_u32_e32 v6, v5, v0
	s_wait_kmcnt 0x0
	global_store_b32 v6, v87, s[8:9] scale_offset
	s_wait_xcnt 0x0
	s_or_b32 exec_lo, exec_lo, s3
	s_and_saveexec_b32 s3, s0
	s_cbranch_execz .LBB127_51
.LBB127_78:
	s_delay_alu instid0(VALU_DEP_1)
	v_add_nc_u32_e32 v6, v5, v2
	s_wait_kmcnt 0x0
	global_store_b32 v6, v85, s[8:9] scale_offset
	s_wait_xcnt 0x0
	s_or_b32 exec_lo, exec_lo, s3
	s_and_saveexec_b32 s3, s1
	s_cbranch_execz .LBB127_52
.LBB127_79:
	s_delay_alu instid0(VALU_DEP_1)
	v_add_nc_u32_e32 v6, v5, v3
	s_wait_kmcnt 0x0
	global_store_b32 v6, v76, s[8:9] scale_offset
	s_wait_xcnt 0x0
	s_or_b32 exec_lo, exec_lo, s3
	s_and_saveexec_b32 s3, s2
	s_cbranch_execnz .LBB127_53
	s_branch .LBB127_54
.LBB127_80:
	s_delay_alu instid0(VALU_DEP_1)
	v_add_nc_u32_e32 v6, v5, v0
	s_wait_kmcnt 0x0
	global_store_b32 v6, v74, s[8:9] scale_offset
	s_wait_xcnt 0x0
	s_or_b32 exec_lo, exec_lo, s3
	s_and_saveexec_b32 s3, s0
	s_cbranch_execz .LBB127_57
.LBB127_81:
	s_delay_alu instid0(VALU_DEP_1)
	v_add_nc_u32_e32 v6, v5, v2
	s_wait_kmcnt 0x0
	global_store_b32 v6, v68, s[8:9] scale_offset
	s_wait_xcnt 0x0
	s_or_b32 exec_lo, exec_lo, s3
	s_and_saveexec_b32 s3, s1
	s_cbranch_execz .LBB127_58
.LBB127_82:
	s_delay_alu instid0(VALU_DEP_1)
	v_add_nc_u32_e32 v6, v5, v3
	s_wait_kmcnt 0x0
	s_set_vgpr_msb 4                        ;  msbs: dst=0 src0=0 src1=1 src2=0
	global_store_b32 v6, v171 /*v427*/, s[8:9] scale_offset
	s_wait_xcnt 0x0
	s_or_b32 exec_lo, exec_lo, s3
	s_and_saveexec_b32 s3, s2
	s_set_vgpr_msb 0                        ;  msbs: dst=0 src0=0 src1=0 src2=0
	s_cbranch_execnz .LBB127_59
	s_branch .LBB127_60
.LBB127_83:
	s_delay_alu instid0(VALU_DEP_1)
	v_add_nc_u32_e32 v0, v1, v0
	s_wait_kmcnt 0x0
	global_store_b32 v0, v71, s[8:9] scale_offset
	s_wait_xcnt 0x0
	s_or_b32 exec_lo, exec_lo, s3
	s_and_saveexec_b32 s3, s0
	s_cbranch_execz .LBB127_63
.LBB127_84:
	s_delay_alu instid0(VALU_DEP_1)
	v_add_nc_u32_e32 v0, v1, v2
	s_wait_kmcnt 0x0
	global_store_b32 v0, v69, s[8:9] scale_offset
	s_wait_xcnt 0x0
	s_or_b32 exec_lo, exec_lo, s3
	s_and_saveexec_b32 s0, s1
	s_cbranch_execz .LBB127_64
.LBB127_85:
	s_delay_alu instid0(VALU_DEP_1)
	v_add_nc_u32_e32 v0, v1, v3
	s_wait_kmcnt 0x0
	s_set_vgpr_msb 4                        ;  msbs: dst=0 src0=0 src1=1 src2=0
	global_store_b32 v0, v170 /*v426*/, s[8:9] scale_offset
	s_wait_xcnt 0x0
	s_or_b32 exec_lo, exec_lo, s0
	s_delay_alu instid0(SALU_CYCLE_1)
	s_and_b32 exec_lo, exec_lo, s2
	s_set_vgpr_msb 0                        ;  msbs: dst=0 src0=0 src1=0 src2=0
	s_cbranch_execz .LBB127_3
.LBB127_86:
	v_add_nc_u32_e32 v0, v1, v4
	s_wait_kmcnt 0x0
	s_set_vgpr_msb 4                        ;  msbs: dst=0 src0=0 src1=1 src2=0
	global_store_b32 v0, v168 /*v424*/, s[8:9] scale_offset
	s_sendmsg sendmsg(MSG_DEALLOC_VGPRS)
	s_endpgm
	.section	.rodata,"a",@progbits
	.p2align	6, 0x0
	.amdhsa_kernel _ZL12mul_mat_q2_KIfLb0EEvPKvS1_PT_iiiii
		.amdhsa_group_segment_fixed_size 31392
		.amdhsa_private_segment_fixed_size 440
		.amdhsa_kernarg_size 44
		.amdhsa_user_sgpr_count 2
		.amdhsa_user_sgpr_dispatch_ptr 0
		.amdhsa_user_sgpr_queue_ptr 0
		.amdhsa_user_sgpr_kernarg_segment_ptr 1
		.amdhsa_user_sgpr_dispatch_id 0
		.amdhsa_user_sgpr_kernarg_preload_length 0
		.amdhsa_user_sgpr_kernarg_preload_offset 0
		.amdhsa_user_sgpr_private_segment_size 0
		.amdhsa_wavefront_size32 1
		.amdhsa_uses_dynamic_stack 0
		.amdhsa_enable_private_segment 1
		.amdhsa_system_sgpr_workgroup_id_x 1
		.amdhsa_system_sgpr_workgroup_id_y 1
		.amdhsa_system_sgpr_workgroup_id_z 0
		.amdhsa_system_sgpr_workgroup_info 0
		.amdhsa_system_vgpr_workitem_id 1
		.amdhsa_next_free_vgpr 512
		.amdhsa_next_free_sgpr 22
		.amdhsa_named_barrier_count 0
		.amdhsa_reserve_vcc 1
		.amdhsa_float_round_mode_32 0
		.amdhsa_float_round_mode_16_64 0
		.amdhsa_float_denorm_mode_32 3
		.amdhsa_float_denorm_mode_16_64 3
		.amdhsa_fp16_overflow 0
		.amdhsa_memory_ordered 1
		.amdhsa_forward_progress 1
		.amdhsa_inst_pref_size 255
		.amdhsa_round_robin_scheduling 0
		.amdhsa_exception_fp_ieee_invalid_op 0
		.amdhsa_exception_fp_denorm_src 0
		.amdhsa_exception_fp_ieee_div_zero 0
		.amdhsa_exception_fp_ieee_overflow 0
		.amdhsa_exception_fp_ieee_underflow 0
		.amdhsa_exception_fp_ieee_inexact 0
		.amdhsa_exception_int_div_zero 0
	.end_amdhsa_kernel
	.section	.text._ZL12mul_mat_q2_KIfLb0EEvPKvS1_PT_iiiii,"axG",@progbits,_ZL12mul_mat_q2_KIfLb0EEvPKvS1_PT_iiiii,comdat
.Lfunc_end127:
	.size	_ZL12mul_mat_q2_KIfLb0EEvPKvS1_PT_iiiii, .Lfunc_end127-_ZL12mul_mat_q2_KIfLb0EEvPKvS1_PT_iiiii
                                        ; -- End function
	.set _ZL12mul_mat_q2_KIfLb0EEvPKvS1_PT_iiiii.num_vgpr, 512
	.set _ZL12mul_mat_q2_KIfLb0EEvPKvS1_PT_iiiii.num_agpr, 0
	.set _ZL12mul_mat_q2_KIfLb0EEvPKvS1_PT_iiiii.numbered_sgpr, 22
	.set _ZL12mul_mat_q2_KIfLb0EEvPKvS1_PT_iiiii.num_named_barrier, 0
	.set _ZL12mul_mat_q2_KIfLb0EEvPKvS1_PT_iiiii.private_seg_size, 440
	.set _ZL12mul_mat_q2_KIfLb0EEvPKvS1_PT_iiiii.uses_vcc, 1
	.set _ZL12mul_mat_q2_KIfLb0EEvPKvS1_PT_iiiii.uses_flat_scratch, 1
	.set _ZL12mul_mat_q2_KIfLb0EEvPKvS1_PT_iiiii.has_dyn_sized_stack, 0
	.set _ZL12mul_mat_q2_KIfLb0EEvPKvS1_PT_iiiii.has_recursion, 0
	.set _ZL12mul_mat_q2_KIfLb0EEvPKvS1_PT_iiiii.has_indirect_call, 0
	.section	.AMDGPU.csdata,"",@progbits
; Kernel info:
; codeLenInByte = 54180
; TotalNumSgprs: 24
; NumVgprs: 512
; ScratchSize: 440
; MemoryBound: 0
; FloatMode: 240
; IeeeMode: 1
; LDSByteSize: 31392 bytes/workgroup (compile time only)
; SGPRBlocks: 0
; VGPRBlocks: 31
; NumSGPRsForWavesPerEU: 24
; NumVGPRsForWavesPerEU: 512
; NamedBarCnt: 0
; Occupancy: 2
; WaveLimiterHint : 0
; COMPUTE_PGM_RSRC2:SCRATCH_EN: 1
; COMPUTE_PGM_RSRC2:USER_SGPR: 2
; COMPUTE_PGM_RSRC2:TRAP_HANDLER: 0
; COMPUTE_PGM_RSRC2:TGID_X_EN: 1
; COMPUTE_PGM_RSRC2:TGID_Y_EN: 1
; COMPUTE_PGM_RSRC2:TGID_Z_EN: 0
; COMPUTE_PGM_RSRC2:TIDIG_COMP_CNT: 1
	.section	.text._ZL12mul_mat_q2_KIfLb1EEvPKvS1_PT_iiiii,"axG",@progbits,_ZL12mul_mat_q2_KIfLb1EEvPKvS1_PT_iiiii,comdat
	.globl	_ZL12mul_mat_q2_KIfLb1EEvPKvS1_PT_iiiii ; -- Begin function _ZL12mul_mat_q2_KIfLb1EEvPKvS1_PT_iiiii
	.p2align	8
	.type	_ZL12mul_mat_q2_KIfLb1EEvPKvS1_PT_iiiii,@function
_ZL12mul_mat_q2_KIfLb1EEvPKvS1_PT_iiiii: ; @_ZL12mul_mat_q2_KIfLb1EEvPKvS1_PT_iiiii
; %bb.0:
	s_clause 0x1
	s_load_b128 s[4:7], s[0:1], 0x18
	s_load_b32 s12, s[0:1], 0x28
	s_bfe_u32 s2, ttmp6, 0x4000c
	s_bfe_u32 s8, ttmp6, 0x40010
	s_add_co_i32 s2, s2, 1
	s_and_b32 s3, ttmp6, 15
	s_mul_i32 s2, ttmp9, s2
	s_add_co_i32 s8, s8, 1
	s_add_co_i32 s3, s3, s2
	s_mul_i32 s2, ttmp7, s8
	s_bfe_u32 s8, ttmp6, 0x40004
	s_getreg_b32 s9, hwreg(HW_REG_IB_STS2, 6, 4)
	s_add_co_i32 s8, s8, s2
	s_cmp_eq_u32 s9, 0
	v_bfe_u32 v48, v0, 10, 10
	s_cselect_b32 s8, ttmp7, s8
	v_and_b32_e32 v64, 0x3ff, v0
	s_cselect_b32 s2, ttmp9, s3
	s_lshl_b32 s13, s8, 6
	s_mov_b32 s3, 0
	s_wait_kmcnt 0x0
	s_cmp_gt_i32 s4, 0xff
	s_cbranch_scc1 .LBB128_4
; %bb.1:
	v_bfe_u32 v1, v0, 10, 10
	v_and_b32_e32 v2, 0x3ff, v0
	s_delay_alu instid0(VALU_DEP_2)
	v_add_nc_u32_e32 v3, s13, v1
	scratch_store_b32 off, v3, off offset:536 ; 4-byte Folded Spill
	s_load_b64 s[8:9], s[0:1], 0x10
	s_and_not1_b32 vcc_lo, exec_lo, s3
	s_lshl_b32 s14, s2, 7
	s_cbranch_vccz .LBB128_5
; %bb.2:
	v_dual_mov_b32 v74, 0 :: v_dual_mov_b32 v75, 0
	v_mov_b64_e32 v[78:79], 0
	v_mov_b64_e32 v[96:97], 0
	;; [unrolled: 1-line block ×6, first 2 shown]
	v_dual_mov_b32 v87, 0 :: v_dual_mov_b32 v67, 0
	v_dual_mov_b32 v66, 0 :: v_dual_mov_b32 v86, 0
	;; [unrolled: 1-line block ×9, first 2 shown]
	scratch_load_b32 v0, off, off offset:536 ; 4-byte Folded Reload
	s_mov_b32 s0, exec_lo
	s_wait_loadcnt 0x0
	v_cmpx_gt_u32_e64 s6, v0
	s_cbranch_execnz .LBB128_16
.LBB128_3:
	s_sendmsg sendmsg(MSG_DEALLOC_VGPRS)
	s_endpgm
.LBB128_4:
                                        ; implicit-def: $vgpr1
                                        ; implicit-def: $vgpr2
                                        ; implicit-def: $vgpr3
                                        ; kill: killed $vgpr3
	s_load_b64 s[8:9], s[0:1], 0x10
	s_lshl_b32 s14, s2, 7
.LBB128_5:
	v_dual_lshlrev_b32 v1, 2, v64 :: v_dual_mov_b32 v51, 0
	v_bfe_u32 v2, v0, 1, 9
	s_not_b32 s16, s14
	v_and_b32_e32 v42, 1, v0
	s_delay_alu instid0(VALU_DEP_3) | instskip(NEXT) | instid1(VALU_DEP_3)
	v_dual_add_nc_u32 v24, 16, v48 :: v_dual_bitop2_b32 v50, 60, v1 bitop3:0x40
	v_lshl_add_u32 v2, v48, 4, v2
	s_add_co_i32 s5, s5, s16
	s_delay_alu instid0(SALU_CYCLE_1) | instskip(NEXT) | instid1(VALU_DEP_3)
	v_dual_add_nc_u32 v20, 8, v48 :: v_dual_min_i32 v21, s5, v48
	v_min_i32_e32 v28, s5, v24
	s_delay_alu instid0(VALU_DEP_3) | instskip(SKIP_2) | instid1(VALU_DEP_4)
	v_and_b32_e32 v2, 0x7f, v2
	v_dual_mov_b32 v40, v42 :: v_dual_add_nc_u32 v26, 32, v48
	v_add_nc_u32_e32 v27, 40, v48
	v_mad_u32 v3, 0x84, v28, v1
	s_delay_alu instid0(VALU_DEP_4) | instskip(SKIP_3) | instid1(VALU_DEP_4)
	v_dual_add_nc_u32 v25, 24, v48 :: v_dual_min_i32 v23, s5, v2
	v_mad_u32 v2, 0x84, v21, v1
	v_min_i32_e32 v22, s5, v20
	v_dual_add_nc_u32 v32, 48, v48 :: v_dual_min_i32 v30, s5, v26
	v_min_i32_e32 v29, s5, v25
	v_dual_add_nc_u32 v15, s13, v48 :: v_dual_min_i32 v31, s5, v27
	s_clause 0x2
	scratch_store_b64 off, v[40:41], off offset:268
	scratch_store_b32 off, v3, off offset:256
	scratch_store_b64 off, v[50:51], off offset:240
	s_wait_xcnt 0x1
	v_mad_u32 v3, 0x84, v29, v1
	scratch_store_b32 off, v2, off offset:248 ; 4-byte Folded Spill
	s_wait_xcnt 0x0
	v_mad_u32 v2, 0x84, v22, v1
	v_lshlrev_b32_e32 v40, 2, v42
	v_mad_u32 v42, 0x84, v31, v1
	s_ashr_i32 s10, s4, 31
	s_ashr_i32 s11, s7, 31
	s_lshr_b32 s10, s10, 24
	s_lshr_b32 s11, s11, 27
	s_add_co_i32 s4, s4, s10
	v_dual_add_nc_u32 v8, 16, v15 :: v_dual_add_nc_u32 v10, 24, v15
	s_clause 0x1
	scratch_store_b32 off, v3, off offset:260
	scratch_store_b32 off, v2, off offset:252
	s_wait_xcnt 0x1
	v_mad_u32 v3, 0x84, v30, v1
	s_wait_xcnt 0x0
	v_ashrrev_i32_e32 v2, 31, v23
	s_ashr_i32 s15, s4, 8
	s_add_co_i32 s4, s7, s11
	s_add_co_i32 s7, s6, -1
	v_cvt_f64_u32_e32 v[4:5], v15
	v_lshrrev_b32_e32 v2, 28, v2
	v_cvt_f64_u32_e32 v[10:11], v10
	v_cvt_f64_u32_e32 v[8:9], v8
	v_dual_add_nc_u32 v6, 8, v15 :: v_dual_add_nc_u32 v14, 40, v15
	s_delay_alu instid0(VALU_DEP_4)
	v_dual_add_nc_u32 v17, 48, v15 :: v_dual_add_nc_u32 v2, v23, v2
	s_clause 0x1
	scratch_store_b32 off, v3, off offset:264
	scratch_store_b32 off, v15, off offset:536
	s_wait_xcnt 0x1
	v_bfe_u32 v3, v0, 3, 7
	v_cvt_f64_u32_e32 v[6:7], v6
	v_dual_ashrrev_i32 v33, 4, v2 :: v_dual_add_nc_u32 v12, 32, v15
	v_and_b32_e32 v38, 7, v0
	s_delay_alu instid0(VALU_DEP_4) | instskip(SKIP_1) | instid1(VALU_DEP_4)
	v_lshl_add_u32 v34, v48, 2, v3
	v_cvt_f64_i32_e32 v[2:3], s7
	v_lshlrev_b32_e32 v33, 2, v33
	v_cvt_f64_u32_e32 v[12:13], v12
	v_bfe_u32 v43, v0, 2, 8
	v_min_i32_e32 v35, s5, v34
	v_add_min_i32_e64 v37, v34, 32, s5
	s_ashr_i32 s4, s4, 5
	v_lshlrev_b32_e32 v41, 2, v38
	v_lshl_add_u32 v46, v48, 3, v43
	v_ashrrev_i32_e32 v16, 31, v35
	v_dual_add_nc_u32 v18, 56, v15 :: v_dual_ashrrev_i32 v39, 31, v37
	s_wait_xcnt 0x0
	v_cvt_f64_u32_e32 v[14:15], v14
	s_delay_alu instid0(VALU_DEP_3)
	v_dual_lshrrev_b32 v36, 30, v16 :: v_dual_bitop2_b32 v46, 63, v46 bitop3:0x40
	v_cvt_f64_u32_e32 v[16:17], v17
	v_cvt_f64_u32_e32 v[18:19], v18
	v_lshrrev_b32_e32 v39, 30, v39
	v_add3_u32 v33, v33, v40, 0x7280
	v_add_min_i32_e64 v40, v34, 64, s5
	v_add_min_i32_e64 v34, 0x60, v34, s5
	s_delay_alu instid0(VALU_DEP_4) | instskip(SKIP_1) | instid1(VALU_DEP_3)
	v_dual_add_nc_u32 v36, v35, v36 :: v_dual_add_nc_u32 v39, v37, v39
	s_load_b128 s[0:3], s[0:1], 0x0
	v_ashrrev_i32_e32 v44, 31, v40
	v_cmp_lt_u32_e32 vcc_lo, 3, v38
	s_delay_alu instid0(VALU_DEP_3)
	v_and_b32_e32 v36, -4, v36
	s_mul_i32 s10, s15, s14
	v_mov_b64_e32 v[72:73], 0
	v_dual_lshrrev_b32 v44, 30, v44 :: v_dual_ashrrev_i32 v45, 31, v34
	v_mov_b64_e32 v[70:71], 0
	v_min_num_f64_e32 v[4:5], v[4:5], v[2:3]
	v_mov_b64_e32 v[98:99], 0
	s_delay_alu instid0(VALU_DEP_4) | instskip(SKIP_2) | instid1(VALU_DEP_3)
	v_dual_min_num_f64 v[10:11], v[10:11], v[2:3] :: v_dual_add_nc_u32 v44, v40, v44
	v_dual_min_num_f64 v[6:7], v[6:7], v[2:3] :: v_dual_lshrrev_b32 v45, 30, v45
	v_min_num_f64_e32 v[8:9], v[8:9], v[2:3]
	v_dual_min_num_f64 v[12:13], v[12:13], v[2:3] :: v_dual_bitop2_b32 v44, -4, v44 bitop3:0x40
	v_mov_b64_e32 v[68:69], 0
	v_mov_b64_e32 v[96:97], 0
	;; [unrolled: 1-line block ×3, first 2 shown]
	v_min_num_f64_e32 v[14:15], v[14:15], v[2:3]
	v_mov_b64_e32 v[212:213], 0
	v_mov_b64_e32 v[66:67], 0
	v_min_num_f64_e32 v[16:17], v[16:17], v[2:3]
	v_min_num_f64_e32 v[2:3], v[18:19], v[2:3]
	v_and_b32_e32 v19, -4, v39
	v_dual_add_nc_u32 v18, v34, v45 :: v_dual_bitop2_b32 v39, s13, v46 bitop3:0x54
	v_and_b32_e32 v45, 3, v0
	v_mov_b64_e32 v[74:75], 0
	v_mov_b64_e32 v[90:91], 0
	s_delay_alu instid0(VALU_DEP_4) | instskip(NEXT) | instid1(VALU_DEP_4)
	v_min_i32_e32 v39, s7, v39
	v_dual_lshlrev_b32 v47, 2, v45 :: v_dual_bitop2_b32 v18, -4, v18 bitop3:0x40
	v_mov_b64_e32 v[84:85], 0
	v_mov_b64_e32 v[94:95], 0
	v_mov_b64_e32 v[82:83], 0
	v_mov_b64_e32 v[88:89], 0
	v_mov_b64_e32 v[76:77], 0
	v_mov_b64_e32 v[86:87], 0
	v_cvt_i32_f64_e32 v4, v[4:5]
	v_lshlrev_b32_e32 v5, 5, v37
	s_ashr_i32 s11, s10, 31
	v_cvt_i32_f64_e32 v10, v[10:11]
	v_lshlrev_b32_e32 v11, 5, v34
	v_mad_u32 v39, v39, s4, v45
	v_cvt_i32_f64_e32 v6, v[6:7]
	scratch_store_b32 off, v42, off offset:276 ; 4-byte Folded Spill
	s_wait_xcnt 0x0
	v_min_i32_e32 v42, s5, v32
	v_cvt_i32_f64_e32 v8, v[8:9]
	v_lshlrev_b32_e32 v9, 5, v40
	v_add3_u32 v19, v19, v41, 0x6200
	v_cvt_i32_f64_e32 v12, v[12:13]
	v_add3_u32 v36, v36, v41, 0x6200
	v_add3_u32 v44, v44, v41, 0x6200
	s_delay_alu instid0(VALU_DEP_4)
	v_dual_add_nc_u32 v5, v19, v5 :: v_dual_bitop2_b32 v7, 31, v0 bitop3:0x40
	scratch_store_b32 off, v39, off offset:280 ; 4-byte Folded Spill
	s_wait_xcnt 0x0
	v_lshlrev_b32_e32 v39, 3, v23
	v_add3_u32 v18, v18, v41, 0x6200
	v_add_nc_u32_e32 v41, 56, v48
	v_lshl_or_b32 v45, v46, 4, v47
	v_lshlrev_b32_e32 v46, 5, v35
	v_cvt_i32_f64_e32 v14, v[14:15]
	v_lshlrev_b32_e32 v15, 7, v20
	v_cvt_i32_f64_e32 v47, v[2:3]
	v_add_nc_u32_e32 v3, v33, v39
	v_lshl_or_b32 v7, v7, 2, 0x4200
	v_dual_lshlrev_b32 v13, 7, v48 :: v_dual_lshlrev_b32 v2, 7, v25
	v_cvt_i32_f64_e32 v16, v[16:17]
	v_dual_lshlrev_b32 v17, 7, v24 :: v_dual_add_nc_u32 v33, v36, v46
	v_add_nc_u32_e32 v11, v18, v11
	scratch_store_b32 off, v5, off offset:292 ; 4-byte Folded Spill
	s_wait_xcnt 0x0
	v_lshlrev_b32_e32 v5, 7, v32
	scratch_store_b32 off, v3, off offset:284 ; 4-byte Folded Spill
	s_wait_xcnt 0x0
	v_dual_lshlrev_b32 v3, 7, v26 :: v_dual_add_nc_u32 v9, v44, v9
	v_dual_add_nc_u32 v211, v7, v15 :: v_dual_add_nc_u32 v65, v7, v13
	v_dual_add_nc_u32 v215, v7, v2 :: v_dual_add_nc_u32 v214, v7, v17
	s_delay_alu instid0(VALU_DEP_3)
	v_dual_add_nc_u32 v216, v7, v3 :: v_dual_bitop2_b32 v2, 12, v1 bitop3:0x40
	v_mov_b32_e32 v3, v51
	s_clause 0x1
	scratch_store_b32 off, v33, off offset:288
	scratch_store_b32 off, v9, off offset:296
	v_add_nc_u32_e32 v218, v7, v5
	v_mul_lo_u32 v222, s4, v6
	scratch_store_b64 off, v[2:3], off offset:304 ; 8-byte Folded Spill
	s_wait_xcnt 0x0
	v_mad_u32 v2, 0x84, v42, v1
	v_dual_add_nc_u32 v6, 64, v64 :: v_dual_min_i32 v5, s5, v41
	scratch_store_b32 off, v11, off offset:300 ; 4-byte Folded Spill
	v_mul_lo_u32 v225, s4, v12
	v_dual_lshlrev_b32 v33, 7, v27 :: v_dual_lshlrev_b32 v9, 7, v41
	v_lshrrev_b32_e32 v12, 4, v6
	s_wait_xcnt 0x0
	v_add_min_i32_e64 v11, 0x50, v48, s5
	v_add_min_i32_e64 v13, 0x58, v48, s5
	v_add_nc_u32_e32 v217, v7, v33
	scratch_store_b32 off, v2, off offset:312 ; 4-byte Folded Spill
	s_wait_xcnt 0x0
	v_mad_u32 v2, 0x84, v5, v1
	v_add_nc_u32_e32 v219, v7, v9
	v_add_min_i32_e64 v7, v48, 64, s5
	v_add_min_i32_e64 v9, 0x48, v48, s5
	v_add_min_i32_e64 v15, 0x60, v48, s5
	v_add_min_i32_e64 v17, 0x68, v48, s5
	v_add_min_i32_e64 v18, 0x70, v48, s5
	v_add_min_i32_e64 v19, 0x78, v48, s5
	v_mul_lo_u32 v221, s4, v4
	v_mul_lo_u32 v223, s4, v8
	;; [unrolled: 1-line block ×3, first 2 shown]
	scratch_store_b32 off, v2, off offset:316 ; 4-byte Folded Spill
	s_wait_xcnt 0x0
	v_mad_u32 v2, 0x84, v7, v1
	v_mul_lo_u32 v226, s4, v14
	v_mul_lo_u32 v227, s4, v16
	s_set_vgpr_msb 64                       ;  msbs: dst=1 src0=0 src1=0 src2=0
	v_mul_lo_u32 v188 /*v444*/, s4, v47
	v_dual_lshlrev_b32 v195 /*v451*/, 5, v41 :: v_dual_lshlrev_b32 v198 /*v454*/, 5, v6
	s_set_vgpr_msb 0                        ;  msbs: dst=0 src0=0 src1=0 src2=0
	v_lshrrev_b32_e32 v10, 2, v6
	v_add_nc_u32_e32 v220, 0x76a0, v45
	s_set_vgpr_msb 64                       ;  msbs: dst=1 src0=0 src1=0 src2=0
	v_dual_lshlrev_b32 v189 /*v445*/, 5, v20 :: v_dual_lshlrev_b32 v191 /*v447*/, 5, v25
	v_dual_lshlrev_b32 v190 /*v446*/, 5, v24 :: v_dual_lshlrev_b32 v192 /*v448*/, 5, v26
	scratch_store_b32 off, v2, off offset:320 ; 4-byte Folded Spill
	s_wait_xcnt 0x0
	s_set_vgpr_msb 0                        ;  msbs: dst=0 src0=0 src1=0 src2=0
	v_mad_u32 v2, 0x84, v9, v1
	s_set_vgpr_msb 64                       ;  msbs: dst=1 src0=0 src1=0 src2=0
	v_dual_lshlrev_b32 v193 /*v449*/, 5, v27 :: v_dual_lshlrev_b32 v194 /*v450*/, 5, v32
	v_mul_u32_u24_e32 v212 /*v468*/, 0x84, v64
	v_dual_lshlrev_b32 v213 /*v469*/, 5, v64 :: v_dual_lshlrev_b32 v214 /*v470*/, 3, v64
	s_mul_u64 s[10:11], s[10:11], 0x54
	s_mov_b32 s5, 0
	s_wait_kmcnt 0x0
	s_add_nc_u64 s[0:1], s[0:1], s[10:11]
	s_mov_b32 s4, s5
	v_lshlrev_b32_e32 v207 /*v463*/, 2, v10
	scratch_store_b32 off, v2, off offset:324 ; 4-byte Folded Spill
	s_wait_xcnt 0x0
	s_set_vgpr_msb 0                        ;  msbs: dst=0 src0=0 src1=0 src2=0
	v_mad_u32 v2, 0x84, v11, v1
	s_set_vgpr_msb 64                       ;  msbs: dst=1 src0=0 src1=0 src2=0
	v_lshlrev_b32_e32 v204 /*v460*/, 2, v43
	scratch_store_b32 off, v2, off offset:328 ; 4-byte Folded Spill
	s_wait_xcnt 0x0
	s_set_vgpr_msb 0                        ;  msbs: dst=0 src0=0 src1=0 src2=0
	v_mad_u32 v2, 0x84, v13, v1
	scratch_store_b32 off, v2, off offset:332 ; 4-byte Folded Spill
	s_wait_xcnt 0x0
	v_mad_u32 v2, 0x84, v15, v1
	scratch_store_b32 off, v2, off offset:336 ; 4-byte Folded Spill
	s_wait_xcnt 0x0
	;; [unrolled: 3-line block ×5, first 2 shown]
	v_dual_add_nc_u32 v1, 32, v64 :: v_dual_bitop2_b32 v2, 28, v1 bitop3:0x40
	s_delay_alu instid0(VALU_DEP_1) | instskip(SKIP_1) | instid1(VALU_DEP_2)
	v_lshrrev_b32_e32 v4, 2, v1
	s_set_vgpr_msb 64                       ;  msbs: dst=1 src0=0 src1=0 src2=0
	v_add_nc_u64_e32 v[202:203] /*v[458:459]*/, s[2:3], v[2:3]
	s_set_vgpr_msb 0                        ;  msbs: dst=0 src0=0 src1=0 src2=0
	v_bfe_u32 v2, v0, 4, 6
	v_mul_lo_u32 v0, v21, s15
	v_lshrrev_b32_e32 v8, 4, v1
	s_set_vgpr_msb 64                       ;  msbs: dst=1 src0=0 src1=0 src2=0
	v_dual_lshlrev_b32 v196 /*v452*/, 5, v1 :: v_dual_lshlrev_b32 v197 /*v453*/, 3, v1
	s_set_vgpr_msb 0                        ;  msbs: dst=0 src0=0 src1=0 src2=0
	v_add_nc_u32_e32 v1, 0x60, v64
	s_set_vgpr_msb 64                       ;  msbs: dst=1 src0=0 src1=0 src2=0
	v_lshlrev_b32_e32 v205 /*v461*/, 2, v4
	v_dual_lshlrev_b32 v211 /*v467*/, 5, v48 :: v_dual_lshlrev_b32 v215 /*v471*/, 2, v2
	scratch_store_b64 off, v[0:1], off offset:360 ; 8-byte Folded Spill
	s_wait_xcnt 0x0
	s_set_vgpr_msb 0                        ;  msbs: dst=0 src0=0 src1=0 src2=0
	v_mul_lo_u32 v0, v22, s15
	scratch_store_b64 off, v[0:1], off offset:368 ; 8-byte Folded Spill
	s_wait_xcnt 0x0
	v_mul_lo_u32 v0, v28, s15
	scratch_store_b64 off, v[0:1], off offset:376 ; 8-byte Folded Spill
	s_wait_xcnt 0x0
	;; [unrolled: 3-line block ×19, first 2 shown]
	v_mul_lo_u32 v0, v34, s15
	s_clause 0x1
	scratch_store_b64 off, v[0:1], off offset:520
	scratch_store_b32 off, v48, off offset:540
	s_wait_xcnt 0x1
	v_mov_b32_e32 v0, v2
	s_set_vgpr_msb 64                       ;  msbs: dst=1 src0=0 src1=0 src2=0
	v_dual_lshlrev_b32 v199 /*v455*/, 3, v6 :: v_dual_lshlrev_b32 v200 /*v456*/, 5, v1
	s_set_vgpr_msb 0                        ;  msbs: dst=0 src0=0 src1=0 src2=0
	v_dual_lshrrev_b32 v6, 2, v1 :: v_dual_lshrrev_b32 v14, 4, v1
	s_set_vgpr_msb 64                       ;  msbs: dst=1 src0=0 src1=0 src2=0
	v_dual_lshlrev_b32 v201 /*v457*/, 3, v1 :: v_dual_lshlrev_b32 v206 /*v462*/, 2, v8
	s_delay_alu instid0(VALU_DEP_2) | instskip(NEXT) | instid1(VALU_DEP_3)
	v_dual_lshlrev_b32 v208 /*v464*/, 2, v12 :: v_dual_lshlrev_b32 v209 /*v465*/, 2, v6
	v_lshlrev_b32_e32 v210 /*v466*/, 2, v14
	scratch_store_b64 off, v[0:1], off offset:352 ; 8-byte Folded Spill
	s_wait_xcnt 0x0
	s_set_vgpr_msb 0                        ;  msbs: dst=0 src0=0 src1=0 src2=0
	v_cndmask_b32_e64 v0, 0, 1, vcc_lo
	s_clause 0x2d
	scratch_store_b64 off, v[0:1], off offset:528
	scratch_store_b32 off, v64, off offset:160
	scratch_store_b32 off, v65, off offset:164
	;; [unrolled: 1-line block ×17, first 2 shown]
	s_set_vgpr_msb 4                        ;  msbs: dst=0 src0=0 src1=1 src2=0
	scratch_store_b32 off, v188 /*v444*/, off offset:228
	scratch_store_b32 off, v189 /*v445*/, off offset:56
	;; [unrolled: 1-line block ×14, first 2 shown]
	scratch_store_b64 off, v[202:203] /*v[458:459]*/, off offset:232
	scratch_store_b32 off, v204 /*v460*/, off offset:108
	scratch_store_b32 off, v205 /*v461*/, off offset:112
	;; [unrolled: 1-line block ×12, first 2 shown]
	s_set_vgpr_msb 0                        ;  msbs: dst=0 src0=0 src1=0 src2=0
	s_branch .LBB128_7
.LBB128_6:                              ;   in Loop: Header=BB128_7 Depth=1
	s_add_co_i32 s4, s4, 2
	s_delay_alu instid0(SALU_CYCLE_1)
	s_cmp_ge_i32 s4, s15
	s_cbranch_scc1 .LBB128_15
.LBB128_7:                              ; =>This Loop Header: Depth=1
                                        ;     Child Loop BB128_9 Depth 2
                                        ;       Child Loop BB128_11 Depth 3
                                        ;       Child Loop BB128_13 Depth 3
	s_clause 0x2
	scratch_load_b64 v[0:1], off, off offset:352
	scratch_load_b64 v[2:3], off, off offset:360
	;; [unrolled: 1-line block ×3, first 2 shown]
	s_mul_u64 s[10:11], s[4:5], 0x54
	s_lshl_b32 s7, s4, 3
	s_add_nc_u64 s[10:11], s[0:1], s[10:11]
	s_wait_loadcnt 0x2
	v_mad_nc_u64_u32 v[0:1], 0x54, v0, s[10:11]
	s_wait_loadcnt 0x1
	s_delay_alu instid0(VALU_DEP_1) | instskip(SKIP_1) | instid1(VALU_DEP_1)
	v_mad_nc_i64_i32 v[2:3], 0x54, v2, v[0:1]
	s_wait_loadcnt 0x0
	v_add_nc_u64_e32 v[2:3], v[2:3], v[4:5]
	global_load_b32 v2, v[2:3], off offset:16
	scratch_load_b32 v3, off, off offset:248 ; 4-byte Folded Reload
	s_wait_loadcnt 0x0
	ds_store_b32 v3, v2
	scratch_load_b64 v[2:3], off, off offset:368 ; 8-byte Folded Reload
	s_wait_loadcnt 0x0
	v_mad_nc_i64_i32 v[2:3], 0x54, v2, v[0:1]
	s_delay_alu instid0(VALU_DEP_1)
	v_add_nc_u64_e32 v[2:3], v[2:3], v[4:5]
	global_load_b32 v2, v[2:3], off offset:16
	scratch_load_b32 v3, off, off offset:252 ; 4-byte Folded Reload
	s_wait_loadcnt 0x0
	ds_store_b32 v3, v2
	scratch_load_b64 v[2:3], off, off offset:376 ; 8-byte Folded Reload
	s_wait_loadcnt 0x0
	v_mad_nc_i64_i32 v[2:3], 0x54, v2, v[0:1]
	s_delay_alu instid0(VALU_DEP_1)
	;; [unrolled: 9-line block ×15, first 2 shown]
	v_add_nc_u64_e32 v[0:1], v[0:1], v[4:5]
	global_load_b32 v0, v[0:1], off offset:16
	s_clause 0x1
	scratch_load_b32 v1, off, off offset:348
	scratch_load_b64 v[2:3], off, off offset:268
	s_wait_loadcnt 0x1
	ds_store_b32 v1, v0
	scratch_load_b64 v[0:1], off, off offset:488 ; 8-byte Folded Reload
	s_wait_loadcnt 0x0
	v_mad_nc_i64_i32 v[0:1], 0x54, v0, s[10:11]
	s_delay_alu instid0(VALU_DEP_1)
	v_mad_nc_u64_u32 v[0:1], 0x54, v2, v[0:1]
	global_load_b32 v0, v[0:1], off offset:80
	s_clause 0x1
	scratch_load_b32 v1, off, off offset:284
	scratch_load_b64 v[2:3], off, off offset:304
	s_wait_loadcnt 0x1
	ds_store_b32 v1, v0
	scratch_load_b64 v[0:1], off, off offset:528 ; 8-byte Folded Reload
	s_wait_loadcnt 0x0
	v_mad_nc_u64_u32 v[0:1], 0x54, v0, s[10:11]
	s_mov_b32 s10, 0
	s_delay_alu instid0(VALU_DEP_1)
	v_add_nc_u64_e32 v[0:1], v[0:1], v[2:3]
	scratch_load_b64 v[2:3], off, off offset:496 ; 8-byte Folded Reload
	s_wait_loadcnt 0x0
	v_mad_nc_i64_i32 v[2:3], 0x54, v2, v[0:1]
	global_load_b32 v2, v[2:3], off
	scratch_load_b32 v3, off, off offset:288 ; 4-byte Folded Reload
	s_wait_loadcnt 0x0
	ds_store_b32 v3, v2
	scratch_load_b64 v[2:3], off, off offset:504 ; 8-byte Folded Reload
	s_wait_loadcnt 0x0
	v_mad_nc_i64_i32 v[2:3], 0x54, v2, v[0:1]
	global_load_b32 v2, v[2:3], off
	scratch_load_b32 v3, off, off offset:292 ; 4-byte Folded Reload
	s_wait_loadcnt 0x0
	ds_store_b32 v3, v2
	;; [unrolled: 7-line block ×4, first 2 shown]
	scratch_load_b32 v0, off, off offset:280 ; 4-byte Folded Reload
	s_wait_loadcnt 0x0
	s_set_vgpr_msb 64                       ;  msbs: dst=1 src0=0 src1=0 src2=0
	v_add_nc_u32_e32 v216 /*v472*/, s7, v0
	s_set_vgpr_msb 4                        ;  msbs: dst=0 src0=0 src1=1 src2=0
	scratch_store_b32 off, v216 /*v472*/, off offset:156 ; 4-byte Folded Spill
	s_set_vgpr_msb 0                        ;  msbs: dst=0 src0=0 src1=0 src2=0
	s_branch .LBB128_9
.LBB128_8:                              ;   in Loop: Header=BB128_9 Depth=2
                                        ; implicit-def: $sgpr10
	s_and_b32 vcc_lo, exec_lo, s11
	s_cbranch_vccnz .LBB128_6
.LBB128_9:                              ;   Parent Loop BB128_7 Depth=1
                                        ; =>  This Loop Header: Depth=2
                                        ;       Child Loop BB128_11 Depth 3
                                        ;       Child Loop BB128_13 Depth 3
	s_lshr_b32 s11, s10, 1
	s_delay_alu instid0(SALU_CYCLE_1) | instskip(NEXT) | instid1(SALU_CYCLE_1)
	s_or_b32 s11, s11, s4
	s_cmp_lt_i32 s11, s15
	s_mov_b32 s11, -1
	s_cbranch_scc0 .LBB128_8
; %bb.10:                               ;   in Loop: Header=BB128_9 Depth=2
	s_wait_loadcnt 0x13
	v_lshl_add_u32 v0, s10, 5, v64
	s_or_b32 s16, s10, 1
	s_lshl_b32 s17, s10, 3
	s_lshl_b32 s11, s16, 3
	s_delay_alu instid0(VALU_DEP_1) | instskip(NEXT) | instid1(VALU_DEP_1)
	v_lshrrev_b32_e32 v0, 3, v0
	v_add_nc_u32_e32 v2, s7, v0
	s_wait_loadcnt 0x9
	s_delay_alu instid0(VALU_DEP_1) | instskip(SKIP_2) | instid1(VALU_DEP_1)
	v_add_nc_u32_e32 v0, v2, v221
	s_wait_loadcnt 0x1
	s_set_vgpr_msb 16                       ;  msbs: dst=0 src0=0 src1=0 src2=1
	v_mad_nc_i64_i32 v[0:1], v0, 36, v[202:203] /*v[458:459]*/
	global_load_b32 v0, v[0:1], off offset:4
	s_wait_loadcnt 0x0
	ds_store_b32 v65, v0
	s_wait_xcnt 0x0
	v_add_nc_u32_e32 v0, v2, v222
	s_delay_alu instid0(VALU_DEP_1)
	v_mad_nc_i64_i32 v[0:1], v0, 36, v[202:203] /*v[458:459]*/
	global_load_b32 v0, v[0:1], off offset:4
	s_wait_loadcnt 0x0
	ds_store_b32 v211, v0
	s_wait_xcnt 0x0
	v_add_nc_u32_e32 v0, v2, v223
	s_delay_alu instid0(VALU_DEP_1)
	;; [unrolled: 7-line block ×6, first 2 shown]
	v_mad_nc_i64_i32 v[0:1], v0, 36, v[202:203] /*v[458:459]*/
	global_load_b32 v0, v[0:1], off offset:4
	s_wait_loadcnt 0x0
	ds_store_b32 v218, v0
	s_wait_xcnt 0x0
	s_set_vgpr_msb 4                        ;  msbs: dst=0 src0=0 src1=1 src2=0
	v_add_nc_u32_e32 v0, v2, v188 /*v444*/
	s_set_vgpr_msb 16                       ;  msbs: dst=0 src0=0 src1=0 src2=1
	s_delay_alu instid0(VALU_DEP_1)
	v_mad_nc_i64_i32 v[0:1], v0, 36, v[202:203] /*v[458:459]*/
	global_load_b32 v0, v[0:1], off offset:4
	s_wait_loadcnt 0x0
	ds_store_b32 v219, v0
	s_wait_xcnt 0x0
	v_lshl_add_u32 v0, s10, 2, v216 /*v472*/
	s_delay_alu instid0(VALU_DEP_1)
	v_mad_nc_u64_u32 v[0:1], v0, 36, s[2:3]
	global_load_b32 v0, v[0:1], off
	s_wait_loadcnt 0x0
	s_wait_xcnt 0x0
	v_cvt_f32_f16_e32 v0, v0
	ds_store_b32 v220, v0
	s_wait_storecnt_dscnt 0x0
	s_barrier_signal -1
	s_barrier_wait -1
.LBB128_11:                             ;   Parent Loop BB128_7 Depth=1
                                        ;     Parent Loop BB128_9 Depth=2
                                        ; =>    This Inner Loop Header: Depth=3
	s_lshl_b32 s18, s17, 2
	s_and_b32 s19, s17, 0x3ffffff8
	s_and_b32 s18, s18, 24
	s_set_vgpr_msb 16                       ;  msbs: dst=0 src0=0 src1=0 src2=1
	v_lshl_add_u32 v81, s19, 2, v212 /*v468*/
	s_set_vgpr_msb 4                        ;  msbs: dst=0 src0=0 src1=1 src2=0
	v_or_b32_e32 v22, s18, v211 /*v467*/
	v_or_b32_e32 v23, s18, v189 /*v445*/
	;; [unrolled: 1-line block ×3, first 2 shown]
	s_and_b32 s19, s17, 0x7ffffffe
	s_delay_alu instid0(SALU_CYCLE_1)
	s_addk_co_i32 s19, 0x6200
	s_set_vgpr_msb 0                        ;  msbs: dst=0 src0=0 src1=0 src2=0
	v_dual_lshlrev_b32 v4, 2, v22 :: v_dual_lshlrev_b32 v17, 2, v23
	v_lshlrev_b32_e32 v12, 2, v16
	ds_load_b128 v[0:3], v4 offset:16896
	ds_load_b128 v[4:7], v4 offset:16912
	;; [unrolled: 1-line block ×5, first 2 shown]
	s_wait_dscnt 0x4
	v_bfe_i32 v166, v0, 0, 8
	v_bfe_i32 v12, v0, 8, 8
	;; [unrolled: 1-line block ×3, first 2 shown]
	s_wait_dscnt 0x3
	v_dual_ashrrev_i32 v14, 24, v0 :: v_dual_ashrrev_i32 v153, 24, v5
	s_set_vgpr_msb 64                       ;  msbs: dst=1 src0=0 src1=0 src2=0
	v_bfe_i32 v97 /*v353*/, v1, 0, 8
	v_bfe_i32 v94 /*v350*/, v1, 8, 8
	;; [unrolled: 1-line block ×3, first 2 shown]
	s_wait_dscnt 0x2
	v_dual_ashrrev_i32 v96 /*v352*/, 24, v1 :: v_dual_ashrrev_i32 v104 /*v360*/, 24, v8
	v_bfe_i32 v98 /*v354*/, v2, 0, 8
	s_set_vgpr_msb 0                        ;  msbs: dst=0 src0=0 src1=0 src2=0
	v_bfe_i32 v15, v2, 8, 8
	v_bfe_i32 v150, v2, 16, 8
	v_ashrrev_i32_e32 v158, 24, v2
	v_bfe_i32 v29, v3, 0, 8
	v_bfe_i32 v31, v3, 8, 8
	;; [unrolled: 1-line block ×3, first 2 shown]
	s_wait_dscnt 0x0
	v_dual_ashrrev_i32 v30, 24, v3 :: v_dual_ashrrev_i32 v159, 24, v38
	ds_load_b128 v[0:3], v17 offset:16912
	s_set_vgpr_msb 64                       ;  msbs: dst=1 src0=0 src1=0 src2=0
	v_bfe_i32 v102 /*v358*/, v8, 0, 8
	v_bfe_i32 v105 /*v361*/, v9, 0, 8
	s_set_vgpr_msb 4                        ;  msbs: dst=0 src0=0 src1=1 src2=0
	v_or_b32_e32 v17, s18, v193 /*v449*/
	s_set_vgpr_msb 64                       ;  msbs: dst=1 src0=0 src1=0 src2=0
	v_bfe_i32 v103 /*v359*/, v8, 8, 8
	v_bfe_i32 v101 /*v357*/, v8, 16, 8
	s_set_vgpr_msb 0                        ;  msbs: dst=0 src0=0 src1=0 src2=0
	v_dual_ashrrev_i32 v25, 24, v7 :: v_dual_ashrrev_i32 v59, 24, v36
	v_dual_lshlrev_b32 v8, 2, v17 :: v_dual_ashrrev_i32 v35, 24, v39
	v_ashrrev_i32_e32 v60, 24, v37
	v_bfe_i32 v61, v36, 16, 8
	v_bfe_i32 v62, v37, 16, 8
	s_set_vgpr_msb 64                       ;  msbs: dst=1 src0=0 src1=0 src2=0
	v_bfe_i32 v36 /*v292*/, v36, 8, 8
	v_bfe_i32 v37 /*v293*/, v37, 8, 8
	;; [unrolled: 1-line block ×5, first 2 shown]
	v_dual_ashrrev_i32 v77 /*v333*/, 24, v9 :: v_dual_ashrrev_i32 v87 /*v343*/, 24, v18
	s_wait_dscnt 0x0
	v_bfe_i32 v56 /*v312*/, v0, 0, 8
	v_bfe_i32 v57 /*v313*/, v0, 8, 8
	s_set_vgpr_msb 0                        ;  msbs: dst=0 src0=0 src1=0 src2=0
	v_bfe_i32 v154, v0, 16, 8
	v_dual_ashrrev_i32 v155, 24, v0 :: v_dual_ashrrev_i32 v157, 24, v1
	s_set_vgpr_msb 64                       ;  msbs: dst=1 src0=0 src1=0 src2=0
	v_bfe_i32 v59 /*v315*/, v1, 0, 8
	v_bfe_i32 v60 /*v316*/, v1, 8, 8
	s_set_vgpr_msb 0                        ;  msbs: dst=0 src0=0 src1=0 src2=0
	v_bfe_i32 v156, v1, 16, 8
	s_set_vgpr_msb 64                       ;  msbs: dst=1 src0=0 src1=0 src2=0
	v_bfe_i32 v34 /*v290*/, v2, 0, 8
	v_bfe_i32 v35 /*v291*/, v2, 8, 8
	s_set_vgpr_msb 0                        ;  msbs: dst=0 src0=0 src1=0 src2=0
	v_bfe_i32 v250, v2, 16, 8
	v_dual_ashrrev_i32 v251, 24, v2 :: v_dual_ashrrev_i32 v37, 24, v3
	v_bfe_i32 v181, v3, 0, 8
	v_bfe_i32 v182, v3, 8, 8
	;; [unrolled: 1-line block ×3, first 2 shown]
	ds_load_b128 v[0:3], v8 offset:16896
	s_set_vgpr_msb 64                       ;  msbs: dst=1 src0=0 src1=0 src2=0
	v_bfe_i32 v84 /*v340*/, v18, 0, 8
	v_bfe_i32 v85 /*v341*/, v18, 8, 8
	;; [unrolled: 1-line block ×3, first 2 shown]
	s_set_vgpr_msb 4                        ;  msbs: dst=0 src0=0 src1=1 src2=0
	v_or_b32_e32 v18, s18, v190 /*v446*/
	v_bfe_i32 v168, v4, 0, 8
	v_bfe_i32 v173, v4, 8, 8
	;; [unrolled: 1-line block ×3, first 2 shown]
	s_set_vgpr_msb 0                        ;  msbs: dst=0 src0=0 src1=0 src2=0
	v_dual_ashrrev_i32 v151, 24, v4 :: v_dual_ashrrev_i32 v245, 24, v10
	v_bfe_i32 v243, v38, 16, 8
	s_set_vgpr_msb 64                       ;  msbs: dst=1 src0=0 src1=0 src2=0
	v_bfe_i32 v28 /*v284*/, v38, 8, 8
	v_bfe_i32 v29 /*v285*/, v38, 0, 8
	s_set_vgpr_msb 0                        ;  msbs: dst=0 src0=0 src1=0 src2=0
	v_lshlrev_b32_e32 v4, 2, v18
	s_set_vgpr_msb 64                       ;  msbs: dst=1 src0=0 src1=0 src2=0
	v_bfe_i32 v46 /*v302*/, v5, 0, 8
	v_bfe_i32 v47 /*v303*/, v5, 8, 8
	s_set_vgpr_msb 0                        ;  msbs: dst=0 src0=0 src1=0 src2=0
	v_bfe_i32 v152, v5, 16, 8
	s_set_vgpr_msb 64                       ;  msbs: dst=1 src0=0 src1=0 src2=0
	v_bfe_i32 v25 /*v281*/, v6, 0, 8
	v_bfe_i32 v24 /*v280*/, v6, 8, 8
	s_set_vgpr_msb 0                        ;  msbs: dst=0 src0=0 src1=0 src2=0
	v_bfe_i32 v47, v6, 16, 8
	s_wait_dscnt 0x0
	v_ashrrev_i32_e32 v38, 24, v3
	v_bfe_i32 v33, v7, 0, 8
	v_bfe_i32 v32, v7, 8, 8
	v_dual_ashrrev_i32 v242, 24, v6 :: v_dual_ashrrev_i32 v27, 24, v11
	v_bfe_i32 v24, v7, 16, 8
	s_set_vgpr_msb 64                       ;  msbs: dst=1 src0=0 src1=0 src2=0
	v_dual_ashrrev_i32 v79 /*v335*/, 24, v19 :: v_dual_ashrrev_i32 v110 /*v366*/, 24, v0
	v_bfe_i32 v108 /*v364*/, v0, 0, 8
	v_bfe_i32 v109 /*v365*/, v0, 8, 8
	;; [unrolled: 1-line block ×6, first 2 shown]
	v_ashrrev_i32_e32 v81 /*v337*/, 24, v1
	v_bfe_i32 v32 /*v288*/, v2, 0, 8
	v_bfe_i32 v33 /*v289*/, v2, 8, 8
	s_set_vgpr_msb 0                        ;  msbs: dst=0 src0=0 src1=0 src2=0
	v_bfe_i32 v248, v2, 16, 8
	v_ashrrev_i32_e32 v249, 24, v2
	v_bfe_i32 v179, v3, 0, 8
	v_bfe_i32 v180, v3, 8, 8
	;; [unrolled: 1-line block ×3, first 2 shown]
	ds_load_b128 v[0:3], v4 offset:16896
	ds_load_b128 v[4:7], v4 offset:16912
	s_set_vgpr_msb 64                       ;  msbs: dst=1 src0=0 src1=0 src2=0
	v_bfe_i32 v88 /*v344*/, v19, 0, 8
	v_bfe_i32 v89 /*v345*/, v19, 8, 8
	;; [unrolled: 1-line block ×3, first 2 shown]
	s_set_vgpr_msb 4                        ;  msbs: dst=0 src0=0 src1=1 src2=0
	v_or_b32_e32 v19, s18, v191 /*v447*/
	v_bfe_i32 v34, v39, 16, 8
	v_bfe_i32 v174, v39, 8, 8
	;; [unrolled: 1-line block ×3, first 2 shown]
	s_set_vgpr_msb 0                        ;  msbs: dst=0 src0=0 src1=0 src2=0
	v_dual_ashrrev_i32 v247, 24, v20 :: v_dual_ashrrev_i32 v40, 24, v21
	v_bfe_i32 v177, v21, 0, 8
	v_bfe_i32 v178, v21, 8, 8
	;; [unrolled: 1-line block ×3, first 2 shown]
	s_set_vgpr_msb 4                        ;  msbs: dst=0 src0=0 src1=1 src2=0
	v_or_b32_e32 v21, s18, v194 /*v450*/
	s_set_vgpr_msb 64                       ;  msbs: dst=1 src0=0 src1=0 src2=0
	v_bfe_i32 v76 /*v332*/, v9, 16, 8
	v_bfe_i32 v30 /*v286*/, v20, 0, 8
	;; [unrolled: 1-line block ×3, first 2 shown]
	s_set_vgpr_msb 4                        ;  msbs: dst=0 src0=0 src1=1 src2=0
	v_bfe_i32 v246, v20, 16, 8
	v_or_b32_e32 v20, s18, v192 /*v448*/
	s_wait_dscnt 0x1
	s_set_vgpr_msb 64                       ;  msbs: dst=1 src0=0 src1=0 src2=0
	v_bfe_i32 v114 /*v370*/, v0, 0, 8
	v_bfe_i32 v115 /*v371*/, v0, 8, 8
	;; [unrolled: 1-line block ×3, first 2 shown]
	v_ashrrev_i32_e32 v116 /*v372*/, 24, v0
	v_bfe_i32 v117 /*v373*/, v1, 0, 8
	v_bfe_i32 v118 /*v374*/, v1, 8, 8
	;; [unrolled: 1-line block ×3, first 2 shown]
	v_ashrrev_i32_e32 v83 /*v339*/, 24, v1
	v_bfe_i32 v41 /*v297*/, v2, 0, 8
	v_bfe_i32 v42 /*v298*/, v2, 8, 8
	s_set_vgpr_msb 0                        ;  msbs: dst=0 src0=0 src1=0 src2=0
	v_bfe_i32 v254, v2, 16, 8
	v_dual_ashrrev_i32 v255, 24, v2 :: v_dual_ashrrev_i32 v42, 24, v3
	v_bfe_i32 v183, v3, 0, 8
	v_bfe_i32 v184, v3, 8, 8
	;; [unrolled: 1-line block ×3, first 2 shown]
	ds_load_b128 v[0:3], v8 offset:16912
	s_wait_dscnt 0x1
	v_bfe_i32 v167, v4, 0, 8
	s_set_vgpr_msb 64                       ;  msbs: dst=1 src0=0 src1=0 src2=0
	v_bfe_i32 v65 /*v321*/, v4, 8, 8
	s_set_vgpr_msb 0                        ;  msbs: dst=0 src0=0 src1=0 src2=0
	v_bfe_i32 v160, v4, 16, 8
	v_dual_ashrrev_i32 v172, 24, v4 :: v_dual_ashrrev_i32 v253, 24, v6
	v_lshlrev_b32_e32 v4, 2, v19
	s_set_vgpr_msb 64                       ;  msbs: dst=1 src0=0 src1=0 src2=0
	v_ashrrev_i32_e32 v16 /*v272*/, 24, v5
	s_set_vgpr_msb 0                        ;  msbs: dst=0 src0=0 src1=0 src2=0
	v_ashrrev_i32_e32 v48, 24, v7
	s_set_vgpr_msb 64                       ;  msbs: dst=1 src0=0 src1=0 src2=0
	v_bfe_i32 v66 /*v322*/, v5, 0, 8
	v_bfe_i32 v67 /*v323*/, v5, 8, 8
	s_set_vgpr_msb 0                        ;  msbs: dst=0 src0=0 src1=0 src2=0
	v_bfe_i32 v161, v5, 16, 8
	s_set_vgpr_msb 64                       ;  msbs: dst=1 src0=0 src1=0 src2=0
	v_bfe_i32 v38 /*v294*/, v6, 0, 8
	v_bfe_i32 v39 /*v295*/, v6, 8, 8
	s_set_vgpr_msb 0                        ;  msbs: dst=0 src0=0 src1=0 src2=0
	v_bfe_i32 v185, v7, 0, 8
	v_bfe_i32 v252, v6, 16, 8
	;; [unrolled: 1-line block ×4, first 2 shown]
	s_and_b32 s18, s17, 6
	s_set_vgpr_msb 64                       ;  msbs: dst=1 src0=0 src1=0 src2=0
	v_bfe_i32 v26 /*v282*/, v10, 0, 8
	s_wait_dscnt 0x0
	v_bfe_i32 v68 /*v324*/, v0, 0, 8
	v_bfe_i32 v69 /*v325*/, v0, 8, 8
	s_set_vgpr_msb 0                        ;  msbs: dst=0 src0=0 src1=0 src2=0
	v_bfe_i32 v170, v0, 16, 8
	s_set_vgpr_msb 64                       ;  msbs: dst=1 src0=0 src1=0 src2=0
	v_bfe_i32 v70 /*v326*/, v1, 0, 8
	v_bfe_i32 v71 /*v327*/, v1, 8, 8
	v_bfe_i32 v17 /*v273*/, v1, 16, 8
	v_dual_ashrrev_i32 v18 /*v274*/, 24, v0 :: v_dual_ashrrev_i32 v19 /*v275*/, 24, v1
	v_bfe_i32 v0 /*v256*/, v2, 16, 8
	v_ashrrev_i32_e32 v1 /*v257*/, 24, v2
	s_set_vgpr_msb 0                        ;  msbs: dst=0 src0=0 src1=0 src2=0
	v_bfe_i32 v186, v3, 8, 8
	v_bfe_i32 v44, v3, 16, 8
	v_ashrrev_i32_e32 v45, 24, v3
	s_set_vgpr_msb 64                       ;  msbs: dst=1 src0=0 src1=0 src2=0
	v_bfe_i32 v44 /*v300*/, v2, 0, 8
	s_set_vgpr_msb 0                        ;  msbs: dst=0 src0=0 src1=0 src2=0
	v_bfe_i32 v188, v3, 0, 8
	s_set_vgpr_msb 64                       ;  msbs: dst=1 src0=0 src1=0 src2=0
	v_bfe_i32 v45 /*v301*/, v2, 8, 8
	s_set_vgpr_msb 0                        ;  msbs: dst=0 src0=0 src1=0 src2=0
	ds_load_b128 v[0:3], v4 offset:16912
	s_set_vgpr_msb 64                       ;  msbs: dst=1 src0=0 src1=0 src2=0
	v_bfe_i32 v27 /*v283*/, v10, 8, 8
	s_set_vgpr_msb 0                        ;  msbs: dst=0 src0=0 src1=0 src2=0
	v_bfe_i32 v244, v10, 16, 8
	v_bfe_i32 v171, v11, 0, 8
	;; [unrolled: 1-line block ×4, first 2 shown]
	s_wait_dscnt 0x0
	s_set_vgpr_msb 64                       ;  msbs: dst=1 src0=0 src1=0 src2=0
	v_bfe_i32 v63 /*v319*/, v0, 0, 8
	v_bfe_i32 v61 /*v317*/, v0, 8, 8
	;; [unrolled: 1-line block ×3, first 2 shown]
	v_ashrrev_i32_e32 v2 /*v258*/, 24, v0
	v_bfe_i32 v64 /*v320*/, v1, 0, 8
	v_bfe_i32 v62 /*v318*/, v1, 8, 8
	;; [unrolled: 1-line block ×3, first 2 shown]
	v_dual_ashrrev_i32 v10 /*v266*/, 24, v1 :: v_dual_ashrrev_i32 v4 /*v260*/, 24, v2
	v_bfe_i32 v48 /*v304*/, v2, 0, 8
	v_bfe_i32 v49 /*v305*/, v2, 8, 8
	;; [unrolled: 1-line block ×3, first 2 shown]
	s_set_vgpr_msb 0                        ;  msbs: dst=0 src0=0 src1=0 src2=0
	v_bfe_i32 v189, v3, 0, 8
	v_bfe_i32 v234, v3, 8, 8
	;; [unrolled: 1-line block ×3, first 2 shown]
	v_ashrrev_i32_e32 v50, 24, v3
	ds_load_b128 v[0:3], v4 offset:16896
	v_lshlrev_b32_e32 v4, 2, v20
	s_wait_dscnt 0x0
	s_set_vgpr_msb 64                       ;  msbs: dst=1 src0=0 src1=0 src2=0
	v_bfe_i32 v134 /*v390*/, v0, 0, 8
	v_bfe_i32 v135 /*v391*/, v0, 8, 8
	;; [unrolled: 1-line block ×3, first 2 shown]
	v_dual_ashrrev_i32 v125 /*v381*/, 24, v0 :: v_dual_ashrrev_i32 v91 /*v347*/, 24, v1
	v_bfe_i32 v127 /*v383*/, v1, 0, 8
	v_bfe_i32 v128 /*v384*/, v1, 8, 8
	;; [unrolled: 1-line block ×6, first 2 shown]
	v_ashrrev_i32_e32 v6 /*v262*/, 24, v2
	s_set_vgpr_msb 0                        ;  msbs: dst=0 src0=0 src1=0 src2=0
	v_bfe_i32 v235, v3, 0, 8
	v_bfe_i32 v236, v3, 8, 8
	;; [unrolled: 1-line block ×3, first 2 shown]
	v_ashrrev_i32_e32 v52, 24, v3
	ds_load_b128 v[0:3], v4 offset:16896
	ds_load_b128 v[4:7], v4 offset:16912
	s_wait_dscnt 0x1
	s_set_vgpr_msb 64                       ;  msbs: dst=1 src0=0 src1=0 src2=0
	v_bfe_i32 v131 /*v387*/, v0, 0, 8
	v_bfe_i32 v132 /*v388*/, v0, 8, 8
	;; [unrolled: 1-line block ×3, first 2 shown]
	v_ashrrev_i32_e32 v126 /*v382*/, 24, v0
	s_set_vgpr_msb 0                        ;  msbs: dst=0 src0=0 src1=0 src2=0
	v_lshlrev_b32_e32 v0, 2, v21
	s_set_vgpr_msb 64                       ;  msbs: dst=1 src0=0 src1=0 src2=0
	v_dual_ashrrev_i32 v93 /*v349*/, 24, v1 :: v_dual_ashrrev_i32 v9 /*v265*/, 24, v2
	v_bfe_i32 v52 /*v308*/, v2, 0, 8
	v_bfe_i32 v53 /*v309*/, v2, 8, 8
	v_bfe_i32 v8 /*v264*/, v2, 16, 8
	s_set_vgpr_msb 0                        ;  msbs: dst=0 src0=0 src1=0 src2=0
	v_bfe_i32 v237, v3, 0, 8
	v_bfe_i32 v238, v3, 8, 8
	;; [unrolled: 1-line block ×3, first 2 shown]
	v_ashrrev_i32_e32 v54, 24, v3
	s_wait_dscnt 0x0
	s_set_vgpr_msb 64                       ;  msbs: dst=1 src0=0 src1=0 src2=0
	v_bfe_i32 v73 /*v329*/, v4, 0, 8
	v_bfe_i32 v72 /*v328*/, v4, 8, 8
	;; [unrolled: 1-line block ×3, first 2 shown]
	v_dual_ashrrev_i32 v20 /*v276*/, 24, v4 :: v_dual_ashrrev_i32 v22 /*v278*/, 24, v5
	v_bfe_i32 v75 /*v331*/, v5, 0, 8
	v_bfe_i32 v74 /*v330*/, v5, 8, 8
	;; [unrolled: 1-line block ×3, first 2 shown]
	s_set_vgpr_msb 0                        ;  msbs: dst=0 src0=0 src1=0 src2=0
	ds_load_i8 v57, v0 offset:16911
	ds_load_b128 v[2:5], v0 offset:16896
	s_set_vgpr_msb 64                       ;  msbs: dst=1 src0=0 src1=0 src2=0
	v_bfe_i32 v129 /*v385*/, v1, 0, 8
	v_bfe_i32 v130 /*v386*/, v1, 8, 8
	;; [unrolled: 1-line block ×3, first 2 shown]
	s_set_vgpr_msb 0                        ;  msbs: dst=0 src0=0 src1=0 src2=0
	v_add_nc_u32_e32 v1, 0x1080, v81
	ds_load_2addr_b32 v[8:9], v1 offset1:1
	ds_load_i8 v162, v0 offset:16927
	s_set_vgpr_msb 64                       ;  msbs: dst=1 src0=0 src1=0 src2=0
	v_bfe_i32 v54 /*v310*/, v6, 0, 8
	v_bfe_i32 v55 /*v311*/, v6, 8, 8
	;; [unrolled: 1-line block ×3, first 2 shown]
	v_ashrrev_i32_e32 v12 /*v268*/, 24, v6
	s_set_vgpr_msb 0                        ;  msbs: dst=0 src0=0 src1=0 src2=0
	v_bfe_i32 v239, v7, 0, 8
	v_bfe_i32 v240, v7, 8, 8
	;; [unrolled: 1-line block ×3, first 2 shown]
	s_wait_dscnt 0x2
	v_dual_ashrrev_i32 v56, 24, v7 :: v_dual_ashrrev_i32 v175, 24, v5
	v_lshrrev_b16 v6, 8, v2
	s_set_vgpr_msb 64                       ;  msbs: dst=1 src0=0 src1=0 src2=0
	v_lshrrev_b16 v137 /*v393*/, 8, v3
	v_dual_ashrrev_i32 v121 /*v377*/, 24, v2 :: v_dual_ashrrev_i32 v13 /*v269*/, 24, v4
	v_bfe_i32 v123 /*v379*/, v2, 0, 8
	v_bfe_i32 v122 /*v378*/, v2, 16, 8
	v_ashrrev_i32_e32 v99 /*v355*/, 24, v3
	v_bfe_i32 v124 /*v380*/, v3, 0, 8
	v_bfe_i32 v100 /*v356*/, v3, 16, 8
	s_set_vgpr_msb 0                        ;  msbs: dst=0 src0=0 src1=0 src2=0
	ds_load_b128 v[0:3], v0 offset:16912
	s_set_vgpr_msb 64                       ;  msbs: dst=1 src0=0 src1=0 src2=0
	v_lshrrev_b16 v120 /*v376*/, 8, v4
	v_bfe_i32 v14 /*v270*/, v4, 16, 8
	v_bfe_i32 v58 /*v314*/, v4, 0, 8
	s_wait_dscnt 0x2
	s_set_vgpr_msb 0                        ;  msbs: dst=0 src0=0 src1=0 src2=0
	v_ashrrev_i32_e32 v4, s18, v9
	s_set_vgpr_msb 64                       ;  msbs: dst=1 src0=0 src1=0 src2=0
	v_lshrrev_b16 v119 /*v375*/, 8, v5
	s_set_vgpr_msb 0                        ;  msbs: dst=0 src0=0 src1=0 src2=0
	v_bfe_i32 v58, v5, 16, 8
	v_bfe_i32 v241, v5, 0, 8
	s_set_vgpr_msb 64                       ;  msbs: dst=1 src0=0 src1=0 src2=0
	v_bfe_i32 v148 /*v404*/, v6, 0, 8
	s_set_vgpr_msb 0x41                     ;  msbs: dst=1 src0=1 src1=0 src2=0
	v_bfe_i32 v137 /*v393*/, v137 /*v393*/, 0, 8
	s_set_vgpr_msb 0                        ;  msbs: dst=0 src0=0 src1=0 src2=0
	v_ashrrev_i32_e32 v8, s18, v8
	s_delay_alu instid0(VALU_DEP_1)
	v_bfe_u32 v145, v8, 24, 2
	v_bfe_u32 v146, v8, 16, 2
	s_wait_dscnt 0x0
	v_dual_ashrrev_i32 v100, 24, v0 :: v_dual_ashrrev_i32 v108, 24, v3
	v_and_b32_e32 v122, 3, v4
	v_lshrrev_b16 v7, 8, v0
	v_bfe_i32 v110, v0, 16, 8
	v_bfe_i32 v101, v0, 0, 8
	v_bfe_u32 v121, v4, 8, 2
	v_bfe_u32 v105, v4, 16, 2
	;; [unrolled: 1-line block ×3, first 2 shown]
	s_set_vgpr_msb 4                        ;  msbs: dst=0 src0=0 src1=1 src2=0
	v_mul_i32_i24_e32 v0, v122, v97 /*v353*/
	s_set_vgpr_msb 0                        ;  msbs: dst=0 src0=0 src1=0 src2=0
	v_lshrrev_b16 v120, 8, v1
	v_lshrrev_b16 v112, 8, v2
	v_bfe_i32 v111, v1, 16, 8
	v_bfe_i32 v106, v1, 0, 8
	v_dual_ashrrev_i32 v104, 24, v1 :: v_dual_ashrrev_i32 v107, 24, v2
	v_bfe_i32 v109, v2, 16, 8
	v_bfe_i32 v80, v2, 0, 8
	s_set_vgpr_msb 4                        ;  msbs: dst=0 src0=0 src1=1 src2=0
	v_mad_i32_i24 v0, v121, v94 /*v350*/, v0
	v_mul_i32_i24_e32 v1, v105, v95 /*v351*/
	v_mul_i32_i24_e32 v2, v113, v96 /*v352*/
	s_set_vgpr_msb 0                        ;  msbs: dst=0 src0=0 src1=0 src2=0
	v_lshrrev_b16 v92, 8, v3
	v_bfe_i32 v163, v3, 16, 8
	v_bfe_i32 v93, v3, 0, 8
	v_bfe_i32 v120, v120, 0, 8
	v_add3_u32 v123, v0, v1, v2
	s_set_vgpr_msb 20                       ;  msbs: dst=0 src0=0 src1=1 src2=1
	v_add3_u32 v0, s19, v205 /*v461*/, v196 /*v452*/
	s_set_vgpr_msb 0                        ;  msbs: dst=0 src0=0 src1=0 src2=0
	v_add_nc_u32_e32 v1, 0x1098, v81
	v_bfe_i32 v112, v112, 0, 8
	v_bfe_i32 v92, v92, 0, 8
	s_set_vgpr_msb 4                        ;  msbs: dst=0 src0=0 src1=1 src2=0
	v_mul_i32_i24_e32 v147, v146, v101 /*v357*/
	ds_load_u16 v164, v0
	s_set_vgpr_msb 0                        ;  msbs: dst=0 src0=0 src1=0 src2=0
	v_add_nc_u32_e32 v0, 0x1090, v81
	ds_load_2addr_b32 v[10:11], v0 offset1:1
	ds_load_2addr_b32 v[0:1], v1 offset1:1
	s_set_vgpr_msb 4                        ;  msbs: dst=0 src0=0 src1=1 src2=0
	v_mul_i32_i24_e32 v148, v145, v104 /*v360*/
	s_wait_dscnt 0x0
	s_set_vgpr_msb 0                        ;  msbs: dst=0 src0=0 src1=0 src2=0
	v_dual_ashrrev_i32 v2, s18, v10 :: v_dual_ashrrev_i32 v0, s18, v0
	s_delay_alu instid0(VALU_DEP_1) | instskip(SKIP_3) | instid1(VALU_DEP_4)
	v_dual_ashrrev_i32 v1, s18, v1 :: v_dual_bitop2_b32 v9, 3, v2 bitop3:0x40
	v_bfe_u32 v10, v2, 8, 2
	v_bfe_u32 v124, v2, 16, 2
	v_bfe_u32 v125, v2, 24, 2
	v_mul_i32_i24_e32 v2, v9, v168
	s_delay_alu instid0(VALU_DEP_3) | instskip(NEXT) | instid1(VALU_DEP_3)
	v_mul_i32_i24_e32 v3, v124, v63
	v_mul_i32_i24_e32 v4, v125, v151
	;; [unrolled: 1-line block ×3, first 2 shown]
	s_delay_alu instid0(VALU_DEP_4) | instskip(NEXT) | instid1(VALU_DEP_1)
	v_mad_i32_i24 v2, v10, v173, v2
	v_add3_u32 v126, v2, v3, v4
	v_add_nc_u32_e32 v2, 0x2100, v81
	v_add_nc_u32_e32 v3, 0x2108, v81
	;; [unrolled: 1-line block ×3, first 2 shown]
	ds_load_2addr_b32 v[102:103], v2 offset1:1
	ds_load_2addr_b32 v[2:3], v3 offset1:1
	;; [unrolled: 1-line block ×3, first 2 shown]
	s_wait_dscnt 0x2
	v_ashrrev_i32_e32 v4, s18, v103
	s_wait_dscnt 0x1
	v_ashrrev_i32_e32 v3, s18, v3
	s_wait_dscnt 0x0
	s_delay_alu instid0(VALU_DEP_2)
	v_dual_ashrrev_i32 v115, s18, v115 :: v_dual_bitop2_b32 v127, 3, v4 bitop3:0x40
	v_bfe_u32 v128, v4, 8, 2
	v_bfe_u32 v129, v4, 16, 2
	;; [unrolled: 1-line block ×3, first 2 shown]
	s_set_vgpr_msb 64                       ;  msbs: dst=1 src0=0 src1=0 src2=0
	v_bfe_u32 v177 /*v433*/, v115, 8, 2
	s_set_vgpr_msb 4                        ;  msbs: dst=0 src0=0 src1=1 src2=0
	v_mul_i32_i24_e32 v4, v127, v97 /*v353*/
	v_mul_i32_i24_e32 v5, v129, v95 /*v351*/
	;; [unrolled: 1-line block ×3, first 2 shown]
	s_delay_alu instid0(VALU_DEP_3) | instskip(SKIP_1) | instid1(VALU_DEP_1)
	v_mad_i32_i24 v4, v128, v94 /*v350*/, v4
	s_set_vgpr_msb 0                        ;  msbs: dst=0 src0=0 src1=0 src2=0
	v_add3_u32 v131, v4, v5, v103
	v_ashrrev_i32_e32 v4, s18, v114
	s_delay_alu instid0(VALU_DEP_1) | instskip(SKIP_3) | instid1(VALU_DEP_4)
	v_and_b32_e32 v103, 3, v4
	v_bfe_u32 v114, v4, 8, 2
	v_bfe_u32 v132, v4, 16, 2
	;; [unrolled: 1-line block ×3, first 2 shown]
	v_mul_i32_i24_e32 v4, v103, v168
	s_delay_alu instid0(VALU_DEP_3) | instskip(NEXT) | instid1(VALU_DEP_3)
	v_mul_i32_i24_e32 v5, v132, v63
	v_mul_i32_i24_e32 v116, v133, v151
	;; [unrolled: 1-line block ×3, first 2 shown]
	s_delay_alu instid0(VALU_DEP_4) | instskip(NEXT) | instid1(VALU_DEP_1)
	v_mad_i32_i24 v4, v114, v173, v4
	v_add3_u32 v134, v4, v5, v116
	v_add_nc_u32_e32 v4, 0x3180, v81
	ds_load_2addr_b32 v[116:117], v4 offset1:1
	s_wait_dscnt 0x0
	v_ashrrev_i32_e32 v4, s18, v117
	s_delay_alu instid0(VALU_DEP_1)
	v_and_b32_e32 v135, 3, v4
	v_bfe_u32 v136, v4, 8, 2
	v_bfe_u32 v137, v4, 16, 2
	;; [unrolled: 1-line block ×3, first 2 shown]
	s_set_vgpr_msb 4                        ;  msbs: dst=0 src0=0 src1=1 src2=0
	v_mul_i32_i24_e32 v4, v135, v97 /*v353*/
	s_delay_alu instid0(VALU_DEP_3) | instskip(NEXT) | instid1(VALU_DEP_3)
	v_mul_i32_i24_e32 v5, v137, v95 /*v351*/
	v_mul_i32_i24_e32 v117, v138, v96 /*v352*/
	s_delay_alu instid0(VALU_DEP_3) | instskip(SKIP_1) | instid1(VALU_DEP_1)
	v_mad_i32_i24 v4, v136, v94 /*v350*/, v4
	s_set_vgpr_msb 0                        ;  msbs: dst=0 src0=0 src1=0 src2=0
	v_add3_u32 v139, v4, v5, v117
	s_set_vgpr_msb 20                       ;  msbs: dst=0 src0=0 src1=1 src2=1
	v_add3_u32 v4, s19, v209 /*v465*/, v200 /*v456*/
	s_set_vgpr_msb 0                        ;  msbs: dst=0 src0=0 src1=0 src2=0
	v_add_nc_u32_e32 v5, 0x3198, v81
	ds_load_u16 v165, v4
	v_add_nc_u32_e32 v4, 0x3190, v81
	ds_load_2addr_b32 v[118:119], v4 offset1:1
	ds_load_2addr_b32 v[4:5], v5 offset1:1
	s_wait_dscnt 0x1
	v_dual_ashrrev_i32 v117, s18, v118 :: v_dual_ashrrev_i32 v119, s18, v119
	s_wait_dscnt 0x0
	v_dual_ashrrev_i32 v4, s18, v4 :: v_dual_ashrrev_i32 v5, s18, v5
	s_delay_alu instid0(VALU_DEP_2) | instskip(SKIP_3) | instid1(VALU_DEP_4)
	v_and_b32_e32 v118, 3, v117
	v_bfe_u32 v140, v117, 8, 2
	v_bfe_u32 v141, v117, 16, 2
	;; [unrolled: 1-line block ×3, first 2 shown]
	v_mul_i32_i24_e32 v142, v118, v168
	s_delay_alu instid0(VALU_DEP_3) | instskip(NEXT) | instid1(VALU_DEP_3)
	v_mul_i32_i24_e32 v143, v141, v63
	v_mul_i32_i24_e32 v144, v117, v151
	s_delay_alu instid0(VALU_DEP_3) | instskip(NEXT) | instid1(VALU_DEP_1)
	v_mad_i32_i24 v142, v140, v173, v142
	v_add3_u32 v142, v142, v143, v144
	v_and_b32_e32 v143, 3, v8
	v_bfe_u32 v144, v8, 8, 2
	s_set_vgpr_msb 4                        ;  msbs: dst=0 src0=0 src1=1 src2=0
	s_delay_alu instid0(VALU_DEP_2) | instskip(SKIP_3) | instid1(VALU_DEP_2)
	v_mul_i32_i24_e32 v8, v143, v102 /*v358*/
	s_set_vgpr_msb 1                        ;  msbs: dst=0 src0=1 src1=0 src2=0
	v_mul_i32_i24_e32 v6, v123 /*v379*/, v143
	s_set_vgpr_msb 4                        ;  msbs: dst=0 src0=0 src1=1 src2=0
	v_mad_i32_i24 v8, v144, v103 /*v359*/, v8
	s_set_vgpr_msb 1                        ;  msbs: dst=0 src0=1 src1=0 src2=0
	s_delay_alu instid0(VALU_DEP_2) | instskip(SKIP_1) | instid1(VALU_DEP_2)
	v_mad_i32_i24 v6, v148 /*v404*/, v144, v6
	s_set_vgpr_msb 0                        ;  msbs: dst=0 src0=0 src1=0 src2=0
	v_add3_u32 v147, v8, v147, v148
	s_set_vgpr_msb 4                        ;  msbs: dst=0 src0=0 src1=1 src2=0
	v_mul_i32_i24_e32 v8, v9, v56 /*v312*/
	s_set_vgpr_msb 0                        ;  msbs: dst=0 src0=0 src1=0 src2=0
	v_mul_i32_i24_e32 v148, v124, v154
	s_set_vgpr_msb 4                        ;  msbs: dst=0 src0=0 src1=1 src2=0
	s_delay_alu instid0(VALU_DEP_2) | instskip(SKIP_1) | instid1(VALU_DEP_1)
	v_mad_i32_i24 v8, v10, v57 /*v313*/, v8
	s_set_vgpr_msb 0                        ;  msbs: dst=0 src0=0 src1=0 src2=0
	v_add3_u32 v148, v8, v148, v149
	v_ashrrev_i32_e32 v8, s18, v102
	s_delay_alu instid0(VALU_DEP_1)
	v_and_b32_e32 v149, 3, v8
	v_bfe_u32 v190, v8, 8, 2
	v_bfe_u32 v191, v8, 24, 2
	;; [unrolled: 1-line block ×3, first 2 shown]
	s_set_vgpr_msb 4                        ;  msbs: dst=0 src0=0 src1=1 src2=0
	v_mul_i32_i24_e32 v8, v149, v102 /*v358*/
	s_delay_alu instid0(VALU_DEP_3) | instskip(NEXT) | instid1(VALU_DEP_3)
	v_mul_i32_i24_e32 v193, v191, v104 /*v360*/
	v_mul_i32_i24_e32 v102, v192, v101 /*v357*/
	s_delay_alu instid0(VALU_DEP_3) | instskip(SKIP_1) | instid1(VALU_DEP_1)
	v_mad_i32_i24 v8, v190, v103 /*v359*/, v8
	s_set_vgpr_msb 0                        ;  msbs: dst=0 src0=0 src1=0 src2=0
	v_add3_u32 v193, v8, v102, v193
	s_set_vgpr_msb 4                        ;  msbs: dst=0 src0=0 src1=1 src2=0
	v_mul_i32_i24_e32 v8, v103, v56 /*v312*/
	s_set_vgpr_msb 0                        ;  msbs: dst=0 src0=0 src1=0 src2=0
	v_mul_i32_i24_e32 v102, v132, v154
	s_set_vgpr_msb 4                        ;  msbs: dst=0 src0=0 src1=1 src2=0
	s_delay_alu instid0(VALU_DEP_2) | instskip(SKIP_1) | instid1(VALU_DEP_1)
	v_mad_i32_i24 v8, v114, v57 /*v313*/, v8
	s_set_vgpr_msb 0                        ;  msbs: dst=0 src0=0 src1=0 src2=0
	v_add3_u32 v194, v8, v102, v194
	v_ashrrev_i32_e32 v8, s18, v116
	s_delay_alu instid0(VALU_DEP_1)
	v_and_b32_e32 v195, 3, v8
	v_bfe_u32 v196, v8, 8, 2
	v_bfe_u32 v197, v8, 24, 2
	;; [unrolled: 1-line block ×3, first 2 shown]
	s_set_vgpr_msb 4                        ;  msbs: dst=0 src0=0 src1=1 src2=0
	v_mul_i32_i24_e32 v8, v195, v102 /*v358*/
	s_delay_alu instid0(VALU_DEP_3) | instskip(NEXT) | instid1(VALU_DEP_3)
	v_mul_i32_i24_e32 v116, v197, v104 /*v360*/
	v_mul_i32_i24_e32 v102, v198, v101 /*v357*/
	s_delay_alu instid0(VALU_DEP_3) | instskip(SKIP_1) | instid1(VALU_DEP_1)
	v_mad_i32_i24 v8, v196, v103 /*v359*/, v8
	s_set_vgpr_msb 0                        ;  msbs: dst=0 src0=0 src1=0 src2=0
	v_add3_u32 v199, v8, v102, v116
	s_set_vgpr_msb 4                        ;  msbs: dst=0 src0=0 src1=1 src2=0
	v_mul_i32_i24_e32 v8, v118, v56 /*v312*/
	s_set_vgpr_msb 0                        ;  msbs: dst=0 src0=0 src1=0 src2=0
	v_mul_i32_i24_e32 v102, v141, v154
	v_mul_i32_i24_e32 v116, v117, v155
	s_set_vgpr_msb 4                        ;  msbs: dst=0 src0=0 src1=1 src2=0
	v_mad_i32_i24 v8, v140, v57 /*v313*/, v8
	s_set_vgpr_msb 0                        ;  msbs: dst=0 src0=0 src1=0 src2=0
	s_delay_alu instid0(VALU_DEP_1) | instskip(SKIP_4) | instid1(VALU_DEP_3)
	v_add3_u32 v200, v8, v102, v116
	s_set_vgpr_msb 4                        ;  msbs: dst=0 src0=0 src1=1 src2=0
	v_mul_i32_i24_e32 v8, v143, v114 /*v370*/
	v_mul_i32_i24_e32 v102, v146, v113 /*v369*/
	v_mul_i32_i24_e32 v116, v145, v116 /*v372*/
	v_mad_i32_i24 v8, v144, v115 /*v371*/, v8
	s_set_vgpr_msb 0                        ;  msbs: dst=0 src0=0 src1=0 src2=0
	s_delay_alu instid0(VALU_DEP_1) | instskip(SKIP_4) | instid1(VALU_DEP_3)
	v_add3_u32 v201, v8, v102, v116
	s_set_vgpr_msb 4                        ;  msbs: dst=0 src0=0 src1=1 src2=0
	v_mul_i32_i24_e32 v8, v149, v114 /*v370*/
	v_mul_i32_i24_e32 v102, v192, v113 /*v369*/
	v_mul_i32_i24_e32 v116, v191, v116 /*v372*/
	;; [unrolled: 8-line block ×17, first 2 shown]
	v_mad_i32_i24 v8, v190, v109 /*v365*/, v8
	s_set_vgpr_msb 64                       ;  msbs: dst=1 src0=0 src1=0 src2=0
	s_delay_alu instid0(VALU_DEP_1)
	v_add3_u32 v138 /*v394*/, v8, v102, v116
	s_set_vgpr_msb 0                        ;  msbs: dst=0 src0=0 src1=0 src2=0
	v_mul_i32_i24_e32 v8, v9, v167
	v_mul_i32_i24_e32 v102, v124, v160
	v_mul_i32_i24_e32 v116, v125, v172
	s_set_vgpr_msb 4                        ;  msbs: dst=0 src0=0 src1=1 src2=0
	s_delay_alu instid0(VALU_DEP_3) | instskip(SKIP_1) | instid1(VALU_DEP_1)
	v_mad_i32_i24 v8, v10, v65 /*v321*/, v8
	s_set_vgpr_msb 64                       ;  msbs: dst=1 src0=0 src1=0 src2=0
	v_add3_u32 v139 /*v395*/, v8, v102, v116
	s_set_vgpr_msb 0                        ;  msbs: dst=0 src0=0 src1=0 src2=0
	v_mul_i32_i24_e32 v8, v103, v167
	v_mul_i32_i24_e32 v102, v132, v160
	v_mul_i32_i24_e32 v116, v133, v172
	s_set_vgpr_msb 4                        ;  msbs: dst=0 src0=0 src1=1 src2=0
	s_delay_alu instid0(VALU_DEP_3) | instskip(SKIP_1) | instid1(VALU_DEP_1)
	v_mad_i32_i24 v8, v114, v65 /*v321*/, v8
	s_set_vgpr_msb 64                       ;  msbs: dst=1 src0=0 src1=0 src2=0
	v_add3_u32 v140 /*v396*/, v8, v102, v116
	s_set_vgpr_msb 0                        ;  msbs: dst=0 src0=0 src1=0 src2=0
	v_mul_i32_i24_e32 v8, v118, v167
	v_mul_i32_i24_e32 v102, v141, v160
	v_mul_i32_i24_e32 v116, v117, v172
	s_set_vgpr_msb 4                        ;  msbs: dst=0 src0=0 src1=1 src2=0
	s_delay_alu instid0(VALU_DEP_3) | instskip(SKIP_1) | instid1(VALU_DEP_1)
	v_mad_i32_i24 v8, v140, v65 /*v321*/, v8
	s_set_vgpr_msb 64                       ;  msbs: dst=1 src0=0 src1=0 src2=0
	v_add3_u32 v141 /*v397*/, v8, v102, v116
	s_set_vgpr_msb 4                        ;  msbs: dst=0 src0=0 src1=1 src2=0
	v_mul_i32_i24_e32 v8, v103, v68 /*v324*/
	s_set_vgpr_msb 0                        ;  msbs: dst=0 src0=0 src1=0 src2=0
	v_mul_i32_i24_e32 v102, v132, v170
	s_set_vgpr_msb 4                        ;  msbs: dst=0 src0=0 src1=1 src2=0
	v_mul_i32_i24_e32 v116, v133, v18 /*v274*/
	v_mad_i32_i24 v8, v114, v69 /*v325*/, v8
	s_set_vgpr_msb 64                       ;  msbs: dst=1 src0=0 src1=0 src2=0
	s_delay_alu instid0(VALU_DEP_1)
	v_add3_u32 v142 /*v398*/, v8, v102, v116
	s_set_vgpr_msb 4                        ;  msbs: dst=0 src0=0 src1=1 src2=0
	v_mul_i32_i24_e32 v8, v9, v68 /*v324*/
	s_set_vgpr_msb 0                        ;  msbs: dst=0 src0=0 src1=0 src2=0
	v_mul_i32_i24_e32 v102, v124, v170
	s_set_vgpr_msb 4                        ;  msbs: dst=0 src0=0 src1=1 src2=0
	v_mul_i32_i24_e32 v116, v125, v18 /*v274*/
	v_mad_i32_i24 v8, v10, v69 /*v325*/, v8
	s_set_vgpr_msb 64                       ;  msbs: dst=1 src0=0 src1=0 src2=0
	s_delay_alu instid0(VALU_DEP_1) | instskip(SKIP_4) | instid1(VALU_DEP_3)
	v_add3_u32 v143 /*v399*/, v8, v102, v116
	s_set_vgpr_msb 4                        ;  msbs: dst=0 src0=0 src1=1 src2=0
	v_mul_i32_i24_e32 v8, v195, v108 /*v364*/
	v_mul_i32_i24_e32 v102, v198, v107 /*v363*/
	;; [unrolled: 1-line block ×3, first 2 shown]
	v_mad_i32_i24 v8, v196, v109 /*v365*/, v8
	s_set_vgpr_msb 64                       ;  msbs: dst=1 src0=0 src1=0 src2=0
	s_delay_alu instid0(VALU_DEP_1)
	v_add3_u32 v144 /*v400*/, v8, v102, v116
	s_set_vgpr_msb 4                        ;  msbs: dst=0 src0=0 src1=1 src2=0
	v_mul_i32_i24_e32 v8, v118, v68 /*v324*/
	s_set_vgpr_msb 0                        ;  msbs: dst=0 src0=0 src1=0 src2=0
	v_mul_i32_i24_e32 v102, v141, v170
	s_set_vgpr_msb 4                        ;  msbs: dst=0 src0=0 src1=1 src2=0
	v_mul_i32_i24_e32 v116, v117, v18 /*v274*/
	v_mad_i32_i24 v8, v140, v69 /*v325*/, v8
	s_set_vgpr_msb 64                       ;  msbs: dst=1 src0=0 src1=0 src2=0
	s_delay_alu instid0(VALU_DEP_1) | instskip(SKIP_4) | instid1(VALU_DEP_3)
	v_add3_u32 v145 /*v401*/, v8, v102, v116
	s_set_vgpr_msb 4                        ;  msbs: dst=0 src0=0 src1=1 src2=0
	v_mul_i32_i24_e32 v8, v143, v84 /*v340*/
	v_mul_i32_i24_e32 v102, v146, v86 /*v342*/
	v_mul_i32_i24_e32 v116, v145, v87 /*v343*/
	v_mad_i32_i24 v8, v144, v85 /*v341*/, v8
	s_set_vgpr_msb 64                       ;  msbs: dst=1 src0=0 src1=0 src2=0
	s_delay_alu instid0(VALU_DEP_1)
	v_add3_u32 v146 /*v402*/, v8, v102, v116
	s_set_vgpr_msb 4                        ;  msbs: dst=0 src0=0 src1=1 src2=0
	v_mul_i32_i24_e32 v8, v9, v40 /*v296*/
	s_set_vgpr_msb 0                        ;  msbs: dst=0 src0=0 src1=0 src2=0
	v_mul_i32_i24_e32 v102, v124, v61
	v_mul_i32_i24_e32 v116, v125, v59
	s_set_vgpr_msb 4                        ;  msbs: dst=0 src0=0 src1=1 src2=0
	v_mad_i32_i24 v8, v10, v36 /*v292*/, v8
	s_set_vgpr_msb 64                       ;  msbs: dst=1 src0=0 src1=0 src2=0
	s_delay_alu instid0(VALU_DEP_1) | instskip(SKIP_4) | instid1(VALU_DEP_1)
	v_add3_u32 v147 /*v403*/, v8, v102, v116
	s_set_vgpr_msb 1                        ;  msbs: dst=0 src0=1 src1=0 src2=0
	v_mul_i32_i24_e32 v8, v122 /*v378*/, v146
	v_mul_i32_i24_e32 v102, v121 /*v377*/, v145
	s_set_vgpr_msb 64                       ;  msbs: dst=1 src0=0 src1=0 src2=0
	v_add3_u32 v149 /*v405*/, v6, v8, v102
	s_set_vgpr_msb 1                        ;  msbs: dst=0 src0=1 src1=0 src2=0
	v_mul_i32_i24_e32 v6, v123 /*v379*/, v149
	v_mul_i32_i24_e32 v8, v122 /*v378*/, v192
	;; [unrolled: 1-line block ×3, first 2 shown]
	s_delay_alu instid0(VALU_DEP_3) | instskip(SKIP_1) | instid1(VALU_DEP_1)
	v_mad_i32_i24 v6, v148 /*v404*/, v190, v6
	s_set_vgpr_msb 64                       ;  msbs: dst=1 src0=0 src1=0 src2=0
	v_add3_u32 v150 /*v406*/, v6, v8, v102
	s_set_vgpr_msb 1                        ;  msbs: dst=0 src0=1 src1=0 src2=0
	v_mul_i32_i24_e32 v6, v123 /*v379*/, v195
	v_mul_i32_i24_e32 v8, v122 /*v378*/, v198
	;; [unrolled: 1-line block ×3, first 2 shown]
	s_delay_alu instid0(VALU_DEP_3) | instskip(SKIP_1) | instid1(VALU_DEP_1)
	v_mad_i32_i24 v6, v148 /*v404*/, v196, v6
	s_set_vgpr_msb 64                       ;  msbs: dst=1 src0=0 src1=0 src2=0
	v_add3_u32 v151 /*v407*/, v6, v8, v102
	s_set_vgpr_msb 4                        ;  msbs: dst=0 src0=0 src1=1 src2=0
	v_mul_i32_i24_e32 v6, v149, v84 /*v340*/
	v_mul_i32_i24_e32 v8, v192, v86 /*v342*/
	;; [unrolled: 1-line block ×3, first 2 shown]
	s_delay_alu instid0(VALU_DEP_3) | instskip(SKIP_1) | instid1(VALU_DEP_1)
	v_mad_i32_i24 v6, v190, v85 /*v341*/, v6
	s_set_vgpr_msb 64                       ;  msbs: dst=1 src0=0 src1=0 src2=0
	v_add3_u32 v152 /*v408*/, v6, v8, v102
	s_set_vgpr_msb 4                        ;  msbs: dst=0 src0=0 src1=1 src2=0
	v_mul_i32_i24_e32 v6, v103, v40 /*v296*/
	s_set_vgpr_msb 0                        ;  msbs: dst=0 src0=0 src1=0 src2=0
	v_mul_i32_i24_e32 v8, v132, v61
	v_mul_i32_i24_e32 v102, v133, v59
	s_set_vgpr_msb 4                        ;  msbs: dst=0 src0=0 src1=1 src2=0
	v_mad_i32_i24 v6, v114, v36 /*v292*/, v6
	s_set_vgpr_msb 64                       ;  msbs: dst=1 src0=0 src1=0 src2=0
	s_delay_alu instid0(VALU_DEP_1)
	v_add3_u32 v153 /*v409*/, v6, v8, v102
	s_set_vgpr_msb 4                        ;  msbs: dst=0 src0=0 src1=1 src2=0
	v_mul_i32_i24_e32 v6, v195, v84 /*v340*/
	v_mul_i32_i24_e32 v8, v198, v86 /*v342*/
	;; [unrolled: 1-line block ×3, first 2 shown]
	s_set_vgpr_msb 0                        ;  msbs: dst=0 src0=0 src1=0 src2=0
	v_mul_i32_i24_e32 v197, v14, v197
	s_set_vgpr_msb 4                        ;  msbs: dst=0 src0=0 src1=1 src2=0
	v_mad_i32_i24 v6, v196, v85 /*v341*/, v6
	s_set_vgpr_msb 64                       ;  msbs: dst=1 src0=0 src1=0 src2=0
	s_delay_alu instid0(VALU_DEP_1)
	v_add3_u32 v154 /*v410*/, v6, v8, v102
	s_set_vgpr_msb 4                        ;  msbs: dst=0 src0=0 src1=1 src2=0
	v_mul_i32_i24_e32 v6, v118, v40 /*v296*/
	s_set_vgpr_msb 0                        ;  msbs: dst=0 src0=0 src1=0 src2=0
	v_mul_i32_i24_e32 v8, v141, v61
	v_mul_i32_i24_e32 v102, v117, v59
	s_set_vgpr_msb 4                        ;  msbs: dst=0 src0=0 src1=1 src2=0
	v_mad_i32_i24 v6, v140, v36 /*v292*/, v6
	s_set_vgpr_msb 64                       ;  msbs: dst=1 src0=0 src1=0 src2=0
	s_delay_alu instid0(VALU_DEP_1)
	v_add3_u32 v155 /*v411*/, v6, v8, v102
	s_set_vgpr_msb 0                        ;  msbs: dst=0 src0=0 src1=0 src2=0
	v_bfe_i32 v102, v7, 0, 8
	v_mul_i32_i24_e32 v6, v9, v101
	v_mul_i32_i24_e32 v7, v124, v110
	v_mul_i32_i24_e32 v8, v125, v100
	s_delay_alu instid0(VALU_DEP_3) | instskip(NEXT) | instid1(VALU_DEP_1)
	v_mad_i32_i24 v6, v10, v102, v6
	v_add3_u32 v124, v6, v7, v8
	v_mul_i32_i24_e32 v6, v103, v101
	v_mul_i32_i24_e32 v7, v132, v110
	v_mul_i32_i24_e32 v8, v133, v100
	s_delay_alu instid0(VALU_DEP_3) | instskip(NEXT) | instid1(VALU_DEP_1)
	v_mad_i32_i24 v6, v114, v102, v6
	v_add3_u32 v125, v6, v7, v8
	;; [unrolled: 6-line block ×3, first 2 shown]
	ds_load_2addr_b32 v[8:9], v81 offset1:1
	ds_load_2addr_b32 v[6:7], v81 offset0:2 offset1:3
	ds_load_2addr_b32 v[116:117], v81 offset0:4 offset1:5
	s_wait_dscnt 0x2
	v_dual_ashrrev_i32 v9, s18, v9 :: v_dual_ashrrev_i32 v8, s18, v8
	s_wait_dscnt 0x0
	v_ashrrev_i32_e32 v117, s18, v117
	s_delay_alu instid0(VALU_DEP_2)
	v_and_b32_e32 v132, 3, v9
	v_bfe_u32 v133, v9, 8, 2
	v_bfe_u32 v140, v9, 16, 2
	;; [unrolled: 1-line block ×3, first 2 shown]
	s_set_vgpr_msb 64                       ;  msbs: dst=1 src0=0 src1=0 src2=0
	v_bfe_u32 v159 /*v415*/, v8, 8, 2
	s_set_vgpr_msb 4                        ;  msbs: dst=0 src0=0 src1=1 src2=0
	v_mul_i32_i24_e32 v9, v132, v97 /*v353*/
	s_set_vgpr_msb 64                       ;  msbs: dst=1 src0=0 src1=0 src2=0
	v_bfe_u32 v160 /*v416*/, v8, 16, 2
	s_set_vgpr_msb 4                        ;  msbs: dst=0 src0=0 src1=1 src2=0
	v_mul_i32_i24_e32 v10, v140, v95 /*v351*/
	v_mul_i32_i24_e32 v103, v141, v96 /*v352*/
	v_mad_i32_i24 v9, v133, v94 /*v350*/, v9
	s_set_vgpr_msb 0x45                     ;  msbs: dst=1 src0=1 src1=1 src2=0
	v_mul_i32_i24_e32 v161 /*v417*/, v160 /*v416*/, v101 /*v357*/
	s_set_vgpr_msb 64                       ;  msbs: dst=1 src0=0 src1=0 src2=0
	s_delay_alu instid0(VALU_DEP_2) | instskip(SKIP_2) | instid1(VALU_DEP_1)
	v_add3_u32 v156 /*v412*/, v9, v10, v103
	s_set_vgpr_msb 0                        ;  msbs: dst=0 src0=0 src1=0 src2=0
	v_ashrrev_i32_e32 v9, s18, v116
	v_and_b32_e32 v10, 3, v9
	v_bfe_u32 v114, v9, 8, 2
	v_bfe_u32 v116, v9, 16, 2
	;; [unrolled: 1-line block ×3, first 2 shown]
	s_delay_alu instid0(VALU_DEP_4)
	v_mul_i32_i24_e32 v103, v10, v168
	s_set_vgpr_msb 1                        ;  msbs: dst=0 src0=1 src1=0 src2=0
	v_add_nc_u32_e32 v168, v46 /*v302*/, v168
	s_set_vgpr_msb 64                       ;  msbs: dst=1 src0=0 src1=0 src2=0
	v_mul_i32_i24_e32 v157 /*v413*/, v116, v63
	v_mul_i32_i24_e32 v158 /*v414*/, v9, v151
	;; [unrolled: 1-line block ×3, first 2 shown]
	s_set_vgpr_msb 0                        ;  msbs: dst=0 src0=0 src1=0 src2=0
	v_mad_i32_i24 v103, v114, v173, v103
	s_set_vgpr_msb 0x44                     ;  msbs: dst=1 src0=0 src1=1 src2=0
	v_mul_i32_i24_e32 v166 /*v422*/, v9, v2 /*v258*/
	s_set_vgpr_msb 64                       ;  msbs: dst=1 src0=0 src1=0 src2=0
	v_mul_i32_i24_e32 v168 /*v424*/, v9, v59
	s_set_vgpr_msb 0x44                     ;  msbs: dst=1 src0=0 src1=1 src2=0
	v_mul_i32_i24_e32 v170 /*v426*/, v9, v20 /*v276*/
	s_set_vgpr_msb 64                       ;  msbs: dst=1 src0=0 src1=0 src2=0
	v_mul_i32_i24_e32 v172 /*v428*/, v9, v172
	s_set_vgpr_msb 0x54                     ;  msbs: dst=1 src0=0 src1=1 src2=1
	v_add3_u32 v157 /*v413*/, v103, v157 /*v413*/, v158 /*v414*/
	s_set_vgpr_msb 64                       ;  msbs: dst=1 src0=0 src1=0 src2=0
	v_and_b32_e32 v158 /*v414*/, 3, v8
	s_set_vgpr_msb 0                        ;  msbs: dst=0 src0=0 src1=0 src2=0
	v_bfe_u32 v103, v8, 24, 2
	s_set_vgpr_msb 0x44                     ;  msbs: dst=1 src0=0 src1=1 src2=0
	v_mul_i32_i24_e32 v173 /*v429*/, v9, v18 /*v274*/
	s_set_vgpr_msb 0                        ;  msbs: dst=0 src0=0 src1=0 src2=0
	v_mul_i32_i24_e32 v9, v9, v100
	s_set_vgpr_msb 1                        ;  msbs: dst=0 src0=1 src1=0 src2=0
	v_add_nc_u32_e32 v173, v47 /*v303*/, v173
	s_set_vgpr_msb 5                        ;  msbs: dst=0 src0=1 src1=1 src2=0
	v_mul_i32_i24_e32 v8, v158 /*v414*/, v102 /*v358*/
	s_set_vgpr_msb 0x44                     ;  msbs: dst=1 src0=0 src1=1 src2=0
	v_mul_i32_i24_e32 v162 /*v418*/, v103, v104 /*v360*/
	v_mul_i32_i24_e32 v164 /*v420*/, v103, v116 /*v372*/
	;; [unrolled: 1-line block ×4, first 2 shown]
	s_set_vgpr_msb 5                        ;  msbs: dst=0 src0=1 src1=1 src2=0
	v_mad_i32_i24 v8, v159 /*v415*/, v103 /*v359*/, v8
	s_set_vgpr_msb 0x44                     ;  msbs: dst=1 src0=0 src1=1 src2=0
	v_mul_i32_i24_e32 v169 /*v425*/, v103, v126 /*v382*/
	v_mul_i32_i24_e32 v171 /*v427*/, v103, v110 /*v366*/
	s_set_vgpr_msb 0x41                     ;  msbs: dst=1 src0=1 src1=0 src2=0
	v_mul_i32_i24_e32 v174 /*v430*/, v121 /*v377*/, v103
	s_set_vgpr_msb 0x45                     ;  msbs: dst=1 src0=1 src1=1 src2=0
	v_add_nc_u32_e32 v87 /*v343*/, v79 /*v335*/, v87 /*v343*/
	s_set_vgpr_msb 0x54                     ;  msbs: dst=1 src0=0 src1=1 src2=1
	v_add3_u32 v161 /*v417*/, v8, v161 /*v417*/, v162 /*v418*/
	s_set_vgpr_msb 4                        ;  msbs: dst=0 src0=0 src1=1 src2=0
	v_mul_i32_i24_e32 v8, v10, v56 /*v312*/
	s_set_vgpr_msb 64                       ;  msbs: dst=1 src0=0 src1=0 src2=0
	v_mul_i32_i24_e32 v162 /*v418*/, v116, v154
	s_set_vgpr_msb 0x41                     ;  msbs: dst=1 src0=1 src1=0 src2=0
	v_add3_u32 v87 /*v343*/, v87 /*v343*/, v247, v40
	s_set_vgpr_msb 4                        ;  msbs: dst=0 src0=0 src1=1 src2=0
	v_mad_i32_i24 v8, v114, v57 /*v313*/, v8
	s_set_vgpr_msb 0x54                     ;  msbs: dst=1 src0=0 src1=1 src2=1
	s_delay_alu instid0(VALU_DEP_1)
	v_add3_u32 v162 /*v418*/, v8, v162 /*v418*/, v163 /*v419*/
	s_set_vgpr_msb 5                        ;  msbs: dst=0 src0=1 src1=1 src2=0
	v_mul_i32_i24_e32 v8, v158 /*v414*/, v114 /*v370*/
	s_set_vgpr_msb 0x45                     ;  msbs: dst=1 src0=1 src1=1 src2=0
	v_mul_i32_i24_e32 v163 /*v419*/, v160 /*v416*/, v113 /*v369*/
	s_set_vgpr_msb 5                        ;  msbs: dst=0 src0=1 src1=1 src2=0
	s_delay_alu instid0(VALU_DEP_2) | instskip(SKIP_1) | instid1(VALU_DEP_1)
	v_mad_i32_i24 v8, v159 /*v415*/, v115 /*v371*/, v8
	s_set_vgpr_msb 0x54                     ;  msbs: dst=1 src0=0 src1=1 src2=1
	v_add3_u32 v163 /*v419*/, v8, v163 /*v419*/, v164 /*v420*/
	s_set_vgpr_msb 5                        ;  msbs: dst=0 src0=1 src1=1 src2=0
	v_mul_i32_i24_e32 v8, v158 /*v414*/, v134 /*v390*/
	s_set_vgpr_msb 0x45                     ;  msbs: dst=1 src0=1 src1=1 src2=0
	v_mul_i32_i24_e32 v164 /*v420*/, v160 /*v416*/, v136 /*v392*/
	v_add_nc_u32_e32 v134 /*v390*/, v127 /*v383*/, v134 /*v390*/
	s_set_vgpr_msb 5                        ;  msbs: dst=0 src0=1 src1=1 src2=0
	v_mad_i32_i24 v8, v159 /*v415*/, v135 /*v391*/, v8
	s_set_vgpr_msb 0x45                     ;  msbs: dst=1 src0=1 src1=1 src2=0
	s_delay_alu instid0(VALU_DEP_2) | instskip(SKIP_1) | instid1(VALU_DEP_2)
	v_add3_u32 v134 /*v390*/, v134 /*v390*/, v50 /*v306*/, v235
	s_set_vgpr_msb 0x54                     ;  msbs: dst=1 src0=0 src1=1 src2=1
	v_add3_u32 v164 /*v420*/, v8, v164 /*v420*/, v165 /*v421*/
	s_set_vgpr_msb 4                        ;  msbs: dst=0 src0=0 src1=1 src2=0
	v_mul_i32_i24_e32 v8, v10, v63 /*v319*/
	s_set_vgpr_msb 0x44                     ;  msbs: dst=1 src0=0 src1=1 src2=0
	v_mul_i32_i24_e32 v165 /*v421*/, v116, v7 /*v263*/
	s_set_vgpr_msb 4                        ;  msbs: dst=0 src0=0 src1=1 src2=0
	s_delay_alu instid0(VALU_DEP_2) | instskip(SKIP_1) | instid1(VALU_DEP_1)
	v_mad_i32_i24 v8, v114, v61 /*v317*/, v8
	s_set_vgpr_msb 0x54                     ;  msbs: dst=1 src0=0 src1=1 src2=1
	v_add3_u32 v165 /*v421*/, v8, v165 /*v421*/, v166 /*v422*/
	s_set_vgpr_msb 5                        ;  msbs: dst=0 src0=1 src1=1 src2=0
	v_mul_i32_i24_e32 v8, v158 /*v414*/, v84 /*v340*/
	s_set_vgpr_msb 0x45                     ;  msbs: dst=1 src0=1 src1=1 src2=0
	v_mul_i32_i24_e32 v166 /*v422*/, v160 /*v416*/, v86 /*v342*/
	v_dual_add_nc_u32 v84 /*v340*/, v88 /*v344*/, v84 /*v340*/ :: v_dual_add_nc_u32 v86 /*v342*/, v78 /*v334*/, v86 /*v342*/
	s_set_vgpr_msb 5                        ;  msbs: dst=0 src0=1 src1=1 src2=0
	v_mad_i32_i24 v8, v159 /*v415*/, v85 /*v341*/, v8
	s_set_vgpr_msb 0x45                     ;  msbs: dst=1 src0=1 src1=1 src2=0
	v_add_nc_u32_e32 v85 /*v341*/, v89 /*v345*/, v85 /*v341*/
	v_add3_u32 v84 /*v340*/, v84 /*v340*/, v30 /*v286*/, v177
	s_set_vgpr_msb 0x41                     ;  msbs: dst=1 src0=1 src1=0 src2=0
	v_add3_u32 v86 /*v342*/, v86 /*v342*/, v246, v39
	s_set_vgpr_msb 0x54                     ;  msbs: dst=1 src0=0 src1=1 src2=1
	v_add3_u32 v166 /*v422*/, v8, v166 /*v422*/, v167 /*v423*/
	s_set_vgpr_msb 4                        ;  msbs: dst=0 src0=0 src1=1 src2=0
	v_mul_i32_i24_e32 v8, v10, v40 /*v296*/
	s_set_vgpr_msb 64                       ;  msbs: dst=1 src0=0 src1=0 src2=0
	v_mul_i32_i24_e32 v167 /*v423*/, v116, v61
	s_set_vgpr_msb 0x45                     ;  msbs: dst=1 src0=1 src1=1 src2=0
	v_add3_u32 v85 /*v341*/, v85 /*v341*/, v31 /*v287*/, v178
	s_set_vgpr_msb 4                        ;  msbs: dst=0 src0=0 src1=1 src2=0
	v_mad_i32_i24 v8, v114, v36 /*v292*/, v8
	s_set_vgpr_msb 0x54                     ;  msbs: dst=1 src0=0 src1=1 src2=1
	s_delay_alu instid0(VALU_DEP_1)
	v_add3_u32 v167 /*v423*/, v8, v167 /*v423*/, v168 /*v424*/
	s_set_vgpr_msb 5                        ;  msbs: dst=0 src0=1 src1=1 src2=0
	v_mul_i32_i24_e32 v8, v158 /*v414*/, v131 /*v387*/
	s_set_vgpr_msb 0x45                     ;  msbs: dst=1 src0=1 src1=1 src2=0
	v_mul_i32_i24_e32 v168 /*v424*/, v160 /*v416*/, v133 /*v389*/
	v_add_nc_u32_e32 v131 /*v387*/, v129 /*v385*/, v131 /*v387*/
	s_set_vgpr_msb 5                        ;  msbs: dst=0 src0=1 src1=1 src2=0
	v_mad_i32_i24 v8, v159 /*v415*/, v132 /*v388*/, v8
	s_set_vgpr_msb 0x45                     ;  msbs: dst=1 src0=1 src1=1 src2=0
	v_add_nc_u32_e32 v132 /*v388*/, v130 /*v386*/, v132 /*v388*/
	v_add3_u32 v131 /*v387*/, v131 /*v387*/, v52 /*v308*/, v237
	s_set_vgpr_msb 0x54                     ;  msbs: dst=1 src0=0 src1=1 src2=1
	v_add3_u32 v168 /*v424*/, v8, v168 /*v424*/, v169 /*v425*/
	s_set_vgpr_msb 4                        ;  msbs: dst=0 src0=0 src1=1 src2=0
	v_mul_i32_i24_e32 v8, v10, v73 /*v329*/
	s_set_vgpr_msb 0x44                     ;  msbs: dst=1 src0=0 src1=1 src2=0
	v_mul_i32_i24_e32 v169 /*v425*/, v116, v21 /*v277*/
	s_set_vgpr_msb 0x45                     ;  msbs: dst=1 src0=1 src1=1 src2=0
	v_add3_u32 v132 /*v388*/, v132 /*v388*/, v53 /*v309*/, v238
	s_set_vgpr_msb 4                        ;  msbs: dst=0 src0=0 src1=1 src2=0
	v_mad_i32_i24 v8, v114, v72 /*v328*/, v8
	s_set_vgpr_msb 0x54                     ;  msbs: dst=1 src0=0 src1=1 src2=1
	s_delay_alu instid0(VALU_DEP_1)
	v_add3_u32 v169 /*v425*/, v8, v169 /*v425*/, v170 /*v426*/
	s_set_vgpr_msb 5                        ;  msbs: dst=0 src0=1 src1=1 src2=0
	v_mul_i32_i24_e32 v8, v158 /*v414*/, v108 /*v364*/
	s_set_vgpr_msb 0x45                     ;  msbs: dst=1 src0=1 src1=1 src2=0
	v_mul_i32_i24_e32 v170 /*v426*/, v160 /*v416*/, v107 /*v363*/
	s_set_vgpr_msb 5                        ;  msbs: dst=0 src0=1 src1=1 src2=0
	s_delay_alu instid0(VALU_DEP_2) | instskip(SKIP_1) | instid1(VALU_DEP_1)
	v_mad_i32_i24 v8, v159 /*v415*/, v109 /*v365*/, v8
	s_set_vgpr_msb 0x54                     ;  msbs: dst=1 src0=0 src1=1 src2=1
	v_add3_u32 v170 /*v426*/, v8, v170 /*v426*/, v171 /*v427*/
	s_set_vgpr_msb 0                        ;  msbs: dst=0 src0=0 src1=0 src2=0
	v_mul_i32_i24_e32 v8, v10, v167
	s_set_vgpr_msb 64                       ;  msbs: dst=1 src0=0 src1=0 src2=0
	v_mul_i32_i24_e32 v171 /*v427*/, v116, v160
	s_set_vgpr_msb 4                        ;  msbs: dst=0 src0=0 src1=1 src2=0
	s_delay_alu instid0(VALU_DEP_2) | instskip(SKIP_1) | instid1(VALU_DEP_1)
	v_mad_i32_i24 v8, v114, v65 /*v321*/, v8
	s_set_vgpr_msb 0x54                     ;  msbs: dst=1 src0=0 src1=1 src2=1
	v_add3_u32 v171 /*v427*/, v8, v171 /*v427*/, v172 /*v428*/
	s_set_vgpr_msb 4                        ;  msbs: dst=0 src0=0 src1=1 src2=0
	v_mul_i32_i24_e32 v8, v10, v68 /*v324*/
	s_set_vgpr_msb 64                       ;  msbs: dst=1 src0=0 src1=0 src2=0
	v_mul_i32_i24_e32 v172 /*v428*/, v116, v170
	s_set_vgpr_msb 0                        ;  msbs: dst=0 src0=0 src1=0 src2=0
	v_mul_i32_i24_e32 v10, v10, v101
	v_add_nc_u32_e32 v101, v106, v101
	s_set_vgpr_msb 4                        ;  msbs: dst=0 src0=0 src1=1 src2=0
	v_mad_i32_i24 v8, v114, v69 /*v325*/, v8
	s_set_vgpr_msb 0                        ;  msbs: dst=0 src0=0 src1=0 src2=0
	v_mad_i32_i24 v10, v114, v102, v10
	v_add3_u32 v101, v101, v80, v93
	v_add_nc_u32_e32 v102, v120, v102
	s_set_vgpr_msb 0x54                     ;  msbs: dst=1 src0=0 src1=1 src2=1
	v_add3_u32 v172 /*v428*/, v8, v172 /*v428*/, v173 /*v429*/
	s_set_vgpr_msb 5                        ;  msbs: dst=0 src0=1 src1=1 src2=0
	v_mul_i32_i24_e32 v8, v123 /*v379*/, v158 /*v414*/
	s_set_vgpr_msb 0x45                     ;  msbs: dst=1 src0=1 src1=1 src2=0
	v_mul_i32_i24_e32 v173 /*v429*/, v122 /*v378*/, v160 /*v416*/
	s_set_vgpr_msb 0                        ;  msbs: dst=0 src0=0 src1=0 src2=0
	v_add3_u32 v102, v102, v112, v92
	s_set_vgpr_msb 5                        ;  msbs: dst=0 src0=1 src1=1 src2=0
	v_mad_i32_i24 v8, v148 /*v404*/, v159 /*v415*/, v8
	s_set_vgpr_msb 0x54                     ;  msbs: dst=1 src0=0 src1=1 src2=1
	s_delay_alu instid0(VALU_DEP_1)
	v_add3_u32 v173 /*v429*/, v8, v173 /*v429*/, v174 /*v430*/
	s_set_vgpr_msb 0                        ;  msbs: dst=0 src0=0 src1=0 src2=0
	v_mul_i32_i24_e32 v8, v116, v110
	s_set_vgpr_msb 64                       ;  msbs: dst=1 src0=0 src1=0 src2=0
	v_ashrrev_i32_e32 v174 /*v430*/, s18, v11
	s_set_vgpr_msb 0x44                     ;  msbs: dst=1 src0=0 src1=1 src2=0
	v_mul_i32_i24_e32 v158 /*v414*/, v166, v158 /*v414*/
	s_set_vgpr_msb 0                        ;  msbs: dst=0 src0=0 src1=0 src2=0
	v_add_nc_u32_e32 v110, v111, v110
	v_add3_u32 v116, v10, v8, v9
	v_add_nc_u32_e32 v8, 0x1088, v81
	v_mul_i32_i24_e32 v10, v166, v143
	s_set_vgpr_msb 0x44                     ;  msbs: dst=1 src0=0 src1=1 src2=0
	v_and_b32_e32 v175 /*v431*/, 3, v174 /*v430*/
	s_set_vgpr_msb 0x41                     ;  msbs: dst=1 src0=1 src1=0 src2=0
	v_bfe_u32 v176 /*v432*/, v174 /*v430*/, 8, 2
	s_set_vgpr_msb 0                        ;  msbs: dst=0 src0=0 src1=0 src2=0
	v_add3_u32 v110, v110, v109, v163
	ds_load_2addr_b32 v[8:9], v8 offset1:1
	s_set_vgpr_msb 5                        ;  msbs: dst=0 src0=1 src1=1 src2=0
	v_mul_i32_i24_e32 v11, v176 /*v432*/, v47 /*v303*/
	s_wait_dscnt 0x0
	s_set_vgpr_msb 0                        ;  msbs: dst=0 src0=0 src1=0 src2=0
	v_ashrrev_i32_e32 v8, s18, v8
	v_mul_i32_i24_e32 v195, v166, v195
	v_dual_ashrrev_i32 v9, s18, v9 :: v_dual_add_nc_u32 v59, v60, v59
	s_delay_alu instid0(VALU_DEP_3) | instskip(SKIP_1) | instid1(VALU_DEP_1)
	v_and_b32_e32 v143, 3, v8
	s_set_vgpr_msb 4                        ;  msbs: dst=0 src0=0 src1=1 src2=0
	v_mul_i32_i24_e32 v114, v143, v98 /*v354*/
	s_set_vgpr_msb 0                        ;  msbs: dst=0 src0=0 src1=0 src2=0
	s_delay_alu instid0(VALU_DEP_1) | instskip(SKIP_4) | instid1(VALU_DEP_2)
	v_add3_u32 v123, v123, v114, v10
	s_set_vgpr_msb 5                        ;  msbs: dst=0 src0=1 src1=1 src2=0
	v_mul_i32_i24_e32 v10, v175 /*v431*/, v46 /*v302*/
	s_set_vgpr_msb 0                        ;  msbs: dst=0 src0=0 src1=0 src2=0
	v_ashrrev_i32_e32 v114, s18, v2
	v_add3_u32 v126, v126, v10, v11
	v_mul_i32_i24_e32 v10, v166, v149
	s_delay_alu instid0(VALU_DEP_3) | instskip(SKIP_3) | instid1(VALU_DEP_2)
	v_and_b32_e32 v149, 3, v114
	s_set_vgpr_msb 5                        ;  msbs: dst=0 src0=1 src1=1 src2=0
	v_mul_i32_i24_e32 v11, v177 /*v433*/, v47 /*v303*/
	s_set_vgpr_msb 4                        ;  msbs: dst=0 src0=0 src1=1 src2=0
	v_mul_i32_i24_e32 v2, v149, v98 /*v354*/
	s_set_vgpr_msb 0                        ;  msbs: dst=0 src0=0 src1=0 src2=0
	s_delay_alu instid0(VALU_DEP_1) | instskip(SKIP_2) | instid1(VALU_DEP_1)
	v_add3_u32 v131, v131, v2, v10
	v_and_b32_e32 v2, 3, v115
	s_set_vgpr_msb 4                        ;  msbs: dst=0 src0=0 src1=1 src2=0
	v_mul_i32_i24_e32 v10, v2, v46 /*v302*/
	s_set_vgpr_msb 0                        ;  msbs: dst=0 src0=0 src1=0 src2=0
	s_delay_alu instid0(VALU_DEP_1)
	v_add3_u32 v134, v134, v10, v11
	v_add_nc_u32_e32 v10, 0x3188, v81
	ds_load_2addr_b32 v[10:11], v10 offset1:1
	s_wait_dscnt 0x0
	s_set_vgpr_msb 64                       ;  msbs: dst=1 src0=0 src1=0 src2=0
	v_ashrrev_i32_e32 v178 /*v434*/, s18, v10
	s_set_vgpr_msb 0x44                     ;  msbs: dst=1 src0=0 src1=1 src2=0
	s_delay_alu instid0(VALU_DEP_1) | instskip(SKIP_1) | instid1(VALU_DEP_1)
	v_and_b32_e32 v179 /*v435*/, 3, v178 /*v434*/
	s_set_vgpr_msb 5                        ;  msbs: dst=0 src0=1 src1=1 src2=0
	v_mul_i32_i24_e32 v10, v179 /*v435*/, v98 /*v354*/
	s_set_vgpr_msb 0                        ;  msbs: dst=0 src0=0 src1=0 src2=0
	s_delay_alu instid0(VALU_DEP_1) | instskip(SKIP_3) | instid1(VALU_DEP_2)
	v_add3_u32 v139, v139, v10, v195
	v_and_b32_e32 v10, 3, v119
	v_bfe_u32 v195, v119, 8, 2
	s_set_vgpr_msb 0x44                     ;  msbs: dst=1 src0=0 src1=1 src2=0
	v_mul_i32_i24_e32 v180 /*v436*/, v10, v46 /*v302*/
	s_delay_alu instid0(VALU_DEP_2) | instskip(SKIP_1) | instid1(VALU_DEP_1)
	v_mul_i32_i24_e32 v181 /*v437*/, v195, v47 /*v303*/
	s_set_vgpr_msb 20                       ;  msbs: dst=0 src0=0 src1=1 src2=1
	v_add3_u32 v142, v142, v180 /*v436*/, v181 /*v437*/
	s_set_vgpr_msb 0x44                     ;  msbs: dst=1 src0=0 src1=1 src2=0
	v_mul_i32_i24_e32 v180 /*v436*/, v122, v105 /*v361*/
	v_mul_i32_i24_e32 v181 /*v437*/, v121, v106 /*v362*/
	s_set_vgpr_msb 20                       ;  msbs: dst=0 src0=0 src1=1 src2=1
	s_delay_alu instid0(VALU_DEP_1) | instskip(SKIP_4) | instid1(VALU_DEP_1)
	v_add3_u32 v147, v147, v180 /*v436*/, v181 /*v437*/
	s_set_vgpr_msb 0x45                     ;  msbs: dst=1 src0=1 src1=1 src2=0
	v_mul_i32_i24_e32 v180 /*v436*/, v175 /*v431*/, v59 /*v315*/
	v_mul_i32_i24_e32 v181 /*v437*/, v176 /*v432*/, v60 /*v316*/
	s_set_vgpr_msb 20                       ;  msbs: dst=0 src0=0 src1=1 src2=1
	v_add3_u32 v148, v148, v180 /*v436*/, v181 /*v437*/
	s_set_vgpr_msb 0x44                     ;  msbs: dst=1 src0=0 src1=1 src2=0
	v_mul_i32_i24_e32 v180 /*v436*/, v127, v105 /*v361*/
	v_mul_i32_i24_e32 v181 /*v437*/, v128, v106 /*v362*/
	s_set_vgpr_msb 20                       ;  msbs: dst=0 src0=0 src1=1 src2=1
	s_delay_alu instid0(VALU_DEP_1)
	v_add3_u32 v193, v193, v180 /*v436*/, v181 /*v437*/
	s_set_vgpr_msb 0x44                     ;  msbs: dst=1 src0=0 src1=1 src2=0
	v_mul_i32_i24_e32 v180 /*v436*/, v2, v59 /*v315*/
	s_set_vgpr_msb 0x45                     ;  msbs: dst=1 src0=1 src1=1 src2=0
	v_mul_i32_i24_e32 v181 /*v437*/, v177 /*v433*/, v60 /*v316*/
	s_set_vgpr_msb 20                       ;  msbs: dst=0 src0=0 src1=1 src2=1
	s_delay_alu instid0(VALU_DEP_1) | instskip(SKIP_4) | instid1(VALU_DEP_1)
	v_add3_u32 v194, v194, v180 /*v436*/, v181 /*v437*/
	s_set_vgpr_msb 0x44                     ;  msbs: dst=1 src0=0 src1=1 src2=0
	v_mul_i32_i24_e32 v180 /*v436*/, v135, v105 /*v361*/
	v_mul_i32_i24_e32 v181 /*v437*/, v136, v106 /*v362*/
	s_set_vgpr_msb 20                       ;  msbs: dst=0 src0=0 src1=1 src2=1
	v_add3_u32 v199, v199, v180 /*v436*/, v181 /*v437*/
	s_set_vgpr_msb 0x44                     ;  msbs: dst=1 src0=0 src1=1 src2=0
	v_mul_i32_i24_e32 v180 /*v436*/, v10, v59 /*v315*/
	v_mul_i32_i24_e32 v181 /*v437*/, v195, v60 /*v316*/
	s_set_vgpr_msb 20                       ;  msbs: dst=0 src0=0 src1=1 src2=1
	s_delay_alu instid0(VALU_DEP_1) | instskip(SKIP_4) | instid1(VALU_DEP_1)
	v_add3_u32 v200, v200, v180 /*v436*/, v181 /*v437*/
	s_set_vgpr_msb 0x44                     ;  msbs: dst=1 src0=0 src1=1 src2=0
	v_mul_i32_i24_e32 v180 /*v436*/, v122, v117 /*v373*/
	v_mul_i32_i24_e32 v181 /*v437*/, v121, v118 /*v374*/
	s_set_vgpr_msb 20                       ;  msbs: dst=0 src0=0 src1=1 src2=1
	v_add3_u32 v201, v201, v180 /*v436*/, v181 /*v437*/
	s_set_vgpr_msb 0x44                     ;  msbs: dst=1 src0=0 src1=1 src2=0
	v_mul_i32_i24_e32 v180 /*v436*/, v127, v117 /*v373*/
	v_mul_i32_i24_e32 v181 /*v437*/, v128, v118 /*v374*/
	;; [unrolled: 11-line block ×4, first 2 shown]
	v_mul_i32_i24_e32 v127 /*v383*/, v132, v127 /*v383*/
	s_set_vgpr_msb 20                       ;  msbs: dst=0 src0=0 src1=1 src2=1
	s_delay_alu instid0(VALU_DEP_2) | instskip(SKIP_4) | instid1(VALU_DEP_1)
	v_add3_u32 v208, v208, v180 /*v436*/, v181 /*v437*/
	s_set_vgpr_msb 0x45                     ;  msbs: dst=1 src0=1 src1=1 src2=0
	v_mul_i32_i24_e32 v180 /*v436*/, v175 /*v431*/, v64 /*v320*/
	v_mul_i32_i24_e32 v181 /*v437*/, v176 /*v432*/, v62 /*v318*/
	s_set_vgpr_msb 20                       ;  msbs: dst=0 src0=0 src1=1 src2=1
	v_add3_u32 v205, v205, v180 /*v436*/, v181 /*v437*/
	s_set_vgpr_msb 0x44                     ;  msbs: dst=1 src0=0 src1=1 src2=0
	v_mul_i32_i24_e32 v180 /*v436*/, v2, v64 /*v320*/
	s_set_vgpr_msb 0x45                     ;  msbs: dst=1 src0=1 src1=1 src2=0
	v_mul_i32_i24_e32 v181 /*v437*/, v177 /*v433*/, v62 /*v318*/
	s_set_vgpr_msb 20                       ;  msbs: dst=0 src0=0 src1=1 src2=1
	s_delay_alu instid0(VALU_DEP_1) | instskip(SKIP_4) | instid1(VALU_DEP_1)
	v_add3_u32 v207, v207, v180 /*v436*/, v181 /*v437*/
	s_set_vgpr_msb 0x44                     ;  msbs: dst=1 src0=0 src1=1 src2=0
	v_mul_i32_i24_e32 v180 /*v436*/, v10, v64 /*v320*/
	v_mul_i32_i24_e32 v181 /*v437*/, v195, v62 /*v318*/
	s_set_vgpr_msb 20                       ;  msbs: dst=0 src0=0 src1=1 src2=1
	v_add3_u32 v209, v209, v180 /*v436*/, v181 /*v437*/
	s_set_vgpr_msb 0x44                     ;  msbs: dst=1 src0=0 src1=1 src2=0
	v_mul_i32_i24_e32 v180 /*v436*/, v122, v129 /*v385*/
	v_mul_i32_i24_e32 v181 /*v437*/, v121, v130 /*v386*/
	s_set_vgpr_msb 20                       ;  msbs: dst=0 src0=0 src1=1 src2=1
	s_delay_alu instid0(VALU_DEP_1) | instskip(SKIP_4) | instid1(VALU_DEP_1)
	v_add3_u32 v210, v210, v180 /*v436*/, v181 /*v437*/
	s_set_vgpr_msb 0x45                     ;  msbs: dst=1 src0=1 src1=1 src2=0
	v_mul_i32_i24_e32 v180 /*v436*/, v175 /*v431*/, v75 /*v331*/
	v_mul_i32_i24_e32 v181 /*v437*/, v176 /*v432*/, v74 /*v330*/
	s_set_vgpr_msb 20                       ;  msbs: dst=0 src0=0 src1=1 src2=1
	v_add3_u32 v228, v228, v180 /*v436*/, v181 /*v437*/
	s_set_vgpr_msb 0x44                     ;  msbs: dst=1 src0=0 src1=1 src2=0
	v_mul_i32_i24_e32 v180 /*v436*/, v127, v129 /*v385*/
	v_mul_i32_i24_e32 v181 /*v437*/, v128, v130 /*v386*/
	s_set_vgpr_msb 20                       ;  msbs: dst=0 src0=0 src1=1 src2=1
	s_delay_alu instid0(VALU_DEP_1)
	v_add3_u32 v229, v229, v180 /*v436*/, v181 /*v437*/
	s_set_vgpr_msb 0x44                     ;  msbs: dst=1 src0=0 src1=1 src2=0
	v_mul_i32_i24_e32 v180 /*v436*/, v2, v75 /*v331*/
	s_set_vgpr_msb 0x45                     ;  msbs: dst=1 src0=1 src1=1 src2=0
	v_mul_i32_i24_e32 v181 /*v437*/, v177 /*v433*/, v74 /*v330*/
	s_set_vgpr_msb 20                       ;  msbs: dst=0 src0=0 src1=1 src2=1
	s_delay_alu instid0(VALU_DEP_1)
	v_add3_u32 v230, v230, v180 /*v436*/, v181 /*v437*/
	s_set_vgpr_msb 0x44                     ;  msbs: dst=1 src0=0 src1=1 src2=0
	v_mul_i32_i24_e32 v180 /*v436*/, v135, v129 /*v385*/
	v_mul_i32_i24_e32 v181 /*v437*/, v136, v130 /*v386*/
	;; [unrolled: 1-line block ×4, first 2 shown]
	s_set_vgpr_msb 20                       ;  msbs: dst=0 src0=0 src1=1 src2=1
	s_delay_alu instid0(VALU_DEP_3)
	v_add3_u32 v231, v231, v180 /*v436*/, v181 /*v437*/
	s_set_vgpr_msb 0x44                     ;  msbs: dst=1 src0=0 src1=1 src2=0
	v_mul_i32_i24_e32 v180 /*v436*/, v10, v75 /*v331*/
	v_mul_i32_i24_e32 v181 /*v437*/, v195, v74 /*v330*/
	s_set_vgpr_msb 0x55                     ;  msbs: dst=1 src0=1 src1=1 src2=1
	v_add3_u32 v129 /*v385*/, v168 /*v424*/, v129 /*v385*/, v130 /*v386*/
	s_set_vgpr_msb 20                       ;  msbs: dst=0 src0=0 src1=1 src2=1
	s_delay_alu instid0(VALU_DEP_2) | instskip(SKIP_4) | instid1(VALU_DEP_1)
	v_add3_u32 v232, v232, v180 /*v436*/, v181 /*v437*/
	s_set_vgpr_msb 0x44                     ;  msbs: dst=1 src0=0 src1=1 src2=0
	v_mul_i32_i24_e32 v180 /*v436*/, v122, v111 /*v367*/
	v_mul_i32_i24_e32 v181 /*v437*/, v121, v112 /*v368*/
	s_set_vgpr_msb 20                       ;  msbs: dst=0 src0=0 src1=1 src2=1
	v_add3_u32 v233, v233, v180 /*v436*/, v181 /*v437*/
	s_set_vgpr_msb 0x44                     ;  msbs: dst=1 src0=0 src1=1 src2=0
	v_mul_i32_i24_e32 v180 /*v436*/, v127, v111 /*v367*/
	v_mul_i32_i24_e32 v181 /*v437*/, v128, v112 /*v368*/
	s_set_vgpr_msb 0x55                     ;  msbs: dst=1 src0=1 src1=1 src2=1
	s_delay_alu instid0(VALU_DEP_1) | instskip(SKIP_2) | instid1(VALU_DEP_1)
	v_add3_u32 v138 /*v394*/, v138 /*v394*/, v180 /*v436*/, v181 /*v437*/
	v_mul_i32_i24_e32 v180 /*v436*/, v175 /*v431*/, v66 /*v322*/
	v_mul_i32_i24_e32 v181 /*v437*/, v176 /*v432*/, v67 /*v323*/
	v_add3_u32 v139 /*v395*/, v139 /*v395*/, v180 /*v436*/, v181 /*v437*/
	s_set_vgpr_msb 0x44                     ;  msbs: dst=1 src0=0 src1=1 src2=0
	v_mul_i32_i24_e32 v180 /*v436*/, v2, v66 /*v322*/
	s_set_vgpr_msb 0x55                     ;  msbs: dst=1 src0=1 src1=1 src2=1
	v_mul_i32_i24_e32 v181 /*v437*/, v177 /*v433*/, v67 /*v323*/
	s_delay_alu instid0(VALU_DEP_1) | instskip(SKIP_4) | instid1(VALU_DEP_1)
	v_add3_u32 v140 /*v396*/, v140 /*v396*/, v180 /*v436*/, v181 /*v437*/
	s_set_vgpr_msb 0x44                     ;  msbs: dst=1 src0=0 src1=1 src2=0
	v_mul_i32_i24_e32 v180 /*v436*/, v10, v66 /*v322*/
	v_mul_i32_i24_e32 v181 /*v437*/, v195, v67 /*v323*/
	s_set_vgpr_msb 0x55                     ;  msbs: dst=1 src0=1 src1=1 src2=1
	v_add3_u32 v141 /*v397*/, v141 /*v397*/, v180 /*v436*/, v181 /*v437*/
	s_set_vgpr_msb 0x44                     ;  msbs: dst=1 src0=0 src1=1 src2=0
	v_mul_i32_i24_e32 v180 /*v436*/, v2, v70 /*v326*/
	s_set_vgpr_msb 0x55                     ;  msbs: dst=1 src0=1 src1=1 src2=1
	v_mul_i32_i24_e32 v181 /*v437*/, v177 /*v433*/, v71 /*v327*/
	s_delay_alu instid0(VALU_DEP_1) | instskip(SKIP_2) | instid1(VALU_DEP_1)
	v_add3_u32 v142 /*v398*/, v142 /*v398*/, v180 /*v436*/, v181 /*v437*/
	v_mul_i32_i24_e32 v180 /*v436*/, v175 /*v431*/, v70 /*v326*/
	v_mul_i32_i24_e32 v181 /*v437*/, v176 /*v432*/, v71 /*v327*/
	v_add3_u32 v143 /*v399*/, v143 /*v399*/, v180 /*v436*/, v181 /*v437*/
	s_set_vgpr_msb 0x44                     ;  msbs: dst=1 src0=0 src1=1 src2=0
	v_mul_i32_i24_e32 v180 /*v436*/, v135, v111 /*v367*/
	v_mul_i32_i24_e32 v181 /*v437*/, v136, v112 /*v368*/
	s_set_vgpr_msb 0x55                     ;  msbs: dst=1 src0=1 src1=1 src2=1
	s_delay_alu instid0(VALU_DEP_1) | instskip(SKIP_4) | instid1(VALU_DEP_1)
	v_add3_u32 v144 /*v400*/, v144 /*v400*/, v180 /*v436*/, v181 /*v437*/
	s_set_vgpr_msb 0x44                     ;  msbs: dst=1 src0=0 src1=1 src2=0
	v_mul_i32_i24_e32 v180 /*v436*/, v10, v70 /*v326*/
	v_mul_i32_i24_e32 v181 /*v437*/, v195, v71 /*v327*/
	s_set_vgpr_msb 0x55                     ;  msbs: dst=1 src0=1 src1=1 src2=1
	v_add3_u32 v145 /*v401*/, v145 /*v401*/, v180 /*v436*/, v181 /*v437*/
	s_set_vgpr_msb 0x44                     ;  msbs: dst=1 src0=0 src1=1 src2=0
	v_mul_i32_i24_e32 v180 /*v436*/, v122, v88 /*v344*/
	v_mul_i32_i24_e32 v181 /*v437*/, v121, v89 /*v345*/
	s_set_vgpr_msb 4                        ;  msbs: dst=0 src0=0 src1=1 src2=0
	v_mul_i32_i24_e32 v122, v122, v124 /*v380*/
	v_mul_i32_i24_e32 v121, v121, v137 /*v393*/
	s_set_vgpr_msb 0x55                     ;  msbs: dst=1 src0=1 src1=1 src2=1
	v_add3_u32 v146 /*v402*/, v146 /*v402*/, v180 /*v436*/, v181 /*v437*/
	v_mul_i32_i24_e32 v180 /*v436*/, v175 /*v431*/, v43 /*v299*/
	s_set_vgpr_msb 1                        ;  msbs: dst=0 src0=1 src1=0 src2=0
	v_add3_u32 v121, v149 /*v405*/, v122, v121
	s_set_vgpr_msb 4                        ;  msbs: dst=0 src0=0 src1=1 src2=0
	v_mul_i32_i24_e32 v122, v127, v124 /*v380*/
	s_set_vgpr_msb 0x44                     ;  msbs: dst=1 src0=0 src1=1 src2=0
	v_mul_i32_i24_e32 v149 /*v405*/, v128, v137 /*v393*/
	s_set_vgpr_msb 4                        ;  msbs: dst=0 src0=0 src1=1 src2=0
	v_mul_i32_i24_e32 v127, v127, v88 /*v344*/
	v_mul_i32_i24_e32 v128, v128, v89 /*v345*/
	s_set_vgpr_msb 0x45                     ;  msbs: dst=1 src0=1 src1=1 src2=0
	v_mul_i32_i24_e32 v181 /*v437*/, v176 /*v432*/, v37 /*v293*/
	s_set_vgpr_msb 17                       ;  msbs: dst=0 src0=1 src1=0 src2=1
	v_add3_u32 v122, v150 /*v406*/, v122, v149 /*v405*/
	s_set_vgpr_msb 0x44                     ;  msbs: dst=1 src0=0 src1=1 src2=0
	v_mul_i32_i24_e32 v149 /*v405*/, v135, v124 /*v380*/
	v_mul_i32_i24_e32 v150 /*v406*/, v136, v137 /*v393*/
	s_set_vgpr_msb 1                        ;  msbs: dst=0 src0=1 src1=0 src2=0
	v_add3_u32 v127, v152 /*v408*/, v127, v128
	s_set_vgpr_msb 4                        ;  msbs: dst=0 src0=0 src1=1 src2=0
	v_mul_i32_i24_e32 v128, v2, v43 /*v299*/
	v_mul_i32_i24_e32 v135, v135, v88 /*v344*/
	;; [unrolled: 1-line block ×3, first 2 shown]
	s_set_vgpr_msb 0x55                     ;  msbs: dst=1 src0=1 src1=1 src2=1
	v_add3_u32 v149 /*v405*/, v151 /*v407*/, v149 /*v405*/, v150 /*v406*/
	v_mul_i32_i24_e32 v150 /*v406*/, v177 /*v433*/, v37 /*v293*/
	s_set_vgpr_msb 0x41                     ;  msbs: dst=1 src0=1 src1=0 src2=0
	v_mul_i32_i24_e32 v151 /*v407*/, v176 /*v432*/, v120
	s_set_vgpr_msb 0                        ;  msbs: dst=0 src0=0 src1=0 src2=0
	v_mul_i32_i24_e32 v2, v2, v106
	s_set_vgpr_msb 1                        ;  msbs: dst=0 src0=1 src1=0 src2=0
	v_add3_u32 v135, v154 /*v410*/, v135, v136
	s_set_vgpr_msb 4                        ;  msbs: dst=0 src0=0 src1=1 src2=0
	v_mul_i32_i24_e32 v136, v10, v43 /*v299*/
	s_set_vgpr_msb 17                       ;  msbs: dst=0 src0=1 src1=0 src2=1
	v_add3_u32 v128, v153 /*v409*/, v128, v150 /*v406*/
	s_set_vgpr_msb 0x44                     ;  msbs: dst=1 src0=0 src1=1 src2=0
	v_mul_i32_i24_e32 v150 /*v406*/, v195, v37 /*v293*/
	s_set_vgpr_msb 0x55                     ;  msbs: dst=1 src0=1 src1=1 src2=1
	v_add3_u32 v147 /*v403*/, v147 /*v403*/, v180 /*v436*/, v181 /*v437*/
	s_set_vgpr_msb 17                       ;  msbs: dst=0 src0=1 src1=0 src2=1
	s_delay_alu instid0(VALU_DEP_2) | instskip(SKIP_3) | instid1(VALU_DEP_1)
	v_add3_u32 v136, v155 /*v411*/, v136, v150 /*v406*/
	s_set_vgpr_msb 0x41                     ;  msbs: dst=1 src0=1 src1=0 src2=0
	v_mul_i32_i24_e32 v150 /*v406*/, v175 /*v431*/, v106
	s_set_vgpr_msb 20                       ;  msbs: dst=0 src0=0 src1=1 src2=1
	v_add3_u32 v124, v124, v150 /*v406*/, v151 /*v407*/
	s_set_vgpr_msb 0x41                     ;  msbs: dst=1 src0=1 src1=0 src2=0
	v_mul_i32_i24_e32 v150 /*v406*/, v177 /*v433*/, v120
	s_set_vgpr_msb 16                       ;  msbs: dst=0 src0=0 src1=0 src2=1
	s_delay_alu instid0(VALU_DEP_1) | instskip(SKIP_3) | instid1(VALU_DEP_1)
	v_add3_u32 v125, v125, v2, v150 /*v406*/
	v_mul_i32_i24_e32 v2, v10, v106
	v_mul_i32_i24_e32 v10, v195, v120
	s_set_vgpr_msb 0                        ;  msbs: dst=0 src0=0 src1=0 src2=0
	v_add3_u32 v118, v118, v2, v10
	v_bfe_u32 v2, v165, 4, 4
	s_set_vgpr_msb 5                        ;  msbs: dst=0 src0=1 src1=1 src2=0
	v_add_nc_u32_e32 v10, v128 /*v384*/, v135 /*v391*/
	s_set_vgpr_msb 0x44                     ;  msbs: dst=1 src0=0 src1=1 src2=0
	v_mul_i32_i24_e32 v128 /*v384*/, v133, v128 /*v384*/
	s_set_vgpr_msb 0                        ;  msbs: dst=0 src0=0 src1=0 src2=0
	v_mul_lo_u32 v195, 0x1010101, v2
	s_set_vgpr_msb 5                        ;  msbs: dst=0 src0=1 src1=1 src2=0
	v_add_nc_u32_e32 v2, v90 /*v346*/, v136 /*v392*/
	s_set_vgpr_msb 0x44                     ;  msbs: dst=1 src0=0 src1=1 src2=0
	v_add3_u32 v136 /*v392*/, v10, v51 /*v307*/, v236
	s_set_vgpr_msb 0x55                     ;  msbs: dst=1 src0=1 src1=1 src2=1
	v_add3_u32 v127 /*v383*/, v164 /*v420*/, v127 /*v383*/, v128 /*v384*/
	s_set_vgpr_msb 0x44                     ;  msbs: dst=1 src0=0 src1=1 src2=0
	v_add3_u32 v135 /*v391*/, v2, v5 /*v261*/, v51
	v_bfe_i32 v150 /*v406*/, v195, 16, 8
	v_bfe_i32 v151 /*v407*/, v195, 8, 8
	;; [unrolled: 1-line block ×3, first 2 shown]
	s_set_vgpr_msb 0                        ;  msbs: dst=0 src0=0 src1=0 src2=0
	v_lshrrev_b32_e32 v195, 24, v195
	s_set_vgpr_msb 5                        ;  msbs: dst=0 src0=1 src1=1 src2=0
	v_mul_i32_i24_e32 v2, v135 /*v391*/, v150 /*v406*/
	v_mul_i32_i24_e32 v10, v136 /*v392*/, v151 /*v407*/
	s_set_vgpr_msb 0x45                     ;  msbs: dst=1 src0=1 src1=1 src2=0
	v_mul_i32_i24_e32 v153 /*v409*/, v134 /*v390*/, v152 /*v408*/
	s_set_vgpr_msb 0x44                     ;  msbs: dst=1 src0=0 src1=1 src2=0
	s_delay_alu instid0(VALU_DEP_1) | instskip(SKIP_3) | instid1(VALU_DEP_1)
	v_add3_u32 v153 /*v409*/, v10, v153 /*v409*/, v2
	s_set_vgpr_msb 0                        ;  msbs: dst=0 src0=0 src1=0 src2=0
	v_bfe_u32 v2, v164, 4, 4
	s_set_vgpr_msb 0x41                     ;  msbs: dst=1 src0=1 src1=0 src2=0
	v_mul_lo_u32 v154 /*v410*/, 0x1010101, v2
	s_delay_alu instid0(VALU_DEP_1) | instskip(SKIP_3) | instid1(VALU_DEP_3)
	v_bfe_i32 v155 /*v411*/, v154 /*v410*/, 16, 8
	v_bfe_i32 v175 /*v431*/, v154 /*v410*/, 8, 8
	;; [unrolled: 1-line block ×3, first 2 shown]
	s_set_vgpr_msb 5                        ;  msbs: dst=0 src0=1 src1=1 src2=0
	v_mul_i32_i24_e32 v2, v135 /*v391*/, v155 /*v411*/
	s_delay_alu instid0(VALU_DEP_3) | instskip(SKIP_3) | instid1(VALU_DEP_1)
	v_mul_i32_i24_e32 v10, v136 /*v392*/, v175 /*v431*/
	s_set_vgpr_msb 0x45                     ;  msbs: dst=1 src0=1 src1=1 src2=0
	v_mul_i32_i24_e32 v177 /*v433*/, v134 /*v390*/, v176 /*v432*/
	s_set_vgpr_msb 0x44                     ;  msbs: dst=1 src0=0 src1=1 src2=0
	v_add3_u32 v177 /*v433*/, v10, v177 /*v433*/, v2
	s_set_vgpr_msb 20                       ;  msbs: dst=0 src0=0 src1=1 src2=1
	v_add3_u32 v2, s19, v207 /*v463*/, v198 /*v454*/
	ds_load_u16 v10, v2
	s_wait_dscnt 0x0
	v_bfe_u32 v2, v10, 4, 4
	s_set_vgpr_msb 64                       ;  msbs: dst=1 src0=0 src1=0 src2=0
	s_delay_alu instid0(VALU_DEP_1)
	v_mul_lo_u32 v180 /*v436*/, 0x1010101, v2
	s_set_vgpr_msb 5                        ;  msbs: dst=0 src0=1 src1=1 src2=0
	v_add_nc_u32_e32 v2, v92 /*v348*/, v133 /*v389*/
	s_set_vgpr_msb 0                        ;  msbs: dst=0 src0=0 src1=0 src2=0
	v_lshrrev_b32_e32 v16, 1, v16
	s_set_vgpr_msb 0x44                     ;  msbs: dst=1 src0=0 src1=1 src2=0
	s_delay_alu instid0(VALU_DEP_2) | instskip(SKIP_1) | instid1(VALU_DEP_4)
	v_add3_u32 v133 /*v389*/, v2, v8 /*v264*/, v53
	s_set_vgpr_msb 0x41                     ;  msbs: dst=1 src0=1 src1=0 src2=0
	v_bfe_i32 v181 /*v437*/, v180 /*v436*/, 16, 8
	v_bfe_i32 v182 /*v438*/, v180 /*v436*/, 8, 8
	;; [unrolled: 1-line block ×3, first 2 shown]
	s_set_vgpr_msb 5                        ;  msbs: dst=0 src0=1 src1=1 src2=0
	s_delay_alu instid0(VALU_DEP_3) | instskip(SKIP_3) | instid1(VALU_DEP_1)
	v_mul_i32_i24_e32 v2, v133 /*v389*/, v181 /*v437*/
	s_set_vgpr_msb 0x45                     ;  msbs: dst=1 src0=1 src1=1 src2=0
	v_mul_i32_i24_e32 v184 /*v440*/, v132 /*v388*/, v182 /*v438*/
	v_mul_i32_i24_e32 v185 /*v441*/, v131 /*v387*/, v183 /*v439*/
	v_add3_u32 v184 /*v440*/, v184 /*v440*/, v185 /*v441*/, v2
	s_set_vgpr_msb 0                        ;  msbs: dst=0 src0=0 src1=0 src2=0
	v_ashrrev_i32_e32 v2, s18, v6
	s_delay_alu instid0(VALU_DEP_1) | instskip(SKIP_1) | instid1(VALU_DEP_1)
	v_and_b32_e32 v6, 3, v2
	s_set_vgpr_msb 0x44                     ;  msbs: dst=1 src0=0 src1=1 src2=0
	v_mul_i32_i24_e32 v185 /*v441*/, v6, v98 /*v354*/
	s_set_vgpr_msb 0x55                     ;  msbs: dst=1 src0=1 src1=1 src2=1
	s_delay_alu instid0(VALU_DEP_1) | instskip(SKIP_4) | instid1(VALU_DEP_2)
	v_add3_u32 v156 /*v412*/, v156 /*v412*/, v185 /*v441*/, v158 /*v414*/
	s_set_vgpr_msb 64                       ;  msbs: dst=1 src0=0 src1=0 src2=0
	v_and_b32_e32 v158 /*v414*/, 3, v117
	v_bfe_u32 v185 /*v441*/, v117, 8, 2
	s_set_vgpr_msb 0x55                     ;  msbs: dst=1 src0=1 src1=1 src2=1
	v_mul_i32_i24_e32 v128 /*v384*/, v158 /*v414*/, v64 /*v320*/
	s_delay_alu instid0(VALU_DEP_2)
	v_mul_i32_i24_e32 v164 /*v420*/, v185 /*v441*/, v62 /*v318*/
	v_mul_i32_i24_e32 v186 /*v442*/, v158 /*v414*/, v46 /*v302*/
	;; [unrolled: 1-line block ×5, first 2 shown]
	v_add3_u32 v128 /*v384*/, v165 /*v421*/, v128 /*v384*/, v164 /*v420*/
	s_set_vgpr_msb 0x44                     ;  msbs: dst=1 src0=0 src1=1 src2=0
	v_mul_i32_i24_e32 v164 /*v420*/, v132, v88 /*v344*/
	v_mul_i32_i24_e32 v165 /*v421*/, v133, v89 /*v345*/
	s_set_vgpr_msb 0x55                     ;  msbs: dst=1 src0=1 src1=1 src2=1
	v_add3_u32 v157 /*v413*/, v157 /*v413*/, v186 /*v442*/, v187 /*v443*/
	s_set_vgpr_msb 0x44                     ;  msbs: dst=1 src0=0 src1=1 src2=0
	v_mul_i32_i24_e32 v186 /*v442*/, v132, v105 /*v361*/
	v_mul_i32_i24_e32 v187 /*v443*/, v133, v106 /*v362*/
	v_add3_u32 v46 /*v302*/, v168, v25 /*v281*/, v33
	s_set_vgpr_msb 0x55                     ;  msbs: dst=1 src0=1 src1=1 src2=1
	v_add3_u32 v164 /*v420*/, v166 /*v422*/, v164 /*v420*/, v165 /*v421*/
	v_mul_i32_i24_e32 v165 /*v421*/, v158 /*v414*/, v43 /*v299*/
	v_mul_i32_i24_e32 v166 /*v422*/, v185 /*v441*/, v37 /*v293*/
	v_add3_u32 v161 /*v417*/, v161 /*v417*/, v186 /*v442*/, v187 /*v443*/
	v_mul_i32_i24_e32 v186 /*v442*/, v158 /*v414*/, v59 /*v315*/
	v_mul_i32_i24_e32 v187 /*v443*/, v185 /*v441*/, v60 /*v316*/
	s_set_vgpr_msb 0x44                     ;  msbs: dst=1 src0=0 src1=1 src2=0
	v_add3_u32 v47 /*v303*/, v173, v24 /*v280*/, v32
	s_set_vgpr_msb 0x55                     ;  msbs: dst=1 src0=1 src1=1 src2=1
	v_add3_u32 v165 /*v421*/, v167 /*v423*/, v165 /*v421*/, v166 /*v422*/
	v_mul_i32_i24_e32 v166 /*v422*/, v185 /*v441*/, v74 /*v330*/
	s_set_vgpr_msb 0x44                     ;  msbs: dst=1 src0=0 src1=1 src2=0
	v_mul_i32_i24_e32 v167 /*v423*/, v133, v112 /*v368*/
	s_set_vgpr_msb 0x55                     ;  msbs: dst=1 src0=1 src1=1 src2=1
	v_add3_u32 v162 /*v418*/, v162 /*v418*/, v186 /*v442*/, v187 /*v443*/
	s_set_vgpr_msb 0x44                     ;  msbs: dst=1 src0=0 src1=1 src2=0
	v_mul_i32_i24_e32 v186 /*v442*/, v132, v117 /*v373*/
	v_mul_i32_i24_e32 v187 /*v443*/, v133, v118 /*v374*/
	s_set_vgpr_msb 0x55                     ;  msbs: dst=1 src0=1 src1=1 src2=1
	v_add3_u32 v130 /*v386*/, v169 /*v425*/, v130 /*v386*/, v166 /*v422*/
	s_set_vgpr_msb 0x44                     ;  msbs: dst=1 src0=0 src1=1 src2=0
	v_mul_i32_i24_e32 v166 /*v422*/, v132, v111 /*v367*/
	s_set_vgpr_msb 4                        ;  msbs: dst=0 src0=0 src1=1 src2=0
	v_mul_i32_i24_e32 v132, v132, v124 /*v380*/
	v_mul_i32_i24_e32 v133, v133, v137 /*v393*/
	s_set_vgpr_msb 0x55                     ;  msbs: dst=1 src0=1 src1=1 src2=1
	v_add3_u32 v163 /*v419*/, v163 /*v419*/, v186 /*v442*/, v187 /*v443*/
	v_mul_i32_i24_e32 v169 /*v425*/, v185 /*v441*/, v71 /*v327*/
	v_add3_u32 v166 /*v422*/, v170 /*v426*/, v166 /*v422*/, v167 /*v423*/
	v_mul_i32_i24_e32 v167 /*v423*/, v158 /*v414*/, v66 /*v322*/
	s_set_vgpr_msb 1                        ;  msbs: dst=0 src0=1 src1=0 src2=0
	v_add3_u32 v132, v173 /*v429*/, v132, v133
	v_mul_i32_i24_e32 v133, v158 /*v414*/, v106
	s_set_vgpr_msb 0x55                     ;  msbs: dst=1 src0=1 src1=1 src2=1
	v_add3_u32 v167 /*v423*/, v171 /*v427*/, v167 /*v423*/, v168 /*v424*/
	v_mul_i32_i24_e32 v168 /*v424*/, v158 /*v414*/, v70 /*v326*/
	s_set_vgpr_msb 0x41                     ;  msbs: dst=1 src0=1 src1=0 src2=0
	v_mul_i32_i24_e32 v158 /*v414*/, v185 /*v441*/, v120
	s_set_vgpr_msb 0x55                     ;  msbs: dst=1 src0=1 src1=1 src2=1
	s_delay_alu instid0(VALU_DEP_2) | instskip(SKIP_1) | instid1(VALU_DEP_2)
	v_add3_u32 v168 /*v424*/, v172 /*v428*/, v168 /*v424*/, v169 /*v425*/
	s_set_vgpr_msb 16                       ;  msbs: dst=0 src0=0 src1=0 src2=1
	v_add3_u32 v116, v116, v133, v158 /*v414*/
	v_mul_i32_i24_e32 v133, v12, v144
	v_mul_i32_i24_e32 v144, v13, v146
	s_set_vgpr_msb 0                        ;  msbs: dst=0 src0=0 src1=0 src2=0
	s_delay_alu instid0(VALU_DEP_1) | instskip(SKIP_4) | instid1(VALU_DEP_2)
	v_add3_u32 v123, v123, v133, v144
	s_set_vgpr_msb 1                        ;  msbs: dst=0 src0=1 src1=0 src2=0
	v_bfe_u32 v133, v174 /*v430*/, 16, 2
	v_bfe_u32 v144, v174 /*v430*/, 24, 2
	s_set_vgpr_msb 0                        ;  msbs: dst=0 src0=0 src1=0 src2=0
	v_mul_i32_i24_e32 v146, v133, v152
	s_set_vgpr_msb 64                       ;  msbs: dst=1 src0=0 src1=0 src2=0
	s_delay_alu instid0(VALU_DEP_2) | instskip(SKIP_1) | instid1(VALU_DEP_1)
	v_mul_i32_i24_e32 v158 /*v414*/, v144, v153
	s_set_vgpr_msb 16                       ;  msbs: dst=0 src0=0 src1=0 src2=1
	v_add3_u32 v126, v126, v146, v158 /*v414*/
	v_mul_i32_i24_e32 v146, v12, v190
	v_mul_i32_i24_e32 v190, v13, v192
	s_set_vgpr_msb 0                        ;  msbs: dst=0 src0=0 src1=0 src2=0
	s_delay_alu instid0(VALU_DEP_1) | instskip(SKIP_2) | instid1(VALU_DEP_2)
	v_add3_u32 v131, v131, v146, v190
	v_bfe_u32 v146, v115, 16, 2
	v_bfe_u32 v115, v115, 24, 2
	v_mul_i32_i24_e32 v190, v146, v152
	s_delay_alu instid0(VALU_DEP_2) | instskip(NEXT) | instid1(VALU_DEP_1)
	v_mul_i32_i24_e32 v192, v115, v153
	v_add3_u32 v134, v134, v190, v192
	v_mul_i32_i24_e32 v190, v12, v196
	v_mul_i32_i24_e32 v192, v13, v198
	s_delay_alu instid0(VALU_DEP_1) | instskip(SKIP_2) | instid1(VALU_DEP_2)
	v_add3_u32 v139, v139, v190, v192
	v_bfe_u32 v190, v119, 16, 2
	v_bfe_u32 v119, v119, 24, 2
	v_mul_i32_i24_e32 v192, v190, v152
	s_delay_alu instid0(VALU_DEP_2) | instskip(SKIP_1) | instid1(VALU_DEP_2)
	v_mul_i32_i24_e32 v196, v119, v153
	v_mul_i32_i24_e32 v198, v119, v157
	v_add3_u32 v142, v142, v192, v196
	s_set_vgpr_msb 4                        ;  msbs: dst=0 src0=0 src1=1 src2=0
	v_mul_i32_i24_e32 v192, v105, v76 /*v332*/
	v_mul_i32_i24_e32 v196, v113, v77 /*v333*/
	s_set_vgpr_msb 0                        ;  msbs: dst=0 src0=0 src1=0 src2=0
	s_delay_alu instid0(VALU_DEP_1) | instskip(SKIP_2) | instid1(VALU_DEP_1)
	v_add3_u32 v147, v147, v192, v196
	v_mul_i32_i24_e32 v192, v133, v156
	v_mul_i32_i24_e32 v196, v144, v157
	v_add3_u32 v148, v148, v192, v196
	s_set_vgpr_msb 4                        ;  msbs: dst=0 src0=0 src1=1 src2=0
	v_mul_i32_i24_e32 v192, v129, v76 /*v332*/
	v_mul_i32_i24_e32 v196, v130, v77 /*v333*/
	s_set_vgpr_msb 0                        ;  msbs: dst=0 src0=0 src1=0 src2=0
	s_delay_alu instid0(VALU_DEP_1) | instskip(SKIP_2) | instid1(VALU_DEP_1)
	v_add3_u32 v192, v193, v192, v196
	v_mul_i32_i24_e32 v193, v146, v156
	v_mul_i32_i24_e32 v196, v115, v157
	v_add3_u32 v193, v194, v193, v196
	s_set_vgpr_msb 4                        ;  msbs: dst=0 src0=0 src1=1 src2=0
	v_mul_i32_i24_e32 v194, v137, v76 /*v332*/
	v_mul_i32_i24_e32 v196, v138, v77 /*v333*/
	s_set_vgpr_msb 0                        ;  msbs: dst=0 src0=0 src1=0 src2=0
	s_delay_alu instid0(VALU_DEP_1) | instskip(SKIP_4) | instid1(VALU_DEP_2)
	v_add3_u32 v194, v199, v194, v196
	v_mul_i32_i24_e32 v196, v190, v156
	s_set_vgpr_msb 4                        ;  msbs: dst=0 src0=0 src1=1 src2=0
	v_mul_i32_i24_e32 v199, v113, v83 /*v339*/
	s_set_vgpr_msb 0                        ;  msbs: dst=0 src0=0 src1=0 src2=0
	v_add3_u32 v196, v200, v196, v198
	s_set_vgpr_msb 4                        ;  msbs: dst=0 src0=0 src1=1 src2=0
	v_mul_i32_i24_e32 v198, v105, v82 /*v338*/
	v_mul_i32_i24_e32 v200, v130, v83 /*v339*/
	s_set_vgpr_msb 0                        ;  msbs: dst=0 src0=0 src1=0 src2=0
	s_delay_alu instid0(VALU_DEP_2) | instskip(SKIP_4) | instid1(VALU_DEP_2)
	v_add3_u32 v198, v201, v198, v199
	s_set_vgpr_msb 4                        ;  msbs: dst=0 src0=0 src1=1 src2=0
	v_mul_i32_i24_e32 v199, v129, v82 /*v338*/
	v_mul_i32_i24_e32 v201, v138, v83 /*v339*/
	s_set_vgpr_msb 0                        ;  msbs: dst=0 src0=0 src1=0 src2=0
	v_add3_u32 v199, v202, v199, v200
	s_set_vgpr_msb 4                        ;  msbs: dst=0 src0=0 src1=1 src2=0
	v_mul_i32_i24_e32 v200, v137, v82 /*v338*/
	v_mul_i32_i24_e32 v202, v113, v91 /*v347*/
	s_set_vgpr_msb 0                        ;  msbs: dst=0 src0=0 src1=0 src2=0
	s_delay_alu instid0(VALU_DEP_2) | instskip(SKIP_4) | instid1(VALU_DEP_2)
	v_add3_u32 v200, v203, v200, v201
	s_set_vgpr_msb 4                        ;  msbs: dst=0 src0=0 src1=1 src2=0
	v_mul_i32_i24_e32 v201, v105, v90 /*v346*/
	;; [unrolled: 11-line block ×3, first 2 shown]
	v_mul_i32_i24_e32 v206, v144, v10 /*v266*/
	s_set_vgpr_msb 0                        ;  msbs: dst=0 src0=0 src1=0 src2=0
	v_add3_u32 v203, v208, v203, v204
	s_set_vgpr_msb 4                        ;  msbs: dst=0 src0=0 src1=1 src2=0
	v_mul_i32_i24_e32 v204, v133, v15 /*v271*/
	v_mul_i32_i24_e32 v208, v113, v93 /*v349*/
	s_set_vgpr_msb 0                        ;  msbs: dst=0 src0=0 src1=0 src2=0
	s_delay_alu instid0(VALU_DEP_2) | instskip(SKIP_4) | instid1(VALU_DEP_1)
	v_add3_u32 v204, v205, v204, v206
	s_set_vgpr_msb 4                        ;  msbs: dst=0 src0=0 src1=1 src2=0
	v_mul_i32_i24_e32 v205, v146, v15 /*v271*/
	v_mul_i32_i24_e32 v206, v115, v10 /*v266*/
	s_set_vgpr_msb 0                        ;  msbs: dst=0 src0=0 src1=0 src2=0
	v_add3_u32 v205, v207, v205, v206
	s_set_vgpr_msb 4                        ;  msbs: dst=0 src0=0 src1=1 src2=0
	v_mul_i32_i24_e32 v206, v190, v15 /*v271*/
	v_mul_i32_i24_e32 v207, v119, v10 /*v266*/
	s_set_vgpr_msb 0                        ;  msbs: dst=0 src0=0 src1=0 src2=0
	s_delay_alu instid0(VALU_DEP_1) | instskip(SKIP_4) | instid1(VALU_DEP_2)
	v_add3_u32 v206, v209, v206, v207
	s_set_vgpr_msb 4                        ;  msbs: dst=0 src0=0 src1=1 src2=0
	v_mul_i32_i24_e32 v207, v105, v92 /*v348*/
	v_mul_i32_i24_e32 v209, v144, v22 /*v278*/
	s_set_vgpr_msb 0                        ;  msbs: dst=0 src0=0 src1=0 src2=0
	v_add3_u32 v207, v210, v207, v208
	s_set_vgpr_msb 4                        ;  msbs: dst=0 src0=0 src1=1 src2=0
	v_mul_i32_i24_e32 v208, v133, v23 /*v279*/
	v_mul_i32_i24_e32 v210, v130, v93 /*v349*/
	s_set_vgpr_msb 0                        ;  msbs: dst=0 src0=0 src1=0 src2=0
	s_delay_alu instid0(VALU_DEP_2) | instskip(SKIP_4) | instid1(VALU_DEP_2)
	v_add3_u32 v208, v228, v208, v209
	s_set_vgpr_msb 4                        ;  msbs: dst=0 src0=0 src1=1 src2=0
	v_mul_i32_i24_e32 v209, v129, v92 /*v348*/
	v_mul_i32_i24_e32 v228, v115, v22 /*v278*/
	s_set_vgpr_msb 0                        ;  msbs: dst=0 src0=0 src1=0 src2=0
	v_add3_u32 v209, v229, v209, v210
	s_set_vgpr_msb 4                        ;  msbs: dst=0 src0=0 src1=1 src2=0
	v_mul_i32_i24_e32 v210, v146, v23 /*v279*/
	v_mul_i32_i24_e32 v229, v138, v93 /*v349*/
	s_set_vgpr_msb 0                        ;  msbs: dst=0 src0=0 src1=0 src2=0
	s_delay_alu instid0(VALU_DEP_2) | instskip(SKIP_4) | instid1(VALU_DEP_2)
	;; [unrolled: 11-line block ×3, first 2 shown]
	v_add3_u32 v229, v232, v229, v230
	s_set_vgpr_msb 4                        ;  msbs: dst=0 src0=0 src1=1 src2=0
	v_mul_i32_i24_e32 v230, v105, v80 /*v336*/
	v_mul_i32_i24_e32 v232, v130, v81 /*v337*/
	s_set_vgpr_msb 0                        ;  msbs: dst=0 src0=0 src1=0 src2=0
	v_add3_u32 v230, v233, v230, v231
	s_set_vgpr_msb 4                        ;  msbs: dst=0 src0=0 src1=1 src2=0
	v_mul_i32_i24_e32 v231, v129, v80 /*v336*/
	v_mul_i32_i24_e32 v233, v144, v16 /*v272*/
	s_set_vgpr_msb 1                        ;  msbs: dst=0 src0=1 src1=0 src2=0
	s_delay_alu instid0(VALU_DEP_2)
	v_add3_u32 v231, v138 /*v394*/, v231, v232
	s_set_vgpr_msb 0                        ;  msbs: dst=0 src0=0 src1=0 src2=0
	v_mul_i32_i24_e32 v232, v133, v161
	s_set_vgpr_msb 0x44                     ;  msbs: dst=1 src0=0 src1=1 src2=0
	v_mul_i32_i24_e32 v138 /*v394*/, v115, v16 /*v272*/
	s_set_vgpr_msb 1                        ;  msbs: dst=0 src0=1 src1=0 src2=0
	s_delay_alu instid0(VALU_DEP_2)
	v_add3_u32 v232, v139 /*v395*/, v232, v233
	s_set_vgpr_msb 0                        ;  msbs: dst=0 src0=0 src1=0 src2=0
	v_mul_i32_i24_e32 v233, v146, v161
	s_set_vgpr_msb 0x44                     ;  msbs: dst=1 src0=0 src1=1 src2=0
	v_mul_i32_i24_e32 v139 /*v395*/, v119, v16 /*v272*/
	s_set_vgpr_msb 17                       ;  msbs: dst=0 src0=1 src1=0 src2=1
	s_delay_alu instid0(VALU_DEP_2)
	v_add3_u32 v233, v140 /*v396*/, v233, v138 /*v394*/
	s_set_vgpr_msb 64                       ;  msbs: dst=1 src0=0 src1=0 src2=0
	v_mul_i32_i24_e32 v138 /*v394*/, v190, v161
	s_set_vgpr_msb 0x44                     ;  msbs: dst=1 src0=0 src1=1 src2=0
	v_mul_i32_i24_e32 v140 /*v396*/, v115, v19 /*v275*/
	s_set_vgpr_msb 0x55                     ;  msbs: dst=1 src0=1 src1=1 src2=1
	s_delay_alu instid0(VALU_DEP_2) | instskip(SKIP_4) | instid1(VALU_DEP_2)
	v_add3_u32 v138 /*v394*/, v141 /*v397*/, v138 /*v394*/, v139 /*v395*/
	s_set_vgpr_msb 0x44                     ;  msbs: dst=1 src0=0 src1=1 src2=0
	v_mul_i32_i24_e32 v139 /*v395*/, v146, v17 /*v273*/
	v_mul_i32_i24_e32 v141 /*v397*/, v144, v19 /*v275*/
	s_set_vgpr_msb 0x55                     ;  msbs: dst=1 src0=1 src1=1 src2=1
	v_add3_u32 v139 /*v395*/, v142 /*v398*/, v139 /*v395*/, v140 /*v396*/
	s_set_vgpr_msb 0x44                     ;  msbs: dst=1 src0=0 src1=1 src2=0
	v_mul_i32_i24_e32 v140 /*v396*/, v133, v17 /*v273*/
	v_mul_i32_i24_e32 v142 /*v398*/, v138, v81 /*v337*/
	s_set_vgpr_msb 0x55                     ;  msbs: dst=1 src0=1 src1=1 src2=1
	s_delay_alu instid0(VALU_DEP_2) | instskip(SKIP_4) | instid1(VALU_DEP_2)
	v_add3_u32 v140 /*v396*/, v143 /*v399*/, v140 /*v396*/, v141 /*v397*/
	s_set_vgpr_msb 0x44                     ;  msbs: dst=1 src0=0 src1=1 src2=0
	v_mul_i32_i24_e32 v141 /*v397*/, v137, v80 /*v336*/
	v_mul_i32_i24_e32 v143 /*v399*/, v119, v19 /*v275*/
	s_set_vgpr_msb 0x55                     ;  msbs: dst=1 src0=1 src1=1 src2=1
	v_add3_u32 v141 /*v397*/, v144 /*v400*/, v141 /*v397*/, v142 /*v398*/
	s_set_vgpr_msb 0x44                     ;  msbs: dst=1 src0=0 src1=1 src2=0
	v_mul_i32_i24_e32 v142 /*v398*/, v190, v17 /*v273*/
	v_mul_i32_i24_e32 v144 /*v400*/, v113, v79 /*v335*/
	s_set_vgpr_msb 4                        ;  msbs: dst=0 src0=0 src1=1 src2=0
	v_mul_i32_i24_e32 v113, v113, v99 /*v355*/
	s_set_vgpr_msb 0x55                     ;  msbs: dst=1 src0=1 src1=1 src2=1
	v_add3_u32 v142 /*v398*/, v145 /*v401*/, v142 /*v398*/, v143 /*v399*/
	s_set_vgpr_msb 0x44                     ;  msbs: dst=1 src0=0 src1=1 src2=0
	v_mul_i32_i24_e32 v143 /*v399*/, v105, v78 /*v334*/
	s_set_vgpr_msb 4                        ;  msbs: dst=0 src0=0 src1=1 src2=0
	v_mul_i32_i24_e32 v105, v105, v100 /*v356*/
	s_set_vgpr_msb 64                       ;  msbs: dst=1 src0=0 src1=0 src2=0
	v_mul_i32_i24_e32 v145 /*v401*/, v144, v60
	s_set_vgpr_msb 0x55                     ;  msbs: dst=1 src0=1 src1=1 src2=1
	v_add3_u32 v143 /*v399*/, v146 /*v402*/, v143 /*v399*/, v144 /*v400*/
	s_set_vgpr_msb 0                        ;  msbs: dst=0 src0=0 src1=0 src2=0
	v_add3_u32 v105, v121, v105, v113
	s_set_vgpr_msb 4                        ;  msbs: dst=0 src0=0 src1=1 src2=0
	v_mul_i32_i24_e32 v113, v129, v100 /*v356*/
	v_mul_i32_i24_e32 v121, v130, v99 /*v355*/
	s_set_vgpr_msb 64                       ;  msbs: dst=1 src0=0 src1=0 src2=0
	v_mul_i32_i24_e32 v144 /*v400*/, v133, v62
	s_set_vgpr_msb 0                        ;  msbs: dst=0 src0=0 src1=0 src2=0
	s_delay_alu instid0(VALU_DEP_2)
	v_add3_u32 v113, v122, v113, v121
	s_set_vgpr_msb 4                        ;  msbs: dst=0 src0=0 src1=1 src2=0
	v_mul_i32_i24_e32 v121, v137, v100 /*v356*/
	v_mul_i32_i24_e32 v122, v138, v99 /*v355*/
	s_set_vgpr_msb 0x55                     ;  msbs: dst=1 src0=1 src1=1 src2=1
	v_add3_u32 v144 /*v400*/, v147 /*v403*/, v144 /*v400*/, v145 /*v401*/
	s_set_vgpr_msb 1                        ;  msbs: dst=0 src0=1 src1=0 src2=0
	s_delay_alu instid0(VALU_DEP_2)
	v_add3_u32 v121, v149 /*v405*/, v121, v122
	s_set_vgpr_msb 4                        ;  msbs: dst=0 src0=0 src1=1 src2=0
	v_mul_i32_i24_e32 v122, v129, v78 /*v334*/
	v_mul_i32_i24_e32 v129, v130, v79 /*v335*/
	s_set_vgpr_msb 0                        ;  msbs: dst=0 src0=0 src1=0 src2=0
	v_mul_i32_i24_e32 v130, v119, v60
	v_mul_i32_i24_e32 v119, v119, v104
	s_delay_alu instid0(VALU_DEP_3) | instskip(SKIP_3) | instid1(VALU_DEP_2)
	v_add3_u32 v122, v127, v122, v129
	v_mul_i32_i24_e32 v127, v146, v62
	v_mul_i32_i24_e32 v129, v115, v60
	;; [unrolled: 1-line block ×3, first 2 shown]
	v_add3_u32 v127, v128, v127, v129
	s_set_vgpr_msb 4                        ;  msbs: dst=0 src0=0 src1=1 src2=0
	v_mul_i32_i24_e32 v128, v137, v78 /*v334*/
	v_mul_i32_i24_e32 v129, v138, v79 /*v335*/
	s_set_vgpr_msb 0x44                     ;  msbs: dst=1 src0=0 src1=1 src2=0
	v_mul_i32_i24_e32 v78 /*v334*/, v140, v78 /*v334*/
	v_mul_i32_i24_e32 v79 /*v335*/, v141, v79 /*v335*/
	s_set_vgpr_msb 0                        ;  msbs: dst=0 src0=0 src1=0 src2=0
	v_add3_u32 v128, v135, v128, v129
	v_mul_i32_i24_e32 v129, v190, v62
	s_set_vgpr_msb 4                        ;  msbs: dst=0 src0=0 src1=1 src2=0
	v_lshrrev_b32_e32 v135, 24, v180 /*v436*/
	s_set_vgpr_msb 0x55                     ;  msbs: dst=1 src0=1 src1=1 src2=1
	v_add3_u32 v78 /*v334*/, v164 /*v420*/, v78 /*v334*/, v79 /*v335*/
	s_set_vgpr_msb 0                        ;  msbs: dst=0 src0=0 src1=0 src2=0
	v_lshrrev_b32_e32 v21, 1, v21
	v_add3_u32 v129, v136, v129, v130
	v_mul_i32_i24_e32 v130, v133, v111
	v_mul_i32_i24_e32 v133, v144, v104
	s_set_vgpr_msb 1                        ;  msbs: dst=0 src0=1 src1=0 src2=0
	v_add_nc_u32_e32 v144, v95 /*v351*/, v13
	s_set_vgpr_msb 4                        ;  msbs: dst=0 src0=0 src1=1 src2=0
	v_mul_i32_i24_e32 v13, v13, v160 /*v416*/
	s_set_vgpr_msb 0                        ;  msbs: dst=0 src0=0 src1=0 src2=0
	v_add3_u32 v124, v124, v130, v133
	v_mul_i32_i24_e32 v130, v146, v111
	s_set_vgpr_msb 5                        ;  msbs: dst=0 src0=1 src1=1 src2=0
	v_add_nc_u32_e32 v133, v76 /*v332*/, v101 /*v357*/
	s_set_vgpr_msb 1                        ;  msbs: dst=0 src0=1 src1=0 src2=0
	v_add_nc_u32_e32 v146, v96 /*v352*/, v14
	s_set_vgpr_msb 0                        ;  msbs: dst=0 src0=0 src1=0 src2=0
	v_add3_u32 v144, v144, v150, v28
	s_set_vgpr_msb 0x44                     ;  msbs: dst=1 src0=0 src1=1 src2=0
	v_mul_i32_i24_e32 v76 /*v332*/, v140, v76 /*v332*/
	s_set_vgpr_msb 0                        ;  msbs: dst=0 src0=0 src1=0 src2=0
	v_add3_u32 v115, v125, v130, v115
	v_mul_i32_i24_e32 v125, v190, v111
	s_set_vgpr_msb 5                        ;  msbs: dst=0 src0=1 src1=1 src2=0
	v_add_nc_u32_e32 v130, v77 /*v333*/, v104 /*v360*/
	s_set_vgpr_msb 0                        ;  msbs: dst=0 src0=0 src1=0 src2=0
	v_add3_u32 v133, v133, v244, v26
	v_add3_u32 v146, v146, v158, v30
	s_set_vgpr_msb 4                        ;  msbs: dst=0 src0=0 src1=1 src2=0
	v_mul_i32_i24_e32 v190, v144, v181 /*v437*/
	s_set_vgpr_msb 0                        ;  msbs: dst=0 src0=0 src1=0 src2=0
	v_add3_u32 v118, v118, v125, v119
	s_set_vgpr_msb 5                        ;  msbs: dst=0 src0=1 src1=1 src2=0
	v_dual_add_nc_u32 v119, v105 /*v361*/, v102 /*v358*/ :: v_dual_add_nc_u32 v125, v106 /*v362*/, v103 /*v359*/
	s_set_vgpr_msb 0                        ;  msbs: dst=0 src0=0 src1=0 src2=0
	v_add3_u32 v130, v130, v245, v27
	s_set_vgpr_msb 4                        ;  msbs: dst=0 src0=0 src1=1 src2=0
	v_mul_i32_i24_e32 v138, v133, v181 /*v437*/
	s_set_vgpr_msb 0x44                     ;  msbs: dst=1 src0=0 src1=1 src2=0
	v_mul_i32_i24_e32 v95 /*v351*/, v133, v150 /*v406*/
	s_set_vgpr_msb 4                        ;  msbs: dst=0 src0=0 src1=1 src2=0
	v_add3_u32 v119, v119, v26 /*v282*/, v171
	v_add3_u32 v125, v125, v27 /*v283*/, v169
	s_set_vgpr_msb 0                        ;  msbs: dst=0 src0=0 src1=0 src2=0
	v_mul_i32_i24_e32 v137, v130, v135
	s_set_vgpr_msb 64                       ;  msbs: dst=1 src0=0 src1=0 src2=0
	v_mul_i32_i24_e32 v96 /*v352*/, v146, v195
	s_set_vgpr_msb 0x45                     ;  msbs: dst=1 src0=1 src1=1 src2=0
	v_add_nc_u32_e32 v104 /*v360*/, v83 /*v339*/, v116 /*v372*/
	s_set_vgpr_msb 4                        ;  msbs: dst=0 src0=0 src1=1 src2=0
	v_mul_i32_i24_e32 v136, v119, v183 /*v439*/
	s_set_vgpr_msb 0x45                     ;  msbs: dst=1 src0=1 src1=1 src2=0
	v_add_nc_u32_e32 v105 /*v361*/, v82 /*v338*/, v113 /*v369*/
	v_mul_i32_i24_e32 v116 /*v372*/, v133 /*v389*/, v150 /*v406*/
	s_set_vgpr_msb 0x44                     ;  msbs: dst=1 src0=0 src1=1 src2=0
	v_mul_i32_i24_e32 v77 /*v333*/, v141, v77 /*v333*/
	s_set_vgpr_msb 0x41                     ;  msbs: dst=1 src0=1 src1=0 src2=0
	v_add3_u32 v104 /*v360*/, v104 /*v360*/, v255, v42
	s_set_vgpr_msb 4                        ;  msbs: dst=0 src0=0 src1=1 src2=0
	v_mad_i32_i24 v136, v125, v182 /*v438*/, v136
	s_set_vgpr_msb 0x41                     ;  msbs: dst=1 src0=1 src1=0 src2=0
	v_add3_u32 v105 /*v361*/, v105 /*v361*/, v254, v43
	s_set_vgpr_msb 0x44                     ;  msbs: dst=1 src0=0 src1=1 src2=0
	v_mul_i32_i24_e32 v82 /*v338*/, v140, v82 /*v338*/
	s_set_vgpr_msb 0x55                     ;  msbs: dst=1 src0=1 src1=1 src2=1
	v_add3_u32 v76 /*v332*/, v161 /*v417*/, v76 /*v332*/, v77 /*v333*/
	s_set_vgpr_msb 0x44                     ;  msbs: dst=1 src0=0 src1=1 src2=0
	v_mul_i32_i24_e32 v83 /*v339*/, v141, v83 /*v339*/
	s_set_vgpr_msb 0                        ;  msbs: dst=0 src0=0 src1=0 src2=0
	v_add3_u32 v136, v136, v138, v137
	s_set_vgpr_msb 1                        ;  msbs: dst=0 src0=1 src1=0 src2=0
	v_dual_add_nc_u32 v137, v97 /*v353*/, v166 :: v_dual_add_nc_u32 v138, v94 /*v350*/, v12
	s_set_vgpr_msb 64                       ;  msbs: dst=1 src0=0 src1=0 src2=0
	v_mul_i32_i24_e32 v94 /*v350*/, v146, v135
	s_set_vgpr_msb 0x45                     ;  msbs: dst=1 src0=1 src1=1 src2=0
	v_add_nc_u32_e32 v97 /*v353*/, v81 /*v337*/, v110 /*v366*/
	s_set_vgpr_msb 4                        ;  msbs: dst=0 src0=0 src1=1 src2=0
	v_mul_i32_i24_e32 v12, v12, v159 /*v415*/
	v_add3_u32 v137, v137, v98 /*v354*/, v29
	s_set_vgpr_msb 0                        ;  msbs: dst=0 src0=0 src1=0 src2=0
	v_add3_u32 v138, v138, v15, v31
	s_set_vgpr_msb 0x45                     ;  msbs: dst=1 src0=1 src1=1 src2=0
	v_add_nc_u32_e32 v98 /*v354*/, v80 /*v336*/, v107 /*v363*/
	s_set_vgpr_msb 0x41                     ;  msbs: dst=1 src0=1 src1=0 src2=0
	v_add3_u32 v97 /*v353*/, v97 /*v353*/, v249, v38
	s_set_vgpr_msb 0x45                     ;  msbs: dst=1 src0=1 src1=1 src2=0
	v_mul_i32_i24_e32 v107 /*v363*/, v105 /*v361*/, v150 /*v406*/
	s_set_vgpr_msb 4                        ;  msbs: dst=0 src0=0 src1=1 src2=0
	v_mul_i32_i24_e32 v166, v137, v183 /*v439*/
	s_set_vgpr_msb 0x55                     ;  msbs: dst=1 src0=1 src1=1 src2=1
	v_add3_u32 v82 /*v338*/, v163 /*v419*/, v82 /*v338*/, v83 /*v339*/
	s_set_vgpr_msb 0x41                     ;  msbs: dst=1 src0=1 src1=0 src2=0
	v_add3_u32 v98 /*v354*/, v98 /*v354*/, v248, v41
	v_mul_i32_i24_e32 v102 /*v358*/, v97 /*v353*/, v135
	s_set_vgpr_msb 0x44                     ;  msbs: dst=1 src0=0 src1=1 src2=0
	v_mul_i32_i24_e32 v83 /*v339*/, v140, v90 /*v346*/
	s_set_vgpr_msb 4                        ;  msbs: dst=0 src0=0 src1=1 src2=0
	v_mad_i32_i24 v166, v138, v182 /*v438*/, v166
	s_set_vgpr_msb 0x44                     ;  msbs: dst=1 src0=0 src1=1 src2=0
	v_mul_i32_i24_e32 v80 /*v336*/, v140, v80 /*v336*/
	s_set_vgpr_msb 0x45                     ;  msbs: dst=1 src0=1 src1=1 src2=0
	v_mul_i32_i24_e32 v103 /*v359*/, v98 /*v354*/, v181 /*v437*/
	s_set_vgpr_msb 0x44                     ;  msbs: dst=1 src0=0 src1=1 src2=0
	v_mul_i32_i24_e32 v81 /*v337*/, v141, v81 /*v337*/
	s_set_vgpr_msb 16                       ;  msbs: dst=0 src0=0 src1=0 src2=1
	v_lshrrev_b32_e32 v18, 1, v18
	v_add3_u32 v190, v166, v190, v94 /*v350*/
	s_set_vgpr_msb 4                        ;  msbs: dst=0 src0=0 src1=1 src2=0
	v_mul_i32_i24_e32 v166, v119, v152 /*v408*/
	s_set_vgpr_msb 64                       ;  msbs: dst=1 src0=0 src1=0 src2=0
	v_mul_i32_i24_e32 v94 /*v350*/, v130, v195
	s_set_vgpr_msb 0x55                     ;  msbs: dst=1 src0=1 src1=1 src2=1
	v_add3_u32 v80 /*v336*/, v166 /*v422*/, v80 /*v336*/, v81 /*v337*/
	s_set_vgpr_msb 0                        ;  msbs: dst=0 src0=0 src1=0 src2=0
	v_dual_lshrrev_b32 v19, 1, v19 :: v_dual_lshrrev_b32 v20, 1, v20
	s_set_vgpr_msb 4                        ;  msbs: dst=0 src0=0 src1=1 src2=0
	v_mad_i32_i24 v166, v125, v151 /*v407*/, v166
	s_set_vgpr_msb 0x54                     ;  msbs: dst=1 src0=0 src1=1 src2=1
	s_delay_alu instid0(VALU_DEP_1)
	v_add3_u32 v94 /*v350*/, v166, v95 /*v351*/, v94 /*v350*/
	s_set_vgpr_msb 4                        ;  msbs: dst=0 src0=0 src1=1 src2=0
	v_mul_i32_i24_e32 v166, v137, v152 /*v408*/
	s_set_vgpr_msb 0x44                     ;  msbs: dst=1 src0=0 src1=1 src2=0
	v_mul_i32_i24_e32 v95 /*v351*/, v144, v150 /*v406*/
	s_set_vgpr_msb 4                        ;  msbs: dst=0 src0=0 src1=1 src2=0
	s_delay_alu instid0(VALU_DEP_2) | instskip(SKIP_1) | instid1(VALU_DEP_1)
	v_mad_i32_i24 v166, v138, v151 /*v407*/, v166
	s_set_vgpr_msb 0x54                     ;  msbs: dst=1 src0=0 src1=1 src2=1
	v_add3_u32 v95 /*v351*/, v166, v95 /*v351*/, v96 /*v352*/
	s_set_vgpr_msb 5                        ;  msbs: dst=0 src0=1 src1=1 src2=0
	v_add_nc_u32_e32 v166, v111 /*v367*/, v108 /*v364*/
	s_set_vgpr_msb 0x45                     ;  msbs: dst=1 src0=1 src1=1 src2=0
	v_add_nc_u32_e32 v96 /*v352*/, v112 /*v368*/, v109 /*v365*/
	s_set_vgpr_msb 0x41                     ;  msbs: dst=1 src0=1 src1=0 src2=0
	v_mul_i32_i24_e32 v108 /*v364*/, v104 /*v360*/, v195
	s_set_vgpr_msb 0x44                     ;  msbs: dst=1 src0=0 src1=1 src2=0
	v_mul_i32_i24_e32 v109 /*v365*/, v133, v155 /*v411*/
	s_set_vgpr_msb 0x45                     ;  msbs: dst=1 src0=1 src1=1 src2=0
	v_mul_i32_i24_e32 v112 /*v368*/, v135 /*v391*/, v181 /*v437*/
	s_set_vgpr_msb 0x44                     ;  msbs: dst=1 src0=0 src1=1 src2=0
	v_add3_u32 v101 /*v357*/, v166, v32 /*v288*/, v179
	s_set_vgpr_msb 0x45                     ;  msbs: dst=1 src0=1 src1=1 src2=0
	v_add3_u32 v96 /*v352*/, v96 /*v352*/, v33 /*v289*/, v180
	s_set_vgpr_msb 5                        ;  msbs: dst=0 src0=1 src1=1 src2=0
	s_delay_alu instid0(VALU_DEP_2) | instskip(NEXT) | instid1(VALU_DEP_1)
	v_mul_i32_i24_e32 v166, v101 /*v357*/, v183 /*v439*/
	v_mad_i32_i24 v166, v96 /*v352*/, v182 /*v438*/, v166
	s_set_vgpr_msb 0x54                     ;  msbs: dst=1 src0=0 src1=1 src2=1
	s_delay_alu instid0(VALU_DEP_1)
	v_add3_u32 v102 /*v358*/, v166, v103 /*v359*/, v102 /*v358*/
	s_set_vgpr_msb 5                        ;  msbs: dst=0 src0=1 src1=1 src2=0
	v_add_nc_u32_e32 v166, v117 /*v373*/, v114 /*v370*/
	s_set_vgpr_msb 0x45                     ;  msbs: dst=1 src0=1 src1=1 src2=0
	v_add_nc_u32_e32 v103 /*v359*/, v118 /*v374*/, v115 /*v371*/
	s_set_vgpr_msb 0x41                     ;  msbs: dst=1 src0=1 src1=0 src2=0
	v_mul_i32_i24_e32 v114 /*v370*/, v104 /*v360*/, v135
	v_mul_i32_i24_e32 v115 /*v371*/, v97 /*v353*/, v195
	s_set_vgpr_msb 0x44                     ;  msbs: dst=1 src0=0 src1=1 src2=0
	v_add3_u32 v106 /*v362*/, v166, v41 /*v297*/, v183
	s_set_vgpr_msb 0x45                     ;  msbs: dst=1 src0=1 src1=1 src2=0
	v_add3_u32 v103 /*v359*/, v103 /*v359*/, v42 /*v298*/, v184
	s_set_vgpr_msb 5                        ;  msbs: dst=0 src0=1 src1=1 src2=0
	s_delay_alu instid0(VALU_DEP_2) | instskip(NEXT) | instid1(VALU_DEP_1)
	v_mul_i32_i24_e32 v166, v106 /*v362*/, v152 /*v408*/
	v_mad_i32_i24 v166, v103 /*v359*/, v151 /*v407*/, v166
	s_set_vgpr_msb 0x54                     ;  msbs: dst=1 src0=0 src1=1 src2=1
	s_delay_alu instid0(VALU_DEP_1) | instskip(SKIP_4) | instid1(VALU_DEP_2)
	v_add3_u32 v107 /*v363*/, v166, v107 /*v363*/, v108 /*v364*/
	v_lshrrev_b32_e32 v108 /*v364*/, 24, v154 /*v410*/
	s_set_vgpr_msb 4                        ;  msbs: dst=0 src0=0 src1=1 src2=0
	v_mul_i32_i24_e32 v166, v119, v176 /*v432*/
	s_set_vgpr_msb 0x44                     ;  msbs: dst=1 src0=0 src1=1 src2=0
	v_mul_i32_i24_e32 v110 /*v366*/, v130, v108 /*v364*/
	s_set_vgpr_msb 4                        ;  msbs: dst=0 src0=0 src1=1 src2=0
	s_delay_alu instid0(VALU_DEP_2) | instskip(SKIP_3) | instid1(VALU_DEP_2)
	v_mad_i32_i24 v166, v125, v175 /*v431*/, v166
	s_set_vgpr_msb 0x45                     ;  msbs: dst=1 src0=1 src1=1 src2=0
	v_mul_i32_i24_e32 v111 /*v367*/, v104 /*v360*/, v108 /*v364*/
	s_set_vgpr_msb 0x54                     ;  msbs: dst=1 src0=0 src1=1 src2=1
	v_add3_u32 v109 /*v365*/, v166, v109 /*v365*/, v110 /*v366*/
	s_set_vgpr_msb 5                        ;  msbs: dst=0 src0=1 src1=1 src2=0
	v_mul_i32_i24_e32 v166, v106 /*v362*/, v176 /*v432*/
	s_set_vgpr_msb 0x45                     ;  msbs: dst=1 src0=1 src1=1 src2=0
	v_mul_i32_i24_e32 v110 /*v366*/, v105 /*v361*/, v155 /*v411*/
	s_set_vgpr_msb 5                        ;  msbs: dst=0 src0=1 src1=1 src2=0
	s_delay_alu instid0(VALU_DEP_2) | instskip(SKIP_1) | instid1(VALU_DEP_1)
	v_mad_i32_i24 v166, v103 /*v359*/, v175 /*v431*/, v166
	s_set_vgpr_msb 0x54                     ;  msbs: dst=1 src0=0 src1=1 src2=1
	v_add3_u32 v110 /*v366*/, v166, v110 /*v366*/, v111 /*v367*/
	s_set_vgpr_msb 5                        ;  msbs: dst=0 src0=1 src1=1 src2=0
	v_add_nc_u32_e32 v166, v91 /*v347*/, v125 /*v381*/
	s_set_vgpr_msb 0x45                     ;  msbs: dst=1 src0=1 src1=1 src2=0
	v_mul_i32_i24_e32 v125 /*v381*/, v97 /*v353*/, v108 /*v364*/
	s_set_vgpr_msb 0x44                     ;  msbs: dst=1 src0=0 src1=1 src2=0
	s_delay_alu instid0(VALU_DEP_2) | instskip(SKIP_3) | instid1(VALU_DEP_2)
	v_add3_u32 v111 /*v367*/, v166, v6 /*v262*/, v52
	s_set_vgpr_msb 5                        ;  msbs: dst=0 src0=1 src1=1 src2=0
	v_mul_i32_i24_e32 v166, v134 /*v390*/, v183 /*v439*/
	s_set_vgpr_msb 0x41                     ;  msbs: dst=1 src0=1 src1=0 src2=0
	v_mul_i32_i24_e32 v113 /*v369*/, v111 /*v367*/, v135
	s_set_vgpr_msb 5                        ;  msbs: dst=0 src0=1 src1=1 src2=0
	s_delay_alu instid0(VALU_DEP_2) | instskip(SKIP_1) | instid1(VALU_DEP_1)
	v_mad_i32_i24 v166, v136 /*v392*/, v182 /*v438*/, v166
	s_set_vgpr_msb 0x54                     ;  msbs: dst=1 src0=0 src1=1 src2=1
	v_add3_u32 v112 /*v368*/, v166, v112 /*v368*/, v113 /*v369*/
	s_set_vgpr_msb 5                        ;  msbs: dst=0 src0=1 src1=1 src2=0
	v_mul_i32_i24_e32 v166, v106 /*v362*/, v183 /*v439*/
	s_set_vgpr_msb 0x45                     ;  msbs: dst=1 src0=1 src1=1 src2=0
	v_mul_i32_i24_e32 v113 /*v369*/, v105 /*v361*/, v181 /*v437*/
	s_set_vgpr_msb 5                        ;  msbs: dst=0 src0=1 src1=1 src2=0
	s_delay_alu instid0(VALU_DEP_2) | instskip(SKIP_1) | instid1(VALU_DEP_1)
	v_mad_i32_i24 v166, v103 /*v359*/, v182 /*v438*/, v166
	s_set_vgpr_msb 0x54                     ;  msbs: dst=1 src0=0 src1=1 src2=1
	v_add3_u32 v113 /*v369*/, v166, v113 /*v369*/, v114 /*v370*/
	s_set_vgpr_msb 5                        ;  msbs: dst=0 src0=1 src1=1 src2=0
	v_mul_i32_i24_e32 v166, v101 /*v357*/, v152 /*v408*/
	s_set_vgpr_msb 0x45                     ;  msbs: dst=1 src0=1 src1=1 src2=0
	v_mul_i32_i24_e32 v114 /*v370*/, v98 /*v354*/, v150 /*v406*/
	s_set_vgpr_msb 5                        ;  msbs: dst=0 src0=1 src1=1 src2=0
	s_delay_alu instid0(VALU_DEP_2) | instskip(SKIP_1) | instid1(VALU_DEP_1)
	v_mad_i32_i24 v166, v96 /*v352*/, v151 /*v407*/, v166
	s_set_vgpr_msb 0x54                     ;  msbs: dst=1 src0=0 src1=1 src2=1
	v_add3_u32 v114 /*v370*/, v166, v114 /*v370*/, v115 /*v371*/
	s_set_vgpr_msb 5                        ;  msbs: dst=0 src0=1 src1=1 src2=0
	v_add_nc_u32_e32 v166, v93 /*v349*/, v126 /*v382*/
	s_set_vgpr_msb 0x44                     ;  msbs: dst=1 src0=0 src1=1 src2=0
	s_delay_alu instid0(VALU_DEP_1) | instskip(SKIP_3) | instid1(VALU_DEP_2)
	v_add3_u32 v115 /*v371*/, v166, v9 /*v265*/, v54
	s_set_vgpr_msb 5                        ;  msbs: dst=0 src0=1 src1=1 src2=0
	v_mul_i32_i24_e32 v166, v131 /*v387*/, v152 /*v408*/
	s_set_vgpr_msb 0x41                     ;  msbs: dst=1 src0=1 src1=0 src2=0
	v_mul_i32_i24_e32 v117 /*v373*/, v115 /*v371*/, v195
	s_set_vgpr_msb 5                        ;  msbs: dst=0 src0=1 src1=1 src2=0
	s_delay_alu instid0(VALU_DEP_2) | instskip(SKIP_3) | instid1(VALU_DEP_2)
	v_mad_i32_i24 v166, v132 /*v388*/, v151 /*v407*/, v166
	s_set_vgpr_msb 0x45                     ;  msbs: dst=1 src0=1 src1=1 src2=0
	v_mul_i32_i24_e32 v118 /*v374*/, v115 /*v371*/, v108 /*v364*/
	s_set_vgpr_msb 0x54                     ;  msbs: dst=1 src0=0 src1=1 src2=1
	v_add3_u32 v116 /*v372*/, v166, v116 /*v372*/, v117 /*v373*/
	s_set_vgpr_msb 5                        ;  msbs: dst=0 src0=1 src1=1 src2=0
	v_mul_i32_i24_e32 v166, v131 /*v387*/, v176 /*v432*/
	s_set_vgpr_msb 0x45                     ;  msbs: dst=1 src0=1 src1=1 src2=0
	v_mul_i32_i24_e32 v117 /*v373*/, v133 /*v389*/, v155 /*v411*/
	s_set_vgpr_msb 5                        ;  msbs: dst=0 src0=1 src1=1 src2=0
	s_delay_alu instid0(VALU_DEP_2) | instskip(SKIP_1) | instid1(VALU_DEP_1)
	v_mad_i32_i24 v166, v132 /*v388*/, v175 /*v431*/, v166
	s_set_vgpr_msb 0x54                     ;  msbs: dst=1 src0=0 src1=1 src2=1
	v_add3_u32 v117 /*v373*/, v166, v117 /*v373*/, v118 /*v374*/
	s_set_vgpr_msb 5                        ;  msbs: dst=0 src0=1 src1=1 src2=0
	v_mul_i32_i24_e32 v166, v101 /*v357*/, v176 /*v432*/
	s_set_vgpr_msb 0x45                     ;  msbs: dst=1 src0=1 src1=1 src2=0
	v_mul_i32_i24_e32 v118 /*v374*/, v98 /*v354*/, v155 /*v411*/
	s_set_vgpr_msb 5                        ;  msbs: dst=0 src0=1 src1=1 src2=0
	s_delay_alu instid0(VALU_DEP_2) | instskip(SKIP_1) | instid1(VALU_DEP_1)
	v_mad_i32_i24 v166, v96 /*v352*/, v175 /*v431*/, v166
	s_set_vgpr_msb 0x54                     ;  msbs: dst=1 src0=0 src1=1 src2=1
	v_add3_u32 v118 /*v374*/, v166, v118 /*v374*/, v125 /*v381*/
	s_set_vgpr_msb 20                       ;  msbs: dst=0 src0=0 src1=1 src2=1
	v_add3_u32 v166, s19, v204 /*v460*/, v213 /*v469*/
	ds_load_u16 v166, v166
	s_wait_dscnt 0x0
	s_set_vgpr_msb 0x44                     ;  msbs: dst=1 src0=0 src1=1 src2=0
	v_bfe_u32 v125 /*v381*/, v166, 4, 4
	s_delay_alu instid0(VALU_DEP_1) | instskip(NEXT) | instid1(VALU_DEP_1)
	v_mul_lo_u32 v125 /*v381*/, 0x1010101, v125 /*v381*/
	v_lshrrev_b16 v126 /*v382*/, 8, v125 /*v381*/
	s_set_vgpr_msb 0x41                     ;  msbs: dst=1 src0=1 src1=0 src2=0
	v_bfe_i32 v145 /*v401*/, v125 /*v381*/, 0, 8
	s_set_vgpr_msb 0x44                     ;  msbs: dst=1 src0=0 src1=1 src2=0
	v_lshrrev_b32_e32 v146 /*v402*/, 24, v125 /*v381*/
	s_set_vgpr_msb 0x41                     ;  msbs: dst=1 src0=1 src1=0 src2=0
	v_bfe_i32 v125 /*v381*/, v125 /*v381*/, 16, 8
	v_bfe_i32 v126 /*v382*/, v126 /*v382*/, 0, 8
	s_set_vgpr_msb 4                        ;  msbs: dst=0 src0=0 src1=1 src2=0
	v_mul_i32_i24_e32 v119, v119, v145 /*v401*/
	s_set_vgpr_msb 0x44                     ;  msbs: dst=1 src0=0 src1=1 src2=0
	v_mul_i32_i24_e32 v147 /*v403*/, v137, v145 /*v401*/
	s_set_vgpr_msb 0x45                     ;  msbs: dst=1 src0=1 src1=1 src2=0
	v_mul_i32_i24_e32 v101 /*v357*/, v101 /*v357*/, v145 /*v401*/
	s_set_vgpr_msb 4                        ;  msbs: dst=0 src0=0 src1=1 src2=0
	v_mul_i32_i24_e32 v137, v137, v176 /*v432*/
	s_set_vgpr_msb 0x44                     ;  msbs: dst=1 src0=0 src1=1 src2=0
	v_mul_i32_i24_e32 v149 /*v405*/, v144, v125 /*v381*/
	s_set_vgpr_msb 4                        ;  msbs: dst=0 src0=0 src1=1 src2=0
	v_mad_i32_i24 v119, v125, v126 /*v382*/, v119
	v_mul_i32_i24_e32 v125, v130, v146 /*v402*/
	v_mul_i32_i24_e32 v130, v133, v125 /*v381*/
	s_set_vgpr_msb 5                        ;  msbs: dst=0 src0=1 src1=1 src2=0
	v_mul_i32_i24_e32 v133, v104 /*v360*/, v146 /*v402*/
	s_set_vgpr_msb 0x54                     ;  msbs: dst=1 src0=0 src1=1 src2=1
	v_mad_i32_i24 v147 /*v403*/, v138, v126 /*v382*/, v147 /*v403*/
	s_set_vgpr_msb 0x55                     ;  msbs: dst=1 src0=1 src1=1 src2=1
	v_mad_i32_i24 v96 /*v352*/, v96 /*v352*/, v126 /*v382*/, v101 /*v357*/
	v_mul_i32_i24_e32 v98 /*v354*/, v98 /*v354*/, v125 /*v381*/
	s_set_vgpr_msb 0                        ;  msbs: dst=0 src0=0 src1=0 src2=0
	v_add3_u32 v119, v119, v130, v125
	s_set_vgpr_msb 5                        ;  msbs: dst=0 src0=1 src1=1 src2=0
	v_mul_i32_i24_e32 v125, v106 /*v362*/, v145 /*v401*/
	v_mul_i32_i24_e32 v130, v105 /*v361*/, v125 /*v381*/
	s_set_vgpr_msb 0x45                     ;  msbs: dst=1 src0=1 src1=1 src2=0
	v_mul_i32_i24_e32 v97 /*v353*/, v97 /*v353*/, v146 /*v402*/
	v_mul_i32_i24_e32 v88 /*v344*/, v84 /*v340*/, v145 /*v401*/
	s_set_vgpr_msb 4                        ;  msbs: dst=0 src0=0 src1=1 src2=0
	v_mad_i32_i24 v137, v138, v175 /*v431*/, v137
	s_set_vgpr_msb 5                        ;  msbs: dst=0 src0=1 src1=1 src2=0
	v_mad_i32_i24 v125, v103 /*v359*/, v126 /*v382*/, v125
	s_set_vgpr_msb 4                        ;  msbs: dst=0 src0=0 src1=1 src2=0
	v_mul_i32_i24_e32 v138, v144, v155 /*v411*/
	v_mul_i32_i24_e32 v144, v146, v108 /*v364*/
	s_set_vgpr_msb 0x55                     ;  msbs: dst=1 src0=1 src1=1 src2=1
	v_mul_i32_i24_e32 v103 /*v359*/, v111 /*v367*/, v146 /*v402*/
	v_add3_u32 v96 /*v352*/, v96 /*v352*/, v98 /*v354*/, v97 /*v353*/
	s_set_vgpr_msb 0                        ;  msbs: dst=0 src0=0 src1=0 src2=0
	v_add3_u32 v125, v125, v130, v133
	s_set_vgpr_msb 5                        ;  msbs: dst=0 src0=1 src1=1 src2=0
	v_mul_i32_i24_e32 v130, v134 /*v390*/, v145 /*v401*/
	v_mul_i32_i24_e32 v133, v135 /*v391*/, v125 /*v381*/
	s_set_vgpr_msb 0x55                     ;  msbs: dst=1 src0=1 src1=1 src2=1
	v_mad_i32_i24 v88 /*v344*/, v85 /*v341*/, v126 /*v382*/, v88 /*v344*/
	v_mul_i32_i24_e32 v89 /*v345*/, v86 /*v342*/, v125 /*v381*/
	v_mul_i32_i24_e32 v97 /*v353*/, v87 /*v343*/, v146 /*v402*/
	s_set_vgpr_msb 5                        ;  msbs: dst=0 src0=1 src1=1 src2=0
	v_mad_i32_i24 v130, v136 /*v392*/, v126 /*v382*/, v130
	s_set_vgpr_msb 0                        ;  msbs: dst=0 src0=0 src1=0 src2=0
	v_add3_u32 v137, v137, v138, v144
	s_set_vgpr_msb 5                        ;  msbs: dst=0 src0=1 src1=1 src2=0
	v_add_nc_u32_e32 v138, v124 /*v380*/, v123 /*v379*/
	s_set_vgpr_msb 0x44                     ;  msbs: dst=1 src0=0 src1=1 src2=0
	v_mul_i32_i24_e32 v154 /*v410*/, v146, v146 /*v402*/
	s_set_vgpr_msb 0x55                     ;  msbs: dst=1 src0=1 src1=1 src2=1
	v_add3_u32 v88 /*v344*/, v88 /*v344*/, v89 /*v345*/, v97 /*v353*/
	s_set_vgpr_msb 16                       ;  msbs: dst=0 src0=0 src1=0 src2=1
	v_add3_u32 v130, v130, v133, v103 /*v359*/
	s_set_vgpr_msb 5                        ;  msbs: dst=0 src0=1 src1=1 src2=0
	v_mul_i32_i24_e32 v133, v131 /*v387*/, v145 /*v401*/
	v_add_nc_u32_e32 v144, v137 /*v393*/, v148 /*v404*/
	v_bfe_i32 v146, v120 /*v376*/, 0, 8
	s_set_vgpr_msb 0x45                     ;  msbs: dst=1 src0=1 src1=1 src2=0
	v_dual_add_nc_u32 v89 /*v345*/, v99 /*v355*/, v121 /*v377*/ :: v_dual_add_nc_u32 v97 /*v353*/, v100 /*v356*/, v122 /*v378*/
	v_bfe_i32 v98 /*v354*/, v119 /*v375*/, 0, 8
	s_set_vgpr_msb 4                        ;  msbs: dst=0 src0=0 src1=1 src2=0
	v_add3_u32 v138, v138, v58 /*v314*/, v241
	s_set_vgpr_msb 5                        ;  msbs: dst=0 src0=1 src1=1 src2=0
	v_mad_i32_i24 v133, v132 /*v388*/, v126 /*v382*/, v133
	s_set_vgpr_msb 0x45                     ;  msbs: dst=1 src0=1 src1=1 src2=0
	v_mul_i32_i24_e32 v103 /*v359*/, v133 /*v389*/, v125 /*v381*/
	v_mul_i32_i24_e32 v104 /*v360*/, v115 /*v371*/, v146 /*v402*/
	v_add3_u32 v89 /*v345*/, v89 /*v345*/, v13 /*v269*/, v175
	v_add3_u32 v97 /*v353*/, v97 /*v353*/, v14 /*v270*/, v58
	s_set_vgpr_msb 16                       ;  msbs: dst=0 src0=0 src1=0 src2=1
	v_add3_u32 v144, v144, v146, v98 /*v354*/
	s_set_vgpr_msb 0x44                     ;  msbs: dst=1 src0=0 src1=1 src2=0
	v_mul_i32_i24_e32 v101 /*v357*/, v138, v176 /*v432*/
	s_set_vgpr_msb 20                       ;  msbs: dst=0 src0=0 src1=1 src2=1
	v_add3_u32 v133, v133, v103 /*v359*/, v104 /*v360*/
	s_set_vgpr_msb 0x45                     ;  msbs: dst=1 src0=1 src1=1 src2=0
	v_mul_i32_i24_e32 v104 /*v360*/, v89 /*v345*/, v108 /*v364*/
	v_mul_i32_i24_e32 v103 /*v359*/, v97 /*v353*/, v155 /*v411*/
	;; [unrolled: 1-line block ×3, first 2 shown]
	s_set_vgpr_msb 0x54                     ;  msbs: dst=1 src0=0 src1=1 src2=1
	v_mad_i32_i24 v101 /*v357*/, v144, v175 /*v431*/, v101 /*v357*/
	s_set_vgpr_msb 0x41                     ;  msbs: dst=1 src0=1 src1=0 src2=0
	v_mul_i32_i24_e32 v106 /*v362*/, v89 /*v345*/, v135
	v_mul_i32_i24_e32 v119 /*v375*/, v87 /*v343*/, v135
	;; [unrolled: 1-line block ×3, first 2 shown]
	s_set_vgpr_msb 1                        ;  msbs: dst=0 src0=1 src1=0 src2=0
	v_mul_i32_i24_e32 v135, v115 /*v371*/, v135
	s_set_vgpr_msb 0x55                     ;  msbs: dst=1 src0=1 src1=1 src2=1
	v_add3_u32 v101 /*v357*/, v101 /*v357*/, v103 /*v359*/, v104 /*v360*/
	v_mul_i32_i24_e32 v103 /*v359*/, v84 /*v340*/, v176 /*v432*/
	v_mul_i32_i24_e32 v104 /*v360*/, v86 /*v342*/, v155 /*v411*/
	v_add3_u32 v147 /*v403*/, v147 /*v403*/, v149 /*v405*/, v154 /*v410*/
	s_delay_alu instid0(VALU_DEP_3) | instskip(NEXT) | instid1(VALU_DEP_1)
	v_mad_i32_i24 v103 /*v359*/, v85 /*v341*/, v175 /*v431*/, v103 /*v359*/
	v_add3_u32 v103 /*v359*/, v103 /*v359*/, v104 /*v360*/, v105 /*v361*/
	s_set_vgpr_msb 0x44                     ;  msbs: dst=1 src0=0 src1=1 src2=0
	v_mul_i32_i24_e32 v104 /*v360*/, v138, v183 /*v439*/
	s_set_vgpr_msb 0x45                     ;  msbs: dst=1 src0=1 src1=1 src2=0
	v_mul_i32_i24_e32 v105 /*v361*/, v97 /*v353*/, v181 /*v437*/
	s_set_vgpr_msb 0x54                     ;  msbs: dst=1 src0=0 src1=1 src2=1
	s_delay_alu instid0(VALU_DEP_2) | instskip(SKIP_1) | instid1(VALU_DEP_1)
	v_mad_i32_i24 v104 /*v360*/, v144, v182 /*v438*/, v104 /*v360*/
	s_set_vgpr_msb 0x55                     ;  msbs: dst=1 src0=1 src1=1 src2=1
	v_add3_u32 v104 /*v360*/, v104 /*v360*/, v105 /*v361*/, v106 /*v362*/
	v_mul_i32_i24_e32 v105 /*v361*/, v84 /*v340*/, v183 /*v439*/
	v_mul_i32_i24_e32 v84 /*v340*/, v84 /*v340*/, v152 /*v408*/
	;; [unrolled: 1-line block ×4, first 2 shown]
	s_delay_alu instid0(VALU_DEP_4) | instskip(NEXT) | instid1(VALU_DEP_4)
	v_mad_i32_i24 v105 /*v361*/, v85 /*v341*/, v182 /*v438*/, v105 /*v361*/
	v_mad_i32_i24 v84 /*v340*/, v85 /*v341*/, v151 /*v407*/, v84 /*v340*/
	s_set_vgpr_msb 0x44                     ;  msbs: dst=1 src0=0 src1=1 src2=0
	v_mul_i32_i24_e32 v85 /*v341*/, v138, v152 /*v408*/
	s_set_vgpr_msb 0x55                     ;  msbs: dst=1 src0=1 src1=1 src2=1
	v_add3_u32 v105 /*v361*/, v105 /*v361*/, v106 /*v362*/, v119 /*v375*/
	v_add3_u32 v84 /*v340*/, v84 /*v340*/, v86 /*v342*/, v87 /*v343*/
	s_set_vgpr_msb 0x41                     ;  msbs: dst=1 src0=1 src1=0 src2=0
	v_add3_u32 v86 /*v342*/, v156 /*v412*/, v12, v13
	s_set_vgpr_msb 0                        ;  msbs: dst=0 src0=0 src1=0 src2=0
	v_bfe_u32 v12, v117, 16, 2
	v_bfe_u32 v13, v117, 24, 2
	s_set_vgpr_msb 0x54                     ;  msbs: dst=1 src0=0 src1=1 src2=1
	v_mad_i32_i24 v85 /*v341*/, v144, v151 /*v407*/, v85 /*v341*/
	s_set_vgpr_msb 0x45                     ;  msbs: dst=1 src0=1 src1=1 src2=0
	v_mul_i32_i24_e32 v106 /*v362*/, v97 /*v353*/, v150 /*v406*/
	s_set_vgpr_msb 0x41                     ;  msbs: dst=1 src0=1 src1=0 src2=0
	v_mul_i32_i24_e32 v119 /*v375*/, v89 /*v345*/, v195
	s_set_vgpr_msb 0                        ;  msbs: dst=0 src0=0 src1=0 src2=0
	v_mul_i32_i24_e32 v117, v12, v152
	s_set_vgpr_msb 64                       ;  msbs: dst=1 src0=0 src1=0 src2=0
	v_mul_i32_i24_e32 v87 /*v343*/, v13, v153
	v_mul_i32_i24_e32 v77 /*v333*/, v12, v156
	s_set_vgpr_msb 0x44                     ;  msbs: dst=1 src0=0 src1=1 src2=0
	v_mul_i32_i24_e32 v90 /*v346*/, v13, v10 /*v266*/
	s_set_vgpr_msb 64                       ;  msbs: dst=1 src0=0 src1=0 src2=0
	v_mul_i32_i24_e32 v79 /*v335*/, v12, v62
	v_mul_i32_i24_e32 v81 /*v337*/, v12, v161
	s_set_vgpr_msb 17                       ;  msbs: dst=0 src0=1 src1=0 src2=1
	v_add3_u32 v117, v157 /*v413*/, v117, v87 /*v343*/
	s_set_vgpr_msb 64                       ;  msbs: dst=1 src0=0 src1=0 src2=0
	v_mul_i32_i24_e32 v87 /*v343*/, v13, v157
	s_set_vgpr_msb 0x55                     ;  msbs: dst=1 src0=1 src1=1 src2=1
	v_add3_u32 v85 /*v341*/, v85 /*v341*/, v106 /*v362*/, v119 /*v375*/
	s_delay_alu instid0(VALU_DEP_2)
	v_add3_u32 v77 /*v333*/, v162 /*v418*/, v77 /*v333*/, v87 /*v343*/
	s_set_vgpr_msb 0x44                     ;  msbs: dst=1 src0=0 src1=1 src2=0
	v_mul_i32_i24_e32 v87 /*v343*/, v141, v91 /*v347*/
	v_mul_i32_i24_e32 v91 /*v347*/, v141, v93 /*v349*/
	s_set_vgpr_msb 4                        ;  msbs: dst=0 src0=0 src1=1 src2=0
	v_mul_i32_i24_e32 v141, v141, v99 /*v355*/
	s_set_vgpr_msb 0x44                     ;  msbs: dst=1 src0=0 src1=1 src2=0
	v_mul_i32_i24_e32 v93 /*v349*/, v13, v19 /*v275*/
	s_set_vgpr_msb 0x55                     ;  msbs: dst=1 src0=1 src1=1 src2=1
	v_add3_u32 v83 /*v339*/, v127 /*v383*/, v83 /*v339*/, v87 /*v343*/
	s_set_vgpr_msb 0x44                     ;  msbs: dst=1 src0=0 src1=1 src2=0
	v_mul_i32_i24_e32 v87 /*v343*/, v12, v15 /*v271*/
	s_set_vgpr_msb 0x55                     ;  msbs: dst=1 src0=1 src1=1 src2=1
	s_delay_alu instid0(VALU_DEP_1)
	v_add3_u32 v87 /*v343*/, v128 /*v384*/, v87 /*v343*/, v90 /*v346*/
	s_set_vgpr_msb 64                       ;  msbs: dst=1 src0=0 src1=0 src2=0
	v_mul_i32_i24_e32 v90 /*v346*/, v13, v60
	s_set_vgpr_msb 0                        ;  msbs: dst=0 src0=0 src1=0 src2=0
	v_add_nc_u32_e32 v60, v62, v61
	s_set_vgpr_msb 0x55                     ;  msbs: dst=1 src0=1 src1=1 src2=1
	s_delay_alu instid0(VALU_DEP_2)
	v_add3_u32 v79 /*v335*/, v165 /*v421*/, v79 /*v335*/, v90 /*v346*/
	s_set_vgpr_msb 0x44                     ;  msbs: dst=1 src0=0 src1=1 src2=0
	v_mul_i32_i24_e32 v90 /*v346*/, v140, v92 /*v348*/
	v_mul_i32_i24_e32 v92 /*v348*/, v13, v22 /*v278*/
	s_set_vgpr_msb 4                        ;  msbs: dst=0 src0=0 src1=1 src2=0
	v_mul_i32_i24_e32 v140, v140, v100 /*v356*/
	s_set_vgpr_msb 0x55                     ;  msbs: dst=1 src0=1 src1=1 src2=1
	v_add3_u32 v90 /*v346*/, v129 /*v385*/, v90 /*v346*/, v91 /*v347*/
	s_set_vgpr_msb 0x44                     ;  msbs: dst=1 src0=0 src1=1 src2=0
	v_mul_i32_i24_e32 v91 /*v347*/, v12, v23 /*v279*/
	s_set_vgpr_msb 0                        ;  msbs: dst=0 src0=0 src1=0 src2=0
	v_add3_u32 v132, v132, v140, v141
	v_bfe_u32 v140, v8, 8, 2
	v_and_b32_e32 v141, 3, v0
	s_set_vgpr_msb 0x55                     ;  msbs: dst=1 src0=1 src1=1 src2=1
	v_add3_u32 v91 /*v347*/, v130 /*v386*/, v91 /*v347*/, v92 /*v348*/
	s_set_vgpr_msb 0x44                     ;  msbs: dst=1 src0=0 src1=1 src2=0
	v_mul_i32_i24_e32 v92 /*v348*/, v13, v16 /*v272*/
	s_set_vgpr_msb 0                        ;  msbs: dst=0 src0=0 src1=0 src2=0
	v_mul_i32_i24_e32 v13, v13, v104
	s_set_vgpr_msb 0x44                     ;  msbs: dst=1 src0=0 src1=1 src2=0
	v_mul_i32_i24_e32 v127 /*v383*/, v140, v31 /*v287*/
	s_set_vgpr_msb 0x55                     ;  msbs: dst=1 src0=1 src1=1 src2=1
	v_add3_u32 v81 /*v337*/, v167 /*v423*/, v81 /*v337*/, v92 /*v348*/
	s_set_vgpr_msb 0x44                     ;  msbs: dst=1 src0=0 src1=1 src2=0
	v_mul_i32_i24_e32 v92 /*v348*/, v12, v17 /*v273*/
	s_set_vgpr_msb 0                        ;  msbs: dst=0 src0=0 src1=0 src2=0
	v_mul_i32_i24_e32 v12, v12, v111
	s_set_vgpr_msb 0x55                     ;  msbs: dst=1 src0=1 src1=1 src2=1
	s_delay_alu instid0(VALU_DEP_2) | instskip(SKIP_1) | instid1(VALU_DEP_2)
	v_add3_u32 v92 /*v348*/, v168 /*v424*/, v92 /*v348*/, v93 /*v349*/
	s_set_vgpr_msb 0                        ;  msbs: dst=0 src0=0 src1=0 src2=0
	v_add3_u32 v116, v116, v12, v13
	v_mul_i32_i24_e32 v12, v14, v145
	v_mul_i32_i24_e32 v13, v140, v15
	v_bfe_u32 v145, v0, 8, 2
	s_delay_alu instid0(VALU_DEP_2) | instskip(SKIP_2) | instid1(VALU_DEP_3)
	v_add3_u32 v123, v123, v12, v13
	s_set_vgpr_msb 4                        ;  msbs: dst=0 src0=0 src1=1 src2=0
	v_mul_i32_i24_e32 v12, v141, v25 /*v281*/
	v_mul_i32_i24_e32 v13, v145, v24 /*v280*/
	s_set_vgpr_msb 0x44                     ;  msbs: dst=1 src0=0 src1=1 src2=0
	v_mul_i32_i24_e32 v122 /*v378*/, v145, v45 /*v301*/
	v_mul_i32_i24_e32 v128 /*v384*/, v145, v28 /*v284*/
	s_set_vgpr_msb 0                        ;  msbs: dst=0 src0=0 src1=0 src2=0
	v_add3_u32 v126, v126, v12, v13
	v_mul_i32_i24_e32 v12, v14, v191
	v_bfe_u32 v191, v114, 8, 2
	v_mul_i32_i24_e32 v14, v14, v103
	v_bfe_u32 v103, v2, 8, 2
	s_delay_alu instid0(VALU_DEP_3) | instskip(NEXT) | instid1(VALU_DEP_1)
	v_mul_i32_i24_e32 v13, v191, v15
	v_add3_u32 v131, v131, v12, v13
	v_add_nc_u32_e32 v12, 0x2118, v81
	ds_load_2addr_b32 v[12:13], v12 offset1:1
	s_wait_dscnt 0x0
	s_set_vgpr_msb 64                       ;  msbs: dst=1 src0=0 src1=0 src2=0
	v_ashrrev_i32_e32 v93 /*v349*/, s18, v12
	s_set_vgpr_msb 4                        ;  msbs: dst=0 src0=0 src1=1 src2=0
	s_delay_alu instid0(VALU_DEP_1) | instskip(SKIP_3) | instid1(VALU_DEP_2)
	v_and_b32_e32 v12, 3, v93 /*v349*/
	s_set_vgpr_msb 0x41                     ;  msbs: dst=1 src0=1 src1=0 src2=0
	v_bfe_u32 v99 /*v355*/, v93 /*v349*/, 8, 2
	s_set_vgpr_msb 0x44                     ;  msbs: dst=1 src0=0 src1=1 src2=0
	v_mul_i32_i24_e32 v100 /*v356*/, v12, v25 /*v281*/
	s_set_vgpr_msb 0x45                     ;  msbs: dst=1 src0=1 src1=1 src2=0
	s_delay_alu instid0(VALU_DEP_2) | instskip(SKIP_2) | instid1(VALU_DEP_2)
	v_mul_i32_i24_e32 v106 /*v362*/, v99 /*v355*/, v24 /*v280*/
	v_mul_i32_i24_e32 v121 /*v377*/, v99 /*v355*/, v45 /*v301*/
	s_set_vgpr_msb 20                       ;  msbs: dst=0 src0=0 src1=1 src2=1
	v_add3_u32 v134, v134, v100 /*v356*/, v106 /*v362*/
	s_set_vgpr_msb 0x41                     ;  msbs: dst=1 src0=1 src1=0 src2=0
	v_bfe_u32 v100 /*v356*/, v178 /*v434*/, 8, 2
	s_delay_alu instid0(VALU_DEP_1)
	v_mul_i32_i24_e32 v106 /*v362*/, v100 /*v356*/, v15
	s_set_vgpr_msb 0x45                     ;  msbs: dst=1 src0=1 src1=1 src2=0
	v_mul_i32_i24_e32 v123 /*v379*/, v100 /*v356*/, v33 /*v289*/
	s_set_vgpr_msb 16                       ;  msbs: dst=0 src0=0 src1=0 src2=1
	v_mul_i32_i24_e32 v15, v103, v15
	v_add3_u32 v139, v139, v197, v106 /*v362*/
	v_and_b32_e32 v197, 3, v4
	s_set_vgpr_msb 0x44                     ;  msbs: dst=1 src0=0 src1=1 src2=0
	v_bfe_u32 v106 /*v362*/, v4, 8, 2
	s_delay_alu instid0(VALU_DEP_2) | instskip(SKIP_1) | instid1(VALU_DEP_2)
	v_mul_i32_i24_e32 v119 /*v375*/, v197, v25 /*v281*/
	s_set_vgpr_msb 0x45                     ;  msbs: dst=1 src0=1 src1=1 src2=0
	v_mul_i32_i24_e32 v120 /*v376*/, v106 /*v362*/, v24 /*v280*/
	v_mul_i32_i24_e32 v124 /*v380*/, v106 /*v362*/, v45 /*v301*/
	s_set_vgpr_msb 20                       ;  msbs: dst=0 src0=0 src1=1 src2=1
	s_delay_alu instid0(VALU_DEP_2) | instskip(SKIP_4) | instid1(VALU_DEP_1)
	v_add3_u32 v142, v142, v119 /*v375*/, v120 /*v376*/
	s_set_vgpr_msb 0x44                     ;  msbs: dst=1 src0=0 src1=1 src2=0
	v_mul_i32_i24_e32 v119 /*v375*/, v143, v26 /*v282*/
	v_mul_i32_i24_e32 v120 /*v376*/, v140, v27 /*v283*/
	s_set_vgpr_msb 20                       ;  msbs: dst=0 src0=0 src1=1 src2=1
	v_add3_u32 v147, v147, v119 /*v375*/, v120 /*v376*/
	s_set_vgpr_msb 0x44                     ;  msbs: dst=1 src0=0 src1=1 src2=0
	v_mul_i32_i24_e32 v119 /*v375*/, v141, v34 /*v290*/
	v_mul_i32_i24_e32 v120 /*v376*/, v145, v35 /*v291*/
	s_set_vgpr_msb 20                       ;  msbs: dst=0 src0=0 src1=1 src2=1
	s_delay_alu instid0(VALU_DEP_1) | instskip(SKIP_4) | instid1(VALU_DEP_1)
	v_add3_u32 v148, v148, v119 /*v375*/, v120 /*v376*/
	s_set_vgpr_msb 0x44                     ;  msbs: dst=1 src0=0 src1=1 src2=0
	v_mul_i32_i24_e32 v119 /*v375*/, v149, v26 /*v282*/
	v_mul_i32_i24_e32 v120 /*v376*/, v191, v27 /*v283*/
	s_set_vgpr_msb 20                       ;  msbs: dst=0 src0=0 src1=1 src2=1
	v_add3_u32 v192, v192, v119 /*v375*/, v120 /*v376*/
	s_set_vgpr_msb 0x44                     ;  msbs: dst=1 src0=0 src1=1 src2=0
	v_mul_i32_i24_e32 v119 /*v375*/, v12, v34 /*v290*/
	s_set_vgpr_msb 0x45                     ;  msbs: dst=1 src0=1 src1=1 src2=0
	v_mul_i32_i24_e32 v120 /*v376*/, v99 /*v355*/, v35 /*v291*/
	s_set_vgpr_msb 20                       ;  msbs: dst=0 src0=0 src1=1 src2=1
	s_delay_alu instid0(VALU_DEP_1) | instskip(SKIP_4) | instid1(VALU_DEP_1)
	v_add3_u32 v193, v193, v119 /*v375*/, v120 /*v376*/
	s_set_vgpr_msb 0x45                     ;  msbs: dst=1 src0=1 src1=1 src2=0
	v_mul_i32_i24_e32 v119 /*v375*/, v179 /*v435*/, v26 /*v282*/
	v_mul_i32_i24_e32 v120 /*v376*/, v100 /*v356*/, v27 /*v283*/
	s_set_vgpr_msb 20                       ;  msbs: dst=0 src0=0 src1=1 src2=1
	v_add3_u32 v194, v194, v119 /*v375*/, v120 /*v376*/
	s_set_vgpr_msb 0x44                     ;  msbs: dst=1 src0=0 src1=1 src2=0
	v_mul_i32_i24_e32 v119 /*v375*/, v197, v34 /*v290*/
	s_set_vgpr_msb 0x45                     ;  msbs: dst=1 src0=1 src1=1 src2=0
	v_mul_i32_i24_e32 v120 /*v376*/, v106 /*v362*/, v35 /*v291*/
	s_set_vgpr_msb 20                       ;  msbs: dst=0 src0=0 src1=1 src2=1
	s_delay_alu instid0(VALU_DEP_1) | instskip(SKIP_4) | instid1(VALU_DEP_1)
	v_add3_u32 v196, v196, v119 /*v375*/, v120 /*v376*/
	s_set_vgpr_msb 0x44                     ;  msbs: dst=1 src0=0 src1=1 src2=0
	v_mul_i32_i24_e32 v119 /*v375*/, v143, v41 /*v297*/
	v_mul_i32_i24_e32 v120 /*v376*/, v140, v42 /*v298*/
	s_set_vgpr_msb 20                       ;  msbs: dst=0 src0=0 src1=1 src2=1
	v_add3_u32 v198, v198, v119 /*v375*/, v120 /*v376*/
	s_set_vgpr_msb 0x44                     ;  msbs: dst=1 src0=0 src1=1 src2=0
	v_mul_i32_i24_e32 v119 /*v375*/, v149, v41 /*v297*/
	v_mul_i32_i24_e32 v120 /*v376*/, v191, v42 /*v298*/
	s_set_vgpr_msb 20                       ;  msbs: dst=0 src0=0 src1=1 src2=1
	s_delay_alu instid0(VALU_DEP_1) | instskip(SKIP_4) | instid1(VALU_DEP_1)
	v_add3_u32 v199, v199, v119 /*v375*/, v120 /*v376*/
	s_set_vgpr_msb 0x45                     ;  msbs: dst=1 src0=1 src1=1 src2=0
	v_mul_i32_i24_e32 v119 /*v375*/, v179 /*v435*/, v41 /*v297*/
	v_mul_i32_i24_e32 v120 /*v376*/, v100 /*v356*/, v42 /*v298*/
	s_set_vgpr_msb 20                       ;  msbs: dst=0 src0=0 src1=1 src2=1
	v_add3_u32 v200, v200, v119 /*v375*/, v120 /*v376*/
	s_set_vgpr_msb 0x44                     ;  msbs: dst=1 src0=0 src1=1 src2=0
	v_mul_i32_i24_e32 v119 /*v375*/, v143, v50 /*v306*/
	v_mul_i32_i24_e32 v120 /*v376*/, v140, v51 /*v307*/
	s_set_vgpr_msb 20                       ;  msbs: dst=0 src0=0 src1=1 src2=1
	s_delay_alu instid0(VALU_DEP_1) | instskip(SKIP_4) | instid1(VALU_DEP_1)
	v_add3_u32 v201, v201, v119 /*v375*/, v120 /*v376*/
	s_set_vgpr_msb 0x44                     ;  msbs: dst=1 src0=0 src1=1 src2=0
	v_mul_i32_i24_e32 v119 /*v375*/, v149, v50 /*v306*/
	v_mul_i32_i24_e32 v120 /*v376*/, v191, v51 /*v307*/
	s_set_vgpr_msb 20                       ;  msbs: dst=0 src0=0 src1=1 src2=1
	v_add3_u32 v202, v202, v119 /*v375*/, v120 /*v376*/
	s_set_vgpr_msb 0x45                     ;  msbs: dst=1 src0=1 src1=1 src2=0
	v_mul_i32_i24_e32 v119 /*v375*/, v179 /*v435*/, v50 /*v306*/
	v_mul_i32_i24_e32 v120 /*v376*/, v100 /*v356*/, v51 /*v307*/
	s_set_vgpr_msb 20                       ;  msbs: dst=0 src0=0 src1=1 src2=1
	s_delay_alu instid0(VALU_DEP_1) | instskip(SKIP_4) | instid1(VALU_DEP_1)
	v_add3_u32 v203, v203, v119 /*v375*/, v120 /*v376*/
	s_set_vgpr_msb 0x44                     ;  msbs: dst=1 src0=0 src1=1 src2=0
	v_mul_i32_i24_e32 v119 /*v375*/, v141, v48 /*v304*/
	v_mul_i32_i24_e32 v120 /*v376*/, v145, v49 /*v305*/
	s_set_vgpr_msb 20                       ;  msbs: dst=0 src0=0 src1=1 src2=1
	v_add3_u32 v204, v204, v119 /*v375*/, v120 /*v376*/
	s_set_vgpr_msb 0x44                     ;  msbs: dst=1 src0=0 src1=1 src2=0
	v_mul_i32_i24_e32 v119 /*v375*/, v12, v48 /*v304*/
	s_set_vgpr_msb 0x45                     ;  msbs: dst=1 src0=1 src1=1 src2=0
	v_mul_i32_i24_e32 v120 /*v376*/, v99 /*v355*/, v49 /*v305*/
	s_set_vgpr_msb 20                       ;  msbs: dst=0 src0=0 src1=1 src2=1
	s_delay_alu instid0(VALU_DEP_1)
	v_add3_u32 v205, v205, v119 /*v375*/, v120 /*v376*/
	s_set_vgpr_msb 0x44                     ;  msbs: dst=1 src0=0 src1=1 src2=0
	v_mul_i32_i24_e32 v119 /*v375*/, v197, v48 /*v304*/
	s_set_vgpr_msb 0x45                     ;  msbs: dst=1 src0=1 src1=1 src2=0
	v_mul_i32_i24_e32 v120 /*v376*/, v106 /*v362*/, v49 /*v305*/
	s_set_vgpr_msb 20                       ;  msbs: dst=0 src0=0 src1=1 src2=1
	s_delay_alu instid0(VALU_DEP_1) | instskip(SKIP_4) | instid1(VALU_DEP_1)
	v_add3_u32 v206, v206, v119 /*v375*/, v120 /*v376*/
	s_set_vgpr_msb 0x44                     ;  msbs: dst=1 src0=0 src1=1 src2=0
	v_mul_i32_i24_e32 v119 /*v375*/, v143, v52 /*v308*/
	v_mul_i32_i24_e32 v120 /*v376*/, v140, v53 /*v309*/
	s_set_vgpr_msb 20                       ;  msbs: dst=0 src0=0 src1=1 src2=1
	v_add3_u32 v207, v207, v119 /*v375*/, v120 /*v376*/
	s_set_vgpr_msb 0x44                     ;  msbs: dst=1 src0=0 src1=1 src2=0
	v_mul_i32_i24_e32 v119 /*v375*/, v141, v54 /*v310*/
	v_mul_i32_i24_e32 v120 /*v376*/, v145, v55 /*v311*/
	s_set_vgpr_msb 20                       ;  msbs: dst=0 src0=0 src1=1 src2=1
	s_delay_alu instid0(VALU_DEP_1) | instskip(SKIP_4) | instid1(VALU_DEP_1)
	v_add3_u32 v208, v208, v119 /*v375*/, v120 /*v376*/
	s_set_vgpr_msb 0x44                     ;  msbs: dst=1 src0=0 src1=1 src2=0
	v_mul_i32_i24_e32 v119 /*v375*/, v149, v52 /*v308*/
	v_mul_i32_i24_e32 v120 /*v376*/, v191, v53 /*v309*/
	s_set_vgpr_msb 20                       ;  msbs: dst=0 src0=0 src1=1 src2=1
	v_add3_u32 v209, v209, v119 /*v375*/, v120 /*v376*/
	s_set_vgpr_msb 0x44                     ;  msbs: dst=1 src0=0 src1=1 src2=0
	v_mul_i32_i24_e32 v119 /*v375*/, v12, v54 /*v310*/
	s_set_vgpr_msb 0x45                     ;  msbs: dst=1 src0=1 src1=1 src2=0
	v_mul_i32_i24_e32 v120 /*v376*/, v99 /*v355*/, v55 /*v311*/
	s_set_vgpr_msb 20                       ;  msbs: dst=0 src0=0 src1=1 src2=1
	s_delay_alu instid0(VALU_DEP_1) | instskip(SKIP_4) | instid1(VALU_DEP_1)
	v_add3_u32 v210, v210, v119 /*v375*/, v120 /*v376*/
	s_set_vgpr_msb 0x45                     ;  msbs: dst=1 src0=1 src1=1 src2=0
	v_mul_i32_i24_e32 v119 /*v375*/, v179 /*v435*/, v52 /*v308*/
	v_mul_i32_i24_e32 v120 /*v376*/, v100 /*v356*/, v53 /*v309*/
	s_set_vgpr_msb 20                       ;  msbs: dst=0 src0=0 src1=1 src2=1
	v_add3_u32 v228, v228, v119 /*v375*/, v120 /*v376*/
	s_set_vgpr_msb 0x44                     ;  msbs: dst=1 src0=0 src1=1 src2=0
	v_mul_i32_i24_e32 v119 /*v375*/, v197, v54 /*v310*/
	s_set_vgpr_msb 0x45                     ;  msbs: dst=1 src0=1 src1=1 src2=0
	v_mul_i32_i24_e32 v120 /*v376*/, v106 /*v362*/, v55 /*v311*/
	s_set_vgpr_msb 20                       ;  msbs: dst=0 src0=0 src1=1 src2=1
	s_delay_alu instid0(VALU_DEP_1)
	v_add3_u32 v229, v229, v119 /*v375*/, v120 /*v376*/
	s_set_vgpr_msb 0x44                     ;  msbs: dst=1 src0=0 src1=1 src2=0
	v_mul_i32_i24_e32 v119 /*v375*/, v143, v32 /*v288*/
	v_mul_i32_i24_e32 v120 /*v376*/, v140, v33 /*v289*/
	s_set_vgpr_msb 0                        ;  msbs: dst=0 src0=0 src1=0 src2=0
	v_mul_i32_i24_e32 v140, v140, v146
	s_set_vgpr_msb 20                       ;  msbs: dst=0 src0=0 src1=1 src2=1
	s_delay_alu instid0(VALU_DEP_2)
	v_add3_u32 v230, v230, v119 /*v375*/, v120 /*v376*/
	s_set_vgpr_msb 0x44                     ;  msbs: dst=1 src0=0 src1=1 src2=0
	v_mul_i32_i24_e32 v119 /*v375*/, v149, v32 /*v288*/
	v_mul_i32_i24_e32 v120 /*v376*/, v191, v33 /*v289*/
	;; [unrolled: 1-line block ×3, first 2 shown]
	s_set_vgpr_msb 20                       ;  msbs: dst=0 src0=0 src1=1 src2=1
	s_delay_alu instid0(VALU_DEP_2) | instskip(SKIP_4) | instid1(VALU_DEP_1)
	v_add3_u32 v231, v231, v119 /*v375*/, v120 /*v376*/
	s_set_vgpr_msb 0x44                     ;  msbs: dst=1 src0=0 src1=1 src2=0
	v_mul_i32_i24_e32 v119 /*v375*/, v141, v38 /*v294*/
	v_mul_i32_i24_e32 v120 /*v376*/, v145, v39 /*v295*/
	s_set_vgpr_msb 20                       ;  msbs: dst=0 src0=0 src1=1 src2=1
	v_add3_u32 v232, v232, v119 /*v375*/, v120 /*v376*/
	s_set_vgpr_msb 0x44                     ;  msbs: dst=1 src0=0 src1=1 src2=0
	v_mul_i32_i24_e32 v119 /*v375*/, v12, v38 /*v294*/
	s_set_vgpr_msb 0x45                     ;  msbs: dst=1 src0=1 src1=1 src2=0
	v_mul_i32_i24_e32 v120 /*v376*/, v99 /*v355*/, v39 /*v295*/
	s_set_vgpr_msb 20                       ;  msbs: dst=0 src0=0 src1=1 src2=1
	s_delay_alu instid0(VALU_DEP_1) | instskip(SKIP_4) | instid1(VALU_DEP_1)
	v_add3_u32 v233, v233, v119 /*v375*/, v120 /*v376*/
	s_set_vgpr_msb 0x44                     ;  msbs: dst=1 src0=0 src1=1 src2=0
	v_mul_i32_i24_e32 v119 /*v375*/, v197, v38 /*v294*/
	s_set_vgpr_msb 0x55                     ;  msbs: dst=1 src0=1 src1=1 src2=1
	v_mul_i32_i24_e32 v120 /*v376*/, v106 /*v362*/, v39 /*v295*/
	v_add3_u32 v119 /*v375*/, v138 /*v394*/, v119 /*v375*/, v120 /*v376*/
	s_set_vgpr_msb 0x44                     ;  msbs: dst=1 src0=0 src1=1 src2=0
	v_mul_i32_i24_e32 v120 /*v376*/, v12, v44 /*v300*/
	s_set_vgpr_msb 0x55                     ;  msbs: dst=1 src0=1 src1=1 src2=1
	s_delay_alu instid0(VALU_DEP_1) | instskip(SKIP_3) | instid1(VALU_DEP_1)
	v_add3_u32 v120 /*v376*/, v139 /*v395*/, v120 /*v376*/, v121 /*v377*/
	s_set_vgpr_msb 0x44                     ;  msbs: dst=1 src0=0 src1=1 src2=0
	v_mul_i32_i24_e32 v121 /*v377*/, v141, v44 /*v300*/
	s_set_vgpr_msb 0x55                     ;  msbs: dst=1 src0=1 src1=1 src2=1
	v_add3_u32 v121 /*v377*/, v140 /*v396*/, v121 /*v377*/, v122 /*v378*/
	v_mul_i32_i24_e32 v122 /*v378*/, v179 /*v435*/, v32 /*v288*/
	s_set_vgpr_msb 0x44                     ;  msbs: dst=1 src0=0 src1=1 src2=0
	v_mul_i32_i24_e32 v32 /*v288*/, v6, v32 /*v288*/
	s_set_vgpr_msb 0x55                     ;  msbs: dst=1 src0=1 src1=1 src2=1
	s_delay_alu instid0(VALU_DEP_2) | instskip(SKIP_4) | instid1(VALU_DEP_2)
	v_add3_u32 v122 /*v378*/, v141 /*v397*/, v122 /*v378*/, v123 /*v379*/
	s_set_vgpr_msb 0x44                     ;  msbs: dst=1 src0=0 src1=1 src2=0
	v_mul_i32_i24_e32 v123 /*v379*/, v197, v44 /*v300*/
	s_set_vgpr_msb 0x55                     ;  msbs: dst=1 src0=1 src1=1 src2=1
	v_add3_u32 v32 /*v288*/, v80 /*v336*/, v32 /*v288*/, v33 /*v289*/
	v_add3_u32 v123 /*v379*/, v142 /*v398*/, v123 /*v379*/, v124 /*v380*/
	s_set_vgpr_msb 0x44                     ;  msbs: dst=1 src0=0 src1=1 src2=0
	v_mul_i32_i24_e32 v124 /*v380*/, v143, v30 /*v286*/
	s_set_vgpr_msb 4                        ;  msbs: dst=0 src0=0 src1=1 src2=0
	v_mul_i32_i24_e32 v143, v143, v58 /*v314*/
	s_set_vgpr_msb 0x55                     ;  msbs: dst=1 src0=1 src1=1 src2=1
	s_delay_alu instid0(VALU_DEP_2) | instskip(SKIP_1) | instid1(VALU_DEP_2)
	v_add3_u32 v124 /*v380*/, v143 /*v399*/, v124 /*v380*/, v127 /*v383*/
	s_set_vgpr_msb 0                        ;  msbs: dst=0 src0=0 src1=0 src2=0
	v_add3_u32 v105, v105, v143, v140
	s_set_vgpr_msb 4                        ;  msbs: dst=0 src0=0 src1=1 src2=0
	v_mul_i32_i24_e32 v140, v149, v58 /*v314*/
	s_set_vgpr_msb 0                        ;  msbs: dst=0 src0=0 src1=0 src2=0
	v_mul_i32_i24_e32 v143, v191, v146
	s_set_vgpr_msb 0x44                     ;  msbs: dst=1 src0=0 src1=1 src2=0
	v_mul_i32_i24_e32 v127 /*v383*/, v141, v29 /*v285*/
	s_set_vgpr_msb 0                        ;  msbs: dst=0 src0=0 src1=0 src2=0
	s_delay_alu instid0(VALU_DEP_2)
	v_add3_u32 v113, v113, v140, v143
	s_set_vgpr_msb 5                        ;  msbs: dst=0 src0=1 src1=1 src2=0
	v_mul_i32_i24_e32 v140, v179 /*v435*/, v58 /*v314*/
	s_set_vgpr_msb 1                        ;  msbs: dst=0 src0=1 src1=0 src2=0
	v_mul_i32_i24_e32 v143, v100 /*v356*/, v146
	s_set_vgpr_msb 0x55                     ;  msbs: dst=1 src0=1 src1=1 src2=1
	v_add3_u32 v127 /*v383*/, v144 /*v400*/, v127 /*v383*/, v128 /*v384*/
	s_set_vgpr_msb 0                        ;  msbs: dst=0 src0=0 src1=0 src2=0
	s_delay_alu instid0(VALU_DEP_2) | instskip(SKIP_4) | instid1(VALU_DEP_1)
	v_add3_u32 v121, v121, v140, v143
	s_set_vgpr_msb 4                        ;  msbs: dst=0 src0=0 src1=1 src2=0
	v_mul_i32_i24_e32 v140, v149, v30 /*v286*/
	v_mul_i32_i24_e32 v143, v191, v31 /*v287*/
	s_set_vgpr_msb 0                        ;  msbs: dst=0 src0=0 src1=0 src2=0
	v_add3_u32 v122, v122, v140, v143
	s_set_vgpr_msb 4                        ;  msbs: dst=0 src0=0 src1=1 src2=0
	v_mul_i32_i24_e32 v140, v12, v29 /*v285*/
	s_set_vgpr_msb 5                        ;  msbs: dst=0 src0=1 src1=1 src2=0
	v_mul_i32_i24_e32 v143, v99 /*v355*/, v28 /*v284*/
	s_set_vgpr_msb 0                        ;  msbs: dst=0 src0=0 src1=0 src2=0
	v_mul_i32_i24_e32 v12, v12, v80
	s_delay_alu instid0(VALU_DEP_2)
	v_add3_u32 v127, v127, v140, v143
	s_set_vgpr_msb 5                        ;  msbs: dst=0 src0=1 src1=1 src2=0
	v_mul_i32_i24_e32 v140, v179 /*v435*/, v30 /*v286*/
	v_mul_i32_i24_e32 v143, v100 /*v356*/, v31 /*v287*/
	s_set_vgpr_msb 0x44                     ;  msbs: dst=1 src0=0 src1=1 src2=0
	v_mul_i32_i24_e32 v30 /*v286*/, v6, v30 /*v286*/
	v_mul_i32_i24_e32 v31 /*v287*/, v103, v31 /*v287*/
	s_set_vgpr_msb 0                        ;  msbs: dst=0 src0=0 src1=0 src2=0
	v_add3_u32 v128, v128, v140, v143
	s_set_vgpr_msb 4                        ;  msbs: dst=0 src0=0 src1=1 src2=0
	v_mul_i32_i24_e32 v140, v197, v29 /*v285*/
	s_set_vgpr_msb 5                        ;  msbs: dst=0 src0=1 src1=1 src2=0
	v_mul_i32_i24_e32 v143, v106 /*v362*/, v28 /*v284*/
	s_set_vgpr_msb 0x55                     ;  msbs: dst=1 src0=1 src1=1 src2=1
	v_add3_u32 v30 /*v286*/, v78 /*v334*/, v30 /*v286*/, v31 /*v287*/
	s_set_vgpr_msb 0x44                     ;  msbs: dst=1 src0=0 src1=1 src2=0
	v_mul_i32_i24_e32 v31 /*v287*/, v103, v53 /*v309*/
	s_set_vgpr_msb 0                        ;  msbs: dst=0 src0=0 src1=0 src2=0
	v_add3_u32 v129, v129, v140, v143
	v_mul_i32_i24_e32 v140, v141, v80
	v_mul_i32_i24_e32 v141, v145, v112
	s_delay_alu instid0(VALU_DEP_1)
	v_add3_u32 v124, v124, v140, v141
	s_set_vgpr_msb 1                        ;  msbs: dst=0 src0=1 src1=0 src2=0
	v_mul_i32_i24_e32 v140, v99 /*v355*/, v112
	s_set_vgpr_msb 5                        ;  msbs: dst=0 src0=1 src1=1 src2=0
	v_add_nc_u32_e32 v141, v67 /*v323*/, v65 /*v321*/
	s_set_vgpr_msb 0x45                     ;  msbs: dst=1 src0=1 src1=1 src2=0
	v_add_nc_u32_e32 v65 /*v321*/, v71 /*v327*/, v69 /*v325*/
	s_set_vgpr_msb 0                        ;  msbs: dst=0 src0=0 src1=0 src2=0
	v_add3_u32 v115, v115, v12, v140
	v_mul_i32_i24_e32 v12, v197, v80
	s_set_vgpr_msb 1                        ;  msbs: dst=0 src0=1 src1=0 src2=0
	v_mul_i32_i24_e32 v140, v106 /*v362*/, v112
	s_set_vgpr_msb 4                        ;  msbs: dst=0 src0=0 src1=1 src2=0
	v_add3_u32 v141, v141, v39 /*v295*/, v187
	s_set_vgpr_msb 5                        ;  msbs: dst=0 src0=1 src1=1 src2=0
	v_add_nc_u32_e32 v197, v70 /*v326*/, v68 /*v324*/
	s_set_vgpr_msb 0x45                     ;  msbs: dst=1 src0=1 src1=1 src2=0
	v_add3_u32 v65 /*v321*/, v65 /*v321*/, v45 /*v301*/, v186
	s_set_vgpr_msb 0                        ;  msbs: dst=0 src0=0 src1=0 src2=0
	v_add3_u32 v118, v118, v12, v140
	v_lshrrev_b16 v12, 8, v165
	s_set_vgpr_msb 1                        ;  msbs: dst=0 src0=1 src1=0 src2=0
	v_add_nc_u32_e32 v140, v66 /*v322*/, v167
	s_delay_alu instid0(VALU_DEP_2) | instskip(SKIP_1) | instid1(VALU_DEP_2)
	v_and_b32_e32 v143, 0xffff, v12
	s_set_vgpr_msb 4                        ;  msbs: dst=0 src0=0 src1=1 src2=0
	v_add3_u32 v140, v140, v38 /*v294*/, v185
	s_set_vgpr_msb 0                        ;  msbs: dst=0 src0=0 src1=0 src2=0
	s_delay_alu instid0(VALU_DEP_2) | instskip(NEXT) | instid1(VALU_DEP_1)
	v_lshrrev_b32_e32 v143, 4, v143
	v_mul_lo_u32 v143, 0x1010101, v143
	s_delay_alu instid0(VALU_DEP_1) | instskip(SKIP_1) | instid1(VALU_DEP_2)
	v_bfe_i32 v145, v143, 0, 8
	v_bfe_i32 v149, v143, 8, 8
	v_mul_i32_i24_e32 v167, v140, v145
	s_delay_alu instid0(VALU_DEP_2) | instskip(SKIP_1) | instid1(VALU_DEP_1)
	v_mul_i32_i24_e32 v191, v141, v149
	s_set_vgpr_msb 1                        ;  msbs: dst=0 src0=1 src1=0 src2=0
	v_add3_u32 v191, v107 /*v363*/, v167, v191
	v_lshrrev_b16 v167, 8, v10
	v_and_b32_e32 v10, 15, v10
	s_set_vgpr_msb 64                       ;  msbs: dst=1 src0=0 src1=0 src2=0
	s_delay_alu instid0(VALU_DEP_2) | instskip(SKIP_1) | instid1(VALU_DEP_2)
	v_and_b32_e32 v66 /*v322*/, 0xffff, v167
	s_set_vgpr_msb 0                        ;  msbs: dst=0 src0=0 src1=0 src2=0
	v_and_b32_e32 v10, 0xffff, v10
	s_set_vgpr_msb 0x44                     ;  msbs: dst=1 src0=0 src1=1 src2=0
	s_delay_alu instid0(VALU_DEP_2) | instskip(NEXT) | instid1(VALU_DEP_1)
	v_lshrrev_b32_e32 v66 /*v322*/, 4, v66 /*v322*/
	v_mul_lo_u32 v66 /*v322*/, 0x1010101, v66 /*v322*/
	s_set_vgpr_msb 0x41                     ;  msbs: dst=1 src0=1 src1=0 src2=0
	s_delay_alu instid0(VALU_DEP_1) | instskip(SKIP_2) | instid1(VALU_DEP_2)
	v_bfe_i32 v67 /*v323*/, v66 /*v322*/, 0, 8
	v_bfe_i32 v68 /*v324*/, v66 /*v322*/, 8, 8
	s_set_vgpr_msb 5                        ;  msbs: dst=0 src0=1 src1=1 src2=0
	v_mul_i32_i24_e32 v168, v46 /*v302*/, v67 /*v323*/
	s_delay_alu instid0(VALU_DEP_2)
	v_mul_i32_i24_e32 v173, v47 /*v303*/, v68 /*v324*/
	s_set_vgpr_msb 0x45                     ;  msbs: dst=1 src0=1 src1=1 src2=0
	v_mul_i32_i24_e32 v70 /*v326*/, v65 /*v321*/, v68 /*v324*/
	s_set_vgpr_msb 0x44                     ;  msbs: dst=1 src0=0 src1=1 src2=0
	v_mul_i32_i24_e32 v100 /*v356*/, v141, v68 /*v324*/
	s_set_vgpr_msb 0                        ;  msbs: dst=0 src0=0 src1=0 src2=0
	v_add3_u32 v190, v190, v168, v173
	s_set_vgpr_msb 5                        ;  msbs: dst=0 src0=1 src1=1 src2=0
	v_dual_add_nc_u32 v168, v59 /*v315*/, v56 /*v312*/ :: v_dual_add_nc_u32 v173, v60 /*v316*/, v57 /*v313*/
	s_set_vgpr_msb 4                        ;  msbs: dst=0 src0=0 src1=1 src2=0
	v_add3_u32 v197, v197, v44 /*v300*/, v188
	s_set_vgpr_msb 0x44                     ;  msbs: dst=1 src0=0 src1=1 src2=0
	s_delay_alu instid0(VALU_DEP_2) | instskip(SKIP_1) | instid1(VALU_DEP_3)
	v_add3_u32 v56 /*v312*/, v168, v34 /*v290*/, v181
	v_add3_u32 v57 /*v313*/, v173, v35 /*v291*/, v182
	v_mul_i32_i24_e32 v69 /*v325*/, v197, v67 /*v323*/
	s_set_vgpr_msb 5                        ;  msbs: dst=0 src0=1 src1=1 src2=0
	s_delay_alu instid0(VALU_DEP_3) | instskip(NEXT) | instid1(VALU_DEP_3)
	v_mul_i32_i24_e32 v168, v56 /*v312*/, v67 /*v323*/
	v_mul_i32_i24_e32 v173, v57 /*v313*/, v68 /*v324*/
	s_set_vgpr_msb 0x55                     ;  msbs: dst=1 src0=1 src1=1 src2=1
	v_add3_u32 v69 /*v325*/, v102 /*v358*/, v69 /*v325*/, v70 /*v326*/
	s_set_vgpr_msb 0                        ;  msbs: dst=0 src0=0 src1=0 src2=0
	s_delay_alu instid0(VALU_DEP_2) | instskip(SKIP_4) | instid1(VALU_DEP_1)
	v_add3_u32 v136, v136, v168, v173
	s_set_vgpr_msb 1                        ;  msbs: dst=0 src0=1 src1=0 src2=0
	v_mul_i32_i24_e32 v168, v46 /*v302*/, v145
	v_mul_i32_i24_e32 v173, v47 /*v303*/, v149
	s_set_vgpr_msb 0x41                     ;  msbs: dst=1 src0=1 src1=0 src2=0
	v_add3_u32 v59 /*v315*/, v95 /*v351*/, v168, v173
	s_set_vgpr_msb 1                        ;  msbs: dst=0 src0=1 src1=0 src2=0
	v_mul_i32_i24_e32 v168, v56 /*v312*/, v145
	v_mul_i32_i24_e32 v173, v57 /*v313*/, v149
	s_set_vgpr_msb 0x41                     ;  msbs: dst=1 src0=1 src1=0 src2=0
	s_delay_alu instid0(VALU_DEP_1) | instskip(SKIP_2) | instid1(VALU_DEP_1)
	v_add3_u32 v60 /*v316*/, v94 /*v350*/, v168, v173
	s_set_vgpr_msb 0                        ;  msbs: dst=0 src0=0 src1=0 src2=0
	v_lshrrev_b16 v168, 8, v164
	v_and_b32_e32 v173, 0xffff, v168
	s_delay_alu instid0(VALU_DEP_1) | instskip(SKIP_1) | instid1(VALU_DEP_1)
	v_lshrrev_b32_e32 v173, 4, v173
	s_set_vgpr_msb 0x41                     ;  msbs: dst=1 src0=1 src1=0 src2=0
	v_mul_lo_u32 v70 /*v326*/, 0x1010101, v173
	s_delay_alu instid0(VALU_DEP_1) | instskip(SKIP_2) | instid1(VALU_DEP_2)
	v_bfe_i32 v71 /*v327*/, v70 /*v326*/, 0, 8
	v_bfe_i32 v94 /*v350*/, v70 /*v326*/, 8, 8
	s_set_vgpr_msb 4                        ;  msbs: dst=0 src0=0 src1=1 src2=0
	v_mul_i32_i24_e32 v173, v140, v71 /*v327*/
	s_set_vgpr_msb 0x44                     ;  msbs: dst=1 src0=0 src1=1 src2=0
	s_delay_alu instid0(VALU_DEP_2)
	v_mul_i32_i24_e32 v95 /*v351*/, v141, v94 /*v350*/
	s_set_vgpr_msb 0x45                     ;  msbs: dst=1 src0=1 src1=1 src2=0
	v_mul_i32_i24_e32 v99 /*v355*/, v57 /*v313*/, v94 /*v350*/
	v_mul_i32_i24_e32 v102 /*v358*/, v65 /*v321*/, v94 /*v350*/
	s_set_vgpr_msb 4                        ;  msbs: dst=0 src0=0 src1=1 src2=0
	v_mul_i32_i24_e32 v120, v101, v71 /*v327*/
	s_set_vgpr_msb 0x51                     ;  msbs: dst=1 src0=1 src1=0 src2=1
	v_add3_u32 v95 /*v351*/, v110 /*v366*/, v173, v95 /*v351*/
	s_set_vgpr_msb 5                        ;  msbs: dst=0 src0=1 src1=1 src2=0
	v_mul_i32_i24_e32 v173, v56 /*v312*/, v71 /*v327*/
	s_set_vgpr_msb 0x51                     ;  msbs: dst=1 src0=1 src1=0 src2=1
	s_delay_alu instid0(VALU_DEP_1) | instskip(SKIP_3) | instid1(VALU_DEP_1)
	v_add3_u32 v99 /*v355*/, v109 /*v365*/, v173, v99 /*v355*/
	s_set_vgpr_msb 5                        ;  msbs: dst=0 src0=1 src1=1 src2=0
	v_add_nc_u32_e32 v173, v64 /*v320*/, v63 /*v319*/
	s_set_vgpr_msb 0x44                     ;  msbs: dst=1 src0=0 src1=1 src2=0
	v_add3_u32 v63 /*v319*/, v173, v48 /*v304*/, v189
	s_set_vgpr_msb 5                        ;  msbs: dst=0 src0=1 src1=1 src2=0
	v_mul_i32_i24_e32 v173, v111 /*v367*/, v108 /*v364*/
	s_set_vgpr_msb 0x45                     ;  msbs: dst=1 src0=1 src1=1 src2=0
	s_delay_alu instid0(VALU_DEP_2) | instskip(SKIP_1) | instid1(VALU_DEP_1)
	v_mul_i32_i24_e32 v64 /*v320*/, v63 /*v319*/, v71 /*v327*/
	s_set_vgpr_msb 0x51                     ;  msbs: dst=1 src0=1 src1=0 src2=1
	v_add3_u32 v64 /*v320*/, v177 /*v433*/, v173, v64 /*v320*/
	s_set_vgpr_msb 4                        ;  msbs: dst=0 src0=0 src1=1 src2=0
	v_mul_i32_i24_e32 v173, v140, v67 /*v323*/
	s_set_vgpr_msb 0x51                     ;  msbs: dst=1 src0=1 src1=0 src2=1
	s_delay_alu instid0(VALU_DEP_1) | instskip(SKIP_3) | instid1(VALU_DEP_1)
	v_add3_u32 v100 /*v356*/, v113 /*v369*/, v173, v100 /*v356*/
	s_set_vgpr_msb 5                        ;  msbs: dst=0 src0=1 src1=1 src2=0
	v_add_nc_u32_e32 v173, v62 /*v318*/, v61 /*v317*/
	s_set_vgpr_msb 0x44                     ;  msbs: dst=1 src0=0 src1=1 src2=0
	v_add3_u32 v61 /*v317*/, v173, v49 /*v305*/, v234
	s_set_vgpr_msb 5                        ;  msbs: dst=0 src0=1 src1=1 src2=0
	v_mul_i32_i24_e32 v173, v63 /*v319*/, v67 /*v323*/
	s_set_vgpr_msb 0x45                     ;  msbs: dst=1 src0=1 src1=1 src2=0
	s_delay_alu instid0(VALU_DEP_2) | instskip(SKIP_1) | instid1(VALU_DEP_1)
	v_mul_i32_i24_e32 v62 /*v318*/, v61 /*v317*/, v68 /*v324*/
	s_set_vgpr_msb 0x51                     ;  msbs: dst=1 src0=1 src1=0 src2=1
	v_add3_u32 v62 /*v318*/, v112 /*v368*/, v173, v62 /*v318*/
	s_set_vgpr_msb 1                        ;  msbs: dst=0 src0=1 src1=0 src2=0
	v_mul_i32_i24_e32 v173, v111 /*v367*/, v195
	v_mul_i32_i24_e32 v195, v63 /*v319*/, v145
	s_delay_alu instid0(VALU_DEP_1)
	v_add3_u32 v195, v153 /*v409*/, v173, v195
	s_set_vgpr_msb 5                        ;  msbs: dst=0 src0=1 src1=1 src2=0
	v_add_nc_u32_e32 v173, v75 /*v331*/, v73 /*v329*/
	s_set_vgpr_msb 0x41                     ;  msbs: dst=1 src0=1 src1=0 src2=0
	v_mul_i32_i24_e32 v75 /*v331*/, v65 /*v321*/, v149
	s_set_vgpr_msb 0x44                     ;  msbs: dst=1 src0=0 src1=1 src2=0
	s_delay_alu instid0(VALU_DEP_2) | instskip(SKIP_1) | instid1(VALU_DEP_1)
	v_add3_u32 v73 /*v329*/, v173, v54 /*v310*/, v239
	s_set_vgpr_msb 5                        ;  msbs: dst=0 src0=1 src1=1 src2=0
	v_mul_i32_i24_e32 v173, v73 /*v329*/, v67 /*v323*/
	s_set_vgpr_msb 1                        ;  msbs: dst=0 src0=1 src1=0 src2=0
	s_delay_alu instid0(VALU_DEP_1) | instskip(SKIP_3) | instid1(VALU_DEP_1)
	v_add3_u32 v135, v184 /*v440*/, v135, v173
	s_set_vgpr_msb 5                        ;  msbs: dst=0 src0=1 src1=1 src2=0
	v_add_nc_u32_e32 v173, v74 /*v330*/, v72 /*v328*/
	s_set_vgpr_msb 0x44                     ;  msbs: dst=1 src0=0 src1=1 src2=0
	v_add3_u32 v72 /*v328*/, v173, v55 /*v311*/, v240
	s_set_vgpr_msb 1                        ;  msbs: dst=0 src0=1 src1=0 src2=0
	v_mul_i32_i24_e32 v173, v73 /*v329*/, v145
	s_set_vgpr_msb 0x41                     ;  msbs: dst=1 src0=1 src1=0 src2=0
	s_delay_alu instid0(VALU_DEP_2) | instskip(SKIP_3) | instid1(VALU_DEP_2)
	v_mul_i32_i24_e32 v74 /*v330*/, v72 /*v328*/, v149
	s_set_vgpr_msb 0x45                     ;  msbs: dst=1 src0=1 src1=1 src2=0
	v_mul_i32_i24_e32 v106 /*v362*/, v72 /*v328*/, v94 /*v350*/
	s_set_vgpr_msb 0x51                     ;  msbs: dst=1 src0=1 src1=0 src2=1
	v_add3_u32 v74 /*v330*/, v116 /*v372*/, v173, v74 /*v330*/
	s_set_vgpr_msb 0                        ;  msbs: dst=0 src0=0 src1=0 src2=0
	v_mul_i32_i24_e32 v173, v197, v145
	s_set_vgpr_msb 0x51                     ;  msbs: dst=1 src0=1 src1=0 src2=1
	s_delay_alu instid0(VALU_DEP_1) | instskip(SKIP_3) | instid1(VALU_DEP_1)
	v_add3_u32 v75 /*v331*/, v114 /*v370*/, v173, v75 /*v331*/
	s_set_vgpr_msb 4                        ;  msbs: dst=0 src0=0 src1=1 src2=0
	v_mul_i32_i24_e32 v173, v197, v71 /*v327*/
	s_set_vgpr_msb 0x51                     ;  msbs: dst=1 src0=1 src1=0 src2=1
	v_add3_u32 v102 /*v358*/, v118 /*v374*/, v173, v102 /*v358*/
	s_set_vgpr_msb 5                        ;  msbs: dst=0 src0=1 src1=1 src2=0
	v_mul_i32_i24_e32 v173, v73 /*v329*/, v71 /*v327*/
	s_set_vgpr_msb 0x51                     ;  msbs: dst=1 src0=1 src1=0 src2=1
	s_delay_alu instid0(VALU_DEP_1) | instskip(SKIP_3) | instid1(VALU_DEP_1)
	v_add3_u32 v106 /*v362*/, v117 /*v373*/, v173, v106 /*v362*/
	s_set_vgpr_msb 0                        ;  msbs: dst=0 src0=0 src1=0 src2=0
	v_lshrrev_b16 v173, 8, v166
	s_set_vgpr_msb 64                       ;  msbs: dst=1 src0=0 src1=0 src2=0
	v_and_b32_e32 v107 /*v363*/, 0xffff, v173
	s_set_vgpr_msb 0x44                     ;  msbs: dst=1 src0=0 src1=1 src2=0
	s_delay_alu instid0(VALU_DEP_1) | instskip(NEXT) | instid1(VALU_DEP_1)
	v_lshrrev_b32_e32 v107 /*v363*/, 4, v107 /*v363*/
	v_mul_lo_u32 v107 /*v363*/, 0x1010101, v107 /*v363*/
	s_set_vgpr_msb 0x41                     ;  msbs: dst=1 src0=1 src1=0 src2=0
	s_delay_alu instid0(VALU_DEP_1)
	v_bfe_i32 v108 /*v364*/, v107 /*v363*/, 0, 8
	v_bfe_i32 v109 /*v365*/, v107 /*v363*/, 8, 8
	s_set_vgpr_msb 1                        ;  msbs: dst=0 src0=1 src1=0 src2=0
	v_bfe_i32 v111, v107 /*v363*/, 16, 8
	s_set_vgpr_msb 4                        ;  msbs: dst=0 src0=0 src1=1 src2=0
	v_mul_i32_i24_e32 v140, v140, v108 /*v364*/
	v_mul_i32_i24_e32 v141, v141, v109 /*v365*/
	;; [unrolled: 1-line block ×3, first 2 shown]
	s_set_vgpr_msb 0x45                     ;  msbs: dst=1 src0=1 src1=1 src2=0
	v_mul_i32_i24_e32 v56 /*v312*/, v56 /*v312*/, v108 /*v364*/
	v_mul_i32_i24_e32 v57 /*v313*/, v57 /*v313*/, v109 /*v365*/
	s_set_vgpr_msb 4                        ;  msbs: dst=0 src0=0 src1=1 src2=0
	v_mul_i32_i24_e32 v62, v102, v109 /*v365*/
	s_set_vgpr_msb 0                        ;  msbs: dst=0 src0=0 src1=0 src2=0
	v_add3_u32 v125, v125, v140, v141
	s_set_vgpr_msb 4                        ;  msbs: dst=0 src0=0 src1=1 src2=0
	v_mul_i32_i24_e32 v140, v197, v108 /*v364*/
	s_set_vgpr_msb 5                        ;  msbs: dst=0 src0=1 src1=1 src2=0
	v_mul_i32_i24_e32 v141, v65 /*v321*/, v109 /*v365*/
	v_mul_i32_i24_e32 v197, v72 /*v328*/, v109 /*v365*/
	s_set_vgpr_msb 4                        ;  msbs: dst=0 src0=0 src1=1 src2=0
	v_mad_i32_i24 v106, v138, v145 /*v401*/, v106
	s_set_vgpr_msb 20                       ;  msbs: dst=0 src0=0 src1=1 src2=1
	v_add3_u32 v119, v119, v56 /*v312*/, v57 /*v313*/
	s_set_vgpr_msb 0x45                     ;  msbs: dst=1 src0=1 src1=1 src2=0
	v_mul_i32_i24_e32 v56 /*v312*/, v46 /*v302*/, v108 /*v364*/
	s_set_vgpr_msb 1                        ;  msbs: dst=0 src0=1 src1=0 src2=0
	v_add3_u32 v140, v96 /*v352*/, v140, v141
	s_set_vgpr_msb 5                        ;  msbs: dst=0 src0=1 src1=1 src2=0
	v_mul_i32_i24_e32 v141, v73 /*v329*/, v108 /*v364*/
	s_set_vgpr_msb 0x45                     ;  msbs: dst=1 src0=1 src1=1 src2=0
	v_mul_i32_i24_e32 v57 /*v313*/, v47 /*v303*/, v109 /*v365*/
	s_set_vgpr_msb 0                        ;  msbs: dst=0 src0=0 src1=0 src2=0
	s_delay_alu instid0(VALU_DEP_2)
	v_add3_u32 v133, v133, v141, v197
	s_set_vgpr_msb 5                        ;  msbs: dst=0 src0=1 src1=1 src2=0
	v_mul_i32_i24_e32 v141, v46 /*v302*/, v71 /*v327*/
	v_mul_i32_i24_e32 v197, v47 /*v303*/, v94 /*v350*/
	s_set_vgpr_msb 0x44                     ;  msbs: dst=1 src0=0 src1=1 src2=0
	v_mul_i32_i24_e32 v46 /*v302*/, v102, v68 /*v324*/
	s_set_vgpr_msb 0x55                     ;  msbs: dst=1 src0=1 src1=1 src2=1
	v_add3_u32 v56 /*v312*/, v147 /*v403*/, v56 /*v312*/, v57 /*v313*/
	v_mul_i32_i24_e32 v57 /*v313*/, v63 /*v319*/, v108 /*v364*/
	v_mul_i32_i24_e32 v63 /*v319*/, v61 /*v317*/, v109 /*v365*/
	s_set_vgpr_msb 0                        ;  msbs: dst=0 src0=0 src1=0 src2=0
	v_add3_u32 v137, v137, v141, v197
	s_set_vgpr_msb 5                        ;  msbs: dst=0 src0=1 src1=1 src2=0
	v_add_nc_u32_e32 v141, v43 /*v299*/, v40 /*v296*/
	v_add_nc_u32_e32 v197, v37 /*v293*/, v36 /*v292*/
	s_set_vgpr_msb 20                       ;  msbs: dst=0 src0=0 src1=1 src2=1
	v_add3_u32 v130, v130, v57 /*v313*/, v63 /*v319*/
	s_set_vgpr_msb 4                        ;  msbs: dst=0 src0=0 src1=1 src2=0
	v_add3_u32 v141, v141, v29 /*v285*/, v176
	v_add3_u32 v197, v197, v28 /*v284*/, v174
	s_delay_alu instid0(VALU_DEP_2) | instskip(SKIP_1) | instid1(VALU_DEP_2)
	v_mul_i32_i24_e32 v138, v141, v71 /*v327*/
	s_set_vgpr_msb 0x44                     ;  msbs: dst=1 src0=0 src1=1 src2=0
	v_mul_i32_i24_e32 v40 /*v296*/, v197, v94 /*v350*/
	v_mul_i32_i24_e32 v43 /*v299*/, v197, v68 /*v324*/
	;; [unrolled: 1-line block ×4, first 2 shown]
	s_set_vgpr_msb 0                        ;  msbs: dst=0 src0=0 src1=0 src2=0
	v_mul_i32_i24_e32 v197, v197, v149
	s_set_vgpr_msb 17                       ;  msbs: dst=0 src0=1 src1=0 src2=1
	v_add3_u32 v138, v103 /*v359*/, v138, v40 /*v296*/
	s_set_vgpr_msb 0x44                     ;  msbs: dst=1 src0=0 src1=1 src2=0
	v_mul_i32_i24_e32 v40 /*v296*/, v102, v94 /*v350*/
	s_set_vgpr_msb 0x55                     ;  msbs: dst=1 src0=1 src1=1 src2=1
	v_add3_u32 v36 /*v292*/, v88 /*v344*/, v36 /*v292*/, v37 /*v293*/
	s_set_vgpr_msb 64                       ;  msbs: dst=1 src0=0 src1=0 src2=0
	v_mul_i32_i24_e32 v37 /*v293*/, v110, v111
	s_set_vgpr_msb 17                       ;  msbs: dst=0 src0=1 src1=0 src2=1
	v_add3_u32 v120, v101 /*v357*/, v120, v40 /*v296*/
	s_set_vgpr_msb 0x44                     ;  msbs: dst=1 src0=0 src1=1 src2=0
	v_mul_i32_i24_e32 v40 /*v296*/, v141, v67 /*v323*/
	s_set_vgpr_msb 0                        ;  msbs: dst=0 src0=0 src1=0 src2=0
	v_mul_i32_i24_e32 v141, v141, v145
	s_set_vgpr_msb 0x55                     ;  msbs: dst=1 src0=1 src1=1 src2=1
	v_mad_i32_i24 v37 /*v293*/, v97 /*v353*/, v125 /*v381*/, v37 /*v293*/
	v_add3_u32 v40 /*v296*/, v105 /*v361*/, v40 /*v296*/, v43 /*v299*/
	s_set_vgpr_msb 0x44                     ;  msbs: dst=1 src0=0 src1=1 src2=0
	v_mul_i32_i24_e32 v43 /*v299*/, v101, v67 /*v323*/
	s_set_vgpr_msb 0                        ;  msbs: dst=0 src0=0 src1=0 src2=0
	v_mul_i32_i24_e32 v101, v101, v145
	v_mul_i32_i24_e32 v145, v102, v149
	s_set_vgpr_msb 1                        ;  msbs: dst=0 src0=1 src1=0 src2=0
	v_add3_u32 v141, v84 /*v340*/, v141, v197
	s_set_vgpr_msb 0x55                     ;  msbs: dst=1 src0=1 src1=1 src2=1
	v_add3_u32 v43 /*v299*/, v104 /*v360*/, v43 /*v299*/, v46 /*v302*/
	s_set_vgpr_msb 1                        ;  msbs: dst=0 src0=1 src1=0 src2=0
	v_add3_u32 v101, v85 /*v341*/, v101, v145
	v_add3_u32 v145, v86 /*v342*/, v14, v15
	s_set_vgpr_msb 0                        ;  msbs: dst=0 src0=0 src1=0 src2=0
	ds_load_2addr_b32 v[14:15], v81 offset0:6 offset1:7
	v_add_nc_u32_e32 v100, v104, v100
	s_set_vgpr_msb 4                        ;  msbs: dst=0 src0=0 src1=1 src2=0
	v_lshrrev_b32_e32 v104, 24, v107 /*v363*/
	s_wait_dscnt 0x0
	s_set_vgpr_msb 0                        ;  msbs: dst=0 src0=0 src1=0 src2=0
	v_ashrrev_i32_e32 v81, s18, v14
	v_add3_u32 v100, v100, v107, v108
	s_delay_alu instid0(VALU_DEP_2) | instskip(NEXT) | instid1(VALU_DEP_2)
	v_and_b32_e32 v14, 3, v81
	v_mul_i32_i24_e32 v108, v100, v104
	s_set_vgpr_msb 4                        ;  msbs: dst=0 src0=0 src1=1 src2=0
	s_delay_alu instid0(VALU_DEP_2)
	v_mul_i32_i24_e32 v197, v14, v25 /*v281*/
	s_set_vgpr_msb 0x44                     ;  msbs: dst=1 src0=0 src1=1 src2=0
	v_bfe_u32 v25 /*v281*/, v81, 8, 2
	v_mul_i32_i24_e32 v29 /*v285*/, v14, v29 /*v285*/
	v_mul_i32_i24_e32 v33 /*v289*/, v14, v38 /*v294*/
	s_set_vgpr_msb 5                        ;  msbs: dst=0 src0=1 src1=1 src2=0
	v_mad_i32_i24 v108, v89 /*v345*/, v146 /*v402*/, v108
	s_set_vgpr_msb 0x45                     ;  msbs: dst=1 src0=1 src1=1 src2=0
	v_mul_i32_i24_e32 v24 /*v280*/, v25 /*v281*/, v24 /*v280*/
	v_mul_i32_i24_e32 v28 /*v284*/, v25 /*v281*/, v28 /*v284*/
	;; [unrolled: 1-line block ×3, first 2 shown]
	s_set_vgpr_msb 16                       ;  msbs: dst=0 src0=0 src1=0 src2=1
	s_delay_alu instid0(VALU_DEP_3)
	v_add3_u32 v117, v117, v197, v24 /*v280*/
	s_set_vgpr_msb 4                        ;  msbs: dst=0 src0=0 src1=1 src2=0
	v_mul_i32_i24_e32 v197, v6, v26 /*v282*/
	s_set_vgpr_msb 0x44                     ;  msbs: dst=1 src0=0 src1=1 src2=0
	v_mul_i32_i24_e32 v24 /*v280*/, v103, v27 /*v283*/
	s_set_vgpr_msb 0x45                     ;  msbs: dst=1 src0=1 src1=1 src2=0
	v_mul_i32_i24_e32 v26 /*v282*/, v25 /*v281*/, v35 /*v291*/
	s_set_vgpr_msb 0x44                     ;  msbs: dst=1 src0=0 src1=1 src2=0
	v_mul_i32_i24_e32 v27 /*v283*/, v103, v42 /*v298*/
	s_set_vgpr_msb 0x55                     ;  msbs: dst=1 src0=1 src1=1 src2=1
	v_mul_i32_i24_e32 v35 /*v291*/, v25 /*v281*/, v49 /*v305*/
	v_add3_u32 v28 /*v284*/, v79 /*v335*/, v29 /*v285*/, v28 /*v284*/
	s_set_vgpr_msb 17                       ;  msbs: dst=0 src0=1 src1=0 src2=1
	v_add3_u32 v197, v76 /*v332*/, v197, v24 /*v280*/
	s_set_vgpr_msb 0x44                     ;  msbs: dst=1 src0=0 src1=1 src2=0
	v_mul_i32_i24_e32 v24 /*v280*/, v14, v34 /*v290*/
	v_mul_i32_i24_e32 v34 /*v290*/, v103, v51 /*v307*/
	;; [unrolled: 1-line block ×3, first 2 shown]
	s_set_vgpr_msb 0                        ;  msbs: dst=0 src0=0 src1=0 src2=0
	v_mul_i32_i24_e32 v103, v103, v146
	s_set_vgpr_msb 0x55                     ;  msbs: dst=1 src0=1 src1=1 src2=1
	v_add3_u32 v24 /*v280*/, v77 /*v333*/, v24 /*v280*/, v26 /*v282*/
	s_set_vgpr_msb 0x44                     ;  msbs: dst=1 src0=0 src1=1 src2=0
	v_mul_i32_i24_e32 v26 /*v282*/, v6, v41 /*v297*/
	s_set_vgpr_msb 0x55                     ;  msbs: dst=1 src0=1 src1=1 src2=1
	v_add3_u32 v29 /*v285*/, v90 /*v346*/, v29 /*v285*/, v31 /*v287*/
	s_set_vgpr_msb 0x44                     ;  msbs: dst=1 src0=0 src1=1 src2=0
	v_mul_i32_i24_e32 v31 /*v287*/, v14, v54 /*v310*/
	s_set_vgpr_msb 0x55                     ;  msbs: dst=1 src0=1 src1=1 src2=1
	v_add3_u32 v26 /*v282*/, v82 /*v338*/, v26 /*v282*/, v27 /*v283*/
	s_set_vgpr_msb 0x44                     ;  msbs: dst=1 src0=0 src1=1 src2=0
	v_mul_i32_i24_e32 v27 /*v283*/, v6, v50 /*v306*/
	s_set_vgpr_msb 4                        ;  msbs: dst=0 src0=0 src1=1 src2=0
	v_mul_i32_i24_e32 v6, v6, v58 /*v314*/
	s_set_vgpr_msb 0x55                     ;  msbs: dst=1 src0=1 src1=1 src2=1
	s_delay_alu instid0(VALU_DEP_2)
	v_add3_u32 v27 /*v283*/, v83 /*v339*/, v27 /*v283*/, v34 /*v290*/
	s_set_vgpr_msb 0x44                     ;  msbs: dst=1 src0=0 src1=1 src2=0
	v_mul_i32_i24_e32 v34 /*v290*/, v14, v48 /*v304*/
	s_set_vgpr_msb 0                        ;  msbs: dst=0 src0=0 src1=0 src2=0
	v_add3_u32 v103, v132, v6, v103
	v_mul_i32_i24_e32 v6, v14, v80
	s_set_vgpr_msb 0x55                     ;  msbs: dst=1 src0=1 src1=1 src2=1
	v_add3_u32 v34 /*v290*/, v87 /*v343*/, v34 /*v290*/, v35 /*v291*/
	v_mul_i32_i24_e32 v35 /*v291*/, v25 /*v281*/, v55 /*v311*/
	s_delay_alu instid0(VALU_DEP_1) | instskip(SKIP_1) | instid1(VALU_DEP_1)
	v_add3_u32 v31 /*v287*/, v91 /*v347*/, v31 /*v287*/, v35 /*v291*/
	v_mul_i32_i24_e32 v35 /*v291*/, v25 /*v281*/, v39 /*v295*/
	v_add3_u32 v33 /*v289*/, v81 /*v337*/, v33 /*v289*/, v35 /*v291*/
	s_set_vgpr_msb 0x44                     ;  msbs: dst=1 src0=0 src1=1 src2=0
	v_mul_i32_i24_e32 v35 /*v291*/, v14, v44 /*v300*/
	s_set_vgpr_msb 1                        ;  msbs: dst=0 src0=1 src1=0 src2=0
	v_mul_i32_i24_e32 v14, v25 /*v281*/, v112
	s_set_vgpr_msb 0x55                     ;  msbs: dst=1 src0=1 src1=1 src2=1
	s_delay_alu instid0(VALU_DEP_2) | instskip(SKIP_1) | instid1(VALU_DEP_2)
	v_add3_u32 v35 /*v291*/, v92 /*v348*/, v35 /*v291*/, v38 /*v294*/
	s_set_vgpr_msb 0                        ;  msbs: dst=0 src0=0 src1=0 src2=0
	v_add3_u32 v80, v116, v6, v14
	v_bfe_u32 v6, v8, 16, 2
	v_bfe_u32 v8, v8, 24, 2
	s_delay_alu instid0(VALU_DEP_2) | instskip(NEXT) | instid1(VALU_DEP_2)
	v_mul_i32_i24_e32 v14, v6, v150
	v_mul_i32_i24_e32 v112, v8, v158
	s_set_vgpr_msb 64                       ;  msbs: dst=1 src0=0 src1=0 src2=0
	v_mul_i32_i24_e32 v47 /*v303*/, v8, v247
	s_set_vgpr_msb 0                        ;  msbs: dst=0 src0=0 src1=0 src2=0
	s_delay_alu instid0(VALU_DEP_2) | instskip(SKIP_2) | instid1(VALU_DEP_2)
	v_add3_u32 v112, v123, v14, v112
	v_bfe_u32 v14, v114, 16, 2
	v_bfe_u32 v114, v114, 24, 2
	v_mul_i32_i24_e32 v116, v14, v150
	s_delay_alu instid0(VALU_DEP_2) | instskip(NEXT) | instid1(VALU_DEP_1)
	v_mul_i32_i24_e32 v123, v114, v158
	v_add3_u32 v116, v131, v116, v123
	s_set_vgpr_msb 1                        ;  msbs: dst=0 src0=1 src1=0 src2=0
	v_bfe_u32 v123, v178 /*v434*/, 16, 2
	v_bfe_u32 v131, v178 /*v434*/, 24, 2
	s_set_vgpr_msb 0                        ;  msbs: dst=0 src0=0 src1=0 src2=0
	s_delay_alu instid0(VALU_DEP_2) | instskip(NEXT) | instid1(VALU_DEP_2)
	v_mul_i32_i24_e32 v132, v123, v150
	v_mul_i32_i24_e32 v146, v131, v158
	s_set_vgpr_msb 64                       ;  msbs: dst=1 src0=0 src1=0 src2=0
	v_mul_i32_i24_e32 v45 /*v301*/, v131, v249
	s_set_vgpr_msb 0                        ;  msbs: dst=0 src0=0 src1=0 src2=0
	s_delay_alu instid0(VALU_DEP_2) | instskip(SKIP_2) | instid1(VALU_DEP_1)
	v_add3_u32 v132, v139, v132, v146
	v_mul_i32_i24_e32 v139, v6, v244
	v_mul_i32_i24_e32 v146, v8, v245
	v_add3_u32 v139, v147, v139, v146
	v_bfe_u32 v146, v0, 16, 2
	v_bfe_u32 v0, v0, 24, 2
	s_delay_alu instid0(VALU_DEP_2) | instskip(SKIP_1) | instid1(VALU_DEP_2)
	v_mul_i32_i24_e32 v147, v146, v250
	s_set_vgpr_msb 64                       ;  msbs: dst=1 src0=0 src1=0 src2=0
	v_mul_i32_i24_e32 v25 /*v281*/, v0, v251
	s_set_vgpr_msb 0x44                     ;  msbs: dst=1 src0=0 src1=1 src2=0
	v_mul_i32_i24_e32 v44 /*v300*/, v0, v1 /*v257*/
	s_set_vgpr_msb 64                       ;  msbs: dst=1 src0=0 src1=0 src2=0
	v_mul_i32_i24_e32 v48 /*v304*/, v0, v159
	s_set_vgpr_msb 16                       ;  msbs: dst=0 src0=0 src1=0 src2=1
	v_add3_u32 v147, v148, v147, v25 /*v281*/
	v_mul_i32_i24_e32 v148, v14, v244
	s_set_vgpr_msb 64                       ;  msbs: dst=1 src0=0 src1=0 src2=0
	v_mul_i32_i24_e32 v25 /*v281*/, v114, v245
	s_set_vgpr_msb 16                       ;  msbs: dst=0 src0=0 src1=0 src2=1
	s_delay_alu instid0(VALU_DEP_1)
	v_add3_u32 v148, v192, v148, v25 /*v281*/
	s_set_vgpr_msb 1                        ;  msbs: dst=0 src0=1 src1=0 src2=0
	v_bfe_u32 v192, v93 /*v349*/, 16, 2
	s_set_vgpr_msb 0x41                     ;  msbs: dst=1 src0=1 src1=0 src2=0
	v_bfe_u32 v25 /*v281*/, v93 /*v349*/, 24, 2
	s_set_vgpr_msb 64                       ;  msbs: dst=1 src0=0 src1=0 src2=0
	s_delay_alu instid0(VALU_DEP_2) | instskip(SKIP_1) | instid1(VALU_DEP_2)
	v_mul_i32_i24_e32 v38 /*v294*/, v192, v250
	s_set_vgpr_msb 0x41                     ;  msbs: dst=1 src0=1 src1=0 src2=0
	v_mul_i32_i24_e32 v39 /*v295*/, v25 /*v281*/, v251
	s_set_vgpr_msb 0x45                     ;  msbs: dst=1 src0=1 src1=1 src2=0
	v_mul_i32_i24_e32 v42 /*v298*/, v25 /*v281*/, v1 /*v257*/
	s_set_vgpr_msb 20                       ;  msbs: dst=0 src0=0 src1=1 src2=1
	s_delay_alu instid0(VALU_DEP_2) | instskip(SKIP_4) | instid1(VALU_DEP_1)
	v_add3_u32 v193, v193, v38 /*v294*/, v39 /*v295*/
	s_set_vgpr_msb 64                       ;  msbs: dst=1 src0=0 src1=0 src2=0
	v_mul_i32_i24_e32 v38 /*v294*/, v123, v244
	v_mul_i32_i24_e32 v39 /*v295*/, v131, v245
	s_set_vgpr_msb 20                       ;  msbs: dst=0 src0=0 src1=1 src2=1
	v_add3_u32 v194, v194, v38 /*v294*/, v39 /*v295*/
	s_set_vgpr_msb 64                       ;  msbs: dst=1 src0=0 src1=0 src2=0
	v_bfe_u32 v38 /*v294*/, v4, 16, 2
	s_set_vgpr_msb 0                        ;  msbs: dst=0 src0=0 src1=0 src2=0
	v_bfe_u32 v4, v4, 24, 2
	s_set_vgpr_msb 0x41                     ;  msbs: dst=1 src0=1 src1=0 src2=0
	s_delay_alu instid0(VALU_DEP_2) | instskip(SKIP_1) | instid1(VALU_DEP_2)
	v_mul_i32_i24_e32 v39 /*v295*/, v38 /*v294*/, v250
	s_set_vgpr_msb 64                       ;  msbs: dst=1 src0=0 src1=0 src2=0
	v_mul_i32_i24_e32 v41 /*v297*/, v4, v251
	s_set_vgpr_msb 0x44                     ;  msbs: dst=1 src0=0 src1=1 src2=0
	v_mul_i32_i24_e32 v46 /*v302*/, v4, v1 /*v257*/
	s_set_vgpr_msb 20                       ;  msbs: dst=0 src0=0 src1=1 src2=1
	s_delay_alu instid0(VALU_DEP_2) | instskip(SKIP_4) | instid1(VALU_DEP_1)
	v_add3_u32 v196, v196, v39 /*v295*/, v41 /*v297*/
	s_set_vgpr_msb 64                       ;  msbs: dst=1 src0=0 src1=0 src2=0
	v_mul_i32_i24_e32 v39 /*v295*/, v6, v254
	v_mul_i32_i24_e32 v41 /*v297*/, v8, v255
	s_set_vgpr_msb 20                       ;  msbs: dst=0 src0=0 src1=1 src2=1
	v_add3_u32 v198, v198, v39 /*v295*/, v41 /*v297*/
	s_set_vgpr_msb 64                       ;  msbs: dst=1 src0=0 src1=0 src2=0
	v_mul_i32_i24_e32 v39 /*v295*/, v14, v254
	v_mul_i32_i24_e32 v41 /*v297*/, v114, v255
	s_set_vgpr_msb 20                       ;  msbs: dst=0 src0=0 src1=1 src2=1
	s_delay_alu instid0(VALU_DEP_1) | instskip(SKIP_4) | instid1(VALU_DEP_1)
	v_add3_u32 v199, v199, v39 /*v295*/, v41 /*v297*/
	s_set_vgpr_msb 64                       ;  msbs: dst=1 src0=0 src1=0 src2=0
	v_mul_i32_i24_e32 v39 /*v295*/, v123, v254
	v_mul_i32_i24_e32 v41 /*v297*/, v131, v255
	s_set_vgpr_msb 20                       ;  msbs: dst=0 src0=0 src1=1 src2=1
	v_add3_u32 v200, v200, v39 /*v295*/, v41 /*v297*/
	s_set_vgpr_msb 0x44                     ;  msbs: dst=1 src0=0 src1=1 src2=0
	v_mul_i32_i24_e32 v39 /*v295*/, v6, v5 /*v261*/
	v_mul_i32_i24_e32 v41 /*v297*/, v8, v6 /*v262*/
	s_set_vgpr_msb 20                       ;  msbs: dst=0 src0=0 src1=1 src2=1
	s_delay_alu instid0(VALU_DEP_1) | instskip(SKIP_4) | instid1(VALU_DEP_1)
	v_add3_u32 v201, v201, v39 /*v295*/, v41 /*v297*/
	s_set_vgpr_msb 0x44                     ;  msbs: dst=1 src0=0 src1=1 src2=0
	v_mul_i32_i24_e32 v39 /*v295*/, v14, v5 /*v261*/
	v_mul_i32_i24_e32 v41 /*v297*/, v114, v6 /*v262*/
	s_set_vgpr_msb 20                       ;  msbs: dst=0 src0=0 src1=1 src2=1
	v_add3_u32 v202, v202, v39 /*v295*/, v41 /*v297*/
	s_set_vgpr_msb 0x44                     ;  msbs: dst=1 src0=0 src1=1 src2=0
	v_mul_i32_i24_e32 v39 /*v295*/, v123, v5 /*v261*/
	v_mul_i32_i24_e32 v41 /*v297*/, v131, v6 /*v262*/
	s_set_vgpr_msb 20                       ;  msbs: dst=0 src0=0 src1=1 src2=1
	s_delay_alu instid0(VALU_DEP_1) | instskip(SKIP_4) | instid1(VALU_DEP_1)
	v_add3_u32 v203, v203, v39 /*v295*/, v41 /*v297*/
	s_set_vgpr_msb 64                       ;  msbs: dst=1 src0=0 src1=0 src2=0
	v_mul_i32_i24_e32 v39 /*v295*/, v146, v47
	v_mul_i32_i24_e32 v41 /*v297*/, v0, v242
	s_set_vgpr_msb 20                       ;  msbs: dst=0 src0=0 src1=1 src2=1
	v_add3_u32 v126, v126, v39 /*v295*/, v41 /*v297*/
	s_set_vgpr_msb 64                       ;  msbs: dst=1 src0=0 src1=0 src2=0
	v_mul_i32_i24_e32 v39 /*v295*/, v192, v47
	s_set_vgpr_msb 0x41                     ;  msbs: dst=1 src0=1 src1=0 src2=0
	v_mul_i32_i24_e32 v41 /*v297*/, v25 /*v281*/, v242
	s_set_vgpr_msb 20                       ;  msbs: dst=0 src0=0 src1=1 src2=1
	s_delay_alu instid0(VALU_DEP_1)
	v_add3_u32 v134, v134, v39 /*v295*/, v41 /*v297*/
	s_set_vgpr_msb 0x41                     ;  msbs: dst=1 src0=1 src1=0 src2=0
	v_mul_i32_i24_e32 v39 /*v295*/, v38 /*v294*/, v47
	s_set_vgpr_msb 64                       ;  msbs: dst=1 src0=0 src1=0 src2=0
	v_mul_i32_i24_e32 v41 /*v297*/, v4, v242
	s_set_vgpr_msb 20                       ;  msbs: dst=0 src0=0 src1=1 src2=1
	s_delay_alu instid0(VALU_DEP_1) | instskip(SKIP_4) | instid1(VALU_DEP_1)
	v_add3_u32 v142, v142, v39 /*v295*/, v41 /*v297*/
	s_set_vgpr_msb 0x44                     ;  msbs: dst=1 src0=0 src1=1 src2=0
	v_mul_i32_i24_e32 v39 /*v295*/, v146, v3 /*v259*/
	v_mul_i32_i24_e32 v41 /*v297*/, v0, v4 /*v260*/
	s_set_vgpr_msb 20                       ;  msbs: dst=0 src0=0 src1=1 src2=1
	v_add3_u32 v204, v204, v39 /*v295*/, v41 /*v297*/
	s_set_vgpr_msb 0x44                     ;  msbs: dst=1 src0=0 src1=1 src2=0
	v_mul_i32_i24_e32 v39 /*v295*/, v192, v3 /*v259*/
	s_set_vgpr_msb 0x45                     ;  msbs: dst=1 src0=1 src1=1 src2=0
	v_mul_i32_i24_e32 v41 /*v297*/, v25 /*v281*/, v4 /*v260*/
	s_set_vgpr_msb 20                       ;  msbs: dst=0 src0=0 src1=1 src2=1
	s_delay_alu instid0(VALU_DEP_1)
	v_add3_u32 v205, v205, v39 /*v295*/, v41 /*v297*/
	s_set_vgpr_msb 0x45                     ;  msbs: dst=1 src0=1 src1=1 src2=0
	v_mul_i32_i24_e32 v39 /*v295*/, v38 /*v294*/, v3 /*v259*/
	s_set_vgpr_msb 0x44                     ;  msbs: dst=1 src0=0 src1=1 src2=0
	v_mul_i32_i24_e32 v41 /*v297*/, v4, v4 /*v260*/
	s_set_vgpr_msb 20                       ;  msbs: dst=0 src0=0 src1=1 src2=1
	s_delay_alu instid0(VALU_DEP_1) | instskip(SKIP_4) | instid1(VALU_DEP_1)
	v_add3_u32 v206, v206, v39 /*v295*/, v41 /*v297*/
	s_set_vgpr_msb 0x44                     ;  msbs: dst=1 src0=0 src1=1 src2=0
	v_mul_i32_i24_e32 v39 /*v295*/, v6, v8 /*v264*/
	v_mul_i32_i24_e32 v41 /*v297*/, v8, v9 /*v265*/
	s_set_vgpr_msb 20                       ;  msbs: dst=0 src0=0 src1=1 src2=1
	v_add3_u32 v207, v207, v39 /*v295*/, v41 /*v297*/
	s_set_vgpr_msb 0x44                     ;  msbs: dst=1 src0=0 src1=1 src2=0
	v_mul_i32_i24_e32 v39 /*v295*/, v146, v11 /*v267*/
	v_mul_i32_i24_e32 v41 /*v297*/, v0, v12 /*v268*/
	s_set_vgpr_msb 20                       ;  msbs: dst=0 src0=0 src1=1 src2=1
	s_delay_alu instid0(VALU_DEP_1) | instskip(SKIP_4) | instid1(VALU_DEP_1)
	v_add3_u32 v208, v208, v39 /*v295*/, v41 /*v297*/
	s_set_vgpr_msb 0x44                     ;  msbs: dst=1 src0=0 src1=1 src2=0
	v_mul_i32_i24_e32 v39 /*v295*/, v14, v8 /*v264*/
	v_mul_i32_i24_e32 v41 /*v297*/, v114, v9 /*v265*/
	s_set_vgpr_msb 20                       ;  msbs: dst=0 src0=0 src1=1 src2=1
	v_add3_u32 v209, v209, v39 /*v295*/, v41 /*v297*/
	s_set_vgpr_msb 0x44                     ;  msbs: dst=1 src0=0 src1=1 src2=0
	v_mul_i32_i24_e32 v39 /*v295*/, v192, v11 /*v267*/
	s_set_vgpr_msb 0x45                     ;  msbs: dst=1 src0=1 src1=1 src2=0
	v_mul_i32_i24_e32 v41 /*v297*/, v25 /*v281*/, v12 /*v268*/
	s_set_vgpr_msb 20                       ;  msbs: dst=0 src0=0 src1=1 src2=1
	s_delay_alu instid0(VALU_DEP_1) | instskip(SKIP_4) | instid1(VALU_DEP_1)
	v_add3_u32 v210, v210, v39 /*v295*/, v41 /*v297*/
	s_set_vgpr_msb 0x44                     ;  msbs: dst=1 src0=0 src1=1 src2=0
	v_mul_i32_i24_e32 v39 /*v295*/, v123, v8 /*v264*/
	v_mul_i32_i24_e32 v41 /*v297*/, v131, v9 /*v265*/
	s_set_vgpr_msb 20                       ;  msbs: dst=0 src0=0 src1=1 src2=1
	v_add3_u32 v228, v228, v39 /*v295*/, v41 /*v297*/
	s_set_vgpr_msb 0x45                     ;  msbs: dst=1 src0=1 src1=1 src2=0
	v_mul_i32_i24_e32 v39 /*v295*/, v38 /*v294*/, v11 /*v267*/
	s_set_vgpr_msb 0x44                     ;  msbs: dst=1 src0=0 src1=1 src2=0
	v_mul_i32_i24_e32 v41 /*v297*/, v4, v12 /*v268*/
	s_set_vgpr_msb 20                       ;  msbs: dst=0 src0=0 src1=1 src2=1
	s_delay_alu instid0(VALU_DEP_1)
	v_add3_u32 v229, v229, v39 /*v295*/, v41 /*v297*/
	s_set_vgpr_msb 64                       ;  msbs: dst=1 src0=0 src1=0 src2=0
	v_mul_i32_i24_e32 v39 /*v295*/, v6, v248
	v_mul_i32_i24_e32 v41 /*v297*/, v8, v249
	s_set_vgpr_msb 20                       ;  msbs: dst=0 src0=0 src1=1 src2=1
	v_mul_i32_i24_e32 v8, v8, v13 /*v269*/
	s_delay_alu instid0(VALU_DEP_2) | instskip(SKIP_4) | instid1(VALU_DEP_1)
	v_add3_u32 v230, v230, v39 /*v295*/, v41 /*v297*/
	s_set_vgpr_msb 64                       ;  msbs: dst=1 src0=0 src1=0 src2=0
	v_mul_i32_i24_e32 v39 /*v295*/, v14, v248
	v_mul_i32_i24_e32 v41 /*v297*/, v114, v249
	s_set_vgpr_msb 20                       ;  msbs: dst=0 src0=0 src1=1 src2=1
	v_add3_u32 v231, v231, v39 /*v295*/, v41 /*v297*/
	s_set_vgpr_msb 64                       ;  msbs: dst=1 src0=0 src1=0 src2=0
	v_mul_i32_i24_e32 v39 /*v295*/, v146, v252
	v_mul_i32_i24_e32 v41 /*v297*/, v0, v253
	s_set_vgpr_msb 0                        ;  msbs: dst=0 src0=0 src1=0 src2=0
	v_mul_i32_i24_e32 v0, v0, v107
	s_set_vgpr_msb 20                       ;  msbs: dst=0 src0=0 src1=1 src2=1
	s_delay_alu instid0(VALU_DEP_2)
	v_add3_u32 v232, v232, v39 /*v295*/, v41 /*v297*/
	s_set_vgpr_msb 64                       ;  msbs: dst=1 src0=0 src1=0 src2=0
	v_mul_i32_i24_e32 v39 /*v295*/, v192, v252
	s_set_vgpr_msb 0x41                     ;  msbs: dst=1 src0=1 src1=0 src2=0
	v_mul_i32_i24_e32 v41 /*v297*/, v25 /*v281*/, v253
	s_set_vgpr_msb 20                       ;  msbs: dst=0 src0=0 src1=1 src2=1
	s_delay_alu instid0(VALU_DEP_1)
	v_add3_u32 v233, v233, v39 /*v295*/, v41 /*v297*/
	s_set_vgpr_msb 0x41                     ;  msbs: dst=1 src0=1 src1=0 src2=0
	v_mul_i32_i24_e32 v39 /*v295*/, v38 /*v294*/, v252
	s_set_vgpr_msb 64                       ;  msbs: dst=1 src0=0 src1=0 src2=0
	v_mul_i32_i24_e32 v41 /*v297*/, v4, v253
	s_set_vgpr_msb 0x55                     ;  msbs: dst=1 src0=1 src1=1 src2=1
	s_delay_alu instid0(VALU_DEP_1) | instskip(SKIP_3) | instid1(VALU_DEP_1)
	v_add3_u32 v39 /*v295*/, v119 /*v375*/, v39 /*v295*/, v41 /*v297*/
	s_set_vgpr_msb 0x44                     ;  msbs: dst=1 src0=0 src1=1 src2=0
	v_mul_i32_i24_e32 v41 /*v297*/, v192, v0 /*v256*/
	s_set_vgpr_msb 0x55                     ;  msbs: dst=1 src0=1 src1=1 src2=1
	v_add3_u32 v41 /*v297*/, v120 /*v376*/, v41 /*v297*/, v42 /*v298*/
	s_set_vgpr_msb 0x44                     ;  msbs: dst=1 src0=0 src1=1 src2=0
	v_mul_i32_i24_e32 v42 /*v298*/, v146, v0 /*v256*/
	s_set_vgpr_msb 0x55                     ;  msbs: dst=1 src0=1 src1=1 src2=1
	s_delay_alu instid0(VALU_DEP_1) | instskip(SKIP_3) | instid1(VALU_DEP_1)
	v_add3_u32 v42 /*v298*/, v121 /*v377*/, v42 /*v298*/, v44 /*v300*/
	s_set_vgpr_msb 64                       ;  msbs: dst=1 src0=0 src1=0 src2=0
	v_mul_i32_i24_e32 v44 /*v300*/, v123, v248
	s_set_vgpr_msb 0x55                     ;  msbs: dst=1 src0=1 src1=1 src2=1
	v_add3_u32 v44 /*v300*/, v122 /*v378*/, v44 /*v300*/, v45 /*v301*/
	v_mul_i32_i24_e32 v45 /*v301*/, v38 /*v294*/, v0 /*v256*/
	s_delay_alu instid0(VALU_DEP_1)
	v_add3_u32 v45 /*v301*/, v123 /*v379*/, v45 /*v301*/, v46 /*v302*/
	s_set_vgpr_msb 64                       ;  msbs: dst=1 src0=0 src1=0 src2=0
	v_mul_i32_i24_e32 v46 /*v302*/, v6, v246
	s_set_vgpr_msb 4                        ;  msbs: dst=0 src0=0 src1=1 src2=0
	v_mul_i32_i24_e32 v6, v6, v14 /*v270*/
	s_set_vgpr_msb 0x55                     ;  msbs: dst=1 src0=1 src1=1 src2=1
	s_delay_alu instid0(VALU_DEP_2) | instskip(SKIP_1) | instid1(VALU_DEP_2)
	v_add3_u32 v46 /*v302*/, v124 /*v380*/, v46 /*v302*/, v47 /*v303*/
	s_set_vgpr_msb 0                        ;  msbs: dst=0 src0=0 src1=0 src2=0
	v_add3_u32 v105, v105, v6, v8
	s_set_vgpr_msb 4                        ;  msbs: dst=0 src0=0 src1=1 src2=0
	v_mul_i32_i24_e32 v6, v14, v14 /*v270*/
	v_mul_i32_i24_e32 v8, v114, v13 /*v269*/
	s_set_vgpr_msb 64                       ;  msbs: dst=1 src0=0 src1=0 src2=0
	v_mul_i32_i24_e32 v47 /*v303*/, v146, v243
	s_set_vgpr_msb 0                        ;  msbs: dst=0 src0=0 src1=0 src2=0
	s_delay_alu instid0(VALU_DEP_2)
	v_add3_u32 v113, v113, v6, v8
	s_set_vgpr_msb 4                        ;  msbs: dst=0 src0=0 src1=1 src2=0
	v_mul_i32_i24_e32 v6, v123, v14 /*v270*/
	v_mul_i32_i24_e32 v8, v131, v13 /*v269*/
	s_set_vgpr_msb 0x55                     ;  msbs: dst=1 src0=1 src1=1 src2=1
	v_add3_u32 v47 /*v303*/, v127 /*v383*/, v47 /*v303*/, v48 /*v304*/
	s_set_vgpr_msb 0                        ;  msbs: dst=0 src0=0 src1=0 src2=0
	s_delay_alu instid0(VALU_DEP_2) | instskip(SKIP_2) | instid1(VALU_DEP_1)
	v_add3_u32 v121, v121, v6, v8
	v_mul_i32_i24_e32 v6, v14, v246
	v_mul_i32_i24_e32 v8, v114, v247
	v_add3_u32 v114, v122, v6, v8
	v_mul_i32_i24_e32 v6, v192, v243
	s_set_vgpr_msb 1                        ;  msbs: dst=0 src0=1 src1=0 src2=0
	v_mul_i32_i24_e32 v8, v25 /*v281*/, v159
	s_set_vgpr_msb 0                        ;  msbs: dst=0 src0=0 src1=0 src2=0
	s_delay_alu instid0(VALU_DEP_1) | instskip(SKIP_2) | instid1(VALU_DEP_1)
	v_add3_u32 v122, v127, v6, v8
	v_mul_i32_i24_e32 v6, v123, v246
	v_mul_i32_i24_e32 v8, v131, v247
	v_add3_u32 v123, v128, v6, v8
	s_set_vgpr_msb 1                        ;  msbs: dst=0 src0=1 src1=0 src2=0
	v_mul_i32_i24_e32 v6, v38 /*v294*/, v243
	s_set_vgpr_msb 0                        ;  msbs: dst=0 src0=0 src1=0 src2=0
	v_mul_i32_i24_e32 v8, v4, v159
	v_mul_i32_i24_e32 v4, v4, v107
	s_set_vgpr_msb 4                        ;  msbs: dst=0 src0=0 src1=1 src2=0
	v_lshrrev_b32_e32 v128, 24, v66 /*v322*/
	s_set_vgpr_msb 0                        ;  msbs: dst=0 src0=0 src1=0 src2=0
	v_add3_u32 v127, v129, v6, v8
	v_mul_i32_i24_e32 v6, v146, v109
	s_set_vgpr_msb 1                        ;  msbs: dst=0 src0=1 src1=0 src2=0
	v_mul_i32_i24_e32 v8, v25 /*v281*/, v107
	v_bfe_i32 v129, v66 /*v322*/, 16, 8
	s_set_vgpr_msb 0                        ;  msbs: dst=0 src0=0 src1=0 src2=0
	v_add3_u32 v0, v124, v6, v0
	v_mul_i32_i24_e32 v6, v192, v109
	v_lshrrev_b32_e32 v192, 24, v143
	v_bfe_i32 v143, v143, 16, 8
	s_delay_alu instid0(VALU_DEP_3)
	v_add3_u32 v115, v115, v6, v8
	s_set_vgpr_msb 1                        ;  msbs: dst=0 src0=1 src1=0 src2=0
	v_mul_i32_i24_e32 v6, v38 /*v294*/, v109
	v_add_nc_u32_e32 v8, v17 /*v273*/, v170
	s_set_vgpr_msb 0x44                     ;  msbs: dst=1 src0=0 src1=1 src2=0
	v_lshrrev_b32_e32 v17 /*v273*/, 24, v70 /*v326*/
	s_set_vgpr_msb 0                        ;  msbs: dst=0 src0=0 src1=0 src2=0
	v_add3_u32 v4, v118, v6, v4
	s_set_vgpr_msb 5                        ;  msbs: dst=0 src0=1 src1=1 src2=0
	v_add_nc_u32_e32 v6, v19 /*v275*/, v18 /*v274*/
	s_set_vgpr_msb 4                        ;  msbs: dst=0 src0=0 src1=1 src2=0
	v_add3_u32 v124, v8, v0 /*v256*/, v44
	s_set_vgpr_msb 0x41                     ;  msbs: dst=1 src0=1 src1=0 src2=0
	v_bfe_i32 v18 /*v274*/, v70 /*v326*/, 16, 8
	s_set_vgpr_msb 4                        ;  msbs: dst=0 src0=0 src1=1 src2=0
	v_add3_u32 v118, v6, v1 /*v257*/, v45
	s_set_vgpr_msb 0                        ;  msbs: dst=0 src0=0 src1=0 src2=0
	v_mul_i32_i24_e32 v8, v124, v129
	s_delay_alu instid0(VALU_DEP_2) | instskip(SKIP_1) | instid1(VALU_DEP_1)
	v_mul_i32_i24_e32 v6, v118, v128
	s_set_vgpr_msb 1                        ;  msbs: dst=0 src0=1 src1=0 src2=0
	v_add3_u32 v170, v69 /*v325*/, v8, v6
	v_add_nc_u32_e32 v6, v16 /*v272*/, v172
	s_set_vgpr_msb 0                        ;  msbs: dst=0 src0=0 src1=0 src2=0
	v_add_nc_u32_e32 v8, v161, v160
	s_delay_alu instid0(VALU_DEP_2) | instskip(NEXT) | instid1(VALU_DEP_2)
	v_add3_u32 v131, v6, v253, v48
	v_add3_u32 v146, v8, v252, v46
	s_delay_alu instid0(VALU_DEP_2) | instskip(NEXT) | instid1(VALU_DEP_2)
	v_mul_i32_i24_e32 v6, v131, v192
	v_mul_i32_i24_e32 v8, v146, v143
	s_delay_alu instid0(VALU_DEP_1) | instskip(SKIP_1) | instid1(VALU_DEP_1)
	v_add3_u32 v172, v191, v8, v6
	v_dual_add_nc_u32 v6, v156, v154 :: v_dual_add_nc_u32 v8, v157, v155
	v_add3_u32 v191, v6, v250, v36
	s_set_vgpr_msb 64                       ;  msbs: dst=1 src0=0 src1=0 src2=0
	s_delay_alu instid0(VALU_DEP_2) | instskip(SKIP_1) | instid1(VALU_DEP_2)
	v_add3_u32 v16 /*v272*/, v8, v251, v37
	s_set_vgpr_msb 4                        ;  msbs: dst=0 src0=0 src1=1 src2=0
	v_mul_i32_i24_e32 v8, v191, v18 /*v274*/
	s_set_vgpr_msb 5                        ;  msbs: dst=0 src0=1 src1=1 src2=0
	s_delay_alu instid0(VALU_DEP_2) | instskip(SKIP_1) | instid1(VALU_DEP_1)
	v_mul_i32_i24_e32 v6, v16 /*v272*/, v17 /*v273*/
	s_set_vgpr_msb 1                        ;  msbs: dst=0 src0=1 src1=0 src2=0
	v_add3_u32 v160, v99 /*v355*/, v8, v6
	s_set_vgpr_msb 4                        ;  msbs: dst=0 src0=0 src1=1 src2=0
	v_mul_i32_i24_e32 v6, v131, v17 /*v273*/
	v_mul_i32_i24_e32 v8, v146, v18 /*v274*/
	s_set_vgpr_msb 1                        ;  msbs: dst=0 src0=1 src1=0 src2=0
	s_delay_alu instid0(VALU_DEP_1)
	v_add3_u32 v161, v95 /*v351*/, v8, v6
	s_set_vgpr_msb 0                        ;  msbs: dst=0 src0=0 src1=0 src2=0
	v_mul_i32_i24_e32 v6, v191, v129
	s_set_vgpr_msb 1                        ;  msbs: dst=0 src0=1 src1=0 src2=0
	v_mul_i32_i24_e32 v8, v16 /*v272*/, v128
	s_set_vgpr_msb 0                        ;  msbs: dst=0 src0=0 src1=0 src2=0
	s_delay_alu instid0(VALU_DEP_1)
	v_add3_u32 v156, v136, v6, v8
	v_add_nc_u32_e32 v6, v152, v63
	v_add_nc_u32_e32 v8, v153, v151
	s_set_vgpr_msb 4                        ;  msbs: dst=0 src0=0 src1=1 src2=0
	v_mul_i32_i24_e32 v153, v118, v17 /*v273*/
	s_set_vgpr_msb 0                        ;  msbs: dst=0 src0=0 src1=0 src2=0
	v_add3_u32 v63, v6, v47, v24
	v_add3_u32 v136, v8, v242, v25
	s_delay_alu instid0(VALU_DEP_2) | instskip(NEXT) | instid1(VALU_DEP_2)
	v_mul_i32_i24_e32 v6, v63, v129
	v_mul_i32_i24_e32 v8, v136, v128
	;; [unrolled: 1-line block ×3, first 2 shown]
	s_set_vgpr_msb 4                        ;  msbs: dst=0 src0=0 src1=1 src2=0
	v_mul_i32_i24_e32 v61, v63, v18 /*v274*/
	s_set_vgpr_msb 0                        ;  msbs: dst=0 src0=0 src1=0 src2=0
	v_add3_u32 v157, v190, v6, v8
	v_mul_i32_i24_e32 v6, v191, v143
	s_set_vgpr_msb 1                        ;  msbs: dst=0 src0=1 src1=0 src2=0
	v_mul_i32_i24_e32 v8, v16 /*v272*/, v192
	s_set_vgpr_msb 0                        ;  msbs: dst=0 src0=0 src1=0 src2=0
	v_mul_i32_i24_e32 v191, v191, v111
	s_set_vgpr_msb 1                        ;  msbs: dst=0 src0=1 src1=0 src2=0
	s_delay_alu instid0(VALU_DEP_2) | instskip(SKIP_2) | instid1(VALU_DEP_2)
	v_add3_u32 v6, v60 /*v316*/, v6, v8
	s_set_vgpr_msb 0                        ;  msbs: dst=0 src0=0 src1=0 src2=0
	v_mul_i32_i24_e32 v8, v63, v143
	v_cvt_f32_i32_e32 v6, v6
	s_set_vgpr_msb 1                        ;  msbs: dst=0 src0=1 src1=0 src2=0
	s_delay_alu instid0(VALU_DEP_2) | instskip(SKIP_3) | instid1(VALU_DEP_1)
	v_add3_u32 v8, v59 /*v315*/, v8, v14
	s_set_vgpr_msb 5                        ;  msbs: dst=0 src0=1 src1=1 src2=0
	v_add_nc_u32_e32 v14, v15 /*v271*/, v7 /*v263*/
	s_set_vgpr_msb 4                        ;  msbs: dst=0 src0=0 src1=1 src2=0
	v_add3_u32 v151, v14, v3 /*v259*/, v49
	s_set_vgpr_msb 5                        ;  msbs: dst=0 src0=1 src1=1 src2=0
	v_mul_i32_i24_e32 v14, v61 /*v317*/, v94 /*v350*/
	s_set_vgpr_msb 4                        ;  msbs: dst=0 src0=0 src1=1 src2=0
	s_delay_alu instid0(VALU_DEP_2) | instskip(SKIP_1) | instid1(VALU_DEP_1)
	v_mul_i32_i24_e32 v152, v151, v18 /*v274*/
	s_set_vgpr_msb 1                        ;  msbs: dst=0 src0=1 src1=0 src2=0
	v_add3_u32 v190, v64 /*v320*/, v14, v152
	s_set_vgpr_msb 5                        ;  msbs: dst=0 src0=1 src1=1 src2=0
	v_add_nc_u32_e32 v14, v10 /*v266*/, v2 /*v258*/
	s_set_vgpr_msb 0                        ;  msbs: dst=0 src0=0 src1=0 src2=0
	v_mul_i32_i24_e32 v152, v151, v129
	s_set_vgpr_msb 64                       ;  msbs: dst=1 src0=0 src1=0 src2=0
	v_mul_i32_i24_e32 v2 /*v258*/, v118, v192
	s_set_vgpr_msb 0                        ;  msbs: dst=0 src0=0 src1=0 src2=0
	v_mul_i32_i24_e32 v118, v118, v104
	s_set_vgpr_msb 64                       ;  msbs: dst=1 src0=0 src1=0 src2=0
	v_mul_i32_i24_e32 v10 /*v266*/, v136, v104
	s_set_vgpr_msb 0x44                     ;  msbs: dst=1 src0=0 src1=1 src2=0
	v_add3_u32 v15 /*v271*/, v14, v4 /*v260*/, v50
	s_set_vgpr_msb 1                        ;  msbs: dst=0 src0=1 src1=0 src2=0
	s_delay_alu instid0(VALU_DEP_1) | instskip(NEXT) | instid1(VALU_DEP_1)
	v_mul_i32_i24_e32 v14, v15 /*v271*/, v128
	v_add3_u32 v154, v62 /*v318*/, v152, v14
	s_set_vgpr_msb 0                        ;  msbs: dst=0 src0=0 src1=0 src2=0
	v_mul_i32_i24_e32 v14, v131, v128
	v_mul_i32_i24_e32 v152, v146, v129
	;; [unrolled: 1-line block ×4, first 2 shown]
	s_set_vgpr_msb 1                        ;  msbs: dst=0 src0=1 src1=0 src2=0
	s_delay_alu instid0(VALU_DEP_3)
	v_add3_u32 v155, v100 /*v356*/, v152, v14
	v_mul_i32_i24_e32 v14, v61 /*v317*/, v149
	s_set_vgpr_msb 0                        ;  msbs: dst=0 src0=0 src1=0 src2=0
	v_mul_i32_i24_e32 v149, v151, v143
	s_set_vgpr_msb 5                        ;  msbs: dst=0 src0=1 src1=1 src2=0
	v_mul_i32_i24_e32 v152, v72 /*v328*/, v68 /*v324*/
	s_set_vgpr_msb 0                        ;  msbs: dst=0 src0=0 src1=0 src2=0
	v_add3_u32 v125, v125, v146, v131
	v_mul_i32_i24_e32 v131, v151, v111
	s_set_vgpr_msb 1                        ;  msbs: dst=0 src0=1 src1=0 src2=0
	v_mul_i32_i24_e32 v146, v15 /*v271*/, v104
	s_set_vgpr_msb 0                        ;  msbs: dst=0 src0=0 src1=0 src2=0
	v_add3_u32 v149, v195, v14, v149
	s_set_vgpr_msb 5                        ;  msbs: dst=0 src0=1 src1=1 src2=0
	v_add_nc_u32_e32 v14, v23 /*v279*/, v21 /*v277*/
	s_set_vgpr_msb 0                        ;  msbs: dst=0 src0=0 src1=0 src2=0
	v_add3_u32 v130, v130, v131, v146
	s_set_vgpr_msb 4                        ;  msbs: dst=0 src0=0 src1=1 src2=0
	s_delay_alu instid0(VALU_DEP_2) | instskip(SKIP_1) | instid1(VALU_DEP_1)
	v_add3_u32 v195, v14, v11 /*v267*/, v55
	s_set_vgpr_msb 0                        ;  msbs: dst=0 src0=0 src1=0 src2=0
	v_mul_i32_i24_e32 v14, v195, v129
	v_mul_i32_i24_e32 v131, v195, v111
	s_delay_alu instid0(VALU_DEP_2) | instskip(SKIP_3) | instid1(VALU_DEP_1)
	v_add3_u32 v135, v135, v152, v14
	s_set_vgpr_msb 5                        ;  msbs: dst=0 src0=1 src1=1 src2=0
	v_add_nc_u32_e32 v14, v22 /*v278*/, v20 /*v276*/
	s_set_vgpr_msb 0x44                     ;  msbs: dst=1 src0=0 src1=1 src2=0
	v_add3_u32 v19 /*v275*/, v14, v12 /*v268*/, v56
	s_set_vgpr_msb 4                        ;  msbs: dst=0 src0=0 src1=1 src2=0
	v_mul_i32_i24_e32 v14, v195, v18 /*v274*/
	s_set_vgpr_msb 5                        ;  msbs: dst=0 src0=1 src1=1 src2=0
	s_delay_alu instid0(VALU_DEP_2)
	v_mul_i32_i24_e32 v152, v19 /*v275*/, v17 /*v273*/
	s_set_vgpr_msb 1                        ;  msbs: dst=0 src0=1 src1=0 src2=0
	v_mul_i32_i24_e32 v146, v19 /*v275*/, v104
	s_set_vgpr_msb 0x41                     ;  msbs: dst=1 src0=1 src1=0 src2=0
	v_mul_i32_i24_e32 v7 /*v263*/, v19 /*v275*/, v192
	s_set_vgpr_msb 1                        ;  msbs: dst=0 src0=1 src1=0 src2=0
	v_add3_u32 v152, v106 /*v362*/, v14, v152
	s_set_vgpr_msb 4                        ;  msbs: dst=0 src0=0 src1=1 src2=0
	v_mul_i32_i24_e32 v14, v124, v18 /*v274*/
	s_set_vgpr_msb 0                        ;  msbs: dst=0 src0=0 src1=0 src2=0
	v_add3_u32 v131, v133, v131, v146
	v_add3_u32 v133, v60, v243, v34
	v_bfe_u32 v146, v3, 8, 2
	s_set_vgpr_msb 1                        ;  msbs: dst=0 src0=1 src1=0 src2=0
	v_add3_u32 v153, v102 /*v358*/, v14, v153
	s_set_vgpr_msb 0                        ;  msbs: dst=0 src0=0 src1=0 src2=0
	v_mul_i32_i24_e32 v14, v124, v143
	v_mul_i32_i24_e32 v124, v124, v111
	;; [unrolled: 1-line block ×3, first 2 shown]
	s_set_vgpr_msb 17                       ;  msbs: dst=0 src0=1 src1=0 src2=1
	s_delay_alu instid0(VALU_DEP_3)
	v_add3_u32 v14, v75 /*v331*/, v14, v2 /*v258*/
	s_set_vgpr_msb 0                        ;  msbs: dst=0 src0=0 src1=0 src2=0
	v_add3_u32 v118, v140, v124, v118
	v_add3_u32 v124, v59, v159, v35
	s_set_vgpr_msb 64                       ;  msbs: dst=1 src0=0 src1=0 src2=0
	v_mul_i32_i24_e32 v2 /*v258*/, v195, v143
	s_set_vgpr_msb 0                        ;  msbs: dst=0 src0=0 src1=0 src2=0
	s_delay_alu instid0(VALU_DEP_2) | instskip(SKIP_1) | instid1(VALU_DEP_2)
	v_mul_i32_i24_e32 v59, v124, v104
	s_set_vgpr_msb 0x55                     ;  msbs: dst=1 src0=1 src1=1 src2=1
	v_add3_u32 v2 /*v258*/, v74 /*v330*/, v2 /*v258*/, v7 /*v263*/
	s_set_vgpr_msb 64                       ;  msbs: dst=1 src0=0 src1=0 src2=0
	v_mul_i32_i24_e32 v7 /*v263*/, v63, v111
	s_set_vgpr_msb 4                        ;  msbs: dst=0 src0=0 src1=1 src2=0
	v_mul_i32_i24_e32 v63, v124, v17 /*v273*/
	s_set_vgpr_msb 1                        ;  msbs: dst=0 src0=1 src1=0 src2=0
	v_add3_u32 v59, v36 /*v292*/, v60, v59
	s_set_vgpr_msb 4                        ;  msbs: dst=0 src0=0 src1=1 src2=0
	v_mul_i32_i24_e32 v60, v136, v17 /*v273*/
	s_set_vgpr_msb 0x55                     ;  msbs: dst=1 src0=1 src1=1 src2=1
	v_add3_u32 v38 /*v294*/, v56 /*v312*/, v7 /*v263*/, v10 /*v266*/
	s_set_vgpr_msb 0x41                     ;  msbs: dst=1 src0=1 src1=0 src2=0
	v_mul_i32_i24_e32 v7 /*v263*/, v16 /*v272*/, v104
	s_set_vgpr_msb 0                        ;  msbs: dst=0 src0=0 src1=0 src2=0
	v_mul_i32_i24_e32 v104, v100, v128
	v_cvt_f32_i32_e32 v59, v59
	v_add3_u32 v60, v137, v61, v60
	s_set_vgpr_msb 4                        ;  msbs: dst=0 src0=0 src1=1 src2=0
	v_mul_i32_i24_e32 v61, v144, v126 /*v382*/
	s_set_vgpr_msb 16                       ;  msbs: dst=0 src0=0 src1=0 src2=1
	v_add3_u32 v119, v119, v191, v7 /*v263*/
	s_set_vgpr_msb 0                        ;  msbs: dst=0 src0=0 src1=0 src2=0
	s_delay_alu instid0(VALU_DEP_2)
	v_add3_u32 v102, v61, v62, v108
	s_set_vgpr_msb 4                        ;  msbs: dst=0 src0=0 src1=1 src2=0
	v_mul_i32_i24_e32 v61, v110, v18 /*v274*/
	v_mul_i32_i24_e32 v62, v100, v17 /*v273*/
	s_set_vgpr_msb 0                        ;  msbs: dst=0 src0=0 src1=0 src2=0
	v_mul_i32_i24_e32 v108, v124, v128
	v_mul_i32_i24_e32 v100, v100, v192
	s_delay_alu instid0(VALU_DEP_3) | instskip(SKIP_3) | instid1(VALU_DEP_1)
	v_add3_u32 v61, v120, v61, v62
	s_set_vgpr_msb 4                        ;  msbs: dst=0 src0=0 src1=1 src2=0
	v_mul_i32_i24_e32 v62, v133, v18 /*v274*/
	s_set_vgpr_msb 0                        ;  msbs: dst=0 src0=0 src1=0 src2=0
	v_add3_u32 v62, v138, v62, v63
	v_mul_i32_i24_e32 v63, v110, v129
	s_set_vgpr_msb 1                        ;  msbs: dst=0 src0=1 src1=0 src2=0
	s_delay_alu instid0(VALU_DEP_1) | instskip(SKIP_3) | instid1(VALU_DEP_1)
	v_add3_u32 v63, v43 /*v299*/, v63, v104
	s_set_vgpr_msb 0                        ;  msbs: dst=0 src0=0 src1=0 src2=0
	v_mul_i32_i24_e32 v104, v133, v129
	s_set_vgpr_msb 1                        ;  msbs: dst=0 src0=1 src1=0 src2=0
	v_add3_u32 v151, v40 /*v296*/, v104, v108
	s_set_vgpr_msb 0                        ;  msbs: dst=0 src0=0 src1=0 src2=0
	v_mul_i32_i24_e32 v104, v110, v143
	s_set_vgpr_msb 64                       ;  msbs: dst=1 src0=0 src1=0 src2=0
	s_delay_alu instid0(VALU_DEP_1) | instskip(SKIP_4) | instid1(VALU_DEP_1)
	v_add3_u32 v7 /*v263*/, v101, v104, v100
	s_set_vgpr_msb 0                        ;  msbs: dst=0 src0=0 src1=0 src2=0
	v_mul_i32_i24_e32 v100, v133, v143
	v_mul_i32_i24_e32 v101, v124, v192
	s_set_vgpr_msb 64                       ;  msbs: dst=1 src0=0 src1=0 src2=0
	v_add3_u32 v10 /*v266*/, v141, v100, v101
	s_set_vgpr_msb 0                        ;  msbs: dst=0 src0=0 src1=0 src2=0
	v_bfe_u32 v100, v2, 16, 2
	v_bfe_u32 v2, v2, 24, 2
	s_delay_alu instid0(VALU_DEP_2) | instskip(NEXT) | instid1(VALU_DEP_2)
	v_mul_i32_i24_e32 v101, v100, v150
	v_mul_i32_i24_e32 v104, v2, v158
	;; [unrolled: 1-line block ×4, first 2 shown]
	s_set_vgpr_msb 4                        ;  msbs: dst=0 src0=0 src1=1 src2=0
	v_mul_i32_i24_e32 v124, v2, v6 /*v262*/
	v_mul_i32_i24_e32 v136, v2, v9 /*v265*/
	s_set_vgpr_msb 0                        ;  msbs: dst=0 src0=0 src1=0 src2=0
	v_add3_u32 v101, v145, v101, v104
	v_mul_i32_i24_e32 v104, v100, v244
	v_mul_i32_i24_e32 v138, v2, v249
	;; [unrolled: 1-line block ×3, first 2 shown]
	v_ashrrev_i32_e32 v244, s18, v15
	s_delay_alu instid0(VALU_DEP_4) | instskip(SKIP_2) | instid1(VALU_DEP_4)
	v_add3_u32 v104, v197, v104, v108
	v_bfe_u32 v108, v81, 16, 2
	v_bfe_u32 v81, v81, 24, 2
	v_and_b32_e32 v15, 3, v244
	s_delay_alu instid0(VALU_DEP_3) | instskip(NEXT) | instid1(VALU_DEP_3)
	v_mul_i32_i24_e32 v110, v108, v250
	v_mul_i32_i24_e32 v111, v81, v251
	;; [unrolled: 1-line block ×4, first 2 shown]
	s_set_vgpr_msb 4                        ;  msbs: dst=0 src0=0 src1=1 src2=0
	v_mul_i32_i24_e32 v133, v81, v4 /*v260*/
	v_mul_i32_i24_e32 v137, v81, v12 /*v268*/
	s_set_vgpr_msb 1                        ;  msbs: dst=0 src0=1 src1=0 src2=0
	v_add3_u32 v110, v24 /*v280*/, v110, v111
	s_set_vgpr_msb 0                        ;  msbs: dst=0 src0=0 src1=0 src2=0
	v_mul_i32_i24_e32 v111, v100, v254
	v_mul_i32_i24_e32 v140, v81, v253
	s_set_vgpr_msb 4                        ;  msbs: dst=0 src0=0 src1=1 src2=0
	v_mul_i32_i24_e32 v141, v81, v1 /*v257*/
	s_set_vgpr_msb 1                        ;  msbs: dst=0 src0=1 src1=0 src2=0
	v_add3_u32 v111, v26 /*v282*/, v111, v120
	s_set_vgpr_msb 4                        ;  msbs: dst=0 src0=0 src1=1 src2=0
	v_mul_i32_i24_e32 v120, v100, v5 /*v261*/
	s_set_vgpr_msb 1                        ;  msbs: dst=0 src0=1 src1=0 src2=0
	s_delay_alu instid0(VALU_DEP_1) | instskip(SKIP_3) | instid1(VALU_DEP_2)
	v_add3_u32 v120, v27 /*v283*/, v120, v124
	s_set_vgpr_msb 0                        ;  msbs: dst=0 src0=0 src1=0 src2=0
	v_mul_i32_i24_e32 v124, v81, v242
	v_mul_i32_i24_e32 v81, v81, v107
	v_add3_u32 v117, v117, v47, v124
	v_mul_i32_i24_e32 v47, v100, v246
	v_mul_i32_i24_e32 v124, v2, v247
	s_set_vgpr_msb 4                        ;  msbs: dst=0 src0=0 src1=1 src2=0
	v_mul_i32_i24_e32 v2, v2, v13 /*v269*/
	s_set_vgpr_msb 1                        ;  msbs: dst=0 src0=1 src1=0 src2=0
	s_delay_alu instid0(VALU_DEP_2) | instskip(SKIP_3) | instid1(VALU_DEP_1)
	v_add3_u32 v124, v30 /*v286*/, v47, v124
	s_set_vgpr_msb 0                        ;  msbs: dst=0 src0=0 src1=0 src2=0
	v_mul_i32_i24_e32 v47, v108, v243
	s_set_vgpr_msb 1                        ;  msbs: dst=0 src0=1 src1=0 src2=0
	v_add3_u32 v129, v28 /*v284*/, v47, v129
	s_set_vgpr_msb 4                        ;  msbs: dst=0 src0=0 src1=1 src2=0
	v_mul_i32_i24_e32 v47, v108, v3 /*v259*/
	s_set_vgpr_msb 1                        ;  msbs: dst=0 src0=1 src1=0 src2=0
	s_delay_alu instid0(VALU_DEP_1) | instskip(SKIP_3) | instid1(VALU_DEP_1)
	v_add3_u32 v133, v34 /*v290*/, v47, v133
	s_set_vgpr_msb 4                        ;  msbs: dst=0 src0=0 src1=1 src2=0
	v_mul_i32_i24_e32 v47, v100, v8 /*v264*/
	s_set_vgpr_msb 1                        ;  msbs: dst=0 src0=1 src1=0 src2=0
	v_add3_u32 v136, v29 /*v285*/, v47, v136
	s_set_vgpr_msb 4                        ;  msbs: dst=0 src0=0 src1=1 src2=0
	v_mul_i32_i24_e32 v47, v108, v11 /*v267*/
	s_set_vgpr_msb 1                        ;  msbs: dst=0 src0=1 src1=0 src2=0
	s_delay_alu instid0(VALU_DEP_1) | instskip(SKIP_3) | instid1(VALU_DEP_1)
	v_add3_u32 v137, v31 /*v287*/, v47, v137
	s_set_vgpr_msb 0                        ;  msbs: dst=0 src0=0 src1=0 src2=0
	v_mul_i32_i24_e32 v47, v100, v248
	s_set_vgpr_msb 1                        ;  msbs: dst=0 src0=1 src1=0 src2=0
	v_add3_u32 v138, v32 /*v288*/, v47, v138
	s_set_vgpr_msb 0                        ;  msbs: dst=0 src0=0 src1=0 src2=0
	v_mul_i32_i24_e32 v47, v108, v252
	s_set_vgpr_msb 1                        ;  msbs: dst=0 src0=1 src1=0 src2=0
	s_delay_alu instid0(VALU_DEP_1) | instskip(SKIP_3) | instid1(VALU_DEP_1)
	v_add3_u32 v140, v33 /*v289*/, v47, v140
	s_set_vgpr_msb 4                        ;  msbs: dst=0 src0=0 src1=1 src2=0
	v_mul_i32_i24_e32 v47, v108, v0 /*v256*/
	s_set_vgpr_msb 1                        ;  msbs: dst=0 src0=1 src1=0 src2=0
	v_add3_u32 v141, v35 /*v291*/, v47, v141
	s_set_vgpr_msb 4                        ;  msbs: dst=0 src0=0 src1=1 src2=0
	v_mul_i32_i24_e32 v47, v100, v14 /*v270*/
	s_set_vgpr_msb 0                        ;  msbs: dst=0 src0=0 src1=0 src2=0
	s_delay_alu instid0(VALU_DEP_1) | instskip(SKIP_1) | instid1(VALU_DEP_1)
	v_add3_u32 v2, v103, v47, v2
	v_mul_i32_i24_e32 v47, v108, v109
	v_add3_u32 v80, v80, v47, v81
	v_and_b32_e32 v47, 3, v9
	v_bfe_u32 v81, v9, 8, 2
	s_delay_alu instid0(VALU_DEP_2) | instskip(NEXT) | instid1(VALU_DEP_2)
	v_mul_i32_i24_e32 v100, v47, v235
	v_mul_i32_i24_e32 v103, v81, v236
	;; [unrolled: 1-line block ×3, first 2 shown]
	s_delay_alu instid0(VALU_DEP_2) | instskip(SKIP_2) | instid1(VALU_DEP_2)
	v_add3_u32 v100, v201, v100, v103
	v_ashrrev_i32_e32 v103, s18, v11
	v_mul_i32_i24_e32 v201, v146, v238
	v_and_b32_e32 v11, 3, v103
	v_bfe_u32 v107, v103, 8, 2
	s_delay_alu instid0(VALU_DEP_2) | instskip(NEXT) | instid1(VALU_DEP_2)
	v_mul_i32_i24_e32 v108, v11, v235
	v_mul_i32_i24_e32 v109, v107, v236
	;; [unrolled: 1-line block ×3, first 2 shown]
	s_delay_alu instid0(VALU_DEP_2) | instskip(SKIP_1) | instid1(VALU_DEP_1)
	v_add3_u32 v108, v203, v108, v109
	v_ashrrev_i32_e32 v109, s18, v13
	v_and_b32_e32 v13, 3, v109
	v_bfe_u32 v143, v109, 8, 2
	s_delay_alu instid0(VALU_DEP_2) | instskip(NEXT) | instid1(VALU_DEP_2)
	v_mul_i32_i24_e32 v144, v13, v181
	v_mul_i32_i24_e32 v145, v143, v182
	;; [unrolled: 1-line block ×3, first 2 shown]
	s_delay_alu instid0(VALU_DEP_2) | instskip(SKIP_2) | instid1(VALU_DEP_2)
	v_add3_u32 v144, v193, v144, v145
	v_and_b32_e32 v145, 3, v3
	v_mul_i32_i24_e32 v193, v107, v31
	v_mul_i32_i24_e32 v150, v145, v29
	s_delay_alu instid0(VALU_DEP_1) | instskip(SKIP_2) | instid1(VALU_DEP_1)
	v_add3_u32 v116, v116, v150, v158
	v_mul_i32_i24_e32 v150, v13, v33
	v_mul_i32_i24_e32 v158, v143, v32
	v_add3_u32 v134, v134, v150, v158
	v_mul_i32_i24_e32 v150, v145, v171
	v_mul_i32_i24_e32 v158, v146, v169
	s_delay_alu instid0(VALU_DEP_1) | instskip(SKIP_2) | instid1(VALU_DEP_2)
	v_add3_u32 v148, v148, v150, v158
	v_and_b32_e32 v150, 3, v5
	v_bfe_u32 v158, v5, 8, 2
	v_mul_i32_i24_e32 v159, v150, v181
	s_delay_alu instid0(VALU_DEP_2) | instskip(SKIP_1) | instid1(VALU_DEP_2)
	v_mul_i32_i24_e32 v191, v158, v182
	v_mul_i32_i24_e32 v197, v158, v234
	v_add3_u32 v191, v196, v159, v191
	v_mul_i32_i24_e32 v159, v11, v29
	s_delay_alu instid0(VALU_DEP_1) | instskip(SKIP_2) | instid1(VALU_DEP_1)
	v_add3_u32 v132, v132, v159, v193
	v_mul_i32_i24_e32 v159, v150, v33
	v_mul_i32_i24_e32 v193, v158, v32
	v_add3_u32 v142, v142, v159, v193
	v_mul_i32_i24_e32 v159, v11, v171
	v_mul_i32_i24_e32 v193, v107, v169
	s_delay_alu instid0(VALU_DEP_1) | instskip(SKIP_2) | instid1(VALU_DEP_1)
	v_add3_u32 v193, v194, v159, v193
	v_mul_i32_i24_e32 v159, v47, v29
	v_mul_i32_i24_e32 v194, v81, v31
	v_add3_u32 v112, v112, v159, v194
	v_and_b32_e32 v159, 3, v1
	v_bfe_u32 v194, v1, 8, 2
	s_delay_alu instid0(VALU_DEP_2) | instskip(NEXT) | instid1(VALU_DEP_2)
	v_mul_i32_i24_e32 v195, v159, v33
	v_mul_i32_i24_e32 v196, v194, v32
	s_delay_alu instid0(VALU_DEP_1) | instskip(SKIP_2) | instid1(VALU_DEP_1)
	v_add3_u32 v126, v126, v195, v196
	v_mul_i32_i24_e32 v195, v159, v189
	v_mul_i32_i24_e32 v196, v194, v234
	v_add3_u32 v195, v204, v195, v196
	v_mul_i32_i24_e32 v196, v150, v189
	v_mul_i32_i24_e32 v204, v107, v184
	s_delay_alu instid0(VALU_DEP_2) | instskip(SKIP_2) | instid1(VALU_DEP_2)
	v_add3_u32 v196, v206, v196, v197
	v_mul_i32_i24_e32 v197, v145, v237
	v_mul_i32_i24_e32 v206, v143, v186
	v_add3_u32 v197, v209, v197, v201
	v_mul_i32_i24_e32 v201, v13, v239
	v_mul_i32_i24_e32 v209, v158, v187
	s_delay_alu instid0(VALU_DEP_2) | instskip(SKIP_2) | instid1(VALU_DEP_2)
	v_add3_u32 v201, v210, v201, v203
	v_mul_i32_i24_e32 v203, v11, v183
	v_mul_i32_i24_e32 v210, v81, v184
	v_add3_u32 v200, v200, v203, v204
	v_mul_i32_i24_e32 v203, v145, v179
	v_mul_i32_i24_e32 v204, v146, v180
	s_delay_alu instid0(VALU_DEP_1) | instskip(SKIP_3) | instid1(VALU_DEP_2)
	v_add3_u32 v203, v231, v203, v204
	v_mul_i32_i24_e32 v204, v13, v188
	v_mul_i32_i24_e32 v231, v143, v234
	s_set_vgpr_msb 1                        ;  msbs: dst=0 src0=1 src1=0 src2=0
	v_add3_u32 v204, v41 /*v297*/, v204, v206
	s_set_vgpr_msb 0                        ;  msbs: dst=0 src0=0 src1=0 src2=0
	v_mul_i32_i24_e32 v206, v150, v185
	s_set_vgpr_msb 1                        ;  msbs: dst=0 src0=1 src1=0 src2=0
	s_delay_alu instid0(VALU_DEP_1) | instskip(SKIP_2) | instid1(VALU_DEP_1)
	v_add3_u32 v206, v39 /*v295*/, v206, v209
	s_set_vgpr_msb 0                        ;  msbs: dst=0 src0=0 src1=0 src2=0
	v_mul_i32_i24_e32 v209, v47, v183
	v_add3_u32 v198, v198, v209, v210
	v_mul_i32_i24_e32 v209, v47, v171
	v_mul_i32_i24_e32 v210, v81, v169
	s_delay_alu instid0(VALU_DEP_1) | instskip(SKIP_2) | instid1(VALU_DEP_1)
	v_add3_u32 v139, v139, v209, v210
	v_mul_i32_i24_e32 v209, v159, v181
	v_mul_i32_i24_e32 v210, v194, v182
	v_add3_u32 v147, v147, v209, v210
	v_mul_i32_i24_e32 v209, v159, v185
	v_mul_i32_i24_e32 v210, v194, v187
	s_delay_alu instid0(VALU_DEP_1) | instskip(SKIP_2) | instid1(VALU_DEP_2)
	v_add3_u32 v209, v232, v209, v210
	v_mul_i32_i24_e32 v210, v13, v189
	v_mul_i32_i24_e32 v232, v146, v236
	v_add3_u32 v205, v205, v210, v231
	v_mul_i32_i24_e32 v210, v145, v183
	v_mul_i32_i24_e32 v231, v146, v184
	s_delay_alu instid0(VALU_DEP_1) | instskip(SKIP_2) | instid1(VALU_DEP_1)
	v_add3_u32 v199, v199, v210, v231
	v_mul_i32_i24_e32 v210, v13, v185
	v_mul_i32_i24_e32 v231, v143, v187
	v_add3_u32 v210, v233, v210, v231
	v_mul_i32_i24_e32 v231, v145, v235
	v_mul_i32_i24_e32 v233, v158, v186
	s_delay_alu instid0(VALU_DEP_2) | instskip(SKIP_2) | instid1(VALU_DEP_1)
	v_add3_u32 v202, v202, v231, v232
	v_mul_i32_i24_e32 v231, v150, v239
	v_mul_i32_i24_e32 v232, v158, v240
	v_add3_u32 v229, v229, v231, v232
	v_mul_i32_i24_e32 v231, v11, v179
	v_mul_i32_i24_e32 v232, v107, v180
	s_set_vgpr_msb 1                        ;  msbs: dst=0 src0=1 src1=0 src2=0
	s_delay_alu instid0(VALU_DEP_1) | instskip(SKIP_3) | instid1(VALU_DEP_1)
	v_add3_u32 v231, v44 /*v300*/, v231, v232
	s_set_vgpr_msb 0                        ;  msbs: dst=0 src0=0 src1=0 src2=0
	v_mul_i32_i24_e32 v232, v150, v188
	s_set_vgpr_msb 1                        ;  msbs: dst=0 src0=1 src1=0 src2=0
	v_add3_u32 v232, v45 /*v301*/, v232, v233
	s_set_vgpr_msb 0                        ;  msbs: dst=0 src0=0 src1=0 src2=0
	v_mul_i32_i24_e32 v233, v11, v237
	s_delay_alu instid0(VALU_DEP_1) | instskip(SKIP_2) | instid1(VALU_DEP_1)
	v_add3_u32 v228, v228, v233, v242
	v_mul_i32_i24_e32 v233, v47, v179
	v_mul_i32_i24_e32 v242, v81, v180
	v_add3_u32 v230, v230, v233, v242
	v_mul_i32_i24_e32 v233, v47, v237
	v_mul_i32_i24_e32 v242, v81, v238
	s_set_vgpr_msb 4                        ;  msbs: dst=0 src0=0 src1=1 src2=0
	v_mul_i32_i24_e32 v81, v81, v98 /*v354*/
	s_set_vgpr_msb 0                        ;  msbs: dst=0 src0=0 src1=0 src2=0
	s_delay_alu instid0(VALU_DEP_2) | instskip(SKIP_2) | instid1(VALU_DEP_1)
	v_add3_u32 v207, v207, v233, v242
	v_mul_i32_i24_e32 v233, v159, v239
	v_mul_i32_i24_e32 v242, v194, v240
	v_add3_u32 v208, v208, v233, v242
	v_mul_i32_i24_e32 v233, v159, v188
	v_mul_i32_i24_e32 v242, v194, v186
	s_set_vgpr_msb 1                        ;  msbs: dst=0 src0=1 src1=0 src2=0
	s_delay_alu instid0(VALU_DEP_1) | instskip(SKIP_4) | instid1(VALU_DEP_2)
	v_add3_u32 v233, v42 /*v298*/, v233, v242
	s_set_vgpr_msb 0                        ;  msbs: dst=0 src0=0 src1=0 src2=0
	v_mul_i32_i24_e32 v242, v47, v177
	v_mul_i32_i24_e32 v47, v47, v241
	s_set_vgpr_msb 0x41                     ;  msbs: dst=1 src0=1 src1=0 src2=0
	v_add3_u32 v11 /*v267*/, v46 /*v302*/, v242, v243
	s_set_vgpr_msb 0                        ;  msbs: dst=0 src0=0 src1=0 src2=0
	s_delay_alu instid0(VALU_DEP_2)
	v_add3_u32 v81, v105, v47, v81
	v_mul_i32_i24_e32 v47, v145, v241
	s_set_vgpr_msb 4                        ;  msbs: dst=0 src0=0 src1=1 src2=0
	v_mul_i32_i24_e32 v105, v146, v98 /*v354*/
	s_set_vgpr_msb 0                        ;  msbs: dst=0 src0=0 src1=0 src2=0
	v_ashrrev_i32_e32 v243, s18, v7
	s_lshr_b32 s18, s17, 2
	s_add_co_i32 s17, s17, 2
	s_and_b32 s18, s18, 0x3ffffffc
	v_add3_u32 v105, v113, v47, v105
	v_mul_i32_i24_e32 v47, v13, v176
	v_mul_i32_i24_e32 v113, v143, v174
	;; [unrolled: 1-line block ×3, first 2 shown]
	v_and_b32_e32 v7, 3, v243
	s_addk_co_i32 s18, 0x7280
	s_cmp_lt_u32 s17, s11
	v_add3_u32 v113, v122, v47, v113
	v_mul_i32_i24_e32 v47, v159, v93
	v_mul_i32_i24_e32 v122, v194, v92
	s_delay_alu instid0(VALU_DEP_1)
	v_add3_u32 v0, v0, v47, v122
	v_mul_i32_i24_e32 v47, v159, v176
	v_mul_i32_i24_e32 v122, v194, v174
	s_set_vgpr_msb 5                        ;  msbs: dst=0 src0=1 src1=1 src2=0
	v_mad_i32_i24 v159, v15 /*v271*/, v17 /*v273*/, v190
	s_set_vgpr_msb 1                        ;  msbs: dst=0 src0=1 src1=0 src2=0
	s_delay_alu instid0(VALU_DEP_2) | instskip(SKIP_3) | instid1(VALU_DEP_1)
	v_add3_u32 v122, v47 /*v303*/, v47, v122
	s_set_vgpr_msb 0                        ;  msbs: dst=0 src0=0 src1=0 src2=0
	v_mul_i32_i24_e32 v47, v145, v177
	v_mul_i32_i24_e32 v145, v146, v178
	v_add3_u32 v114, v114, v47, v145
	v_mul_i32_i24_e32 v47, v143, v92
	s_delay_alu instid0(VALU_DEP_1) | instskip(SKIP_3) | instid1(VALU_DEP_2)
	v_add3_u32 v115, v115, v13, v47
	v_mul_i32_i24_e32 v13, v11, v177
	v_mul_i32_i24_e32 v47, v107, v178
	;; [unrolled: 1-line block ×3, first 2 shown]
	v_add3_u32 v123, v123, v13, v47
	v_mul_i32_i24_e32 v13, v150, v93
	v_mul_i32_i24_e32 v47, v158, v92
	s_delay_alu instid0(VALU_DEP_1)
	v_add3_u32 v4, v4, v13, v47
	s_set_vgpr_msb 4                        ;  msbs: dst=0 src0=0 src1=1 src2=0
	v_mul_i32_i24_e32 v13, v107, v98 /*v354*/
	v_add3_u32 v47, v106, v37 /*v293*/, v102
	v_bfe_u32 v102, v243, 8, 2
	s_set_vgpr_msb 0                        ;  msbs: dst=0 src0=0 src1=0 src2=0
	s_delay_alu instid0(VALU_DEP_3)
	v_add3_u32 v107, v121, v11, v13
	v_mul_i32_i24_e32 v11, v150, v176
	v_mul_i32_i24_e32 v13, v158, v174
	s_set_vgpr_msb 1                        ;  msbs: dst=0 src0=1 src1=0 src2=0
	v_mad_i32_i24 v150, v19 /*v275*/, v128, v135
	v_mad_i32_i24 v158, v15 /*v271*/, v192, v149
	s_set_vgpr_msb 0                        ;  msbs: dst=0 src0=0 src1=0 src2=0
	v_add3_u32 v121, v127, v11, v13
	v_mul_i32_i24_e32 v11, v7, v171
	v_mul_i32_i24_e32 v13, v102, v169
	s_delay_alu instid0(VALU_DEP_1) | instskip(SKIP_2) | instid1(VALU_DEP_1)
	v_add3_u32 v13, v104, v11, v13
	v_mul_i32_i24_e32 v11, v7, v29
	v_mul_i32_i24_e32 v29, v102, v31
	v_add3_u32 v242, v101, v11, v29
	v_bfe_u32 v29, v244, 8, 2
	v_mul_i32_i24_e32 v11, v15, v33
	s_delay_alu instid0(VALU_DEP_2) | instskip(SKIP_1) | instid1(VALU_DEP_2)
	v_mul_i32_i24_e32 v31, v29, v32
	v_mul_i32_i24_e32 v32, v29, v182
	v_add3_u32 v11, v117, v11, v31
	v_mul_i32_i24_e32 v31, v15, v181
	s_delay_alu instid0(VALU_DEP_1) | instskip(SKIP_2) | instid1(VALU_DEP_1)
	v_add3_u32 v169, v110, v31, v32
	v_mul_i32_i24_e32 v31, v7, v177
	v_mul_i32_i24_e32 v32, v102, v178
	v_add3_u32 v247, v124, v31, v32
	v_mul_i32_i24_e32 v31, v15, v176
	v_mul_i32_i24_e32 v32, v29, v174
	s_delay_alu instid0(VALU_DEP_1) | instskip(SKIP_2) | instid1(VALU_DEP_1)
	v_add3_u32 v246, v129, v31, v32
	v_mul_i32_i24_e32 v31, v7, v235
	v_mul_i32_i24_e32 v32, v102, v236
	v_add3_u32 v174, v120, v31, v32
	v_mul_i32_i24_e32 v31, v7, v183
	;; [unrolled: 7-line block ×4, first 2 shown]
	v_mul_i32_i24_e32 v32, v102, v238
	v_mul_i32_i24_e32 v7, v7, v241
	s_delay_alu instid0(VALU_DEP_2) | instskip(SKIP_2) | instid1(VALU_DEP_1)
	v_add3_u32 v189, v136, v31, v32
	v_mul_i32_i24_e32 v31, v15, v239
	v_mul_i32_i24_e32 v32, v29, v240
	v_add3_u32 v180, v137, v31, v32
	v_mul_i32_i24_e32 v31, v15, v188
	v_mul_i32_i24_e32 v32, v29, v186
	s_delay_alu instid0(VALU_DEP_1) | instskip(SKIP_3) | instid1(VALU_DEP_1)
	v_add3_u32 v188, v141, v31, v32
	s_set_vgpr_msb 4                        ;  msbs: dst=0 src0=0 src1=1 src2=0
	v_mul_i32_i24_e32 v31, v102, v98 /*v354*/
	s_set_vgpr_msb 0                        ;  msbs: dst=0 src0=0 src1=0 src2=0
	v_add3_u32 v183, v2, v7, v31
	v_mul_i32_i24_e32 v2, v15, v93
	v_mul_i32_i24_e32 v7, v29, v92
	s_delay_alu instid0(VALU_DEP_1) | instskip(SKIP_2) | instid1(VALU_DEP_2)
	v_add3_u32 v184, v80, v2, v7
	v_lshrrev_b32_e32 v2, 24, v9
	v_bfe_u32 v7, v9, 16, 2
	v_and_b32_e32 v2, 3, v2
	s_delay_alu instid0(VALU_DEP_2) | instskip(NEXT) | instid1(VALU_DEP_2)
	v_mul_i32_i24_e32 v9, v7, v28
	v_mul_i32_i24_e32 v15, v2, v30
	s_delay_alu instid0(VALU_DEP_1) | instskip(SKIP_2) | instid1(VALU_DEP_2)
	v_add3_u32 v186, v112, v9, v15
	v_lshrrev_b32_e32 v9, 24, v1
	v_bfe_u32 v1, v1, 16, 2
	v_and_b32_e32 v9, 3, v9
	s_delay_alu instid0(VALU_DEP_2) | instskip(NEXT) | instid1(VALU_DEP_2)
	v_mul_i32_i24_e32 v15, v1, v24
	v_mul_i32_i24_e32 v29, v9, v25
	s_delay_alu instid0(VALU_DEP_1) | instskip(SKIP_1) | instid1(VALU_DEP_1)
	v_add3_u32 v182, v126, v15, v29
	v_dual_lshrrev_b32 v15, 24, v3 :: v_dual_lshrrev_b32 v3, 16, v3
	v_and_b32_e32 v29, 3, v15
	s_delay_alu instid0(VALU_DEP_2) | instskip(NEXT) | instid1(VALU_DEP_2)
	v_and_b32_e32 v3, 3, v3
	v_mul_i32_i24_e32 v15, v29, v30
	s_delay_alu instid0(VALU_DEP_2) | instskip(NEXT) | instid1(VALU_DEP_1)
	v_mul_i32_i24_e32 v31, v3, v28
	v_add3_u32 v176, v116, v31, v15
	v_dual_lshrrev_b32 v15, 24, v109 :: v_dual_lshrrev_b32 v31, 16, v109
	v_mul_i32_i24_e32 v80, v3, v26
	s_delay_alu instid0(VALU_DEP_2) | instskip(NEXT) | instid1(VALU_DEP_3)
	v_and_b32_e32 v32, 3, v15
	v_and_b32_e32 v31, 3, v31
	s_delay_alu instid0(VALU_DEP_2) | instskip(NEXT) | instid1(VALU_DEP_2)
	v_mul_i32_i24_e32 v15, v32, v37
	v_mul_i32_i24_e32 v33, v31, v36
	s_delay_alu instid0(VALU_DEP_1) | instskip(SKIP_1) | instid1(VALU_DEP_1)
	v_add3_u32 v15, v144, v33, v15
	v_mul_i32_i24_e32 v33, v29, v27
	v_add3_u32 v181, v148, v80, v33
	v_mul_i32_i24_e32 v33, v32, v25
	v_mul_i32_i24_e32 v80, v31, v24
	s_delay_alu instid0(VALU_DEP_1) | instskip(SKIP_2) | instid1(VALU_DEP_1)
	v_add3_u32 v234, v134, v80, v33
	v_mul_i32_i24_e32 v33, v3, v41
	v_mul_i32_i24_e32 v80, v29, v38
	v_add3_u32 v187, v203, v33, v80
	v_dual_lshrrev_b32 v33, 16, v103 :: v_dual_lshrrev_b32 v80, 24, v103
	s_delay_alu instid0(VALU_DEP_1) | instskip(NEXT) | instid1(VALU_DEP_2)
	v_and_b32_e32 v33, 3, v33
	v_and_b32_e32 v80, 3, v80
	s_delay_alu instid0(VALU_DEP_2) | instskip(NEXT) | instid1(VALU_DEP_2)
	v_mul_i32_i24_e32 v92, v33, v43
	v_mul_i32_i24_e32 v93, v80, v42
	s_delay_alu instid0(VALU_DEP_1) | instskip(SKIP_1) | instid1(VALU_DEP_1)
	v_add3_u32 v171, v200, v92, v93
	v_dual_lshrrev_b32 v92, 16, v5 :: v_dual_lshrrev_b32 v5, 24, v5
	v_and_b32_e32 v92, 3, v92
	s_delay_alu instid0(VALU_DEP_2) | instskip(NEXT) | instid1(VALU_DEP_2)
	v_and_b32_e32 v5, 3, v5
	v_mul_i32_i24_e32 v93, v92, v46
	s_delay_alu instid0(VALU_DEP_2) | instskip(NEXT) | instid1(VALU_DEP_1)
	v_mul_i32_i24_e32 v101, v5, v48
	v_add3_u32 v177, v206, v93, v101
	v_mul_i32_i24_e32 v93, v31, v44
	v_mul_i32_i24_e32 v101, v32, v45
	s_delay_alu instid0(VALU_DEP_1) | instskip(SKIP_2) | instid1(VALU_DEP_1)
	v_add3_u32 v237, v204, v93, v101
	v_mul_i32_i24_e32 v93, v80, v30
	v_mul_i32_i24_e32 v101, v33, v28
	v_add3_u32 v235, v132, v101, v93
	v_mul_i32_i24_e32 v93, v5, v37
	v_mul_i32_i24_e32 v101, v92, v36
	s_delay_alu instid0(VALU_DEP_1) | instskip(SKIP_2) | instid1(VALU_DEP_1)
	v_add3_u32 v185, v191, v101, v93
	v_mul_i32_i24_e32 v93, v80, v27
	;; [unrolled: 7-line block ×3, first 2 shown]
	v_mul_i32_i24_e32 v101, v9, v50
	v_add3_u32 v249, v195, v93, v101
	v_mul_i32_i24_e32 v93, v7, v26
	v_mul_i32_i24_e32 v101, v2, v27
	s_set_vgpr_msb 64                       ;  msbs: dst=1 src0=0 src1=0 src2=0
	s_delay_alu instid0(VALU_DEP_1) | instskip(SKIP_4) | instid1(VALU_DEP_1)
	v_add3_u32 v0 /*v256*/, v139, v93, v101
	s_set_vgpr_msb 0                        ;  msbs: dst=0 src0=0 src1=0 src2=0
	v_mul_i32_i24_e32 v93, v7, v43
	v_mul_i32_i24_e32 v101, v2, v42
	s_set_vgpr_msb 64                       ;  msbs: dst=1 src0=0 src1=0 src2=0
	v_add3_u32 v5 /*v261*/, v198, v93, v101
	s_set_vgpr_msb 0                        ;  msbs: dst=0 src0=0 src1=0 src2=0
	v_mul_i32_i24_e32 v93, v1, v46
	v_mul_i32_i24_e32 v101, v9, v48
	s_delay_alu instid0(VALU_DEP_1) | instskip(SKIP_3) | instid1(VALU_DEP_1)
	v_add3_u32 v254, v209, v93, v101
	v_mul_i32_i24_e32 v93, v1, v36
	v_mul_i32_i24_e32 v101, v9, v37
	s_set_vgpr_msb 64                       ;  msbs: dst=1 src0=0 src1=0 src2=0
	v_add3_u32 v1 /*v257*/, v147, v93, v101
	s_set_vgpr_msb 0                        ;  msbs: dst=0 src0=0 src1=0 src2=0
	v_mul_i32_i24_e32 v93, v7, v51
	v_mul_i32_i24_e32 v101, v2, v52
	s_set_vgpr_msb 64                       ;  msbs: dst=1 src0=0 src1=0 src2=0
	s_delay_alu instid0(VALU_DEP_1) | instskip(SKIP_3) | instid1(VALU_DEP_1)
	v_add3_u32 v8 /*v264*/, v100, v93, v101
	s_set_vgpr_msb 0                        ;  msbs: dst=0 src0=0 src1=0 src2=0
	v_mul_i32_i24_e32 v93, v33, v51
	v_mul_i32_i24_e32 v100, v80, v52
	v_add3_u32 v239, v108, v93, v100
	v_mul_i32_i24_e32 v93, v3, v51
	v_mul_i32_i24_e32 v100, v29, v52
	s_delay_alu instid0(VALU_DEP_1) | instskip(SKIP_2) | instid1(VALU_DEP_1)
	v_add3_u32 v250, v202, v93, v100
	v_mul_i32_i24_e32 v93, v31, v46
	v_mul_i32_i24_e32 v100, v32, v48
	v_add3_u32 v255, v210, v93, v100
	v_mul_i32_i24_e32 v93, v29, v42
	v_mul_i32_i24_e32 v100, v3, v43
	s_set_vgpr_msb 64                       ;  msbs: dst=1 src0=0 src1=0 src2=0
	s_delay_alu instid0(VALU_DEP_1) | instskip(SKIP_3) | instid1(VALU_DEP_1)
	v_add3_u32 v3 /*v259*/, v199, v100, v93
	s_set_vgpr_msb 0                        ;  msbs: dst=0 src0=0 src1=0 src2=0
	v_mul_i32_i24_e32 v93, v32, v50
	v_mul_i32_i24_e32 v100, v31, v49
	v_add3_u32 v253, v205, v100, v93
	v_mul_i32_i24_e32 v93, v5, v50
	v_mul_i32_i24_e32 v100, v92, v49
	s_delay_alu instid0(VALU_DEP_1) | instskip(SKIP_3) | instid1(VALU_DEP_1)
	v_add3_u32 v240, v196, v100, v93
	v_mul_i32_i24_e32 v93, v3, v53
	v_mul_i32_i24_e32 v100, v29, v54
	s_set_vgpr_msb 64                       ;  msbs: dst=1 src0=0 src1=0 src2=0
	v_add3_u32 v6 /*v262*/, v197, v93, v100
	s_set_vgpr_msb 0                        ;  msbs: dst=0 src0=0 src1=0 src2=0
	v_mul_i32_i24_e32 v93, v33, v53
	v_mul_i32_i24_e32 v100, v80, v54
	s_delay_alu instid0(VALU_DEP_1) | instskip(SKIP_2) | instid1(VALU_DEP_1)
	v_add3_u32 v251, v228, v93, v100
	v_mul_i32_i24_e32 v93, v92, v44
	v_mul_i32_i24_e32 v100, v5, v45
	v_add3_u32 v241, v232, v93, v100
	v_mul_i32_i24_e32 v93, v33, v41
	v_mul_i32_i24_e32 v100, v80, v38
	s_delay_alu instid0(VALU_DEP_1) | instskip(SKIP_3) | instid1(VALU_DEP_1)
	v_add3_u32 v252, v231, v93, v100
	v_mul_i32_i24_e32 v93, v92, v55
	v_mul_i32_i24_e32 v100, v5, v56
	s_set_vgpr_msb 64                       ;  msbs: dst=1 src0=0 src1=0 src2=0
	v_add3_u32 v4 /*v260*/, v229, v93, v100
	s_set_vgpr_msb 0                        ;  msbs: dst=0 src0=0 src1=0 src2=0
	v_mul_i32_i24_e32 v93, v7, v53
	v_mul_i32_i24_e32 v100, v2, v54
	s_set_vgpr_msb 64                       ;  msbs: dst=1 src0=0 src1=0 src2=0
	s_delay_alu instid0(VALU_DEP_1) | instskip(SKIP_4) | instid1(VALU_DEP_1)
	v_add3_u32 v16 /*v272*/, v207, v93, v100
	s_set_vgpr_msb 0                        ;  msbs: dst=0 src0=0 src1=0 src2=0
	v_mul_i32_i24_e32 v93, v7, v41
	v_mul_i32_i24_e32 v100, v2, v38
	s_set_vgpr_msb 64                       ;  msbs: dst=1 src0=0 src1=0 src2=0
	v_add3_u32 v19 /*v275*/, v230, v93, v100
	s_set_vgpr_msb 0                        ;  msbs: dst=0 src0=0 src1=0 src2=0
	v_mul_i32_i24_e32 v93, v31, v55
	v_mul_i32_i24_e32 v100, v32, v56
	s_set_vgpr_msb 64                       ;  msbs: dst=1 src0=0 src1=0 src2=0
	s_delay_alu instid0(VALU_DEP_1) | instskip(SKIP_4) | instid1(VALU_DEP_1)
	v_add3_u32 v9 /*v265*/, v201, v93, v100
	s_set_vgpr_msb 0                        ;  msbs: dst=0 src0=0 src1=0 src2=0
	v_mul_i32_i24_e32 v93, v1, v44
	v_mul_i32_i24_e32 v100, v9, v45
	s_set_vgpr_msb 64                       ;  msbs: dst=1 src0=0 src1=0 src2=0
	v_add3_u32 v15 /*v271*/, v233, v93, v100
	s_set_vgpr_msb 0                        ;  msbs: dst=0 src0=0 src1=0 src2=0
	v_mul_i32_i24_e32 v93, v1, v55
	v_mul_i32_i24_e32 v100, v9, v56
	s_set_vgpr_msb 64                       ;  msbs: dst=1 src0=0 src1=0 src2=0
	s_delay_alu instid0(VALU_DEP_1)
	v_add3_u32 v18 /*v274*/, v208, v93, v100
	s_set_vgpr_msb 0                        ;  msbs: dst=0 src0=0 src1=0 src2=0
	v_mul_i32_i24_e32 v93, v7, v58
	v_mul_i32_i24_e32 v100, v2, v57
	;; [unrolled: 1-line block ×4, first 2 shown]
	s_set_vgpr_msb 64                       ;  msbs: dst=1 src0=0 src1=0 src2=0
	s_delay_alu instid0(VALU_DEP_3)
	v_add3_u32 v22 /*v278*/, v81, v93, v100
	s_set_vgpr_msb 1                        ;  msbs: dst=0 src0=1 src1=0 src2=0
	v_cvt_f32_i32_e32 v81, v7 /*v263*/
	s_set_vgpr_msb 0x41                     ;  msbs: dst=1 src0=1 src1=0 src2=0
	v_add3_u32 v24 /*v280*/, v11 /*v267*/, v7, v2
	s_set_vgpr_msb 0                        ;  msbs: dst=0 src0=0 src1=0 src2=0
	v_mul_i32_i24_e32 v2, v31, v34
	v_mul_i32_i24_e32 v7, v32, v35
	s_set_vgpr_msb 64                       ;  msbs: dst=1 src0=0 src1=0 src2=0
	s_delay_alu instid0(VALU_DEP_1)
	v_add3_u32 v11 /*v267*/, v113, v2, v7
	s_set_vgpr_msb 0                        ;  msbs: dst=0 src0=0 src1=0 src2=0
	v_mul_i32_i24_e32 v2, v3, v58
	v_mul_i32_i24_e32 v7, v29, v175
	v_cvt_f32_i32_e32 v113, v47
	s_set_vgpr_msb 64                       ;  msbs: dst=1 src0=0 src1=0 src2=0
	s_delay_alu instid0(VALU_DEP_2)
	v_add3_u32 v17 /*v273*/, v105, v2, v7
	s_set_vgpr_msb 0                        ;  msbs: dst=0 src0=0 src1=0 src2=0
	v_mul_i32_i24_e32 v2, v1, v34
	v_mul_i32_i24_e32 v7, v9, v35
	;; [unrolled: 1-line block ×3, first 2 shown]
	s_set_vgpr_msb 64                       ;  msbs: dst=1 src0=0 src1=0 src2=0
	s_delay_alu instid0(VALU_DEP_2)
	v_add3_u32 v23 /*v279*/, v122, v2, v7
	s_set_vgpr_msb 0                        ;  msbs: dst=0 src0=0 src1=0 src2=0
	v_mul_i32_i24_e32 v2, v9, v162
	s_set_vgpr_msb 20                       ;  msbs: dst=0 src0=0 src1=1 src2=1
	v_add3_u32 v7, s18, v215 /*v471*/, v214 /*v470*/
	s_set_vgpr_msb 1                        ;  msbs: dst=0 src0=1 src1=0 src2=0
	v_cvt_f32_i32_e32 v9, v2 /*v258*/
	s_set_vgpr_msb 64                       ;  msbs: dst=1 src0=0 src1=0 src2=0
	v_add3_u32 v25 /*v281*/, v0, v1, v2
	s_set_vgpr_msb 0                        ;  msbs: dst=0 src0=0 src1=0 src2=0
	v_mul_i32_i24_e32 v0, v31, v163
	v_mul_i32_i24_e32 v1, v32, v162
	v_cvt_f32_i32_e32 v2, v125
	s_set_vgpr_msb 64                       ;  msbs: dst=1 src0=0 src1=0 src2=0
	s_delay_alu instid0(VALU_DEP_2)
	v_add3_u32 v21 /*v277*/, v115, v0, v1
	s_set_vgpr_msb 0                        ;  msbs: dst=0 src0=0 src1=0 src2=0
	v_mul_i32_i24_e32 v0, v3, v39
	v_mul_i32_i24_e32 v1, v29, v40
	v_cvt_f32_i32_e32 v3, v130
	s_set_vgpr_msb 64                       ;  msbs: dst=1 src0=0 src1=0 src2=0
	s_delay_alu instid0(VALU_DEP_2) | instskip(SKIP_4) | instid1(VALU_DEP_1)
	v_add3_u32 v20 /*v276*/, v114, v0, v1
	s_set_vgpr_msb 0                        ;  msbs: dst=0 src0=0 src1=0 src2=0
	v_mul_i32_i24_e32 v0, v92, v163
	v_mul_i32_i24_e32 v1, v5, v162
	s_set_vgpr_msb 64                       ;  msbs: dst=1 src0=0 src1=0 src2=0
	v_add3_u32 v14 /*v270*/, v4, v0, v1
	s_set_vgpr_msb 0                        ;  msbs: dst=0 src0=0 src1=0 src2=0
	v_mul_i32_i24_e32 v0, v33, v39
	v_mul_i32_i24_e32 v1, v80, v40
	v_cvt_f32_i32_e32 v4, v131
	s_set_vgpr_msb 64                       ;  msbs: dst=1 src0=0 src1=0 src2=0
	s_delay_alu instid0(VALU_DEP_2)
	v_add3_u32 v13 /*v269*/, v123, v0, v1
	s_set_vgpr_msb 0                        ;  msbs: dst=0 src0=0 src1=0 src2=0
	v_mul_i32_i24_e32 v0, v92, v34
	ds_load_b32 v92, v7
	v_mul_i32_i24_e32 v1, v5, v35
	v_cvt_f32_i32_e32 v5, v118
	s_set_vgpr_msb 64                       ;  msbs: dst=1 src0=0 src1=0 src2=0
	s_delay_alu instid0(VALU_DEP_2) | instskip(SKIP_4) | instid1(VALU_DEP_2)
	v_add3_u32 v12 /*v268*/, v121, v0, v1
	s_wait_dscnt 0x0
	s_set_vgpr_msb 0                        ;  msbs: dst=0 src0=0 src1=0 src2=0
	v_lshrrev_b32_e32 v7, 16, v92
	v_mul_i32_i24_e32 v1, v33, v58
	v_cvt_f32_f16_e32 v29, v7
	v_cvt_f32_i32_e32 v7, v8
	v_cvt_f32_i32_e32 v8, v14
	s_set_vgpr_msb 20                       ;  msbs: dst=0 src0=0 src1=1 src2=1
	v_add3_u32 v14, s18, v210 /*v466*/, v201 /*v457*/
	v_mov_b32_e32 v32, v29
	ds_load_b32 v93, v14
	s_set_vgpr_msb 0                        ;  msbs: dst=0 src0=0 src1=0 src2=0
	v_pk_mul_f32 v[2:3], v[32:33], v[2:3] op_sel_hi:[0,1]
	v_pk_mul_f32 v[4:5], v[32:33], v[4:5] op_sel_hi:[0,1]
	s_wait_dscnt 0x0
	v_lshrrev_b32_e32 v14, 16, v93
	v_mul_i32_i24_e32 v0, v80, v175
	s_set_vgpr_msb 1                        ;  msbs: dst=0 src0=1 src1=0 src2=0
	v_cvt_f32_i32_e32 v80, v10 /*v266*/
	s_set_vgpr_msb 0                        ;  msbs: dst=0 src0=0 src1=0 src2=0
	v_cvt_f32_f16_e32 v31, v14
	v_add3_u32 v175, v107, v1, v0
	v_cvt_f32_i32_e32 v1, v119
	s_set_vgpr_msb 1                        ;  msbs: dst=0 src0=1 src1=0 src2=0
	v_cvt_f32_i32_e32 v0, v38 /*v294*/
	s_set_vgpr_msb 0                        ;  msbs: dst=0 src0=0 src1=0 src2=0
	v_mov_b32_e32 v14, v31
	s_delay_alu instid0(VALU_DEP_2) | instskip(NEXT) | instid1(VALU_DEP_2)
	v_pk_mul_f32 v[0:1], v[32:33], v[0:1] op_sel_hi:[0,1]
	v_pk_mul_f32 v[32:33], v[14:15], v[6:7] op_sel_hi:[0,1]
	;; [unrolled: 1-line block ×4, first 2 shown]
	v_lshrrev_b32_e32 v14, 24, v243
	v_bfe_u32 v80, v243, 16, 2
	s_delay_alu instid0(VALU_DEP_2) | instskip(NEXT) | instid1(VALU_DEP_2)
	v_and_b32_e32 v14, 3, v14
	v_mul_i32_i24_e32 v39, v80, v39
	v_mul_i32_i24_e32 v26, v80, v26
	;; [unrolled: 1-line block ×3, first 2 shown]
	s_delay_alu instid0(VALU_DEP_4) | instskip(SKIP_2) | instid1(VALU_DEP_3)
	v_mul_i32_i24_e32 v40, v14, v40
	v_mul_i32_i24_e32 v27, v14, v27
	;; [unrolled: 1-line block ×3, first 2 shown]
	v_add3_u32 v81, v247, v39, v40
	v_lshrrev_b32_e32 v39, 24, v244
	v_bfe_u32 v40, v244, 16, 2
	v_add3_u32 v13, v13, v26, v27
	v_add3_u32 v28, v242, v28, v30
	s_delay_alu instid0(VALU_DEP_4) | instskip(NEXT) | instid1(VALU_DEP_4)
	v_and_b32_e32 v39, 3, v39
	v_mul_i32_i24_e32 v26, v40, v49
	v_mul_i32_i24_e32 v34, v40, v34
	;; [unrolled: 1-line block ×3, first 2 shown]
	s_delay_alu instid0(VALU_DEP_4) | instskip(SKIP_3) | instid1(VALU_DEP_4)
	v_mul_i32_i24_e32 v27, v39, v50
	v_mul_i32_i24_e32 v35, v39, v35
	;; [unrolled: 1-line block ×4, first 2 shown]
	v_add3_u32 v26, v248, v26, v27
	v_mul_i32_i24_e32 v27, v40, v46
	v_add3_u32 v100, v246, v34, v35
	v_mul_i32_i24_e32 v34, v39, v37
	;; [unrolled: 2-line block ×4, first 2 shown]
	v_mul_i32_i24_e32 v25, v14, v42
	s_delay_alu instid0(VALU_DEP_2) | instskip(NEXT) | instid1(VALU_DEP_2)
	v_add3_u32 v30, v169, v30, v34
	v_add3_u32 v25, v178, v11, v25
	v_mul_i32_i24_e32 v11, v80, v51
	v_mul_i32_i24_e32 v34, v14, v52
	s_delay_alu instid0(VALU_DEP_1) | instskip(SKIP_2) | instid1(VALU_DEP_1)
	v_add3_u32 v36, v174, v11, v34
	v_mul_i32_i24_e32 v11, v80, v53
	v_mul_i32_i24_e32 v34, v14, v54
	v_add3_u32 v37, v189, v11, v34
	v_mul_i32_i24_e32 v11, v80, v41
	v_mul_i32_i24_e32 v34, v14, v38
	;; [unrolled: 1-line block ×3, first 2 shown]
	v_cvt_f32_i32_e32 v57, v63
	v_cvt_f32_i32_e32 v63, v62
	;; [unrolled: 1-line block ×3, first 2 shown]
	v_add3_u32 v43, v179, v11, v34
	v_mul_i32_i24_e32 v11, v40, v44
	v_mul_i32_i24_e32 v34, v39, v45
	s_delay_alu instid0(VALU_DEP_1) | instskip(SKIP_3) | instid1(VALU_DEP_2)
	v_add3_u32 v45, v188, v11, v34
	v_mul_i32_i24_e32 v11, v40, v55
	v_mul_i32_i24_e32 v34, v39, v56
	v_cvt_f32_i32_e32 v56, v151
	v_add3_u32 v46, v180, v11, v34
	v_mul_i32_i24_e32 v11, v80, v58
	v_mul_i32_i24_e32 v34, v39, v162
	v_cvt_f32_i32_e32 v58, v60
	s_delay_alu instid0(VALU_DEP_3) | instskip(SKIP_2) | instid1(VALU_DEP_2)
	v_add3_u32 v14, v183, v11, v14
	v_mul_i32_i24_e32 v11, v40, v163
	v_and_b32_e32 v40, 15, v168
	v_add3_u32 v49, v184, v11, v34
	v_and_b32_e32 v11, 15, v164
	s_delay_alu instid0(VALU_DEP_3) | instskip(NEXT) | instid1(VALU_DEP_2)
	v_and_b32_e32 v48, 0xffff, v40
	v_and_b32_e32 v11, 0xffff, v11
	s_delay_alu instid0(VALU_DEP_1)
	v_mul_lo_u32 v34, v186, v11
	s_set_vgpr_msb 1                        ;  msbs: dst=0 src0=1 src1=0 src2=0
	v_mul_lo_u32 v35, v5 /*v261*/, v11
	v_mul_lo_u32 v38, v0 /*v256*/, v11
	;; [unrolled: 1-line block ×7, first 2 shown]
	s_set_vgpr_msb 0                        ;  msbs: dst=0 src0=0 src1=0 src2=0
	v_mad_u32 v162, v182, v48, v34
	v_mad_u32 v35, v254, v48, v35
	s_set_vgpr_msb 1                        ;  msbs: dst=0 src0=1 src1=0 src2=0
	v_mad_u32 v34, v1 /*v257*/, v48, v38
	s_set_vgpr_msb 0                        ;  msbs: dst=0 src0=0 src1=0 src2=0
	v_mad_u32 v40, v249, v48, v39
	s_set_vgpr_msb 1                        ;  msbs: dst=0 src0=1 src1=0 src2=0
	v_mad_u32 v51, v15 /*v271*/, v48, v41
	v_mad_u32 v50, v18 /*v274*/, v48, v42
	;; [unrolled: 1-line block ×4, first 2 shown]
	v_and_b32_e32 v11, 15, v167
	s_set_vgpr_msb 0                        ;  msbs: dst=0 src0=0 src1=0 src2=0
	v_mul_lo_u32 v41, v187, v10
	v_mul_lo_u32 v42, v250, v10
	s_set_vgpr_msb 1                        ;  msbs: dst=0 src0=1 src1=0 src2=0
	v_mul_lo_u32 v48, v6 /*v262*/, v10
	s_set_vgpr_msb 0                        ;  msbs: dst=0 src0=0 src1=0 src2=0
	v_cvt_f32_i32_e32 v35, v35
	v_and_b32_e32 v11, 0xffff, v11
	v_cvt_f32_i32_e32 v34, v34
	v_cvt_f32_i32_e32 v51, v51
	;; [unrolled: 1-line block ×4, first 2 shown]
	v_mul_lo_u32 v39, v255, v11
	v_mul_lo_u32 v38, v234, v11
	v_mad_u32 v52, v237, v11, v41
	v_cvt_f32_i32_e32 v104, v162
	s_set_vgpr_msb 1                        ;  msbs: dst=0 src0=1 src1=0 src2=0
	v_mad_u32 v169, v9 /*v265*/, v11, v48
	v_mad_u32 v44, v3 /*v259*/, v10, v39
	v_mul_lo_u32 v39, v21 /*v277*/, v11
	s_set_vgpr_msb 0                        ;  msbs: dst=0 src0=0 src1=0 src2=0
	v_mad_u32 v38, v176, v10, v38
	s_delay_alu instid0(VALU_DEP_4) | instskip(SKIP_1) | instid1(VALU_DEP_3)
	v_cvt_f32_i32_e32 v80, v169
	s_set_vgpr_msb 1                        ;  msbs: dst=0 src0=1 src1=0 src2=0
	v_mad_u32 v167, v17 /*v273*/, v10, v39
	s_set_vgpr_msb 0                        ;  msbs: dst=0 src0=0 src1=0 src2=0
	v_mul_lo_u32 v39, v181, v10
	s_set_vgpr_msb 1                        ;  msbs: dst=0 src0=1 src1=0 src2=0
	v_mul_lo_u32 v10, v20 /*v276*/, v10
	s_set_vgpr_msb 0                        ;  msbs: dst=0 src0=0 src1=0 src2=0
	v_cvt_f32_i32_e32 v55, v38
	s_delay_alu instid0(VALU_DEP_4) | instskip(NEXT) | instid1(VALU_DEP_4)
	v_cvt_f32_i32_e32 v101, v167
	v_mad_u32 v39, v15, v11, v39
	v_mad_u32 v15, v253, v11, v42
	s_set_vgpr_msb 1                        ;  msbs: dst=0 src0=1 src1=0 src2=0
	v_mad_u32 v168, v11 /*v267*/, v11, v10
	v_and_b32_e32 v11, 15, v12
	v_and_b32_e32 v10, 15, v165
	s_delay_alu instid0(VALU_DEP_2) | instskip(NEXT) | instid1(VALU_DEP_2)
	v_and_b32_e32 v11, 0xffff, v11
	v_and_b32_e32 v10, 0xffff, v10
	s_set_vgpr_msb 0                        ;  msbs: dst=0 src0=0 src1=0 src2=0
	s_delay_alu instid0(VALU_DEP_2) | instskip(NEXT) | instid1(VALU_DEP_2)
	v_mul_lo_u32 v12, v238, v11
	v_mul_lo_u32 v42, v236, v10
	;; [unrolled: 1-line block ×4, first 2 shown]
	s_delay_alu instid0(VALU_DEP_4)
	v_mad_u32 v41, v235, v10, v12
	s_set_vgpr_msb 1                        ;  msbs: dst=0 src0=1 src1=0 src2=0
	v_mul_lo_u32 v12, v4 /*v260*/, v11
	s_set_vgpr_msb 0                        ;  msbs: dst=0 src0=0 src1=0 src2=0
	v_mad_u32 v42, v185, v11, v42
	v_mad_u32 v48, v240, v11, v48
	;; [unrolled: 1-line block ×3, first 2 shown]
	v_cvt_f32_i32_e32 v53, v157
	v_mad_u32 v180, v251, v10, v12
	s_set_vgpr_msb 1                        ;  msbs: dst=0 src0=1 src1=0 src2=0
	v_mul_lo_u32 v12, v14 /*v270*/, v11
	s_set_vgpr_msb 0                        ;  msbs: dst=0 src0=0 src1=0 src2=0
	v_cvt_f32_i32_e32 v42, v42
	v_cvt_f32_i32_e32 v48, v48
	s_delay_alu instid0(VALU_DEP_3) | instskip(SKIP_4) | instid1(VALU_DEP_3)
	v_mad_u32 v165, v175, v10, v12
	v_mul_lo_u32 v12, v171, v10
	s_set_vgpr_msb 1                        ;  msbs: dst=0 src0=1 src1=0 src2=0
	v_mul_lo_u32 v10, v13 /*v269*/, v10
	s_set_vgpr_msb 0                        ;  msbs: dst=0 src0=0 src1=0 src2=0
	v_cvt_f32_i32_e32 v103, v165
	s_delay_alu instid0(VALU_DEP_3) | instskip(SKIP_1) | instid1(VALU_DEP_3)
	v_mad_u32 v54, v177, v11, v12
	s_set_vgpr_msb 1                        ;  msbs: dst=0 src0=1 src1=0 src2=0
	v_mad_u32 v171, v12 /*v268*/, v11, v10
	v_dual_lshrrev_b32 v10, 1, v22 :: v_dual_lshrrev_b32 v12, 1, v23
	s_set_vgpr_msb 0                        ;  msbs: dst=0 src0=0 src1=0 src2=0
	ds_load_b32 v11, v10 offset:30368
	ds_load_b32 v10, v12 offset:30368
	v_and_b32_e32 v12, 15, v166
	v_cvt_f32_i32_e32 v102, v171
	s_delay_alu instid0(VALU_DEP_2) | instskip(NEXT) | instid1(VALU_DEP_1)
	v_and_b32_e32 v12, 0xffff, v12
	v_mul_lo_u32 v22, v81, v12
	v_mul_lo_u32 v13, v13, v12
	;; [unrolled: 1-line block ×8, first 2 shown]
	v_and_b32_e32 v14, 15, v173
	v_cvt_f32_i32_e32 v43, v41
	v_cvt_f32_i32_e32 v41, v159
	;; [unrolled: 1-line block ×3, first 2 shown]
	s_delay_alu instid0(VALU_DEP_4) | instskip(NEXT) | instid1(VALU_DEP_1)
	v_and_b32_e32 v14, 0xffff, v14
	v_mad_u32 v174, v100, v14, v22
	s_set_vgpr_msb 20                       ;  msbs: dst=0 src0=0 src1=1 src2=1
	v_add3_u32 v22, s18, v208 /*v464*/, v199 /*v455*/
	s_set_vgpr_msb 0                        ;  msbs: dst=0 src0=0 src1=0 src2=0
	v_mad_u32 v175, v30, v14, v13
	s_set_vgpr_msb 20                       ;  msbs: dst=0 src0=0 src1=1 src2=1
	v_add3_u32 v13, s18, v206 /*v462*/, v197 /*v453*/
	s_set_vgpr_msb 0                        ;  msbs: dst=0 src0=0 src1=0 src2=0
	v_mad_u32 v166, v24, v14, v23
	v_mad_u32 v177, v26, v14, v28
	ds_load_b32 v24, v22
	ds_load_b32 v28, v13
	ds_load_b32 v13, v18 offset:30368
	v_lshrrev_b32_e32 v23, 1, v17
	v_mad_u32 v173, v27, v14, v25
	v_mad_u32 v178, v46, v14, v37
	;; [unrolled: 1-line block ×4, first 2 shown]
	ds_load_b32 v17, v19 offset:30368
	ds_load_b32 v14, v20 offset:30368
	;; [unrolled: 1-line block ×3, first 2 shown]
	v_cvt_f32_i32_e32 v19, v172
	v_cvt_f32_f16_e32 v23, v93
	v_cvt_f32_i32_e32 v25, v54
	ds_load_b32 v20, v21 offset:30368
	v_cvt_f32_i32_e32 v54, v39
	v_cvt_f32_f16_e32 v27, v92
	v_cvt_f32_i32_e32 v37, v161
	v_cvt_f32_i32_e32 v36, v160
	v_mov_b32_e32 v46, v23
	v_cvt_f32_i32_e32 v45, v44
	v_cvt_f32_i32_e32 v44, v15
	s_wait_dscnt 0x6
	v_lshrrev_b32_e32 v18, 16, v24
	v_cvt_f32_f16_e32 v22, v24
	v_cvt_f32_i32_e32 v24, v52
	v_cvt_f32_i32_e32 v52, v156
	s_wait_dscnt 0x5
	v_cvt_f32_f16_e32 v26, v28
	v_cvt_f32_f16_e32 v30, v18
	v_cvt_f32_i32_e32 v18, v170
	v_pk_fma_f32 v[32:33], v[46:47], v[42:43], v[32:33] op_sel_hi:[0,1,1] neg_lo:[0,0,1] neg_hi:[0,0,1]
	v_cvt_f32_i32_e32 v49, v158
	v_mov_b32_e32 v42, v26
	v_pk_mul_f32 v[52:53], v[30:31], v[52:53] op_sel_hi:[0,1]
	v_pk_mul_f32 v[18:19], v[30:31], v[18:19]
	v_pk_mul_f32 v[56:57], v[30:31], v[56:57] op_sel_hi:[0,1]
	v_cvt_f32_i32_e32 v107, v175
	v_cvt_f32_i32_e32 v106, v166
	v_pk_fma_f32 v[38:39], v[22:23], v[54:55], v[52:53] op_sel_hi:[0,1,1] neg_lo:[0,0,1] neg_hi:[0,0,1]
	v_pk_fma_f32 v[24:25], v[22:23], v[24:25], v[18:19] neg_lo:[0,0,1] neg_hi:[0,0,1]
	ds_load_b32 v19, v16 offset:30368
	v_lshrrev_b32_e32 v16, 16, v28
	v_cvt_f32_i32_e32 v53, v155
	v_cvt_f32_i32_e32 v52, v154
	;; [unrolled: 1-line block ×4, first 2 shown]
	v_cvt_f32_f16_e32 v28, v16
	s_wait_dscnt 0x5
	v_mov_b32_e32 v16, v13
	v_pk_mul_f32 v[52:53], v[30:31], v[52:53] op_sel_hi:[0,1]
	v_cvt_f32_i32_e32 v109, v177
	v_cvt_f32_i32_e32 v108, v173
	v_pk_mul_f32 v[54:55], v[28:29], v[54:55] op_sel_hi:[0,1]
	v_pk_mul_f32 v[36:37], v[28:29], v[36:37] op_sel_hi:[0,1]
	v_mov_b32_e32 v43, v28
	v_pk_fma_f32 v[44:45], v[22:23], v[44:45], v[52:53] op_sel_hi:[0,1,1] neg_lo:[0,0,1] neg_hi:[0,0,1]
	v_dual_mov_b32 v52, v23 :: v_dual_mov_b32 v53, v31
	v_pk_fma_f32 v[54:55], v[26:27], v[50:51], v[54:55] op_sel_hi:[0,1,1] neg_lo:[0,0,1] neg_hi:[0,0,1]
	v_dual_mov_b32 v23, v30 :: v_dual_mov_b32 v30, v27
	s_wait_dscnt 0x0
	v_mov_b32_e32 v50, v19
	v_pk_mul_f32 v[58:59], v[28:29], v[58:59]
	v_pk_mul_f32 v[60:61], v[28:29], v[62:63] op_sel_hi:[0,1]
	v_mov_b32_e32 v28, v27
	v_cvt_f32_i32_e32 v112, v176
	v_mov_b32_e32 v18, v11
	v_pk_fma_f32 v[34:35], v[26:27], v[34:35], v[36:37] op_sel_hi:[0,1,1] neg_lo:[0,0,1] neg_hi:[0,0,1]
	v_dual_mov_b32 v36, v11 :: v_dual_mov_b32 v37, v10
	v_pk_mul_f32 v[40:41], v[42:43], v[40:41]
	v_mov_b32_e32 v42, v10
	v_pk_mul_f32 v[48:49], v[52:53], v[48:49]
	v_cvt_f32_i32_e32 v111, v179
	v_cvt_f32_i32_e32 v110, v178
	v_pk_fma_f32 v[0:1], v[30:31], v[106:107], v[0:1] op_sel_hi:[0,1,1] neg_lo:[0,0,1] neg_hi:[0,0,1]
	v_pk_fma_f32 v[2:3], v[30:31], v[108:109], v[2:3] op_sel_hi:[0,1,1] neg_lo:[0,0,1] neg_hi:[0,0,1]
	v_pk_mul_f32 v[28:29], v[28:29], v[112:113]
	v_pk_fma_f32 v[98:99], v[10:11], v[38:39], v[98:99]
	v_pk_fma_f32 v[96:97], v[10:11], v[32:33], v[96:97]
	v_pk_mul_f32 v[10:11], v[22:23], v[80:81]
	v_dual_mov_b32 v43, v13 :: v_dual_mov_b32 v53, v13
	v_cvt_f32_i32_e32 v63, v180
	v_cvt_f32_i32_e32 v62, v181
	;; [unrolled: 1-line block ×6, first 2 shown]
	v_pk_fma_f32 v[4:5], v[30:31], v[110:111], v[4:5] op_sel_hi:[0,1,1] neg_lo:[0,0,1] neg_hi:[0,0,1]
	v_sub_f32_e32 v30, v40, v41
	v_sub_f32_e32 v31, v48, v49
	v_pk_fma_f32 v[66:67], v[12:13], v[24:25], v[66:67]
	v_mov_b32_e32 v13, v14
	v_pk_fma_f32 v[212:213], v[36:37], v[0:1], v[212:213]
	v_pk_fma_f32 v[90:91], v[16:17], v[2:3], v[90:91]
	v_dual_sub_f32 v0, v28, v29 :: v_dual_mul_f32 v1, v17, v30
	v_dual_sub_f32 v2, v10, v11 :: v_dual_mov_b32 v52, v17
	v_dual_mov_b32 v15, v12 :: v_dual_mov_b32 v21, v19
	v_mov_b32_e32 v51, v20
	v_pk_fma_f32 v[8:9], v[46:47], v[62:63], v[8:9] op_sel_hi:[0,1,1] neg_lo:[0,0,1] neg_hi:[0,0,1]
	v_pk_fma_f32 v[60:61], v[26:27], v[92:93], v[60:61] op_sel_hi:[0,1,1] neg_lo:[0,0,1] neg_hi:[0,0,1]
	;; [unrolled: 1-line block ×3, first 2 shown]
	v_pk_fma_f32 v[26:27], v[26:27], v[104:105], v[58:59] neg_lo:[0,0,1] neg_hi:[0,0,1]
	v_pk_fma_f32 v[22:23], v[22:23], v[100:101], v[56:57] op_sel_hi:[0,1,1] neg_lo:[0,0,1] neg_hi:[0,0,1]
	v_dual_mul_f32 v3, v17, v31 :: v_dual_mul_f32 v0, v20, v0
	v_mul_f32_e32 v2, v14, v2
	v_pk_fma_f32 v[94:95], v[42:43], v[34:35], v[94:95]
	v_pk_fma_f32 v[88:89], v[52:53], v[44:45], v[88:89]
	;; [unrolled: 1-line block ×9, first 2 shown]
	v_pk_add_f32 v[76:77], v[76:77], v[0:1]
	v_pk_add_f32 v[86:87], v[86:87], v[2:3]
	s_cbranch_scc1 .LBB128_11
; %bb.12:                               ;   in Loop: Header=BB128_9 Depth=2
	v_lshl_add_u32 v0, s16, 5, v64
	s_set_vgpr_msb 16                       ;  msbs: dst=0 src0=0 src1=0 src2=1
	v_lshl_add_u32 v1, s16, 2, v216 /*v472*/
	s_barrier_signal -1
	s_barrier_wait -1
	v_lshrrev_b32_e32 v0, 3, v0
	s_add_co_i32 s10, s10, 2
	s_delay_alu instid0(SALU_CYCLE_1) | instskip(NEXT) | instid1(VALU_DEP_1)
	s_lshl_b32 s16, s10, 3
	v_add_nc_u32_e32 v2, s7, v0
	v_mad_nc_u64_u32 v[0:1], v1, 36, s[2:3]
	s_set_vgpr_msb 4                        ;  msbs: dst=0 src0=0 src1=1 src2=0
	s_delay_alu instid0(VALU_DEP_2)
	v_add_nc_u32_e32 v3, v2, v188 /*v444*/
	s_set_vgpr_msb 16                       ;  msbs: dst=0 src0=0 src1=0 src2=1
	v_dual_add_nc_u32 v4, v2, v221 :: v_dual_add_nc_u32 v6, v2, v222
	v_dual_add_nc_u32 v8, v2, v223 :: v_dual_add_nc_u32 v10, v2, v224
	;; [unrolled: 1-line block ×3, first 2 shown]
	v_add_nc_u32_e32 v16, v2, v227
	v_mad_nc_i64_i32 v[2:3], v3, 36, v[202:203] /*v[458:459]*/
	v_mad_nc_i64_i32 v[4:5], v4, 36, v[202:203] /*v[458:459]*/
	;; [unrolled: 1-line block ×8, first 2 shown]
	s_clause 0x8
	global_load_b32 v18, v[0:1], off
	global_load_b32 v19, v[2:3], off offset:4
	global_load_b32 v20, v[4:5], off offset:4
	;; [unrolled: 1-line block ×8, first 2 shown]
	s_wait_loadcnt 0x8
	s_wait_xcnt 0x8
	v_cvt_f32_f16_e32 v0, v18
	s_wait_loadcnt 0x7
	ds_store_b32 v219, v19
	s_wait_loadcnt 0x6
	ds_store_b32 v65, v20
	;; [unrolled: 2-line block ×8, first 2 shown]
	ds_store_b32 v220, v0
	s_wait_dscnt 0x0
	s_barrier_signal -1
	s_barrier_wait -1
.LBB128_13:                             ;   Parent Loop BB128_7 Depth=1
                                        ;     Parent Loop BB128_9 Depth=2
                                        ; =>    This Inner Loop Header: Depth=3
	s_and_b32 s18, s11, 0x3ffffff8
	s_lshl_b32 s20, s11, 2
	s_set_vgpr_msb 16                       ;  msbs: dst=0 src0=0 src1=0 src2=1
	v_lshl_add_u32 v0, s18, 2, v212 /*v468*/
	s_and_b32 s19, s11, 0x7ffffffe
	s_and_b32 s20, s20, 24
	s_clause 0x1
	scratch_store_b64 off, v[212:213], off offset:8
	scratch_store_b64 off, v[94:95], off
	s_lshr_b32 s21, s11, 2
	s_addk_co_i32 s19, 0x6200
	s_set_vgpr_msb 20                       ;  msbs: dst=0 src0=0 src1=1 src2=1
	v_or_b32_e32 v1, s20, v211 /*v467*/
	v_or_b32_e32 v6, s20, v189 /*v445*/
	;; [unrolled: 1-line block ×6, first 2 shown]
	ds_load_2addr_b32 v[80:81], v0 offset0:6 offset1:7
	s_and_b32 s18, s21, 0x3ffffffc
	v_add3_u32 v2, s19, v204 /*v460*/, v213 /*v469*/
	v_or_b32_e32 v10, s20, v193 /*v449*/
	v_or_b32_e32 v11, s20, v194 /*v450*/
	v_add3_u32 v3, s19, v205 /*v461*/, v196 /*v452*/
	ds_load_2addr_b32 v[92:93], v0 offset1:1
	ds_load_2addr_b32 v[164:165], v0 offset0:2 offset1:3
	ds_load_2addr_b32 v[162:163], v0 offset0:4 offset1:5
	s_addk_co_i32 s18, 0x7280
	v_add3_u32 v4, s19, v207 /*v463*/, v198 /*v454*/
	v_add3_u32 v5, s19, v209 /*v465*/, v200 /*v456*/
	;; [unrolled: 1-line block ×6, first 2 shown]
	s_set_vgpr_msb 0                        ;  msbs: dst=0 src0=0 src1=0 src2=0
	v_add_nc_u32_e32 v17, 0x1080, v0
	v_add_nc_u32_e32 v18, 0x1088, v0
	;; [unrolled: 1-line block ×12, first 2 shown]
	v_dual_lshlrev_b32 v0, 2, v1 :: v_dual_lshrrev_b32 v1, 1, v1
	v_dual_lshlrev_b32 v29, 2, v6 :: v_dual_lshrrev_b32 v6, 1, v6
	;; [unrolled: 1-line block ×8, first 2 shown]
	ds_load_u16 v105, v2
	ds_load_u16 v106, v3
	ds_load_u16 v108, v4
	ds_load_u16 v109, v5
	ds_load_b32 v110, v13
	ds_load_b32 v112, v15
	;; [unrolled: 1-line block ×4, first 2 shown]
	ds_load_2addr_b32 v[182:183], v21 offset1:1
	ds_load_2addr_b32 v[174:175], v22 offset1:1
	;; [unrolled: 1-line block ×12, first 2 shown]
	ds_load_b128 v[56:59], v0 offset:16896
	ds_load_b128 v[52:55], v0 offset:16912
	ds_load_b32 v159, v1 offset:30368
	ds_load_b128 v[60:63], v29 offset:16896
	ds_load_b32 v158, v6 offset:30368
	ds_load_b128 v[40:43], v29 offset:16912
	ds_load_b128 v[32:35], v30 offset:16896
	;; [unrolled: 1-line block ×3, first 2 shown]
	ds_load_b32 v151, v7 offset:30368
	ds_load_b128 v[8:11], v31 offset:16896
	ds_load_b32 v153, v36 offset:30368
	ds_load_b128 v[12:15], v31 offset:16912
	ds_load_b128 v[44:47], v39 offset:16896
	;; [unrolled: 1-line block ×3, first 2 shown]
	ds_load_b32 v65, v104 offset:30368
	ds_load_b128 v[16:19], v37 offset:16896
	ds_load_b128 v[20:23], v37 offset:16912
	ds_load_b32 v156, v38 offset:30368
	ds_load_b128 v[36:39], v100 offset:16896
	ds_load_b32 v150, v101 offset:30368
	ds_load_b128 v[28:31], v100 offset:16912
	ds_load_b128 v[4:7], v102 offset:16896
	ds_load_i8 v235, v102 offset:16911
	s_wait_xcnt 0x0
	ds_load_b32 v94, v103 offset:30368
	ds_load_b128 v[0:3], v102 offset:16912
	ds_load_i8 v234, v102 offset:16927
	s_and_b32 s17, s11, 6
	s_wait_dscnt 0x2a
	v_bfe_u32 v103, v109, 4, 4
	v_dual_ashrrev_i32 v111, s17, v80 :: v_dual_ashrrev_i32 v107, s17, v81
	v_dual_ashrrev_i32 v81, s17, v92 :: v_dual_ashrrev_i32 v92, s17, v93
	;; [unrolled: 1-line block ×3, first 2 shown]
	v_lshrrev_b16 v196, 8, v105
	v_lshrrev_b16 v197, 8, v106
	v_bfe_u32 v114, v105, 4, 4
	s_wait_dscnt 0x27
	s_set_vgpr_msb 64                       ;  msbs: dst=1 src0=0 src1=0 src2=0
	v_dual_lshrrev_b32 v200 /*v456*/, 16, v116 :: v_dual_bitop2_b32 v145 /*v401*/, 15, v105 bitop3:0x40
	v_dual_lshrrev_b32 v201 /*v457*/, 16, v112 :: v_dual_bitop2_b32 v147 /*v403*/, 15, v106 bitop3:0x40
	s_set_vgpr_msb 0                        ;  msbs: dst=0 src0=0 src1=0 src2=0
	v_bfe_u32 v105, v106, 4, 4
	s_wait_dscnt 0x20
	v_dual_ashrrev_i32 v133, s17, v189 :: v_dual_ashrrev_i32 v135, s17, v186
	s_wait_dscnt 0x13
	v_dual_ashrrev_i32 v244, 24, v34 :: v_dual_bitop2_b32 v106, 3, v92 bitop3:0x40
	v_bfe_i32 v134, v57, 0, 8
	s_wait_dscnt 0xa
	v_bfe_i32 v203, v16, 16, 8
	s_set_vgpr_msb 64                       ;  msbs: dst=1 src0=0 src1=0 src2=0
	v_bfe_i32 v126 /*v382*/, v17, 16, 8
	s_wait_dscnt 0x4
	s_set_vgpr_msb 0                        ;  msbs: dst=0 src0=0 src1=0 src2=0
	v_lshrrev_b16 v195, 8, v5
	s_set_vgpr_msb 64                       ;  msbs: dst=1 src0=0 src1=0 src2=0
	v_dual_ashrrev_i32 v116 /*v372*/, 24, v5 :: v_dual_bitop2_b32 v190 /*v446*/, 3, v135 bitop3:0x40
	v_bfe_i32 v165 /*v421*/, v5, 0, 8
	v_bfe_i32 v119 /*v375*/, v5, 16, 8
	s_wait_dscnt 0x1
	s_set_vgpr_msb 0                        ;  msbs: dst=0 src0=0 src1=0 src2=0
	v_lshrrev_b16 v5, 8, v0
	v_dual_ashrrev_i32 v80, s17, v165 :: v_dual_ashrrev_i32 v115, s17, v163
	v_bfe_u32 v102, v108, 4, 4
	v_dual_lshrrev_b32 v157, 16, v110 :: v_dual_bitop2_b32 v149, 15, v109 bitop3:0x40
	v_cvt_f32_f16_e64 v165, v110
	v_cvt_f32_f16_e64 v163, v116
	;; [unrolled: 1-line block ×3, first 2 shown]
	v_dual_ashrrev_i32 v139, s17, v182 :: v_dual_ashrrev_i32 v141, s17, v183
	v_dual_ashrrev_i32 v143, s17, v180 :: v_dual_ashrrev_i32 v147, s17, v185
	v_dual_ashrrev_i32 v145, s17, v184 :: v_dual_bitop2_b32 v93, 3, v81 bitop3:0x40
	s_set_vgpr_msb 64                       ;  msbs: dst=1 src0=0 src1=0 src2=0
	v_bfe_u32 v50 /*v306*/, v81, 24, 2
	s_set_vgpr_msb 0                        ;  msbs: dst=0 src0=0 src1=0 src2=0
	v_bfe_u32 v123, v81, 8, 2
	v_bfe_u32 v129, v81, 16, 2
	;; [unrolled: 1-line block ×5, first 2 shown]
	v_and_b32_e32 v192, 3, v100
	v_bfe_u32 v199, v100, 8, 2
	v_bfe_u32 v193, v100, 16, 2
	;; [unrolled: 1-line block ×3, first 2 shown]
	v_bfe_i32 v110, v57, 8, 8
	v_bfe_i32 v112, v57, 16, 8
	s_set_vgpr_msb 64                       ;  msbs: dst=1 src0=0 src1=0 src2=0
	v_dual_ashrrev_i32 v197 /*v453*/, 24, v57 :: v_dual_ashrrev_i32 v5 /*v261*/, 24, v58
	v_bfe_i32 v115 /*v371*/, v52, 0, 8
	s_set_vgpr_msb 0                        ;  msbs: dst=0 src0=0 src1=0 src2=0
	v_bfe_i32 v92, v32, 0, 8
	v_bfe_i32 v100, v32, 8, 8
	s_set_vgpr_msb 64                       ;  msbs: dst=1 src0=0 src1=0 src2=0
	v_bfe_i32 v202 /*v458*/, v32, 16, 8
	s_set_vgpr_msb 0                        ;  msbs: dst=0 src0=0 src1=0 src2=0
	v_dual_ashrrev_i32 v116, 24, v32 :: v_dual_ashrrev_i32 v186, 24, v54
	s_set_vgpr_msb 64                       ;  msbs: dst=1 src0=0 src1=0 src2=0
	v_dual_ashrrev_i32 v132 /*v388*/, 24, v33 :: v_dual_ashrrev_i32 v92 /*v348*/, 24, v12
	v_bfe_i32 v101 /*v357*/, v12, 0, 8
	v_bfe_i32 v93 /*v349*/, v12, 8, 8
	;; [unrolled: 1-line block ×3, first 2 shown]
	v_dual_ashrrev_i32 v94 /*v350*/, 24, v13 :: v_dual_ashrrev_i32 v155 /*v411*/, 24, v44
	v_bfe_i32 v24 /*v280*/, v14, 0, 8
	v_bfe_i32 v25 /*v281*/, v14, 8, 8
	s_set_vgpr_msb 0                        ;  msbs: dst=0 src0=0 src1=0 src2=0
	v_bfe_i32 v184, v14, 16, 8
	v_dual_ashrrev_i32 v32, 24, v51 :: v_dual_ashrrev_i32 v185, 24, v14
	s_set_vgpr_msb 64                       ;  msbs: dst=1 src0=0 src1=0 src2=0
	v_dual_ashrrev_i32 v75 /*v331*/, 24, v49 :: v_dual_ashrrev_i32 v67 /*v323*/, 24, v20
	v_bfe_i32 v156 /*v412*/, v44, 0, 8
	v_bfe_i32 v157 /*v413*/, v44, 8, 8
	;; [unrolled: 1-line block ×3, first 2 shown]
	s_set_vgpr_msb 0                        ;  msbs: dst=0 src0=0 src1=0 src2=0
	v_bfe_i32 v202, v16, 8, 8
	v_bfe_i32 v12, v17, 8, 8
	;; [unrolled: 1-line block ×4, first 2 shown]
	s_set_vgpr_msb 64                       ;  msbs: dst=1 src0=0 src1=0 src2=0
	v_bfe_i32 v69 /*v325*/, v20, 0, 8
	v_bfe_i32 v53 /*v309*/, v20, 8, 8
	v_bfe_i32 v56 /*v312*/, v20, 16, 8
	s_set_vgpr_msb 1                        ;  msbs: dst=0 src0=1 src1=0 src2=0
	v_mul_lo_u32 v20, 0x1010101, v103
	v_add_nc_u32_e32 v14, v126 /*v382*/, v203
	v_lshrrev_b16 v103, 8, v4
	s_set_vgpr_msb 64                       ;  msbs: dst=1 src0=0 src1=0 src2=0
	v_bfe_i32 v49 /*v305*/, v5, 0, 8
	s_set_vgpr_msb 0                        ;  msbs: dst=0 src0=0 src1=0 src2=0
	v_mul_i32_i24_e32 v5, v106, v134
	v_lshrrev_b16 v131, 8, v109
	v_dual_lshrrev_b32 v161, 16, v117 :: v_dual_ashrrev_i32 v127, s17, v188
	v_dual_ashrrev_i32 v191, s17, v168 :: v_dual_bitop2_b32 v125, 3, v115 bitop3:0x40
	s_set_vgpr_msb 64                       ;  msbs: dst=1 src0=0 src1=0 src2=0
	v_bfe_i32 v110 /*v366*/, v52, 8, 8
	v_bfe_i32 v104 /*v360*/, v52, 16, 8
	v_dual_ashrrev_i32 v58 /*v314*/, 24, v52 :: v_dual_ashrrev_i32 v60 /*v316*/, 24, v53
	s_set_vgpr_msb 0                        ;  msbs: dst=0 src0=0 src1=0 src2=0
	v_bfe_i32 v247, v27, 0, 8
	v_bfe_i32 v200, v8, 16, 8
	s_set_vgpr_msb 64                       ;  msbs: dst=1 src0=0 src1=0 src2=0
	v_bfe_i32 v135 /*v391*/, v9, 16, 8
	s_set_vgpr_msb 0                        ;  msbs: dst=0 src0=0 src1=0 src2=0
	v_ashrrev_i32_e32 v188, 24, v10
	s_set_vgpr_msb 64                       ;  msbs: dst=1 src0=0 src1=0 src2=0
	v_bfe_i32 v73 /*v329*/, v49, 16, 8
	v_bfe_i32 v90 /*v346*/, v49, 8, 8
	;; [unrolled: 1-line block ×3, first 2 shown]
	v_dual_ashrrev_i32 v127 /*v383*/, 24, v17 :: v_dual_ashrrev_i32 v63 /*v319*/, 24, v28
	v_bfe_i32 v29 /*v285*/, v18, 8, 8
	s_set_vgpr_msb 0                        ;  msbs: dst=0 src0=0 src1=0 src2=0
	v_bfe_i32 v248, v19, 8, 8
	s_set_vgpr_msb 64                       ;  msbs: dst=1 src0=0 src1=0 src2=0
	v_bfe_i32 v62 /*v318*/, v28, 0, 8
	v_bfe_i32 v77 /*v333*/, v28, 8, 8
	;; [unrolled: 1-line block ×3, first 2 shown]
	v_mul_lo_u32 v188 /*v444*/, 0x1010101, v102
	s_set_vgpr_msb 0                        ;  msbs: dst=0 src0=0 src1=0 src2=0
	v_and_b32_e32 v102, 3, v139
	v_bfe_i32 v253, v27, 8, 8
	v_bfe_i32 v28, v27, 16, 8
	v_ashrrev_i32_e32 v27, 24, v27
	s_set_vgpr_msb 64                       ;  msbs: dst=1 src0=0 src1=0 src2=0
	v_bfe_u32 v45 /*v301*/, v139, 24, 2
	v_bfe_u32 v140 /*v396*/, v139, 16, 2
	s_set_vgpr_msb 0                        ;  msbs: dst=0 src0=0 src1=0 src2=0
	v_ashrrev_i32_e32 v49, 24, v6
	s_set_vgpr_msb 64                       ;  msbs: dst=1 src0=0 src1=0 src2=0
	v_add3_u32 v170 /*v426*/, v14, v180, v44
	s_set_vgpr_msb 0                        ;  msbs: dst=0 src0=0 src1=0 src2=0
	v_add_nc_u32_e32 v14, v12, v202
	v_bfe_u32 v109, v135, 16, 2
	s_set_vgpr_msb 64                       ;  msbs: dst=1 src0=0 src1=0 src2=0
	v_bfe_u32 v167 /*v423*/, v135, 24, 2
	s_set_vgpr_msb 0                        ;  msbs: dst=0 src0=0 src1=0 src2=0
	v_bfe_u32 v190, v135, 8, 2
	s_set_vgpr_msb 64                       ;  msbs: dst=1 src0=0 src1=0 src2=0
	v_bfe_u32 v143 /*v399*/, v139, 8, 2
	s_set_vgpr_msb 0                        ;  msbs: dst=0 src0=0 src1=0 src2=0
	v_mul_i32_i24_e32 v135, v119, v112
	s_set_vgpr_msb 4                        ;  msbs: dst=0 src0=0 src1=1 src2=0
	v_mul_i32_i24_e32 v139, v121, v197 /*v453*/
	s_set_vgpr_msb 64                       ;  msbs: dst=1 src0=0 src1=0 src2=0
	v_bfe_i32 v166 /*v422*/, v103, 0, 8
	s_set_vgpr_msb 4                        ;  msbs: dst=0 src0=0 src1=1 src2=0
	v_mul_i32_i24_e32 v103, v192, v115 /*v371*/
	s_set_vgpr_msb 0                        ;  msbs: dst=0 src0=0 src1=0 src2=0
	v_mad_i32_i24 v5, v81, v110, v5
	s_set_vgpr_msb 64                       ;  msbs: dst=1 src0=0 src1=0 src2=0
	v_dual_ashrrev_i32 v148 /*v404*/, s17, v178 :: v_dual_bitop2_b32 v149 /*v405*/, 15, v108 bitop3:0x40
	s_set_vgpr_msb 0                        ;  msbs: dst=0 src0=0 src1=0 src2=0
	v_cvt_f32_f16_e64 v164, v117
	s_set_vgpr_msb 64                       ;  msbs: dst=1 src0=0 src1=0 src2=0
	v_dual_ashrrev_i32 v146 /*v402*/, s17, v187 :: v_dual_ashrrev_i32 v138 /*v394*/, s17, v174
	s_set_vgpr_msb 0                        ;  msbs: dst=0 src0=0 src1=0 src2=0
	v_bfe_i32 v128, v56, 0, 8
	s_set_vgpr_msb 64                       ;  msbs: dst=1 src0=0 src1=0 src2=0
	v_bfe_i32 v118 /*v374*/, v53, 0, 8
	v_bfe_i32 v112 /*v368*/, v53, 8, 8
	;; [unrolled: 1-line block ×3, first 2 shown]
	v_dual_ashrrev_i32 v2 /*v258*/, 24, v62 :: v_dual_ashrrev_i32 v105 /*v361*/, 24, v40
	v_bfe_i32 v3 /*v259*/, v63, 0, 8
	s_set_vgpr_msb 0                        ;  msbs: dst=0 src0=0 src1=0 src2=0
	v_bfe_i32 v238, v63, 8, 8
	s_set_vgpr_msb 64                       ;  msbs: dst=1 src0=0 src1=0 src2=0
	v_bfe_i32 v113 /*v369*/, v40, 0, 8
	v_bfe_i32 v107 /*v363*/, v40, 8, 8
	;; [unrolled: 1-line block ×3, first 2 shown]
	s_set_vgpr_msb 0                        ;  msbs: dst=0 src0=0 src1=0 src2=0
	v_bfe_i32 v101, v33, 0, 8
	v_bfe_i32 v124, v33, 8, 8
	s_set_vgpr_msb 64                       ;  msbs: dst=1 src0=0 src1=0 src2=0
	v_bfe_i32 v131 /*v387*/, v33, 16, 8
	v_bfe_i32 v102 /*v358*/, v25, 0, 8
	;; [unrolled: 1-line block ×6, first 2 shown]
	s_set_vgpr_msb 0                        ;  msbs: dst=0 src0=0 src1=0 src2=0
	v_bfe_i32 v117, v8, 0, 8
	v_bfe_i32 v201, v8, 8, 8
	v_dual_ashrrev_i32 v118, 24, v8 :: v_dual_ashrrev_i32 v52, 24, v63
	v_bfe_i32 v144, v9, 8, 8
	v_bfe_i32 v236, v10, 16, 8
	;; [unrolled: 1-line block ×5, first 2 shown]
	s_set_vgpr_msb 64                       ;  msbs: dst=1 src0=0 src1=0 src2=0
	v_bfe_i32 v40 /*v296*/, v51, 8, 8
	v_bfe_i32 v42 /*v298*/, v51, 0, 8
	v_dual_ashrrev_i32 v68 /*v324*/, 24, v21 :: v_dual_ashrrev_i32 v162 /*v418*/, 24, v4
	v_dual_ashrrev_i32 v65 /*v321*/, 24, v25 :: v_dual_ashrrev_i32 v48 /*v304*/, 24, v3
	s_set_vgpr_msb 0                        ;  msbs: dst=0 src0=0 src1=0 src2=0
	v_bfe_i32 v174, v26, 16, 8
	v_ashrrev_i32_e32 v178, 24, v26
	v_bfe_i32 v254, v31, 8, 8
	v_bfe_i32 v26, v31, 16, 8
	v_ashrrev_i32_e32 v25, 24, v31
	v_bfe_i32 v255, v31, 0, 8
	v_dual_ashrrev_i32 v31, 24, v15 :: v_dual_ashrrev_i32 v168, 24, v2
	s_set_vgpr_msb 0x44                     ;  msbs: dst=1 src0=0 src1=1 src2=0
	v_add3_u32 v171 /*v427*/, v14, v29 /*v285*/, v248
	s_set_vgpr_msb 1                        ;  msbs: dst=0 src0=1 src1=0 src2=0
	v_add_nc_u32_e32 v14, v135 /*v391*/, v200
	s_set_vgpr_msb 64                       ;  msbs: dst=1 src0=0 src1=0 src2=0
	v_lshrrev_b16 v159 /*v415*/, 8, v6
	v_bfe_i32 v164 /*v420*/, v4, 0, 8
	v_bfe_i32 v163 /*v419*/, v4, 16, 8
	v_bfe_u32 v141 /*v397*/, v127, 16, 2
	v_bfe_u32 v46 /*v302*/, v127, 24, 2
	s_set_vgpr_msb 0                        ;  msbs: dst=0 src0=0 src1=0 src2=0
	v_bfe_i32 v51, v6, 16, 8
	s_set_vgpr_msb 64                       ;  msbs: dst=1 src0=0 src1=0 src2=0
	v_bfe_i32 v41 /*v297*/, v6, 0, 8
	s_set_vgpr_msb 0                        ;  msbs: dst=0 src0=0 src1=0 src2=0
	v_bfe_u32 v152, v191, 16, 2
	v_lshrrev_b16 v4, 8, v1
	s_set_vgpr_msb 64                       ;  msbs: dst=1 src0=0 src1=0 src2=0
	v_lshrrev_b16 v71 /*v327*/, 8, v2
	v_bfe_i32 v79 /*v335*/, v1, 16, 8
	v_bfe_i32 v85 /*v341*/, v1, 0, 8
	v_dual_ashrrev_i32 v86 /*v342*/, 24, v1 :: v_dual_bitop2_b32 v191 /*v447*/, 3, v143 bitop3:0x40
	s_set_vgpr_msb 0                        ;  msbs: dst=0 src0=0 src1=0 src2=0
	v_bfe_i32 v63, v2, 16, 8
	s_set_vgpr_msb 64                       ;  msbs: dst=1 src0=0 src1=0 src2=0
	v_bfe_i32 v19 /*v275*/, v2, 0, 8
	s_set_vgpr_msb 0                        ;  msbs: dst=0 src0=0 src1=0 src2=0
	v_bfe_u32 v1, v191, 24, 2
	v_and_b32_e32 v2, 3, v127
	s_set_vgpr_msb 64                       ;  msbs: dst=1 src0=0 src1=0 src2=0
	v_bfe_u32 v144 /*v400*/, v127, 8, 2
	s_set_vgpr_msb 4                        ;  msbs: dst=0 src0=0 src1=1 src2=0
	v_mul_i32_i24_e32 v6, v194, v58 /*v314*/
	v_mul_i32_i24_e32 v127, v193, v104 /*v360*/
	s_set_vgpr_msb 64                       ;  msbs: dst=1 src0=0 src1=0 src2=0
	v_dual_add_nc_u32 v195 /*v451*/, v144, v201 :: v_dual_bitop2_b32 v193 /*v449*/, 3, v191 bitop3:0x40
	v_bfe_u32 v194 /*v450*/, v191, 8, 2
	s_set_vgpr_msb 0                        ;  msbs: dst=0 src0=0 src1=0 src2=0
	v_mul_i32_i24_e32 v191, v93, v92
	s_set_vgpr_msb 64                       ;  msbs: dst=1 src0=0 src1=0 src2=0
	v_add3_u32 v236 /*v492*/, v5, v135, v139
	s_set_vgpr_msb 4                        ;  msbs: dst=0 src0=0 src1=1 src2=0
	v_mad_i32_i24 v5, v199, v110 /*v366*/, v103
	s_set_vgpr_msb 64                       ;  msbs: dst=1 src0=0 src1=0 src2=0
	v_add3_u32 v172 /*v428*/, v14, v236, v40
	v_bfe_u32 v117 /*v373*/, v141, 16, 2
	v_bfe_u32 v121 /*v377*/, v141, 24, 2
	;; [unrolled: 1-line block ×5, first 2 shown]
	s_set_vgpr_msb 0                        ;  msbs: dst=0 src0=0 src1=0 src2=0
	v_bfe_u32 v14, v133, 8, 2
	s_set_vgpr_msb 64                       ;  msbs: dst=1 src0=0 src1=0 src2=0
	v_and_b32_e32 v206 /*v462*/, 3, v141
	s_set_vgpr_msb 1                        ;  msbs: dst=0 src0=1 src1=0 src2=0
	v_mul_i32_i24_e32 v141, v50 /*v306*/, v116
	s_set_vgpr_msb 64                       ;  msbs: dst=1 src0=0 src1=0 src2=0
	v_and_b32_e32 v208 /*v464*/, 3, v133
	s_set_vgpr_msb 4                        ;  msbs: dst=0 src0=0 src1=1 src2=0
	v_mul_i32_i24_e32 v133, v129, v202 /*v458*/
	s_set_vgpr_msb 64                       ;  msbs: dst=1 src0=0 src1=0 src2=0
	v_mul_i32_i24_e32 v214 /*v470*/, v93, v117
	v_add3_u32 v237 /*v493*/, v5, v127, v6
	s_set_vgpr_msb 0                        ;  msbs: dst=0 src0=0 src1=0 src2=0
	v_mad_i32_i24 v127, v123, v100, v191
	s_set_vgpr_msb 64                       ;  msbs: dst=1 src0=0 src1=0 src2=0
	v_bfe_i32 v51 /*v307*/, v24, 16, 8
	v_bfe_i32 v72 /*v328*/, v48, 16, 8
	;; [unrolled: 1-line block ×3, first 2 shown]
	s_set_vgpr_msb 0x41                     ;  msbs: dst=1 src0=1 src1=0 src2=0
	v_mul_i32_i24_e32 v181 /*v437*/, v50 /*v306*/, v118
	s_set_vgpr_msb 64                       ;  msbs: dst=1 src0=0 src1=0 src2=0
	v_mul_i32_i24_e32 v215 /*v471*/, v129, v200
	s_set_vgpr_msb 0x44                     ;  msbs: dst=1 src0=0 src1=1 src2=0
	v_mul_i32_i24_e32 v216 /*v472*/, v192, v101 /*v357*/
	s_set_vgpr_msb 64                       ;  msbs: dst=1 src0=0 src1=0 src2=0
	v_add3_u32 v243 /*v499*/, v127, v133, v141
	s_set_vgpr_msb 16                       ;  msbs: dst=0 src0=0 src1=0 src2=1
	v_mad_i32_i24 v127, v123, v201, v214 /*v470*/
	s_set_vgpr_msb 64                       ;  msbs: dst=1 src0=0 src1=0 src2=0
	v_bfe_i32 v81 /*v337*/, v48, 0, 8
	v_dual_ashrrev_i32 v123 /*v379*/, 24, v37 :: v_dual_ashrrev_i32 v83 /*v339*/, 24, v0
	v_dual_ashrrev_i32 v66 /*v322*/, 24, v29 :: v_dual_bitop2_b32 v205 /*v461*/, 3, v147 bitop3:0x40
	v_bfe_u32 v120 /*v376*/, v147, 16, 2
	v_bfe_i32 v84 /*v340*/, v0, 0, 8
	s_set_vgpr_msb 0x44                     ;  msbs: dst=1 src0=0 src1=1 src2=0
	v_mul_i32_i24_e32 v175 /*v431*/, v193, v76 /*v332*/
	v_mul_i32_i24_e32 v177 /*v433*/, v193, v54 /*v310*/
	s_set_vgpr_msb 4                        ;  msbs: dst=0 src0=0 src1=1 src2=0
	v_mul_i32_i24_e32 v0, v193, v51 /*v307*/
	s_set_vgpr_msb 0x44                     ;  msbs: dst=1 src0=0 src1=1 src2=0
	v_bfe_u32 v124 /*v380*/, v147, 24, 2
	v_mul_i32_i24_e32 v180 /*v436*/, v194, v92 /*v348*/
	v_bfe_u32 v209 /*v465*/, v147, 8, 2
	s_set_vgpr_msb 4                        ;  msbs: dst=0 src0=0 src1=1 src2=0
	v_mul_i32_i24_e32 v147, v193, v96 /*v352*/
	s_set_vgpr_msb 0x44                     ;  msbs: dst=1 src0=0 src1=1 src2=0
	v_mul_i32_i24_e32 v217 /*v473*/, v193, v88 /*v344*/
	v_mul_i32_i24_e32 v218 /*v474*/, v93, v156 /*v412*/
	;; [unrolled: 1-line block ×4, first 2 shown]
	s_set_vgpr_msb 20                       ;  msbs: dst=0 src0=0 src1=1 src2=1
	v_add3_u32 v193, v127, v215 /*v471*/, v181 /*v437*/
	v_mad_i32_i24 v127, v199, v93 /*v349*/, v216 /*v472*/
	s_set_vgpr_msb 64                       ;  msbs: dst=1 src0=0 src1=0 src2=0
	v_bfe_i32 v100 /*v356*/, v24, 0, 8
	s_set_vgpr_msb 0                        ;  msbs: dst=0 src0=0 src1=0 src2=0
	v_bfe_i32 v8, v9, 0, 8
	s_set_vgpr_msb 64                       ;  msbs: dst=1 src0=0 src1=0 src2=0
	v_dual_ashrrev_i32 v136 /*v392*/, 24, v9 :: v_dual_ashrrev_i32 v74 /*v330*/, 24, v48
	v_bfe_i32 v89 /*v345*/, v48, 8, 8
	s_set_vgpr_msb 0                        ;  msbs: dst=0 src0=0 src1=0 src2=0
	v_bfe_i32 v9, v16, 0, 8
	s_set_vgpr_msb 5                        ;  msbs: dst=0 src0=1 src1=1 src2=0
	v_mul_i32_i24_e32 v210, v50 /*v306*/, v155 /*v411*/
	s_set_vgpr_msb 0x44                     ;  msbs: dst=1 src0=0 src1=1 src2=0
	v_mul_i32_i24_e32 v219 /*v475*/, v129, v154 /*v410*/
	v_mul_i32_i24_e32 v220 /*v476*/, v192, v81 /*v337*/
	s_set_vgpr_msb 20                       ;  msbs: dst=0 src0=0 src1=1 src2=1
	v_add3_u32 v191, v127, v217 /*v473*/, v180 /*v436*/
	v_mad_i32_i24 v127, v123, v157 /*v413*/, v218 /*v474*/
	s_set_vgpr_msb 64                       ;  msbs: dst=1 src0=0 src1=0 src2=0
	v_bfe_i32 v17 /*v273*/, v34, 0, 8
	v_bfe_i32 v18 /*v274*/, v34, 8, 8
	s_set_vgpr_msb 0                        ;  msbs: dst=0 src0=0 src1=0 src2=0
	v_bfe_i32 v245, v34, 16, 8
	v_dual_ashrrev_i32 v34, 24, v47 :: v_dual_ashrrev_i32 v104, 24, v16
	v_dual_ashrrev_i32 v183, 24, v22 :: v_dual_ashrrev_i32 v140, 24, v36
	v_bfe_i32 v132, v36, 0, 8
	v_bfe_i32 v16, v36, 8, 8
	;; [unrolled: 1-line block ×5, first 2 shown]
	s_set_vgpr_msb 64                       ;  msbs: dst=1 src0=0 src1=0 src2=0
	v_bfe_i32 v122 /*v378*/, v37, 16, 8
	s_set_vgpr_msb 0                        ;  msbs: dst=0 src0=0 src1=0 src2=0
	v_bfe_i32 v249, v39, 8, 8
	v_dual_ashrrev_i32 v48, 24, v38 :: v_dual_ashrrev_i32 v36, 24, v39
	v_bfe_i32 v252, v39, 0, 8
	s_set_vgpr_msb 64                       ;  msbs: dst=1 src0=0 src1=0 src2=0
	v_bfe_i32 v64 /*v320*/, v29, 0, 8
	v_bfe_i32 v78 /*v334*/, v29, 8, 8
	;; [unrolled: 1-line block ×3, first 2 shown]
	s_set_vgpr_msb 0                        ;  msbs: dst=0 src0=0 src1=0 src2=0
	v_bfe_i32 v37, v39, 16, 8
	v_ashrrev_i32_e32 v29, 24, v11
	s_set_vgpr_msb 64                       ;  msbs: dst=1 src0=0 src1=0 src2=0
	v_bfe_u32 v139 /*v395*/, v145, 16, 2
	v_lshrrev_b16 v111 /*v367*/, 8, v3
	s_set_vgpr_msb 0                        ;  msbs: dst=0 src0=0 src1=0 src2=0
	v_bfe_i32 v39, v3, 16, 8
	s_set_vgpr_msb 64                       ;  msbs: dst=1 src0=0 src1=0 src2=0
	v_bfe_i32 v44 /*v300*/, v3, 0, 8
	s_set_vgpr_msb 4                        ;  msbs: dst=0 src0=0 src1=1 src2=0
	v_mul_i32_i24_e32 v209, v194, v74 /*v330*/
	s_set_vgpr_msb 64                       ;  msbs: dst=1 src0=0 src1=0 src2=0
	v_bfe_u32 v47 /*v303*/, v145, 24, 2
	s_set_vgpr_msb 0                        ;  msbs: dst=0 src0=0 src1=0 src2=0
	v_and_b32_e32 v3, 3, v145
	s_set_vgpr_msb 64                       ;  msbs: dst=1 src0=0 src1=0 src2=0
	v_bfe_u32 v142 /*v398*/, v145, 8, 2
	s_set_vgpr_msb 4                        ;  msbs: dst=0 src0=0 src1=1 src2=0
	v_mul_i32_i24_e32 v145, v192, v113 /*v369*/
	s_set_vgpr_msb 0x44                     ;  msbs: dst=1 src0=0 src1=1 src2=0
	v_mul_i32_i24_e32 v213 /*v469*/, v192, v100 /*v356*/
	s_set_vgpr_msb 64                       ;  msbs: dst=1 src0=0 src1=0 src2=0
	v_mul_i32_i24_e32 v222 /*v478*/, v93, v9
	s_set_vgpr_msb 0x44                     ;  msbs: dst=1 src0=0 src1=1 src2=0
	v_mul_i32_i24_e32 v225 /*v481*/, v192, v69 /*v325*/
	s_set_vgpr_msb 4                        ;  msbs: dst=0 src0=0 src1=1 src2=0
	v_mul_i32_i24_e32 v135, v192, v62 /*v318*/
	s_set_vgpr_msb 0x44                     ;  msbs: dst=1 src0=0 src1=1 src2=0
	v_mul_i32_i24_e32 v233 /*v489*/, v192, v84 /*v340*/
	s_set_vgpr_msb 4                        ;  msbs: dst=0 src0=0 src1=1 src2=0
	v_add3_u32 v192, v127, v219 /*v475*/, v210
	s_set_vgpr_msb 20                       ;  msbs: dst=0 src0=0 src1=1 src2=1
	v_mad_i32_i24 v127, v199, v89 /*v345*/, v220 /*v476*/
	s_set_vgpr_msb 64                       ;  msbs: dst=1 src0=0 src1=0 src2=0
	v_mul_i32_i24_e32 v223 /*v479*/, v129, v203
	s_set_vgpr_msb 0x41                     ;  msbs: dst=1 src0=1 src1=0 src2=0
	v_mul_i32_i24_e32 v224 /*v480*/, v50 /*v306*/, v104
	s_set_vgpr_msb 0                        ;  msbs: dst=0 src0=0 src1=0 src2=0
	v_bfe_i32 v120, v60, 0, 8
	s_set_vgpr_msb 64                       ;  msbs: dst=1 src0=0 src1=0 src2=0
	v_dual_ashrrev_i32 v87 /*v343*/, 24, v45 :: v_dual_ashrrev_i32 v61 /*v317*/, 24, v24
	s_set_vgpr_msb 4                        ;  msbs: dst=0 src0=0 src1=1 src2=0
	v_add3_u32 v209, v127, v221 /*v477*/, v209
	s_set_vgpr_msb 16                       ;  msbs: dst=0 src0=0 src1=0 src2=1
	v_mad_i32_i24 v127, v123, v202, v222 /*v478*/
	s_set_vgpr_msb 0x44                     ;  msbs: dst=1 src0=0 src1=1 src2=0
	v_mul_i32_i24_e32 v179 /*v435*/, v194, v67 /*v323*/
	s_set_vgpr_msb 64                       ;  msbs: dst=1 src0=0 src1=0 src2=0
	v_mul_i32_i24_e32 v228 /*v484*/, v93, v132
	s_set_vgpr_msb 0                        ;  msbs: dst=0 src0=0 src1=0 src2=0
	v_bfe_i32 v126, v60, 8, 8
	s_set_vgpr_msb 64                       ;  msbs: dst=1 src0=0 src1=0 src2=0
	v_bfe_i32 v199 /*v455*/, v60, 16, 8
	s_set_vgpr_msb 20                       ;  msbs: dst=0 src0=0 src1=1 src2=1
	v_add3_u32 v210, v127, v223 /*v479*/, v224 /*v480*/
	v_mad_i32_i24 v127, v199, v53 /*v309*/, v225 /*v481*/
	s_set_vgpr_msb 64                       ;  msbs: dst=1 src0=0 src1=0 src2=0
	v_dual_ashrrev_i32 v198 /*v454*/, 24, v60 :: v_dual_ashrrev_i32 v130 /*v386*/, 24, v61
	v_bfe_i32 v98 /*v354*/, v24, 8, 8
	s_set_vgpr_msb 0                        ;  msbs: dst=0 src0=0 src1=0 src2=0
	v_bfe_u32 v137, v143, 24, 2
	v_bfe_u32 v154, v143, 16, 2
	s_set_vgpr_msb 64                       ;  msbs: dst=1 src0=0 src1=0 src2=0
	v_mul_i32_i24_e32 v178 /*v434*/, v129, v138
	s_set_vgpr_msb 0x44                     ;  msbs: dst=1 src0=0 src1=1 src2=0
	v_mul_i32_i24_e32 v182 /*v438*/, v194, v105 /*v361*/
	v_bfe_u32 v192 /*v448*/, v143, 8, 2
	s_set_vgpr_msb 0                        ;  msbs: dst=0 src0=0 src1=0 src2=0
	v_mul_i32_i24_e32 v143, v93, v120
	s_set_vgpr_msb 0x41                     ;  msbs: dst=1 src0=1 src1=0 src2=0
	v_mul_i32_i24_e32 v229 /*v485*/, v50 /*v306*/, v140
	s_set_vgpr_msb 0x44                     ;  msbs: dst=1 src0=0 src1=1 src2=0
	v_mul_i32_i24_e32 v230 /*v486*/, v194, v61 /*v317*/
	v_mul_i32_i24_e32 v231 /*v487*/, v194, v63 /*v319*/
	v_mul_i32_i24_e32 v232 /*v488*/, v194, v83 /*v339*/
	s_set_vgpr_msb 20                       ;  msbs: dst=0 src0=0 src1=1 src2=1
	v_add3_u32 v194, v127, v226 /*v482*/, v179 /*v435*/
	s_set_vgpr_msb 16                       ;  msbs: dst=0 src0=0 src1=0 src2=1
	v_mad_i32_i24 v127, v123, v16, v228 /*v484*/
	s_set_vgpr_msb 0x44                     ;  msbs: dst=1 src0=0 src1=1 src2=0
	v_mul_i32_i24_e32 v187 /*v443*/, v129, v199 /*v455*/
	s_set_vgpr_msb 0x45                     ;  msbs: dst=1 src0=1 src1=1 src2=0
	v_mul_i32_i24_e32 v189 /*v445*/, v50 /*v306*/, v198 /*v454*/
	s_set_vgpr_msb 1                        ;  msbs: dst=0 src0=1 src1=0 src2=0
	v_mul_i32_i24_e32 v139, v164 /*v420*/, v93
	s_set_vgpr_msb 64                       ;  msbs: dst=1 src0=0 src1=0 src2=0
	v_bfe_i32 v169 /*v425*/, v195, 0, 8
	s_set_vgpr_msb 0                        ;  msbs: dst=0 src0=0 src1=0 src2=0
	v_mad_i32_i24 v103, v123, v126, v143
	s_set_vgpr_msb 20                       ;  msbs: dst=0 src0=0 src1=1 src2=1
	v_add3_u32 v195, v127, v178 /*v434*/, v229 /*v485*/
	v_mad_i32_i24 v127, v199, v98 /*v354*/, v213 /*v469*/
	s_set_vgpr_msb 5                        ;  msbs: dst=0 src0=1 src1=1 src2=0
	v_mul_i32_i24_e32 v141, v190 /*v446*/, v115 /*v371*/
	s_set_vgpr_msb 4                        ;  msbs: dst=0 src0=0 src1=1 src2=0
	v_mul_i32_i24_e32 v233, v109, v104 /*v360*/
	s_set_vgpr_msb 0x45                     ;  msbs: dst=1 src0=1 src1=1 src2=0
	v_mul_i32_i24_e32 v168 /*v424*/, v167 /*v423*/, v58 /*v314*/
	s_set_vgpr_msb 0x54                     ;  msbs: dst=1 src0=0 src1=1 src2=1
	v_add3_u32 v189 /*v445*/, v103, v187 /*v443*/, v189 /*v445*/
	s_set_vgpr_msb 4                        ;  msbs: dst=0 src0=0 src1=1 src2=0
	v_mad_i32_i24 v103, v199, v107 /*v363*/, v145
	s_set_vgpr_msb 16                       ;  msbs: dst=0 src0=0 src1=0 src2=1
	v_add3_u32 v0, v127, v0, v230 /*v486*/
	s_set_vgpr_msb 4                        ;  msbs: dst=0 src0=0 src1=1 src2=0
	v_mad_i32_i24 v127, v199, v77 /*v333*/, v135
	s_set_vgpr_msb 1                        ;  msbs: dst=0 src0=1 src1=0 src2=0
	v_mad_i32_i24 v133, v166 /*v422*/, v123, v139
	v_mul_i32_i24_e32 v139, v208 /*v464*/, v134
	s_set_vgpr_msb 20                       ;  msbs: dst=0 src0=0 src1=1 src2=1
	v_mad_i32_i24 v135, v199, v49 /*v305*/, v233 /*v489*/
	s_set_vgpr_msb 5                        ;  msbs: dst=0 src0=1 src1=1 src2=0
	v_mul_i32_i24_e32 v199, v191 /*v447*/, v115 /*v371*/
	s_set_vgpr_msb 4                        ;  msbs: dst=0 src0=0 src1=1 src2=0
	v_mad_i32_i24 v141, v190, v110 /*v366*/, v141
	s_set_vgpr_msb 0                        ;  msbs: dst=0 src0=0 src1=0 src2=0
	v_lshrrev_b16 v198, 8, v108
	s_set_vgpr_msb 64                       ;  msbs: dst=1 src0=0 src1=0 src2=0
	v_dual_ashrrev_i32 v137 /*v393*/, s17, v181 :: v_dual_ashrrev_i32 v31 /*v287*/, 24, v56
	v_bfe_i32 v133 /*v389*/, v56, 8, 8
	v_bfe_i32 v134 /*v390*/, v56, 16, 8
	s_set_vgpr_msb 0                        ;  msbs: dst=0 src0=0 src1=0 src2=0
	v_bfe_i32 v108, v58, 0, 8
	s_set_vgpr_msb 64                       ;  msbs: dst=1 src0=0 src1=0 src2=0
	v_bfe_i32 v35 /*v291*/, v58, 8, 8
	v_bfe_i32 v4 /*v260*/, v58, 16, 8
	;; [unrolled: 1-line block ×6, first 2 shown]
	s_set_vgpr_msb 0                        ;  msbs: dst=0 src0=0 src1=0 src2=0
	v_bfe_i32 v240, v54, 16, 8
	s_set_vgpr_msb 64                       ;  msbs: dst=1 src0=0 src1=0 src2=0
	v_bfe_i32 v10 /*v266*/, v55, 0, 8
	v_bfe_i32 v11 /*v267*/, v55, 8, 8
	s_set_vgpr_msb 0                        ;  msbs: dst=0 src0=0 src1=0 src2=0
	v_bfe_i32 v122, v61, 0, 8
	v_bfe_i32 v130, v61, 8, 8
	s_set_vgpr_msb 64                       ;  msbs: dst=1 src0=0 src1=0 src2=0
	v_bfe_i32 v128 /*v384*/, v61, 16, 8
	v_bfe_i32 v22 /*v278*/, v62, 0, 8
	;; [unrolled: 1-line block ×7, first 2 shown]
	v_dual_ashrrev_i32 v108 /*v364*/, 24, v41 :: v_dual_ashrrev_i32 v0 /*v256*/, 24, v42
	v_bfe_i32 v20 /*v276*/, v10, 0, 8
	v_bfe_i32 v21 /*v277*/, v10, 8, 8
	s_set_vgpr_msb 0                        ;  msbs: dst=0 src0=0 src1=0 src2=0
	v_bfe_i32 v189, v11, 0, 8
	v_bfe_i32 v187, v11, 8, 8
	s_set_vgpr_msb 64                       ;  msbs: dst=1 src0=0 src1=0 src2=0
	v_bfe_i32 v103 /*v359*/, v13, 0, 8
	s_set_vgpr_msb 0                        ;  msbs: dst=0 src0=0 src1=0 src2=0
	v_bfe_i32 v56, v59, 16, 8
	v_dual_ashrrev_i32 v57, 24, v59 :: v_dual_ashrrev_i32 v59, 24, v50
	s_set_vgpr_msb 64                       ;  msbs: dst=1 src0=0 src1=0 src2=0
	v_bfe_i32 v95 /*v351*/, v13, 8, 8
	v_bfe_i32 v91 /*v347*/, v13, 16, 8
	s_set_vgpr_msb 0                        ;  msbs: dst=0 src0=0 src1=0 src2=0
	v_bfe_i32 v54, v55, 16, 8
	v_dual_ashrrev_i32 v55, 24, v55 :: v_dual_ashrrev_i32 v58, 24, v46
	v_bfe_i32 v60, v50, 16, 8
	s_set_vgpr_msb 64                       ;  msbs: dst=1 src0=0 src1=0 src2=0
	v_bfe_i32 v12 /*v268*/, v50, 8, 8
	v_bfe_i32 v13 /*v269*/, v46, 0, 8
	s_set_vgpr_msb 0                        ;  msbs: dst=0 src0=0 src1=0 src2=0
	v_bfe_i32 v13, v46, 8, 8
	v_bfe_i32 v61, v46, 16, 8
	s_set_vgpr_msb 64                       ;  msbs: dst=1 src0=0 src1=0 src2=0
	v_bfe_i32 v37 /*v293*/, v47, 0, 8
	v_bfe_i32 v36 /*v292*/, v47, 8, 8
	s_set_vgpr_msb 0                        ;  msbs: dst=0 src0=0 src1=0 src2=0
	v_bfe_i32 v41, v47, 16, 8
	s_set_vgpr_msb 64                       ;  msbs: dst=1 src0=0 src1=0 src2=0
	v_bfe_i32 v14 /*v270*/, v50, 0, 8
	s_set_vgpr_msb 0                        ;  msbs: dst=0 src0=0 src1=0 src2=0
	v_bfe_i32 v10, v17, 0, 8
	s_set_vgpr_msb 64                       ;  msbs: dst=1 src0=0 src1=0 src2=0
	v_bfe_i32 v70 /*v326*/, v21, 0, 8
	v_bfe_i32 v55 /*v311*/, v21, 8, 8
	;; [unrolled: 1-line block ×5, first 2 shown]
	s_set_vgpr_msb 0                        ;  msbs: dst=0 src0=0 src1=0 src2=0
	v_bfe_i32 v182, v22, 16, 8
	v_bfe_i32 v246, v23, 0, 8
	;; [unrolled: 1-line block ×7, first 2 shown]
	v_dual_ashrrev_i32 v38, 24, v35 :: v_dual_ashrrev_i32 v62, 24, v30
	v_bfe_i32 v50, v30, 16, 8
	s_set_vgpr_msb 64                       ;  msbs: dst=1 src0=0 src1=0 src2=0
	v_bfe_i32 v38 /*v294*/, v30, 0, 8
	v_bfe_i32 v39 /*v295*/, v30, 8, 8
	s_set_vgpr_msb 0                        ;  msbs: dst=0 src0=0 src1=0 src2=0
	v_ashrrev_i32_e32 v11, 24, v23
	s_set_vgpr_msb 64                       ;  msbs: dst=1 src0=0 src1=0 src2=0
	v_lshrrev_b16 v161 /*v417*/, 8, v7
	s_set_vgpr_msb 0                        ;  msbs: dst=0 src0=0 src1=0 src2=0
	v_ashrrev_i32_e32 v23, 24, v7
	v_bfe_i32 v30, v7, 16, 8
	s_set_vgpr_msb 4                        ;  msbs: dst=0 src0=0 src1=1 src2=0
	v_mul_i32_i24_e32 v230, v154, v104 /*v360*/
	s_set_vgpr_msb 64                       ;  msbs: dst=1 src0=0 src1=0 src2=0
	v_bfe_i32 v43 /*v299*/, v7, 0, 8
	s_set_vgpr_msb 4                        ;  msbs: dst=0 src0=0 src1=1 src2=0
	v_mul_i32_i24_e32 v7, v137, v58 /*v314*/
	s_set_vgpr_msb 0x41                     ;  msbs: dst=1 src0=1 src1=0 src2=0
	v_mul_i32_i24_e32 v173 /*v429*/, v125 /*v381*/, v112
	s_set_vgpr_msb 0x45                     ;  msbs: dst=1 src0=1 src1=1 src2=0
	v_mul_i32_i24_e32 v174 /*v430*/, v129 /*v385*/, v197 /*v453*/
	s_set_vgpr_msb 0                        ;  msbs: dst=0 src0=0 src1=0 src2=0
	v_mad_i32_i24 v139, v14, v110, v139
	s_set_vgpr_msb 0x50                     ;  msbs: dst=1 src0=0 src1=0 src2=1
	v_add3_u32 v215 /*v471*/, v141, v233, v168 /*v424*/
	s_set_vgpr_msb 1                        ;  msbs: dst=0 src0=1 src1=0 src2=0
	v_mul_i32_i24_e32 v233, v205 /*v461*/, v134
	s_set_vgpr_msb 5                        ;  msbs: dst=0 src0=1 src1=1 src2=0
	v_mad_i32_i24 v141, v192 /*v448*/, v110 /*v366*/, v199
	s_set_vgpr_msb 1                        ;  msbs: dst=0 src0=1 src1=0 src2=0
	v_mul_i32_i24_e32 v229, v120 /*v376*/, v112
	s_set_vgpr_msb 0x50                     ;  msbs: dst=1 src0=0 src1=0 src2=1
	v_add3_u32 v240 /*v496*/, v103, v147, v182 /*v438*/
	s_set_vgpr_msb 5                        ;  msbs: dst=0 src0=1 src1=1 src2=0
	v_mul_i32_i24_e32 v145, v124 /*v380*/, v197 /*v453*/
	s_set_vgpr_msb 20                       ;  msbs: dst=0 src0=0 src1=1 src2=1
	v_add3_u32 v147, v139, v173 /*v429*/, v174 /*v430*/
	s_set_vgpr_msb 1                        ;  msbs: dst=0 src0=1 src1=0 src2=0
	v_mul_i32_i24_e32 v139, v206 /*v462*/, v134
	s_set_vgpr_msb 0x45                     ;  msbs: dst=1 src0=1 src1=1 src2=0
	v_mul_i32_i24_e32 v168 /*v424*/, v193 /*v449*/, v115 /*v371*/
	s_set_vgpr_msb 0                        ;  msbs: dst=0 src0=0 src1=0 src2=0
	v_add3_u32 v141, v141, v230, v7
	s_set_vgpr_msb 1                        ;  msbs: dst=0 src0=1 src1=0 src2=0
	v_mad_i32_i24 v7, v209 /*v465*/, v110, v233
	s_set_vgpr_msb 4                        ;  msbs: dst=0 src0=0 src1=1 src2=0
	v_mul_i32_i24_e32 v228, v152, v104 /*v360*/
	s_set_vgpr_msb 1                        ;  msbs: dst=0 src0=1 src1=0 src2=0
	v_mul_i32_i24_e32 v231, v117 /*v373*/, v112
	s_set_vgpr_msb 5                        ;  msbs: dst=0 src0=1 src1=1 src2=0
	v_mul_i32_i24_e32 v232, v121 /*v377*/, v197 /*v453*/
	s_set_vgpr_msb 4                        ;  msbs: dst=0 src0=0 src1=1 src2=0
	v_mul_i32_i24_e32 v143, v1, v58 /*v314*/
	s_set_vgpr_msb 1                        ;  msbs: dst=0 src0=1 src1=0 src2=0
	v_mad_i32_i24 v139, v204 /*v460*/, v110, v139
	s_set_vgpr_msb 0                        ;  msbs: dst=0 src0=0 src1=0 src2=0
	v_add3_u32 v7, v7, v229, v145
	s_set_vgpr_msb 21                       ;  msbs: dst=0 src0=1 src1=1 src2=1
	v_mad_i32_i24 v145, v194 /*v450*/, v110 /*v366*/, v168 /*v424*/
	v_mul_i32_i24_e32 v205, v139 /*v395*/, v199 /*v455*/
	v_mul_i32_i24_e32 v207, v141 /*v397*/, v199 /*v455*/
	s_set_vgpr_msb 0                        ;  msbs: dst=0 src0=0 src1=0 src2=0
	v_add3_u32 v139, v139, v231, v232
	v_mul_i32_i24_e32 v231, v2, v120
	v_add3_u32 v143, v145, v228, v143
	v_mul_i32_i24_e32 v228, v3, v120
	s_set_vgpr_msb 5                        ;  msbs: dst=0 src0=1 src1=1 src2=0
	v_mul_i32_i24_e32 v208, v46 /*v302*/, v198 /*v454*/
	s_set_vgpr_msb 0x45                     ;  msbs: dst=1 src0=1 src1=1 src2=0
	v_mul_i32_i24_e32 v221 /*v477*/, v47 /*v303*/, v198 /*v454*/
	v_mul_i32_i24_e32 v168 /*v424*/, v193 /*v449*/, v113 /*v369*/
	s_set_vgpr_msb 1                        ;  msbs: dst=0 src0=1 src1=0 src2=0
	v_mad_i32_i24 v145, v144 /*v400*/, v126, v231
	v_mad_i32_i24 v228, v142 /*v398*/, v126, v228
	s_set_vgpr_msb 0x41                     ;  msbs: dst=1 src0=1 src1=0 src2=0
	v_mul_i32_i24_e32 v176 /*v432*/, v163 /*v419*/, v129
	s_set_vgpr_msb 0x45                     ;  msbs: dst=1 src0=1 src1=1 src2=0
	v_mul_i32_i24_e32 v227 /*v483*/, v162 /*v418*/, v50 /*v306*/
	s_set_vgpr_msb 5                        ;  msbs: dst=0 src0=1 src1=1 src2=0
	v_mul_i32_i24_e32 v232, v190 /*v446*/, v113 /*v369*/
	s_set_vgpr_msb 0                        ;  msbs: dst=0 src0=0 src1=0 src2=0
	v_mul_i32_i24_e32 v230, v102, v120
	v_add3_u32 v145, v145, v207, v208
	s_set_vgpr_msb 4                        ;  msbs: dst=0 src0=0 src1=1 src2=0
	v_mul_i32_i24_e32 v207, v152, v96 /*v352*/
	v_mul_i32_i24_e32 v208, v1, v105 /*v361*/
	s_set_vgpr_msb 0x50                     ;  msbs: dst=1 src0=0 src1=0 src2=1
	v_add3_u32 v221 /*v477*/, v228, v205, v221 /*v477*/
	s_set_vgpr_msb 0                        ;  msbs: dst=0 src0=0 src1=0 src2=0
	v_mul_i32_i24_e32 v205, v3, v92
	s_set_vgpr_msb 0x55                     ;  msbs: dst=1 src0=1 src1=1 src2=1
	v_mad_i32_i24 v168 /*v424*/, v194 /*v450*/, v107 /*v363*/, v168 /*v424*/
	s_set_vgpr_msb 5                        ;  msbs: dst=0 src0=1 src1=1 src2=0
	v_mul_i32_i24_e32 v206, v140 /*v396*/, v199 /*v455*/
	s_set_vgpr_msb 20                       ;  msbs: dst=0 src0=0 src1=1 src2=1
	v_add3_u32 v127, v127, v177 /*v433*/, v231 /*v487*/
	s_set_vgpr_msb 0x45                     ;  msbs: dst=1 src0=1 src1=1 src2=0
	v_mul_i32_i24_e32 v177 /*v433*/, v45 /*v301*/, v198 /*v454*/
	v_mul_i32_i24_e32 v217 /*v473*/, v167 /*v423*/, v105 /*v361*/
	s_set_vgpr_msb 20                       ;  msbs: dst=0 src0=0 src1=1 src2=1
	v_add3_u32 v133, v133, v176 /*v432*/, v227 /*v483*/
	s_set_vgpr_msb 0x44                     ;  msbs: dst=1 src0=0 src1=1 src2=0
	v_mul_i32_i24_e32 v176 /*v432*/, v109, v96 /*v352*/
	s_set_vgpr_msb 0x45                     ;  msbs: dst=1 src0=1 src1=1 src2=0
	v_mul_i32_i24_e32 v173 /*v429*/, v191 /*v447*/, v113 /*v369*/
	s_set_vgpr_msb 4                        ;  msbs: dst=0 src0=0 src1=1 src2=0
	v_mad_i32_i24 v199, v190, v107 /*v363*/, v232
	s_set_vgpr_msb 0                        ;  msbs: dst=0 src0=0 src1=0 src2=0
	v_mul_i32_i24_e32 v231, v2, v92
	s_set_vgpr_msb 1                        ;  msbs: dst=0 src0=1 src1=0 src2=0
	v_mad_i32_i24 v230, v143 /*v399*/, v126, v230
	s_set_vgpr_msb 5                        ;  msbs: dst=0 src0=1 src1=1 src2=0
	v_mul_i32_i24_e32 v228, v139 /*v395*/, v202 /*v458*/
	s_set_vgpr_msb 0x41                     ;  msbs: dst=1 src0=1 src1=0 src2=0
	v_add3_u32 v224 /*v480*/, v168 /*v424*/, v207, v208
	s_set_vgpr_msb 1                        ;  msbs: dst=0 src0=1 src1=0 src2=0
	v_mul_i32_i24_e32 v207, v47 /*v303*/, v116
	v_mad_i32_i24 v205, v142 /*v398*/, v100, v205
	s_set_vgpr_msb 0x41                     ;  msbs: dst=1 src0=1 src1=0 src2=0
	v_mul_i32_i24_e32 v222 /*v478*/, v46 /*v302*/, v116
	s_set_vgpr_msb 0x45                     ;  msbs: dst=1 src0=1 src1=1 src2=0
	v_mul_i32_i24_e32 v213 /*v469*/, v141 /*v397*/, v202 /*v458*/
	s_set_vgpr_msb 20                       ;  msbs: dst=0 src0=0 src1=1 src2=1
	v_mul_i32_i24_e32 v229, v154, v96 /*v352*/
	v_mul_i32_i24_e32 v233, v137, v105 /*v361*/
	v_add3_u32 v199, v199, v176 /*v432*/, v217 /*v473*/
	s_set_vgpr_msb 0x50                     ;  msbs: dst=1 src0=0 src1=0 src2=1
	v_add3_u32 v217 /*v473*/, v230, v206, v177 /*v433*/
	s_set_vgpr_msb 0                        ;  msbs: dst=0 src0=0 src1=0 src2=0
	v_mul_i32_i24_e32 v230, v102, v92
	s_set_vgpr_msb 0x55                     ;  msbs: dst=1 src0=1 src1=1 src2=1
	v_mad_i32_i24 v173 /*v429*/, v192 /*v448*/, v107 /*v363*/, v173 /*v429*/
	s_set_vgpr_msb 0                        ;  msbs: dst=0 src0=0 src1=0 src2=0
	v_mul_i32_i24_e32 v208, v2, v117
	s_set_vgpr_msb 1                        ;  msbs: dst=0 src0=1 src1=0 src2=0
	v_mad_i32_i24 v231, v144 /*v400*/, v100, v231
	s_set_vgpr_msb 64                       ;  msbs: dst=1 src0=0 src1=0 src2=0
	v_add3_u32 v225 /*v481*/, v205, v228, v207
	s_set_vgpr_msb 0                        ;  msbs: dst=0 src0=0 src1=0 src2=0
	v_mul_i32_i24_e32 v205, v102, v117
	s_set_vgpr_msb 0x41                     ;  msbs: dst=1 src0=1 src1=0 src2=0
	v_mul_i32_i24_e32 v179 /*v435*/, v139 /*v395*/, v200
	v_mul_i32_i24_e32 v182 /*v438*/, v45 /*v301*/, v118
	v_add3_u32 v218 /*v474*/, v173 /*v429*/, v229, v233
	s_set_vgpr_msb 5                        ;  msbs: dst=0 src0=1 src1=1 src2=0
	v_mul_i32_i24_e32 v229, v140 /*v396*/, v202 /*v458*/
	s_set_vgpr_msb 1                        ;  msbs: dst=0 src0=1 src1=0 src2=0
	v_mul_i32_i24_e32 v233, v45 /*v301*/, v116
	s_set_vgpr_msb 0x54                     ;  msbs: dst=1 src0=0 src1=1 src2=1
	v_add3_u32 v228 /*v484*/, v231, v213 /*v469*/, v222 /*v478*/
	s_set_vgpr_msb 1                        ;  msbs: dst=0 src0=1 src1=0 src2=0
	v_mul_i32_i24_e32 v231, v141 /*v397*/, v200
	s_set_vgpr_msb 0x41                     ;  msbs: dst=1 src0=1 src1=0 src2=0
	v_mul_i32_i24_e32 v168 /*v424*/, v46 /*v302*/, v118
	s_set_vgpr_msb 1                        ;  msbs: dst=0 src0=1 src1=0 src2=0
	v_mad_i32_i24 v230, v143 /*v399*/, v100, v230
	v_mul_i32_i24_e32 v207, v140 /*v396*/, v200
	s_set_vgpr_msb 5                        ;  msbs: dst=0 src0=1 src1=1 src2=0
	v_mul_i32_i24_e32 v228, v191 /*v447*/, v101 /*v357*/
	s_set_vgpr_msb 1                        ;  msbs: dst=0 src0=1 src1=0 src2=0
	v_mad_i32_i24 v200, v144 /*v400*/, v201, v208
	v_mad_i32_i24 v205, v143 /*v399*/, v201, v205
	s_set_vgpr_msb 20                       ;  msbs: dst=0 src0=0 src1=1 src2=1
	v_mul_i32_i24_e32 v204, v137, v92 /*v348*/
	v_add3_u32 v135, v135, v175 /*v431*/, v232 /*v488*/
	s_set_vgpr_msb 64                       ;  msbs: dst=1 src0=0 src1=0 src2=0
	v_add3_u32 v230 /*v486*/, v230, v229, v233
	s_set_vgpr_msb 5                        ;  msbs: dst=0 src0=1 src1=1 src2=0
	v_mul_i32_i24_e32 v229, v190 /*v446*/, v101 /*v357*/
	s_set_vgpr_msb 0x50                     ;  msbs: dst=1 src0=0 src1=0 src2=1
	v_add3_u32 v232 /*v488*/, v200, v231, v168 /*v424*/
	s_set_vgpr_msb 4                        ;  msbs: dst=0 src0=0 src1=1 src2=0
	v_mul_i32_i24_e32 v208, v154, v88 /*v344*/
	s_set_vgpr_msb 0                        ;  msbs: dst=0 src0=0 src1=0 src2=0
	v_mul_i32_i24_e32 v231, v3, v117
	s_set_vgpr_msb 0x50                     ;  msbs: dst=1 src0=0 src1=0 src2=1
	v_add3_u32 v234 /*v490*/, v205, v207, v182 /*v438*/
	s_set_vgpr_msb 0                        ;  msbs: dst=0 src0=0 src1=0 src2=0
	v_mul_i32_i24_e32 v207, v2, v9
	s_set_vgpr_msb 5                        ;  msbs: dst=0 src0=1 src1=1 src2=0
	v_mad_i32_i24 v228, v192 /*v448*/, v93 /*v349*/, v228
	s_set_vgpr_msb 0x41                     ;  msbs: dst=1 src0=1 src1=0 src2=0
	v_mul_i32_i24_e32 v214 /*v470*/, v47 /*v303*/, v118
	s_set_vgpr_msb 0x45                     ;  msbs: dst=1 src0=1 src1=1 src2=0
	v_mul_i32_i24_e32 v178 /*v434*/, v167 /*v423*/, v92 /*v348*/
	s_set_vgpr_msb 4                        ;  msbs: dst=0 src0=0 src1=1 src2=0
	v_mul_i32_i24_e32 v230, v109, v88 /*v344*/
	v_mad_i32_i24 v200, v190, v93 /*v349*/, v229
	s_set_vgpr_msb 5                        ;  msbs: dst=0 src0=1 src1=1 src2=0
	v_mul_i32_i24_e32 v229, v193 /*v449*/, v101 /*v357*/
	s_set_vgpr_msb 64                       ;  msbs: dst=1 src0=0 src1=0 src2=0
	v_add3_u32 v222 /*v478*/, v228, v208, v204
	s_set_vgpr_msb 1                        ;  msbs: dst=0 src0=1 src1=0 src2=0
	v_mul_i32_i24_e32 v204, v141 /*v397*/, v203
	v_mul_i32_i24_e32 v208, v46 /*v302*/, v104
	v_mad_i32_i24 v201, v142 /*v398*/, v201, v231
	s_set_vgpr_msb 5                        ;  msbs: dst=0 src0=1 src1=1 src2=0
	v_mul_i32_i24_e32 v228, v190 /*v446*/, v69 /*v325*/
	s_set_vgpr_msb 1                        ;  msbs: dst=0 src0=1 src1=0 src2=0
	v_mad_i32_i24 v207, v144 /*v400*/, v202, v207
	s_set_vgpr_msb 0x45                     ;  msbs: dst=1 src0=1 src1=1 src2=0
	v_mul_i32_i24_e32 v187 /*v443*/, v167 /*v423*/, v67 /*v323*/
	s_set_vgpr_msb 16                       ;  msbs: dst=0 src0=0 src1=0 src2=1
	v_add3_u32 v200, v200, v230, v178 /*v434*/
	s_set_vgpr_msb 4                        ;  msbs: dst=0 src0=0 src1=1 src2=0
	v_mul_i32_i24_e32 v230, v152, v88 /*v344*/
	v_mul_i32_i24_e32 v205, v1, v92 /*v348*/
	s_set_vgpr_msb 0x54                     ;  msbs: dst=1 src0=0 src1=1 src2=1
	v_add3_u32 v235 /*v491*/, v201, v179 /*v435*/, v214 /*v470*/
	s_set_vgpr_msb 4                        ;  msbs: dst=0 src0=0 src1=1 src2=0
	v_mul_i32_i24_e32 v201, v109, v56 /*v312*/
	s_set_vgpr_msb 0                        ;  msbs: dst=0 src0=0 src1=0 src2=0
	v_mul_i32_i24_e32 v231, v102, v9
	s_set_vgpr_msb 5                        ;  msbs: dst=0 src0=1 src1=1 src2=0
	v_mad_i32_i24 v229, v194 /*v450*/, v93 /*v349*/, v229
	s_set_vgpr_msb 64                       ;  msbs: dst=1 src0=0 src1=0 src2=0
	v_add3_u32 v231 /*v487*/, v207, v204, v208
	s_set_vgpr_msb 4                        ;  msbs: dst=0 src0=0 src1=1 src2=0
	v_mad_i32_i24 v207, v190, v53 /*v309*/, v228
	s_set_vgpr_msb 64                       ;  msbs: dst=1 src0=0 src1=0 src2=0
	v_mul_lo_u32 v207 /*v463*/, 0x1010101, v105
	s_set_vgpr_msb 1                        ;  msbs: dst=0 src0=1 src1=0 src2=0
	v_mul_i32_i24_e32 v105, v45 /*v301*/, v104
	s_set_vgpr_msb 64                       ;  msbs: dst=1 src0=0 src1=0 src2=0
	v_add3_u32 v233 /*v489*/, v229, v230, v205
	s_set_vgpr_msb 1                        ;  msbs: dst=0 src0=1 src1=0 src2=0
	v_mul_i32_i24_e32 v205, v140 /*v396*/, v203
	s_set_vgpr_msb 0x50                     ;  msbs: dst=1 src0=0 src1=0 src2=1
	v_add3_u32 v223 /*v479*/, v207, v201, v187 /*v443*/
	s_set_vgpr_msb 1                        ;  msbs: dst=0 src0=1 src1=0 src2=0
	v_mad_i32_i24 v207, v143 /*v399*/, v202, v231
	s_set_vgpr_msb 5                        ;  msbs: dst=0 src0=1 src1=1 src2=0
	v_mul_i32_i24_e32 v229, v191 /*v447*/, v69 /*v325*/
	s_set_vgpr_msb 0x41                     ;  msbs: dst=1 src0=1 src1=0 src2=0
	v_mul_i32_i24_e32 v220 /*v476*/, v47 /*v303*/, v104
	s_set_vgpr_msb 4                        ;  msbs: dst=0 src0=0 src1=1 src2=0
	v_mul_i32_i24_e32 v204, v154, v56 /*v312*/
	v_mul_i32_i24_e32 v201, v137, v67 /*v323*/
	s_set_vgpr_msb 64                       ;  msbs: dst=1 src0=0 src1=0 src2=0
	v_add3_u32 v213 /*v469*/, v207, v205, v105
	s_set_vgpr_msb 0                        ;  msbs: dst=0 src0=0 src1=0 src2=0
	v_mul_i32_i24_e32 v105, v3, v9
	s_set_vgpr_msb 1                        ;  msbs: dst=0 src0=1 src1=0 src2=0
	v_mul_i32_i24_e32 v203, v139 /*v395*/, v203
	s_set_vgpr_msb 5                        ;  msbs: dst=0 src0=1 src1=1 src2=0
	v_mul_i32_i24_e32 v205, v193 /*v449*/, v69 /*v325*/
	v_mad_i32_i24 v207, v192 /*v448*/, v53 /*v309*/, v229
	s_set_vgpr_msb 0x41                     ;  msbs: dst=1 src0=1 src1=0 src2=0
	v_mul_i32_i24_e32 v247 /*v503*/, v46 /*v302*/, v140
	s_set_vgpr_msb 1                        ;  msbs: dst=0 src0=1 src1=0 src2=0
	v_mad_i32_i24 v105, v142 /*v398*/, v202, v105
	s_set_vgpr_msb 0                        ;  msbs: dst=0 src0=0 src1=0 src2=0
	v_mul_i32_i24_e32 v202, v2, v132
	s_set_vgpr_msb 5                        ;  msbs: dst=0 src0=1 src1=1 src2=0
	v_mad_i32_i24 v205, v194 /*v450*/, v53 /*v309*/, v205
	s_set_vgpr_msb 64                       ;  msbs: dst=1 src0=0 src1=0 src2=0
	v_add3_u32 v214 /*v470*/, v207, v204, v201
	s_set_vgpr_msb 4                        ;  msbs: dst=0 src0=0 src1=1 src2=0
	v_mul_i32_i24_e32 v201, v1, v67 /*v323*/
	v_mul_i32_i24_e32 v204, v152, v56 /*v312*/
	s_set_vgpr_msb 0x50                     ;  msbs: dst=1 src0=0 src1=0 src2=1
	v_add3_u32 v220 /*v476*/, v105, v203, v220 /*v476*/
	s_set_vgpr_msb 0                        ;  msbs: dst=0 src0=0 src1=0 src2=0
	v_mul_i32_i24_e32 v203, v102, v132
	s_set_vgpr_msb 5                        ;  msbs: dst=0 src0=1 src1=1 src2=0
	v_mul_i32_i24_e32 v232, v190 /*v446*/, v100 /*v356*/
	s_set_vgpr_msb 1                        ;  msbs: dst=0 src0=1 src1=0 src2=0
	v_mul_i32_i24_e32 v105, v141 /*v397*/, v138
	s_set_vgpr_msb 64                       ;  msbs: dst=1 src0=0 src1=0 src2=0
	v_add3_u32 v226 /*v482*/, v205, v204, v201
	s_set_vgpr_msb 1                        ;  msbs: dst=0 src0=1 src1=0 src2=0
	v_mul_i32_i24_e32 v201, v140 /*v396*/, v138
	v_mul_i32_i24_e32 v204, v45 /*v301*/, v140
	v_mad_i32_i24 v202, v144 /*v400*/, v16, v202
	v_mad_i32_i24 v203, v143 /*v399*/, v16, v203
	s_set_vgpr_msb 0x45                     ;  msbs: dst=1 src0=1 src1=1 src2=0
	v_mul_i32_i24_e32 v246 /*v502*/, v167 /*v423*/, v61 /*v317*/
	s_set_vgpr_msb 4                        ;  msbs: dst=0 src0=0 src1=1 src2=0
	v_mul_i32_i24_e32 v206, v109, v51 /*v307*/
	s_set_vgpr_msb 0x44                     ;  msbs: dst=1 src0=0 src1=1 src2=0
	v_mul_i32_i24_e32 v219 /*v475*/, v137, v61 /*v317*/
	s_set_vgpr_msb 0x50                     ;  msbs: dst=1 src0=0 src1=0 src2=1
	v_add3_u32 v227 /*v483*/, v202, v105, v247 /*v503*/
	s_set_vgpr_msb 5                        ;  msbs: dst=0 src0=1 src1=1 src2=0
	v_mul_i32_i24_e32 v105, v191 /*v447*/, v100 /*v356*/
	s_set_vgpr_msb 64                       ;  msbs: dst=1 src0=0 src1=0 src2=0
	v_add3_u32 v229 /*v485*/, v203, v201, v204
	s_set_vgpr_msb 5                        ;  msbs: dst=0 src0=1 src1=1 src2=0
	v_mul_i32_i24_e32 v203, v193 /*v449*/, v100 /*v356*/
	s_set_vgpr_msb 4                        ;  msbs: dst=0 src0=0 src1=1 src2=0
	v_mad_i32_i24 v201, v190, v98 /*v354*/, v232
	v_mul_i32_i24_e32 v202, v154, v51 /*v307*/
	v_mul_i32_i24_e32 v204, v1, v61 /*v317*/
	;; [unrolled: 1-line block ×3, first 2 shown]
	s_set_vgpr_msb 5                        ;  msbs: dst=0 src0=1 src1=1 src2=0
	v_mad_i32_i24 v105, v192 /*v448*/, v98 /*v354*/, v105
	s_set_vgpr_msb 16                       ;  msbs: dst=0 src0=0 src1=0 src2=1
	v_add3_u32 v201, v201, v206, v246 /*v502*/
	s_set_vgpr_msb 5                        ;  msbs: dst=0 src0=1 src1=1 src2=0
	v_mul_i32_i24_e32 v206, v190 /*v446*/, v62 /*v318*/
	v_mad_i32_i24 v203, v194 /*v450*/, v98 /*v354*/, v203
	s_set_vgpr_msb 0x45                     ;  msbs: dst=1 src0=1 src1=1 src2=0
	v_mul_i32_i24_e32 v245 /*v501*/, v167 /*v423*/, v63 /*v319*/
	s_set_vgpr_msb 16                       ;  msbs: dst=0 src0=0 src1=0 src2=1
	v_add3_u32 v202, v105, v202, v219 /*v475*/
	s_set_vgpr_msb 4                        ;  msbs: dst=0 src0=0 src1=1 src2=0
	v_mul_i32_i24_e32 v105, v109, v54 /*v310*/
	v_mad_i32_i24 v206, v190, v77 /*v333*/, v206
	s_set_vgpr_msb 0                        ;  msbs: dst=0 src0=0 src1=0 src2=0
	v_add3_u32 v203, v203, v205, v204
	v_mul_i32_i24_e32 v204, v3, v132
	s_set_vgpr_msb 0x41                     ;  msbs: dst=1 src0=1 src1=0 src2=0
	v_mul_i32_i24_e32 v244 /*v500*/, v47 /*v303*/, v140
	v_mul_i32_i24_e32 v181 /*v437*/, v139 /*v395*/, v138
	s_set_vgpr_msb 5                        ;  msbs: dst=0 src0=1 src1=1 src2=0
	v_mul_i32_i24_e32 v207, v191 /*v447*/, v62 /*v318*/
	v_mul_i32_i24_e32 v228, v193 /*v449*/, v62 /*v318*/
	s_set_vgpr_msb 4                        ;  msbs: dst=0 src0=0 src1=1 src2=0
	v_mul_i32_i24_e32 v229, v2, v156 /*v412*/
	s_set_vgpr_msb 16                       ;  msbs: dst=0 src0=0 src1=0 src2=1
	v_add3_u32 v206, v206, v105, v245 /*v501*/
	s_set_vgpr_msb 5                        ;  msbs: dst=0 src0=1 src1=1 src2=0
	v_mul_i32_i24_e32 v105, v190 /*v446*/, v81 /*v337*/
	s_set_vgpr_msb 1                        ;  msbs: dst=0 src0=1 src1=0 src2=0
	v_mad_i32_i24 v204, v142 /*v398*/, v16, v204
	s_set_vgpr_msb 0x45                     ;  msbs: dst=1 src0=1 src1=1 src2=0
	v_mul_i32_i24_e32 v239 /*v495*/, v167 /*v423*/, v74 /*v330*/
	s_set_vgpr_msb 5                        ;  msbs: dst=0 src0=1 src1=1 src2=0
	v_mul_i32_i24_e32 v103, v46 /*v302*/, v155 /*v411*/
	s_set_vgpr_msb 0x44                     ;  msbs: dst=1 src0=0 src1=1 src2=0
	v_mul_i32_i24_e32 v241 /*v497*/, v1, v63 /*v319*/
	v_mul_i32_i24_e32 v242 /*v498*/, v152, v54 /*v310*/
	s_set_vgpr_msb 5                        ;  msbs: dst=0 src0=1 src1=1 src2=0
	v_mul_i32_i24_e32 v208, v141 /*v397*/, v154 /*v410*/
	v_mad_i32_i24 v205, v192 /*v448*/, v77 /*v333*/, v207
	s_set_vgpr_msb 20                       ;  msbs: dst=0 src0=0 src1=1 src2=1
	v_mul_i32_i24_e32 v230, v109, v72 /*v328*/
	v_add3_u32 v207, v204, v181 /*v437*/, v244 /*v500*/
	s_set_vgpr_msb 1                        ;  msbs: dst=0 src0=1 src1=0 src2=0
	v_mul_i32_i24_e32 v204, v164 /*v420*/, v2
	s_set_vgpr_msb 5                        ;  msbs: dst=0 src0=1 src1=1 src2=0
	v_mad_i32_i24 v228, v194 /*v450*/, v77 /*v333*/, v228
	v_mad_i32_i24 v229, v144 /*v400*/, v157 /*v413*/, v229
	s_set_vgpr_msb 4                        ;  msbs: dst=0 src0=0 src1=1 src2=0
	v_mad_i32_i24 v105, v190, v89 /*v345*/, v105
	s_set_vgpr_msb 64                       ;  msbs: dst=1 src0=0 src1=0 src2=0
	v_mul_i32_i24_e32 v212 /*v468*/, v128, v102
	s_set_vgpr_msb 0x45                     ;  msbs: dst=1 src0=1 src1=1 src2=0
	v_mul_i32_i24_e32 v238 /*v494*/, v162 /*v418*/, v46 /*v302*/
	s_set_vgpr_msb 5                        ;  msbs: dst=0 src0=1 src1=1 src2=0
	v_mul_i32_i24_e32 v231, v163 /*v419*/, v141 /*v397*/
	s_set_vgpr_msb 20                       ;  msbs: dst=0 src0=0 src1=1 src2=1
	v_add3_u32 v233, v228, v242 /*v498*/, v241 /*v497*/
	s_set_vgpr_msb 1                        ;  msbs: dst=0 src0=1 src1=0 src2=0
	v_mul_i32_i24_e32 v228, v164 /*v420*/, v102
	s_set_vgpr_msb 0                        ;  msbs: dst=0 src0=0 src1=0 src2=0
	v_add3_u32 v103, v229, v208, v103
	s_set_vgpr_msb 1                        ;  msbs: dst=0 src0=1 src1=0 src2=0
	v_mul_i32_i24_e32 v229, v164 /*v420*/, v3
	s_set_vgpr_msb 16                       ;  msbs: dst=0 src0=0 src1=0 src2=1
	v_add3_u32 v230, v105, v230, v239 /*v495*/
	s_set_vgpr_msb 4                        ;  msbs: dst=0 src0=0 src1=1 src2=0
	v_mul_i32_i24_e32 v102, v102, v156 /*v412*/
	s_set_vgpr_msb 5                        ;  msbs: dst=0 src0=1 src1=1 src2=0
	v_mad_i32_i24 v105, v166 /*v422*/, v144 /*v400*/, v204
	v_mul_i32_i24_e32 v232, v163 /*v419*/, v140 /*v396*/
	v_mul_i32_i24_e32 v208, v162 /*v418*/, v45 /*v301*/
	s_set_vgpr_msb 0x45                     ;  msbs: dst=1 src0=1 src1=1 src2=0
	v_mul_i32_i24_e32 v168 /*v424*/, v163 /*v419*/, v139 /*v395*/
	v_mul_i32_i24_e32 v173 /*v429*/, v162 /*v418*/, v47 /*v303*/
	s_set_vgpr_msb 16                       ;  msbs: dst=0 src0=0 src1=0 src2=1
	v_add3_u32 v105, v105, v231, v238 /*v494*/
	s_set_vgpr_msb 5                        ;  msbs: dst=0 src0=1 src1=1 src2=0
	v_mul_i32_i24_e32 v204, v140 /*v396*/, v154 /*v410*/
	v_mul_i32_i24_e32 v231, v45 /*v301*/, v155 /*v411*/
	v_mad_i32_i24 v228, v166 /*v422*/, v143 /*v399*/, v228
	v_mad_i32_i24 v229, v166 /*v422*/, v142 /*v398*/, v229
	;; [unrolled: 1-line block ×3, first 2 shown]
	s_set_vgpr_msb 0x44                     ;  msbs: dst=1 src0=0 src1=1 src2=0
	v_mul_i32_i24_e32 v174 /*v430*/, v137, v74 /*v330*/
	s_set_vgpr_msb 0x45                     ;  msbs: dst=1 src0=1 src1=1 src2=0
	v_mul_i32_i24_e32 v167 /*v423*/, v167 /*v423*/, v83 /*v339*/
	s_set_vgpr_msb 0                        ;  msbs: dst=0 src0=0 src1=0 src2=0
	v_add3_u32 v228, v228, v232, v208
	s_set_vgpr_msb 5                        ;  msbs: dst=0 src0=1 src1=1 src2=0
	v_mul_i32_i24_e32 v208, v191 /*v447*/, v81 /*v337*/
	s_set_vgpr_msb 20                       ;  msbs: dst=0 src0=0 src1=1 src2=1
	v_add3_u32 v232, v229, v168 /*v424*/, v173 /*v429*/
	s_set_vgpr_msb 0                        ;  msbs: dst=0 src0=0 src1=0 src2=0
	v_add3_u32 v229, v102, v204, v231
	s_set_vgpr_msb 4                        ;  msbs: dst=0 src0=0 src1=1 src2=0
	v_mul_i32_i24_e32 v231, v3, v156 /*v412*/
	s_set_vgpr_msb 0x45                     ;  msbs: dst=1 src0=1 src1=1 src2=0
	v_mul_i32_i24_e32 v173 /*v429*/, v47 /*v303*/, v155 /*v411*/
	s_set_vgpr_msb 5                        ;  msbs: dst=0 src0=1 src1=1 src2=0
	v_mul_i32_i24_e32 v204, v139 /*v395*/, v154 /*v410*/
	v_mad_i32_i24 v102, v192 /*v448*/, v89 /*v345*/, v208
	s_set_vgpr_msb 0x44                     ;  msbs: dst=1 src0=0 src1=1 src2=0
	v_mul_i32_i24_e32 v168 /*v424*/, v154, v72 /*v328*/
	s_set_vgpr_msb 5                        ;  msbs: dst=0 src0=1 src1=1 src2=0
	v_mad_i32_i24 v208, v142 /*v398*/, v157 /*v413*/, v231
	s_set_vgpr_msb 0x44                     ;  msbs: dst=1 src0=0 src1=1 src2=0
	v_mul_i32_i24_e32 v180 /*v436*/, v137, v63 /*v319*/
	v_mul_i32_i24_e32 v216 /*v472*/, v154, v54 /*v310*/
	s_set_vgpr_msb 20                       ;  msbs: dst=0 src0=0 src1=1 src2=1
	v_mul_i32_i24_e32 v154, v154, v76 /*v332*/
	v_add3_u32 v102, v102, v168 /*v424*/, v174 /*v430*/
	s_set_vgpr_msb 16                       ;  msbs: dst=0 src0=0 src1=0 src2=1
	v_add3_u32 v231, v208, v204, v173 /*v429*/
	s_set_vgpr_msb 5                        ;  msbs: dst=0 src0=1 src1=1 src2=0
	v_mul_i32_i24_e32 v204, v193 /*v449*/, v81 /*v337*/
	s_set_vgpr_msb 0x44                     ;  msbs: dst=1 src0=0 src1=1 src2=0
	v_mul_i32_i24_e32 v168 /*v424*/, v152, v72 /*v328*/
	v_mul_i32_i24_e32 v174 /*v430*/, v1, v74 /*v330*/
	s_set_vgpr_msb 4                        ;  msbs: dst=0 src0=0 src1=1 src2=0
	v_mul_i32_i24_e32 v137, v137, v83 /*v339*/
	s_set_vgpr_msb 64                       ;  msbs: dst=1 src0=0 src1=0 src2=0
	v_bfe_u32 v238 /*v494*/, v115, 8, 2
	s_set_vgpr_msb 5                        ;  msbs: dst=0 src0=1 src1=1 src2=0
	v_mad_i32_i24 v204, v194 /*v450*/, v89 /*v345*/, v204
	s_set_vgpr_msb 4                        ;  msbs: dst=0 src0=0 src1=1 src2=0
	v_mul_i32_i24_e32 v1, v1, v83 /*v339*/
	s_set_vgpr_msb 64                       ;  msbs: dst=1 src0=0 src1=0 src2=0
	v_bfe_i32 v26 /*v282*/, v42, 0, 8
	v_bfe_i32 v27 /*v283*/, v42, 8, 8
	;; [unrolled: 1-line block ×3, first 2 shown]
	s_set_vgpr_msb 20                       ;  msbs: dst=0 src0=0 src1=1 src2=1
	v_add3_u32 v204, v204, v168 /*v424*/, v174 /*v430*/
	s_set_vgpr_msb 0x45                     ;  msbs: dst=1 src0=1 src1=1 src2=0
	v_mul_i32_i24_e32 v174 /*v430*/, v190 /*v446*/, v84 /*v340*/
	s_set_vgpr_msb 0x44                     ;  msbs: dst=1 src0=0 src1=1 src2=0
	v_mul_i32_i24_e32 v168 /*v424*/, v109, v76 /*v332*/
	v_bfe_i32 v8 /*v264*/, v43, 0, 8
	s_set_vgpr_msb 20                       ;  msbs: dst=0 src0=0 src1=1 src2=1
	v_bfe_i32 v239, v43, 8, 8
	v_bfe_i32 v42, v43, 16, 8
	v_mad_i32_i24 v190, v190, v49 /*v305*/, v174 /*v430*/
	s_set_vgpr_msb 64                       ;  msbs: dst=1 src0=0 src1=0 src2=0
	v_and_b32_e32 v174 /*v430*/, 3, v113
	v_bfe_i32 v158 /*v414*/, v45, 0, 8
	v_bfe_i32 v160 /*v416*/, v45, 8, 8
	;; [unrolled: 1-line block ×3, first 2 shown]
	s_set_vgpr_msb 20                       ;  msbs: dst=0 src0=0 src1=1 src2=1
	v_add3_u32 v211, v190, v168 /*v424*/, v167 /*v423*/
	s_set_vgpr_msb 5                        ;  msbs: dst=0 src0=1 src1=1 src2=0
	v_mul_i32_i24_e32 v190, v191 /*v447*/, v84 /*v340*/
	s_set_vgpr_msb 0                        ;  msbs: dst=0 src0=0 src1=0 src2=0
	v_dual_ashrrev_i32 v45, 24, v43 :: v_dual_ashrrev_i32 v181, 24, v18
	v_bfe_i32 v241, v15, 0, 8
	v_bfe_i32 v242, v15, 8, 8
	s_set_vgpr_msb 5                        ;  msbs: dst=0 src0=1 src1=1 src2=0
	v_mad_i32_i24 v190, v192 /*v448*/, v49 /*v305*/, v190
	s_set_vgpr_msb 0                        ;  msbs: dst=0 src0=0 src1=0 src2=0
	v_bfe_i32 v43, v15, 16, 8
	v_ashrrev_i32_e32 v15, 24, v19
	s_set_vgpr_msb 64                       ;  msbs: dst=1 src0=0 src1=0 src2=0
	v_dual_ashrrev_i32 v242 /*v498*/, s17, v177 :: v_dual_bitop2_b32 v173 /*v429*/, 3, v111 bitop3:0x40
	s_set_vgpr_msb 0                        ;  msbs: dst=0 src0=0 src1=0 src2=0
	v_add3_u32 v212, v190, v154, v137
	v_mul_i32_i24_e32 v190, v128, v93
	s_set_vgpr_msb 4                        ;  msbs: dst=0 src0=0 src1=1 src2=0
	v_mul_i32_i24_e32 v93, v152, v76 /*v332*/
	s_set_vgpr_msb 5                        ;  msbs: dst=0 src0=1 src1=1 src2=0
	v_mul_i32_i24_e32 v152, v193 /*v449*/, v84 /*v340*/
	s_set_vgpr_msb 64                       ;  msbs: dst=1 src0=0 src1=0 src2=0
	v_bfe_u32 v176 /*v432*/, v111, 8, 2
	v_bfe_u32 v177 /*v433*/, v111, 16, 2
	;; [unrolled: 1-line block ×3, first 2 shown]
	s_set_vgpr_msb 4                        ;  msbs: dst=0 src0=0 src1=1 src2=0
	v_mul_i32_i24_e32 v111, v125, v114 /*v370*/
	s_set_vgpr_msb 5                        ;  msbs: dst=0 src0=1 src1=1 src2=0
	v_mad_i32_i24 v152, v194 /*v450*/, v49 /*v305*/, v152
	s_set_vgpr_msb 64                       ;  msbs: dst=1 src0=0 src1=0 src2=0
	v_ashrrev_i32_e32 v194 /*v450*/, s17, v170
	s_set_vgpr_msb 1                        ;  msbs: dst=0 src0=1 src1=0 src2=0
	v_mul_i32_i24_e32 v137, v174 /*v430*/, v108
	s_set_vgpr_msb 4                        ;  msbs: dst=0 src0=0 src1=1 src2=0
	v_mul_i32_i24_e32 v154, v106, v158 /*v414*/
	s_set_vgpr_msb 64                       ;  msbs: dst=1 src0=0 src1=0 src2=0
	v_ashrrev_i32_e32 v219 /*v475*/, s17, v175
	s_set_vgpr_msb 0                        ;  msbs: dst=0 src0=0 src1=0 src2=0
	v_add3_u32 v213, v152, v93, v1
	v_ashrrev_i32_e32 v93, s17, v176
	s_set_vgpr_msb 1                        ;  msbs: dst=0 src0=1 src1=0 src2=0
	v_add3_u32 v214, v236 /*v492*/, v137, v190
	s_set_vgpr_msb 4                        ;  msbs: dst=0 src0=0 src1=1 src2=0
	v_mul_i32_i24_e32 v137, v125, v118 /*v374*/
	s_set_vgpr_msb 5                        ;  msbs: dst=0 src0=1 src1=1 src2=0
	v_mul_i32_i24_e32 v176, v238 /*v494*/, v112 /*v368*/
	s_set_vgpr_msb 0                        ;  msbs: dst=0 src0=0 src1=0 src2=0
	v_mul_i32_i24_e32 v1, v106, v8
	v_mul_i32_i24_e32 v152, v106, v122
	;; [unrolled: 1-line block ×3, first 2 shown]
	s_set_vgpr_msb 4                        ;  msbs: dst=0 src0=0 src1=1 src2=0
	v_mul_i32_i24_e32 v6, v106, v165 /*v421*/
	s_set_vgpr_msb 1                        ;  msbs: dst=0 src0=1 src1=0 src2=0
	v_add3_u32 v215, v237 /*v493*/, v137, v176
	s_set_vgpr_msb 5                        ;  msbs: dst=0 src0=1 src1=1 src2=0
	v_mul_i32_i24_e32 v137, v238 /*v494*/, v109 /*v365*/
	s_set_vgpr_msb 0x45                     ;  msbs: dst=1 src0=1 src1=1 src2=0
	v_add3_u32 v182 /*v438*/, v195 /*v451*/, v21 /*v277*/, v187
	s_set_vgpr_msb 4                        ;  msbs: dst=0 src0=0 src1=1 src2=0
	v_mul_i32_i24_e32 v208, v81, v169 /*v425*/
	s_set_vgpr_msb 0x44                     ;  msbs: dst=1 src0=0 src1=1 src2=0
	v_mul_i32_i24_e32 v167 /*v423*/, v125, v82 /*v338*/
	s_set_vgpr_msb 64                       ;  msbs: dst=1 src0=0 src1=0 src2=0
	v_dual_ashrrev_i32 v195 /*v451*/, s17, v173 :: v_dual_bitop2_b32 v181 /*v437*/, 3, v107 bitop3:0x40
	s_set_vgpr_msb 1                        ;  msbs: dst=0 src0=1 src1=0 src2=0
	v_add3_u32 v217, v240 /*v496*/, v111, v137
	s_set_vgpr_msb 0                        ;  msbs: dst=0 src0=0 src1=0 src2=0
	v_mul_i32_i24_e32 v111, v81, v144
	s_set_vgpr_msb 4                        ;  msbs: dst=0 src0=0 src1=1 src2=0
	v_mul_i32_i24_e32 v137, v125, v103 /*v359*/
	s_set_vgpr_msb 1                        ;  msbs: dst=0 src0=1 src1=0 src2=0
	v_add3_u32 v216, v189 /*v445*/, v152, v175
	s_set_vgpr_msb 64                       ;  msbs: dst=1 src0=0 src1=0 src2=0
	v_dual_ashrrev_i32 v193 /*v449*/, s17, v171 :: v_dual_ashrrev_i32 v237 /*v493*/, s17, v169
	s_set_vgpr_msb 0                        ;  msbs: dst=0 src0=0 src1=0 src2=0
	v_add3_u32 v219, v193, v1, v111
	s_set_vgpr_msb 5                        ;  msbs: dst=0 src0=1 src1=1 src2=0
	v_mul_i32_i24_e32 v1, v238 /*v494*/, v95 /*v351*/
	s_set_vgpr_msb 4                        ;  msbs: dst=0 src0=0 src1=1 src2=0
	v_mul_i32_i24_e32 v111, v81, v160 /*v416*/
	s_set_vgpr_msb 0                        ;  msbs: dst=0 src0=0 src1=0 src2=0
	v_mul_i32_i24_e32 v152, v106, v101
	v_mul_i32_i24_e32 v169, v81, v124
	v_bfe_u32 v171, v107, 8, 2
	s_set_vgpr_msb 64                       ;  msbs: dst=1 src0=0 src1=0 src2=0
	v_bfe_u32 v179 /*v435*/, v107, 16, 2
	v_dual_lshrrev_b32 v190 /*v446*/, 24, v107 :: v_dual_bitop2_b32 v168 /*v424*/, 3, v80 bitop3:0x40
	s_set_vgpr_msb 0                        ;  msbs: dst=0 src0=0 src1=0 src2=0
	v_add3_u32 v193, v191, v137, v1
	s_set_vgpr_msb 5                        ;  msbs: dst=0 src0=1 src1=1 src2=0
	v_mul_i32_i24_e32 v1, v238 /*v494*/, v90 /*v346*/
	s_set_vgpr_msb 0                        ;  msbs: dst=0 src0=0 src1=0 src2=0
	v_add3_u32 v190, v192, v154, v111
	v_mul_i32_i24_e32 v107, v106, v10
	v_mul_i32_i24_e32 v111, v81, v12
	;; [unrolled: 1-line block ×4, first 2 shown]
	v_dual_ashrrev_i32 v109, s17, v179 :: v_dual_add_nc_u32 v126, v130, v126
	s_set_vgpr_msb 5                        ;  msbs: dst=0 src0=1 src1=1 src2=0
	v_mul_i32_i24_e32 v179, v238 /*v494*/, v78 /*v334*/
	s_set_vgpr_msb 4                        ;  msbs: dst=0 src0=0 src1=1 src2=0
	v_add3_u32 v191, v209, v167 /*v423*/, v1
	s_set_vgpr_msb 0                        ;  msbs: dst=0 src0=0 src1=0 src2=0
	v_add3_u32 v195, v195, v106, v81
	s_set_vgpr_msb 4                        ;  msbs: dst=0 src0=0 src1=1 src2=0
	v_mul_i32_i24_e32 v81, v125, v64 /*v320*/
	s_set_vgpr_msb 64                       ;  msbs: dst=1 src0=0 src1=0 src2=0
	v_bfe_i32 v167 /*v423*/, v4, 0, 8
	s_set_vgpr_msb 0                        ;  msbs: dst=0 src0=0 src1=0 src2=0
	v_add_nc_u32_e32 v4, v8, v117
	s_set_vgpr_msb 64                       ;  msbs: dst=1 src0=0 src1=0 src2=0
	v_bfe_i32 v150 /*v406*/, v20, 16, 8
	v_bfe_i32 v175 /*v431*/, v20, 8, 8
	s_set_vgpr_msb 0                        ;  msbs: dst=0 src0=0 src1=0 src2=0
	v_add3_u32 v192, v210, v107, v111
	v_add3_u32 v81, v127, v81, v179
	s_set_vgpr_msb 4                        ;  msbs: dst=0 src0=0 src1=1 src2=0
	v_add3_u32 v127, v4, v20 /*v276*/, v189
	v_bfe_i32 v111, v20, 0, 8
	v_and_b32_e32 v24, 3, v148 /*v404*/
	s_set_vgpr_msb 0x45                     ;  msbs: dst=1 src0=1 src1=1 src2=0
	v_bfe_i32 v153 /*v409*/, v207 /*v463*/, 16, 8
	v_mul_i32_i24_e32 v183 /*v439*/, v172 /*v428*/, v150 /*v406*/
	v_mul_i32_i24_e32 v187 /*v443*/, v182 /*v438*/, v175 /*v431*/
	s_set_vgpr_msb 0                        ;  msbs: dst=0 src0=0 src1=0 src2=0
	v_bfe_u32 v106, v115, 16, 2
	v_bfe_u32 v137, v115, 24, 2
	s_set_vgpr_msb 1                        ;  msbs: dst=0 src0=1 src1=0 src2=0
	v_bfe_i32 v115, v207 /*v463*/, 8, 8
	s_set_vgpr_msb 0                        ;  msbs: dst=0 src0=0 src1=0 src2=0
	v_mul_i32_i24_e32 v4, v127, v111
	s_set_vgpr_msb 1                        ;  msbs: dst=0 src0=1 src1=0 src2=0
	v_bfe_i32 v117, v207 /*v463*/, 0, 8
	s_set_vgpr_msb 4                        ;  msbs: dst=0 src0=0 src1=1 src2=0
	v_and_b32_e32 v142, 3, v137 /*v393*/
	v_and_b32_e32 v17, 3, v138 /*v394*/
	s_set_vgpr_msb 64                       ;  msbs: dst=1 src0=0 src1=0 src2=0
	v_mul_i32_i24_e32 v186 /*v442*/, v24, v108
	s_set_vgpr_msb 0x45                     ;  msbs: dst=1 src0=1 src1=1 src2=0
	v_mul_i32_i24_e32 v185 /*v441*/, v172 /*v428*/, v153 /*v409*/
	s_set_vgpr_msb 64                       ;  msbs: dst=1 src0=0 src1=0 src2=0
	v_dual_ashrrev_i32 v192 /*v448*/, s17, v166 :: v_dual_ashrrev_i32 v189 /*v445*/, s17, v167
	s_set_vgpr_msb 1                        ;  msbs: dst=0 src0=1 src1=0 src2=0
	v_bfe_u32 v209, v137 /*v393*/, 8, 2
	s_set_vgpr_msb 0                        ;  msbs: dst=0 src0=0 src1=0 src2=0
	v_add3_u32 v133, v133, v6, v208
	s_set_vgpr_msb 0x51                     ;  msbs: dst=1 src0=1 src1=0 src2=1
	v_add3_u32 v183 /*v439*/, v187 /*v443*/, v4, v183 /*v439*/
	s_set_vgpr_msb 0                        ;  msbs: dst=0 src0=0 src1=0 src2=0
	v_mul_i32_i24_e32 v4, v127, v117
	v_add_nc_u32_e32 v208, v134, v128
	v_mul_i32_i24_e32 v166, v128, v2
	s_set_vgpr_msb 1                        ;  msbs: dst=0 src0=1 src1=0 src2=0
	v_mul_i32_i24_e32 v2, v182 /*v438*/, v115
	s_set_vgpr_msb 0x44                     ;  msbs: dst=1 src0=0 src1=1 src2=0
	v_mul_i32_i24_e32 v210 /*v466*/, v142, v118 /*v374*/
	s_set_vgpr_msb 4                        ;  msbs: dst=0 src0=0 src1=1 src2=0
	v_mul_i32_i24_e32 v167, v209, v112 /*v368*/
	s_set_vgpr_msb 0x44                     ;  msbs: dst=1 src0=0 src1=1 src2=0
	v_bfe_i32 v28 /*v284*/, v18, 0, 8
	v_add3_u32 v255 /*v511*/, v147, v186 /*v442*/, v166
	s_set_vgpr_msb 0x50                     ;  msbs: dst=1 src0=0 src1=0 src2=1
	v_add3_u32 v185 /*v441*/, v2, v4, v185 /*v441*/
	s_set_vgpr_msb 1                        ;  msbs: dst=0 src0=1 src1=0 src2=0
	v_cvt_f32_f16_e64 v4, v201 /*v457*/
	s_set_vgpr_msb 64                       ;  msbs: dst=1 src0=0 src1=0 src2=0
	v_and_b32_e32 v201 /*v457*/, 0xffff, v131
	s_set_vgpr_msb 4                        ;  msbs: dst=0 src0=0 src1=1 src2=0
	v_and_b32_e32 v166, 0xffff, v149 /*v405*/
	s_set_vgpr_msb 64                       ;  msbs: dst=1 src0=0 src1=0 src2=0
	v_and_b32_e32 v149 /*v405*/, 15, v131
	s_set_vgpr_msb 5                        ;  msbs: dst=0 src0=1 src1=1 src2=0
	v_add_nc_u32_e32 v131, v197 /*v453*/, v31 /*v287*/
	s_set_vgpr_msb 64                       ;  msbs: dst=1 src0=0 src1=0 src2=0
	v_mul_i32_i24_e32 v211 /*v467*/, v17, v108
	s_set_vgpr_msb 0                        ;  msbs: dst=0 src0=0 src1=0 src2=0
	v_bfe_i32 v250, v19, 0, 8
	v_add_nc_u32_e32 v9, v10, v9
	s_set_vgpr_msb 4                        ;  msbs: dst=0 src0=0 src1=1 src2=0
	v_and_b32_e32 v177, 3, v194 /*v450*/
	s_set_vgpr_msb 0x44                     ;  msbs: dst=1 src0=0 src1=1 src2=0
	v_add3_u32 v254 /*v510*/, v141, v210 /*v466*/, v167
	s_set_vgpr_msb 0x54                     ;  msbs: dst=1 src0=0 src1=1 src2=1
	v_add3_u32 v253 /*v509*/, v139, v211 /*v467*/, v212 /*v468*/
	s_set_vgpr_msb 4                        ;  msbs: dst=0 src0=0 src1=1 src2=0
	v_and_b32_e32 v139, 3, v237 /*v493*/
	s_set_vgpr_msb 1                        ;  msbs: dst=0 src0=1 src1=0 src2=0
	v_bfe_u32 v141, v237 /*v493*/, 8, 2
	s_set_vgpr_msb 4                        ;  msbs: dst=0 src0=0 src1=1 src2=0
	v_and_b32_e32 v148, 3, v146 /*v402*/
	s_set_vgpr_msb 0x41                     ;  msbs: dst=1 src0=1 src1=0 src2=0
	v_bfe_u32 v203 /*v459*/, v146 /*v402*/, 8, 2
	s_set_vgpr_msb 20                       ;  msbs: dst=0 src0=0 src1=1 src2=1
	v_mul_i32_i24_e32 v5, v125, v85 /*v341*/
	v_add3_u32 v205, v205, v216 /*v472*/, v180 /*v436*/
	s_set_vgpr_msb 0x44                     ;  msbs: dst=1 src0=0 src1=1 src2=0
	v_mul_i32_i24_e32 v239 /*v495*/, v125, v70 /*v326*/
	s_set_vgpr_msb 64                       ;  msbs: dst=1 src0=0 src1=0 src2=0
	v_ashrrev_i32_e32 v216 /*v472*/, s17, v172
	s_set_vgpr_msb 0                        ;  msbs: dst=0 src0=0 src1=0 src2=0
	v_bfe_u32 v172, v80, 8, 2
	v_bfe_u32 v173, v80, 16, 2
	s_set_vgpr_msb 64                       ;  msbs: dst=1 src0=0 src1=0 src2=0
	v_lshrrev_b32_e32 v191 /*v447*/, 24, v80
	s_set_vgpr_msb 4                        ;  msbs: dst=0 src0=0 src1=1 src2=0
	v_mul_i32_i24_e32 v80, v125, v102 /*v358*/
	v_add3_u32 v125, v9, v28 /*v284*/, v250
	s_set_vgpr_msb 0                        ;  msbs: dst=0 src0=0 src1=0 src2=0
	v_mul_i32_i24_e32 v6, v177, v108
	v_mul_i32_i24_e32 v3, v128, v3
	s_set_vgpr_msb 4                        ;  msbs: dst=0 src0=0 src1=1 src2=0
	v_mul_i32_i24_e32 v9, v139, v118 /*v374*/
	v_mul_i32_i24_e32 v128, v141, v112 /*v368*/
	s_set_vgpr_msb 5                        ;  msbs: dst=0 src0=1 src1=1 src2=0
	v_mul_i32_i24_e32 v1, v238 /*v494*/, v55 /*v311*/
	s_set_vgpr_msb 0                        ;  msbs: dst=0 src0=0 src1=0 src2=0
	v_mul_i32_i24_e32 v134, v14, v144
	s_set_vgpr_msb 64                       ;  msbs: dst=1 src0=0 src1=0 src2=0
	v_add3_u32 v247 /*v503*/, v7, v6, v3
	s_set_vgpr_msb 1                        ;  msbs: dst=0 src0=1 src1=0 src2=0
	v_mul_i32_i24_e32 v3, v208 /*v464*/, v122
	s_set_vgpr_msb 0                        ;  msbs: dst=0 src0=0 src1=0 src2=0
	v_mul_i32_i24_e32 v6, v14, v130
	s_set_vgpr_msb 64                       ;  msbs: dst=1 src0=0 src1=0 src2=0
	v_add3_u32 v248 /*v504*/, v143, v9, v128
	s_set_vgpr_msb 4                        ;  msbs: dst=0 src0=0 src1=1 src2=0
	v_mul_i32_i24_e32 v7, v148, v114 /*v370*/
	s_set_vgpr_msb 5                        ;  msbs: dst=0 src0=1 src1=1 src2=0
	v_mul_i32_i24_e32 v9, v203 /*v459*/, v109 /*v365*/
	s_set_vgpr_msb 1                        ;  msbs: dst=0 src0=1 src1=0 src2=0
	v_mul_i32_i24_e32 v128, v208 /*v464*/, v8
	s_set_vgpr_msb 4                        ;  msbs: dst=0 src0=0 src1=1 src2=0
	v_add3_u32 v194, v194, v239 /*v495*/, v1
	s_set_vgpr_msb 5                        ;  msbs: dst=0 src0=1 src1=1 src2=0
	v_mul_i32_i24_e32 v1, v238 /*v494*/, v99 /*v355*/
	v_mul_i32_i24_e32 v107, v238 /*v494*/, v167 /*v423*/
	s_set_vgpr_msb 64                       ;  msbs: dst=1 src0=0 src1=0 src2=0
	v_add3_u32 v249 /*v505*/, v145, v3, v6
	s_set_vgpr_msb 1                        ;  msbs: dst=0 src0=1 src1=0 src2=0
	v_mul_i32_i24_e32 v3, v206 /*v462*/, v122
	v_mul_i32_i24_e32 v6, v204 /*v460*/, v130
	s_set_vgpr_msb 64                       ;  msbs: dst=1 src0=0 src1=0 src2=0
	v_add3_u32 v250 /*v506*/, v199, v7, v9
	s_set_vgpr_msb 4                        ;  msbs: dst=0 src0=0 src1=1 src2=0
	v_mul_i32_i24_e32 v9, v209, v109 /*v365*/
	s_set_vgpr_msb 0x41                     ;  msbs: dst=1 src0=1 src1=0 src2=0
	v_add3_u32 v238 /*v494*/, v232 /*v488*/, v128, v134
	s_set_vgpr_msb 5                        ;  msbs: dst=0 src0=1 src1=1 src2=0
	v_add_nc_u32_e32 v134, v128 /*v384*/, v199 /*v455*/
	s_set_vgpr_msb 4                        ;  msbs: dst=0 src0=0 src1=1 src2=0
	v_mul_i32_i24_e32 v7, v142, v114 /*v370*/
	s_set_vgpr_msb 0x41                     ;  msbs: dst=1 src0=1 src1=0 src2=0
	v_add3_u32 v251 /*v507*/, v217 /*v473*/, v3, v6
	s_set_vgpr_msb 1                        ;  msbs: dst=0 src0=1 src1=0 src2=0
	v_mul_i32_i24_e32 v3, v205 /*v461*/, v122
	v_mul_i32_i24_e32 v6, v209 /*v465*/, v130
	v_add3_u32 v218, v243 /*v499*/, v152, v169
	s_set_vgpr_msb 0x41                     ;  msbs: dst=1 src0=1 src1=0 src2=0
	v_add3_u32 v252 /*v508*/, v218 /*v474*/, v7, v9
	s_set_vgpr_msb 4                        ;  msbs: dst=0 src0=0 src1=1 src2=0
	v_mul_i32_i24_e32 v7, v139, v114 /*v370*/
	v_mul_i32_i24_e32 v9, v141, v109 /*v365*/
	s_set_vgpr_msb 0x41                     ;  msbs: dst=1 src0=1 src1=0 src2=0
	v_add3_u32 v243 /*v499*/, v221 /*v477*/, v3, v6
	s_set_vgpr_msb 1                        ;  msbs: dst=0 src0=1 src1=0 src2=0
	v_mul_i32_i24_e32 v3, v208 /*v464*/, v101
	s_set_vgpr_msb 0                        ;  msbs: dst=0 src0=0 src1=0 src2=0
	v_mul_i32_i24_e32 v6, v14, v124
	s_set_vgpr_msb 1                        ;  msbs: dst=0 src0=1 src1=0 src2=0
	v_mul_i32_i24_e32 v128, v209 /*v465*/, v144
	s_set_vgpr_msb 0x41                     ;  msbs: dst=1 src0=1 src1=0 src2=0
	v_add3_u32 v244 /*v500*/, v224 /*v480*/, v7, v9
	s_set_vgpr_msb 1                        ;  msbs: dst=0 src0=1 src1=0 src2=0
	v_mul_i32_i24_e32 v7, v206 /*v462*/, v101
	v_mul_i32_i24_e32 v9, v204 /*v460*/, v124
	s_set_vgpr_msb 0x41                     ;  msbs: dst=1 src0=1 src1=0 src2=0
	v_add3_u32 v245 /*v501*/, v228 /*v484*/, v3, v6
	s_set_vgpr_msb 1                        ;  msbs: dst=0 src0=1 src1=0 src2=0
	v_mul_i32_i24_e32 v6, v205 /*v461*/, v101
	s_set_vgpr_msb 4                        ;  msbs: dst=0 src0=0 src1=1 src2=0
	v_mul_i32_i24_e32 v130, v141, v95 /*v351*/
	s_set_vgpr_msb 0                        ;  msbs: dst=0 src0=0 src1=0 src2=0
	v_dual_add_nc_u32 v120, v122, v120 :: v_dual_bitop2_b32 v179, 15, v197 bitop3:0x40
	s_set_vgpr_msb 0x41                     ;  msbs: dst=1 src0=1 src1=0 src2=0
	v_add3_u32 v246 /*v502*/, v230 /*v486*/, v7, v9
	s_set_vgpr_msb 1                        ;  msbs: dst=0 src0=1 src1=0 src2=0
	v_mul_i32_i24_e32 v7, v209 /*v465*/, v124
	v_mul_i32_i24_e32 v9, v204 /*v460*/, v144
	;; [unrolled: 1-line block ×3, first 2 shown]
	s_set_vgpr_msb 0                        ;  msbs: dst=0 src0=0 src1=0 src2=0
	v_add_nc_u32_e32 v92, v101, v92
	s_set_vgpr_msb 4                        ;  msbs: dst=0 src0=0 src1=1 src2=0
	v_mul_i32_i24_e32 v101, v142, v70 /*v326*/
	s_set_vgpr_msb 0x41                     ;  msbs: dst=1 src0=1 src1=0 src2=0
	v_add3_u32 v241 /*v497*/, v225 /*v481*/, v6, v7
	s_set_vgpr_msb 1                        ;  msbs: dst=0 src0=1 src1=0 src2=0
	v_mul_i32_i24_e32 v7, v206 /*v462*/, v8
	v_mul_i32_i24_e32 v8, v205 /*v461*/, v8
	v_mul_lo_u32 v114, 0x1010101, v114
	s_set_vgpr_msb 0                        ;  msbs: dst=0 src0=0 src1=0 src2=0
	v_add_nc_u32_e32 v100, v124, v100
	s_set_vgpr_msb 5                        ;  msbs: dst=0 src0=1 src1=1 src2=0
	v_mul_i32_i24_e32 v124, v206 /*v462*/, v158 /*v414*/
	s_set_vgpr_msb 0x41                     ;  msbs: dst=1 src0=1 src1=0 src2=0
	v_add3_u32 v239 /*v495*/, v234 /*v490*/, v7, v9
	v_add3_u32 v240 /*v496*/, v235 /*v491*/, v8, v128
	s_set_vgpr_msb 4                        ;  msbs: dst=0 src0=0 src1=1 src2=0
	v_mul_i32_i24_e32 v128, v139, v103 /*v359*/
	s_set_vgpr_msb 5                        ;  msbs: dst=0 src0=1 src1=1 src2=0
	v_mul_i32_i24_e32 v9, v203 /*v459*/, v95 /*v351*/
	s_set_vgpr_msb 4                        ;  msbs: dst=0 src0=0 src1=1 src2=0
	v_mul_i32_i24_e32 v8, v142, v103 /*v359*/
	s_set_vgpr_msb 0                        ;  msbs: dst=0 src0=0 src1=0 src2=0
	v_add3_u32 v80, v0, v80, v1
	v_mov_b32_e32 v0, v159
	s_set_vgpr_msb 0x41                     ;  msbs: dst=1 src0=1 src1=0 src2=0
	v_add3_u32 v233 /*v489*/, v233 /*v489*/, v128, v130
	s_set_vgpr_msb 1                        ;  msbs: dst=0 src0=1 src1=0 src2=0
	v_mul_i32_i24_e32 v128, v208 /*v464*/, v10
	s_set_vgpr_msb 0                        ;  msbs: dst=0 src0=0 src1=0 src2=0
	v_mul_i32_i24_e32 v130, v14, v12
	s_set_vgpr_msb 1                        ;  msbs: dst=0 src0=1 src1=0 src2=0
	v_mul_i32_i24_e32 v10, v205 /*v461*/, v10
	s_set_vgpr_msb 0                        ;  msbs: dst=0 src0=0 src1=0 src2=0
	v_mov_b32_e32 v1, v158
	s_set_vgpr_msb 0x45                     ;  msbs: dst=1 src0=1 src1=1 src2=0
	v_mul_i32_i24_e32 v196 /*v452*/, v203 /*v459*/, v112 /*v368*/
	v_bfe_i32 v151 /*v407*/, v188 /*v444*/, 16, 8
	s_set_vgpr_msb 0x41                     ;  msbs: dst=1 src0=1 src1=0 src2=0
	v_add3_u32 v232 /*v488*/, v231 /*v487*/, v128, v130
	s_set_vgpr_msb 4                        ;  msbs: dst=0 src0=0 src1=1 src2=0
	v_mul_i32_i24_e32 v128, v148, v70 /*v326*/
	s_set_vgpr_msb 5                        ;  msbs: dst=0 src0=1 src1=1 src2=0
	v_mul_i32_i24_e32 v130, v203 /*v459*/, v55 /*v311*/
	s_set_vgpr_msb 0x41                     ;  msbs: dst=1 src0=1 src1=0 src2=0
	v_bfe_i32 v152 /*v408*/, v188 /*v444*/, 8, 8
	s_set_vgpr_msb 64                       ;  msbs: dst=1 src0=0 src1=0 src2=0
	v_bfe_u32 v180 /*v436*/, v113, 8, 2
	s_set_vgpr_msb 0                        ;  msbs: dst=0 src0=0 src1=0 src2=0
	v_bfe_u32 v176, v113, 16, 2
	v_bfe_u32 v175, v113, 24, 2
	s_set_vgpr_msb 0x41                     ;  msbs: dst=1 src0=1 src1=0 src2=0
	v_add3_u32 v234 /*v490*/, v223 /*v479*/, v128, v130
	s_set_vgpr_msb 1                        ;  msbs: dst=0 src0=1 src1=0 src2=0
	v_mul_i32_i24_e32 v128, v204 /*v460*/, v12
	v_mul_i32_i24_e32 v12, v209 /*v465*/, v12
	s_set_vgpr_msb 0                        ;  msbs: dst=0 src0=0 src1=0 src2=0
	v_mov_b32_e32 v64, v159
	scratch_store_b64 off, v[0:1], off offset:16 ; 8-byte Folded Spill
	s_set_vgpr_msb 1                        ;  msbs: dst=0 src0=1 src1=0 src2=0
	v_bfe_i32 v113, v188 /*v444*/, 0, 8
	s_set_vgpr_msb 0x41                     ;  msbs: dst=1 src0=1 src1=0 src2=0
	v_add3_u32 v223 /*v479*/, v213 /*v469*/, v122, v128
	s_set_vgpr_msb 4                        ;  msbs: dst=0 src0=0 src1=1 src2=0
	v_mul_i32_i24_e32 v122, v209, v55 /*v311*/
	s_set_vgpr_msb 5                        ;  msbs: dst=0 src0=1 src1=1 src2=0
	v_add_nc_u32_e32 v128, v130 /*v386*/, v198 /*v454*/
	s_set_vgpr_msb 0x41                     ;  msbs: dst=1 src0=1 src1=0 src2=0
	v_add3_u32 v225 /*v481*/, v220 /*v476*/, v10, v12
	s_set_vgpr_msb 1                        ;  msbs: dst=0 src0=1 src1=0 src2=0
	v_mul_i32_i24_e32 v10, v208 /*v464*/, v136
	s_set_vgpr_msb 0                        ;  msbs: dst=0 src0=0 src1=0 src2=0
	v_mul_i32_i24_e32 v12, v14, v146
	s_set_vgpr_msb 0x41                     ;  msbs: dst=1 src0=1 src1=0 src2=0
	v_add3_u32 v224 /*v480*/, v214 /*v470*/, v101, v122
	s_set_vgpr_msb 4                        ;  msbs: dst=0 src0=0 src1=1 src2=0
	v_mul_i32_i24_e32 v101, v139, v70 /*v326*/
	v_mul_i32_i24_e32 v122, v141, v55 /*v311*/
	s_wait_xcnt 0x0
	v_mov_b32_e32 v0, v158
	s_set_vgpr_msb 0x41                     ;  msbs: dst=1 src0=1 src1=0 src2=0
	v_add3_u32 v227 /*v483*/, v227 /*v483*/, v10, v12
	s_set_vgpr_msb 5                        ;  msbs: dst=0 src0=1 src1=1 src2=0
	v_mul_i32_i24_e32 v10, v203 /*v459*/, v99 /*v355*/
	s_set_vgpr_msb 0x41                     ;  msbs: dst=1 src0=1 src1=0 src2=0
	v_and_b32_e32 v186 /*v442*/, 0xffff, v196
	v_add3_u32 v226 /*v482*/, v226 /*v482*/, v101, v122
	s_set_vgpr_msb 1                        ;  msbs: dst=0 src0=1 src1=0 src2=0
	v_mul_i32_i24_e32 v101, v204 /*v460*/, v146
	v_mul_i32_i24_e32 v122, v206 /*v462*/, v136
	s_set_vgpr_msb 0                        ;  msbs: dst=0 src0=0 src1=0 src2=0
	v_dual_mov_b32 v1, v151 :: v_dual_mov_b32 v95, v65
	s_set_vgpr_msb 0x45                     ;  msbs: dst=1 src0=1 src1=1 src2=0
	v_mul_i32_i24_e32 v184 /*v440*/, v170 /*v426*/, v151 /*v407*/
	s_set_vgpr_msb 5                        ;  msbs: dst=0 src0=1 src1=1 src2=0
	v_mul_i32_i24_e32 v19, v171 /*v427*/, v152 /*v408*/
	s_set_vgpr_msb 0x41                     ;  msbs: dst=1 src0=1 src1=0 src2=0
	v_add3_u32 v228 /*v484*/, v229 /*v485*/, v122, v101
	s_set_vgpr_msb 4                        ;  msbs: dst=0 src0=0 src1=1 src2=0
	v_mul_i32_i24_e32 v101, v142, v102 /*v358*/
	v_mul_i32_i24_e32 v122, v209, v99 /*v355*/
	s_set_vgpr_msb 0                        ;  msbs: dst=0 src0=0 src1=0 src2=0
	v_add3_u32 v135, v135, v5, v107
	v_mul_i32_i24_e32 v2, v125, v113
	s_clause 0x1
	scratch_store_b64 off, v[0:1], off offset:24
	scratch_store_b64 off, v[94:95], off offset:40
	s_set_vgpr_msb 64                       ;  msbs: dst=1 src0=0 src1=0 src2=0
	v_add3_u32 v230 /*v486*/, v202, v101, v122
	s_set_vgpr_msb 4                        ;  msbs: dst=0 src0=0 src1=1 src2=0
	v_mul_i32_i24_e32 v101, v209, v78 /*v334*/
	v_mul_i32_i24_e32 v122, v142, v64 /*v320*/
	s_set_vgpr_msb 1                        ;  msbs: dst=0 src0=1 src1=0 src2=0
	v_dual_add_nc_u32 v144, v132 /*v388*/, v116 :: v_dual_add_nc_u32 v138, v122 /*v378*/, v138
	s_set_vgpr_msb 4                        ;  msbs: dst=0 src0=0 src1=1 src2=0
	v_mul_i32_i24_e32 v116, v137, v60 /*v316*/
	s_set_vgpr_msb 0x50                     ;  msbs: dst=1 src0=0 src1=0 src2=1
	v_add3_u32 v184 /*v440*/, v19, v2, v184 /*v440*/
	s_set_vgpr_msb 64                       ;  msbs: dst=1 src0=0 src1=0 src2=0
	v_add3_u32 v221 /*v477*/, v205, v122, v101
	s_set_vgpr_msb 1                        ;  msbs: dst=0 src0=1 src1=0 src2=0
	v_mul_i32_i24_e32 v101, v205 /*v461*/, v136
	v_mul_i32_i24_e32 v122, v209 /*v465*/, v146
	s_set_vgpr_msb 64                       ;  msbs: dst=1 src0=0 src1=0 src2=0
	v_and_b32_e32 v187 /*v443*/, 0xffff, v197
	s_set_vgpr_msb 4                        ;  msbs: dst=0 src0=0 src1=1 src2=0
	v_cvt_f32_f16_e64 v19, v157
	v_and_b32_e32 v167, 0xffff, v147 /*v403*/
	v_and_b32_e32 v170, 0xffff, v145 /*v401*/
	s_set_vgpr_msb 64                       ;  msbs: dst=1 src0=0 src1=0 src2=0
	v_add3_u32 v220 /*v476*/, v207, v101, v122
	s_set_vgpr_msb 4                        ;  msbs: dst=0 src0=0 src1=1 src2=0
	v_mul_i32_i24_e32 v101, v14, v160 /*v416*/
	s_set_vgpr_msb 5                        ;  msbs: dst=0 src0=1 src1=1 src2=0
	v_mul_i32_i24_e32 v122, v208 /*v464*/, v158 /*v414*/
	s_set_vgpr_msb 4                        ;  msbs: dst=0 src0=0 src1=1 src2=0
	v_mul_i32_i24_e32 v14, v14, v169 /*v425*/
	s_set_vgpr_msb 64                       ;  msbs: dst=1 src0=0 src1=0 src2=0
	v_and_b32_e32 v147 /*v403*/, 15, v198
	s_set_vgpr_msb 4                        ;  msbs: dst=0 src0=0 src1=1 src2=0
	v_mul_i32_i24_e32 v145, v121, v136 /*v392*/
	v_mul_i32_i24_e32 v147, v121, v132 /*v388*/
	s_set_vgpr_msb 64                       ;  msbs: dst=1 src0=0 src1=0 src2=0
	v_add3_u32 v217 /*v473*/, v103, v122, v101
	s_set_vgpr_msb 5                        ;  msbs: dst=0 src0=1 src1=1 src2=0
	v_mul_i32_i24_e32 v101, v209 /*v465*/, v169 /*v425*/
	v_mul_i32_i24_e32 v103, v205 /*v461*/, v165 /*v421*/
	;; [unrolled: 1-line block ×3, first 2 shown]
	s_set_vgpr_msb 4                        ;  msbs: dst=0 src0=0 src1=1 src2=0
	v_mul_i32_i24_e32 v197, v119, v131 /*v387*/
	s_set_vgpr_msb 1                        ;  msbs: dst=0 src0=1 src1=0 src2=0
	v_dual_add_nc_u32 v140, v123 /*v379*/, v140 :: v_dual_add_nc_u32 v118, v136 /*v392*/, v118
	s_set_vgpr_msb 64                       ;  msbs: dst=1 src0=0 src1=0 src2=0
	v_add3_u32 v212 /*v468*/, v232, v103, v101
	s_set_vgpr_msb 0                        ;  msbs: dst=0 src0=0 src1=0 src2=0
	v_add_nc_u32_e32 v101, v146, v16
	s_set_vgpr_msb 4                        ;  msbs: dst=0 src0=0 src1=1 src2=0
	v_add_nc_u32_e32 v146, v110, v133 /*v389*/
	v_mul_i32_i24_e32 v12, v148, v102 /*v358*/
	v_mul_i32_i24_e32 v7, v148, v103 /*v359*/
	s_set_vgpr_msb 5                        ;  msbs: dst=0 src0=1 src1=1 src2=0
	v_mul_i32_i24_e32 v103, v204 /*v460*/, v160 /*v416*/
	s_set_vgpr_msb 64                       ;  msbs: dst=1 src0=0 src1=0 src2=0
	v_add3_u32 v214 /*v470*/, v105, v122, v14
	s_set_vgpr_msb 5                        ;  msbs: dst=0 src0=1 src1=1 src2=0
	v_mul_i32_i24_e32 v122, v205 /*v461*/, v158 /*v414*/
	s_set_vgpr_msb 64                       ;  msbs: dst=1 src0=0 src1=0 src2=0
	v_add3_u32 v229 /*v485*/, v201, v12, v10
	s_set_vgpr_msb 4                        ;  msbs: dst=0 src0=0 src1=1 src2=0
	v_mul_i32_i24_e32 v10, v139, v102 /*v358*/
	v_mul_i32_i24_e32 v12, v141, v99 /*v355*/
	s_set_vgpr_msb 64                       ;  msbs: dst=1 src0=0 src1=0 src2=0
	v_add3_u32 v236 /*v492*/, v200, v7, v9
	s_set_vgpr_msb 4                        ;  msbs: dst=0 src0=0 src1=1 src2=0
	v_mul_i32_i24_e32 v9, v209, v95 /*v351*/
	s_set_vgpr_msb 64                       ;  msbs: dst=1 src0=0 src1=0 src2=0
	v_add3_u32 v211 /*v467*/, v229, v124, v103
	s_set_vgpr_msb 5                        ;  msbs: dst=0 src0=1 src1=1 src2=0
	v_mul_i32_i24_e32 v124, v209 /*v465*/, v160 /*v416*/
	s_set_vgpr_msb 64                       ;  msbs: dst=1 src0=0 src1=0 src2=0
	v_add3_u32 v231 /*v487*/, v203, v10, v12
	s_set_vgpr_msb 5                        ;  msbs: dst=0 src0=1 src1=1 src2=0
	v_mul_i32_i24_e32 v10, v203 /*v459*/, v78 /*v334*/
	s_set_vgpr_msb 4                        ;  msbs: dst=0 src0=0 src1=1 src2=0
	v_mul_i32_i24_e32 v12, v148, v64 /*v320*/
	s_set_vgpr_msb 0x41                     ;  msbs: dst=1 src0=1 src1=0 src2=0
	v_add3_u32 v235 /*v491*/, v222 /*v478*/, v8, v9
	s_set_vgpr_msb 4                        ;  msbs: dst=0 src0=0 src1=1 src2=0
	v_mul_i32_i24_e32 v18, v148, v118 /*v374*/
	v_mul_i32_i24_e32 v16, v142, v82 /*v338*/
	;; [unrolled: 1-line block ×3, first 2 shown]
	s_set_vgpr_msb 64                       ;  msbs: dst=1 src0=0 src1=0 src2=0
	v_add3_u32 v222 /*v478*/, v206, v12, v10
	s_set_vgpr_msb 4                        ;  msbs: dst=0 src0=0 src1=1 src2=0
	v_mul_i32_i24_e32 v10, v141, v78 /*v334*/
	v_mul_i32_i24_e32 v12, v139, v64 /*v320*/
	v_mul_i32_i24_e32 v130, v148, v85 /*v341*/
	s_set_vgpr_msb 64                       ;  msbs: dst=1 src0=0 src1=0 src2=0
	v_add3_u32 v208 /*v464*/, v231, v122, v124
	s_set_vgpr_msb 5                        ;  msbs: dst=0 src0=1 src1=1 src2=0
	v_mul_i32_i24_e32 v122, v203 /*v459*/, v167 /*v423*/
	s_set_vgpr_msb 4                        ;  msbs: dst=0 src0=0 src1=1 src2=0
	v_add_nc_u32_e32 v124, v112, v134 /*v390*/
	s_set_vgpr_msb 64                       ;  msbs: dst=1 src0=0 src1=0 src2=0
	v_add3_u32 v218 /*v474*/, v233, v12, v10
	s_set_vgpr_msb 4                        ;  msbs: dst=0 src0=0 src1=1 src2=0
	v_mul_i32_i24_e32 v10, v148, v82 /*v338*/
	s_set_vgpr_msb 5                        ;  msbs: dst=0 src0=1 src1=1 src2=0
	v_mul_i32_i24_e32 v12, v203 /*v459*/, v90 /*v346*/
	s_set_vgpr_msb 4                        ;  msbs: dst=0 src0=0 src1=1 src2=0
	v_mul_i32_i24_e32 v110, v142, v85 /*v341*/
	v_mul_i32_i24_e32 v112, v209, v167 /*v423*/
	s_set_vgpr_msb 17                       ;  msbs: dst=0 src0=1 src1=0 src2=1
	v_add3_u32 v107, v215 /*v471*/, v18, v196 /*v452*/
	s_set_vgpr_msb 0                        ;  msbs: dst=0 src0=0 src1=0 src2=0
	v_mov_b32_e32 v9, v94
	s_set_vgpr_msb 64                       ;  msbs: dst=1 src0=0 src1=0 src2=0
	v_add3_u32 v215 /*v471*/, v230, v10, v12
	s_set_vgpr_msb 5                        ;  msbs: dst=0 src0=1 src1=1 src2=0
	v_mul_i32_i24_e32 v12, v206 /*v462*/, v165 /*v421*/
	s_set_vgpr_msb 64                       ;  msbs: dst=1 src0=0 src1=0 src2=0
	v_add3_u32 v209 /*v465*/, v102, v16, v103
	s_set_vgpr_msb 4                        ;  msbs: dst=0 src0=0 src1=1 src2=0
	v_mul_i32_i24_e32 v102, v139, v82 /*v338*/
	v_mul_i32_i24_e32 v103, v141, v90 /*v346*/
	s_set_vgpr_msb 64                       ;  msbs: dst=1 src0=0 src1=0 src2=0
	v_add3_u32 v205 /*v461*/, v211, v130, v122
	v_add3_u32 v206 /*v462*/, v212, v110, v112
	s_set_vgpr_msb 4                        ;  msbs: dst=0 src0=0 src1=1 src2=0
	v_mul_i32_i24_e32 v112, v106, v106 /*v362*/
	s_set_vgpr_msb 1                        ;  msbs: dst=0 src0=1 src1=0 src2=0
	v_mul_i32_i24_e32 v110, v133 /*v389*/, v123
	v_mul_i32_i24_e32 v123, v134 /*v390*/, v129
	s_set_vgpr_msb 4                        ;  msbs: dst=0 src0=0 src1=1 src2=0
	v_mul_i32_i24_e32 v129, v139, v85 /*v341*/
	v_mul_i32_i24_e32 v130, v141, v167 /*v423*/
	s_wait_xcnt 0x0
	v_mov_b64_e32 v[94:95], v[96:97]
	v_mov_b64_e32 v[96:97], v[82:83]
	;; [unrolled: 1-line block ×3, first 2 shown]
	v_lshrrev_b32_e32 v69, 4, v186 /*v442*/
	s_set_vgpr_msb 64                       ;  msbs: dst=1 src0=0 src1=0 src2=0
	v_and_b32_e32 v196 /*v452*/, 0xffff, v198
	s_set_vgpr_msb 5                        ;  msbs: dst=0 src0=1 src1=1 src2=0
	v_mul_i32_i24_e32 v10, v204 /*v460*/, v169 /*v425*/
	s_set_vgpr_msb 4                        ;  msbs: dst=0 src0=0 src1=1 src2=0
	v_mul_i32_i24_e32 v105, v137, v108 /*v364*/
	s_set_vgpr_msb 64                       ;  msbs: dst=1 src0=0 src1=0 src2=0
	v_add3_u32 v210 /*v466*/, v204, v102, v103
	s_set_vgpr_msb 4                        ;  msbs: dst=0 src0=0 src1=1 src2=0
	v_mul_i32_i24_e32 v102, v106, v97 /*v353*/
	v_mul_i32_i24_e32 v103, v121, v130 /*v386*/
	;; [unrolled: 1-line block ×3, first 2 shown]
	s_set_vgpr_msb 5                        ;  msbs: dst=0 src0=1 src1=1 src2=0
	v_add_nc_u32_e32 v142, v131 /*v387*/, v202 /*v458*/
	s_set_vgpr_msb 4                        ;  msbs: dst=0 src0=0 src1=1 src2=0
	v_mul_i32_i24_e32 v198, v119, v135 /*v391*/
	s_set_vgpr_msb 64                       ;  msbs: dst=1 src0=0 src1=0 src2=0
	v_add3_u32 v204 /*v460*/, v213, v129, v130
	v_add3_u32 v203 /*v459*/, v214, v110, v123
	s_set_vgpr_msb 4                        ;  msbs: dst=0 src0=0 src1=1 src2=0
	v_mul_i32_i24_e32 v110, v137, v86 /*v342*/
	s_set_vgpr_msb 64                       ;  msbs: dst=1 src0=0 src1=0 src2=0
	v_add3_u32 v202 /*v458*/, v215, v112, v116
	s_set_vgpr_msb 4                        ;  msbs: dst=0 src0=0 src1=1 src2=0
	v_mul_i32_i24_e32 v112, v106, v79 /*v335*/
	s_set_vgpr_msb 16                       ;  msbs: dst=0 src0=0 src1=0 src2=1
	v_add3_u32 v129, v208, v108, v6 /*v262*/
	s_set_vgpr_msb 20                       ;  msbs: dst=0 src0=0 src1=1 src2=1
	v_add3_u32 v201, v120, v22 /*v278*/, v3 /*v259*/
	s_set_vgpr_msb 0                        ;  msbs: dst=0 src0=0 src1=0 src2=0
	v_mul_lo_u32 v69, 0x1010101, v69
	s_set_vgpr_msb 64                       ;  msbs: dst=1 src0=0 src1=0 src2=0
	v_and_b32_e32 v145 /*v401*/, 15, v196
	s_set_vgpr_msb 0                        ;  msbs: dst=0 src0=0 src1=0 src2=0
	v_add_nc_u32_e32 v196, v136, v132
	s_set_vgpr_msb 4                        ;  msbs: dst=0 src0=0 src1=1 src2=0
	v_mul_i32_i24_e32 v132, v137, v65 /*v321*/
	v_mul_i32_i24_e32 v136, v106, v52 /*v308*/
	v_bfe_i32 v243, v35, 0, 8
	s_set_vgpr_msb 1                        ;  msbs: dst=0 src0=1 src1=0 src2=0
	v_cvt_f32_f16_e64 v5, v200 /*v456*/
	v_and_b32_e32 v169, 0xffff, v149
	v_add_nc_u32_e32 v104, v127 /*v383*/, v104
	s_set_vgpr_msb 4                        ;  msbs: dst=0 src0=0 src1=1 src2=0
	v_mul_i32_i24_e32 v149, v137, v94 /*v350*/
	v_mul_i32_i24_e32 v143, v106, v91 /*v347*/
	;; [unrolled: 1-line block ×5, first 2 shown]
	s_set_vgpr_msb 64                       ;  msbs: dst=1 src0=0 src1=0 src2=0
	v_add3_u32 v200 /*v456*/, v216, v122, v103
	s_set_vgpr_msb 4                        ;  msbs: dst=0 src0=0 src1=1 src2=0
	v_mul_i32_i24_e32 v122, v119, v119 /*v375*/
	v_mul_i32_i24_e32 v123, v137, v66 /*v322*/
	s_set_vgpr_msb 64                       ;  msbs: dst=1 src0=0 src1=0 src2=0
	v_add3_u32 v199 /*v455*/, v217, v102, v105
	s_set_vgpr_msb 4                        ;  msbs: dst=0 src0=0 src1=1 src2=0
	v_mul_i32_i24_e32 v130, v106, v57 /*v313*/
	s_set_vgpr_msb 64                       ;  msbs: dst=1 src0=0 src1=0 src2=0
	v_add3_u32 v198 /*v454*/, v218, v197, v147
	s_set_vgpr_msb 4                        ;  msbs: dst=0 src0=0 src1=1 src2=0
	;; [unrolled: 4-line block ×3, first 2 shown]
	v_mul_i32_i24_e32 v145, v119, v122 /*v378*/
	v_mul_i32_i24_e32 v147, v137, v68 /*v324*/
	;; [unrolled: 1-line block ×7, first 2 shown]
	s_set_vgpr_msb 0                        ;  msbs: dst=0 src0=0 src1=0 src2=0
	v_add3_u32 v137, v140, v48, v36
	s_set_vgpr_msb 4                        ;  msbs: dst=0 src0=0 src1=1 src2=0
	v_add3_u32 v199, v134, v1 /*v257*/, v53
	v_add3_u32 v203, v131, v5 /*v261*/, v57
	s_set_vgpr_msb 20                       ;  msbs: dst=0 src0=0 src1=1 src2=1
	v_add3_u32 v204, v146, v35 /*v291*/, v7 /*v263*/
	s_set_vgpr_msb 4                        ;  msbs: dst=0 src0=0 src1=1 src2=0
	v_add3_u32 v200, v126, v23 /*v279*/, v238
	v_add3_u32 v206, v124, v4 /*v260*/, v56
	;; [unrolled: 1-line block ×3, first 2 shown]
	s_set_vgpr_msb 0                        ;  msbs: dst=0 src0=0 src1=0 src2=0
	v_lshrrev_b32_e32 v106, 24, v20
	s_set_vgpr_msb 4                        ;  msbs: dst=0 src0=0 src1=1 src2=0
	v_lshrrev_b32_e32 v198, 24, v188 /*v444*/
	s_set_vgpr_msb 0                        ;  msbs: dst=0 src0=0 src1=0 src2=0
	v_mul_i32_i24_e32 v124, v129, v113
	v_add3_u32 v140, v80, v136, v132
	v_add3_u32 v132, v135, v112, v110
	v_mul_i32_i24_e32 v112, v201, v111
	v_bfe_i32 v237, v35, 8, 8
	v_bfe_i32 v35, v35, 16, 8
	s_set_vgpr_msb 4                        ;  msbs: dst=0 src0=0 src1=1 src2=0
	v_add3_u32 v205, v92, v17 /*v273*/, v243
	s_set_vgpr_msb 0                        ;  msbs: dst=0 src0=0 src1=0 src2=0
	v_add3_u32 v208, v196, v22, v252
	v_add3_u32 v196, v104, v181, v15
	;; [unrolled: 1-line block ×3, first 2 shown]
	v_lshrrev_b32_e32 v131, 24, v114
	v_lshrrev_b16 v20, 8, v114
	v_add3_u32 v146, v190, v139, v148
	v_bfe_i32 v149, v114, 0, 8
	v_bfe_i32 v190, v114, 16, 8
	v_add3_u32 v92, v192, v119, v121
	s_set_vgpr_msb 4                        ;  msbs: dst=0 src0=0 src1=1 src2=0
	v_mul_i32_i24_e32 v114, v199, v150 /*v406*/
	s_set_vgpr_msb 0                        ;  msbs: dst=0 src0=0 src1=0 src2=0
	v_mul_i32_i24_e32 v119, v203, v198
	s_set_vgpr_msb 4                        ;  msbs: dst=0 src0=0 src1=1 src2=0
	v_mul_i32_i24_e32 v121, v206, v151 /*v407*/
	s_set_vgpr_msb 0                        ;  msbs: dst=0 src0=0 src1=0 src2=0
	v_mul_i32_i24_e32 v80, v201, v113
	v_add3_u32 v134, v81, v130, v123
	v_add3_u32 v130, v133, v122, v116
	v_mul_i32_i24_e32 v110, v207, v106
	s_set_vgpr_msb 4                        ;  msbs: dst=0 src0=0 src1=1 src2=0
	v_mad_i32_i24 v122, v204, v152 /*v408*/, v124
	v_mad_i32_i24 v112, v200, v175 /*v431*/, v112
	s_set_vgpr_msb 0                        ;  msbs: dst=0 src0=0 src1=0 src2=0
	v_add3_u32 v101, v101, v21, v249
	v_add3_u32 v210, v138, v47, v37
	v_add3_u32 v197, v118, v188, v29
	s_set_vgpr_msb 4                        ;  msbs: dst=0 src0=0 src1=1 src2=0
	v_lshrrev_b32_e32 v118, 24, v207 /*v463*/
	s_set_vgpr_msb 0                        ;  msbs: dst=0 src0=0 src1=0 src2=0
	v_add3_u32 v209, v142, v245, v35
	v_add3_u32 v142, v194, v108, v147
	s_set_vgpr_msb 4                        ;  msbs: dst=0 src0=0 src1=1 src2=0
	v_mul_i32_i24_e32 v108, v199, v151 /*v407*/
	s_set_vgpr_msb 0                        ;  msbs: dst=0 src0=0 src1=0 src2=0
	v_mul_i32_i24_e32 v120, v207, v198
	s_set_vgpr_msb 4                        ;  msbs: dst=0 src0=0 src1=1 src2=0
	v_mad_i32_i24 v80, v200, v152 /*v408*/, v80
	s_set_vgpr_msb 0                        ;  msbs: dst=0 src0=0 src1=0 src2=0
	v_add3_u32 v124, v122, v121, v119
	v_add3_u32 v122, v112, v114, v110
	v_mul_i32_i24_e32 v112, v208, v113
	v_add3_u32 v105, v144, v244, v38
	s_set_vgpr_msb 4                        ;  msbs: dst=0 src0=0 src1=1 src2=0
	v_add3_u32 v202, v100, v18 /*v274*/, v237
	s_set_vgpr_msb 0                        ;  msbs: dst=0 src0=0 src1=0 src2=0
	v_add3_u32 v148, v191, v103, v102
	v_mul_i32_i24_e32 v102, v137, v198
	v_add3_u32 v120, v80, v108, v120
	v_mul_i32_i24_e32 v80, v205, v111
	s_set_vgpr_msb 4                        ;  msbs: dst=0 src0=0 src1=1 src2=0
	v_mul_i32_i24_e32 v121, v210, v151 /*v407*/
	v_mad_i32_i24 v112, v101, v152 /*v408*/, v112
	s_set_vgpr_msb 0                        ;  msbs: dst=0 src0=0 src1=0 src2=0
	v_mul_i32_i24_e32 v100, v105, v106
	v_mul_i32_i24_e32 v119, v201, v117
	s_set_vgpr_msb 4                        ;  msbs: dst=0 src0=0 src1=1 src2=0
	v_mad_i32_i24 v80, v202, v175 /*v431*/, v80
	v_mul_i32_i24_e32 v108, v199, v153 /*v409*/
	s_set_vgpr_msb 0                        ;  msbs: dst=0 src0=0 src1=0 src2=0
	v_add3_u32 v138, v112, v121, v102
	s_set_vgpr_msb 4                        ;  msbs: dst=0 src0=0 src1=1 src2=0
	v_mul_i32_i24_e32 v102, v209, v150 /*v406*/
	s_set_vgpr_msb 0                        ;  msbs: dst=0 src0=0 src1=0 src2=0
	v_mul_i32_i24_e32 v110, v205, v117
	v_mad_i32_i24 v112, v200, v115, v119
	v_mul_i32_i24_e32 v123, v127, v113
	v_mul_i32_i24_e32 v139, v205, v113
	v_add3_u32 v100, v80, v102, v100
	v_mul_i32_i24_e32 v102, v207, v118
	v_mad_i32_i24 v110, v202, v115, v110
	s_set_vgpr_msb 5                        ;  msbs: dst=0 src0=1 src1=1 src2=0
	v_mul_i32_i24_e32 v81, v172 /*v428*/, v151 /*v407*/
	s_set_vgpr_msb 0                        ;  msbs: dst=0 src0=0 src1=0 src2=0
	v_mul_i32_i24_e32 v126, v129, v111
	v_mul_i32_i24_e32 v103, v203, v106
	v_add3_u32 v128, v112, v108, v102
	v_mul_i32_i24_e32 v102, v105, v118
	s_set_vgpr_msb 4                        ;  msbs: dst=0 src0=0 src1=1 src2=0
	v_mul_i32_i24_e32 v108, v209, v153 /*v409*/
	v_mul_i32_i24_e32 v116, v206, v150 /*v406*/
	v_mad_i32_i24 v114, v204, v175 /*v431*/, v126
	s_set_vgpr_msb 0                        ;  msbs: dst=0 src0=0 src1=0 src2=0
	v_mul_i32_i24_e32 v80, v125, v111
	s_set_vgpr_msb 5                        ;  msbs: dst=0 src0=1 src1=1 src2=0
	v_mul_i32_i24_e32 v121, v170 /*v426*/, v150 /*v406*/
	s_set_vgpr_msb 0                        ;  msbs: dst=0 src0=0 src1=0 src2=0
	v_add3_u32 v136, v110, v108, v102
	v_mul_i32_i24_e32 v108, v197, v198
	s_set_vgpr_msb 5                        ;  msbs: dst=0 src0=1 src1=1 src2=0
	v_mad_i32_i24 v110, v182 /*v438*/, v152 /*v408*/, v123
	s_set_vgpr_msb 4                        ;  msbs: dst=0 src0=0 src1=1 src2=0
	v_mul_i32_i24_e32 v102, v209, v151 /*v407*/
	s_set_vgpr_msb 0                        ;  msbs: dst=0 src0=0 src1=0 src2=0
	v_add3_u32 v126, v114, v116, v103
	v_mul_i32_i24_e32 v116, v125, v117
	s_set_vgpr_msb 5                        ;  msbs: dst=0 src0=1 src1=1 src2=0
	v_mad_i32_i24 v80, v171 /*v427*/, v175 /*v431*/, v80
	s_set_vgpr_msb 0                        ;  msbs: dst=0 src0=0 src1=0 src2=0
	v_add3_u32 v112, v110, v81, v108
	v_mul_i32_i24_e32 v81, v105, v198
	v_mul_i32_i24_e32 v108, v208, v111
	s_set_vgpr_msb 4                        ;  msbs: dst=0 src0=0 src1=1 src2=0
	v_mad_i32_i24 v110, v202, v152 /*v408*/, v139
	s_set_vgpr_msb 0                        ;  msbs: dst=0 src0=0 src1=0 src2=0
	v_add3_u32 v144, v195, v145, v141
	s_set_vgpr_msb 5                        ;  msbs: dst=0 src0=1 src1=1 src2=0
	v_mul_i32_i24_e32 v103, v170 /*v426*/, v153 /*v409*/
	s_set_vgpr_msb 64                       ;  msbs: dst=1 src0=0 src1=0 src2=0
	v_bfe_i32 v188 /*v444*/, v20, 0, 8
	s_set_vgpr_msb 4                        ;  msbs: dst=0 src0=0 src1=1 src2=0
	v_mad_i32_i24 v108, v101, v175 /*v431*/, v108
	s_set_vgpr_msb 0                        ;  msbs: dst=0 src0=0 src1=0 src2=0
	v_add3_u32 v114, v110, v102, v81
	s_set_vgpr_msb 4                        ;  msbs: dst=0 src0=0 src1=1 src2=0
	v_mul_i32_i24_e32 v81, v210, v150 /*v406*/
	s_set_vgpr_msb 0                        ;  msbs: dst=0 src0=0 src1=0 src2=0
	v_mul_i32_i24_e32 v102, v137, v106
	v_mul_i32_i24_e32 v20, v129, v149
	s_set_vgpr_msb 1                        ;  msbs: dst=0 src0=1 src1=0 src2=0
	v_bfe_u32 v133, v237 /*v493*/, 24, 2
	v_bfe_u32 v139, v237 /*v493*/, 16, 2
	s_set_vgpr_msb 0x41                     ;  msbs: dst=1 src0=1 src1=0 src2=0
	v_bfe_u32 v207 /*v463*/, v148 /*v404*/, 16, 2
	s_set_vgpr_msb 0                        ;  msbs: dst=0 src0=0 src1=0 src2=0
	v_add3_u32 v192, v108, v81, v102
	v_mul_i32_i24_e32 v102, v196, v106
	v_mul_i32_i24_e32 v81, v208, v117
	s_set_vgpr_msb 1                        ;  msbs: dst=0 src0=1 src1=0 src2=0
	v_mad_i32_i24 v108, v171 /*v427*/, v115, v116
	s_set_vgpr_msb 4                        ;  msbs: dst=0 src0=0 src1=1 src2=0
	v_mad_i32_i24 v20, v204, v188 /*v444*/, v20
	s_set_vgpr_msb 1                        ;  msbs: dst=0 src0=1 src1=0 src2=0
	v_bfe_u32 v116, v148 /*v404*/, 8, 2
	s_set_vgpr_msb 0                        ;  msbs: dst=0 src0=0 src1=0 src2=0
	v_add3_u32 v195, v80, v121, v102
	v_mul_i32_i24_e32 v102, v196, v118
	s_set_vgpr_msb 4                        ;  msbs: dst=0 src0=0 src1=1 src2=0
	v_mul_i32_i24_e32 v80, v210, v153 /*v409*/
	s_set_vgpr_msb 0                        ;  msbs: dst=0 src0=0 src1=0 src2=0
	v_mad_i32_i24 v81, v101, v115, v81
	s_set_vgpr_msb 0x41                     ;  msbs: dst=1 src0=1 src1=0 src2=0
	v_bfe_u32 v237 /*v493*/, v148 /*v404*/, 24, 2
	s_set_vgpr_msb 0                        ;  msbs: dst=0 src0=0 src1=0 src2=0
	v_and_b32_e32 v121, 3, v109
	v_add3_u32 v193, v108, v103, v102
	v_mul_i32_i24_e32 v102, v137, v118
	v_mul_i32_i24_e32 v103, v209, v190
	v_bfe_u32 v123, v109, 8, 2
	s_set_vgpr_msb 64                       ;  msbs: dst=1 src0=0 src1=0 src2=0
	v_bfe_u32 v148 /*v404*/, v109, 16, 2
	s_set_vgpr_msb 0                        ;  msbs: dst=0 src0=0 src1=0 src2=0
	v_lshrrev_b32_e32 v119, 24, v109
	v_add3_u32 v110, v81, v80, v102
	v_mul_i32_i24_e32 v80, v206, v190
	v_mul_i32_i24_e32 v81, v203, v131
	;; [unrolled: 1-line block ×3, first 2 shown]
	s_set_vgpr_msb 1                        ;  msbs: dst=0 src0=1 src1=0 src2=0
	v_bfe_u32 v145, v146 /*v402*/, 24, 2
	s_set_vgpr_msb 0                        ;  msbs: dst=0 src0=0 src1=0 src2=0
	v_bfe_u32 v109, v93, 16, 2
	v_mul_i32_i24_e32 v135, v137, v131
	v_add3_u32 v194, v20, v80, v81
	v_mul_i32_i24_e32 v80, v201, v149
	v_mul_i32_i24_e32 v81, v207, v131
	s_set_vgpr_msb 5                        ;  msbs: dst=0 src0=1 src1=1 src2=0
	v_add_nc_u32_e32 v141, v119 /*v375*/, v163 /*v419*/
	v_bfe_i32 v137, v159 /*v415*/, 0, 8
	v_and_b32_e32 v191, 3, v189 /*v445*/
	s_set_vgpr_msb 4                        ;  msbs: dst=0 src0=0 src1=1 src2=0
	v_mad_i32_i24 v80, v200, v188 /*v444*/, v80
	s_set_vgpr_msb 0x44                     ;  msbs: dst=1 src0=0 src1=1 src2=0
	v_lshrrev_b32_e32 v159 /*v415*/, 24, v219 /*v475*/
	s_set_vgpr_msb 0                        ;  msbs: dst=0 src0=0 src1=0 src2=0
	v_add3_u32 v233, v141, v51, v30
	s_set_vgpr_msb 1                        ;  msbs: dst=0 src0=1 src1=0 src2=0
	v_bfe_u32 v147, v137 /*v393*/, 16, 2
	s_set_vgpr_msb 64                       ;  msbs: dst=1 src0=0 src1=0 src2=0
	v_add3_u32 v213 /*v469*/, v228, v12, v10
	s_set_vgpr_msb 0                        ;  msbs: dst=0 src0=0 src1=0 src2=0
	v_add3_u32 v102, v80, v102, v81
	v_mul_i32_i24_e32 v80, v205, v149
	v_mul_i32_i24_e32 v81, v105, v131
	s_set_vgpr_msb 5                        ;  msbs: dst=0 src0=1 src1=1 src2=0
	v_mul_i32_i24_e32 v207, v125 /*v381*/, v126 /*v382*/
	v_mul_i32_i24_e32 v218, v124 /*v380*/, v127 /*v383*/
	s_set_vgpr_msb 4                        ;  msbs: dst=0 src0=0 src1=1 src2=0
	v_mul_i32_i24_e32 v215, v145, v75 /*v331*/
	v_mad_i32_i24 v80, v202, v188 /*v444*/, v80
	s_set_vgpr_msb 5                        ;  msbs: dst=0 src0=1 src1=1 src2=0
	v_mul_i32_i24_e32 v232, v120 /*v376*/, v122 /*v378*/
	v_dual_add_nc_u32 v205, v118 /*v374*/, v115 /*v371*/ :: v_dual_add_nc_u32 v211, v112 /*v368*/, v110 /*v366*/
	s_set_vgpr_msb 0x44                     ;  msbs: dst=1 src0=0 src1=1 src2=0
	v_and_b32_e32 v118 /*v374*/, 3, v190 /*v446*/
	s_set_vgpr_msb 0                        ;  msbs: dst=0 src0=0 src1=0 src2=0
	v_add3_u32 v143, v80, v103, v81
	v_mul_i32_i24_e32 v80, v127, v149
	v_mul_i32_i24_e32 v81, v197, v131
	s_set_vgpr_msb 1                        ;  msbs: dst=0 src0=1 src1=0 src2=0
	v_mul_i32_i24_e32 v103, v172 /*v428*/, v190
	v_bfe_u32 v127, v146 /*v402*/, 16, 2
	s_set_vgpr_msb 64                       ;  msbs: dst=1 src0=0 src1=0 src2=0
	v_and_b32_e32 v172 /*v428*/, 3, v93
	s_set_vgpr_msb 5                        ;  msbs: dst=0 src0=1 src1=1 src2=0
	v_mad_i32_i24 v80, v182 /*v438*/, v188 /*v444*/, v80
	s_set_vgpr_msb 64                       ;  msbs: dst=1 src0=0 src1=0 src2=0
	v_bfe_u32 v146 /*v402*/, v93, 24, 2
	s_set_vgpr_msb 5                        ;  msbs: dst=0 src0=1 src1=1 src2=0
	v_add_nc_u32_e32 v214, v114 /*v370*/, v113 /*v369*/
	s_set_vgpr_msb 4                        ;  msbs: dst=0 src0=0 src1=1 src2=0
	v_mul_i32_i24_e32 v217, v127, v73 /*v329*/
	s_set_vgpr_msb 5                        ;  msbs: dst=0 src0=1 src1=1 src2=0
	v_add_nc_u32_e32 v216, v109 /*v365*/, v107 /*v363*/
	s_set_vgpr_msb 0                        ;  msbs: dst=0 src0=0 src1=0 src2=0
	v_add3_u32 v200, v80, v103, v81
	v_mul_i32_i24_e32 v80, v125, v149
	v_mul_i32_i24_e32 v81, v196, v131
	s_set_vgpr_msb 1                        ;  msbs: dst=0 src0=1 src1=0 src2=0
	v_mul_i32_i24_e32 v103, v170 /*v426*/, v190
	s_set_vgpr_msb 64                       ;  msbs: dst=1 src0=0 src1=0 src2=0
	v_bfe_u32 v170 /*v426*/, v93, 8, 2
	s_set_vgpr_msb 5                        ;  msbs: dst=0 src0=1 src1=1 src2=0
	v_and_b32_e32 v125, 3, v242 /*v498*/
	v_mad_i32_i24 v80, v171 /*v427*/, v188 /*v444*/, v80
	v_add_nc_u32_e32 v93, v80 /*v336*/, v154 /*v410*/
	s_set_vgpr_msb 0x45                     ;  msbs: dst=1 src0=1 src1=1 src2=0
	v_bfe_u32 v154 /*v410*/, v242 /*v498*/, 16, 2
	v_dual_add_nc_u32 v114 /*v370*/, v108 /*v364*/, v105 /*v361*/ :: v_dual_add_nc_u32 v100 /*v356*/, v102 /*v358*/, v100 /*v356*/
	v_add_nc_u32_e32 v102 /*v358*/, v99 /*v355*/, v98 /*v354*/
	s_set_vgpr_msb 0                        ;  msbs: dst=0 src0=0 src1=0 src2=0
	v_add3_u32 v199, v80, v103, v81
	s_set_vgpr_msb 5                        ;  msbs: dst=0 src0=1 src1=1 src2=0
	v_dual_add_nc_u32 v80, v160 /*v416*/, v157 /*v413*/ :: v_dual_add_nc_u32 v81, v158 /*v414*/, v156 /*v412*/
	v_add_nc_u32_e32 v103, v87 /*v343*/, v155 /*v411*/
	s_set_vgpr_msb 0                        ;  msbs: dst=0 src0=0 src1=0 src2=0
	v_add3_u32 v93, v93, v61, v41
	s_set_vgpr_msb 0x41                     ;  msbs: dst=1 src0=1 src1=0 src2=0
	v_bfe_i32 v156 /*v412*/, v161 /*v417*/, 0, 8
	s_set_vgpr_msb 16                       ;  msbs: dst=0 src0=0 src1=0 src2=1
	v_add3_u32 v105, v80, v13, v36 /*v292*/
	s_set_vgpr_msb 20                       ;  msbs: dst=0 src0=0 src1=1 src2=1
	v_add3_u32 v108, v81, v13 /*v269*/, v37 /*v293*/
	s_set_vgpr_msb 0                        ;  msbs: dst=0 src0=0 src1=0 src2=0
	v_mul_i32_i24_e32 v80, v208, v149
	v_add3_u32 v103, v103, v58, v34
	v_mul_i32_i24_e32 v81, v210, v190
	s_set_vgpr_msb 0x41                     ;  msbs: dst=1 src0=1 src1=0 src2=0
	v_bfe_u32 v160 /*v416*/, v242 /*v498*/, 8, 2
	s_set_vgpr_msb 0x44                     ;  msbs: dst=1 src0=0 src1=1 src2=0
	v_lshrrev_b32_e32 v158 /*v414*/, 24, v242 /*v498*/
	s_set_vgpr_msb 4                        ;  msbs: dst=0 src0=0 src1=1 src2=0
	v_mad_i32_i24 v80, v101, v188 /*v444*/, v80
	s_set_vgpr_msb 0                        ;  msbs: dst=0 src0=0 src1=0 src2=0
	v_mul_i32_i24_e32 v101, v108, v149
	s_set_vgpr_msb 0x45                     ;  msbs: dst=1 src0=1 src1=1 src2=0
	v_bfe_u32 v161 /*v417*/, v219 /*v475*/, 8, 2
	v_add_nc_u32_e32 v99 /*v355*/, v60 /*v316*/, v58 /*v314*/
	v_mul_i32_i24_e32 v109 /*v365*/, v124 /*v380*/, v87 /*v343*/
	s_set_vgpr_msb 0                        ;  msbs: dst=0 src0=0 src1=0 src2=0
	v_add3_u32 v202, v80, v81, v135
	v_mul_i32_i24_e32 v80, v93, v190
	v_mul_i32_i24_e32 v81, v103, v131
	s_set_vgpr_msb 4                        ;  msbs: dst=0 src0=0 src1=1 src2=0
	v_mad_i32_i24 v101, v105, v188 /*v444*/, v101
	s_set_vgpr_msb 0x44                     ;  msbs: dst=1 src0=0 src1=1 src2=0
	v_and_b32_e32 v115 /*v371*/, 3, v191 /*v447*/
	s_set_vgpr_msb 5                        ;  msbs: dst=0 src0=1 src1=1 src2=0
	v_add_nc_u32_e32 v221, v52 /*v308*/, v51 /*v307*/
	s_set_vgpr_msb 0x45                     ;  msbs: dst=1 src0=1 src1=1 src2=0
	v_mul_i32_i24_e32 v105 /*v361*/, v176 /*v432*/, v25 /*v281*/
	s_set_vgpr_msb 5                        ;  msbs: dst=0 src0=1 src1=1 src2=0
	v_mul_i32_i24_e32 v212, v173 /*v429*/, v32 /*v288*/
	s_set_vgpr_msb 0                        ;  msbs: dst=0 src0=0 src1=0 src2=0
	v_add3_u32 v201, v101, v80, v81
	s_set_vgpr_msb 5                        ;  msbs: dst=0 src0=1 src1=1 src2=0
	v_add_nc_u32_e32 v80, v165 /*v421*/, v164 /*v420*/
	v_add_nc_u32_e32 v101, v169 /*v425*/, v166 /*v422*/
	;; [unrolled: 1-line block ×3, first 2 shown]
	s_set_vgpr_msb 0x54                     ;  msbs: dst=1 src0=0 src1=1 src2=1
	v_and_b32_e32 v164 /*v420*/, 3, v219 /*v475*/
	v_and_b32_e32 v165 /*v421*/, 3, v216 /*v472*/
	v_add3_u32 v182 /*v438*/, v80, v41 /*v297*/, v43 /*v299*/
	s_set_vgpr_msb 0                        ;  msbs: dst=0 src0=0 src1=0 src2=0
	v_mul_i32_i24_e32 v80, v129, v117
	v_add3_u32 v81, v81, v49, v23
	s_set_vgpr_msb 0x50                     ;  msbs: dst=1 src0=0 src1=0 src2=1
	v_add3_u32 v157 /*v413*/, v101, v137, v156 /*v412*/
	s_set_vgpr_msb 0                        ;  msbs: dst=0 src0=0 src1=0 src2=0
	v_mul_i32_i24_e32 v101, v203, v118
	s_set_vgpr_msb 4                        ;  msbs: dst=0 src0=0 src1=1 src2=0
	v_mul_i32_i24_e32 v129, v206, v153 /*v409*/
	s_set_vgpr_msb 0                        ;  msbs: dst=0 src0=0 src1=0 src2=0
	v_mad_i32_i24 v80, v204, v115, v80
	s_set_vgpr_msb 1                        ;  msbs: dst=0 src0=1 src1=0 src2=0
	v_mul_i32_i24_e32 v141, v182 /*v438*/, v117
	s_set_vgpr_msb 0x41                     ;  msbs: dst=1 src0=1 src1=0 src2=0
	v_bfe_u32 v166 /*v422*/, v216 /*v472*/, 8, 2
	s_set_vgpr_msb 5                        ;  msbs: dst=0 src0=1 src1=1 src2=0
	v_mul_i32_i24_e32 v213, v176 /*v432*/, v30 /*v286*/
	s_set_vgpr_msb 0                        ;  msbs: dst=0 src0=0 src1=0 src2=0
	v_mov_b64_e32 v[154:155], v[78:79]
	v_add3_u32 v208, v80, v129, v101
	s_set_vgpr_msb 4                        ;  msbs: dst=0 src0=0 src1=1 src2=0
	v_mul_i32_i24_e32 v80, v233, v153 /*v409*/
	s_set_vgpr_msb 0                        ;  msbs: dst=0 src0=0 src1=0 src2=0
	v_mul_i32_i24_e32 v101, v81, v118
	s_set_vgpr_msb 1                        ;  msbs: dst=0 src0=1 src1=0 src2=0
	v_mad_i32_i24 v129, v157 /*v413*/, v115, v141
	s_set_vgpr_msb 0x41                     ;  msbs: dst=1 src0=1 src1=0 src2=0
	v_add3_u32 v202 /*v458*/, v202 /*v458*/, v212, v213
	s_set_vgpr_msb 5                        ;  msbs: dst=0 src0=1 src1=1 src2=0
	v_mul_i32_i24_e32 v213, v173 /*v429*/, v33 /*v289*/
	s_set_vgpr_msb 0                        ;  msbs: dst=0 src0=0 src1=0 src2=0
	v_mov_b64_e32 v[78:79], v[98:99]
	v_mov_b64_e32 v[98:99], v[84:85]
	v_add3_u32 v80, v129, v80, v101
	v_mul_i32_i24_e32 v101, v108, v117
	v_mul_i32_i24_e32 v117, v103, v118
	s_set_vgpr_msb 4                        ;  msbs: dst=0 src0=0 src1=1 src2=0
	v_mul_i32_i24_e32 v129, v93, v153 /*v409*/
	s_set_vgpr_msb 0x44                     ;  msbs: dst=1 src0=0 src1=1 src2=0
	v_lshrrev_b32_e32 v153 /*v409*/, 16, v219 /*v475*/
	s_set_vgpr_msb 0                        ;  msbs: dst=0 src0=0 src1=0 src2=0
	v_mov_b64_e32 v[84:85], v[70:71]
	v_mad_i32_i24 v101, v105, v115, v101
	s_set_vgpr_msb 1                        ;  msbs: dst=0 src0=1 src1=0 src2=0
	v_mul_i32_i24_e32 v115, v182 /*v438*/, v113
	s_set_vgpr_msb 5                        ;  msbs: dst=0 src0=1 src1=1 src2=0
	v_add3_u32 v71, v100 /*v356*/, v15 /*v271*/, v247
	s_set_vgpr_msb 0                        ;  msbs: dst=0 src0=0 src1=0 src2=0
	v_mov_b64_e32 v[6:7], v[86:87]
	v_mov_b64_e32 v[86:87], v[72:73]
	s_set_vgpr_msb 64                       ;  msbs: dst=1 src0=0 src1=0 src2=0
	v_add3_u32 v242 /*v498*/, v101, v129, v117
	s_set_vgpr_msb 0                        ;  msbs: dst=0 src0=0 src1=0 src2=0
	v_mul_i32_i24_e32 v101, v81, v198
	s_set_vgpr_msb 4                        ;  msbs: dst=0 src0=0 src1=1 src2=0
	v_mul_i32_i24_e32 v117, v233, v151 /*v407*/
	s_set_vgpr_msb 5                        ;  msbs: dst=0 src0=1 src1=1 src2=0
	v_mad_i32_i24 v115, v157 /*v413*/, v152 /*v408*/, v115
	v_bfe_u32 v129, v137 /*v393*/, 24, 2
	s_set_vgpr_msb 4                        ;  msbs: dst=0 src0=0 src1=1 src2=0
	v_mul_i32_i24_e32 v230, v139, v57 /*v313*/
	v_mov_b64_e32 v[2:3], v[88:89]
	v_mov_b64_e32 v[88:89], v[74:75]
	s_set_vgpr_msb 64                       ;  msbs: dst=1 src0=0 src1=0 src2=0
	v_add3_u32 v171 /*v427*/, v115, v117, v101
	s_set_vgpr_msb 0                        ;  msbs: dst=0 src0=0 src1=0 src2=0
	v_mul_i32_i24_e32 v101, v108, v113
	v_mul_i32_i24_e32 v113, v103, v198
	s_set_vgpr_msb 4                        ;  msbs: dst=0 src0=0 src1=1 src2=0
	v_mul_i32_i24_e32 v115, v93, v151 /*v407*/
	v_mul_i32_i24_e32 v93, v93, v150 /*v406*/
	s_set_vgpr_msb 0                        ;  msbs: dst=0 src0=0 src1=0 src2=0
	v_mul_i32_i24_e32 v103, v103, v106
	s_set_vgpr_msb 4                        ;  msbs: dst=0 src0=0 src1=1 src2=0
	v_mad_i32_i24 v101, v105, v152 /*v408*/, v101
	v_mul_i32_i24_e32 v117, v139, v91 /*v347*/
	s_set_vgpr_msb 20                       ;  msbs: dst=0 src0=0 src1=1 src2=1
	v_add3_u32 v75, v211, v30 /*v286*/, v11 /*v267*/
	s_set_vgpr_msb 5                        ;  msbs: dst=0 src0=1 src1=1 src2=0
	v_mul_i32_i24_e32 v219, v173 /*v429*/, v26 /*v282*/
	s_set_vgpr_msb 0                        ;  msbs: dst=0 src0=0 src1=0 src2=0
	v_mul_i32_i24_e32 v118, v197, v118
	s_set_vgpr_msb 64                       ;  msbs: dst=1 src0=0 src1=0 src2=0
	v_add3_u32 v219 /*v475*/, v101, v115, v113
	s_set_vgpr_msb 0                        ;  msbs: dst=0 src0=0 src1=0 src2=0
	v_mul_i32_i24_e32 v101, v108, v111
	s_set_vgpr_msb 1                        ;  msbs: dst=0 src0=1 src1=0 src2=0
	v_mul_i32_i24_e32 v108, v182 /*v438*/, v111
	s_set_vgpr_msb 4                        ;  msbs: dst=0 src0=0 src1=1 src2=0
	v_mul_i32_i24_e32 v111, v233, v150 /*v406*/
	s_set_vgpr_msb 1                        ;  msbs: dst=0 src0=1 src1=0 src2=0
	v_bfe_u32 v113, v216 /*v472*/, 24, 2
	s_set_vgpr_msb 4                        ;  msbs: dst=0 src0=0 src1=1 src2=0
	v_mul_i32_i24_e32 v115, v145, v68 /*v324*/
	v_mad_i32_i24 v101, v105, v175 /*v431*/, v101
	s_set_vgpr_msb 0                        ;  msbs: dst=0 src0=0 src1=0 src2=0
	v_mul_i32_i24_e32 v105, v81, v106
	s_set_vgpr_msb 5                        ;  msbs: dst=0 src0=1 src1=1 src2=0
	v_mad_i32_i24 v108, v157 /*v413*/, v175 /*v431*/, v108
	s_set_vgpr_msb 0                        ;  msbs: dst=0 src0=0 src1=0 src2=0
	v_mul_i32_i24_e32 v106, v197, v106
	s_set_vgpr_msb 5                        ;  msbs: dst=0 src0=1 src1=1 src2=0
	v_add_nc_u32_e32 v212, v55 /*v311*/, v53 /*v309*/
	s_set_vgpr_msb 0                        ;  msbs: dst=0 src0=0 src1=0 src2=0
	v_add3_u32 v103, v101, v93, v103
	s_set_vgpr_msb 5                        ;  msbs: dst=0 src0=1 src1=1 src2=0
	v_mul_i32_i24_e32 v93, v134 /*v390*/, v141 /*v397*/
	v_mul_i32_i24_e32 v101, v133 /*v389*/, v144 /*v400*/
	s_set_vgpr_msb 64                       ;  msbs: dst=1 src0=0 src1=0 src2=0
	v_add3_u32 v175 /*v431*/, v108, v111, v105
	s_set_vgpr_msb 5                        ;  msbs: dst=0 src0=1 src1=1 src2=0
	v_bfe_u32 v111, v216 /*v472*/, 16, 2
	v_mul_i32_i24_e32 v105, v129 /*v385*/, v136 /*v392*/
	v_bfe_u32 v108, v189 /*v445*/, 8, 2
	s_set_vgpr_msb 1                        ;  msbs: dst=0 src0=1 src1=0 src2=0
	v_add3_u32 v209, v255 /*v511*/, v101, v93
	s_set_vgpr_msb 4                        ;  msbs: dst=0 src0=0 src1=1 src2=0
	v_mul_i32_i24_e32 v93, v145, v60 /*v316*/
	v_mul_i32_i24_e32 v101, v127, v106 /*v362*/
	s_set_vgpr_msb 5                        ;  msbs: dst=0 src0=1 src1=1 src2=0
	v_add_nc_u32_e32 v222, v57 /*v313*/, v54 /*v310*/
	s_set_vgpr_msb 64                       ;  msbs: dst=1 src0=0 src1=0 src2=0
	v_bfe_i32 v100 /*v356*/, v69, 8, 8
	s_set_vgpr_msb 0                        ;  msbs: dst=0 src0=0 src1=0 src2=0
	v_mov_b32_e32 v0, v153
	scratch_store_b64 off, v[64:65], off offset:32 ; 8-byte Folded Spill
	s_set_vgpr_msb 64                       ;  msbs: dst=1 src0=0 src1=0 src2=0
	v_add3_u32 v255 /*v511*/, v107, v101, v93
	s_set_vgpr_msb 5                        ;  msbs: dst=0 src0=1 src1=1 src2=0
	v_mul_i32_i24_e32 v93, v134 /*v390*/, v140 /*v396*/
	v_mul_i32_i24_e32 v101, v133 /*v389*/, v143 /*v399*/
	;; [unrolled: 1-line block ×3, first 2 shown]
	s_set_vgpr_msb 1                        ;  msbs: dst=0 src0=1 src1=0 src2=0
	scratch_store_b64 off, v[0:1], off offset:48 ; 8-byte Folded Spill
	s_wait_xcnt 0x1
	v_bfe_i32 v64, v71 /*v327*/, 0, 8
	s_set_vgpr_msb 0x41                     ;  msbs: dst=1 src0=1 src1=0 src2=0
	v_bfe_u32 v169 /*v425*/, v194 /*v450*/, 8, 2
	s_set_vgpr_msb 1                        ;  msbs: dst=0 src0=1 src1=0 src2=0
	v_add3_u32 v210, v253 /*v509*/, v101, v93
	s_set_vgpr_msb 4                        ;  msbs: dst=0 src0=0 src1=1 src2=0
	v_mul_i32_i24_e32 v93, v129, v60 /*v316*/
	v_mul_i32_i24_e32 v101, v147, v106 /*v362*/
	s_set_vgpr_msb 0x41                     ;  msbs: dst=1 src0=1 src1=0 src2=0
	v_bfe_u32 v141 /*v397*/, v194 /*v450*/, 16, 2
	v_bfe_u32 v137 /*v393*/, v194 /*v450*/, 24, 2
	s_set_vgpr_msb 0x44                     ;  msbs: dst=1 src0=0 src1=1 src2=0
	v_lshrrev_b32_e32 v143 /*v399*/, 24, v193 /*v449*/
	s_set_vgpr_msb 1                        ;  msbs: dst=0 src0=1 src1=0 src2=0
	v_bfe_u32 v141, v192 /*v448*/, 8, 2
	s_set_vgpr_msb 0x41                     ;  msbs: dst=1 src0=1 src1=0 src2=0
	v_add3_u32 v253 /*v509*/, v254 /*v510*/, v101, v93
	s_set_vgpr_msb 5                        ;  msbs: dst=0 src0=1 src1=1 src2=0
	v_mul_i32_i24_e32 v93, v134 /*v390*/, v139 /*v395*/
	v_mul_i32_i24_e32 v101, v133 /*v389*/, v142 /*v398*/
	s_set_vgpr_msb 0x44                     ;  msbs: dst=1 src0=0 src1=1 src2=0
	v_and_b32_e32 v139 /*v395*/, 3, v192 /*v448*/
	s_set_vgpr_msb 0x41                     ;  msbs: dst=1 src0=1 src1=0 src2=0
	v_bfe_u32 v133 /*v389*/, v192 /*v448*/, 16, 2
	v_bfe_u32 v134 /*v390*/, v192 /*v448*/, 24, 2
	s_set_vgpr_msb 0x44                     ;  msbs: dst=1 src0=0 src1=1 src2=0
	v_dual_lshrrev_b32 v162 /*v418*/, 24, v195 /*v451*/ :: v_dual_bitop2_b32 v151 /*v407*/, 3, v195 /*v451*/ bitop3:0x40
	s_set_vgpr_msb 0x41                     ;  msbs: dst=1 src0=1 src1=0 src2=0
	v_add3_u32 v247 /*v503*/, v247 /*v503*/, v101, v93
	s_set_vgpr_msb 4                        ;  msbs: dst=0 src0=0 src1=1 src2=0
	v_mul_i32_i24_e32 v93, v133, v60 /*v316*/
	v_mul_i32_i24_e32 v101, v139, v106 /*v362*/
	s_set_vgpr_msb 0x41                     ;  msbs: dst=1 src0=1 src1=0 src2=0
	v_bfe_u32 v152 /*v408*/, v195 /*v451*/, 8, 2
	s_set_vgpr_msb 0x44                     ;  msbs: dst=1 src0=0 src1=1 src2=0
	v_lshrrev_b32_e32 v150 /*v406*/, 16, v195 /*v451*/
	s_set_vgpr_msb 0                        ;  msbs: dst=0 src0=0 src1=0 src2=0
	v_cvt_f32_f16_e64 v18, v161
	s_set_vgpr_msb 1                        ;  msbs: dst=0 src0=1 src1=0 src2=0
	v_mul_i32_i24_e32 v225, v178 /*v434*/, v62
	s_set_vgpr_msb 0x41                     ;  msbs: dst=1 src0=1 src1=0 src2=0
	v_add3_u32 v248 /*v504*/, v248 /*v504*/, v101, v93
	s_set_vgpr_msb 5                        ;  msbs: dst=0 src0=1 src1=1 src2=0
	v_mul_i32_i24_e32 v93, v129 /*v385*/, v130 /*v386*/
	v_mul_i32_i24_e32 v101, v125 /*v381*/, v128 /*v384*/
	s_set_vgpr_msb 0                        ;  msbs: dst=0 src0=0 src1=0 src2=0
	v_mov_b64_e32 v[160:161], v[66:67]
	s_set_vgpr_msb 1                        ;  msbs: dst=0 src0=1 src1=0 src2=0
	v_mul_i32_i24_e32 v67, v178 /*v434*/, v168
	v_bfe_u32 v135, v138 /*v394*/, 8, 2
	s_set_vgpr_msb 0x41                     ;  msbs: dst=1 src0=1 src1=0 src2=0
	v_mul_i32_i24_e32 v53 /*v309*/, v181 /*v437*/, v246
	v_add3_u32 v249 /*v505*/, v249 /*v505*/, v101, v93
	s_set_vgpr_msb 4                        ;  msbs: dst=0 src0=0 src1=1 src2=0
	v_mul_i32_i24_e32 v93, v145, v108 /*v364*/
	v_mul_i32_i24_e32 v101, v127, v97 /*v353*/
	s_set_vgpr_msb 0x41                     ;  msbs: dst=1 src0=1 src1=0 src2=0
	v_mul_i32_i24_e32 v58 /*v314*/, v179 /*v435*/, v54
	v_mul_i32_i24_e32 v60 /*v316*/, v179 /*v435*/, v42
	;; [unrolled: 1-line block ×3, first 2 shown]
	s_set_vgpr_msb 0x44                     ;  msbs: dst=1 src0=0 src1=1 src2=0
	v_dual_lshrrev_b32 v140 /*v396*/, 16, v193 /*v449*/ :: v_dual_bitop2_b32 v163 /*v419*/, 3, v193 /*v449*/ bitop3:0x40
	s_set_vgpr_msb 0x41                     ;  msbs: dst=1 src0=1 src1=0 src2=0
	v_add3_u32 v142 /*v398*/, v250 /*v506*/, v101, v93
	s_set_vgpr_msb 5                        ;  msbs: dst=0 src0=1 src1=1 src2=0
	v_mul_i32_i24_e32 v93, v121 /*v377*/, v130 /*v386*/
	v_mul_i32_i24_e32 v101, v117 /*v373*/, v128 /*v384*/
	s_set_vgpr_msb 0x41                     ;  msbs: dst=1 src0=1 src1=0 src2=0
	v_bfe_u32 v144 /*v400*/, v193 /*v449*/, 8, 2
	s_set_vgpr_msb 0                        ;  msbs: dst=0 src0=0 src1=0 src2=0
	v_mov_b32_e32 v8, v65
	s_set_vgpr_msb 5                        ;  msbs: dst=0 src0=1 src1=1 src2=0
	v_mul_i32_i24_e32 v65, v173 /*v429*/, v19 /*v275*/
	s_set_vgpr_msb 0x45                     ;  msbs: dst=1 src0=1 src1=1 src2=0
	v_add_nc_u32_e32 v254 /*v510*/, v65 /*v321*/, v61 /*v317*/
	s_set_vgpr_msb 0x41                     ;  msbs: dst=1 src0=1 src1=0 src2=0
	v_add3_u32 v216 /*v472*/, v251 /*v507*/, v101, v93
	s_set_vgpr_msb 4                        ;  msbs: dst=0 src0=0 src1=1 src2=0
	v_mul_i32_i24_e32 v93, v129, v108 /*v364*/
	v_mul_i32_i24_e32 v101, v147, v97 /*v353*/
	s_set_vgpr_msb 0x45                     ;  msbs: dst=1 src0=1 src1=1 src2=0
	v_mul_i32_i24_e32 v71 /*v327*/, v168 /*v424*/, v37 /*v293*/
	s_wait_xcnt 0x0
	s_set_vgpr_msb 4                        ;  msbs: dst=0 src0=0 src1=1 src2=0
	v_mov_b64_e32 v[0:1], v[90:91]
	v_mov_b64_e32 v[90:91], v[76:77]
	v_mul_i32_i24_e32 v76, v175, v2 /*v258*/
	s_set_vgpr_msb 1                        ;  msbs: dst=0 src0=1 src1=0 src2=0
	v_add3_u32 v228, v252 /*v508*/, v101, v93
	s_set_vgpr_msb 5                        ;  msbs: dst=0 src0=1 src1=1 src2=0
	v_mul_i32_i24_e32 v93, v124 /*v380*/, v130 /*v386*/
	v_mul_i32_i24_e32 v101, v120 /*v376*/, v128 /*v384*/
	s_set_vgpr_msb 0x44                     ;  msbs: dst=1 src0=0 src1=1 src2=0
	v_dual_lshrrev_b32 v128 /*v384*/, 16, v189 /*v445*/ :: v_dual_lshrrev_b32 v130 /*v386*/, 24, v189 /*v445*/
	s_set_vgpr_msb 0x41                     ;  msbs: dst=1 src0=1 src1=0 src2=0
	v_mul_i32_i24_e32 v250 /*v506*/, v177 /*v433*/, v50
	s_set_vgpr_msb 1                        ;  msbs: dst=0 src0=1 src1=0 src2=0
	v_mul_i32_i24_e32 v66, v177 /*v433*/, v63
	s_set_vgpr_msb 0x41                     ;  msbs: dst=1 src0=1 src1=0 src2=0
	v_add3_u32 v243 /*v499*/, v243 /*v499*/, v101, v93
	s_set_vgpr_msb 4                        ;  msbs: dst=0 src0=0 src1=1 src2=0
	v_mul_i32_i24_e32 v93, v133, v108 /*v364*/
	v_mul_i32_i24_e32 v101, v139, v97 /*v353*/
	s_set_vgpr_msb 0x45                     ;  msbs: dst=1 src0=1 src1=1 src2=0
	v_mul_i32_i24_e32 v108 /*v364*/, v120 /*v376*/, v80 /*v336*/
	s_set_vgpr_msb 0                        ;  msbs: dst=0 src0=0 src1=0 src2=0
	v_add3_u32 v221, v221, v174, v28
	v_add3_u32 v222, v222, v50, v26
	s_set_vgpr_msb 0x44                     ;  msbs: dst=1 src0=0 src1=1 src2=0
	v_and_b32_e32 v159 /*v415*/, 3, v159 /*v415*/
	s_set_vgpr_msb 0x41                     ;  msbs: dst=1 src0=1 src1=0 src2=0
	v_add3_u32 v244 /*v500*/, v244 /*v500*/, v101, v93
	s_set_vgpr_msb 5                        ;  msbs: dst=0 src0=1 src1=1 src2=0
	v_mul_i32_i24_e32 v93, v129 /*v385*/, v132 /*v388*/
	v_mul_i32_i24_e32 v101, v125 /*v381*/, v131 /*v387*/
	s_set_vgpr_msb 0x44                     ;  msbs: dst=1 src0=0 src1=1 src2=0
	v_and_b32_e32 v162 /*v418*/, 3, v162 /*v418*/
	s_set_vgpr_msb 0x41                     ;  msbs: dst=1 src0=1 src1=0 src2=0
	v_bfe_u32 v155 /*v411*/, v138 /*v394*/, 16, 2
	v_bfe_u32 v138 /*v394*/, v138 /*v394*/, 24, 2
	s_set_vgpr_msb 64                       ;  msbs: dst=1 src0=0 src1=0 src2=0
	v_mul_i32_i24_e32 v98 /*v354*/, v171, v239
	s_set_vgpr_msb 0x41                     ;  msbs: dst=1 src0=1 src1=0 src2=0
	v_add3_u32 v245 /*v501*/, v245 /*v501*/, v101, v93
	s_set_vgpr_msb 5                        ;  msbs: dst=0 src0=1 src1=1 src2=0
	v_mul_i32_i24_e32 v93, v121 /*v377*/, v132 /*v388*/
	v_mul_i32_i24_e32 v101, v117 /*v373*/, v131 /*v387*/
	s_set_vgpr_msb 0                        ;  msbs: dst=0 src0=0 src1=0 src2=0
	v_mul_i32_i24_e32 v197, v191, v255
	s_set_vgpr_msb 0x45                     ;  msbs: dst=1 src0=1 src1=1 src2=0
	v_mul_i32_i24_e32 v157 /*v413*/, v157 /*v413*/, v188 /*v444*/
	s_set_vgpr_msb 64                       ;  msbs: dst=1 src0=0 src1=0 src2=0
	v_mul_i32_i24_e32 v55 /*v311*/, v171, v251
	v_mul_i32_i24_e32 v54 /*v310*/, v172, v248
	s_set_vgpr_msb 1                        ;  msbs: dst=0 src0=1 src1=0 src2=0
	v_add3_u32 v203, v246 /*v502*/, v101, v93
	s_set_vgpr_msb 5                        ;  msbs: dst=0 src0=1 src1=1 src2=0
	v_mul_i32_i24_e32 v93, v120 /*v376*/, v131 /*v387*/
	v_mul_i32_i24_e32 v101, v124 /*v380*/, v132 /*v388*/
	s_set_vgpr_msb 0x41                     ;  msbs: dst=1 src0=1 src1=0 src2=0
	v_mul_i32_i24_e32 v131 /*v387*/, v177 /*v433*/, v240
	s_set_vgpr_msb 64                       ;  msbs: dst=1 src0=0 src1=0 src2=0
	v_mul_i32_i24_e32 v61 /*v317*/, v171, v253
	s_set_vgpr_msb 0x44                     ;  msbs: dst=1 src0=0 src1=1 src2=0
	v_and_b32_e32 v143 /*v399*/, 3, v143 /*v399*/
	v_and_b32_e32 v130 /*v386*/, 3, v130 /*v386*/
	s_set_vgpr_msb 1                        ;  msbs: dst=0 src0=1 src1=0 src2=0
	v_add3_u32 v229, v241 /*v497*/, v93, v101
	s_set_vgpr_msb 5                        ;  msbs: dst=0 src0=1 src1=1 src2=0
	v_mul_i32_i24_e32 v93, v125 /*v381*/, v135 /*v391*/
	v_mul_i32_i24_e32 v101, v124 /*v380*/, v136 /*v392*/
	s_set_vgpr_msb 0x41                     ;  msbs: dst=1 src0=1 src1=0 src2=0
	v_mul_i32_i24_e32 v188 /*v444*/, v207 /*v463*/, v47
	s_set_vgpr_msb 0x44                     ;  msbs: dst=1 src0=0 src1=1 src2=0
	v_and_b32_e32 v128 /*v384*/, 3, v128 /*v384*/
	v_and_b32_e32 v150 /*v406*/, 3, v150 /*v406*/
	s_set_vgpr_msb 1                        ;  msbs: dst=0 src0=1 src1=0 src2=0
	v_add3_u32 v231, v238 /*v494*/, v93, v105
	s_set_vgpr_msb 5                        ;  msbs: dst=0 src0=1 src1=1 src2=0
	v_mul_i32_i24_e32 v105, v120 /*v376*/, v135 /*v391*/
	v_mul_i32_i24_e32 v93, v117 /*v373*/, v135 /*v391*/
	s_set_vgpr_msb 0                        ;  msbs: dst=0 src0=0 src1=0 src2=0
	v_and_b32_e32 v119, 3, v119
	s_set_vgpr_msb 0x44                     ;  msbs: dst=1 src0=0 src1=1 src2=0
	v_and_b32_e32 v140 /*v396*/, 3, v140 /*v396*/
	v_and_b32_e32 v153 /*v409*/, 3, v153 /*v409*/
	s_set_vgpr_msb 1                        ;  msbs: dst=0 src0=1 src1=0 src2=0
	v_add3_u32 v206, v240 /*v496*/, v105, v101
	s_set_vgpr_msb 4                        ;  msbs: dst=0 src0=0 src1=1 src2=0
	v_mul_i32_i24_e32 v101, v145, v94 /*v350*/
	v_mul_i32_i24_e32 v105, v127, v91 /*v347*/
	s_set_vgpr_msb 1                        ;  msbs: dst=0 src0=1 src1=0 src2=0
	v_add3_u32 v204, v239 /*v495*/, v93, v107
	s_set_vgpr_msb 4                        ;  msbs: dst=0 src0=0 src1=1 src2=0
	v_mul_i32_i24_e32 v107, v129, v94 /*v350*/
	s_set_vgpr_msb 0x41                     ;  msbs: dst=1 src0=1 src1=0 src2=0
	v_add3_u32 v240 /*v496*/, v215 /*v471*/, v217, v215
	s_set_vgpr_msb 5                        ;  msbs: dst=0 src0=1 src1=1 src2=0
	v_mul_i32_i24_e32 v215, v121 /*v377*/, v116 /*v372*/
	s_set_vgpr_msb 0x41                     ;  msbs: dst=1 src0=1 src1=0 src2=0
	v_add3_u32 v236 /*v492*/, v236 /*v492*/, v105, v101
	s_set_vgpr_msb 4                        ;  msbs: dst=0 src0=0 src1=1 src2=0
	v_mul_i32_i24_e32 v101, v147, v91 /*v347*/
	s_set_vgpr_msb 5                        ;  msbs: dst=0 src0=1 src1=1 src2=0
	v_mul_i32_i24_e32 v105, v129 /*v385*/, v127 /*v383*/
	s_set_vgpr_msb 0x55                     ;  msbs: dst=1 src0=1 src1=1 src2=1
	v_add_nc_u32_e32 v91 /*v347*/, v91 /*v347*/, v88 /*v344*/
	v_add3_u32 v215 /*v471*/, v208 /*v464*/, v108 /*v364*/, v109 /*v365*/
	s_set_vgpr_msb 5                        ;  msbs: dst=0 src0=1 src1=1 src2=0
	v_mul_i32_i24_e32 v217, v129 /*v385*/, v116 /*v372*/
	s_set_vgpr_msb 0x41                     ;  msbs: dst=1 src0=1 src1=0 src2=0
	v_add3_u32 v235 /*v491*/, v235 /*v491*/, v101, v107
	s_set_vgpr_msb 4                        ;  msbs: dst=0 src0=0 src1=1 src2=0
	v_mul_i32_i24_e32 v107, v133, v94 /*v350*/
	s_set_vgpr_msb 0x41                     ;  msbs: dst=1 src0=1 src1=0 src2=0
	v_add3_u32 v232 /*v488*/, v232 /*v488*/, v207, v105
	s_set_vgpr_msb 5                        ;  msbs: dst=0 src0=1 src1=1 src2=0
	v_mul_i32_i24_e32 v105, v121 /*v377*/, v127 /*v383*/
	v_mul_i32_i24_e32 v207, v120 /*v376*/, v126 /*v382*/
	v_add_nc_u32_e32 v101, v106 /*v362*/, v104 /*v360*/
	s_set_vgpr_msb 0x41                     ;  msbs: dst=1 src0=1 src1=0 src2=0
	v_add3_u32 v233 /*v489*/, v233 /*v489*/, v117, v107
	s_set_vgpr_msb 4                        ;  msbs: dst=0 src0=0 src1=1 src2=0
	v_mul_i32_i24_e32 v117, v127, v59 /*v315*/
	s_set_vgpr_msb 0x45                     ;  msbs: dst=1 src0=1 src1=1 src2=0
	v_add_nc_u32_e32 v127 /*v383*/, v97 /*v353*/, v96 /*v352*/
	s_set_vgpr_msb 0x41                     ;  msbs: dst=1 src0=1 src1=0 src2=0
	v_add3_u32 v225 /*v481*/, v225 /*v481*/, v207, v218
	s_set_vgpr_msb 5                        ;  msbs: dst=0 src0=1 src1=1 src2=0
	v_mul_i32_i24_e32 v207, v125 /*v381*/, v122 /*v378*/
	v_mul_i32_i24_e32 v218, v129 /*v385*/, v123 /*v379*/
	s_set_vgpr_msb 0x41                     ;  msbs: dst=1 src0=1 src1=0 src2=0
	v_add3_u32 v234 /*v490*/, v234 /*v490*/, v117, v115
	s_set_vgpr_msb 5                        ;  msbs: dst=0 src0=1 src1=1 src2=0
	v_mul_i32_i24_e32 v117, v117 /*v373*/, v126 /*v382*/
	s_set_vgpr_msb 0x44                     ;  msbs: dst=1 src0=0 src1=1 src2=0
	v_mul_i32_i24_e32 v97 /*v353*/, v133, v66 /*v322*/
	s_set_vgpr_msb 0x45                     ;  msbs: dst=1 src0=1 src1=1 src2=0
	v_mul_i32_i24_e32 v104 /*v360*/, v176 /*v432*/, v27 /*v283*/
	s_set_vgpr_msb 0x41                     ;  msbs: dst=1 src0=1 src1=0 src2=0
	v_add3_u32 v227 /*v483*/, v227 /*v483*/, v207, v218
	s_set_vgpr_msb 4                        ;  msbs: dst=0 src0=0 src1=1 src2=0
	v_mul_i32_i24_e32 v207, v145, v65 /*v321*/
	s_set_vgpr_msb 0x41                     ;  msbs: dst=1 src0=1 src1=0 src2=0
	v_add3_u32 v238 /*v494*/, v223 /*v479*/, v117, v105
	s_set_vgpr_msb 4                        ;  msbs: dst=0 src0=0 src1=1 src2=0
	v_mul_i32_i24_e32 v105, v129, v68 /*v324*/
	v_mul_i32_i24_e32 v117, v147, v59 /*v315*/
	;; [unrolled: 1-line block ×3, first 2 shown]
	s_set_vgpr_msb 17                       ;  msbs: dst=0 src0=1 src1=0 src2=1
	v_add3_u32 v219, v199 /*v455*/, v219, v104 /*v360*/
	s_set_vgpr_msb 0x51                     ;  msbs: dst=1 src0=1 src1=0 src2=1
	v_add3_u32 v218 /*v474*/, v218 /*v474*/, v230, v97 /*v353*/
	s_set_vgpr_msb 1                        ;  msbs: dst=0 src0=1 src1=0 src2=0
	v_mul_i32_i24_e32 v230, v178 /*v434*/, v186
	s_set_vgpr_msb 0x41                     ;  msbs: dst=1 src0=1 src1=0 src2=0
	v_add3_u32 v239 /*v495*/, v224 /*v480*/, v117, v105
	s_set_vgpr_msb 4                        ;  msbs: dst=0 src0=0 src1=1 src2=0
	v_mul_i32_i24_e32 v105, v133, v68 /*v324*/
	v_mul_i32_i24_e32 v117, v139, v59 /*v315*/
	s_set_vgpr_msb 0x41                     ;  msbs: dst=1 src0=1 src1=0 src2=0
	v_add3_u32 v229 /*v485*/, v229 /*v485*/, v218, v207
	s_set_vgpr_msb 4                        ;  msbs: dst=0 src0=0 src1=1 src2=0
	v_mul_i32_i24_e32 v207, v133, v65 /*v321*/
	v_mul_i32_i24_e32 v218, v139, v52 /*v308*/
	s_set_vgpr_msb 5                        ;  msbs: dst=0 src0=1 src1=1 src2=0
	v_mul_i32_i24_e32 v115, v181 /*v437*/, v10 /*v266*/
	s_set_vgpr_msb 0x41                     ;  msbs: dst=1 src0=1 src1=0 src2=0
	v_add3_u32 v226 /*v482*/, v226 /*v482*/, v117, v105
	s_set_vgpr_msb 5                        ;  msbs: dst=0 src0=1 src1=1 src2=0
	v_mul_i32_i24_e32 v105, v117 /*v373*/, v122 /*v378*/
	v_mul_i32_i24_e32 v117, v121 /*v377*/, v123 /*v379*/
	s_set_vgpr_msb 0x41                     ;  msbs: dst=1 src0=1 src1=0 src2=0
	v_add3_u32 v224 /*v480*/, v231 /*v487*/, v218, v207
	s_set_vgpr_msb 4                        ;  msbs: dst=0 src0=0 src1=1 src2=0
	v_mul_i32_i24_e32 v207, v147, v57 /*v313*/
	v_mul_i32_i24_e32 v218, v127, v57 /*v313*/
	s_set_vgpr_msb 0x45                     ;  msbs: dst=1 src0=1 src1=1 src2=0
	v_add_nc_u32_e32 v122 /*v378*/, v90 /*v346*/, v89 /*v345*/
	s_set_vgpr_msb 0x41                     ;  msbs: dst=1 src0=1 src1=0 src2=0
	v_add3_u32 v228 /*v484*/, v228 /*v484*/, v105, v117
	s_set_vgpr_msb 4                        ;  msbs: dst=0 src0=0 src1=1 src2=0
	v_mul_i32_i24_e32 v105, v129, v65 /*v321*/
	v_mul_i32_i24_e32 v117, v147, v52 /*v308*/
	s_set_vgpr_msb 0x45                     ;  msbs: dst=1 src0=1 src1=1 src2=0
	v_lshrrev_b32_e32 v89 /*v345*/, 4, v201 /*v457*/
	v_mul_i32_i24_e32 v90 /*v346*/, v124 /*v380*/, v116 /*v372*/
	s_set_vgpr_msb 4                        ;  msbs: dst=0 src0=0 src1=1 src2=0
	v_mul_i32_i24_e32 v127, v127, v79 /*v335*/
	s_set_vgpr_msb 0x41                     ;  msbs: dst=1 src0=1 src1=0 src2=0
	v_mul_i32_i24_e32 v231 /*v487*/, v178 /*v434*/, v183
	v_add3_u32 v223 /*v479*/, v230 /*v486*/, v117, v105
	s_set_vgpr_msb 4                        ;  msbs: dst=0 src0=0 src1=1 src2=0
	v_mul_i32_i24_e32 v105, v145, v66 /*v322*/
	v_mul_i32_i24_e32 v117, v129, v66 /*v322*/
	v_mul_i32_i24_e32 v145, v145, v86 /*v342*/
	s_set_vgpr_msb 0x41                     ;  msbs: dst=1 src0=1 src1=0 src2=0
	v_mul_i32_i24_e32 v230 /*v486*/, v178 /*v434*/, v178
	s_set_vgpr_msb 0x45                     ;  msbs: dst=1 src0=1 src1=1 src2=0
	v_mul_i32_i24_e32 v96 /*v352*/, v181 /*v437*/, v8 /*v264*/
	s_set_vgpr_msb 0x41                     ;  msbs: dst=1 src0=1 src1=0 src2=0
	v_add3_u32 v222 /*v478*/, v222 /*v478*/, v218, v105
	v_add3_u32 v221 /*v477*/, v221 /*v477*/, v207, v117
	s_set_vgpr_msb 5                        ;  msbs: dst=0 src0=1 src1=1 src2=0
	v_mul_i32_i24_e32 v117, v125 /*v381*/, v80 /*v336*/
	v_mul_i32_i24_e32 v218, v129 /*v385*/, v87 /*v343*/
	;; [unrolled: 1-line block ×3, first 2 shown]
	s_set_vgpr_msb 0x41                     ;  msbs: dst=1 src0=1 src1=0 src2=0
	v_mul_i32_i24_e32 v97 /*v353*/, v181 /*v437*/, v247
	v_mul_i32_i24_e32 v52 /*v308*/, v179 /*v435*/, v39
	;; [unrolled: 1-line block ×3, first 2 shown]
	v_add3_u32 v217 /*v473*/, v217 /*v473*/, v117, v218
	s_set_vgpr_msb 5                        ;  msbs: dst=0 src0=1 src1=1 src2=0
	v_add_nc_u32_e32 v218, v95 /*v351*/, v93 /*v349*/
	s_set_vgpr_msb 0x45                     ;  msbs: dst=1 src0=1 src1=1 src2=0
	v_add_nc_u32_e32 v93 /*v349*/, v94 /*v350*/, v92 /*v348*/
	v_mul_i32_i24_e32 v94 /*v350*/, v117 /*v373*/, v119 /*v375*/
	v_lshrrev_b32_e32 v95 /*v351*/, 4, v196 /*v452*/
	s_set_vgpr_msb 0x41                     ;  msbs: dst=1 src0=1 src1=0 src2=0
	v_add3_u32 v220 /*v476*/, v220 /*v476*/, v232, v207
	s_set_vgpr_msb 5                        ;  msbs: dst=0 src0=1 src1=1 src2=0
	v_add_nc_u32_e32 v232, v103 /*v359*/, v101 /*v357*/
	s_set_vgpr_msb 0x45                     ;  msbs: dst=1 src0=1 src1=1 src2=0
	v_mul_i32_i24_e32 v101 /*v357*/, v173 /*v429*/, v15 /*v271*/
	v_add3_u32 v246 /*v502*/, v213 /*v469*/, v94 /*v350*/, v215
	v_mul_i32_i24_e32 v94 /*v350*/, v120 /*v376*/, v119 /*v375*/
	v_mul_lo_u32 v189 /*v445*/, 0x1010101, v95 /*v351*/
	s_set_vgpr_msb 0x44                     ;  msbs: dst=1 src0=0 src1=1 src2=0
	v_mul_i32_i24_e32 v95 /*v351*/, v133, v75 /*v331*/
	v_mul_lo_u32 v213 /*v469*/, 0x1010101, v89 /*v345*/
	s_set_vgpr_msb 0x55                     ;  msbs: dst=1 src0=1 src1=1 src2=1
	v_add_nc_u32_e32 v89 /*v345*/, v75 /*v331*/, v74 /*v330*/
	v_add3_u32 v212 /*v468*/, v212 /*v468*/, v94 /*v350*/, v90 /*v346*/
	v_mul_i32_i24_e32 v94 /*v350*/, v121 /*v377*/, v87 /*v343*/
	s_set_vgpr_msb 0x44                     ;  msbs: dst=1 src0=0 src1=1 src2=0
	v_mul_i32_i24_e32 v87 /*v343*/, v147, v73 /*v329*/
	v_mul_i32_i24_e32 v74 /*v330*/, v129, v75 /*v331*/
	s_set_vgpr_msb 0x45                     ;  msbs: dst=1 src0=1 src1=1 src2=0
	v_add_nc_u32_e32 v90 /*v346*/, v73 /*v329*/, v72 /*v328*/
	s_set_vgpr_msb 0x44                     ;  msbs: dst=1 src0=0 src1=1 src2=0
	v_mul_i32_i24_e32 v72 /*v328*/, v139, v73 /*v329*/
	s_set_vgpr_msb 4                        ;  msbs: dst=0 src0=0 src1=1 src2=0
	v_mul_i32_i24_e32 v147, v147, v79 /*v335*/
	v_mul_i32_i24_e32 v129, v129, v86 /*v342*/
	;; [unrolled: 1-line block ×3, first 2 shown]
	s_set_vgpr_msb 0x44                     ;  msbs: dst=1 src0=0 src1=1 src2=0
	v_add3_u32 v113 /*v369*/, v232, v24 /*v280*/, v241
	s_set_vgpr_msb 0x55                     ;  msbs: dst=1 src0=1 src1=1 src2=1
	v_add3_u32 v208 /*v464*/, v210 /*v466*/, v72 /*v328*/, v95 /*v351*/
	s_set_vgpr_msb 0x41                     ;  msbs: dst=1 src0=1 src1=0 src2=0
	v_add3_u32 v210 /*v466*/, v205 /*v461*/, v127, v145
	v_add3_u32 v206 /*v462*/, v206 /*v462*/, v147, v129
	s_set_vgpr_msb 4                        ;  msbs: dst=0 src0=0 src1=1 src2=0
	v_mul_i32_i24_e32 v127, v139, v79 /*v335*/
	s_set_vgpr_msb 5                        ;  msbs: dst=0 src0=1 src1=1 src2=0
	v_add_nc_u32_e32 v129, v78 /*v334*/, v77 /*v333*/
	v_mul_i32_i24_e32 v147, v174 /*v430*/, v22 /*v278*/
	v_mul_i32_i24_e32 v232, v125 /*v381*/, v119 /*v375*/
	s_set_vgpr_msb 0x41                     ;  msbs: dst=1 src0=1 src1=0 src2=0
	v_bfe_i32 v132 /*v388*/, v213 /*v469*/, 0, 8
	v_add3_u32 v204 /*v460*/, v204 /*v460*/, v127, v133
	s_set_vgpr_msb 0x44                     ;  msbs: dst=1 src0=0 src1=1 src2=0
	v_add3_u32 v116 /*v372*/, v129, v39 /*v295*/, v254
	s_set_vgpr_msb 5                        ;  msbs: dst=0 src0=1 src1=1 src2=0
	v_mul_i32_i24_e32 v129, v31 /*v287*/, v50 /*v306*/
	v_mul_i32_i24_e32 v127, v180 /*v436*/, v35 /*v291*/
	s_set_vgpr_msb 0x41                     ;  msbs: dst=1 src0=1 src1=0 src2=0
	v_add3_u32 v241 /*v497*/, v214 /*v470*/, v232, v217
	s_set_vgpr_msb 5                        ;  msbs: dst=0 src0=1 src1=1 src2=0
	v_mul_i32_i24_e32 v217, v173 /*v429*/, v24 /*v280*/
	s_set_vgpr_msb 0x41                     ;  msbs: dst=1 src0=1 src1=0 src2=0
	v_mul_i32_i24_e32 v50 /*v306*/, v180 /*v436*/, v21
	s_set_vgpr_msb 0x45                     ;  msbs: dst=1 src0=1 src1=1 src2=0
	v_add_nc_u32_e32 v78 /*v334*/, v64 /*v320*/, v62 /*v318*/
	s_set_vgpr_msb 0x41                     ;  msbs: dst=1 src0=1 src1=0 src2=0
	v_add3_u32 v203 /*v459*/, v203 /*v459*/, v129, v127
	s_set_vgpr_msb 5                        ;  msbs: dst=0 src0=1 src1=1 src2=0
	v_mul_i32_i24_e32 v129, v180 /*v436*/, v23 /*v279*/
	v_mul_i32_i24_e32 v127, v180 /*v436*/, v18 /*v274*/
	s_set_vgpr_msb 0x45                     ;  msbs: dst=1 src0=1 src1=1 src2=0
	v_mul_i32_i24_e32 v103 /*v359*/, v176 /*v432*/, v16 /*v272*/
	s_set_vgpr_msb 1                        ;  msbs: dst=0 src0=1 src1=0 src2=0
	v_bfe_i32 v215, v189 /*v445*/, 0, 8
	s_set_vgpr_msb 0x41                     ;  msbs: dst=1 src0=1 src1=0 src2=0
	v_bfe_i32 v95 /*v351*/, v189 /*v445*/, 8, 8
	v_add3_u32 v251 /*v507*/, v200 /*v456*/, v147, v129
	s_set_vgpr_msb 5                        ;  msbs: dst=0 src0=1 src1=1 src2=0
	v_mul_i32_i24_e32 v129, v174 /*v430*/, v17 /*v273*/
	v_mul_i32_i24_e32 v147, v176 /*v432*/, v34 /*v290*/
	s_set_vgpr_msb 20                       ;  msbs: dst=0 src0=0 src1=1 src2=1
	v_add3_u32 v227, v140, v101 /*v357*/, v103 /*v359*/
	v_lshrrev_b32_e32 v140, 4, v187 /*v443*/
	s_set_vgpr_msb 0x54                     ;  msbs: dst=1 src0=0 src1=1 src2=1
	v_add3_u32 v121 /*v377*/, v205, v32 /*v288*/, v10 /*v266*/
	s_set_vgpr_msb 0x41                     ;  msbs: dst=1 src0=1 src1=0 src2=0
	v_add3_u32 v252 /*v508*/, v198 /*v454*/, v129, v127
	s_set_vgpr_msb 5                        ;  msbs: dst=0 src0=1 src1=1 src2=0
	v_mul_i32_i24_e32 v127, v180 /*v436*/, v21 /*v277*/
	v_mul_i32_i24_e32 v129, v174 /*v430*/, v20 /*v276*/
	s_set_vgpr_msb 0                        ;  msbs: dst=0 src0=0 src1=0 src2=0
	v_add3_u32 v213, v142, v213, v147
	s_set_vgpr_msb 1                        ;  msbs: dst=0 src0=1 src1=0 src2=0
	v_mul_i32_i24_e32 v147, v180 /*v436*/, v137
	s_set_vgpr_msb 0x45                     ;  msbs: dst=1 src0=1 src1=1 src2=0
	v_add_nc_u32_e32 v198 /*v454*/, v66 /*v322*/, v63 /*v319*/
	s_set_vgpr_msb 5                        ;  msbs: dst=0 src0=1 src1=1 src2=0
	v_add3_u32 v73, v78 /*v334*/, v38 /*v294*/, v255
	s_set_vgpr_msb 1                        ;  msbs: dst=0 src0=1 src1=0 src2=0
	v_add3_u32 v220, v197 /*v453*/, v129, v127
	s_set_vgpr_msb 0x50                     ;  msbs: dst=1 src0=0 src1=0 src2=1
	v_add3_u32 v197 /*v453*/, v104, v217, v105 /*v361*/
	s_set_vgpr_msb 1                        ;  msbs: dst=0 src0=1 src1=0 src2=0
	v_mul_i32_i24_e32 v104, v180 /*v436*/, v13
	s_set_vgpr_msb 5                        ;  msbs: dst=0 src0=1 src1=1 src2=0
	v_mul_i32_i24_e32 v217, v174 /*v430*/, v13 /*v269*/
	v_mul_i32_i24_e32 v127, v180 /*v436*/, v29 /*v285*/
	;; [unrolled: 1-line block ×4, first 2 shown]
	s_set_vgpr_msb 0                        ;  msbs: dst=0 src0=0 src1=0 src2=0
	v_mul_lo_u32 v74, 0x1010101, v140
	v_add3_u32 v217, v146, v217, v104
	s_set_vgpr_msb 1                        ;  msbs: dst=0 src0=1 src1=0 src2=0
	v_mul_i32_i24_e32 v104, v174 /*v430*/, v22
	s_set_vgpr_msb 0                        ;  msbs: dst=0 src0=0 src1=0 src2=0
	v_add3_u32 v224, v92, v129, v127
	s_set_vgpr_msb 5                        ;  msbs: dst=0 src0=1 src1=1 src2=0
	v_add_nc_u32_e32 v92, v85 /*v341*/, v84 /*v340*/
	s_set_vgpr_msb 0x45                     ;  msbs: dst=1 src0=1 src1=1 src2=0
	v_add3_u32 v85 /*v341*/, v102 /*v358*/, v16 /*v272*/, v253
	v_bfe_i32 v102 /*v358*/, v213 /*v469*/, 8, 8
	s_set_vgpr_msb 16                       ;  msbs: dst=0 src0=0 src1=0 src2=1
	v_add3_u32 v226, v144, v104, v50 /*v306*/
	s_set_vgpr_msb 5                        ;  msbs: dst=0 src0=1 src1=1 src2=0
	v_mul_i32_i24_e32 v144, v174 /*v430*/, v41 /*v297*/
	s_set_vgpr_msb 0x41                     ;  msbs: dst=1 src0=1 src1=0 src2=0
	v_mul_i32_i24_e32 v108 /*v364*/, v121 /*v377*/, v215
	s_set_vgpr_msb 5                        ;  msbs: dst=0 src0=1 src1=1 src2=0
	v_add_nc_u32_e32 v133, v68 /*v324*/, v67 /*v323*/
	v_mul_i32_i24_e32 v104, v85 /*v341*/, v102 /*v358*/
	s_set_vgpr_msb 20                       ;  msbs: dst=0 src0=0 src1=1 src2=1
	v_add3_u32 v214, v214, v26 /*v282*/, v8 /*v264*/
	s_set_vgpr_msb 0                        ;  msbs: dst=0 src0=0 src1=0 src2=0
	v_add3_u32 v70, v130, v144, v147
	s_set_vgpr_msb 4                        ;  msbs: dst=0 src0=0 src1=1 src2=0
	v_mul_i32_i24_e32 v130, v71, v132 /*v388*/
	s_set_vgpr_msb 0x45                     ;  msbs: dst=1 src0=1 src1=1 src2=0
	v_add_nc_u32_e32 v119 /*v375*/, v82 /*v338*/, v81 /*v337*/
	s_set_vgpr_msb 5                        ;  msbs: dst=0 src0=1 src1=1 src2=0
	v_mul_i32_i24_e32 v205, v121 /*v377*/, v132 /*v388*/
	s_set_vgpr_msb 64                       ;  msbs: dst=1 src0=0 src1=0 src2=0
	v_mul_i32_i24_e32 v82 /*v338*/, v214, v215
	v_bfe_i32 v104 /*v360*/, v74, 8, 8
	s_set_vgpr_msb 0                        ;  msbs: dst=0 src0=0 src1=0 src2=0
	v_add3_u32 v72, v100, v130, v104
	v_mul_i32_i24_e32 v104, v73, v215
	s_set_vgpr_msb 4                        ;  msbs: dst=0 src0=0 src1=1 src2=0
	v_add3_u32 v100, v216, v27 /*v283*/, v239
	s_set_vgpr_msb 0x44                     ;  msbs: dst=1 src0=0 src1=1 src2=0
	v_mul_i32_i24_e32 v106 /*v362*/, v214, v132 /*v388*/
	s_set_vgpr_msb 5                        ;  msbs: dst=0 src0=1 src1=1 src2=0
	v_dual_add_nc_u32 v145, v70 /*v326*/, v69 /*v325*/ :: v_dual_add_nc_u32 v142, v79 /*v335*/, v76 /*v332*/
	s_set_vgpr_msb 0                        ;  msbs: dst=0 src0=0 src1=0 src2=0
	v_add3_u32 v211, v138, v104, v139
	s_set_vgpr_msb 4                        ;  msbs: dst=0 src0=0 src1=1 src2=0
	v_mul_i32_i24_e32 v104, v75, v95 /*v351*/
	s_set_vgpr_msb 0x45                     ;  msbs: dst=1 src0=1 src1=1 src2=0
	v_mul_i32_i24_e32 v75 /*v331*/, v117 /*v373*/, v80 /*v336*/
	v_mul_i32_i24_e32 v80 /*v336*/, v173 /*v429*/, v14 /*v270*/
	;; [unrolled: 1-line block ×3, first 2 shown]
	s_set_vgpr_msb 0x44                     ;  msbs: dst=1 src0=0 src1=1 src2=0
	v_add3_u32 v123 /*v379*/, v218, v25 /*v281*/, v242
	v_add3_u32 v125 /*v381*/, v124, v108 /*v364*/, v104
	s_set_vgpr_msb 20                       ;  msbs: dst=0 src0=0 src1=1 src2=1
	v_mul_i32_i24_e32 v124, v100, v95 /*v351*/
	v_bfe_i32 v104, v74, 0, 8
	v_add3_u32 v223, v148, v80 /*v336*/, v81 /*v337*/
	s_set_vgpr_msb 5                        ;  msbs: dst=0 src0=1 src1=1 src2=0
	v_add_nc_u32_e32 v148, v86 /*v342*/, v83 /*v339*/
	s_set_vgpr_msb 0x44                     ;  msbs: dst=1 src0=0 src1=1 src2=0
	v_add3_u32 v124 /*v380*/, v212, v34 /*v290*/, v251
	v_add3_u32 v126 /*v382*/, v120, v82 /*v338*/, v124
	s_set_vgpr_msb 4                        ;  msbs: dst=0 src0=0 src1=1 src2=0
	v_mul_i32_i24_e32 v120, v75, v102 /*v358*/
	s_set_vgpr_msb 5                        ;  msbs: dst=0 src0=1 src1=1 src2=0
	v_mul_i32_i24_e32 v124, v85 /*v341*/, v104 /*v360*/
	s_set_vgpr_msb 0x41                     ;  msbs: dst=1 src0=1 src1=0 src2=0
	v_mul_i32_i24_e32 v107 /*v363*/, v113 /*v369*/, v215
	s_set_vgpr_msb 0x55                     ;  msbs: dst=1 src0=1 src1=1 src2=1
	v_add3_u32 v214 /*v470*/, v209 /*v465*/, v87 /*v343*/, v74 /*v330*/
	v_bfe_i32 v87 /*v343*/, v111 /*v367*/, 0, 8
	s_set_vgpr_msb 64                       ;  msbs: dst=1 src0=0 src1=0 src2=0
	v_add3_u32 v101 /*v357*/, v126, v205, v120
	s_set_vgpr_msb 4                        ;  msbs: dst=0 src0=0 src1=1 src2=0
	v_mul_i32_i24_e32 v120, v100, v102 /*v358*/
	s_set_vgpr_msb 0                        ;  msbs: dst=0 src0=0 src1=0 src2=0
	v_mul_i32_i24_e32 v126, v71, v104
	s_set_vgpr_msb 0x55                     ;  msbs: dst=1 src0=1 src1=1 src2=1
	v_add3_u32 v211 /*v467*/, v211 /*v467*/, v75 /*v331*/, v94 /*v350*/
	v_add_nc_u32_e32 v94 /*v350*/, v59 /*v315*/, v56 /*v312*/
	s_set_vgpr_msb 20                       ;  msbs: dst=0 src0=0 src1=1 src2=1
	v_add3_u32 v92, v92, v19 /*v275*/, v44 /*v300*/
	s_set_vgpr_msb 4                        ;  msbs: dst=0 src0=0 src1=1 src2=0
	v_add3_u32 v139, v122, v106 /*v362*/, v120
	v_mul_i32_i24_e32 v122, v100, v104 /*v360*/
	s_set_vgpr_msb 0                        ;  msbs: dst=0 src0=0 src1=0 src2=0
	v_add3_u32 v205, v136, v126, v124
	v_mul_i32_i24_e32 v124, v214, v104
	v_mul_i32_i24_e32 v120, v71, v215
	s_set_vgpr_msb 4                        ;  msbs: dst=0 src0=0 src1=1 src2=0
	v_mul_i32_i24_e32 v100, v100, v100 /*v356*/
	s_set_vgpr_msb 0x50                     ;  msbs: dst=1 src0=0 src1=0 src2=1
	v_add3_u32 v129 /*v385*/, v148, v168, v48 /*v304*/
	v_lshrrev_b32_e32 v196 /*v452*/, 24, v69
	s_set_vgpr_msb 0                        ;  msbs: dst=0 src0=0 src1=0 src2=0
	v_add3_u32 v216, v128, v124, v122
	s_set_vgpr_msb 1                        ;  msbs: dst=0 src0=1 src1=0 src2=0
	v_mul_i32_i24_e32 v122, v113 /*v369*/, v104
	s_set_vgpr_msb 5                        ;  msbs: dst=0 src0=1 src1=1 src2=0
	v_mul_i32_i24_e32 v146, v173 /*v429*/, v38 /*v294*/
	s_set_vgpr_msb 0x45                     ;  msbs: dst=1 src0=1 src1=1 src2=0
	v_mul_i32_i24_e32 v63 /*v319*/, v176 /*v432*/, v39 /*v295*/
	s_set_vgpr_msb 5                        ;  msbs: dst=0 src0=1 src1=1 src2=0
	v_mul_i32_i24_e32 v207, v178 /*v434*/, v0 /*v256*/
	s_set_vgpr_msb 0x41                     ;  msbs: dst=1 src0=1 src1=0 src2=0
	v_mul_i32_i24_e32 v209 /*v465*/, v178 /*v434*/, v59
	v_add3_u32 v103 /*v359*/, v185 /*v441*/, v118, v122
	s_set_vgpr_msb 5                        ;  msbs: dst=0 src0=1 src1=1 src2=0
	v_mul_i32_i24_e32 v122, v113 /*v369*/, v132 /*v388*/
	v_mul_i32_i24_e32 v118, v85 /*v341*/, v95 /*v351*/
	s_set_vgpr_msb 16                       ;  msbs: dst=0 src0=0 src1=0 src2=1
	v_add3_u32 v68, v134, v146, v63 /*v319*/
	s_set_vgpr_msb 1                        ;  msbs: dst=0 src0=1 src1=0 src2=0
	v_mul_i32_i24_e32 v134, v176 /*v432*/, v64
	s_set_vgpr_msb 0x41                     ;  msbs: dst=1 src0=1 src1=0 src2=0
	v_mul_i32_i24_e32 v205 /*v461*/, v178 /*v434*/, v185
	v_add3_u32 v108 /*v364*/, v183 /*v439*/, v106, v122
	s_set_vgpr_msb 4                        ;  msbs: dst=0 src0=0 src1=1 src2=0
	v_add3_u32 v122, v145, v33 /*v289*/, v246
	s_set_vgpr_msb 64                       ;  msbs: dst=1 src0=0 src1=0 src2=0
	v_add3_u32 v106 /*v362*/, v114, v120, v118
	s_set_vgpr_msb 0                        ;  msbs: dst=0 src0=0 src1=0 src2=0
	v_mul_i32_i24_e32 v120, v196, v198
	s_set_vgpr_msb 5                        ;  msbs: dst=0 src0=1 src1=1 src2=0
	v_mul_i32_i24_e32 v114, v123 /*v379*/, v95 /*v351*/
	v_mul_i32_i24_e32 v106, v124 /*v380*/, v102 /*v358*/
	s_set_vgpr_msb 0                        ;  msbs: dst=0 src0=0 src1=0 src2=0
	v_mul_i32_i24_e32 v124, v122, v215
	s_set_vgpr_msb 5                        ;  msbs: dst=0 src0=1 src1=1 src2=0
	v_mul_i32_i24_e32 v118, v124 /*v380*/, v104 /*v360*/
	s_set_vgpr_msb 0x45                     ;  msbs: dst=1 src0=1 src1=1 src2=0
	v_mul_i32_i24_e32 v74 /*v330*/, v181 /*v437*/, v42 /*v298*/
	s_set_vgpr_msb 0x44                     ;  msbs: dst=1 src0=0 src1=1 src2=0
	v_add3_u32 v112 /*v368*/, v112, v107 /*v363*/, v114
	s_set_vgpr_msb 5                        ;  msbs: dst=0 src0=1 src1=1 src2=0
	v_mul_i32_i24_e32 v114, v116 /*v372*/, v102 /*v358*/
	s_set_vgpr_msb 0x41                     ;  msbs: dst=1 src0=1 src1=0 src2=0
	v_add3_u32 v109 /*v365*/, v184 /*v440*/, v120, v124
	s_set_vgpr_msb 4                        ;  msbs: dst=0 src0=0 src1=1 src2=0
	v_mul_i32_i24_e32 v120, v122, v132 /*v388*/
	s_set_vgpr_msb 5                        ;  msbs: dst=0 src0=1 src1=1 src2=0
	v_mul_i32_i24_e32 v112, v116 /*v372*/, v104 /*v360*/
	s_set_vgpr_msb 0x45                     ;  msbs: dst=1 src0=1 src1=1 src2=0
	v_mul_i32_i24_e32 v73 /*v329*/, v181 /*v437*/, v44 /*v300*/
	s_set_vgpr_msb 0x41                     ;  msbs: dst=1 src0=1 src1=0 src2=0
	v_mul_i32_i24_e32 v77 /*v333*/, v181 /*v437*/, v241
	v_mul_i32_i24_e32 v56 /*v312*/, v181 /*v437*/, v255
	s_set_vgpr_msb 0                        ;  msbs: dst=0 src0=0 src1=0 src2=0
	v_add3_u32 v145, v195, v120, v106
	s_set_vgpr_msb 4                        ;  msbs: dst=0 src0=0 src1=1 src2=0
	v_mul_i32_i24_e32 v106, v73, v132 /*v388*/
	s_set_vgpr_msb 0x41                     ;  msbs: dst=1 src0=1 src1=0 src2=0
	v_mul_i32_i24_e32 v72 /*v328*/, v179 /*v435*/, v33
	s_set_vgpr_msb 1                        ;  msbs: dst=0 src0=1 src1=0 src2=0
	v_mul_i32_i24_e32 v127, v179 /*v435*/, v28
	v_mul_i32_i24_e32 v129, v179 /*v435*/, v43
	s_set_vgpr_msb 0x41                     ;  msbs: dst=1 src0=1 src1=0 src2=0
	v_mul_i32_i24_e32 v50 /*v306*/, v179 /*v435*/, v46
	s_set_vgpr_msb 64                       ;  msbs: dst=1 src0=0 src1=0 src2=0
	v_add3_u32 v107 /*v363*/, v192, v106, v114
	s_set_vgpr_msb 0                        ;  msbs: dst=0 src0=0 src1=0 src2=0
	v_mul_i32_i24_e32 v106, v73, v104
	s_set_vgpr_msb 4                        ;  msbs: dst=0 src0=0 src1=1 src2=0
	v_mul_i32_i24_e32 v128, v141, v27 /*v283*/
	s_set_vgpr_msb 0x45                     ;  msbs: dst=1 src0=1 src1=1 src2=0
	v_mul_i32_i24_e32 v69 /*v325*/, v168 /*v424*/, v43 /*v299*/
	s_set_vgpr_msb 0x41                     ;  msbs: dst=1 src0=1 src1=0 src2=0
	v_mul_i32_i24_e32 v63 /*v319*/, v168 /*v424*/, v252
	v_mul_i32_i24_e32 v65 /*v321*/, v168 /*v424*/, v243
	s_set_vgpr_msb 64                       ;  msbs: dst=1 src0=0 src1=0 src2=0
	v_add3_u32 v110 /*v366*/, v110, v106, v112
	s_set_vgpr_msb 0                        ;  msbs: dst=0 src0=0 src1=0 src2=0
	v_bfe_i32 v110, v69, 0, 8
	v_mul_i32_i24_e32 v106, v122, v104
	s_set_vgpr_msb 0x41                     ;  msbs: dst=1 src0=1 src1=0 src2=0
	v_mul_i32_i24_e32 v67 /*v323*/, v168 /*v424*/, v189
	s_set_vgpr_msb 0x45                     ;  msbs: dst=1 src0=1 src1=1 src2=0
	v_mul_i32_i24_e32 v76 /*v332*/, v168 /*v424*/, v6 /*v262*/
	v_mul_i32_i24_e32 v81 /*v337*/, v168 /*v424*/, v3 /*v259*/
	s_set_vgpr_msb 0                        ;  msbs: dst=0 src0=0 src1=0 src2=0
	v_mul_i32_i24_e32 v112, v214, v110
	s_set_vgpr_msb 64                       ;  msbs: dst=1 src0=0 src1=0 src2=0
	v_add3_u32 v111 /*v367*/, v193, v106, v118
	s_set_vgpr_msb 4                        ;  msbs: dst=0 src0=0 src1=1 src2=0
	v_mul_i32_i24_e32 v106, v75, v100 /*v356*/
	s_set_vgpr_msb 0                        ;  msbs: dst=0 src0=0 src1=0 src2=0
	v_mul_i32_i24_e32 v73, v73, v110
	v_mul_i32_i24_e32 v71, v71, v110
	v_add3_u32 v147, v102, v112, v100
	s_set_vgpr_msb 1                        ;  msbs: dst=0 src0=1 src1=0 src2=0
	v_mul_i32_i24_e32 v102, v121 /*v377*/, v110
	s_set_vgpr_msb 5                        ;  msbs: dst=0 src0=1 src1=1 src2=0
	v_mul_i32_i24_e32 v100, v123 /*v379*/, v100 /*v356*/
	s_set_vgpr_msb 4                        ;  msbs: dst=0 src0=0 src1=1 src2=0
	v_mul_i32_i24_e32 v75, v75, v104 /*v360*/
	s_set_vgpr_msb 0                        ;  msbs: dst=0 src0=0 src1=0 src2=0
	v_mul_i32_i24_e32 v77, v122, v110
	s_set_vgpr_msb 4                        ;  msbs: dst=0 src0=0 src1=1 src2=0
	v_mul_i32_i24_e32 v218, v175, v5 /*v261*/
	s_set_vgpr_msb 64                       ;  msbs: dst=1 src0=0 src1=0 src2=0
	v_add3_u32 v105 /*v361*/, v194, v102, v106
	s_set_vgpr_msb 1                        ;  msbs: dst=0 src0=1 src1=0 src2=0
	v_mul_i32_i24_e32 v102, v113 /*v369*/, v110
	s_set_vgpr_msb 0                        ;  msbs: dst=0 src0=0 src1=0 src2=0
	v_add3_u32 v65, v132, v65, v134
	s_set_vgpr_msb 0x45                     ;  msbs: dst=1 src0=1 src1=1 src2=0
	v_mul_i32_i24_e32 v78 /*v334*/, v163 /*v419*/, v43 /*v299*/
	s_set_vgpr_msb 5                        ;  msbs: dst=0 src0=1 src1=1 src2=0
	v_mul_i32_i24_e32 v134, v164 /*v420*/, v43 /*v299*/
	s_set_vgpr_msb 4                        ;  msbs: dst=0 src0=0 src1=1 src2=0
	v_mul_i32_i24_e32 v138, v121, v43 /*v299*/
	s_set_vgpr_msb 64                       ;  msbs: dst=1 src0=0 src1=0 src2=0
	v_add3_u32 v117 /*v373*/, v200, v102, v100
	s_set_vgpr_msb 5                        ;  msbs: dst=0 src0=1 src1=1 src2=0
	v_mul_i32_i24_e32 v102, v116 /*v372*/, v100 /*v356*/
	v_mul_i32_i24_e32 v100, v85 /*v341*/, v100 /*v356*/
	s_set_vgpr_msb 4                        ;  msbs: dst=0 src0=0 src1=1 src2=0
	v_mul_i32_i24_e32 v117, v108, v40 /*v296*/
	s_set_vgpr_msb 0x44                     ;  msbs: dst=1 src0=0 src1=1 src2=0
	v_mul_i32_i24_e32 v75 /*v331*/, v171, v40 /*v296*/
	s_set_vgpr_msb 5                        ;  msbs: dst=0 src0=1 src1=1 src2=0
	v_mul_i32_i24_e32 v132, v152 /*v408*/, v40 /*v296*/
	s_set_vgpr_msb 64                       ;  msbs: dst=1 src0=0 src1=0 src2=0
	v_add3_u32 v116 /*v372*/, v202, v73, v102
	s_set_vgpr_msb 1                        ;  msbs: dst=0 src0=1 src1=0 src2=0
	v_mul_i32_i24_e32 v102, v121 /*v377*/, v104
	s_set_vgpr_msb 64                       ;  msbs: dst=1 src0=0 src1=0 src2=0
	v_add3_u32 v120 /*v376*/, v143, v71, v100
	s_set_vgpr_msb 21                       ;  msbs: dst=0 src0=1 src1=1 src2=1
	v_add3_u32 v71, v122 /*v378*/, v12 /*v268*/, v40 /*v296*/
	s_set_vgpr_msb 0                        ;  msbs: dst=0 src0=0 src1=0 src2=0
	v_add3_u32 v143, v142, v63, v39
	s_set_vgpr_msb 64                       ;  msbs: dst=1 src0=0 src1=0 src2=0
	v_bfe_i32 v121 /*v377*/, v69, 16, 8
	v_add3_u32 v113 /*v369*/, v208, v102, v75
	s_set_vgpr_msb 21                       ;  msbs: dst=0 src0=1 src1=1 src2=1
	v_add3_u32 v75, v119 /*v375*/, v14 /*v270*/, v42 /*v298*/
	s_set_vgpr_msb 4                        ;  msbs: dst=0 src0=0 src1=1 src2=0
	v_mul_i32_i24_e32 v100, v71, v100 /*v356*/
	s_set_vgpr_msb 5                        ;  msbs: dst=0 src0=1 src1=1 src2=0
	v_mul_i32_i24_e32 v69, v129 /*v385*/, v196 /*v452*/
	v_mul_i32_i24_e32 v73, v124 /*v380*/, v100 /*v356*/
	s_set_vgpr_msb 4                        ;  msbs: dst=0 src0=0 src1=1 src2=0
	v_mul_i32_i24_e32 v194, v141, v34 /*v290*/
	s_set_vgpr_msb 0                        ;  msbs: dst=0 src0=0 src1=0 src2=0
	v_mul_i32_i24_e32 v102, v75, v110
	s_set_vgpr_msb 0x45                     ;  msbs: dst=1 src0=1 src1=1 src2=0
	v_mul_i32_i24_e32 v84 /*v340*/, v163 /*v419*/, v37 /*v293*/
	s_set_vgpr_msb 64                       ;  msbs: dst=1 src0=0 src1=0 src2=0
	v_mad_i32_i24 v192 /*v448*/, v81, v131, v69
	s_set_vgpr_msb 0                        ;  msbs: dst=0 src0=0 src1=0 src2=0
	v_mul_i32_i24_e32 v69, v75, v104
	s_set_vgpr_msb 5                        ;  msbs: dst=0 src0=1 src1=1 src2=0
	v_mul_i32_i24_e32 v131, v169 /*v425*/, v21 /*v277*/
	s_set_vgpr_msb 64                       ;  msbs: dst=1 src0=0 src1=0 src2=0
	v_add3_u32 v119 /*v375*/, v201, v102, v100
	s_set_vgpr_msb 4                        ;  msbs: dst=0 src0=0 src1=1 src2=0
	v_mul_i32_i24_e32 v100, v143, v121 /*v377*/
	s_set_vgpr_msb 5                        ;  msbs: dst=0 src0=1 src1=1 src2=0
	v_add_nc_u32_e32 v102, v167 /*v423*/, v49 /*v305*/
	s_set_vgpr_msb 64                       ;  msbs: dst=1 src0=0 src1=0 src2=0
	v_add3_u32 v122 /*v378*/, v199, v77, v73
	s_set_vgpr_msb 0                        ;  msbs: dst=0 src0=0 src1=0 src2=0
	v_mul_i32_i24_e32 v77, v175, v244
	s_set_vgpr_msb 5                        ;  msbs: dst=0 src0=1 src1=1 src2=0
	v_mul_i32_i24_e32 v114, v164 /*v420*/, v37 /*v293*/
	s_set_vgpr_msb 0                        ;  msbs: dst=0 src0=0 src1=0 src2=0
	v_mad_i32_i24 v190, v233, v190, v100
	v_mul_i32_i24_e32 v100, v92, v110
	s_set_vgpr_msb 0x50                     ;  msbs: dst=1 src0=0 src1=0 src2=1
	v_add3_u32 v194 /*v450*/, v102, v64, v87 /*v343*/
	s_set_vgpr_msb 5                        ;  msbs: dst=0 src0=1 src1=1 src2=0
	v_mul_i32_i24_e32 v102, v169 /*v425*/, v35 /*v291*/
	s_set_vgpr_msb 0                        ;  msbs: dst=0 src0=0 src1=0 src2=0
	v_mul_i32_i24_e32 v233, v175, v188
	s_set_vgpr_msb 4                        ;  msbs: dst=0 src0=0 src1=1 src2=0
	v_mul_i32_i24_e32 v142, v121, v37 /*v293*/
	s_set_vgpr_msb 1                        ;  msbs: dst=0 src0=1 src1=0 src2=0
	v_mad_i32_i24 v124, v182 /*v438*/, v149, v100
	s_set_vgpr_msb 4                        ;  msbs: dst=0 src0=0 src1=1 src2=0
	v_mul_i32_i24_e32 v100, v71, v104 /*v360*/
	s_set_vgpr_msb 5                        ;  msbs: dst=0 src0=1 src1=1 src2=0
	v_mul_i32_i24_e32 v81, v194 /*v450*/, v104 /*v360*/
	s_set_vgpr_msb 4                        ;  msbs: dst=0 src0=0 src1=1 src2=0
	v_mul_i32_i24_e32 v107, v191, v42 /*v298*/
	s_set_vgpr_msb 5                        ;  msbs: dst=0 src0=1 src1=1 src2=0
	v_mul_i32_i24_e32 v130, v151 /*v407*/, v42 /*v298*/
	s_set_vgpr_msb 4                        ;  msbs: dst=0 src0=0 src1=1 src2=0
	v_mul_i32_i24_e32 v196, v141, v16 /*v272*/
	s_set_vgpr_msb 0x41                     ;  msbs: dst=1 src0=1 src1=0 src2=0
	v_add3_u32 v191 /*v447*/, v242 /*v498*/, v69, v100
	s_set_vgpr_msb 0                        ;  msbs: dst=0 src0=0 src1=0 src2=0
	v_mul_i32_i24_e32 v100, v92, v104
	s_set_vgpr_msb 4                        ;  msbs: dst=0 src0=0 src1=1 src2=0
	v_mul_i32_i24_e32 v69, v71, v95 /*v351*/
	v_mul_i32_i24_e32 v71, v71, v102 /*v358*/
	s_set_vgpr_msb 64                       ;  msbs: dst=1 src0=0 src1=0 src2=0
	v_mul_i32_i24_e32 v242 /*v498*/, v175, v49
	s_set_vgpr_msb 5                        ;  msbs: dst=0 src0=1 src1=1 src2=0
	v_mul_i32_i24_e32 v198, v170 /*v426*/, v39 /*v295*/
	s_set_vgpr_msb 64                       ;  msbs: dst=1 src0=0 src1=0 src2=0
	v_add3_u32 v195 /*v451*/, v80, v100, v81
	s_set_vgpr_msb 0                        ;  msbs: dst=0 src0=0 src1=0 src2=0
	v_mul_i32_i24_e32 v81, v75, v215
	s_set_vgpr_msb 5                        ;  msbs: dst=0 src0=1 src1=1 src2=0
	v_mul_i32_i24_e32 v80, v194 /*v450*/, v95 /*v351*/
	s_set_vgpr_msb 4                        ;  msbs: dst=0 src0=0 src1=1 src2=0
	v_mul_i32_i24_e32 v75, v75, v132 /*v388*/
	v_mul_i32_i24_e32 v100, v17, v22 /*v278*/
	s_set_vgpr_msb 5                        ;  msbs: dst=0 src0=1 src1=1 src2=0
	v_mul_i32_i24_e32 v105, v177 /*v433*/, v9 /*v265*/
	s_set_vgpr_msb 0x41                     ;  msbs: dst=1 src0=1 src1=0 src2=0
	v_add3_u32 v176 /*v432*/, v219 /*v475*/, v81, v69
	s_set_vgpr_msb 0                        ;  msbs: dst=0 src0=0 src1=0 src2=0
	v_mul_i32_i24_e32 v69, v92, v215
	s_set_vgpr_msb 4                        ;  msbs: dst=0 src0=0 src1=1 src2=0
	v_mul_i32_i24_e32 v81, v92, v132 /*v388*/
	s_set_vgpr_msb 5                        ;  msbs: dst=0 src0=1 src1=1 src2=0
	v_mul_i32_i24_e32 v92, v194 /*v450*/, v102 /*v358*/
	s_set_vgpr_msb 64                       ;  msbs: dst=1 src0=0 src1=0 src2=0
	v_mul_i32_i24_e32 v219 /*v475*/, v175, v48
	s_set_vgpr_msb 0                        ;  msbs: dst=0 src0=0 src1=0 src2=0
	v_mul_i32_i24_e32 v199, v176, v236
	s_set_vgpr_msb 0x41                     ;  msbs: dst=1 src0=1 src1=0 src2=0
	v_add3_u32 v193 /*v449*/, v171 /*v427*/, v69, v80
	s_set_vgpr_msb 64                       ;  msbs: dst=1 src0=0 src1=0 src2=0
	v_add3_u32 v171 /*v427*/, v103, v75, v71
	s_set_vgpr_msb 0x41                     ;  msbs: dst=1 src0=1 src1=0 src2=0
	v_add3_u32 v178 /*v434*/, v175 /*v431*/, v81, v92
	s_set_vgpr_msb 5                        ;  msbs: dst=0 src0=1 src1=1 src2=0
	v_mul_i32_i24_e32 v92, v31 /*v287*/, v47 /*v303*/
	v_mul_i32_i24_e32 v103, v165 /*v421*/, v26 /*v282*/
	s_set_vgpr_msb 4                        ;  msbs: dst=0 src0=0 src1=1 src2=0
	v_mul_i32_i24_e32 v80, v116, v35 /*v291*/
	s_set_vgpr_msb 5                        ;  msbs: dst=0 src0=1 src1=1 src2=0
	v_mul_i32_i24_e32 v75, v31 /*v287*/, v46 /*v302*/
	s_set_vgpr_msb 4                        ;  msbs: dst=0 src0=0 src1=1 src2=0
	v_mul_i32_i24_e32 v69, v135, v35 /*v291*/
	s_set_vgpr_msb 0x41                     ;  msbs: dst=1 src0=1 src1=0 src2=0
	v_add3_u32 v181 /*v437*/, v247 /*v503*/, v92, v102
	s_set_vgpr_msb 4                        ;  msbs: dst=0 src0=0 src1=1 src2=0
	v_mul_i32_i24_e32 v92, v24, v22 /*v278*/
	v_mul_i32_i24_e32 v102, v116, v23 /*v279*/
	s_set_vgpr_msb 5                        ;  msbs: dst=0 src0=1 src1=1 src2=0
	v_mul_i32_i24_e32 v81, v170 /*v426*/, v30 /*v286*/
	s_set_vgpr_msb 64                       ;  msbs: dst=1 src0=0 src1=0 src2=0
	v_add3_u32 v173 /*v429*/, v209, v75, v80
	s_set_vgpr_msb 5                        ;  msbs: dst=0 src0=1 src1=1 src2=0
	v_mul_i32_i24_e32 v75, v172 /*v428*/, v32 /*v288*/
	v_mul_i32_i24_e32 v80, v31 /*v287*/, v45 /*v301*/
	s_set_vgpr_msb 0x41                     ;  msbs: dst=1 src0=1 src1=0 src2=0
	v_add3_u32 v179 /*v435*/, v249 /*v505*/, v92, v102
	s_set_vgpr_msb 4                        ;  msbs: dst=0 src0=0 src1=1 src2=0
	v_mul_i32_i24_e32 v102, v135, v23 /*v279*/
	s_set_vgpr_msb 0                        ;  msbs: dst=0 src0=0 src1=0 src2=0
	v_mul_i32_i24_e32 v71, v175, v58
	s_set_vgpr_msb 0x41                     ;  msbs: dst=1 src0=1 src1=0 src2=0
	v_add3_u32 v45 /*v301*/, v255 /*v511*/, v75, v81
	s_set_vgpr_msb 5                        ;  msbs: dst=0 src0=1 src1=1 src2=0
	v_mul_i32_i24_e32 v81, v166 /*v422*/, v30 /*v286*/
	s_set_vgpr_msb 64                       ;  msbs: dst=1 src0=0 src1=0 src2=0
	v_add3_u32 v136 /*v392*/, v210, v80, v69
	s_set_vgpr_msb 0x41                     ;  msbs: dst=1 src0=1 src1=0 src2=0
	v_add3_u32 v183 /*v439*/, v216 /*v472*/, v100, v102
	s_set_vgpr_msb 5                        ;  msbs: dst=0 src0=1 src1=1 src2=0
	v_mul_i32_i24_e32 v100, v166 /*v422*/, v27 /*v283*/
	v_mul_i32_i24_e32 v102, v169 /*v425*/, v23 /*v279*/
	v_mul_i32_i24_e32 v80, v165 /*v421*/, v32 /*v288*/
	s_set_vgpr_msb 0                        ;  msbs: dst=0 src0=0 src1=0 src2=0
	v_mul_i32_i24_e32 v75, v175, v181
	s_set_vgpr_msb 4                        ;  msbs: dst=0 src0=0 src1=1 src2=0
	v_mul_i32_i24_e32 v175, v135, v29 /*v285*/
	s_set_vgpr_msb 64                       ;  msbs: dst=1 src0=0 src1=0 src2=0
	v_add3_u32 v187 /*v443*/, v228, v103, v100
	s_set_vgpr_msb 4                        ;  msbs: dst=0 src0=0 src1=1 src2=0
	v_mul_i32_i24_e32 v100, v177, v22 /*v278*/
	s_set_vgpr_msb 5                        ;  msbs: dst=0 src0=1 src1=1 src2=0
	v_mul_i32_i24_e32 v103, v139 /*v395*/, v26 /*v282*/
	s_set_vgpr_msb 0x41                     ;  msbs: dst=1 src0=1 src1=0 src2=0
	v_add3_u32 v31 /*v287*/, v253 /*v509*/, v80, v81
	s_set_vgpr_msb 5                        ;  msbs: dst=0 src0=1 src1=1 src2=0
	v_mul_i32_i24_e32 v80, v139 /*v395*/, v32 /*v288*/
	s_set_vgpr_msb 4                        ;  msbs: dst=0 src0=0 src1=1 src2=0
	v_mul_i32_i24_e32 v81, v141, v30 /*v286*/
	s_set_vgpr_msb 0x41                     ;  msbs: dst=1 src0=1 src1=0 src2=0
	v_add3_u32 v190 /*v446*/, v243 /*v499*/, v100, v102
	s_set_vgpr_msb 4                        ;  msbs: dst=0 src0=0 src1=1 src2=0
	v_mul_i32_i24_e32 v100, v24, v17 /*v273*/
	v_mul_i32_i24_e32 v102, v116, v18 /*v274*/
	s_set_vgpr_msb 0x41                     ;  msbs: dst=1 src0=1 src1=0 src2=0
	v_add3_u32 v135 /*v391*/, v244 /*v500*/, v103, v128
	s_set_vgpr_msb 4                        ;  msbs: dst=0 src0=0 src1=1 src2=0
	v_mul_i32_i24_e32 v103, v17, v17 /*v273*/
	v_mul_i32_i24_e32 v128, v24, v20 /*v276*/
	s_set_vgpr_msb 0x41                     ;  msbs: dst=1 src0=1 src1=0 src2=0
	v_add3_u32 v30 /*v286*/, v248 /*v504*/, v80, v81
	v_add3_u32 v132 /*v388*/, v245 /*v501*/, v100, v102
	s_set_vgpr_msb 4                        ;  msbs: dst=0 src0=0 src1=1 src2=0
	v_mul_i32_i24_e32 v102, v135, v18 /*v274*/
	s_set_vgpr_msb 5                        ;  msbs: dst=0 src0=1 src1=1 src2=0
	v_mul_i32_i24_e32 v80, v172 /*v428*/, v26 /*v282*/
	v_mul_i32_i24_e32 v81, v170 /*v426*/, v27 /*v283*/
	s_set_vgpr_msb 4                        ;  msbs: dst=0 src0=0 src1=1 src2=0
	v_mul_i32_i24_e32 v209, v141, v12 /*v268*/
	s_set_vgpr_msb 5                        ;  msbs: dst=0 src0=1 src1=1 src2=0
	v_mul_i32_i24_e32 v210, v139 /*v395*/, v14 /*v270*/
	s_set_vgpr_msb 64                       ;  msbs: dst=1 src0=0 src1=0 src2=0
	v_add3_u32 v175 /*v431*/, v203, v103, v102
	s_set_vgpr_msb 4                        ;  msbs: dst=0 src0=0 src1=1 src2=0
	v_mul_i32_i24_e32 v102, v177, v17 /*v273*/
	s_set_vgpr_msb 5                        ;  msbs: dst=0 src0=1 src1=1 src2=0
	v_mul_i32_i24_e32 v103, v169 /*v425*/, v18 /*v274*/
	s_set_vgpr_msb 0x41                     ;  msbs: dst=1 src0=1 src1=0 src2=0
	v_add3_u32 v185 /*v441*/, v142 /*v398*/, v80, v81
	s_set_vgpr_msb 5                        ;  msbs: dst=0 src0=1 src1=1 src2=0
	v_mul_i32_i24_e32 v81, v160 /*v416*/, v40 /*v296*/
	s_set_vgpr_msb 4                        ;  msbs: dst=0 src0=0 src1=1 src2=0
	v_mul_i32_i24_e32 v80, v125, v42 /*v298*/
	s_set_vgpr_msb 5                        ;  msbs: dst=0 src0=1 src1=1 src2=0
	v_mul_i32_i24_e32 v203, v172 /*v428*/, v19 /*v275*/
	s_set_vgpr_msb 64                       ;  msbs: dst=1 src0=0 src1=0 src2=0
	v_add3_u32 v174 /*v430*/, v229, v102, v103
	s_set_vgpr_msb 4                        ;  msbs: dst=0 src0=0 src1=1 src2=0
	v_mul_i32_i24_e32 v102, v116, v21 /*v277*/
	v_mul_i32_i24_e32 v103, v135, v21 /*v277*/
	s_set_vgpr_msb 64                       ;  msbs: dst=1 src0=0 src1=0 src2=0
	v_mul_i32_i24_e32 v48 /*v304*/, v176, v180
	s_set_vgpr_msb 1                        ;  msbs: dst=0 src0=1 src1=0 src2=0
	v_mul_i32_i24_e32 v208, v169 /*v425*/, v13
	s_set_vgpr_msb 0x41                     ;  msbs: dst=1 src0=1 src1=0 src2=0
	v_add3_u32 v180 /*v436*/, v208 /*v464*/, v210, v209
	s_set_vgpr_msb 64                       ;  msbs: dst=1 src0=0 src1=0 src2=0
	v_add3_u32 v167 /*v423*/, v231, v128, v102
	s_set_vgpr_msb 4                        ;  msbs: dst=0 src0=0 src1=1 src2=0
	v_mul_i32_i24_e32 v102, v17, v20 /*v276*/
	v_mul_i32_i24_e32 v128, v177, v20 /*v276*/
	s_set_vgpr_msb 5                        ;  msbs: dst=0 src0=1 src1=1 src2=0
	v_mul_i32_i24_e32 v209, v139 /*v395*/, v19 /*v275*/
	s_set_vgpr_msb 1                        ;  msbs: dst=0 src0=1 src1=0 src2=0
	v_mul_i32_i24_e32 v232, v177 /*v433*/, v184
	s_set_vgpr_msb 0x41                     ;  msbs: dst=1 src0=1 src1=0 src2=0
	v_mul_i32_i24_e32 v201 /*v457*/, v177 /*v433*/, v60
	s_set_vgpr_msb 64                       ;  msbs: dst=1 src0=0 src1=0 src2=0
	v_add3_u32 v168 /*v424*/, v204, v102, v103
	s_set_vgpr_msb 5                        ;  msbs: dst=0 src0=1 src1=1 src2=0
	v_mul_i32_i24_e32 v102, v172 /*v428*/, v24 /*v280*/
	v_mul_i32_i24_e32 v103, v170 /*v426*/, v25 /*v281*/
	s_set_vgpr_msb 64                       ;  msbs: dst=1 src0=0 src1=0 src2=0
	v_add3_u32 v142 /*v398*/, v206, v128, v131
	s_set_vgpr_msb 5                        ;  msbs: dst=0 src0=1 src1=1 src2=0
	v_mul_i32_i24_e32 v128, v139 /*v395*/, v24 /*v280*/
	s_set_vgpr_msb 4                        ;  msbs: dst=0 src0=0 src1=1 src2=0
	v_mul_i32_i24_e32 v131, v141, v25 /*v281*/
	s_set_vgpr_msb 0x41                     ;  msbs: dst=1 src0=1 src1=0 src2=0
	v_mul_i32_i24_e32 v200 /*v456*/, v177 /*v433*/, v182
	s_set_vgpr_msb 1                        ;  msbs: dst=0 src0=1 src1=0 src2=0
	v_add3_u32 v229, v236 /*v492*/, v102, v103
	s_set_vgpr_msb 5                        ;  msbs: dst=0 src0=1 src1=1 src2=0
	v_mul_i32_i24_e32 v102, v165 /*v421*/, v24 /*v280*/
	v_mul_i32_i24_e32 v103, v166 /*v422*/, v25 /*v281*/
	s_set_vgpr_msb 1                        ;  msbs: dst=0 src0=1 src1=0 src2=0
	v_add3_u32 v206, v233 /*v489*/, v128, v131
	s_set_vgpr_msb 5                        ;  msbs: dst=0 src0=1 src1=1 src2=0
	v_mul_i32_i24_e32 v128, v172 /*v428*/, v33 /*v289*/
	v_mul_i32_i24_e32 v131, v170 /*v426*/, v34 /*v290*/
	s_set_vgpr_msb 0x41                     ;  msbs: dst=1 src0=1 src1=0 src2=0
	v_mul_i32_i24_e32 v199 /*v455*/, v177 /*v433*/, v174
	s_set_vgpr_msb 1                        ;  msbs: dst=0 src0=1 src1=0 src2=0
	v_add3_u32 v228, v235 /*v491*/, v102, v103
	s_set_vgpr_msb 4                        ;  msbs: dst=0 src0=0 src1=1 src2=0
	v_mul_i32_i24_e32 v102, v24, v28 /*v284*/
	v_mul_i32_i24_e32 v103, v116, v29 /*v285*/
	;; [unrolled: 1-line block ×3, first 2 shown]
	s_set_vgpr_msb 0                        ;  msbs: dst=0 src0=0 src1=0 src2=0
	v_mul_i32_i24_e32 v215, v176, v61
	v_mul_i32_i24_e32 v69, v176, v47
	s_set_vgpr_msb 0x44                     ;  msbs: dst=1 src0=0 src1=1 src2=0
	v_lshrrev_b32_e32 v35 /*v291*/, 24, v213 /*v469*/
	s_set_vgpr_msb 1                        ;  msbs: dst=0 src0=1 src1=0 src2=0
	v_add3_u32 v204, v232 /*v488*/, v102, v103
	s_set_vgpr_msb 4                        ;  msbs: dst=0 src0=0 src1=1 src2=0
	v_mul_i32_i24_e32 v103, v17, v28 /*v284*/
	s_set_vgpr_msb 1                        ;  msbs: dst=0 src0=1 src1=0 src2=0
	v_add3_u32 v102, v234 /*v490*/, v128, v131
	s_set_vgpr_msb 5                        ;  msbs: dst=0 src0=1 src1=1 src2=0
	v_mul_i32_i24_e32 v128, v165 /*v421*/, v33 /*v289*/
	v_mul_i32_i24_e32 v131, v166 /*v422*/, v34 /*v290*/
	s_set_vgpr_msb 0x44                     ;  msbs: dst=1 src0=0 src1=1 src2=0
	v_add3_u32 v48 /*v304*/, v224, v48 /*v304*/, v75
	s_set_vgpr_msb 1                        ;  msbs: dst=0 src0=1 src1=0 src2=0
	v_add3_u32 v202, v238 /*v494*/, v103, v175
	s_set_vgpr_msb 4                        ;  msbs: dst=0 src0=0 src1=1 src2=0
	v_mul_i32_i24_e32 v103, v177, v28 /*v284*/
	s_set_vgpr_msb 5                        ;  msbs: dst=0 src0=1 src1=1 src2=0
	v_add3_u32 v75, v127 /*v383*/, v9 /*v265*/, v42
	s_set_vgpr_msb 0x41                     ;  msbs: dst=1 src0=1 src1=0 src2=0
	v_add3_u32 v46 /*v302*/, v239 /*v495*/, v128, v131
	s_set_vgpr_msb 5                        ;  msbs: dst=0 src0=1 src1=1 src2=0
	v_mul_i32_i24_e32 v128, v169 /*v425*/, v29 /*v285*/
	v_mul_i32_i24_e32 v131, v139 /*v395*/, v33 /*v289*/
	s_set_vgpr_msb 0x44                     ;  msbs: dst=1 src0=0 src1=1 src2=0
	v_lshrrev_b32_e32 v127 /*v383*/, 24, v189 /*v445*/
	s_set_vgpr_msb 0x41                     ;  msbs: dst=1 src0=1 src1=0 src2=0
	v_add3_u32 v47 /*v303*/, v203 /*v459*/, v212, v218
	s_set_vgpr_msb 5                        ;  msbs: dst=0 src0=1 src1=1 src2=0
	v_mul_i32_i24_e32 v218, v146 /*v402*/, v0 /*v256*/
	s_set_vgpr_msb 1                        ;  msbs: dst=0 src0=1 src1=0 src2=0
	v_add3_u32 v201, v225 /*v481*/, v103, v128
	s_set_vgpr_msb 0                        ;  msbs: dst=0 src0=0 src1=0 src2=0
	v_mul_i32_i24_e32 v103, v24, v22
	v_mul_i32_i24_e32 v128, v116, v21
	s_set_vgpr_msb 1                        ;  msbs: dst=0 src0=1 src1=0 src2=0
	v_add3_u32 v200, v226 /*v482*/, v131, v194
	s_set_vgpr_msb 0                        ;  msbs: dst=0 src0=0 src1=0 src2=0
	v_mul_i32_i24_e32 v131, v17, v22
	v_mul_i32_i24_e32 v194, v135, v21
	;; [unrolled: 1-line block ×3, first 2 shown]
	s_set_vgpr_msb 0x41                     ;  msbs: dst=1 src0=1 src1=0 src2=0
	v_add3_u32 v43 /*v299*/, v227 /*v483*/, v103, v128
	s_set_vgpr_msb 5                        ;  msbs: dst=0 src0=1 src1=1 src2=0
	v_mul_i32_i24_e32 v103, v172 /*v428*/, v15 /*v271*/
	v_mul_i32_i24_e32 v128, v170 /*v426*/, v16 /*v272*/
	s_set_vgpr_msb 1                        ;  msbs: dst=0 src0=1 src1=0 src2=0
	v_mul_i32_i24_e32 v21, v169 /*v425*/, v21
	s_set_vgpr_msb 0x41                     ;  msbs: dst=1 src0=1 src1=0 src2=0
	v_add3_u32 v42 /*v298*/, v228 /*v484*/, v131, v194
	s_set_vgpr_msb 5                        ;  msbs: dst=0 src0=1 src1=1 src2=0
	v_mul_i32_i24_e32 v131, v139 /*v395*/, v15 /*v271*/
	v_add3_u32 v230, v202 /*v458*/, v131 /*v387*/, v230
	s_set_vgpr_msb 0x41                     ;  msbs: dst=1 src0=1 src1=0 src2=0
	v_add3_u32 v40 /*v296*/, v229 /*v485*/, v103, v128
	s_set_vgpr_msb 5                        ;  msbs: dst=0 src0=1 src1=1 src2=0
	v_mul_i32_i24_e32 v103, v165 /*v421*/, v15 /*v271*/
	v_mul_i32_i24_e32 v128, v166 /*v422*/, v16 /*v272*/
	s_set_vgpr_msb 0x41                     ;  msbs: dst=1 src0=1 src1=0 src2=0
	v_add3_u32 v26 /*v282*/, v220 /*v476*/, v22, v21
	s_set_vgpr_msb 4                        ;  msbs: dst=0 src0=0 src1=1 src2=0
	v_mul_i32_i24_e32 v21, v24, v13 /*v269*/
	s_set_vgpr_msb 0                        ;  msbs: dst=0 src0=0 src1=0 src2=0
	v_mul_i32_i24_e32 v22, v116, v13
	s_set_vgpr_msb 4                        ;  msbs: dst=0 src0=0 src1=1 src2=0
	v_mul_i32_i24_e32 v24, v24, v41 /*v297*/
	s_set_vgpr_msb 0x41                     ;  msbs: dst=1 src0=1 src1=0 src2=0
	v_add3_u32 v37 /*v293*/, v223 /*v479*/, v103, v128
	s_set_vgpr_msb 5                        ;  msbs: dst=0 src0=1 src1=1 src2=0
	v_mul_i32_i24_e32 v103, v165 /*v421*/, v38 /*v294*/
	v_mul_i32_i24_e32 v128, v166 /*v422*/, v39 /*v295*/
	s_set_vgpr_msb 0x41                     ;  msbs: dst=1 src0=1 src1=0 src2=0
	v_add3_u32 v28 /*v284*/, v217 /*v473*/, v21, v22
	s_set_vgpr_msb 5                        ;  msbs: dst=0 src0=1 src1=1 src2=0
	v_mul_i32_i24_e32 v21, v170 /*v426*/, v12 /*v268*/
	v_mul_i32_i24_e32 v22, v172 /*v428*/, v14 /*v270*/
	s_set_vgpr_msb 0x41                     ;  msbs: dst=1 src0=1 src1=0 src2=0
	v_add3_u32 v23 /*v279*/, v224 /*v480*/, v131, v196
	v_add3_u32 v24 /*v280*/, v221 /*v477*/, v103, v128
	s_set_vgpr_msb 5                        ;  msbs: dst=0 src0=1 src1=1 src2=0
	v_mul_i32_i24_e32 v103, v139 /*v395*/, v38 /*v294*/
	s_set_vgpr_msb 4                        ;  msbs: dst=0 src0=0 src1=1 src2=0
	v_mul_i32_i24_e32 v128, v141, v39 /*v295*/
	s_set_vgpr_msb 5                        ;  msbs: dst=0 src0=1 src1=1 src2=0
	v_mul_i32_i24_e32 v131, v172 /*v428*/, v38 /*v294*/
	s_set_vgpr_msb 0x41                     ;  msbs: dst=1 src0=1 src1=0 src2=0
	v_add3_u32 v29 /*v285*/, v240 /*v496*/, v22, v21
	s_set_vgpr_msb 0                        ;  msbs: dst=0 src0=0 src1=0 src2=0
	v_mul_i32_i24_e32 v21, v135, v137
	s_set_vgpr_msb 4                        ;  msbs: dst=0 src0=0 src1=1 src2=0
	v_mul_i32_i24_e32 v22, v17, v41 /*v297*/
	s_set_vgpr_msb 0x41                     ;  msbs: dst=1 src0=1 src1=0 src2=0
	v_add3_u32 v27 /*v283*/, v218 /*v474*/, v103, v128
	s_set_vgpr_msb 0                        ;  msbs: dst=0 src0=0 src1=0 src2=0
	v_mul_i32_i24_e32 v103, v116, v137
	s_set_vgpr_msb 0x41                     ;  msbs: dst=1 src0=1 src1=0 src2=0
	v_add3_u32 v25 /*v281*/, v222 /*v478*/, v131, v198
	s_set_vgpr_msb 0                        ;  msbs: dst=0 src0=0 src1=0 src2=0
	v_and_b32_e32 v131, 0xffff, v179
	s_set_vgpr_msb 0x41                     ;  msbs: dst=1 src0=1 src1=0 src2=0
	v_add3_u32 v33 /*v289*/, v246 /*v502*/, v22, v21
	s_set_vgpr_msb 4                        ;  msbs: dst=0 src0=0 src1=1 src2=0
	v_mul_i32_i24_e32 v21, v177, v41 /*v297*/
	s_set_vgpr_msb 0x41                     ;  msbs: dst=1 src0=1 src1=0 src2=0
	v_add3_u32 v32 /*v288*/, v241 /*v497*/, v24, v103
	s_set_vgpr_msb 1                        ;  msbs: dst=0 src0=1 src1=0 src2=0
	v_mul_i32_i24_e32 v103, v170 /*v426*/, v64
	s_set_vgpr_msb 0                        ;  msbs: dst=0 src0=0 src1=0 src2=0
	v_mul_i32_i24_e32 v22, v135, v13
	s_set_vgpr_msb 1                        ;  msbs: dst=0 src0=1 src1=0 src2=0
	v_mul_i32_i24_e32 v13, v169 /*v425*/, v137
	s_set_vgpr_msb 4                        ;  msbs: dst=0 src0=0 src1=1 src2=0
	v_mul_i32_i24_e32 v177, v177, v13 /*v269*/
	s_set_vgpr_msb 5                        ;  msbs: dst=0 src0=1 src1=1 src2=0
	v_mul_i32_i24_e32 v137, v166 /*v422*/, v12 /*v268*/
	v_mul_i32_i24_e32 v179, v165 /*v421*/, v14 /*v270*/
	s_set_vgpr_msb 0x41                     ;  msbs: dst=1 src0=1 src1=0 src2=0
	v_add3_u32 v182 /*v438*/, v210 /*v466*/, v203, v103
	s_set_vgpr_msb 0                        ;  msbs: dst=0 src0=0 src1=0 src2=0
	v_mul_i32_i24_e32 v103, v141, v64
	s_set_vgpr_msb 0x41                     ;  msbs: dst=1 src0=1 src1=0 src2=0
	v_add3_u32 v177 /*v433*/, v215 /*v471*/, v177, v208
	v_bfe_i32 v215 /*v471*/, v213 /*v469*/, 16, 8
	v_add3_u32 v172 /*v428*/, v214 /*v470*/, v179, v137
	v_add3_u32 v214 /*v470*/, v254 /*v510*/, v178, v27
	v_add3_u32 v186 /*v442*/, v204 /*v460*/, v209, v103
	s_set_vgpr_msb 0                        ;  msbs: dst=0 src0=0 src1=0 src2=0
	v_add3_u32 v103, v219, v105, v207
	v_add3_u32 v207, v220, v199, v233
	s_set_vgpr_msb 1                        ;  msbs: dst=0 src0=1 src1=0 src2=0
	v_bfe_i32 v220, v189 /*v445*/, 16, 8
	s_set_vgpr_msb 0x44                     ;  msbs: dst=1 src0=0 src1=1 src2=0
	v_add3_u32 v139 /*v395*/, v68, v250 /*v506*/, v225
	s_set_vgpr_msb 1                        ;  msbs: dst=0 src0=1 src1=0 src2=0
	v_add3_u32 v68, v198 /*v454*/, v62, v25
	s_set_vgpr_msb 4                        ;  msbs: dst=0 src0=0 src1=1 src2=0
	v_and_b32_e32 v116, 0xffff, v149 /*v405*/
	s_set_vgpr_msb 0x44                     ;  msbs: dst=1 src0=0 src1=1 src2=0
	v_mul_i32_i24_e32 v208 /*v464*/, v221, v215 /*v471*/
	s_set_vgpr_msb 0x45                     ;  msbs: dst=1 src0=1 src1=1 src2=0
	v_mul_i32_i24_e32 v213 /*v469*/, v214 /*v470*/, v35 /*v291*/
	s_set_vgpr_msb 0                        ;  msbs: dst=0 src0=0 src1=0 src2=0
	v_add3_u32 v231, v217, v215, v71
	s_set_vgpr_msb 4                        ;  msbs: dst=0 src0=0 src1=1 src2=0
	v_mul_i32_i24_e32 v217, v113, v0 /*v256*/
	s_set_vgpr_msb 0x54                     ;  msbs: dst=1 src0=0 src1=1 src2=1
	v_add3_u32 v49 /*v305*/, v213, v200 /*v456*/, v231 /*v487*/
	s_set_vgpr_msb 0                        ;  msbs: dst=0 src0=0 src1=0 src2=0
	v_mul_i32_i24_e32 v213, v222, v220
	s_set_vgpr_msb 0x50                     ;  msbs: dst=1 src0=0 src1=0 src2=1
	v_add3_u32 v131 /*v387*/, v226, v69, v219 /*v475*/
	s_set_vgpr_msb 5                        ;  msbs: dst=0 src0=1 src1=1 src2=0
	v_mul_i32_i24_e32 v69, v134 /*v390*/, v0 /*v256*/
	s_set_vgpr_msb 64                       ;  msbs: dst=1 src0=0 src1=0 src2=0
	v_add3_u32 v149 /*v405*/, v65, v66, v67
	s_set_vgpr_msb 4                        ;  msbs: dst=0 src0=0 src1=1 src2=0
	v_mul_i32_i24_e32 v65, v68, v127 /*v383*/
	s_set_vgpr_msb 5                        ;  msbs: dst=0 src0=1 src1=1 src2=0
	v_add3_u32 v66, v114 /*v370*/, v0 /*v256*/, v45
	s_set_vgpr_msb 0                        ;  msbs: dst=0 src0=0 src1=0 src2=0
	v_bfe_i32 v67, v74, 16, 8
	s_set_vgpr_msb 64                       ;  msbs: dst=1 src0=0 src1=0 src2=0
	v_lshrrev_b32_e32 v0 /*v256*/, 24, v74
	s_set_vgpr_msb 5                        ;  msbs: dst=0 src0=1 src1=1 src2=0
	v_mul_i32_i24_e32 v203, v165 /*v421*/, v19 /*v275*/
	s_set_vgpr_msb 64                       ;  msbs: dst=1 src0=0 src1=0 src2=0
	v_add3_u32 v114 /*v370*/, v211, v213, v65
	s_set_vgpr_msb 0x54                     ;  msbs: dst=1 src0=0 src1=1 src2=1
	v_add3_u32 v165 /*v421*/, v72, v208 /*v464*/, v213 /*v469*/
	s_set_vgpr_msb 0                        ;  msbs: dst=0 src0=0 src1=0 src2=0
	v_mul_i32_i24_e32 v65, v75, v67
	s_set_vgpr_msb 4                        ;  msbs: dst=0 src0=0 src1=1 src2=0
	v_mul_i32_i24_e32 v74, v66, v0 /*v256*/
	s_set_vgpr_msb 0                        ;  msbs: dst=0 src0=0 src1=0 src2=0
	v_mul_i32_i24_e32 v72, v221, v67
	s_set_vgpr_msb 5                        ;  msbs: dst=0 src0=1 src1=1 src2=0
	v_mul_i32_i24_e32 v211, v214 /*v470*/, v0 /*v256*/
	v_and_b32_e32 v135, 0xffff, v145 /*v401*/
	s_set_vgpr_msb 1                        ;  msbs: dst=0 src0=1 src1=0 src2=0
	v_mul_i32_i24_e32 v64, v166 /*v422*/, v64
	s_set_vgpr_msb 0                        ;  msbs: dst=0 src0=0 src1=0 src2=0
	v_mul_i32_i24_e32 v208, v109, v240
	v_mul_i32_i24_e32 v209, v111, v240
	s_set_vgpr_msb 1                        ;  msbs: dst=0 src0=1 src1=0 src2=0
	v_mul_i32_i24_e32 v210, v133 /*v389*/, v240
	s_set_vgpr_msb 0x54                     ;  msbs: dst=1 src0=0 src1=1 src2=1
	v_add3_u32 v145 /*v401*/, v227, v199 /*v455*/, v230 /*v486*/
	s_set_vgpr_msb 1                        ;  msbs: dst=0 src0=1 src1=0 src2=0
	v_mul_i32_i24_e32 v227, v237 /*v493*/, v244
	v_mul_i32_i24_e32 v225, v138 /*v394*/, v244
	s_set_vgpr_msb 64                       ;  msbs: dst=1 src0=0 src1=0 src2=0
	v_add3_u32 v166 /*v422*/, v216, v65, v74
	s_set_vgpr_msb 0                        ;  msbs: dst=0 src0=0 src1=0 src2=0
	v_add3_u32 v72, v205, v72, v211
	s_set_vgpr_msb 4                        ;  msbs: dst=0 src0=0 src1=1 src2=0
	v_mul_i32_i24_e32 v205, v66, v127 /*v383*/
	s_set_vgpr_msb 0                        ;  msbs: dst=0 src0=0 src1=0 src2=0
	v_mul_i32_i24_e32 v213, v75, v220
	s_set_vgpr_msb 1                        ;  msbs: dst=0 src0=1 src1=0 src2=0
	v_mul_i32_i24_e32 v216, v137 /*v393*/, v244
	v_add3_u32 v244, v99 /*v355*/, v186, v55
	s_set_vgpr_msb 0                        ;  msbs: dst=0 src0=0 src1=0 src2=0
	v_add3_u32 v240, v101, v240, v54
	s_set_vgpr_msb 0x45                     ;  msbs: dst=1 src0=1 src1=1 src2=0
	v_mul_i32_i24_e32 v95 /*v351*/, v124 /*v380*/, v95 /*v351*/
	s_set_vgpr_msb 0x44                     ;  msbs: dst=1 src0=0 src1=1 src2=0
	v_mul_i32_i24_e32 v124 /*v380*/, v66, v196 /*v452*/
	s_set_vgpr_msb 4                        ;  msbs: dst=0 src0=0 src1=1 src2=0
	v_mul_i32_i24_e32 v66, v66, v35 /*v291*/
	s_set_vgpr_msb 0x45                     ;  msbs: dst=1 src0=1 src1=1 src2=0
	v_mul_i32_i24_e32 v102 /*v358*/, v123 /*v379*/, v102 /*v358*/
	v_mul_i32_i24_e32 v104 /*v360*/, v123 /*v379*/, v104 /*v360*/
	s_set_vgpr_msb 0x44                     ;  msbs: dst=1 src0=0 src1=1 src2=0
	v_mul_i32_i24_e32 v123 /*v379*/, v75, v215 /*v471*/
	s_set_vgpr_msb 4                        ;  msbs: dst=0 src0=0 src1=1 src2=0
	v_mul_i32_i24_e32 v214, v176, v1 /*v257*/
	v_mul_i32_i24_e32 v17, v17, v13 /*v269*/
	v_mul_i32_i24_e32 v101, v244, v127 /*v383*/
	s_set_vgpr_msb 1                        ;  msbs: dst=0 src0=1 src1=0 src2=0
	v_add3_u32 v205, v126 /*v382*/, v213, v205
	s_set_vgpr_msb 0                        ;  msbs: dst=0 src0=0 src1=0 src2=0
	v_mul_i32_i24_e32 v213, v240, v220
	s_set_vgpr_msb 0x41                     ;  msbs: dst=1 src0=1 src1=0 src2=0
	v_add3_u32 v91 /*v347*/, v91 /*v347*/, v184, v43
	s_set_vgpr_msb 4                        ;  msbs: dst=0 src0=0 src1=1 src2=0
	v_add3_u32 v66, v139, v123 /*v379*/, v66
	v_mul_i32_i24_e32 v139, v244, v35 /*v291*/
	s_set_vgpr_msb 0x44                     ;  msbs: dst=1 src0=0 src1=1 src2=0
	v_mul_i32_i24_e32 v123 /*v379*/, v240, v215 /*v471*/
	s_set_vgpr_msb 0x41                     ;  msbs: dst=1 src0=1 src1=0 src2=0
	v_add3_u32 v93 /*v349*/, v93 /*v349*/, v185, v31
	s_set_vgpr_msb 0x45                     ;  msbs: dst=1 src0=1 src1=1 src2=0
	v_mul_i32_i24_e32 v88 /*v344*/, v144 /*v400*/, v156 /*v412*/
	s_set_vgpr_msb 64                       ;  msbs: dst=1 src0=0 src1=0 src2=0
	v_mul_i32_i24_e32 v64 /*v320*/, v172, v237
	v_mul_i32_i24_e32 v66 /*v322*/, v172, v187
	s_set_vgpr_msb 0x44                     ;  msbs: dst=1 src0=0 src1=1 src2=0
	v_mul_i32_i24_e32 v68 /*v324*/, v172, v36 /*v292*/
	v_mul_i32_i24_e32 v80 /*v336*/, v172, v7 /*v263*/
	s_set_vgpr_msb 64                       ;  msbs: dst=1 src0=0 src1=0 src2=0
	v_mul_i32_i24_e32 v82 /*v338*/, v172, v238
	s_set_vgpr_msb 0x44                     ;  msbs: dst=1 src0=0 src1=1 src2=0
	v_mul_i32_i24_e32 v79 /*v335*/, v191, v44 /*v300*/
	s_set_vgpr_msb 0x45                     ;  msbs: dst=1 src0=1 src1=1 src2=0
	v_mul_i32_i24_e32 v85 /*v341*/, v144 /*v400*/, v36 /*v292*/
	s_set_vgpr_msb 0                        ;  msbs: dst=0 src0=0 src1=0 src2=0
	v_mul_i32_i24_e32 v73, v176, v245
	s_set_vgpr_msb 0x45                     ;  msbs: dst=1 src0=1 src1=1 src2=0
	v_mul_i32_i24_e32 v86 /*v342*/, v151 /*v407*/, v44 /*v300*/
	s_set_vgpr_msb 5                        ;  msbs: dst=0 src0=1 src1=1 src2=0
	v_mul_i32_i24_e32 v120, v161 /*v417*/, v36 /*v292*/
	s_set_vgpr_msb 64                       ;  msbs: dst=1 src0=0 src1=0 src2=0
	v_mul_i32_i24_e32 v216 /*v472*/, v176, v51
	s_set_vgpr_msb 4                        ;  msbs: dst=0 src0=0 src1=1 src2=0
	v_mul_i32_i24_e32 v104, v125, v44 /*v300*/
	s_set_vgpr_msb 5                        ;  msbs: dst=0 src0=1 src1=1 src2=0
	v_mul_i32_i24_e32 v126, v160 /*v416*/, v87 /*v343*/
	s_set_vgpr_msb 4                        ;  msbs: dst=0 src0=0 src1=1 src2=0
	v_mul_i32_i24_e32 v140, v123, v156 /*v412*/
	v_mul_i32_i24_e32 v144, v123, v36 /*v292*/
	s_set_vgpr_msb 0                        ;  msbs: dst=0 src0=0 src1=0 src2=0
	v_mul_i32_i24_e32 v146, v125, v255
	s_set_vgpr_msb 1                        ;  msbs: dst=0 src0=1 src1=0 src2=0
	v_mul_i32_i24_e32 v148, v160 /*v416*/, v254
	v_mul_i32_i24_e32 v149, v160 /*v416*/, v251
	s_set_vgpr_msb 0                        ;  msbs: dst=0 src0=0 src1=0 src2=0
	v_mul_i32_i24_e32 v175, v125, v246
	v_mul_i32_i24_e32 v176, v123, v248
	;; [unrolled: 1-line block ×3, first 2 shown]
	s_set_vgpr_msb 1                        ;  msbs: dst=0 src0=1 src1=0 src2=0
	v_mul_i32_i24_e32 v196, v144 /*v400*/, v248
	s_set_vgpr_msb 0x41                     ;  msbs: dst=1 src0=1 src1=0 src2=0
	v_mul_i32_i24_e32 v16 /*v272*/, v144 /*v400*/, v249
	s_set_vgpr_msb 64                       ;  msbs: dst=1 src0=0 src1=0 src2=0
	v_mul_i32_i24_e32 v17 /*v273*/, v191, v246
	s_set_vgpr_msb 0x41                     ;  msbs: dst=1 src0=1 src1=0 src2=0
	v_mul_i32_i24_e32 v20 /*v276*/, v161 /*v417*/, v187
	v_add3_u32 v170 /*v426*/, v211 /*v467*/, v17, v22
	s_set_vgpr_msb 0x45                     ;  msbs: dst=1 src0=1 src1=1 src2=0
	v_mul_i32_i24_e32 v211 /*v467*/, v207 /*v463*/, v4 /*v260*/
	s_set_vgpr_msb 4                        ;  msbs: dst=0 src0=0 src1=1 src2=0
	v_mul_i32_i24_e32 v179, v123, v7 /*v263*/
	s_set_vgpr_msb 0x41                     ;  msbs: dst=1 src0=1 src1=0 src2=0
	v_add3_u32 v184 /*v440*/, v206 /*v462*/, v203, v64
	s_set_vgpr_msb 0x45                     ;  msbs: dst=1 src0=1 src1=1 src2=0
	v_mul_i32_i24_e32 v12 /*v268*/, v160 /*v416*/, v11 /*v267*/
	s_set_vgpr_msb 5                        ;  msbs: dst=0 src0=1 src1=1 src2=0
	v_mul_i32_i24_e32 v64, v155 /*v411*/, v4 /*v260*/
	s_set_vgpr_msb 0x45                     ;  msbs: dst=1 src0=1 src1=1 src2=0
	v_mul_i32_i24_e32 v14 /*v270*/, v161 /*v417*/, v7 /*v263*/
	s_set_vgpr_msb 1                        ;  msbs: dst=0 src0=1 src1=0 src2=0
	v_add3_u32 v203, v251 /*v507*/, v214, v76
	s_set_vgpr_msb 0x45                     ;  msbs: dst=1 src0=1 src1=1 src2=0
	v_mul_i32_i24_e32 v19 /*v275*/, v151 /*v407*/, v10 /*v266*/
	s_set_vgpr_msb 5                        ;  msbs: dst=0 src0=1 src1=1 src2=0
	v_mul_i32_i24_e32 v76, v141 /*v397*/, v4 /*v260*/
	s_set_vgpr_msb 0x45                     ;  msbs: dst=1 src0=1 src1=1 src2=0
	v_mul_i32_i24_e32 v7 /*v263*/, v144 /*v400*/, v7 /*v263*/
	s_set_vgpr_msb 5                        ;  msbs: dst=0 src0=1 src1=1 src2=0
	v_mul_i32_i24_e32 v214, v207 /*v463*/, v1 /*v257*/
	s_set_vgpr_msb 0x44                     ;  msbs: dst=1 src0=0 src1=1 src2=0
	v_mul_i32_i24_e32 v4 /*v260*/, v121, v3 /*v259*/
	s_set_vgpr_msb 5                        ;  msbs: dst=0 src0=1 src1=1 src2=0
	v_mul_i32_i24_e32 v219, v155 /*v411*/, v1 /*v257*/
	s_set_vgpr_msb 0x45                     ;  msbs: dst=1 src0=1 src1=1 src2=0
	v_mul_i32_i24_e32 v36 /*v292*/, v164 /*v420*/, v3 /*v259*/
	s_set_vgpr_msb 20                       ;  msbs: dst=0 src0=0 src1=1 src2=1
	v_add3_u32 v233, v223, v201 /*v457*/, v209 /*v465*/
	s_set_vgpr_msb 0x41                     ;  msbs: dst=1 src0=1 src1=0 src2=0
	v_mul_i32_i24_e32 v38 /*v294*/, v161 /*v417*/, v238
	s_set_vgpr_msb 0x45                     ;  msbs: dst=1 src0=1 src1=1 src2=0
	v_mul_i32_i24_e32 v39 /*v295*/, v151 /*v407*/, v8 /*v264*/
	s_set_vgpr_msb 0x41                     ;  msbs: dst=1 src0=1 src1=0 src2=0
	v_mul_i32_i24_e32 v41 /*v297*/, v152 /*v408*/, v239
	s_set_vgpr_msb 5                        ;  msbs: dst=0 src0=1 src1=1 src2=0
	v_mul_i32_i24_e32 v223, v141 /*v397*/, v1 /*v257*/
	s_set_vgpr_msb 0x45                     ;  msbs: dst=1 src0=1 src1=1 src2=0
	v_mul_i32_i24_e32 v1 /*v257*/, v163 /*v419*/, v3 /*v259*/
	s_set_vgpr_msb 0x41                     ;  msbs: dst=1 src0=1 src1=0 src2=0
	v_mul_i32_i24_e32 v3 /*v259*/, v144 /*v400*/, v238
	s_set_vgpr_msb 64                       ;  msbs: dst=1 src0=0 src1=0 src2=0
	v_mul_i32_i24_e32 v44 /*v300*/, v108, v239
	s_set_vgpr_msb 1                        ;  msbs: dst=0 src0=1 src1=0 src2=0
	v_mul_i32_i24_e32 v65, v151 /*v407*/, v247
	v_mul_i32_i24_e32 v74, v161 /*v417*/, v237
	v_add3_u32 v213, v125 /*v381*/, v213, v101
	s_set_vgpr_msb 0x41                     ;  msbs: dst=1 src0=1 src1=0 src2=0
	v_mul_i32_i24_e32 v99 /*v355*/, v151 /*v407*/, v241
	v_mul_i32_i24_e32 v125 /*v381*/, v160 /*v416*/, v253
	s_set_vgpr_msb 1                        ;  msbs: dst=0 src0=1 src1=0 src2=0
	v_mul_i32_i24_e32 v239, v160 /*v416*/, v239
	s_set_vgpr_msb 0                        ;  msbs: dst=0 src0=0 src1=0 src2=0
	v_mul_i32_i24_e32 v238, v123, v238
	s_set_vgpr_msb 64                       ;  msbs: dst=1 src0=0 src1=0 src2=0
	v_mul_i32_i24_e32 v126 /*v382*/, v123, v237
	s_set_vgpr_msb 1                        ;  msbs: dst=0 src0=1 src1=0 src2=0
	v_mul_i32_i24_e32 v255, v151 /*v407*/, v255
	v_mul_i32_i24_e32 v237, v144 /*v400*/, v237
	s_set_vgpr_msb 0                        ;  msbs: dst=0 src0=0 src1=0 src2=0
	v_mul_i32_i24_e32 v123, v123, v187
	s_set_vgpr_msb 1                        ;  msbs: dst=0 src0=1 src1=0 src2=0
	v_mul_i32_i24_e32 v246, v151 /*v407*/, v246
	s_set_vgpr_msb 0x41                     ;  msbs: dst=1 src0=1 src1=0 src2=0
	v_mul_i32_i24_e32 v151 /*v407*/, v160 /*v416*/, v242
	v_mul_i32_i24_e32 v160 /*v416*/, v91 /*v347*/, v67
	s_set_vgpr_msb 1                        ;  msbs: dst=0 src0=1 src1=0 src2=0
	v_mul_i32_i24_e32 v187, v144 /*v400*/, v187
	s_set_vgpr_msb 0x44                     ;  msbs: dst=1 src0=0 src1=1 src2=0
	v_and_b32_e32 v144 /*v400*/, 3, v158 /*v414*/
	s_set_vgpr_msb 0x41                     ;  msbs: dst=1 src0=1 src1=0 src2=0
	v_mul_i32_i24_e32 v158 /*v414*/, v91 /*v347*/, v220
	s_set_vgpr_msb 5                        ;  msbs: dst=0 src0=1 src1=1 src2=0
	v_add3_u32 v139, v101 /*v357*/, v123 /*v379*/, v139
	s_set_vgpr_msb 0x55                     ;  msbs: dst=1 src0=1 src1=1 src2=1
	v_mul_i32_i24_e32 v123 /*v379*/, v93 /*v349*/, v127 /*v383*/
	v_add3_u32 v103 /*v359*/, v103 /*v359*/, v104 /*v360*/, v160 /*v416*/
	s_set_vgpr_msb 64                       ;  msbs: dst=1 src0=0 src1=0 src2=0
	v_mul_i32_i24_e32 v160 /*v416*/, v221, v220
	s_set_vgpr_msb 0x41                     ;  msbs: dst=1 src0=1 src1=0 src2=0
	v_add3_u32 v94 /*v350*/, v94 /*v350*/, v182, v46
	s_set_vgpr_msb 0x55                     ;  msbs: dst=1 src0=1 src1=1 src2=1
	v_mul_i32_i24_e32 v104 /*v360*/, v91 /*v347*/, v215 /*v471*/
	v_add3_u32 v112 /*v368*/, v112 /*v368*/, v158 /*v414*/, v123 /*v379*/
	v_mul_i32_i24_e32 v123 /*v379*/, v214 /*v470*/, v127 /*v383*/
	s_set_vgpr_msb 0                        ;  msbs: dst=0 src0=0 src1=0 src2=0
	v_add3_u32 v133, v133, v183, v11
	s_set_vgpr_msb 4                        ;  msbs: dst=0 src0=0 src1=1 src2=0
	v_mul_i32_i24_e32 v75, v75, v121 /*v377*/
	s_set_vgpr_msb 0x55                     ;  msbs: dst=1 src0=1 src1=1 src2=1
	v_add3_u32 v102 /*v358*/, v108 /*v364*/, v102 /*v358*/, v104 /*v360*/
	s_set_vgpr_msb 0x41                     ;  msbs: dst=1 src0=1 src1=0 src2=0
	v_mul_i32_i24_e32 v108 /*v364*/, v94 /*v350*/, v67
	s_set_vgpr_msb 0x55                     ;  msbs: dst=1 src0=1 src1=1 src2=1
	v_add3_u32 v106 /*v362*/, v106 /*v362*/, v160 /*v416*/, v123 /*v379*/
	s_set_vgpr_msb 0x41                     ;  msbs: dst=1 src0=1 src1=0 src2=0
	v_mul_i32_i24_e32 v123 /*v379*/, v94 /*v350*/, v220
	s_set_vgpr_msb 0x44                     ;  msbs: dst=1 src0=0 src1=1 src2=0
	v_mul_i32_i24_e32 v104 /*v360*/, v133, v0 /*v256*/
	s_set_vgpr_msb 16                       ;  msbs: dst=0 src0=0 src1=0 src2=1
	v_add3_u32 v75, v147, v75, v124 /*v380*/
	s_set_vgpr_msb 4                        ;  msbs: dst=0 src0=0 src1=1 src2=0
	v_mul_i32_i24_e32 v221, v221, v121 /*v377*/
	s_set_vgpr_msb 0x55                     ;  msbs: dst=1 src0=1 src1=1 src2=1
	v_mul_i32_i24_e32 v124 /*v380*/, v214 /*v470*/, v196 /*v452*/
	v_add3_u32 v95 /*v351*/, v109 /*v365*/, v95 /*v351*/, v123 /*v379*/
	s_set_vgpr_msb 0x44                     ;  msbs: dst=1 src0=0 src1=1 src2=0
	v_mul_i32_i24_e32 v109 /*v365*/, v68, v0 /*v256*/
	s_set_vgpr_msb 64                       ;  msbs: dst=1 src0=0 src1=0 src2=0
	v_mul_i32_i24_e32 v123 /*v379*/, v222, v67
	s_set_vgpr_msb 0x55                     ;  msbs: dst=1 src0=1 src1=1 src2=1
	v_add3_u32 v104 /*v360*/, v111 /*v367*/, v108 /*v364*/, v104 /*v360*/
	s_set_vgpr_msb 0x44                     ;  msbs: dst=1 src0=0 src1=1 src2=0
	v_mul_i32_i24_e32 v108 /*v364*/, v68, v35 /*v291*/
	v_mul_i32_i24_e32 v111 /*v367*/, v222, v215 /*v471*/
	s_set_vgpr_msb 0x55                     ;  msbs: dst=1 src0=1 src1=1 src2=1
	v_mul_i32_i24_e32 v91 /*v347*/, v91 /*v347*/, v121 /*v377*/
	v_add3_u32 v109 /*v365*/, v110 /*v366*/, v123 /*v379*/, v109 /*v365*/
	s_set_vgpr_msb 0x44                     ;  msbs: dst=1 src0=0 src1=1 src2=0
	v_mul_i32_i24_e32 v110 /*v366*/, v133, v35 /*v291*/
	s_set_vgpr_msb 0x55                     ;  msbs: dst=1 src0=1 src1=1 src2=1
	v_mul_i32_i24_e32 v123 /*v379*/, v94 /*v350*/, v215 /*v471*/
	v_add3_u32 v107 /*v363*/, v107 /*v363*/, v111 /*v367*/, v108 /*v364*/
	s_set_vgpr_msb 0x44                     ;  msbs: dst=1 src0=0 src1=1 src2=0
	v_mul_i32_i24_e32 v111 /*v367*/, v244, v196 /*v452*/
	s_set_vgpr_msb 17                       ;  msbs: dst=0 src0=1 src1=0 src2=1
	v_add3_u32 v221, v120 /*v376*/, v221, v124 /*v380*/
	s_set_vgpr_msb 0x45                     ;  msbs: dst=1 src0=1 src1=1 src2=0
	v_mul_i32_i24_e32 v120 /*v376*/, v93 /*v349*/, v196 /*v452*/
	s_set_vgpr_msb 20                       ;  msbs: dst=0 src0=0 src1=1 src2=1
	v_add3_u32 v145, v145, v123 /*v379*/, v110 /*v366*/
	s_set_vgpr_msb 0x44                     ;  msbs: dst=1 src0=0 src1=1 src2=0
	v_mul_i32_i24_e32 v110 /*v366*/, v240, v121 /*v377*/
	s_set_vgpr_msb 4                        ;  msbs: dst=0 src0=0 src1=1 src2=0
	v_mul_i32_i24_e32 v244, v244, v0 /*v256*/
	s_set_vgpr_msb 0                        ;  msbs: dst=0 src0=0 src1=0 src2=0
	v_mul_i32_i24_e32 v240, v240, v67
	s_set_vgpr_msb 0x55                     ;  msbs: dst=1 src0=1 src1=1 src2=1
	v_mul_i32_i24_e32 v100 /*v356*/, v194 /*v450*/, v100 /*v356*/
	v_add3_u32 v91 /*v347*/, v117 /*v373*/, v91 /*v347*/, v120 /*v376*/
	s_set_vgpr_msb 0x44                     ;  msbs: dst=1 src0=0 src1=1 src2=0
	v_mul_i32_i24_e32 v120 /*v376*/, v133, v196 /*v452*/
	s_set_vgpr_msb 0x45                     ;  msbs: dst=1 src0=1 src1=1 src2=0
	v_mul_i32_i24_e32 v94 /*v350*/, v94 /*v350*/, v121 /*v377*/
	s_set_vgpr_msb 0x41                     ;  msbs: dst=1 src0=1 src1=0 src2=0
	v_add3_u32 v89 /*v345*/, v89 /*v345*/, v59, v32
	v_add3_u32 v90 /*v346*/, v90 /*v346*/, v60, v33
	s_set_vgpr_msb 1                        ;  msbs: dst=0 src0=1 src1=0 src2=0
	v_add3_u32 v240, v113 /*v369*/, v240, v244
	s_set_vgpr_msb 64                       ;  msbs: dst=1 src0=0 src1=0 src2=0
	v_mul_i32_i24_e32 v113 /*v369*/, v143, v67
	s_set_vgpr_msb 0x55                     ;  msbs: dst=1 src0=1 src1=1 src2=1
	v_add3_u32 v100 /*v356*/, v157 /*v413*/, v100 /*v356*/, v192 /*v448*/
	v_mul_i32_i24_e32 v157 /*v413*/, v129 /*v385*/, v0 /*v256*/
	s_set_vgpr_msb 5                        ;  msbs: dst=0 src0=1 src1=1 src2=0
	v_mul_i32_i24_e32 v71, v138 /*v394*/, v2 /*v258*/
	s_set_vgpr_msb 4                        ;  msbs: dst=0 src0=0 src1=1 src2=0
	v_mul_i32_i24_e32 v215, v111, v9 /*v265*/
	s_set_vgpr_msb 5                        ;  msbs: dst=0 src0=1 src1=1 src2=0
	v_mul_i32_i24_e32 v224, v137 /*v393*/, v2 /*v258*/
	s_set_vgpr_msb 4                        ;  msbs: dst=0 src0=0 src1=1 src2=0
	v_mul_i32_i24_e32 v68, v68, v196 /*v452*/
	v_mul_i32_i24_e32 v222, v222, v121 /*v377*/
	s_set_vgpr_msb 0x55                     ;  msbs: dst=1 src0=1 src1=1 src2=1
	v_add3_u32 v94 /*v350*/, v122 /*v378*/, v94 /*v350*/, v120 /*v376*/
	v_mul_i32_i24_e32 v122 /*v378*/, v89 /*v345*/, v196 /*v452*/
	v_mul_i32_i24_e32 v121 /*v377*/, v90 /*v346*/, v121 /*v377*/
	s_set_vgpr_msb 1                        ;  msbs: dst=0 src0=1 src1=0 src2=0
	v_mul_i32_i24_e32 v67, v90 /*v346*/, v67
	s_set_vgpr_msb 0x55                     ;  msbs: dst=1 src0=1 src1=1 src2=1
	v_mul_i32_i24_e32 v192 /*v448*/, v89 /*v345*/, v0 /*v256*/
	v_add3_u32 v113 /*v369*/, v195 /*v451*/, v113 /*v369*/, v157 /*v413*/
	s_set_vgpr_msb 64                       ;  msbs: dst=1 src0=0 src1=0 src2=0
	v_mul_i32_i24_e32 v157 /*v413*/, v143, v220
	s_set_vgpr_msb 0x45                     ;  msbs: dst=1 src0=1 src1=1 src2=0
	v_mul_i32_i24_e32 v194 /*v450*/, v129 /*v385*/, v127 /*v383*/
	s_set_vgpr_msb 0x44                     ;  msbs: dst=1 src0=0 src1=1 src2=0
	v_mul_i32_i24_e32 v92 /*v348*/, v171, v11 /*v267*/
	s_set_vgpr_msb 64                       ;  msbs: dst=1 src0=0 src1=0 src2=0
	v_mul_i32_i24_e32 v70 /*v326*/, v171, v254
	v_mul_i32_i24_e32 v59 /*v315*/, v171, v242
	;; [unrolled: 1-line block ×3, first 2 shown]
	s_set_vgpr_msb 0x44                     ;  msbs: dst=1 src0=0 src1=1 src2=0
	v_mul_i32_i24_e32 v83 /*v339*/, v108, v87 /*v343*/
	s_set_vgpr_msb 5                        ;  msbs: dst=0 src0=1 src1=1 src2=0
	v_mul_i32_i24_e32 v106, v152 /*v408*/, v87 /*v343*/
	v_mul_i32_i24_e32 v136, v161 /*v417*/, v156 /*v412*/
	s_set_vgpr_msb 0                        ;  msbs: dst=0 src0=0 src1=0 src2=0
	v_mul_i32_i24_e32 v192, v121, v250
	v_mul_i32_i24_e32 v194, v121, v252
	s_set_vgpr_msb 1                        ;  msbs: dst=0 src0=1 src1=0 src2=0
	v_mul_i32_i24_e32 v195, v163 /*v419*/, v250
	s_set_vgpr_msb 0                        ;  msbs: dst=0 src0=0 src1=0 src2=0
	v_mul_i32_i24_e32 v198, v108, v254
	s_set_vgpr_msb 0x41                     ;  msbs: dst=1 src0=1 src1=0 src2=0
	v_mul_i32_i24_e32 v15 /*v271*/, v163 /*v419*/, v252
	s_set_vgpr_msb 64                       ;  msbs: dst=1 src0=0 src1=0 src2=0
	v_mul_i32_i24_e32 v18 /*v274*/, v108, v251
	s_set_vgpr_msb 0x41                     ;  msbs: dst=1 src0=1 src1=0 src2=0
	v_mul_i32_i24_e32 v21 /*v277*/, v164 /*v420*/, v189
	v_mul_i32_i24_e32 v22 /*v278*/, v152 /*v408*/, v253
	s_set_vgpr_msb 4                        ;  msbs: dst=0 src0=0 src1=1 src2=0
	v_and_b32_e32 v128, 0xffff, v147 /*v403*/
	s_set_vgpr_msb 0x41                     ;  msbs: dst=1 src0=1 src1=0 src2=0
	v_add3_u32 v169 /*v425*/, v212 /*v468*/, v21, v13
	s_set_vgpr_msb 0x45                     ;  msbs: dst=1 src0=1 src1=1 src2=0
	v_mul_i32_i24_e32 v212 /*v468*/, v237 /*v493*/, v5 /*v261*/
	s_set_vgpr_msb 4                        ;  msbs: dst=0 src0=0 src1=1 src2=0
	v_mul_i32_i24_e32 v177, v121, v6 /*v262*/
	v_mul_i32_i24_e32 v141, v125, v10 /*v266*/
	s_set_vgpr_msb 0x45                     ;  msbs: dst=1 src0=1 src1=1 src2=0
	v_mul_i32_i24_e32 v204 /*v460*/, v138 /*v394*/, v5 /*v261*/
	v_mul_i32_i24_e32 v13 /*v269*/, v164 /*v420*/, v6 /*v262*/
	;; [unrolled: 1-line block ×3, first 2 shown]
	s_set_vgpr_msb 5                        ;  msbs: dst=0 src0=1 src1=1 src2=0
	v_mul_i32_i24_e32 v212, v137 /*v393*/, v5 /*v261*/
	s_set_vgpr_msb 0x45                     ;  msbs: dst=1 src0=1 src1=1 src2=0
	v_mul_i32_i24_e32 v6 /*v262*/, v163 /*v419*/, v6 /*v262*/
	s_set_vgpr_msb 0x44                     ;  msbs: dst=1 src0=0 src1=1 src2=0
	v_mul_i32_i24_e32 v10 /*v266*/, v191, v10 /*v266*/
	v_mul_i32_i24_e32 v11 /*v267*/, v108, v11 /*v267*/
	s_set_vgpr_msb 1                        ;  msbs: dst=0 src0=1 src1=0 src2=0
	v_add3_u32 v105, v252 /*v508*/, v73, v77
	s_set_vgpr_msb 5                        ;  msbs: dst=0 src0=1 src1=1 src2=0
	v_mul_i32_i24_e32 v73, v237 /*v493*/, v2 /*v258*/
	s_set_vgpr_msb 4                        ;  msbs: dst=0 src0=0 src1=1 src2=0
	v_mul_i32_i24_e32 v77, v109, v9 /*v265*/
	s_set_vgpr_msb 0x44                     ;  msbs: dst=1 src0=0 src1=1 src2=0
	v_mul_i32_i24_e32 v5 /*v261*/, v125, v8 /*v264*/
	s_set_vgpr_msb 17                       ;  msbs: dst=0 src0=1 src1=0 src2=1
	v_add3_u32 v232, v197 /*v453*/, v232, v205 /*v461*/
	s_set_vgpr_msb 0x45                     ;  msbs: dst=1 src0=1 src1=1 src2=0
	v_mul_i32_i24_e32 v197 /*v453*/, v133 /*v389*/, v9 /*v265*/
	s_set_vgpr_msb 0x44                     ;  msbs: dst=1 src0=0 src1=1 src2=0
	v_mul_i32_i24_e32 v9 /*v265*/, v191, v8 /*v264*/
	s_set_vgpr_msb 1                        ;  msbs: dst=0 src0=1 src1=0 src2=0
	v_mul_i32_i24_e32 v226, v207 /*v463*/, v245
	s_set_vgpr_msb 64                       ;  msbs: dst=1 src0=0 src1=0 src2=0
	v_mul_i32_i24_e32 v2 /*v258*/, v121, v243
	s_set_vgpr_msb 0                        ;  msbs: dst=0 src0=0 src1=0 src2=0
	v_mul_i32_i24_e32 v199, v125, v247
	s_set_vgpr_msb 0x54                     ;  msbs: dst=1 src0=0 src1=1 src2=1
	v_add3_u32 v147 /*v403*/, v70, v216 /*v472*/, v242 /*v498*/
	s_set_vgpr_msb 1                        ;  msbs: dst=0 src0=1 src1=0 src2=0
	v_mul_i32_i24_e32 v70, v155 /*v411*/, v245
	s_set_vgpr_msb 0x41                     ;  msbs: dst=1 src0=1 src1=0 src2=0
	v_mul_i32_i24_e32 v8 /*v264*/, v164 /*v420*/, v243
	s_set_vgpr_msb 1                        ;  msbs: dst=0 src0=1 src1=0 src2=0
	v_mul_i32_i24_e32 v211, v141 /*v397*/, v245
	v_mul_i32_i24_e32 v243, v163 /*v419*/, v243
	s_set_vgpr_msb 0                        ;  msbs: dst=0 src0=0 src1=0 src2=0
	v_mul_i32_i24_e32 v245, v191, v247
	s_set_vgpr_msb 1                        ;  msbs: dst=0 src0=1 src1=0 src2=0
	v_mul_i32_i24_e32 v247, v152 /*v408*/, v242
	v_mul_i32_i24_e32 v250, v164 /*v420*/, v250
	;; [unrolled: 1-line block ×5, first 2 shown]
	s_set_vgpr_msb 0                        ;  msbs: dst=0 src0=0 src1=0 src2=0
	v_mul_i32_i24_e32 v253, v108, v253
	s_set_vgpr_msb 0x41                     ;  msbs: dst=1 src0=1 src1=0 src2=0
	v_mul_i32_i24_e32 v152 /*v408*/, v207 /*v463*/, v236
	s_set_vgpr_msb 1                        ;  msbs: dst=0 src0=1 src1=0 src2=0
	v_mul_i32_i24_e32 v248, v161 /*v417*/, v248
	v_mul_i32_i24_e32 v249, v161 /*v417*/, v249
	s_set_vgpr_msb 0x41                     ;  msbs: dst=1 src0=1 src1=0 src2=0
	v_mul_i32_i24_e32 v161 /*v417*/, v237 /*v493*/, v188
	s_set_vgpr_msb 0                        ;  msbs: dst=0 src0=0 src1=0 src2=0
	v_mul_i32_i24_e32 v121, v121, v189
	v_mul_i32_i24_e32 v108, v108, v242
	;; [unrolled: 1-line block ×3, first 2 shown]
	s_set_vgpr_msb 1                        ;  msbs: dst=0 src0=1 src1=0 src2=0
	v_mul_i32_i24_e32 v242, v155 /*v411*/, v236
	s_set_vgpr_msb 0                        ;  msbs: dst=0 src0=0 src1=0 src2=0
	v_mul_i32_i24_e32 v125, v125, v241
	s_set_vgpr_msb 1                        ;  msbs: dst=0 src0=1 src1=0 src2=0
	v_mul_i32_i24_e32 v241, v138 /*v394*/, v188
	v_mul_i32_i24_e32 v236, v141 /*v397*/, v236
	;; [unrolled: 1-line block ×4, first 2 shown]
	s_set_vgpr_msb 0x41                     ;  msbs: dst=1 src0=1 src1=0 src2=0
	v_mul_i32_i24_e32 v101 /*v357*/, v146 /*v402*/, v186
	s_set_vgpr_msb 64                       ;  msbs: dst=1 src0=0 src1=0 src2=0
	v_mul_i32_i24_e32 v158 /*v414*/, v113, v186
	s_set_vgpr_msb 1                        ;  msbs: dst=0 src0=1 src1=0 src2=0
	v_mul_i32_i24_e32 v186, v134 /*v390*/, v186
	s_set_vgpr_msb 64                       ;  msbs: dst=1 src0=0 src1=0 src2=0
	v_mul_i32_i24_e32 v160 /*v416*/, v109, v184
	v_mul_i32_i24_e32 v108 /*v364*/, v111, v184
	s_set_vgpr_msb 1                        ;  msbs: dst=0 src0=1 src1=0 src2=0
	v_mul_i32_i24_e32 v184, v133 /*v389*/, v184
	s_set_vgpr_msb 0x55                     ;  msbs: dst=1 src0=1 src1=1 src2=1
	v_add3_u32 v105 /*v361*/, v105 /*v361*/, v110 /*v366*/, v111 /*v367*/
	s_set_vgpr_msb 0x41                     ;  msbs: dst=1 src0=1 src1=0 src2=0
	v_mul_i32_i24_e32 v111 /*v367*/, v146 /*v402*/, v185
	s_set_vgpr_msb 64                       ;  msbs: dst=1 src0=0 src1=0 src2=0
	v_mul_i32_i24_e32 v163 /*v419*/, v113, v185
	s_set_vgpr_msb 1                        ;  msbs: dst=0 src0=1 src1=0 src2=0
	v_mul_i32_i24_e32 v185, v134 /*v390*/, v185
	s_set_vgpr_msb 0x41                     ;  msbs: dst=1 src0=1 src1=0 src2=0
	v_mul_i32_i24_e32 v124 /*v380*/, v207 /*v463*/, v180
	v_mul_i32_i24_e32 v117 /*v373*/, v237 /*v493*/, v181
	s_set_vgpr_msb 64                       ;  msbs: dst=1 src0=0 src1=0 src2=0
	v_mul_i32_i24_e32 v120 /*v376*/, v109, v182
	s_set_vgpr_msb 0x41                     ;  msbs: dst=1 src0=1 src1=0 src2=0
	v_mul_i32_i24_e32 v164 /*v420*/, v146 /*v402*/, v183
	s_set_vgpr_msb 1                        ;  msbs: dst=0 src0=1 src1=0 src2=0
	v_add3_u32 v68, v116 /*v372*/, v222, v68
	v_mul_i32_i24_e32 v222, v155 /*v411*/, v180
	s_set_vgpr_msb 0x41                     ;  msbs: dst=1 src0=1 src1=0 src2=0
	v_mul_i32_i24_e32 v116 /*v372*/, v138 /*v394*/, v181
	s_set_vgpr_msb 0x55                     ;  msbs: dst=1 src0=1 src1=1 src2=1
	v_add3_u32 v119 /*v375*/, v119 /*v375*/, v121 /*v377*/, v122 /*v378*/
	s_set_vgpr_msb 64                       ;  msbs: dst=1 src0=0 src1=0 src2=0
	v_mul_i32_i24_e32 v121 /*v377*/, v111, v182
	v_mul_i32_i24_e32 v122 /*v378*/, v113, v183
	s_set_vgpr_msb 0x41                     ;  msbs: dst=1 src0=1 src1=0 src2=0
	v_mul_i32_i24_e32 v189 /*v445*/, v237 /*v493*/, v48
	s_set_vgpr_msb 17                       ;  msbs: dst=0 src0=1 src1=0 src2=1
	v_mul_i32_i24_e32 v244, v155 /*v411*/, v47
	v_add3_u32 v67, v191 /*v447*/, v67, v192 /*v448*/
	s_set_vgpr_msb 0x41                     ;  msbs: dst=1 src0=1 src1=0 src2=0
	v_mul_i32_i24_e32 v191 /*v447*/, v138 /*v394*/, v48
	s_set_vgpr_msb 64                       ;  msbs: dst=1 src0=0 src1=0 src2=0
	v_mul_i32_i24_e32 v192 /*v448*/, v109, v174
	s_set_vgpr_msb 0x55                     ;  msbs: dst=1 src0=1 src1=1 src2=1
	v_add3_u32 v157 /*v413*/, v193 /*v449*/, v157 /*v413*/, v194 /*v450*/
	s_set_vgpr_msb 0x41                     ;  msbs: dst=1 src0=1 src1=0 src2=0
	v_mul_i32_i24_e32 v193 /*v449*/, v146 /*v402*/, v178
	s_set_vgpr_msb 64                       ;  msbs: dst=1 src0=0 src1=0 src2=0
	v_mul_i32_i24_e32 v194 /*v450*/, v111, v174
	s_set_vgpr_msb 4                        ;  msbs: dst=0 src0=0 src1=1 src2=0
	v_mul_i32_i24_e32 v171, v171, v87 /*v343*/
	s_set_vgpr_msb 64                       ;  msbs: dst=1 src0=0 src1=0 src2=0
	v_mul_i32_i24_e32 v87 /*v343*/, v113, v178
	s_set_vgpr_msb 4                        ;  msbs: dst=0 src0=0 src1=1 src2=0
	v_mul_i32_i24_e32 v172, v172, v156 /*v412*/
	s_set_vgpr_msb 0x45                     ;  msbs: dst=1 src0=1 src1=1 src2=0
	v_mul_i32_i24_e32 v156 /*v412*/, v89 /*v345*/, v127 /*v383*/
	s_set_vgpr_msb 1                        ;  msbs: dst=0 src0=1 src1=0 src2=0
	v_mul_i32_i24_e32 v220, v90 /*v346*/, v220
	v_mul_i32_i24_e32 v174, v133 /*v389*/, v174
	;; [unrolled: 1-line block ×3, first 2 shown]
	s_set_vgpr_msb 4                        ;  msbs: dst=0 src0=0 src1=1 src2=0
	v_mul_i32_i24_e32 v143, v143, v215 /*v471*/
	s_set_vgpr_msb 0x45                     ;  msbs: dst=1 src0=1 src1=1 src2=0
	v_mul_i32_i24_e32 v129 /*v385*/, v129 /*v385*/, v35 /*v291*/
	v_mul_i32_i24_e32 v90 /*v346*/, v90 /*v346*/, v215 /*v471*/
	;; [unrolled: 1-line block ×3, first 2 shown]
	s_set_vgpr_msb 1                        ;  msbs: dst=0 src0=1 src1=0 src2=0
	v_add3_u32 v71, v183 /*v439*/, v219, v71
	s_set_vgpr_msb 0x41                     ;  msbs: dst=1 src0=1 src1=0 src2=0
	v_mul_i32_i24_e32 v183 /*v439*/, v207 /*v463*/, v61
	s_set_vgpr_msb 1                        ;  msbs: dst=0 src0=1 src1=0 src2=0
	v_add3_u32 v215, v187 /*v443*/, v215, v217
	v_mul_i32_i24_e32 v217, v237 /*v493*/, v58
	v_add3_u32 v223, v190 /*v446*/, v223, v224
	s_set_vgpr_msb 0x41                     ;  msbs: dst=1 src0=1 src1=0 src2=0
	v_mul_i32_i24_e32 v190 /*v446*/, v207 /*v463*/, v51
	v_mul_i32_i24_e32 v200 /*v456*/, v237 /*v493*/, v49
	s_set_vgpr_msb 0                        ;  msbs: dst=0 src0=0 src1=0 src2=0
	v_mov_b32_e32 v22, v5
	s_set_vgpr_msb 0x41                     ;  msbs: dst=1 src0=1 src1=0 src2=0
	v_mul_i32_i24_e32 v123 /*v379*/, v154 /*v410*/, v54
	v_mul_i32_i24_e32 v110 /*v366*/, v118 /*v374*/, v32
	s_set_vgpr_msb 17                       ;  msbs: dst=0 src0=1 src1=0 src2=1
	v_mul_i32_i24_e32 v147, v154 /*v410*/, v43
	v_mul_i32_i24_e32 v180, v141 /*v397*/, v180
	;; [unrolled: 1-line block ×5, first 2 shown]
	v_add3_u32 v220, v176 /*v432*/, v220, v156 /*v412*/
	s_set_vgpr_msb 64                       ;  msbs: dst=1 src0=0 src1=0 src2=0
	v_mul_i32_i24_e32 v156 /*v412*/, v111, v50
	v_mul_i32_i24_e32 v176 /*v432*/, v113, v62
	s_set_vgpr_msb 0x41                     ;  msbs: dst=1 src0=1 src1=0 src2=0
	v_mul_i32_i24_e32 v195 /*v451*/, v118 /*v374*/, v27
	s_set_vgpr_msb 17                       ;  msbs: dst=0 src0=1 src1=0 src2=1
	v_add3_u32 v143, v178 /*v434*/, v143, v129 /*v385*/
	s_set_vgpr_msb 0x41                     ;  msbs: dst=1 src0=1 src1=0 src2=0
	v_mul_i32_i24_e32 v129 /*v385*/, v118 /*v374*/, v31
	v_mul_i32_i24_e32 v178 /*v434*/, v118 /*v374*/, v55
	s_set_vgpr_msb 0x55                     ;  msbs: dst=1 src0=1 src1=1 src2=1
	v_add3_u32 v89 /*v345*/, v171 /*v427*/, v90 /*v346*/, v89 /*v345*/
	s_set_vgpr_msb 0x41                     ;  msbs: dst=1 src0=1 src1=0 src2=0
	v_mul_i32_i24_e32 v90 /*v346*/, v118 /*v374*/, v45
	v_mul_i32_i24_e32 v198 /*v454*/, v154 /*v410*/, v42
	s_set_vgpr_msb 17                       ;  msbs: dst=0 src0=1 src1=0 src2=1
	v_add3_u32 v64, v136 /*v392*/, v64, v204 /*v460*/
	s_set_vgpr_msb 0x41                     ;  msbs: dst=1 src0=1 src1=0 src2=0
	v_mul_i32_i24_e32 v136 /*v392*/, v154 /*v410*/, v28
	s_set_vgpr_msb 64                       ;  msbs: dst=1 src0=0 src1=0 src2=0
	v_mul_i32_i24_e32 v199 /*v455*/, v109, v50
	s_set_vgpr_msb 1                        ;  msbs: dst=0 src0=1 src1=0 src2=0
	v_add3_u32 v76, v181 /*v437*/, v76, v212
	v_mul_i32_i24_e32 v212, v146 /*v402*/, v62
	v_mul_i32_i24_e32 v47, v141 /*v397*/, v47
	;; [unrolled: 1-line block ×5, first 2 shown]
	s_set_vgpr_msb 0x41                     ;  msbs: dst=1 src0=1 src1=0 src2=0
	v_mul_i32_i24_e32 v181 /*v437*/, v118 /*v374*/, v11
	s_set_vgpr_msb 1                        ;  msbs: dst=0 src0=1 src1=0 src2=0
	v_add3_u32 v73, v179 /*v435*/, v214, v73
	v_mul_i32_i24_e32 v214, v118 /*v374*/, v25
	v_add3_u32 v77, v185 /*v441*/, v77, v218
	s_set_vgpr_msb 0x41                     ;  msbs: dst=1 src0=1 src1=0 src2=0
	v_mul_i32_i24_e32 v185 /*v441*/, v154 /*v410*/, v46
	s_set_vgpr_msb 1                        ;  msbs: dst=0 src0=1 src1=0 src2=0
	v_mul_i32_i24_e32 v219, v154 /*v410*/, v26
	s_set_vgpr_msb 64                       ;  msbs: dst=1 src0=0 src1=0 src2=0
	v_mul_i32_i24_e32 v187 /*v443*/, v109, v60
	s_set_vgpr_msb 1                        ;  msbs: dst=0 src0=1 src1=0 src2=0
	v_mul_i32_i24_e32 v224, v146 /*v402*/, v59
	s_set_vgpr_msb 64                       ;  msbs: dst=1 src0=0 src1=0 src2=0
	v_mul_i32_i24_e32 v201 /*v457*/, v113, v59
	s_set_vgpr_msb 0x41                     ;  msbs: dst=1 src0=1 src1=0 src2=0
	v_mul_i32_i24_e32 v146 /*v402*/, v146 /*v402*/, v168
	s_set_vgpr_msb 0                        ;  msbs: dst=0 src0=0 src1=0 src2=0
	v_mul_i32_i24_e32 v113, v113, v168
	s_set_vgpr_msb 1                        ;  msbs: dst=0 src0=1 src1=0 src2=0
	v_mul_i32_i24_e32 v168, v134 /*v390*/, v168
	v_mul_i32_i24_e32 v59, v134 /*v390*/, v59
	s_set_vgpr_msb 64                       ;  msbs: dst=1 src0=0 src1=0 src2=0
	v_mul_i32_i24_e32 v134 /*v390*/, v111, v60
	s_set_vgpr_msb 0                        ;  msbs: dst=0 src0=0 src1=0 src2=0
	v_mul_i32_i24_e32 v109, v109, v63
	v_mul_i32_i24_e32 v111, v111, v63
	s_set_vgpr_msb 1                        ;  msbs: dst=0 src0=1 src1=0 src2=0
	v_mul_i32_i24_e32 v63, v133 /*v389*/, v63
	v_mul_i32_i24_e32 v60, v133 /*v389*/, v60
	s_set_vgpr_msb 0x41                     ;  msbs: dst=1 src0=1 src1=0 src2=0
	v_mul_i32_i24_e32 v133 /*v389*/, v155 /*v411*/, v51
	s_set_vgpr_msb 1                        ;  msbs: dst=0 src0=1 src1=0 src2=0
	v_mul_i32_i24_e32 v51, v141 /*v397*/, v51
	s_set_vgpr_msb 0x41                     ;  msbs: dst=1 src0=1 src1=0 src2=0
	v_mul_i32_i24_e32 v155 /*v411*/, v155 /*v411*/, v61
	s_set_vgpr_msb 1                        ;  msbs: dst=0 src0=1 src1=0 src2=0
	;; [unrolled: 4-line block ×4, first 2 shown]
	v_mul_i32_i24_e32 v58, v137 /*v393*/, v58
	s_set_vgpr_msb 5                        ;  msbs: dst=0 src0=1 src1=1 src2=0
	v_add3_u32 v69, v135 /*v391*/, v197 /*v453*/, v69
	s_set_vgpr_msb 0x41                     ;  msbs: dst=1 src0=1 src1=0 src2=0
	v_mul_i32_i24_e32 v135 /*v391*/, v154 /*v410*/, v39
	v_mul_i32_i24_e32 v154 /*v410*/, v154 /*v410*/, v33
	s_wait_dscnt 0x0
	v_mul_i32_i24_e32 v118 /*v374*/, v118 /*v374*/, v234
	s_set_vgpr_msb 0x55                     ;  msbs: dst=1 src0=1 src1=1 src2=1
	v_add3_u32 v152 /*v408*/, v167 /*v423*/, v152 /*v408*/, v161 /*v417*/
	s_set_vgpr_msb 0x41                     ;  msbs: dst=1 src0=1 src1=0 src2=0
	v_mul_i32_i24_e32 v167 /*v423*/, v144 /*v400*/, v55
	s_set_vgpr_msb 1                        ;  msbs: dst=0 src0=1 src1=0 src2=0
	v_add3_u32 v241, v168 /*v424*/, v242, v241
	v_mul_i32_i24_e32 v242, v162 /*v418*/, v45
	v_add3_u32 v188, v142 /*v398*/, v236, v188
	v_mul_i32_i24_e32 v236, v162 /*v418*/, v55
	s_set_vgpr_msb 17                       ;  msbs: dst=0 src0=1 src1=0 src2=1
	v_add3_u32 v208, v45 /*v301*/, v208, v101 /*v357*/
	s_set_vgpr_msb 0x41                     ;  msbs: dst=1 src0=1 src1=0 src2=0
	v_mul_i32_i24_e32 v45 /*v301*/, v130 /*v386*/, v45
	v_mul_i32_i24_e32 v101 /*v357*/, v130 /*v386*/, v55
	s_set_vgpr_msb 17                       ;  msbs: dst=0 src0=1 src1=0 src2=1
	v_add3_u32 v55, v31 /*v287*/, v209, v158 /*v414*/
	s_set_vgpr_msb 1                        ;  msbs: dst=0 src0=1 src1=0 src2=0
	v_add3_u32 v186, v30 /*v286*/, v210, v186
	s_set_vgpr_msb 20                       ;  msbs: dst=0 src0=0 src1=1 src2=1
	v_add3_u32 v229, v229, v160 /*v416*/, v111 /*v367*/
	s_set_vgpr_msb 0x41                     ;  msbs: dst=1 src0=1 src1=0 src2=0
	v_mul_i32_i24_e32 v111 /*v367*/, v150 /*v406*/, v54
	v_mul_i32_i24_e32 v158 /*v414*/, v128 /*v384*/, v42
	s_set_vgpr_msb 0                        ;  msbs: dst=0 src0=0 src1=0 src2=0
	v_add3_u32 v184, v206, v184, v185
	s_set_vgpr_msb 20                       ;  msbs: dst=0 src0=0 src1=1 src2=1
	v_add3_u32 v204, v204, v124 /*v380*/, v117 /*v373*/
	s_set_vgpr_msb 0x41                     ;  msbs: dst=1 src0=1 src1=0 src2=0
	v_mul_i32_i24_e32 v117 /*v373*/, v128 /*v384*/, v28
	v_mul_i32_i24_e32 v124 /*v380*/, v162 /*v418*/, v25
	s_set_vgpr_msb 20                       ;  msbs: dst=0 src0=0 src1=1 src2=1
	v_add3_u32 v102, v102, v120 /*v376*/, v164 /*v420*/
	s_set_vgpr_msb 0x41                     ;  msbs: dst=1 src0=1 src1=0 src2=0
	v_mul_i32_i24_e32 v120 /*v376*/, v130 /*v386*/, v27
	s_set_vgpr_msb 1                        ;  msbs: dst=0 src0=1 src1=0 src2=0
	v_mul_i32_i24_e32 v54, v128 /*v384*/, v54
	s_set_vgpr_msb 0x41                     ;  msbs: dst=1 src0=1 src1=0 src2=0
	v_mul_i32_i24_e32 v203 /*v459*/, v144 /*v400*/, v31
	s_set_vgpr_msb 16                       ;  msbs: dst=0 src0=0 src1=0 src2=1
	v_add3_u32 v202, v202, v222, v116 /*v372*/
	s_set_vgpr_msb 1                        ;  msbs: dst=0 src0=1 src1=0 src2=0
	v_mul_i32_i24_e32 v222, v130 /*v386*/, v31
	s_set_vgpr_msb 0x41                     ;  msbs: dst=1 src0=1 src1=0 src2=0
	v_mul_i32_i24_e32 v205 /*v461*/, v144 /*v400*/, v45
	s_set_vgpr_msb 0x55                     ;  msbs: dst=1 src0=1 src1=1 src2=1
	v_add3_u32 v46 /*v302*/, v46 /*v302*/, v121 /*v377*/, v122 /*v378*/
	s_set_vgpr_msb 0x41                     ;  msbs: dst=1 src0=1 src1=0 src2=0
	v_mul_i32_i24_e32 v121 /*v377*/, v144 /*v400*/, v27
	v_mul_i32_i24_e32 v207 /*v463*/, v162 /*v418*/, v31
	;; [unrolled: 1-line block ×4, first 2 shown]
	s_set_vgpr_msb 0x55                     ;  msbs: dst=1 src0=1 src1=1 src2=1
	v_add3_u32 v43 /*v299*/, v43 /*v299*/, v188 /*v444*/, v189 /*v445*/
	s_set_vgpr_msb 0x41                     ;  msbs: dst=1 src0=1 src1=0 src2=0
	v_mul_i32_i24_e32 v189 /*v445*/, v128 /*v384*/, v46
	v_mul_i32_i24_e32 v215 /*v471*/, v128 /*v384*/, v26
	;; [unrolled: 1-line block ×3, first 2 shown]
	s_set_vgpr_msb 17                       ;  msbs: dst=0 src0=1 src1=0 src2=1
	v_add3_u32 v244, v42 /*v298*/, v244, v191 /*v447*/
	s_set_vgpr_msb 0x55                     ;  msbs: dst=1 src0=1 src1=1 src2=1
	v_add3_u32 v40 /*v296*/, v40 /*v296*/, v192 /*v448*/, v193 /*v449*/
	s_set_vgpr_msb 0x41                     ;  msbs: dst=1 src0=1 src1=0 src2=0
	v_mul_i32_i24_e32 v192 /*v448*/, v130 /*v386*/, v11
	v_mul_i32_i24_e32 v218 /*v474*/, v162 /*v418*/, v11
	s_set_vgpr_msb 1                        ;  msbs: dst=0 src0=1 src1=0 src2=0
	v_mul_i32_i24_e32 v11, v144 /*v400*/, v11
	s_set_vgpr_msb 0x41                     ;  msbs: dst=1 src0=1 src1=0 src2=0
	v_mul_i32_i24_e32 v219 /*v475*/, v144 /*v400*/, v25
	s_set_vgpr_msb 21                       ;  msbs: dst=0 src0=1 src1=1 src2=1
	v_add3_u32 v25, v37 /*v293*/, v194 /*v450*/, v87 /*v343*/
	s_set_vgpr_msb 0x41                     ;  msbs: dst=1 src0=1 src1=0 src2=0
	v_mul_i32_i24_e32 v87 /*v343*/, v150 /*v406*/, v33
	v_mul_i32_i24_e32 v220 /*v476*/, v162 /*v418*/, v32
	;; [unrolled: 1-line block ×7, first 2 shown]
	s_set_vgpr_msb 1                        ;  msbs: dst=0 src0=1 src1=0 src2=0
	v_mul_i32_i24_e32 v234, v130 /*v386*/, v234
	s_set_vgpr_msb 0x41                     ;  msbs: dst=1 src0=1 src1=0 src2=0
	v_mul_i32_i24_e32 v130 /*v386*/, v130 /*v386*/, v32
	v_mul_i32_i24_e32 v223 /*v479*/, v159 /*v415*/, v23
	;; [unrolled: 1-line block ×3, first 2 shown]
	s_set_vgpr_msb 1                        ;  msbs: dst=0 src0=1 src1=0 src2=0
	v_add3_u32 v23, v23 /*v279*/, v174, v178
	s_set_vgpr_msb 5                        ;  msbs: dst=0 src0=1 src1=1 src2=0
	v_add3_u32 v217, v28 /*v284*/, v183 /*v439*/, v217
	s_set_vgpr_msb 0x55                     ;  msbs: dst=1 src0=1 src1=1 src2=1
	v_add3_u32 v23 /*v279*/, v32 /*v288*/, v190 /*v446*/, v200 /*v456*/
	s_set_vgpr_msb 0                        ;  msbs: dst=0 src0=0 src1=0 src2=0
	v_cvt_f32_i32_e32 v33, v139
	v_cvt_f32_i32_e32 v32, v66
	s_set_vgpr_msb 21                       ;  msbs: dst=0 src0=1 src1=1 src2=1
	v_mad_i32_i24 v66, v93 /*v349*/, v0 /*v256*/, v103 /*v359*/
	s_set_vgpr_msb 0                        ;  msbs: dst=0 src0=0 src1=0 src2=0
	v_mul_i32_i24_e32 v110, v173, v56
	v_mul_i32_i24_e32 v112, v173, v53
	;; [unrolled: 1-line block ×4, first 2 shown]
	s_set_vgpr_msb 1                        ;  msbs: dst=0 src0=1 src1=0 src2=0
	v_mul_i32_i24_e32 v137, v148 /*v404*/, v56
	v_mul_i32_i24_e32 v101, v148 /*v404*/, v40
	s_set_vgpr_msb 0x41                     ;  msbs: dst=1 src0=1 src1=0 src2=0
	v_mul_i32_i24_e32 v171 /*v427*/, v148 /*v404*/, v53
	s_set_vgpr_msb 0x55                     ;  msbs: dst=1 src0=1 src1=1 src2=1
	v_add3_u32 v173 /*v429*/, v173 /*v429*/, v211 /*v467*/, v212 /*v468*/
	s_set_vgpr_msb 0x41                     ;  msbs: dst=1 src0=1 src1=0 src2=0
	v_mul_i32_i24_e32 v196 /*v452*/, v148 /*v404*/, v35
	v_mul_i32_i24_e32 v179 /*v435*/, v148 /*v404*/, v37
	s_set_vgpr_msb 1                        ;  msbs: dst=0 src0=1 src1=0 src2=0
	v_mul_i32_i24_e32 v218, v148 /*v404*/, v44
	s_set_vgpr_msb 0x41                     ;  msbs: dst=1 src0=1 src1=0 src2=0
	v_mul_i32_i24_e32 v137 /*v393*/, v148 /*v404*/, v41
	v_mul_i32_i24_e32 v148 /*v404*/, v148 /*v404*/, v30
	;; [unrolled: 1-line block ×3, first 2 shown]
	s_set_vgpr_msb 1                        ;  msbs: dst=0 src0=1 src1=0 src2=0
	v_add3_u32 v226, v132 /*v388*/, v226, v227
	v_mul_i32_i24_e32 v227, v115 /*v371*/, v57
	s_set_vgpr_msb 0x41                     ;  msbs: dst=1 src0=1 src1=0 src2=0
	v_mul_i32_i24_e32 v132 /*v388*/, v115 /*v371*/, v52
	s_set_vgpr_msb 1                        ;  msbs: dst=0 src0=1 src1=0 src2=0
	v_add3_u32 v70, v175 /*v431*/, v70, v225
	v_mul_i32_i24_e32 v225, v115 /*v371*/, v38
	s_set_vgpr_msb 0x41                     ;  msbs: dst=1 src0=1 src1=0 src2=0
	v_mul_i32_i24_e32 v175 /*v431*/, v115 /*v371*/, v29
	;; [unrolled: 5-line block ×3, first 2 shown]
	v_mul_i32_i24_e32 v115 /*v371*/, v115 /*v371*/, v235
	s_set_vgpr_msb 64                       ;  msbs: dst=1 src0=0 src1=0 src2=0
	v_mul_i32_i24_e32 v161 /*v417*/, v119, v57
	s_set_vgpr_msb 0x41                     ;  msbs: dst=1 src0=1 src1=0 src2=0
	v_mul_i32_i24_e32 v168 /*v424*/, v159 /*v415*/, v57
	v_mul_i32_i24_e32 v142 /*v398*/, v159 /*v415*/, v52
	s_set_vgpr_msb 1                        ;  msbs: dst=0 src0=1 src1=0 src2=0
	v_mul_i32_i24_e32 v57, v143 /*v399*/, v57
	s_set_vgpr_msb 0x41                     ;  msbs: dst=1 src0=1 src1=0 src2=0
	v_mul_i32_i24_e32 v202 /*v458*/, v143 /*v399*/, v52
	v_mul_i32_i24_e32 v31 /*v287*/, v150 /*v406*/, v42
	s_set_vgpr_msb 1                        ;  msbs: dst=0 src0=1 src1=0 src2=0
	v_mul_i32_i24_e32 v210, v153 /*v409*/, v56
	s_set_vgpr_msb 0x41                     ;  msbs: dst=1 src0=1 src1=0 src2=0
	v_mul_i32_i24_e32 v30 /*v286*/, v153 /*v409*/, v53
	s_set_vgpr_msb 1                        ;  msbs: dst=0 src0=1 src1=0 src2=0
	v_mul_i32_i24_e32 v56, v140 /*v396*/, v56
	s_set_vgpr_msb 0x41                     ;  msbs: dst=1 src0=1 src1=0 src2=0
	v_mul_i32_i24_e32 v160 /*v416*/, v153 /*v409*/, v37
	s_set_vgpr_msb 20                       ;  msbs: dst=0 src0=0 src1=1 src2=1
	v_add3_u32 v228, v228, v108 /*v364*/, v163 /*v419*/
	s_set_vgpr_msb 0x41                     ;  msbs: dst=1 src0=1 src1=0 src2=0
	v_mul_i32_i24_e32 v163 /*v419*/, v159 /*v415*/, v36
	s_set_vgpr_msb 1                        ;  msbs: dst=0 src0=1 src1=0 src2=0
	v_mul_i32_i24_e32 v185, v143 /*v399*/, v38
	v_mul_i32_i24_e32 v206, v150 /*v406*/, v26
	s_set_vgpr_msb 0x41                     ;  msbs: dst=1 src0=1 src1=0 src2=0
	v_mul_i32_i24_e32 v164 /*v420*/, v140 /*v396*/, v53
	s_set_vgpr_msb 64                       ;  msbs: dst=1 src0=0 src1=0 src2=0
	v_mul_i32_i24_e32 v116 /*v372*/, v119, v52
	v_mul_i32_i24_e32 v204 /*v460*/, v119, v38
	s_set_vgpr_msb 0x41                     ;  msbs: dst=1 src0=1 src1=0 src2=0
	v_mul_i32_i24_e32 v122 /*v378*/, v143 /*v399*/, v29
	s_set_vgpr_msb 0                        ;  msbs: dst=0 src0=0 src1=0 src2=0
	v_add3_u32 v180, v201, v180, v181
	v_mul_i32_i24_e32 v181, v119, v29
	s_set_vgpr_msb 1                        ;  msbs: dst=0 src0=1 src1=0 src2=0
	v_mul_i32_i24_e32 v201, v150 /*v406*/, v28
	s_set_vgpr_msb 0x41                     ;  msbs: dst=1 src0=1 src1=0 src2=0
	v_mul_i32_i24_e32 v208 /*v464*/, v159 /*v415*/, v38
	v_mul_i32_i24_e32 v209 /*v465*/, v159 /*v415*/, v29
	v_mul_i32_i24_e32 v211 /*v467*/, v150 /*v406*/, v43
	s_set_vgpr_msb 0                        ;  msbs: dst=0 src0=0 src1=0 src2=0
	v_add3_u32 v182, v200, v182, v183
	s_set_vgpr_msb 1                        ;  msbs: dst=0 src0=1 src1=0 src2=0
	v_mul_i32_i24_e32 v200, v150 /*v406*/, v46
	s_set_vgpr_msb 0x41                     ;  msbs: dst=1 src0=1 src1=0 src2=0
	v_mul_i32_i24_e32 v188 /*v444*/, v159 /*v415*/, v15
	v_mul_i32_i24_e32 v214 /*v470*/, v140 /*v396*/, v37
	;; [unrolled: 1-line block ×4, first 2 shown]
	s_set_vgpr_msb 64                       ;  msbs: dst=1 src0=0 src1=0 src2=0
	v_mul_i32_i24_e32 v193 /*v449*/, v119, v36
	s_set_vgpr_msb 0                        ;  msbs: dst=0 src0=0 src1=0 src2=0
	v_mul_i32_i24_e32 v15, v119, v15
	v_mul_i32_i24_e32 v235, v119, v235
	;; [unrolled: 1-line block ×3, first 2 shown]
	s_set_vgpr_msb 0x41                     ;  msbs: dst=1 src0=1 src1=0 src2=0
	v_mul_i32_i24_e32 v150 /*v406*/, v150 /*v406*/, v39
	s_set_vgpr_msb 5                        ;  msbs: dst=0 src0=1 src1=1 src2=0
	v_add3_u32 v178, v25 /*v281*/, v199 /*v455*/, v212
	s_set_vgpr_msb 1                        ;  msbs: dst=0 src0=1 src1=0 src2=0
	v_add3_u32 v212, v26 /*v282*/, v47, v48
	s_set_vgpr_msb 0x41                     ;  msbs: dst=1 src0=1 src1=0 src2=0
	v_add3_u32 v25 /*v281*/, v169 /*v425*/, v51, v49
	s_set_vgpr_msb 1                        ;  msbs: dst=0 src0=1 src1=0 src2=0
	v_add3_u32 v58, v177 /*v433*/, v61, v58
	v_add3_u32 v61, v184 /*v440*/, v111, v113
	s_set_vgpr_msb 16                       ;  msbs: dst=0 src0=0 src1=0 src2=1
	v_add3_u32 v113, v230, v115, v92 /*v348*/
	s_set_vgpr_msb 20                       ;  msbs: dst=0 src0=0 src1=1 src2=1
	v_add3_u32 v230, v232, v77 /*v333*/, v59 /*v315*/
	s_set_vgpr_msb 21                       ;  msbs: dst=0 src0=1 src1=1 src2=1
	v_add3_u32 v232, v48 /*v304*/, v57 /*v313*/, v54 /*v310*/
	s_set_vgpr_msb 0                        ;  msbs: dst=0 src0=0 src1=0 src2=0
	v_cvt_f32_i32_e32 v29, v72
	s_set_vgpr_msb 1                        ;  msbs: dst=0 src0=1 src1=0 src2=0
	v_cvt_f32_i32_e32 v28, v166 /*v422*/
	v_cvt_f32_i32_e32 v37, v109 /*v365*/
	;; [unrolled: 1-line block ×3, first 2 shown]
	s_set_vgpr_msb 0                        ;  msbs: dst=0 src0=0 src1=0 src2=0
	v_cvt_f32_i32_e32 v39, v145
	s_set_vgpr_msb 1                        ;  msbs: dst=0 src0=1 src1=0 src2=0
	v_cvt_f32_i32_e32 v38, v107 /*v363*/
	s_set_vgpr_msb 0                        ;  msbs: dst=0 src0=0 src1=0 src2=0
	v_cvt_f32_i32_e32 v45, v68
	v_cvt_f32_i32_e32 v46, v240
	s_set_vgpr_msb 1                        ;  msbs: dst=0 src0=1 src1=0 src2=0
	v_cvt_f32_i32_e32 v47, v119 /*v375*/
	s_set_vgpr_msb 16                       ;  msbs: dst=0 src0=0 src1=0 src2=1
	v_add3_u32 v68, v124, v190, v100 /*v356*/
	v_cvt_f32_i32_e32 v49, v67
	s_set_vgpr_msb 1                        ;  msbs: dst=0 src0=1 src1=0 src2=0
	v_cvt_f32_i32_e32 v52, v89 /*v345*/
	s_set_vgpr_msb 0                        ;  msbs: dst=0 src0=0 src1=0 src2=0
	v_cvt_f32_i32_e32 v53, v143
	s_set_vgpr_msb 1                        ;  msbs: dst=0 src0=1 src1=0 src2=0
	v_add3_u32 v67, v152 /*v408*/, v121, v123
	s_set_vgpr_msb 20                       ;  msbs: dst=0 src0=0 src1=1 src2=1
	v_add3_u32 v64, v64, v13 /*v269*/, v14 /*v270*/
	v_add3_u32 v71, v71, v36 /*v292*/, v38 /*v294*/
	v_add3_u32 v69, v69, v9 /*v265*/, v44 /*v300*/
	v_add3_u32 v76, v76, v6 /*v262*/, v7 /*v263*/
	v_add3_u32 v124, v186, v10 /*v266*/, v11 /*v267*/
	v_add3_u32 v139, v223, v1 /*v257*/, v3 /*v259*/
	s_set_vgpr_msb 0                        ;  msbs: dst=0 src0=0 src1=0 src2=0
	v_add3_u32 v108, v184, v191, v108
	v_add3_u32 v184, v244, v252, v249
	;; [unrolled: 1-line block ×3, first 2 shown]
	s_set_vgpr_msb 4                        ;  msbs: dst=0 src0=0 src1=1 src2=0
	v_add3_u32 v73, v73, v4 /*v260*/, v238
	s_set_vgpr_msb 0                        ;  msbs: dst=0 src0=0 src1=0 src2=0
	v_add3_u32 v102, v102, v175, v149
	v_add3_u32 v142, v217, v142, v144
	s_set_vgpr_msb 1                        ;  msbs: dst=0 src0=1 src1=0 src2=0
	v_add3_u32 v138, v23 /*v279*/, v138, v140
	s_set_vgpr_msb 16                       ;  msbs: dst=0 src0=0 src1=0 src2=1
	v_pk_mul_f32 v[32:33], v[22:23], v[32:33] op_sel_hi:[0,1]
	v_cvt_f32_i32_e32 v23, v66
	v_dual_mov_b32 v24, v19 :: v_dual_mov_b32 v21, v19
	v_add3_u32 v100, v232, v100, v174 /*v430*/
	v_pk_mul_f32 v[28:29], v[18:19], v[28:29] op_sel_hi:[0,1]
	v_pk_mul_f32 v[36:37], v[18:19], v[36:37] op_sel_hi:[0,1]
	;; [unrolled: 1-line block ×3, first 2 shown]
	v_pk_mul_f32 v[46:47], v[18:19], v[46:47]
	v_cvt_f32_i32_e32 v19, v68
	v_pk_mul_f32 v[52:53], v[22:23], v[52:53] op_sel_hi:[0,1]
	v_add3_u32 v22, v64, v210, v168 /*v424*/
	s_set_vgpr_msb 20                       ;  msbs: dst=0 src0=0 src1=1 src2=1
	v_add3_u32 v64, v71, v30 /*v286*/, v142 /*v398*/
	v_add3_u32 v68, v184, v160 /*v416*/, v163 /*v419*/
	s_set_vgpr_msb 0                        ;  msbs: dst=0 src0=0 src1=0 src2=0
	v_add3_u32 v56, v76, v56, v57
	s_set_vgpr_msb 20                       ;  msbs: dst=0 src0=0 src1=1 src2=1
	v_add3_u32 v57, v69, v158 /*v414*/, v45 /*v301*/
	v_add3_u32 v69, v139, v164 /*v420*/, v202 /*v458*/
	;; [unrolled: 1-line block ×3, first 2 shown]
	s_set_vgpr_msb 0                        ;  msbs: dst=0 src0=0 src1=0 src2=0
	v_add3_u32 v67, v67, v101, v181
	s_set_vgpr_msb 4                        ;  msbs: dst=0 src0=0 src1=1 src2=0
	v_add3_u32 v11, v102, v185 /*v441*/, v11
	v_add3_u32 v102, v138, v148 /*v404*/, v235
	;; [unrolled: 1-line block ×3, first 2 shown]
	s_set_vgpr_msb 21                       ;  msbs: dst=0 src0=1 src1=1 src2=1
	v_add3_u32 v174, v24 /*v280*/, v156 /*v412*/, v176 /*v432*/
	s_set_vgpr_msb 5                        ;  msbs: dst=0 src0=1 src1=1 src2=0
	v_add3_u32 v224, v29 /*v285*/, v187 /*v443*/, v224
	s_set_vgpr_msb 1                        ;  msbs: dst=0 src0=1 src1=0 src2=0
	v_add3_u32 v59, v180 /*v436*/, v60, v59
	s_set_vgpr_msb 17                       ;  msbs: dst=0 src0=1 src1=0 src2=1
	v_add3_u32 v60, v182 /*v438*/, v109, v146 /*v402*/
	s_set_vgpr_msb 21                       ;  msbs: dst=0 src0=1 src1=1 src2=1
	v_mad_i32_i24 v72, v93 /*v349*/, v35 /*v291*/, v102 /*v358*/
	s_set_vgpr_msb 0                        ;  msbs: dst=0 src0=0 src1=0 src2=0
	v_mul_lo_u32 v100, v100, v170
	v_mul_lo_u32 v64, v64, v166
	;; [unrolled: 1-line block ×8, first 2 shown]
	v_mul_i32_i24_e32 v93, v173, v41
	v_mul_i32_i24_e32 v118, v173, v40
	;; [unrolled: 1-line block ×3, first 2 shown]
	s_set_vgpr_msb 1                        ;  msbs: dst=0 src0=1 src1=0 src2=0
	v_mul_i32_i24_e32 v209, v140 /*v396*/, v40
	s_set_vgpr_msb 0x41                     ;  msbs: dst=1 src0=1 src1=0 src2=0
	v_mul_i32_i24_e32 v206 /*v462*/, v153 /*v409*/, v40
	v_mul_i32_i24_e32 v212 /*v468*/, v153 /*v409*/, v35
	s_set_vgpr_msb 1                        ;  msbs: dst=0 src0=1 src1=0 src2=0
	v_mul_i32_i24_e32 v183, v153 /*v409*/, v44
	s_set_vgpr_msb 0x41                     ;  msbs: dst=1 src0=1 src1=0 src2=0
	v_mul_i32_i24_e32 v216 /*v472*/, v140 /*v396*/, v44
	v_mul_i32_i24_e32 v37 /*v293*/, v153 /*v409*/, v30
	;; [unrolled: 1-line block ×4, first 2 shown]
	s_set_vgpr_msb 0x55                     ;  msbs: dst=1 src0=1 src1=1 src2=1
	v_add3_u32 v26 /*v282*/, v170 /*v426*/, v155 /*v411*/, v138 /*v394*/
	s_set_vgpr_msb 1                        ;  msbs: dst=0 src0=1 src1=0 src2=0
	v_add3_u32 v63, v186 /*v442*/, v63, v168
	s_set_vgpr_msb 20                       ;  msbs: dst=0 src0=0 src1=1 src2=1
	v_add3_u32 v109, v203, v81 /*v337*/, v82 /*v338*/
	s_set_vgpr_msb 21                       ;  msbs: dst=0 src0=1 src1=1 src2=1
	v_add3_u32 v111, v47 /*v303*/, v76 /*v332*/, v80 /*v336*/
	s_set_vgpr_msb 20                       ;  msbs: dst=0 src0=0 src1=1 src2=1
	v_add3_u32 v115, v231, v71 /*v327*/, v68 /*v324*/
	v_add3_u32 v168, v233, v74 /*v330*/, v75 /*v331*/
	;; [unrolled: 1-line block ×4, first 2 shown]
	s_set_vgpr_msb 21                       ;  msbs: dst=0 src0=1 src1=1 src2=1
	v_add3_u32 v233, v49 /*v305*/, v53 /*v309*/, v55 /*v311*/
	s_set_vgpr_msb 0                        ;  msbs: dst=0 src0=0 src1=0 src2=0
	v_cvt_f32_i32_e32 v41, v75
	s_set_vgpr_msb 1                        ;  msbs: dst=0 src0=1 src1=0 src2=0
	v_cvt_f32_i32_e32 v40, v105 /*v361*/
	v_cvt_f32_i32_e32 v43, v91 /*v347*/
	s_set_vgpr_msb 0                        ;  msbs: dst=0 src0=0 src1=0 src2=0
	v_cvt_f32_i32_e32 v42, v221
	s_set_vgpr_msb 1                        ;  msbs: dst=0 src0=1 src1=0 src2=0
	v_cvt_f32_i32_e32 v44, v94 /*v350*/
	s_set_vgpr_msb 20                       ;  msbs: dst=0 src0=0 src1=1 src2=1
	v_add3_u32 v121, v215, v39 /*v295*/, v41 /*v297*/
	s_set_vgpr_msb 16                       ;  msbs: dst=0 src0=0 src1=0 src2=1
	v_add3_u32 v125, v229, v125, v151 /*v407*/
	s_set_vgpr_msb 0                        ;  msbs: dst=0 src0=0 src1=0 src2=0
	v_add3_u32 v174, v174, v255, v254
	s_set_vgpr_msb 4                        ;  msbs: dst=0 src0=0 src1=1 src2=0
	v_add3_u32 v77, v77, v5 /*v261*/, v239
	s_set_vgpr_msb 16                       ;  msbs: dst=0 src0=0 src1=0 src2=1
	v_add3_u32 v65, v25, v65, v22 /*v278*/
	s_set_vgpr_msb 20                       ;  msbs: dst=0 src0=0 src1=1 src2=1
	v_add3_u32 v190, v212, v15 /*v271*/, v16 /*v272*/
	s_set_vgpr_msb 0                        ;  msbs: dst=0 src0=0 src1=0 src2=0
	v_add3_u32 v60, v60, v104, v126
	v_add3_u32 v80, v224, v80, v81
	v_cvt_f32_i32_e32 v25, v72
	s_set_vgpr_msb 1                        ;  msbs: dst=0 src0=1 src1=0 src2=0
	v_add3_u32 v81, v26 /*v282*/, v114, v120
	s_set_vgpr_msb 0                        ;  msbs: dst=0 src0=0 src1=0 src2=0
	v_add3_u32 v59, v59, v107, v117
	s_set_vgpr_msb 16                       ;  msbs: dst=0 src0=0 src1=0 src2=1
	v_add3_u32 v93, v115, v93, v197 /*v453*/
	s_set_vgpr_msb 0                        ;  msbs: dst=0 src0=0 src1=0 src2=0
	v_add3_u32 v107, v111, v110, v227
	s_set_vgpr_msb 16                       ;  msbs: dst=0 src0=0 src1=0 src2=1
	v_add3_u32 v109, v109, v112, v132 /*v388*/
	s_set_vgpr_msb 20                       ;  msbs: dst=0 src0=0 src1=1 src2=1
	v_add3_u32 v112, v113, v58 /*v314*/, v178 /*v434*/
	s_set_vgpr_msb 0                        ;  msbs: dst=0 src0=0 src1=0 src2=0
	v_add3_u32 v105, v105, v122, v225
	s_set_vgpr_msb 16                       ;  msbs: dst=0 src0=0 src1=0 src2=1
	v_add3_u32 v113, v203, v118, v175 /*v431*/
	s_set_vgpr_msb 20                       ;  msbs: dst=0 src0=0 src1=1 src2=1
	v_add3_u32 v115, v233, v50 /*v306*/, v181 /*v437*/
	s_set_vgpr_msb 0                        ;  msbs: dst=0 src0=0 src1=0 src2=0
	v_pk_mul_f32 v[40:41], v[24:25], v[40:41] op_sel_hi:[0,1]
	v_pk_mul_f32 v[42:43], v[24:25], v[42:43] op_sel_hi:[0,1]
	;; [unrolled: 1-line block ×3, first 2 shown]
	s_set_vgpr_msb 4                        ;  msbs: dst=0 src0=0 src1=1 src2=0
	v_add3_u32 v24, v121, v31 /*v287*/, v242
	s_set_vgpr_msb 16                       ;  msbs: dst=0 src0=0 src1=0 src2=1
	v_add3_u32 v120, v174, v206, v124 /*v380*/
	v_add3_u32 v76, v125, v147, v203 /*v459*/
	s_set_vgpr_msb 20                       ;  msbs: dst=0 src0=0 src1=1 src2=1
	v_add3_u32 v77, v77, v198 /*v454*/, v205 /*v461*/
	v_add3_u32 v125, v190, v214 /*v470*/, v191 /*v447*/
	;; [unrolled: 1-line block ×4, first 2 shown]
	s_set_vgpr_msb 1                        ;  msbs: dst=0 src0=1 src1=0 src2=0
	v_add3_u32 v62, v27 /*v283*/, v50, v62
	s_set_vgpr_msb 0                        ;  msbs: dst=0 src0=0 src1=0 src2=0
	v_mul_lo_u32 v93, v93, v170
	v_mul_lo_u32 v107, v107, v170
	;; [unrolled: 1-line block ×5, first 2 shown]
	v_mad_u32 v100, v115, v135, v100
	v_mad_u32 v24, v24, v128, v64
	;; [unrolled: 1-line block ×8, first 2 shown]
	s_set_vgpr_msb 21                       ;  msbs: dst=0 src0=1 src1=1 src2=1
	v_add3_u32 v207, v145 /*v401*/, v97 /*v353*/, v61 /*v317*/
	s_set_vgpr_msb 0                        ;  msbs: dst=0 src0=0 src1=0 src2=0
	v_add3_u32 v62, v62, v197, v198
	v_add3_u32 v75, v188, v189, v187
	s_set_vgpr_msb 20                       ;  msbs: dst=0 src0=0 src1=1 src2=1
	v_add3_u32 v187, v226, v2 /*v258*/, v126 /*v382*/
	s_set_vgpr_msb 4                        ;  msbs: dst=0 src0=0 src1=1 src2=0
	v_add3_u32 v189, v228, v99 /*v355*/, v247
	v_add3_u32 v70, v70, v8 /*v264*/, v74
	s_set_vgpr_msb 20                       ;  msbs: dst=0 src0=0 src1=1 src2=1
	v_add3_u32 v74, v241, v21 /*v277*/, v20 /*v276*/
	v_add3_u32 v182, v182, v17 /*v273*/, v18 /*v274*/
	s_set_vgpr_msb 4                        ;  msbs: dst=0 src0=0 src1=1 src2=0
	v_add3_u32 v61, v61, v86 /*v342*/, v106
	s_set_vgpr_msb 20                       ;  msbs: dst=0 src0=0 src1=1 src2=1
	v_add3_u32 v106, v168, v72 /*v328*/, v110 /*v366*/
	s_set_vgpr_msb 16                       ;  msbs: dst=0 src0=0 src1=0 src2=1
	v_add3_u32 v110, v230, v129, v129 /*v385*/
	v_add3_u32 v111, v207, v127, v195 /*v451*/
	s_set_vgpr_msb 20                       ;  msbs: dst=0 src0=0 src1=1 src2=1
	v_add3_u32 v62, v62, v215 /*v471*/, v217 /*v473*/
	s_set_vgpr_msb 0x55                     ;  msbs: dst=1 src0=1 src1=1 src2=1
	s_clause 0x2
	scratch_load_b32 v199 /*v455*/, off, off offset:96
	scratch_load_b32 v200 /*v456*/, off, off offset:100
	;; [unrolled: 1-line block ×3, first 2 shown]
	v_add3_u32 v27 /*v283*/, v172 /*v428*/, v134 /*v390*/, v201 /*v457*/
	s_clause 0x2
	scratch_load_b32 v201 /*v457*/, off, off offset:104
	scratch_load_b32 v197 /*v453*/, off, off offset:88
	;; [unrolled: 1-line block ×3, first 2 shown]
	s_set_vgpr_msb 20                       ;  msbs: dst=0 src0=0 src1=1 src2=1
	v_cvt_f32_i32_e32 v31, v213
	scratch_load_b64 v[212:213], off, off offset:8 th:TH_LOAD_LU ; 8-byte Folded Reload
	v_add3_u32 v121, v187, v196 /*v452*/, v204 /*v460*/
	s_set_vgpr_msb 64                       ;  msbs: dst=1 src0=0 src1=0 src2=0
	s_clause 0x3
	scratch_load_b32 v204 /*v460*/, off, off offset:108
	scratch_load_b32 v196 /*v452*/, off, off offset:84
	;; [unrolled: 1-line block ×4, first 2 shown]
	s_set_vgpr_msb 20                       ;  msbs: dst=0 src0=0 src1=1 src2=1
	v_add3_u32 v74, v74, v206 /*v462*/, v209 /*v465*/
	s_set_vgpr_msb 64                       ;  msbs: dst=1 src0=0 src1=0 src2=0
	s_clause 0x1
	scratch_load_b32 v209 /*v465*/, off, off offset:128
	scratch_load_b32 v206 /*v462*/, off, off offset:116
	s_set_vgpr_msb 16                       ;  msbs: dst=0 src0=0 src1=0 src2=1
	v_add3_u32 v65, v65, v201, v210 /*v466*/
	s_set_vgpr_msb 64                       ;  msbs: dst=1 src0=0 src1=0 src2=0
	scratch_load_b32 v210 /*v466*/, off, off offset:132 ; 4-byte Folded Reload
	s_set_vgpr_msb 20                       ;  msbs: dst=0 src0=0 src1=1 src2=1
	v_add3_u32 v70, v70, v212 /*v468*/, v208 /*v464*/
	s_set_vgpr_msb 64                       ;  msbs: dst=1 src0=0 src1=0 src2=0
	s_clause 0x1
	scratch_load_b32 v212 /*v468*/, off, off offset:140
	scratch_load_b32 v208 /*v464*/, off, off offset:124
	s_set_vgpr_msb 20                       ;  msbs: dst=0 src0=0 src1=1 src2=1
	v_add3_u32 v101, v189, v211 /*v467*/, v207 /*v463*/
	s_set_vgpr_msb 64                       ;  msbs: dst=1 src0=0 src1=0 src2=0
	s_clause 0x1
	scratch_load_b32 v211 /*v467*/, off, off offset:136
	scratch_load_b32 v207 /*v463*/, off, off offset:120
	s_set_vgpr_msb 4                        ;  msbs: dst=0 src0=0 src1=1 src2=0
	v_add3_u32 v108, v108, v213 /*v469*/, v222
	s_set_vgpr_msb 64                       ;  msbs: dst=1 src0=0 src1=0 src2=0
	s_clause 0x3
	scratch_load_b32 v213 /*v469*/, off, off offset:144
	scratch_load_b32 v215 /*v471*/, off, off offset:152
	;; [unrolled: 1-line block ×4, first 2 shown]
	s_set_vgpr_msb 20                       ;  msbs: dst=0 src0=0 src1=1 src2=1
	v_add3_u32 v126, v182, v189 /*v445*/, v192 /*v448*/
	s_set_vgpr_msb 64                       ;  msbs: dst=1 src0=0 src1=0 src2=0
	s_clause 0x1
	scratch_load_b32 v192 /*v448*/, off, off offset:68
	scratch_load_b32 v189 /*v445*/, off, off offset:56
	s_set_vgpr_msb 0                        ;  msbs: dst=0 src0=0 src1=0 src2=0
	v_mad_u32 v93, v106, v135, v93
	v_mad_u32 v106, v112, v135, v107
	;; [unrolled: 1-line block ×5, first 2 shown]
	v_cvt_f32_i32_e32 v62, v100
	v_cvt_f32_i32_e32 v100, v68
	;; [unrolled: 1-line block ×3, first 2 shown]
	v_mov_b64_e32 v[68:69], v[82:83]
	v_mov_b64_e32 v[82:83], v[96:97]
	;; [unrolled: 1-line block ×3, first 2 shown]
	scratch_load_b64 v[94:95], off, off th:TH_LOAD_LU ; 8-byte Folded Reload
	v_cvt_f32_i32_e32 v111, v77
	v_cvt_f32_i32_e32 v110, v76
	v_mov_b64_e32 v[76:77], v[90:91]
	v_mov_b64_e32 v[90:91], v[0:1]
	scratch_load_b64 v[0:1], off, off offset:16 th:TH_LOAD_LU ; 8-byte Folded Reload
	v_mul_i32_i24_e32 v173, v173, v30
	s_set_vgpr_msb 0x41                     ;  msbs: dst=1 src0=1 src1=0 src2=0
	v_mul_i32_i24_e32 v108 /*v364*/, v140 /*v396*/, v35
	v_mul_i32_i24_e32 v143 /*v399*/, v143 /*v399*/, v34
	s_set_vgpr_msb 21                       ;  msbs: dst=0 src0=1 src1=1 src2=1
	v_add3_u32 v231, v131 /*v387*/, v63 /*v319*/, v62 /*v318*/
	s_set_vgpr_msb 5                        ;  msbs: dst=0 src0=1 src1=1 src2=0
	v_add3_u32 v172, v147 /*v403*/, v69 /*v325*/, v172
	s_set_vgpr_msb 20                       ;  msbs: dst=0 src0=0 src1=1 src2=1
	v_add3_u32 v123, v55, v19 /*v275*/, v34 /*v290*/
	s_set_vgpr_msb 1                        ;  msbs: dst=0 src0=1 src1=0 src2=0
	v_add3_u32 v143, v173 /*v429*/, v177, v179
	s_set_vgpr_msb 0                        ;  msbs: dst=0 src0=0 src1=0 src2=0
	v_add3_u32 v179, v211, v243, v237
	s_set_vgpr_msb 20                       ;  msbs: dst=0 src0=0 src1=1 src2=1
	v_add3_u32 v58, v58, v84 /*v340*/, v85 /*v341*/
	v_add3_u32 v63, v63, v79 /*v335*/, v83 /*v339*/
	s_set_vgpr_msb 0x41                     ;  msbs: dst=1 src0=1 src1=0 src2=0
	v_mul_i32_i24_e32 v140 /*v396*/, v140 /*v396*/, v30
	v_mul_i32_i24_e32 v159 /*v415*/, v159 /*v415*/, v34
	s_set_vgpr_msb 1                        ;  msbs: dst=0 src0=1 src1=0 src2=0
	v_cvt_f32_i32_e32 v27, v165 /*v421*/
	v_cvt_f32_i32_e32 v26, v114 /*v370*/
	s_set_vgpr_msb 0                        ;  msbs: dst=0 src0=0 src1=0 src2=0
	v_cvt_f32_i32_e32 v30, v205
	s_set_vgpr_msb 1                        ;  msbs: dst=0 src0=1 src1=0 src2=0
	v_cvt_f32_i32_e32 v35, v106 /*v362*/
	v_cvt_f32_i32_e32 v34, v112 /*v368*/
	s_set_vgpr_msb 0                        ;  msbs: dst=0 src0=0 src1=0 src2=0
	v_cvt_f32_i32_e32 v50, v220
	s_set_vgpr_msb 1                        ;  msbs: dst=0 src0=1 src1=0 src2=0
	v_cvt_f32_i32_e32 v51, v157 /*v413*/
	v_add3_u32 v191, v43 /*v299*/, v194, v193
	s_set_vgpr_msb 0                        ;  msbs: dst=0 src0=0 src1=0 src2=0
	v_add3_u32 v176, v204, v192, v176
	v_add3_u32 v92, v231, v92, v216
	s_set_vgpr_msb 16                       ;  msbs: dst=0 src0=0 src1=0 src2=1
	v_add3_u32 v117, v172, v173, v115 /*v371*/
	s_set_vgpr_msb 4                        ;  msbs: dst=0 src0=0 src1=1 src2=0
	v_add3_u32 v66, v123, v111 /*v367*/, v236
	v_add3_u32 v71, v179, v108 /*v364*/, v185
	s_set_vgpr_msb 16                       ;  msbs: dst=0 src0=0 src1=0 src2=1
	v_add3_u32 v54, v124, v54, v101 /*v357*/
	s_set_vgpr_msb 4                        ;  msbs: dst=0 src0=0 src1=1 src2=0
	v_add3_u32 v63, v63, v221 /*v477*/, v234
	s_set_vgpr_msb 20                       ;  msbs: dst=0 src0=0 src1=1 src2=1
	v_add3_u32 v58, v58, v194 /*v450*/, v143 /*v399*/
	v_mov_b32_e32 v17, v5
	s_set_vgpr_msb 16                       ;  msbs: dst=0 src0=0 src1=0 src2=1
	v_pk_mul_f32 v[26:27], v[4:5], v[26:27]
	v_pk_mul_f32 v[30:31], v[4:5], v[30:31] op_sel_hi:[0,1]
	v_pk_mul_f32 v[34:35], v[4:5], v[34:35] op_sel_hi:[0,1]
	;; [unrolled: 1-line block ×3, first 2 shown]
	v_add3_u32 v5, v143, v137, v161 /*v417*/
	s_set_vgpr_msb 0                        ;  msbs: dst=0 src0=0 src1=0 src2=0
	v_add3_u32 v15, v176, v218, v15
	s_set_vgpr_msb 20                       ;  msbs: dst=0 src0=0 src1=1 src2=1
	v_add3_u32 v127, v191, v179 /*v435*/, v193 /*v449*/
	s_set_vgpr_msb 0                        ;  msbs: dst=0 src0=0 src1=0 src2=0
	v_mul_lo_u32 v109, v109, v170
	v_mul_lo_u32 v92, v92, v170
	;; [unrolled: 1-line block ×12, first 2 shown]
	s_set_vgpr_msb 20                       ;  msbs: dst=0 src0=0 src1=1 src2=1
	v_add3_u32 v103, v103, v96 /*v352*/, v98 /*v354*/
	s_set_vgpr_msb 0x55                     ;  msbs: dst=1 src0=1 src1=1 src2=1
	v_add3_u32 v28 /*v284*/, v139 /*v395*/, v56 /*v312*/, v70 /*v326*/
	s_set_vgpr_msb 5                        ;  msbs: dst=0 src0=1 src1=1 src2=0
	v_add3_u32 v171, v149 /*v405*/, v73 /*v329*/, v171
	s_set_vgpr_msb 17                       ;  msbs: dst=0 src0=1 src1=0 src2=1
	v_add3_u32 v188, v40 /*v296*/, v199, v125 /*v381*/
	s_set_vgpr_msb 0                        ;  msbs: dst=0 src0=0 src1=0 src2=0
	v_add3_u32 v180, v180, v195, v196
	s_set_vgpr_msb 21                       ;  msbs: dst=0 src0=1 src1=1 src2=1
	v_add3_u32 v104, v25 /*v281*/, v78 /*v334*/, v88 /*v344*/
	s_set_vgpr_msb 16                       ;  msbs: dst=0 src0=0 src1=0 src2=1
	v_add3_u32 v75, v75, v209, v122 /*v378*/
	v_mul_lo_u32 v5, v5, v167
	v_mul_lo_u32 v127, v127, v167
	;; [unrolled: 1-line block ×3, first 2 shown]
	s_set_vgpr_msb 1                        ;  msbs: dst=0 src0=1 src1=0 src2=0
	v_cvt_f32_i32_e32 v48, v113 /*v369*/
	s_set_vgpr_msb 16                       ;  msbs: dst=0 src0=0 src1=0 src2=1
	v_add3_u32 v141, v208, v141, v12 /*v268*/
	s_set_vgpr_msb 0                        ;  msbs: dst=0 src0=0 src1=0 src2=0
	v_add3_u32 v146, v178, v146, v148
	s_set_vgpr_msb 20                       ;  msbs: dst=0 src0=0 src1=1 src2=1
	v_add3_u32 v103, v103, v60 /*v316*/, v90 /*v346*/
	s_set_vgpr_msb 5                        ;  msbs: dst=0 src0=1 src1=1 src2=0
	v_add3_u32 v114, v28 /*v284*/, v51 /*v307*/, v214
	s_set_vgpr_msb 20                       ;  msbs: dst=0 src0=0 src1=1 src2=1
	v_add3_u32 v118, v171, v52 /*v308*/, v118 /*v374*/
	v_add3_u32 v72, v186, v117 /*v373*/, v120 /*v376*/
	;; [unrolled: 1-line block ×8, first 2 shown]
	s_set_vgpr_msb 0x55                     ;  msbs: dst=1 src0=1 src1=1 src2=1
	v_add3_u32 v24 /*v280*/, v33 /*v289*/, v133 /*v389*/, v141 /*v397*/
	s_set_vgpr_msb 0                        ;  msbs: dst=0 src0=0 src1=0 src2=0
	v_mul_lo_u32 v75, v75, v169
	v_mov_b32_e32 v13, v18
	s_set_vgpr_msb 1                        ;  msbs: dst=0 src0=1 src1=0 src2=0
	v_add3_u32 v130, v27 /*v283*/, v130, v132
	s_set_vgpr_msb 0                        ;  msbs: dst=0 src0=0 src1=0 src2=0
	v_pk_mul_f32 v[48:49], v[18:19], v[48:49] op_sel_hi:[0,1]
	s_set_vgpr_msb 20                       ;  msbs: dst=0 src0=0 src1=1 src2=1
	v_add3_u32 v18, v141, v123 /*v379*/, v167 /*v423*/
	s_set_vgpr_msb 16                       ;  msbs: dst=0 src0=0 src1=0 src2=1
	v_add3_u32 v132, v146, v219, v219 /*v475*/
	v_mul_lo_u32 v81, v81, v166
	v_mul_lo_u32 v61, v61, v128
	s_set_vgpr_msb 0                        ;  msbs: dst=0 src0=0 src1=0 src2=0
	v_mad_u32 v103, v103, v135, v109
	v_mad_u32 v92, v114, v135, v92
	;; [unrolled: 1-line block ×12, first 2 shown]
	s_set_vgpr_msb 20                       ;  msbs: dst=0 src0=0 src1=1 src2=1
	v_mad_i32_i24 v133, v133, v127 /*v383*/, v95 /*v351*/
	s_set_vgpr_msb 1                        ;  msbs: dst=0 src0=1 src1=0 src2=0
	v_add3_u32 v134, v24 /*v280*/, v134, v136
	s_set_vgpr_msb 0                        ;  msbs: dst=0 src0=0 src1=0 src2=0
	v_mad_u32 v5, v18, v131, v5
	v_mad_u32 v11, v11, v131, v15
	;; [unrolled: 1-line block ×3, first 2 shown]
	v_cvt_f32_i32_e32 v55, v133
	s_set_vgpr_msb 20                       ;  msbs: dst=0 src0=0 src1=1 src2=1
	v_add3_u32 v130, v130, v87 /*v343*/, v220 /*v476*/
	v_add3_u32 v133, v134, v37 /*v293*/, v223 /*v479*/
	s_set_vgpr_msb 0                        ;  msbs: dst=0 src0=0 src1=0 src2=0
	v_mad_u32 v70, v108, v116, v75
	v_dual_mov_b32 v14, v165 :: v_dual_mov_b32 v10, v163
	v_dual_mov_b32 v12, v164 :: v_dual_mov_b32 v20, v165
	v_mad_u32 v113, v133, v166, v61
	v_mad_u32 v112, v130, v128, v81
	v_cvt_f32_i32_e32 v57, v93
	v_cvt_f32_i32_e32 v59, v103
	;; [unrolled: 1-line block ×20, first 2 shown]
	v_mov_b32_e32 v16, v163
	v_cvt_f32_i32_e32 v56, v5
	v_cvt_f32_i32_e32 v108, v11
	v_pk_fma_f32 v[40:41], v[14:15], v[58:59], v[40:41] op_sel_hi:[0,1,1] neg_lo:[0,0,1] neg_hi:[0,0,1]
	v_pk_mul_f32 v[18:19], v[20:21], v[18:19]
	v_pk_fma_f32 v[20:21], v[162:163], v[92:93], v[26:27] neg_lo:[0,0,1] neg_hi:[0,0,1]
	v_pk_fma_f32 v[26:27], v[164:165], v[102:103], v[28:29] op_sel_hi:[0,1,1] neg_lo:[0,0,1] neg_hi:[0,0,1]
	v_pk_fma_f32 v[28:29], v[162:163], v[80:81], v[30:31] op_sel_hi:[0,1,1] neg_lo:[0,0,1] neg_hi:[0,0,1]
	;; [unrolled: 1-line block ×3, first 2 shown]
	v_pk_mul_f32 v[12:13], v[12:13], v[22:23]
	v_pk_fma_f32 v[22:23], v[162:163], v[104:105], v[34:35] op_sel_hi:[0,1,1] neg_lo:[0,0,1] neg_hi:[0,0,1]
	v_mov_b32_e32 v163, v4
	v_pk_fma_f32 v[4:5], v[10:11], v[106:107], v[38:39] op_sel_hi:[0,1,1] neg_lo:[0,0,1] neg_hi:[0,0,1]
	v_pk_fma_f32 v[10:11], v[10:11], v[114:115], v[52:53] op_sel_hi:[0,1,1] neg_lo:[0,0,1] neg_hi:[0,0,1]
	s_set_vgpr_msb 64                       ;  msbs: dst=1 src0=0 src1=0 src2=0
	scratch_load_b32 v193 /*v449*/, off, off offset:72 ; 4-byte Folded Reload
	s_set_vgpr_msb 0                        ;  msbs: dst=0 src0=0 src1=0 src2=0
	v_cvt_f32_i32_e32 v24, v70
	v_mov_b64_e32 v[70:71], v[84:85]
	v_mov_b64_e32 v[84:85], v[98:99]
	;; [unrolled: 1-line block ×3, first 2 shown]
	v_pk_fma_f32 v[78:79], v[8:9], v[10:11], v[154:155]
	scratch_load_b64 v[10:11], off, off offset:32 th:TH_LOAD_LU ; 8-byte Folded Reload
	v_mov_b32_e32 v157, v150
	v_cvt_f32_i32_e32 v109, v15
	v_pk_fma_f32 v[42:43], v[14:15], v[60:61], v[42:43] op_sel_hi:[0,1,1] neg_lo:[0,0,1] neg_hi:[0,0,1]
	v_pk_fma_f32 v[14:15], v[14:15], v[62:63], v[44:45] op_sel_hi:[0,1,1] neg_lo:[0,0,1] neg_hi:[0,0,1]
	s_set_vgpr_msb 64                       ;  msbs: dst=1 src0=0 src1=0 src2=0
	scratch_load_b32 v194 /*v450*/, off, off offset:76 ; 4-byte Folded Reload
	s_set_vgpr_msb 0                        ;  msbs: dst=0 src0=0 src1=0 src2=0
	v_add3_u32 v145, v202, v250, v248
	s_set_vgpr_msb 1                        ;  msbs: dst=0 src0=1 src1=0 src2=0
	v_add3_u32 v177, v46 /*v302*/, v246, v251
	s_set_vgpr_msb 0                        ;  msbs: dst=0 src0=0 src1=0 src2=0
	v_pk_mul_f32 v[16:17], v[16:17], v[24:25]
	v_pk_fma_f32 v[84:85], v[156:157], v[14:15], v[84:85]
	scratch_load_b64 v[14:15], off, off offset:40 th:TH_LOAD_LU ; 8-byte Folded Reload
	s_set_vgpr_msb 16                       ;  msbs: dst=0 src0=0 src1=0 src2=1
	v_add3_u32 v123, v145, v183, v188 /*v444*/
	v_add3_u32 v129, v177, v200, v218 /*v474*/
	v_mov_b64_e32 v[66:67], v[160:161]
	v_mov_b64_e32 v[72:73], v[86:87]
	;; [unrolled: 1-line block ×3, first 2 shown]
	v_mul_lo_u32 v123, v123, v166
	v_cvt_f32_i32_e32 v112, v112
	v_cvt_f32_i32_e32 v113, v113
	v_dual_sub_f32 v18, v18, v19 :: v_dual_sub_f32 v12, v12, v13
	v_dual_sub_f32 v6, v16, v17 :: v_dual_mov_b32 v152, v151
	s_set_vgpr_msb 0                        ;  msbs: dst=0 src0=0 src1=0 src2=0
	v_pk_fma_f32 v[24:25], v[164:165], v[108:109], v[36:37] op_sel_hi:[0,1,1] neg_lo:[0,0,1] neg_hi:[0,0,1]
	v_pk_fma_f32 v[32:33], v[164:165], v[110:111], v[48:49] op_sel_hi:[0,1,1] neg_lo:[0,0,1] neg_hi:[0,0,1]
	v_pk_fma_f32 v[34:35], v[164:165], v[56:57], v[46:47] neg_lo:[0,0,1] neg_hi:[0,0,1]
	v_pk_fma_f32 v[66:67], v[150:151], v[20:21], v[66:67]
	v_mad_u32 v75, v129, v128, v123
	v_mov_b32_e32 v151, v156
	v_pk_fma_f32 v[90:91], v[152:153], v[42:43], v[90:91]
	v_pk_fma_f32 v[98:99], v[158:159], v[28:29], v[98:99]
	;; [unrolled: 1-line block ×4, first 2 shown]
	s_add_co_i32 s11, s11, 2
	s_delay_alu instid0(SALU_CYCLE_1) | instskip(SKIP_4) | instid1(VALU_DEP_3)
	s_cmp_lt_u32 s11, s16
	v_cvt_f32_i32_e32 v54, v75
	v_mov_b64_e32 v[74:75], v[88:89]
	v_mov_b64_e32 v[88:89], v[2:3]
	v_pk_fma_f32 v[2:3], v[162:163], v[112:113], v[50:51] op_sel_hi:[0,1,1] neg_lo:[0,0,1] neg_hi:[0,0,1]
	v_pk_fma_f32 v[74:75], v[150:151], v[4:5], v[74:75]
	s_delay_alu instid0(VALU_DEP_2)
	v_pk_fma_f32 v[68:69], v[8:9], v[2:3], v[68:69]
	s_wait_loadcnt 0x4
	v_pk_fma_f32 v[212:213], v[0:1], v[40:41], v[212:213]
	scratch_load_b64 v[0:1], off, off offset:24 th:TH_LOAD_LU ; 8-byte Folded Reload
	s_wait_loadcnt 0x3
	v_pk_fma_f32 v[72:73], v[10:11], v[34:35], v[72:73]
	s_wait_loadcnt 0x1
	v_pk_fma_f32 v[70:71], v[14:15], v[32:33], v[70:71]
	;; [unrolled: 2-line block ×3, first 2 shown]
	scratch_load_b64 v[0:1], off, off offset:48 th:TH_LOAD_LU ; 8-byte Folded Reload
	s_wait_loadcnt 0x0
	v_pk_fma_f32 v[88:89], v[0:1], v[22:23], v[88:89]
	v_pk_mul_f32 v[0:1], v[162:163], v[54:55]
	s_delay_alu instid0(VALU_DEP_1) | instskip(SKIP_1) | instid1(VALU_DEP_2)
	v_dual_sub_f32 v13, v0, v1 :: v_dual_mul_f32 v1, v153, v12
	v_mul_f32_e32 v0, v14, v18
	v_dual_mul_f32 v7, v153, v6 :: v_dual_mul_f32 v6, v156, v13
	s_delay_alu instid0(VALU_DEP_2) | instskip(NEXT) | instid1(VALU_DEP_2)
	v_pk_add_f32 v[76:77], v[76:77], v[0:1]
	v_pk_add_f32 v[86:87], v[86:87], v[6:7]
	s_cbranch_scc1 .LBB128_13
; %bb.14:                               ;   in Loop: Header=BB128_9 Depth=2
	s_wait_storecnt 0x0
	s_barrier_signal -1
	s_barrier_wait -1
	s_clause 0x14
	scratch_load_b32 v64, off, off offset:160
	scratch_load_b32 v65, off, off offset:164
	;; [unrolled: 1-line block ×17, first 2 shown]
	s_set_vgpr_msb 64                       ;  msbs: dst=1 src0=0 src1=0 src2=0
	scratch_load_b32 v188 /*v444*/, off, off offset:228
	scratch_load_b64 v[202:203] /*v[458:459]*/, off, off offset:232
	scratch_load_b32 v216 /*v472*/, off, off offset:156
	s_cmp_eq_u32 s10, 4
	s_cselect_b32 s11, -1, 0
	s_delay_alu instid0(SALU_CYCLE_1)
	s_and_b32 vcc_lo, exec_lo, s11
	s_set_vgpr_msb 0                        ;  msbs: dst=0 src0=0 src1=0 src2=0
	s_cbranch_vccz .LBB128_9
	s_branch .LBB128_6
.LBB128_15:
	scratch_load_b32 v1, off, off offset:540 th:TH_LOAD_LU ; 4-byte Folded Reload
	s_wait_loadcnt 0x14
	v_mov_b32_e32 v2, v64
	scratch_load_b32 v0, off, off offset:536 ; 4-byte Folded Reload
	s_mov_b32 s0, exec_lo
	s_wait_loadcnt 0x0
	v_cmpx_gt_u32_e64 s6, v0
	s_cbranch_execz .LBB128_3
.LBB128_16:
	v_mul_lo_u32 v5, v0, s12
	v_add_nc_u32_e32 v0, s14, v2
	s_delay_alu instid0(VALU_DEP_1)
	v_cmp_gt_u32_e32 vcc_lo, s12, v0
	s_and_saveexec_b32 s0, vcc_lo
	s_cbranch_execz .LBB128_18
; %bb.17:
	s_delay_alu instid0(VALU_DEP_3)
	v_add_nc_u32_e32 v2, v0, v5
	s_wait_kmcnt 0x0
	global_store_b32 v2, v212, s[8:9] scale_offset
.LBB128_18:
	s_wait_xcnt 0x0
	s_or_b32 exec_lo, exec_lo, s0
	v_add_nc_u32_e32 v2, 32, v0
	s_delay_alu instid0(VALU_DEP_1)
	v_cmp_gt_u32_e64 s0, s12, v2
	s_and_saveexec_b32 s1, s0
	s_cbranch_execz .LBB128_20
; %bb.19:
	v_add_nc_u32_e32 v3, v2, v5
	s_wait_kmcnt 0x0
	global_store_b32 v3, v72, s[8:9] scale_offset
.LBB128_20:
	s_wait_xcnt 0x0
	s_or_b32 exec_lo, exec_lo, s1
	v_add_nc_u32_e32 v3, 64, v0
	s_delay_alu instid0(VALU_DEP_1)
	v_cmp_gt_u32_e64 s1, s12, v3
	s_and_saveexec_b32 s2, s1
	s_cbranch_execz .LBB128_22
; %bb.21:
	v_add_nc_u32_e32 v4, v3, v5
	s_wait_kmcnt 0x0
	global_store_b32 v4, v99, s[8:9] scale_offset
.LBB128_22:
	;; [unrolled: 12-line block ×3, first 2 shown]
	s_wait_xcnt 0x0
	s_or_b32 exec_lo, exec_lo, s3
	v_add3_u32 v5, v1, s13, 8
	s_delay_alu instid0(VALU_DEP_1)
	v_cmp_gt_u32_e64 s3, s6, v5
	s_and_b32 exec_lo, exec_lo, s3
	s_cbranch_execz .LBB128_3
; %bb.25:
	v_mul_lo_u32 v5, v5, s12
	s_and_saveexec_b32 s3, vcc_lo
	s_cbranch_execnz .LBB128_65
; %bb.26:
	s_or_b32 exec_lo, exec_lo, s3
	s_and_saveexec_b32 s3, s0
	s_cbranch_execnz .LBB128_66
.LBB128_27:
	s_or_b32 exec_lo, exec_lo, s3
	s_and_saveexec_b32 s3, s1
	s_cbranch_execnz .LBB128_67
.LBB128_28:
	s_or_b32 exec_lo, exec_lo, s3
	s_and_saveexec_b32 s3, s2
	s_cbranch_execz .LBB128_30
.LBB128_29:
	v_add_nc_u32_e32 v5, v5, v4
	s_wait_kmcnt 0x0
	global_store_b32 v5, v96, s[8:9] scale_offset
.LBB128_30:
	s_wait_xcnt 0x0
	s_or_b32 exec_lo, exec_lo, s3
	v_add3_u32 v5, v1, s13, 16
	s_delay_alu instid0(VALU_DEP_1)
	v_cmp_gt_u32_e64 s3, s6, v5
	s_and_b32 exec_lo, exec_lo, s3
	s_cbranch_execz .LBB128_3
; %bb.31:
	v_mul_lo_u32 v5, v5, s12
	s_and_saveexec_b32 s3, vcc_lo
	s_cbranch_execnz .LBB128_68
; %bb.32:
	s_or_b32 exec_lo, exec_lo, s3
	s_and_saveexec_b32 s3, s0
	s_cbranch_execnz .LBB128_69
.LBB128_33:
	s_or_b32 exec_lo, exec_lo, s3
	s_and_saveexec_b32 s3, s1
	s_cbranch_execnz .LBB128_70
.LBB128_34:
	s_or_b32 exec_lo, exec_lo, s3
	s_and_saveexec_b32 s3, s2
	s_cbranch_execz .LBB128_36
.LBB128_35:
	v_add_nc_u32_e32 v5, v5, v4
	s_wait_kmcnt 0x0
	global_store_b32 v5, v67, s[8:9] scale_offset
.LBB128_36:
	s_wait_xcnt 0x0
	s_or_b32 exec_lo, exec_lo, s3
	v_add3_u32 v5, v1, s13, 24
	s_delay_alu instid0(VALU_DEP_1)
	v_cmp_gt_u32_e64 s3, s6, v5
	s_and_b32 exec_lo, exec_lo, s3
	s_cbranch_execz .LBB128_3
; %bb.37:
	v_mul_lo_u32 v5, v5, s12
	s_and_saveexec_b32 s3, vcc_lo
	s_cbranch_execnz .LBB128_71
; %bb.38:
	s_or_b32 exec_lo, exec_lo, s3
	s_and_saveexec_b32 s3, s0
	s_cbranch_execnz .LBB128_72
.LBB128_39:
	s_or_b32 exec_lo, exec_lo, s3
	s_and_saveexec_b32 s3, s1
	s_cbranch_execnz .LBB128_73
.LBB128_40:
	s_or_b32 exec_lo, exec_lo, s3
	s_and_saveexec_b32 s3, s2
	s_cbranch_execz .LBB128_42
.LBB128_41:
	v_add_nc_u32_e32 v5, v5, v4
	s_wait_kmcnt 0x0
	global_store_b32 v5, v87, s[8:9] scale_offset
.LBB128_42:
	s_wait_xcnt 0x0
	s_or_b32 exec_lo, exec_lo, s3
	v_add3_u32 v5, v1, s13, 32
	s_delay_alu instid0(VALU_DEP_1)
	v_cmp_gt_u32_e64 s3, s6, v5
	s_and_b32 exec_lo, exec_lo, s3
	s_cbranch_execz .LBB128_3
; %bb.43:
	v_mul_lo_u32 v5, v5, s12
	s_and_saveexec_b32 s3, vcc_lo
	s_cbranch_execnz .LBB128_74
; %bb.44:
	s_or_b32 exec_lo, exec_lo, s3
	s_and_saveexec_b32 s3, s0
	s_cbranch_execnz .LBB128_75
.LBB128_45:
	s_or_b32 exec_lo, exec_lo, s3
	s_and_saveexec_b32 s3, s1
	s_cbranch_execnz .LBB128_76
.LBB128_46:
	s_or_b32 exec_lo, exec_lo, s3
	s_and_saveexec_b32 s3, s2
	s_cbranch_execz .LBB128_48
.LBB128_47:
	v_add_nc_u32_e32 v5, v5, v4
	s_wait_kmcnt 0x0
	global_store_b32 v5, v75, s[8:9] scale_offset
.LBB128_48:
	s_wait_xcnt 0x0
	s_or_b32 exec_lo, exec_lo, s3
	v_add3_u32 v5, v1, s13, 40
	s_delay_alu instid0(VALU_DEP_1)
	v_cmp_gt_u32_e64 s3, s6, v5
	s_and_b32 exec_lo, exec_lo, s3
	s_cbranch_execz .LBB128_3
; %bb.49:
	v_mul_lo_u32 v5, v5, s12
	s_and_saveexec_b32 s3, vcc_lo
	s_cbranch_execnz .LBB128_77
; %bb.50:
	s_or_b32 exec_lo, exec_lo, s3
	s_and_saveexec_b32 s3, s0
	s_cbranch_execnz .LBB128_78
.LBB128_51:
	s_or_b32 exec_lo, exec_lo, s3
	s_and_saveexec_b32 s3, s1
	s_cbranch_execnz .LBB128_79
.LBB128_52:
	s_or_b32 exec_lo, exec_lo, s3
	s_and_saveexec_b32 s3, s2
	s_cbranch_execz .LBB128_54
.LBB128_53:
	v_add_nc_u32_e32 v5, v5, v4
	s_wait_kmcnt 0x0
	global_store_b32 v5, v74, s[8:9] scale_offset
.LBB128_54:
	s_wait_xcnt 0x0
	s_or_b32 exec_lo, exec_lo, s3
	v_add3_u32 v5, v1, s13, 48
	s_delay_alu instid0(VALU_DEP_1)
	v_cmp_gt_u32_e64 s3, s6, v5
	s_and_b32 exec_lo, exec_lo, s3
	s_cbranch_execz .LBB128_3
; %bb.55:
	v_mul_lo_u32 v5, v5, s12
	s_and_saveexec_b32 s3, vcc_lo
	s_cbranch_execnz .LBB128_80
; %bb.56:
	s_or_b32 exec_lo, exec_lo, s3
	s_and_saveexec_b32 s3, s0
	s_cbranch_execnz .LBB128_81
.LBB128_57:
	s_or_b32 exec_lo, exec_lo, s3
	s_and_saveexec_b32 s3, s1
	s_cbranch_execnz .LBB128_82
.LBB128_58:
	s_or_b32 exec_lo, exec_lo, s3
	s_and_saveexec_b32 s3, s2
	s_cbranch_execz .LBB128_60
.LBB128_59:
	v_add_nc_u32_e32 v5, v5, v4
	s_wait_kmcnt 0x0
	global_store_b32 v5, v79, s[8:9] scale_offset
.LBB128_60:
	s_wait_xcnt 0x0
	s_or_b32 exec_lo, exec_lo, s3
	v_add3_u32 v1, v1, s13, 56
	s_delay_alu instid0(VALU_DEP_1)
	v_cmp_gt_u32_e64 s3, s6, v1
	s_and_b32 exec_lo, exec_lo, s3
	s_cbranch_execz .LBB128_3
; %bb.61:
	v_mul_lo_u32 v1, v1, s12
	s_and_saveexec_b32 s3, vcc_lo
	s_cbranch_execnz .LBB128_83
; %bb.62:
	s_or_b32 exec_lo, exec_lo, s3
	s_and_saveexec_b32 s3, s0
	s_cbranch_execnz .LBB128_84
.LBB128_63:
	s_or_b32 exec_lo, exec_lo, s3
	s_and_saveexec_b32 s0, s1
	s_cbranch_execnz .LBB128_85
.LBB128_64:
	s_or_b32 exec_lo, exec_lo, s0
	s_delay_alu instid0(SALU_CYCLE_1)
	s_and_b32 exec_lo, exec_lo, s2
	s_cbranch_execz .LBB128_3
	s_branch .LBB128_86
.LBB128_65:
	s_delay_alu instid0(VALU_DEP_1)
	v_add_nc_u32_e32 v6, v5, v0
	s_wait_kmcnt 0x0
	global_store_b32 v6, v213, s[8:9] scale_offset
	s_wait_xcnt 0x0
	s_or_b32 exec_lo, exec_lo, s3
	s_and_saveexec_b32 s3, s0
	s_cbranch_execz .LBB128_27
.LBB128_66:
	s_delay_alu instid0(VALU_DEP_1)
	v_add_nc_u32_e32 v6, v5, v2
	s_wait_kmcnt 0x0
	global_store_b32 v6, v94, s[8:9] scale_offset
	s_wait_xcnt 0x0
	s_or_b32 exec_lo, exec_lo, s3
	s_and_saveexec_b32 s3, s1
	s_cbranch_execz .LBB128_28
.LBB128_67:
	s_delay_alu instid0(VALU_DEP_1)
	v_add_nc_u32_e32 v6, v5, v3
	s_wait_kmcnt 0x0
	global_store_b32 v6, v98, s[8:9] scale_offset
	s_wait_xcnt 0x0
	s_or_b32 exec_lo, exec_lo, s3
	s_and_saveexec_b32 s3, s2
	s_cbranch_execnz .LBB128_29
	s_branch .LBB128_30
.LBB128_68:
	s_delay_alu instid0(VALU_DEP_1)
	v_add_nc_u32_e32 v6, v5, v0
	s_wait_kmcnt 0x0
	global_store_b32 v6, v90, s[8:9] scale_offset
	s_wait_xcnt 0x0
	s_or_b32 exec_lo, exec_lo, s3
	s_and_saveexec_b32 s3, s0
	s_cbranch_execz .LBB128_33
.LBB128_69:
	s_delay_alu instid0(VALU_DEP_1)
	v_add_nc_u32_e32 v6, v5, v2
	s_wait_kmcnt 0x0
	global_store_b32 v6, v95, s[8:9] scale_offset
	s_wait_xcnt 0x0
	s_or_b32 exec_lo, exec_lo, s3
	s_and_saveexec_b32 s3, s1
	s_cbranch_execz .LBB128_34
.LBB128_70:
	s_delay_alu instid0(VALU_DEP_1)
	v_add_nc_u32_e32 v6, v5, v3
	s_wait_kmcnt 0x0
	global_store_b32 v6, v89, s[8:9] scale_offset
	s_wait_xcnt 0x0
	s_or_b32 exec_lo, exec_lo, s3
	s_and_saveexec_b32 s3, s2
	s_cbranch_execnz .LBB128_35
	s_branch .LBB128_36
.LBB128_71:
	s_delay_alu instid0(VALU_DEP_1)
	v_add_nc_u32_e32 v6, v5, v0
	s_wait_kmcnt 0x0
	global_store_b32 v6, v91, s[8:9] scale_offset
	s_wait_xcnt 0x0
	s_or_b32 exec_lo, exec_lo, s3
	s_and_saveexec_b32 s3, s0
	s_cbranch_execz .LBB128_39
.LBB128_72:
	s_delay_alu instid0(VALU_DEP_1)
	v_add_nc_u32_e32 v6, v5, v2
	s_wait_kmcnt 0x0
	global_store_b32 v6, v77, s[8:9] scale_offset
	s_wait_xcnt 0x0
	s_or_b32 exec_lo, exec_lo, s3
	s_and_saveexec_b32 s3, s1
	s_cbranch_execz .LBB128_40
.LBB128_73:
	s_delay_alu instid0(VALU_DEP_1)
	v_add_nc_u32_e32 v6, v5, v3
	s_wait_kmcnt 0x0
	global_store_b32 v6, v88, s[8:9] scale_offset
	s_wait_xcnt 0x0
	s_or_b32 exec_lo, exec_lo, s3
	s_and_saveexec_b32 s3, s2
	s_cbranch_execnz .LBB128_41
	s_branch .LBB128_42
.LBB128_74:
	s_delay_alu instid0(VALU_DEP_1)
	v_add_nc_u32_e32 v6, v5, v0
	s_wait_kmcnt 0x0
	global_store_b32 v6, v84, s[8:9] scale_offset
	s_wait_xcnt 0x0
	s_or_b32 exec_lo, exec_lo, s3
	s_and_saveexec_b32 s3, s0
	s_cbranch_execz .LBB128_45
.LBB128_75:
	s_delay_alu instid0(VALU_DEP_1)
	v_add_nc_u32_e32 v6, v5, v2
	s_wait_kmcnt 0x0
	global_store_b32 v6, v82, s[8:9] scale_offset
	s_wait_xcnt 0x0
	s_or_b32 exec_lo, exec_lo, s3
	s_and_saveexec_b32 s3, s1
	s_cbranch_execz .LBB128_46
.LBB128_76:
	s_delay_alu instid0(VALU_DEP_1)
	v_add_nc_u32_e32 v6, v5, v3
	s_wait_kmcnt 0x0
	global_store_b32 v6, v86, s[8:9] scale_offset
	s_wait_xcnt 0x0
	s_or_b32 exec_lo, exec_lo, s3
	s_and_saveexec_b32 s3, s2
	s_cbranch_execnz .LBB128_47
	s_branch .LBB128_48
.LBB128_77:
	s_delay_alu instid0(VALU_DEP_1)
	v_add_nc_u32_e32 v6, v5, v0
	s_wait_kmcnt 0x0
	global_store_b32 v6, v85, s[8:9] scale_offset
	s_wait_xcnt 0x0
	s_or_b32 exec_lo, exec_lo, s3
	s_and_saveexec_b32 s3, s0
	s_cbranch_execz .LBB128_51
.LBB128_78:
	s_delay_alu instid0(VALU_DEP_1)
	v_add_nc_u32_e32 v6, v5, v2
	s_wait_kmcnt 0x0
	global_store_b32 v6, v83, s[8:9] scale_offset
	s_wait_xcnt 0x0
	s_or_b32 exec_lo, exec_lo, s3
	s_and_saveexec_b32 s3, s1
	s_cbranch_execz .LBB128_52
.LBB128_79:
	s_delay_alu instid0(VALU_DEP_1)
	v_add_nc_u32_e32 v6, v5, v3
	s_wait_kmcnt 0x0
	global_store_b32 v6, v66, s[8:9] scale_offset
	s_wait_xcnt 0x0
	s_or_b32 exec_lo, exec_lo, s3
	s_and_saveexec_b32 s3, s2
	s_cbranch_execnz .LBB128_53
	s_branch .LBB128_54
.LBB128_80:
	s_delay_alu instid0(VALU_DEP_1)
	v_add_nc_u32_e32 v6, v5, v0
	s_wait_kmcnt 0x0
	global_store_b32 v6, v76, s[8:9] scale_offset
	s_wait_xcnt 0x0
	s_or_b32 exec_lo, exec_lo, s3
	s_and_saveexec_b32 s3, s0
	s_cbranch_execz .LBB128_57
.LBB128_81:
	s_delay_alu instid0(VALU_DEP_1)
	v_add_nc_u32_e32 v6, v5, v2
	s_wait_kmcnt 0x0
	global_store_b32 v6, v70, s[8:9] scale_offset
	s_wait_xcnt 0x0
	s_or_b32 exec_lo, exec_lo, s3
	s_and_saveexec_b32 s3, s1
	s_cbranch_execz .LBB128_58
.LBB128_82:
	s_delay_alu instid0(VALU_DEP_1)
	v_add_nc_u32_e32 v6, v5, v3
	s_wait_kmcnt 0x0
	global_store_b32 v6, v69, s[8:9] scale_offset
	s_wait_xcnt 0x0
	s_or_b32 exec_lo, exec_lo, s3
	s_and_saveexec_b32 s3, s2
	s_cbranch_execnz .LBB128_59
	s_branch .LBB128_60
.LBB128_83:
	s_delay_alu instid0(VALU_DEP_1)
	v_add_nc_u32_e32 v0, v1, v0
	s_wait_kmcnt 0x0
	global_store_b32 v0, v73, s[8:9] scale_offset
	s_wait_xcnt 0x0
	s_or_b32 exec_lo, exec_lo, s3
	s_and_saveexec_b32 s3, s0
	s_cbranch_execz .LBB128_63
.LBB128_84:
	s_delay_alu instid0(VALU_DEP_1)
	v_add_nc_u32_e32 v0, v1, v2
	s_wait_kmcnt 0x0
	global_store_b32 v0, v71, s[8:9] scale_offset
	s_wait_xcnt 0x0
	s_or_b32 exec_lo, exec_lo, s3
	s_and_saveexec_b32 s0, s1
	s_cbranch_execz .LBB128_64
.LBB128_85:
	s_delay_alu instid0(VALU_DEP_1) | instskip(SKIP_4) | instid1(SALU_CYCLE_1)
	v_add_nc_u32_e32 v0, v1, v3
	s_wait_kmcnt 0x0
	global_store_b32 v0, v68, s[8:9] scale_offset
	s_wait_xcnt 0x0
	s_or_b32 exec_lo, exec_lo, s0
	s_and_b32 exec_lo, exec_lo, s2
	s_cbranch_execz .LBB128_3
.LBB128_86:
	v_add_nc_u32_e32 v0, v1, v4
	s_wait_kmcnt 0x0
	global_store_b32 v0, v78, s[8:9] scale_offset
	s_sendmsg sendmsg(MSG_DEALLOC_VGPRS)
	s_endpgm
	.section	.rodata,"a",@progbits
	.p2align	6, 0x0
	.amdhsa_kernel _ZL12mul_mat_q2_KIfLb1EEvPKvS1_PT_iiiii
		.amdhsa_group_segment_fixed_size 31392
		.amdhsa_private_segment_fixed_size 548
		.amdhsa_kernarg_size 44
		.amdhsa_user_sgpr_count 2
		.amdhsa_user_sgpr_dispatch_ptr 0
		.amdhsa_user_sgpr_queue_ptr 0
		.amdhsa_user_sgpr_kernarg_segment_ptr 1
		.amdhsa_user_sgpr_dispatch_id 0
		.amdhsa_user_sgpr_kernarg_preload_length 0
		.amdhsa_user_sgpr_kernarg_preload_offset 0
		.amdhsa_user_sgpr_private_segment_size 0
		.amdhsa_wavefront_size32 1
		.amdhsa_uses_dynamic_stack 0
		.amdhsa_enable_private_segment 1
		.amdhsa_system_sgpr_workgroup_id_x 1
		.amdhsa_system_sgpr_workgroup_id_y 1
		.amdhsa_system_sgpr_workgroup_id_z 0
		.amdhsa_system_sgpr_workgroup_info 0
		.amdhsa_system_vgpr_workitem_id 1
		.amdhsa_next_free_vgpr 512
		.amdhsa_next_free_sgpr 22
		.amdhsa_named_barrier_count 0
		.amdhsa_reserve_vcc 1
		.amdhsa_float_round_mode_32 0
		.amdhsa_float_round_mode_16_64 0
		.amdhsa_float_denorm_mode_32 3
		.amdhsa_float_denorm_mode_16_64 3
		.amdhsa_fp16_overflow 0
		.amdhsa_memory_ordered 1
		.amdhsa_forward_progress 1
		.amdhsa_inst_pref_size 255
		.amdhsa_round_robin_scheduling 0
		.amdhsa_exception_fp_ieee_invalid_op 0
		.amdhsa_exception_fp_denorm_src 0
		.amdhsa_exception_fp_ieee_div_zero 0
		.amdhsa_exception_fp_ieee_overflow 0
		.amdhsa_exception_fp_ieee_underflow 0
		.amdhsa_exception_fp_ieee_inexact 0
		.amdhsa_exception_int_div_zero 0
	.end_amdhsa_kernel
	.section	.text._ZL12mul_mat_q2_KIfLb1EEvPKvS1_PT_iiiii,"axG",@progbits,_ZL12mul_mat_q2_KIfLb1EEvPKvS1_PT_iiiii,comdat
.Lfunc_end128:
	.size	_ZL12mul_mat_q2_KIfLb1EEvPKvS1_PT_iiiii, .Lfunc_end128-_ZL12mul_mat_q2_KIfLb1EEvPKvS1_PT_iiiii
                                        ; -- End function
	.set _ZL12mul_mat_q2_KIfLb1EEvPKvS1_PT_iiiii.num_vgpr, 512
	.set _ZL12mul_mat_q2_KIfLb1EEvPKvS1_PT_iiiii.num_agpr, 0
	.set _ZL12mul_mat_q2_KIfLb1EEvPKvS1_PT_iiiii.numbered_sgpr, 22
	.set _ZL12mul_mat_q2_KIfLb1EEvPKvS1_PT_iiiii.num_named_barrier, 0
	.set _ZL12mul_mat_q2_KIfLb1EEvPKvS1_PT_iiiii.private_seg_size, 548
	.set _ZL12mul_mat_q2_KIfLb1EEvPKvS1_PT_iiiii.uses_vcc, 1
	.set _ZL12mul_mat_q2_KIfLb1EEvPKvS1_PT_iiiii.uses_flat_scratch, 1
	.set _ZL12mul_mat_q2_KIfLb1EEvPKvS1_PT_iiiii.has_dyn_sized_stack, 0
	.set _ZL12mul_mat_q2_KIfLb1EEvPKvS1_PT_iiiii.has_recursion, 0
	.set _ZL12mul_mat_q2_KIfLb1EEvPKvS1_PT_iiiii.has_indirect_call, 0
	.section	.AMDGPU.csdata,"",@progbits
; Kernel info:
; codeLenInByte = 55316
; TotalNumSgprs: 24
; NumVgprs: 512
; ScratchSize: 548
; MemoryBound: 0
; FloatMode: 240
; IeeeMode: 1
; LDSByteSize: 31392 bytes/workgroup (compile time only)
; SGPRBlocks: 0
; VGPRBlocks: 31
; NumSGPRsForWavesPerEU: 24
; NumVGPRsForWavesPerEU: 512
; NamedBarCnt: 0
; Occupancy: 2
; WaveLimiterHint : 0
; COMPUTE_PGM_RSRC2:SCRATCH_EN: 1
; COMPUTE_PGM_RSRC2:USER_SGPR: 2
; COMPUTE_PGM_RSRC2:TRAP_HANDLER: 0
; COMPUTE_PGM_RSRC2:TGID_X_EN: 1
; COMPUTE_PGM_RSRC2:TGID_Y_EN: 1
; COMPUTE_PGM_RSRC2:TGID_Z_EN: 0
; COMPUTE_PGM_RSRC2:TIDIG_COMP_CNT: 1
	.section	.text._ZL12mul_mat_q3_KIfLb0EEvPKvS1_PT_iiiii,"axG",@progbits,_ZL12mul_mat_q3_KIfLb0EEvPKvS1_PT_iiiii,comdat
	.globl	_ZL12mul_mat_q3_KIfLb0EEvPKvS1_PT_iiiii ; -- Begin function _ZL12mul_mat_q3_KIfLb0EEvPKvS1_PT_iiiii
	.p2align	8
	.type	_ZL12mul_mat_q3_KIfLb0EEvPKvS1_PT_iiiii,@function
_ZL12mul_mat_q3_KIfLb0EEvPKvS1_PT_iiiii: ; @_ZL12mul_mat_q3_KIfLb0EEvPKvS1_PT_iiiii
; %bb.0:
	s_clause 0x1
	s_load_b32 s10, s[0:1], 0x18
	s_load_b96 s[4:6], s[0:1], 0x20
	s_bfe_u32 s2, ttmp6, 0x4000c
	s_bfe_u32 s7, ttmp6, 0x40010
	s_add_co_i32 s2, s2, 1
	s_and_b32 s3, ttmp6, 15
	s_mul_i32 s2, ttmp9, s2
	s_add_co_i32 s7, s7, 1
	s_add_co_i32 s3, s3, s2
	s_mul_i32 s2, ttmp7, s7
	s_bfe_u32 s7, ttmp6, 0x40004
	s_getreg_b32 s8, hwreg(HW_REG_IB_STS2, 6, 4)
	s_add_co_i32 s7, s7, s2
	s_cmp_eq_u32 s8, 0
	v_bfe_u32 v9, v0, 10, 10
	s_cselect_b32 s7, ttmp7, s7
	v_and_b32_e32 v13, 0x3ff, v0
	s_cselect_b32 s2, ttmp9, s3
	s_lshl_b32 s7, s7, 6
	s_mov_b32 s3, 0
	s_wait_kmcnt 0x0
	s_cmp_gt_i32 s10, 0xff
	s_cbranch_scc1 .LBB129_2
; %bb.1:
	v_bfe_u32 v1, v0, 10, 10
	v_and_b32_e32 v2, 0x3ff, v0
	s_delay_alu instid0(VALU_DEP_2)
	v_add_nc_u32_e32 v51, s7, v1
	s_branch .LBB129_3
.LBB129_2:
	s_mov_b32 s3, -1
                                        ; implicit-def: $vgpr1
                                        ; implicit-def: $vgpr2
                                        ; implicit-def: $vgpr51
.LBB129_3:
	s_load_b64 s[8:9], s[0:1], 0x10
	v_dual_mov_b32 v15, 0 :: v_dual_mov_b32 v14, 0
	v_dual_mov_b32 v23, 0 :: v_dual_mov_b32 v22, 0
	v_dual_mov_b32 v31, 0 :: v_dual_mov_b32 v30, 0
	v_dual_mov_b32 v40, 0 :: v_dual_mov_b32 v41, 0
	v_dual_mov_b32 v17, 0 :: v_dual_mov_b32 v16, 0
	v_dual_mov_b32 v25, 0 :: v_dual_mov_b32 v24, 0
	v_dual_mov_b32 v35, 0 :: v_dual_mov_b32 v34, 0
	v_dual_mov_b32 v43, 0 :: v_dual_mov_b32 v42, 0
	v_dual_mov_b32 v19, 0 :: v_dual_mov_b32 v18, 0
	v_dual_mov_b32 v27, 0 :: v_dual_mov_b32 v26, 0
	v_dual_mov_b32 v37, 0 :: v_dual_mov_b32 v36, 0
	v_dual_mov_b32 v45, 0 :: v_dual_mov_b32 v44, 0
	v_dual_mov_b32 v21, 0 :: v_dual_mov_b32 v20, 0
	v_dual_mov_b32 v29, 0 :: v_dual_mov_b32 v28, 0
	v_dual_mov_b32 v39, 0 :: v_dual_mov_b32 v38, 0
	v_dual_mov_b32 v47, 0 :: v_dual_mov_b32 v46, 0
	s_and_not1_b32 vcc_lo, exec_lo, s3
	s_lshl_b32 s14, s2, 7
	s_cbranch_vccnz .LBB129_15
; %bb.4:
	v_dual_add_nc_u32 v28, 8, v9 :: v_dual_bitop2_b32 v26, 15, v0 bitop3:0x40
	v_bfe_u32 v27, v0, 1, 9
	v_bfe_u32 v8, v0, 4, 6
	v_dual_add_nc_u32 v51, s7, v9 :: v_dual_add_nc_u32 v36, 48, v9
	s_delay_alu instid0(VALU_DEP_4) | instskip(NEXT) | instid1(VALU_DEP_4)
	v_dual_lshlrev_b32 v10, 2, v26 :: v_dual_bitop2_b32 v12, 1, v0 bitop3:0x40
	v_lshl_add_u32 v1, v9, 4, v27
	s_delay_alu instid0(VALU_DEP_3) | instskip(NEXT) | instid1(VALU_DEP_3)
	v_dual_add_nc_u32 v14, 16, v51 :: v_dual_add_nc_u32 v16, 24, v51
	v_dual_lshlrev_b32 v3, 1, v9 :: v_dual_lshlrev_b32 v2, 2, v12
	s_delay_alu instid0(VALU_DEP_3) | instskip(SKIP_1) | instid1(VALU_DEP_3)
	v_and_b32_e32 v31, 0x7f, v1
	v_dual_lshrrev_b32 v1, 2, v1 :: v_dual_add_nc_u32 v6, 8, v51
	v_add_nc_u32_e32 v37, v8, v3
	s_add_co_i32 s16, s4, -1
	s_delay_alu instid0(VALU_DEP_3)
	v_lshl_or_b32 v11, v31, 3, v2
	v_add_nc_u16 v2, v8, v3
	v_and_b32_e32 v1, 28, v1
	v_cvt_f64_u32_e32 v[4:5], v51
	v_cvt_f64_u32_e32 v[6:7], v6
	v_dual_add_nc_u32 v18, 32, v51 :: v_dual_add_nc_u32 v20, 40, v51
	v_lshrrev_b16 v32, 1, v2
	v_cvt_f64_i32_e32 v[2:3], s16
	v_dual_add_nc_u32 v22, 48, v51 :: v_dual_add_nc_u32 v24, 56, v51
	v_cvt_f64_u32_e32 v[16:17], v16
	v_cvt_f64_u32_e32 v[14:15], v14
	;; [unrolled: 1-line block ×6, first 2 shown]
	v_add_nc_u32_e32 v33, 16, v37
	v_add3_u32 v53, v11, v1, 0x9380
	v_dual_add_nc_u32 v11, 32, v37 :: v_dual_lshlrev_b32 v43, 6, v37
	v_dual_add_nc_u32 v44, 64, v37 :: v_dual_add_nc_u32 v40, 48, v37
	v_bfe_u32 v49, v0, 3, 7
	s_delay_alu instid0(VALU_DEP_3) | instskip(SKIP_1) | instid1(VALU_DEP_4)
	v_lshlrev_b32_e32 v41, 1, v11
	v_and_b32_e32 v1, 0xffff, v32
	v_dual_lshlrev_b32 v45, 1, v44 :: v_dual_add_nc_u32 v38, 56, v9
	v_and_b32_e32 v110, 7, v0
	v_lshl_add_u32 v92, v9, 2, v49
	v_lshlrev_b32_e32 v39, 1, v33
	v_dual_lshlrev_b32 v1, 2, v1 :: v_dual_lshlrev_b32 v42, 1, v40
	v_add_nc_u32_e32 v47, 0x70, v37
	v_lshlrev_b32_e32 v32, 2, v110
	s_delay_alu instid0(VALU_DEP_4) | instskip(NEXT) | instid1(VALU_DEP_4)
	v_and_b32_e32 v39, 0xffc, v39
	v_add3_u32 v1, v1, v10, 0x4200
	v_and_b32_e32 v41, 0xffc, v41
	v_dual_lshlrev_b32 v40, 6, v40 :: v_dual_lshlrev_b32 v50, 1, v47
	v_lshlrev_b32_e32 v47, 6, v47
	v_min_num_f64_e32 v[4:5], v[4:5], v[2:3]
	v_min_num_f64_e32 v[6:7], v[6:7], v[2:3]
	v_dual_min_num_f64 v[16:17], v[16:17], v[2:3] :: v_dual_lshlrev_b32 v44, 6, v44
	v_min_num_f64_e32 v[14:15], v[14:15], v[2:3]
	v_min_num_f64_e32 v[18:19], v[18:19], v[2:3]
	;; [unrolled: 1-line block ×5, first 2 shown]
	v_add_nc_u32_e32 v25, 0x60, v37
	v_add3_u32 v39, v39, v10, 0x4200
	v_and_b32_e32 v42, 0xffc, v42
	v_dual_lshlrev_b32 v33, 6, v33 :: v_dual_lshlrev_b32 v11, 6, v11
	v_add3_u32 v41, v41, v10, 0x4200
	v_lshlrev_b32_e32 v48, 1, v25
	v_and_b32_e32 v49, 0xffc, v50
	v_dual_add_nc_u32 v50, 32, v92 :: v_dual_lshlrev_b32 v25, 6, v25
	v_add_nc_u32_e32 v65, v1, v43
	v_add_nc_u32_e32 v1, 0x60, v92
	v_add3_u32 v42, v42, v10, 0x4200
	v_and_b32_e32 v24, 0xffc, v45
	v_and_b32_e32 v52, 0x7fc, v92
	v_dual_add_nc_u32 v67, v39, v33 :: v_dual_add_nc_u32 v69, v41, v11
	v_and_b32_e32 v11, 0xffc, v1
	v_dual_add_nc_u32 v34, 32, v9 :: v_dual_add_nc_u32 v35, 40, v9
	v_add3_u32 v24, v24, v10, 0x4200
	v_dual_add_nc_u32 v71, v42, v40 :: v_dual_lshlrev_b32 v1, 5, v1
	v_cvt_i32_f64_e32 v4, v[4:5]
	v_cvt_i32_f64_e32 v5, v[6:7]
	;; [unrolled: 1-line block ×3, first 2 shown]
	v_add_nc_u32_e32 v17, 32, v13
	v_cvt_i32_f64_e32 v6, v[14:15]
	v_cvt_i32_f64_e32 v14, v[18:19]
	;; [unrolled: 1-line block ×4, first 2 shown]
	v_and_b32_e32 v18, 0xfc, v0
	v_add_nc_u32_e32 v19, 64, v13
	v_cvt_i32_f64_e32 v2, v[2:3]
	v_lshlrev_b32_e32 v20, 5, v17
	v_and_b32_e32 v21, 0x1fc, v17
	v_add_nc_u32_e32 v22, 0x60, v13
	v_lshlrev_b32_e32 v3, 5, v13
	v_add3_u32 v23, v52, v32, 0x8300
	v_and_b32_e32 v39, 31, v0
	v_add3_u32 v57, v20, v21, 0x8300
	v_lshlrev_b32_e32 v20, 5, v22
	v_add3_u32 v55, v3, v18, 0x8300
	v_lshlrev_b32_e32 v3, 5, v19
	v_and_b32_e32 v18, 0x1fc, v19
	v_add3_u32 v11, v11, v32, 0x8300
	v_dual_add_nc_u32 v29, 16, v9 :: v_dual_add_nc_u32 v30, 24, v9
	v_add_nc_u32_e32 v73, v24, v44
	s_delay_alu instid0(VALU_DEP_4) | instskip(SKIP_3) | instid1(VALU_DEP_3)
	v_add3_u32 v59, v3, v18, 0x8300
	v_dual_lshlrev_b32 v3, 5, v92 :: v_dual_lshlrev_b32 v24, 7, v9
	v_lshl_or_b32 v39, v39, 2, 0x6300
	v_dual_add_nc_u32 v87, v11, v1 :: v_dual_lshlrev_b32 v1, 7, v38
	v_dual_add_nc_u32 v81, v23, v3 :: v_dual_lshlrev_b32 v3, 7, v34
	v_bfe_u32 v11, v0, 2, 8
	s_delay_alu instid0(VALU_DEP_3) | instskip(NEXT) | instid1(VALU_DEP_3)
	v_dual_add_nc_u32 v103, v39, v1 :: v_dual_bitop2_b32 v0, 3, v0 bitop3:0x40
	v_dual_add_nc_u32 v89, v39, v24 :: v_dual_add_nc_u32 v97, v39, v3
	s_delay_alu instid0(VALU_DEP_3) | instskip(NEXT) | instid1(VALU_DEP_3)
	v_lshl_add_u32 v3, v9, 3, v11
	v_add_nc_u16 v1, v0, -2
	v_cmp_gt_u32_e32 vcc_lo, 2, v0
	v_dual_mov_b32 v11, 0 :: v_dual_add_nc_u32 v46, 0x50, v37
	v_and_b32_e32 v21, 0x1fc, v22
	v_and_b32_e32 v48, 0xffc, v48
	s_delay_alu instid0(VALU_DEP_3) | instskip(SKIP_1) | instid1(VALU_DEP_4)
	v_dual_cndmask_b32 v1, v1, v0, vcc_lo :: v_dual_lshlrev_b32 v45, 1, v46
	v_lshlrev_b32_e32 v46, 6, v46
	v_add3_u32 v63, v20, v21, 0x8300
	v_add_nc_u32_e32 v20, 64, v92
	v_and_b32_e32 v54, 0xffc, v50
	v_and_b32_e32 v45, 0xffc, v45
	s_ashr_i32 s11, s10, 31
	v_add3_u32 v48, v48, v10, 0x4200
	v_and_b32_e32 v33, 0xffc, v20
	s_lshr_b32 s11, s11, 24
	v_add3_u32 v45, v45, v10, 0x4200
	s_add_co_i32 s10, s10, s11
	v_add3_u32 v49, v49, v10, 0x4200
	v_add3_u32 v18, v54, v32, 0x8300
	v_lshlrev_b32_e32 v21, 5, v50
	v_add3_u32 v33, v33, v32, 0x8300
	v_dual_lshlrev_b32 v20, 5, v20 :: v_dual_add_nc_u32 v75, v45, v46
	s_ashr_i32 s12, s5, 31
	s_ashr_i32 s15, s10, 8
	s_lshr_b32 s11, s12, 27
	s_mul_i32 s10, s15, s14
	v_dual_lshlrev_b32 v40, 7, v28 :: v_dual_add_nc_u32 v77, v48, v25
	v_dual_lshlrev_b32 v25, 7, v29 :: v_dual_add_nc_u32 v79, v49, v47
	;; [unrolled: 1-line block ×4, first 2 shown]
	s_delay_alu instid0(VALU_DEP_3) | instskip(NEXT) | instid1(VALU_DEP_3)
	v_dual_add_nc_u32 v93, v39, v25 :: v_dual_lshlrev_b32 v20, 7, v36
	v_add_nc_u32_e32 v95, v39, v41
	s_add_co_i32 s5, s5, s11
	s_ashr_i32 s11, s10, 31
	v_dual_add_nc_u32 v91, v39, v40 :: v_dual_add_nc_u32 v99, v39, v18
	s_mul_u64 s[12:13], s[10:11], 0x6e
	s_lshl_b32 s10, s15, 3
	v_dual_add_nc_u32 v101, v39, v20 :: v_dual_bitop2_b32 v3, 63, v3 bitop3:0x40
	v_lshlrev_b32_e32 v18, 2, v0
	v_mad_i32_i24 v50, s15, v9, s10
	s_ashr_i32 s5, s5, 5
	v_lshlrev_b32_e32 v133, 3, v19
	v_or_b32_e32 v20, s7, v3
	v_lshl_or_b32 v3, v3, 4, v18
	v_add_nc_u32_e32 v52, s10, v50
	v_mul_lo_u32 v113, s5, v4
	v_mul_lo_u32 v119, s5, v14
	v_lshlrev_b32_e32 v14, 1, v13
	v_add_nc_u32_e32 v111, 0x97a0, v3
	v_dual_lshrrev_b32 v3, 4, v17 :: v_dual_lshrrev_b32 v4, 1, v19
	v_add_nc_u32_e32 v54, s10, v52
	v_mul_lo_u32 v117, s5, v6
	v_mul_lo_u32 v118, s5, v7
	v_dual_lshrrev_b32 v6, 1, v22 :: v_dual_lshrrev_b32 v7, 4, v22
	v_lshlrev_b32_e32 v134, 6, v22
	v_add_nc_u32_e32 v56, s10, v54
	v_dual_lshlrev_b32 v135, 3, v22 :: v_dual_lshlrev_b32 v141, 2, v4
	s_delay_alu instid0(VALU_DEP_4) | instskip(SKIP_1) | instid1(VALU_DEP_3)
	v_lshlrev_b32_e32 v144, 2, v7
	s_lshl_b32 s11, s15, 4
	v_add_nc_u32_e32 v58, s10, v56
	v_mad_i32_i24 v70, s15, v37, s11
	s_wait_xcnt 0x0
	s_load_b128 s[0:3], s[0:1], 0x0
	v_and_b32_e32 v1, 0xff, v1
	v_dual_mov_b32 v33, v11 :: v_dual_min_i32 v18, s16, v20
	v_add_nc_u32_e32 v62, s10, v58
	s_delay_alu instid0(VALU_DEP_3) | instskip(SKIP_1) | instid1(VALU_DEP_3)
	v_dual_add_nc_u32 v74, s11, v70 :: v_dual_lshlrev_b32 v48, 2, v1
	v_dual_mov_b32 v49, v11 :: v_dual_lshlrev_b32 v1, 2, v13
	v_dual_lshlrev_b32 v107, 1, v0 :: v_dual_add_nc_u32 v64, s10, v62
	v_lshlrev_b32_e32 v143, 2, v6
	s_lshl_b32 s16, s15, 5
	v_mul_i32_i24_e32 v88, s15, v92
	v_mad_i32_i24 v92, s15, v92, s16
	v_add_nc_u32_e32 v66, s10, v64
	v_cmp_lt_u32_e32 vcc_lo, 7, v26
	v_mad_u32 v105, v18, s5, v0
	v_mad_u32_u24 v109, 0x84, v9, v1
	v_dual_mov_b32 v1, v11 :: v_dual_bitop2_b32 v0, 28, v1 bitop3:0x40
	v_add_nc_u32_e32 v68, s10, v66
	v_mul_lo_u32 v116, s5, v5
	v_mul_lo_u32 v120, s5, v15
	;; [unrolled: 1-line block ×4, first 2 shown]
	v_dual_add_nc_u32 v72, s10, v68 :: v_dual_lshlrev_b32 v129, 5, v38
	v_dual_lshrrev_b32 v2, 1, v17 :: v_dual_lshrrev_b32 v5, 4, v19
	s_delay_alu instid0(VALU_DEP_2) | instskip(SKIP_4) | instid1(VALU_DEP_4)
	v_dual_lshlrev_b32 v132, 6, v19 :: v_dual_add_nc_u32 v76, s10, v72
	v_add_nc_u32_e32 v78, s11, v74
	v_cndmask_b32_e64 v104, 0, 1, vcc_lo
	v_add_nc_u32_e32 v108, s16, v92
	v_cmp_lt_u32_e32 vcc_lo, 3, v110
	v_dual_add_nc_u32 v80, s10, v76 :: v_dual_add_nc_u32 v86, s11, v78
	v_dual_lshlrev_b32 v123, 5, v28 :: v_dual_lshlrev_b32 v124, 5, v29
	v_dual_lshlrev_b32 v125, 5, v30 :: v_dual_lshlrev_b32 v127, 5, v35
	s_delay_alu instid0(VALU_DEP_3) | instskip(NEXT) | instid1(VALU_DEP_4)
	v_dual_add_nc_u32 v90, s10, v80 :: v_dual_lshlrev_b32 v160, 5, v9
	v_dual_add_nc_u32 v94, s11, v86 :: v_dual_lshlrev_b32 v163, 2, v8
	v_dual_lshlrev_b32 v126, 5, v34 :: v_dual_lshlrev_b32 v128, 5, v36
	s_delay_alu instid0(VALU_DEP_3) | instskip(NEXT) | instid1(VALU_DEP_3)
	v_dual_add_nc_u32 v96, s10, v90 :: v_dual_lshlrev_b32 v162, 6, v13
	v_dual_add_nc_u32 v98, s11, v94 :: v_dual_lshlrev_b32 v130, 6, v17
	v_lshlrev_b32_e32 v131, 3, v17
	s_wait_kmcnt 0x0
	v_add_nc_u64_e32 v[60:61], s[2:3], v[0:1]
	v_dual_lshlrev_b32 v136, 2, v27 :: v_dual_bitop2_b32 v137, 4, v14 bitop3:0x40
	v_dual_lshlrev_b32 v138, 2, v14 :: v_dual_lshlrev_b32 v140, 2, v3
	v_mul_i32_i24_e32 v82, s15, v31
	v_mul_i32_i24_e32 v84, s15, v37
	v_mov_b64_e32 v[40:41], 0
	v_mov_b64_e32 v[30:31], 0
	;; [unrolled: 1-line block ×16, first 2 shown]
	v_dual_lshlrev_b32 v139, 2, v2 :: v_dual_lshlrev_b32 v142, 2, v5
	v_add_nc_u32_e32 v145, 0x420, v109
	v_add_nc_u32_e32 v146, 0x840, v109
	;; [unrolled: 1-line block ×15, first 2 shown]
	v_mul_u32_u24_e32 v161, 0x84, v13
	v_mul_i32_i24_e32 v100, s15, v9
	v_dual_add_nc_u32 v102, s10, v96 :: v_dual_add_nc_u32 v106, s11, v98
	v_cndmask_b32_e64 v110, 0, 1, vcc_lo
	v_add_nc_u32_e32 v112, s16, v108
	s_mov_b32 s11, 0
	s_add_nc_u64 s[0:1], s[0:1], s[12:13]
	s_mov_b32 s10, s11
	s_branch .LBB129_6
.LBB129_5:                              ;   in Loop: Header=BB129_6 Depth=1
	s_add_co_i32 s10, s10, 2
	s_delay_alu instid0(SALU_CYCLE_1)
	s_cmp_ge_i32 s10, s15
	s_cbranch_scc1 .LBB129_14
.LBB129_6:                              ; =>This Loop Header: Depth=1
                                        ;     Child Loop BB129_8 Depth 2
                                        ;       Child Loop BB129_10 Depth 3
                                        ;       Child Loop BB129_12 Depth 3
	s_mul_u64 s[12:13], s[10:11], 0x6e
	s_lshl_b32 s5, s10, 3
	s_add_nc_u64 s[12:13], s[0:1], s[12:13]
	v_add_nc_u32_e32 v164, s5, v105
	v_mad_nc_u64_u32 v[0:1], 0x6e, v8, s[12:13]
	s_delay_alu instid0(VALU_DEP_1) | instskip(NEXT) | instid1(VALU_DEP_1)
	v_mad_nc_u64_u32 v[2:3], 0x6e, v100, v[0:1]
	v_add_nc_u64_e32 v[2:3], v[2:3], v[10:11]
	global_load_b32 v2, v[2:3], off offset:32
	s_wait_loadcnt 0x0
	ds_store_b32 v109, v2
	s_wait_xcnt 0x0
	v_mad_nc_u64_u32 v[2:3], 0x6e, v50, v[0:1]
	s_delay_alu instid0(VALU_DEP_1)
	v_add_nc_u64_e32 v[2:3], v[2:3], v[10:11]
	global_load_b32 v2, v[2:3], off offset:32
	s_wait_loadcnt 0x0
	ds_store_b32 v145, v2
	s_wait_xcnt 0x0
	v_mad_nc_u64_u32 v[2:3], 0x6e, v52, v[0:1]
	s_delay_alu instid0(VALU_DEP_1)
	;; [unrolled: 7-line block ×13, first 2 shown]
	v_add_nc_u64_e32 v[2:3], v[2:3], v[10:11]
	global_load_b32 v2, v[2:3], off offset:32
	s_wait_loadcnt 0x0
	ds_store_b32 v157, v2
	s_wait_xcnt 0x0
	v_mad_nc_u64_u32 v[2:3], 0x6e, v96, v[0:1]
	v_mad_nc_u64_u32 v[0:1], 0x6e, v102, v[0:1]
	s_delay_alu instid0(VALU_DEP_2) | instskip(NEXT) | instid1(VALU_DEP_2)
	v_add_nc_u64_e32 v[2:3], v[2:3], v[10:11]
	v_add_nc_u64_e32 v[0:1], v[0:1], v[10:11]
	s_clause 0x1
	global_load_b32 v2, v[2:3], off offset:32
	global_load_b32 v0, v[0:1], off offset:32
	s_wait_loadcnt 0x1
	ds_store_b32 v158, v2
	s_wait_loadcnt 0x0
	ds_store_b32 v159, v0
	s_wait_xcnt 0x0
	v_mad_nc_u64_u32 v[0:1], 0x6e, v82, s[12:13]
	s_delay_alu instid0(VALU_DEP_1)
	v_mad_nc_u64_u32 v[0:1], 0x6e, v12, v[0:1]
	global_load_u16 v0, v[0:1], off offset:108
	s_wait_loadcnt 0x0
	s_wait_xcnt 0x0
	v_cvt_f32_f16_e32 v0, v0
	ds_store_b32 v53, v0
	v_mad_nc_u64_u32 v[0:1], 0x6e, v104, s[12:13]
	s_delay_alu instid0(VALU_DEP_1) | instskip(NEXT) | instid1(VALU_DEP_1)
	v_add_nc_u64_e32 v[0:1], v[0:1], v[32:33]
	v_mad_nc_u64_u32 v[2:3], 0x6e, v84, v[0:1]
	global_load_b32 v2, v[2:3], off
	s_wait_loadcnt 0x0
	s_wait_xcnt 0x0
	v_not_b32_e32 v2, v2
	ds_store_b32 v65, v2
	v_mad_nc_u64_u32 v[2:3], 0x6e, v70, v[0:1]
	global_load_b32 v2, v[2:3], off
	s_wait_loadcnt 0x0
	s_wait_xcnt 0x0
	v_not_b32_e32 v2, v2
	ds_store_b32 v67, v2
	v_mad_nc_u64_u32 v[2:3], 0x6e, v74, v[0:1]
	global_load_b32 v2, v[2:3], off
	s_wait_loadcnt 0x0
	s_wait_xcnt 0x0
	v_not_b32_e32 v2, v2
	ds_store_b32 v69, v2
	v_mad_nc_u64_u32 v[2:3], 0x6e, v78, v[0:1]
	global_load_b32 v2, v[2:3], off
	s_wait_loadcnt 0x0
	s_wait_xcnt 0x0
	v_not_b32_e32 v2, v2
	ds_store_b32 v71, v2
	v_mad_nc_u64_u32 v[2:3], 0x6e, v86, v[0:1]
	global_load_b32 v2, v[2:3], off
	s_wait_loadcnt 0x0
	s_wait_xcnt 0x0
	v_not_b32_e32 v2, v2
	ds_store_b32 v73, v2
	v_mad_nc_u64_u32 v[2:3], 0x6e, v94, v[0:1]
	global_load_b32 v2, v[2:3], off
	s_wait_loadcnt 0x0
	s_wait_xcnt 0x0
	v_not_b32_e32 v2, v2
	ds_store_b32 v75, v2
	v_mad_nc_u64_u32 v[2:3], 0x6e, v98, v[0:1]
	v_mad_nc_u64_u32 v[0:1], 0x6e, v106, v[0:1]
	s_clause 0x1
	global_load_b32 v2, v[2:3], off
	global_load_b32 v0, v[0:1], off
	s_wait_loadcnt 0x1
	s_wait_xcnt 0x1
	v_not_b32_e32 v2, v2
	s_wait_loadcnt 0x0
	s_wait_xcnt 0x0
	v_not_b32_e32 v0, v0
	ds_store_b32 v77, v2
	ds_store_b32 v79, v0
	v_mad_nc_u64_u32 v[0:1], 0x6e, v110, s[12:13]
	s_mov_b32 s12, 0
	s_delay_alu instid0(VALU_DEP_1) | instskip(NEXT) | instid1(VALU_DEP_1)
	v_mad_nc_u64_u32 v[2:3], 0x6e, v88, v[0:1]
	v_add_nc_u64_e32 v[4:5], v[2:3], v[48:49]
	s_clause 0x1
	global_load_b32 v2, v[2:3], off offset:104
	global_load_b32 v4, v[4:5], off offset:96
	s_wait_loadcnt 0x1
	s_wait_xcnt 0x1
	v_ashrrev_i32_e32 v2, v107, v2
	s_wait_loadcnt 0x0
	s_wait_xcnt 0x0
	s_delay_alu instid0(VALU_DEP_1) | instskip(NEXT) | instid1(VALU_DEP_1)
	v_dual_lshlrev_b32 v2, 4, v2 :: v_dual_ashrrev_i32 v4, v137, v4
	v_and_b32_e32 v4, 0xf0f0f0f, v4
	s_delay_alu instid0(VALU_DEP_1) | instskip(NEXT) | instid1(VALU_DEP_1)
	v_and_or_b32 v2, 0x30303030, v2, v4
	v_lshlrev_b16 v4, 8, v2
	v_lshrrev_b32_e32 v3, 16, v2
	s_delay_alu instid0(VALU_DEP_2) | instskip(NEXT) | instid1(VALU_DEP_1)
	v_add_nc_u16 v4, 0xe000, v4
	v_lshrrev_b16 v4, 8, v4
	s_delay_alu instid0(VALU_DEP_1) | instskip(NEXT) | instid1(VALU_DEP_4)
	v_bitop3_b16 v2, v2, v4, 0x3f00 bitop3:0xec
	v_lshlrev_b16 v4, 8, v3
	s_delay_alu instid0(VALU_DEP_2) | instskip(NEXT) | instid1(VALU_DEP_2)
	v_add_nc_u16 v2, 0xe000, v2
	v_add_nc_u16 v4, 0xe000, v4
	s_delay_alu instid0(VALU_DEP_2) | instskip(NEXT) | instid1(VALU_DEP_2)
	v_and_b32_e32 v2, 0xffff, v2
	v_lshrrev_b16 v4, 8, v4
	s_delay_alu instid0(VALU_DEP_1) | instskip(NEXT) | instid1(VALU_DEP_1)
	v_bitop3_b16 v3, v3, v4, 0x3f00 bitop3:0xec
	v_add_nc_u16 v3, 0xe000, v3
	s_delay_alu instid0(VALU_DEP_1) | instskip(NEXT) | instid1(VALU_DEP_1)
	v_lshlrev_b32_e32 v3, 16, v3
	v_or_b32_e32 v2, v2, v3
	ds_store_b32 v81, v2
	v_mad_nc_u64_u32 v[2:3], 0x6e, v92, v[0:1]
	s_delay_alu instid0(VALU_DEP_1)
	v_add_nc_u64_e32 v[4:5], v[2:3], v[48:49]
	s_clause 0x1
	global_load_b32 v2, v[2:3], off offset:104
	global_load_b32 v4, v[4:5], off offset:96
	s_wait_loadcnt 0x1
	s_wait_xcnt 0x1
	v_ashrrev_i32_e32 v2, v107, v2
	s_wait_loadcnt 0x0
	s_wait_xcnt 0x0
	s_delay_alu instid0(VALU_DEP_1) | instskip(NEXT) | instid1(VALU_DEP_1)
	v_dual_lshlrev_b32 v2, 4, v2 :: v_dual_ashrrev_i32 v4, v137, v4
	v_and_b32_e32 v4, 0xf0f0f0f, v4
	s_delay_alu instid0(VALU_DEP_1) | instskip(NEXT) | instid1(VALU_DEP_1)
	v_and_or_b32 v2, 0x30303030, v2, v4
	v_lshlrev_b16 v4, 8, v2
	v_lshrrev_b32_e32 v3, 16, v2
	s_delay_alu instid0(VALU_DEP_2) | instskip(NEXT) | instid1(VALU_DEP_1)
	v_add_nc_u16 v4, 0xe000, v4
	v_lshrrev_b16 v4, 8, v4
	s_delay_alu instid0(VALU_DEP_1) | instskip(NEXT) | instid1(VALU_DEP_4)
	v_bitop3_b16 v2, v2, v4, 0x3f00 bitop3:0xec
	v_lshlrev_b16 v4, 8, v3
	s_delay_alu instid0(VALU_DEP_2) | instskip(NEXT) | instid1(VALU_DEP_2)
	v_add_nc_u16 v2, 0xe000, v2
	v_add_nc_u16 v4, 0xe000, v4
	s_delay_alu instid0(VALU_DEP_2) | instskip(NEXT) | instid1(VALU_DEP_2)
	v_and_b32_e32 v2, 0xffff, v2
	v_lshrrev_b16 v4, 8, v4
	s_delay_alu instid0(VALU_DEP_1) | instskip(NEXT) | instid1(VALU_DEP_1)
	v_bitop3_b16 v3, v3, v4, 0x3f00 bitop3:0xec
	v_add_nc_u16 v3, 0xe000, v3
	s_delay_alu instid0(VALU_DEP_1) | instskip(NEXT) | instid1(VALU_DEP_1)
	v_lshlrev_b32_e32 v3, 16, v3
	v_or_b32_e32 v2, v2, v3
	ds_store_b32 v83, v2
	v_mad_nc_u64_u32 v[2:3], 0x6e, v108, v[0:1]
	v_mad_nc_u64_u32 v[0:1], 0x6e, v112, v[0:1]
	s_delay_alu instid0(VALU_DEP_2)
	v_add_nc_u64_e32 v[4:5], v[2:3], v[48:49]
	s_clause 0x1
	global_load_b32 v2, v[2:3], off offset:104
	global_load_b32 v4, v[4:5], off offset:96
	s_wait_loadcnt 0x1
	s_wait_xcnt 0x1
	v_ashrrev_i32_e32 v2, v107, v2
	s_wait_loadcnt 0x0
	s_wait_xcnt 0x0
	s_delay_alu instid0(VALU_DEP_1) | instskip(NEXT) | instid1(VALU_DEP_1)
	v_dual_lshlrev_b32 v2, 4, v2 :: v_dual_ashrrev_i32 v4, v137, v4
	v_and_b32_e32 v4, 0xf0f0f0f, v4
	s_delay_alu instid0(VALU_DEP_1) | instskip(NEXT) | instid1(VALU_DEP_1)
	v_and_or_b32 v2, 0x30303030, v2, v4
	v_lshlrev_b16 v4, 8, v2
	v_lshrrev_b32_e32 v3, 16, v2
	s_delay_alu instid0(VALU_DEP_2) | instskip(NEXT) | instid1(VALU_DEP_1)
	v_add_nc_u16 v4, 0xe000, v4
	v_lshrrev_b16 v4, 8, v4
	s_delay_alu instid0(VALU_DEP_1) | instskip(NEXT) | instid1(VALU_DEP_4)
	v_bitop3_b16 v2, v2, v4, 0x3f00 bitop3:0xec
	v_lshlrev_b16 v4, 8, v3
	s_delay_alu instid0(VALU_DEP_2) | instskip(NEXT) | instid1(VALU_DEP_2)
	v_add_nc_u16 v2, 0xe000, v2
	v_add_nc_u16 v4, 0xe000, v4
	s_delay_alu instid0(VALU_DEP_2) | instskip(NEXT) | instid1(VALU_DEP_2)
	v_and_b32_e32 v2, 0xffff, v2
	v_lshrrev_b16 v4, 8, v4
	s_delay_alu instid0(VALU_DEP_1) | instskip(NEXT) | instid1(VALU_DEP_1)
	v_bitop3_b16 v3, v3, v4, 0x3f00 bitop3:0xec
	v_add_nc_u16 v3, 0xe000, v3
	s_delay_alu instid0(VALU_DEP_1) | instskip(NEXT) | instid1(VALU_DEP_1)
	v_lshlrev_b32_e32 v3, 16, v3
	v_or_b32_e32 v2, v2, v3
	ds_store_b32 v85, v2
	v_add_nc_u64_e32 v[2:3], v[0:1], v[48:49]
	s_clause 0x1
	global_load_b32 v0, v[0:1], off offset:104
	global_load_b32 v2, v[2:3], off offset:96
	s_wait_loadcnt 0x1
	s_wait_xcnt 0x1
	v_ashrrev_i32_e32 v0, v107, v0
	s_wait_loadcnt 0x0
	s_wait_xcnt 0x0
	s_delay_alu instid0(VALU_DEP_1) | instskip(NEXT) | instid1(VALU_DEP_1)
	v_dual_lshlrev_b32 v0, 4, v0 :: v_dual_ashrrev_i32 v2, v137, v2
	v_and_b32_e32 v2, 0xf0f0f0f, v2
	s_delay_alu instid0(VALU_DEP_1) | instskip(NEXT) | instid1(VALU_DEP_1)
	v_and_or_b32 v0, 0x30303030, v0, v2
	v_lshlrev_b16 v2, 8, v0
	v_lshrrev_b32_e32 v1, 16, v0
	s_delay_alu instid0(VALU_DEP_2) | instskip(NEXT) | instid1(VALU_DEP_1)
	v_add_nc_u16 v2, 0xe000, v2
	v_lshrrev_b16 v2, 8, v2
	s_delay_alu instid0(VALU_DEP_1) | instskip(NEXT) | instid1(VALU_DEP_4)
	v_bitop3_b16 v0, v0, v2, 0x3f00 bitop3:0xec
	v_lshlrev_b16 v2, 8, v1
	s_delay_alu instid0(VALU_DEP_2) | instskip(NEXT) | instid1(VALU_DEP_2)
	v_add_nc_u16 v0, 0xe000, v0
	v_add_nc_u16 v2, 0xe000, v2
	s_delay_alu instid0(VALU_DEP_2) | instskip(NEXT) | instid1(VALU_DEP_2)
	v_and_b32_e32 v0, 0xffff, v0
	v_lshrrev_b16 v2, 8, v2
	s_delay_alu instid0(VALU_DEP_1) | instskip(NEXT) | instid1(VALU_DEP_1)
	v_bitop3_b16 v1, v1, v2, 0x3f00 bitop3:0xec
	v_add_nc_u16 v1, 0xe000, v1
	s_delay_alu instid0(VALU_DEP_1) | instskip(NEXT) | instid1(VALU_DEP_1)
	v_lshlrev_b32_e32 v1, 16, v1
	v_or_b32_e32 v0, v0, v1
	ds_store_b32 v87, v0
	s_branch .LBB129_8
.LBB129_7:                              ;   in Loop: Header=BB129_8 Depth=2
                                        ; implicit-def: $sgpr12
	s_and_b32 vcc_lo, exec_lo, s13
	s_cbranch_vccnz .LBB129_5
.LBB129_8:                              ;   Parent Loop BB129_6 Depth=1
                                        ; =>  This Loop Header: Depth=2
                                        ;       Child Loop BB129_10 Depth 3
                                        ;       Child Loop BB129_12 Depth 3
	s_lshr_b32 s13, s12, 1
	s_delay_alu instid0(SALU_CYCLE_1) | instskip(NEXT) | instid1(SALU_CYCLE_1)
	s_or_b32 s13, s13, s10
	s_cmp_lt_i32 s13, s15
	s_mov_b32 s13, -1
	s_cbranch_scc0 .LBB129_7
; %bb.9:                                ;   in Loop: Header=BB129_8 Depth=2
	v_lshl_add_u32 v0, s12, 5, v13
	v_lshl_add_u32 v1, s12, 2, v164
	s_or_b32 s16, s12, 1
	s_lshl_b32 s17, s12, 3
	s_lshl_b32 s13, s16, 3
	v_lshrrev_b32_e32 v0, 3, v0
	s_delay_alu instid0(VALU_DEP_1) | instskip(SKIP_1) | instid1(VALU_DEP_2)
	v_add_nc_u32_e32 v2, s5, v0
	v_mad_nc_u64_u32 v[0:1], v1, 36, s[2:3]
	v_dual_add_nc_u32 v3, v2, v122 :: v_dual_add_nc_u32 v168, v2, v119
	v_dual_add_nc_u32 v4, v2, v113 :: v_dual_add_nc_u32 v6, v2, v116
	;; [unrolled: 1-line block ×4, first 2 shown]
	s_delay_alu instid0(VALU_DEP_4) | instskip(NEXT) | instid1(VALU_DEP_4)
	v_mad_nc_i64_i32 v[2:3], v3, 36, v[60:61]
	v_mad_nc_i64_i32 v[4:5], v4, 36, v[60:61]
	v_mad_nc_i64_i32 v[6:7], v6, 36, v[60:61]
	v_mad_nc_i64_i32 v[114:115], v114, 36, v[60:61]
	v_mad_nc_i64_i32 v[166:167], v165, 36, v[60:61]
	v_mad_nc_i64_i32 v[168:169], v168, 36, v[60:61]
	v_mad_nc_i64_i32 v[170:171], v170, 36, v[60:61]
	v_mad_nc_i64_i32 v[172:173], v172, 36, v[60:61]
	s_clause 0x8
	global_load_b32 v165, v[0:1], off
	global_load_b32 v174, v[2:3], off offset:4
	global_load_b32 v175, v[4:5], off offset:4
	;; [unrolled: 1-line block ×8, first 2 shown]
	s_wait_loadcnt 0x8
	s_wait_xcnt 0x8
	v_cvt_f32_f16_e64 v0, v165
	s_wait_loadcnt 0x7
	ds_store_b32 v103, v174
	s_wait_loadcnt 0x6
	ds_store_b32 v89, v175
	s_wait_loadcnt 0x5
	ds_store_b32 v91, v176
	s_wait_loadcnt 0x4
	ds_store_b32 v93, v177
	s_wait_loadcnt 0x3
	ds_store_b32 v95, v178
	s_wait_loadcnt 0x2
	ds_store_b32 v97, v179
	s_wait_loadcnt 0x1
	ds_store_b32 v99, v180
	s_wait_loadcnt 0x0
	ds_store_b32 v101, v181
	ds_store_b32 v111, v0
	s_wait_dscnt 0x0
	s_barrier_signal -1
	s_barrier_wait -1
.LBB129_10:                             ;   Parent Loop BB129_6 Depth=1
                                        ;     Parent Loop BB129_8 Depth=2
                                        ; =>    This Inner Loop Header: Depth=3
	s_lshl_b32 s18, s17, 2
	s_and_b32 s20, s17, 6
	s_and_b32 s18, s18, 24
	;; [unrolled: 1-line block ×3, first 2 shown]
	v_or_b32_e32 v0, s18, v160
	v_lshl_add_u32 v237, s22, 2, v161
	s_lshr_b32 s21, s17, 4
	s_bfe_u32 s19, s17, 0x30001
	s_lshl_b32 s23, s21, 2
	v_dual_lshlrev_b32 v4, 2, v0 :: v_dual_lshrrev_b32 v0, 1, v0
	s_lshl_b32 s21, s21, 5
	s_and_b32 s22, s17, -2
	s_addk_co_i32 s21, 0x4200
	ds_load_b32 v115, v0 offset:38816
	ds_load_b128 v[0:3], v4 offset:25344
	ds_load_b128 v[4:7], v4 offset:25360
	ds_load_2addr_b32 v[166:167], v237 offset1:1
	v_add3_u32 v172, s21, v136, v162
	s_add_co_i32 s23, s23, 0x9380
	s_set_vgpr_msb 64                       ;  msbs: dst=1 src0=0 src1=0 src2=0
	v_add_nc_u32_e32 v46 /*v302*/, s22, v63
	s_add_co_i32 s17, s17, 2
	s_set_vgpr_msb 0                        ;  msbs: dst=0 src0=0 src1=0 src2=0
	ds_load_2addr_b32 v[168:169], v172 offset1:1
	s_cmp_lt_u32 s17, s13
	s_wait_dscnt 0x3
	v_bfe_i32 v224, v0, 0, 8
	v_bfe_i32 v225, v0, 8, 8
	s_wait_dscnt 0x1
	v_ashrrev_i32_e32 v165, s20, v166
	v_bfe_i32 v208, v3, 8, 8
	v_perm_b32 v245, v0, v0, 0xc0c0302
	v_bfe_i32 v222, v1, 0, 8
	v_bfe_i32 v218, v2, 0, 8
	v_and_b32_e32 v166, 0x3030303, v165
	v_bfe_u32 v165, v165, 24, 2
	v_bfe_i32 v206, v2, 8, 8
	s_wait_dscnt 0x0
	v_ashrrev_i32_e32 v168, s19, v168
	v_perm_b32 v209, v1, v1, 0xc030201
	v_lshrrev_b32_e32 v171, 16, v166
	v_lshrrev_b16 v170, 8, v166
	v_bfe_i32 v207, v3, 0, 8
	v_lshlrev_b32_e32 v168, 2, v168
	v_perm_b32 v210, v2, v2, 0xc0c0302
	v_bfe_i32 v219, v4, 0, 8
	v_bfe_i32 v220, v4, 8, 8
	v_perm_b32 v211, v3, v3, 0xc0c0302
	v_and_b32_e32 v168, 0x4040404, v168
	v_bfe_i32 v217, v7, 8, 8
	v_perm_b32 v246, v4, v4, 0xc0c0302
	v_bfe_i32 v215, v5, 0, 8
	v_bfe_i32 v114, v6, 0, 8
	v_dual_lshrrev_b32 v174, 24, v168 :: v_dual_lshrrev_b32 v175, 16, v168
	v_lshrrev_b16 v173, 8, v168
	v_bfe_i32 v214, v6, 8, 8
	v_perm_b32 v221, v5, v5, 0xc030201
	s_delay_alu instid0(VALU_DEP_4)
	v_sub_nc_u16 v165, v165, v174
	v_sub_nc_u16 v171, v171, v175
	v_bfe_i32 v199, v7, 0, 8
	v_perm_b32 v232, v6, v6, 0xc0c0302
	v_perm_b32 v233, v7, v7, 0xc0c0302
	v_lshlrev_b16 v165, 8, v165
	v_bfe_i32 v223, v1, 8, 8
	v_perm_b32 v1, v1, v1, 0xc0c0302
	v_bfe_i32 v216, v5, 8, 8
	v_perm_b32 v5, v5, v5, 0xc0c0302
	v_bitop3_b16 v174, v171, v165, 0xff bitop3:0xec
	v_sub_nc_u16 v165, v170, v173
	v_sub_nc_u16 v173, v166, v168
	v_perm_b32 v6, v6, v6, 0xc030201
	v_perm_b32 v7, v7, v7, 0xc030201
	;; [unrolled: 1-line block ×3, first 2 shown]
	v_lshlrev_b16 v170, 8, v165
	v_dual_ashrrev_i32 v165, s20, v167 :: v_dual_ashrrev_i32 v169, s19, v169
	s_delay_alu instid0(VALU_DEP_1) | instskip(SKIP_1) | instid1(VALU_DEP_2)
	v_and_b32_e32 v166, 0x3030303, v165
	v_bfe_u32 v165, v165, 24, 2
	v_dual_lshlrev_b32 v169, 2, v169 :: v_dual_lshrrev_b32 v168, 16, v166
	v_lshrrev_b16 v167, 8, v166
	s_delay_alu instid0(VALU_DEP_2) | instskip(NEXT) | instid1(VALU_DEP_1)
	v_and_b32_e32 v169, 0x4040404, v169
	v_dual_lshrrev_b32 v176, 24, v169 :: v_dual_lshrrev_b32 v177, 16, v169
	v_lshrrev_b16 v175, 8, v169
	v_sub_nc_u16 v178, v166, v169
	s_delay_alu instid0(VALU_DEP_3) | instskip(NEXT) | instid1(VALU_DEP_4)
	v_sub_nc_u16 v165, v165, v176
	v_sub_nc_u16 v177, v168, v177
	ds_load_2addr_b32 v[168:169], v172 offset0:2 offset1:3
	v_lshlrev_b16 v165, 8, v165
	s_delay_alu instid0(VALU_DEP_1) | instskip(SKIP_3) | instid1(VALU_DEP_1)
	v_bitop3_b16 v176, v177, v165, 0xff bitop3:0xec
	v_sub_nc_u16 v165, v167, v175
	ds_load_2addr_b32 v[166:167], v237 offset0:2 offset1:3
	v_lshlrev_b16 v175, 8, v165
	v_perm_b32 v175, v175, v175, 0xc0c0c01
	s_wait_dscnt 0x1
	v_dual_ashrrev_i32 v168, s19, v168 :: v_dual_ashrrev_i32 v169, s19, v169
	s_delay_alu instid0(VALU_DEP_1) | instskip(SKIP_2) | instid1(VALU_DEP_2)
	v_dual_lshlrev_b32 v168, 2, v168 :: v_dual_lshlrev_b32 v169, 2, v169
	s_wait_dscnt 0x0
	v_ashrrev_i32_e32 v165, s20, v166
	v_and_b32_e32 v168, 0x4040404, v168
	s_delay_alu instid0(VALU_DEP_3) | instskip(NEXT) | instid1(VALU_DEP_3)
	v_and_b32_e32 v169, 0x4040404, v169
	v_and_b32_e32 v166, 0x3030303, v165
	v_bfe_u32 v165, v165, 24, 2
	s_delay_alu instid0(VALU_DEP_4) | instskip(SKIP_1) | instid1(VALU_DEP_4)
	v_dual_lshrrev_b32 v182, 24, v168 :: v_dual_lshrrev_b32 v183, 16, v168
	v_lshrrev_b16 v181, 8, v168
	v_lshrrev_b32_e32 v180, 16, v166
	v_lshrrev_b16 v179, 8, v166
	s_delay_alu instid0(VALU_DEP_4) | instskip(SKIP_1) | instid1(VALU_DEP_4)
	v_sub_nc_u16 v165, v165, v182
	v_lshrrev_b32_e32 v182, 16, v169
	v_sub_nc_u16 v226, v180, v183
	v_sub_nc_u16 v180, v166, v168
	s_delay_alu instid0(VALU_DEP_4) | instskip(NEXT) | instid1(VALU_DEP_1)
	v_lshlrev_b16 v165, 8, v165
	v_bitop3_b16 v227, v226, v165, 0xff bitop3:0xec
	v_sub_nc_u16 v165, v179, v181
	v_lshrrev_b32_e32 v181, 24, v169
	v_lshrrev_b16 v179, 8, v169
	s_delay_alu instid0(VALU_DEP_3) | instskip(SKIP_1) | instid1(VALU_DEP_1)
	v_lshlrev_b16 v228, 8, v165
	v_ashrrev_i32_e32 v165, s20, v167
	v_and_b32_e32 v166, 0x3030303, v165
	v_bfe_u32 v165, v165, 24, 2
	s_delay_alu instid0(VALU_DEP_2) | instskip(SKIP_1) | instid1(VALU_DEP_3)
	v_lshrrev_b32_e32 v168, 16, v166
	v_lshrrev_b16 v167, 8, v166
	v_sub_nc_u16 v165, v165, v181
	v_sub_nc_u16 v181, v166, v169
	s_delay_alu instid0(VALU_DEP_4) | instskip(SKIP_2) | instid1(VALU_DEP_1)
	v_sub_nc_u16 v229, v168, v182
	ds_load_2addr_b32 v[168:169], v172 offset0:4 offset1:5
	v_lshlrev_b16 v165, 8, v165
	v_bitop3_b16 v230, v229, v165, 0xff bitop3:0xec
	v_sub_nc_u16 v165, v167, v179
	ds_load_2addr_b32 v[166:167], v237 offset0:4 offset1:5
	v_lshlrev_b16 v231, 8, v165
	s_wait_dscnt 0x1
	v_dual_ashrrev_i32 v168, s19, v168 :: v_dual_ashrrev_i32 v169, s19, v169
	s_delay_alu instid0(VALU_DEP_1) | instskip(SKIP_2) | instid1(VALU_DEP_2)
	v_dual_lshlrev_b32 v168, 2, v168 :: v_dual_lshlrev_b32 v169, 2, v169
	s_wait_dscnt 0x0
	v_ashrrev_i32_e32 v165, s20, v166
	v_and_b32_e32 v168, 0x4040404, v168
	s_delay_alu instid0(VALU_DEP_3) | instskip(NEXT) | instid1(VALU_DEP_3)
	v_and_b32_e32 v169, 0x4040404, v169
	v_and_b32_e32 v166, 0x3030303, v165
	v_bfe_u32 v165, v165, 24, 2
	s_delay_alu instid0(VALU_DEP_4) | instskip(SKIP_1) | instid1(VALU_DEP_4)
	v_dual_lshrrev_b32 v184, 24, v168 :: v_dual_lshrrev_b32 v185, 16, v168
	v_lshrrev_b16 v183, 8, v168
	v_lshrrev_b32_e32 v182, 16, v166
	v_lshrrev_b16 v179, 8, v166
	s_delay_alu instid0(VALU_DEP_4) | instskip(SKIP_1) | instid1(VALU_DEP_4)
	v_sub_nc_u16 v165, v165, v184
	v_dual_lshrrev_b32 v186, 24, v169 :: v_dual_lshrrev_b32 v187, 16, v169
	v_sub_nc_u16 v182, v182, v185
	v_lshrrev_b16 v185, 8, v169
	s_delay_alu instid0(VALU_DEP_4) | instskip(NEXT) | instid1(VALU_DEP_1)
	v_lshlrev_b16 v165, 8, v165
	v_bitop3_b16 v184, v182, v165, 0xff bitop3:0xec
	v_sub_nc_u16 v165, v179, v183
	v_sub_nc_u16 v183, v166, v168
	s_delay_alu instid0(VALU_DEP_2) | instskip(SKIP_1) | instid1(VALU_DEP_1)
	v_lshlrev_b16 v179, 8, v165
	v_ashrrev_i32_e32 v165, s20, v167
	v_and_b32_e32 v166, 0x3030303, v165
	v_bfe_u32 v165, v165, 24, 2
	s_delay_alu instid0(VALU_DEP_2) | instskip(SKIP_2) | instid1(VALU_DEP_4)
	v_lshrrev_b32_e32 v168, 16, v166
	v_lshrrev_b16 v167, 8, v166
	v_sub_nc_u16 v188, v166, v169
	v_sub_nc_u16 v165, v165, v186
	s_delay_alu instid0(VALU_DEP_4) | instskip(SKIP_2) | instid1(VALU_DEP_1)
	v_sub_nc_u16 v187, v168, v187
	ds_load_2addr_b32 v[168:169], v172 offset0:6 offset1:7
	v_lshlrev_b16 v165, 8, v165
	v_bitop3_b16 v186, v187, v165, 0xff bitop3:0xec
	v_sub_nc_u16 v165, v167, v185
	ds_load_2addr_b32 v[166:167], v237 offset0:6 offset1:7
	v_lshlrev_b16 v185, 8, v165
	s_delay_alu instid0(VALU_DEP_1) | instskip(SKIP_2) | instid1(VALU_DEP_1)
	v_perm_b32 v185, v185, v185, 0xc0c0c01
	s_wait_dscnt 0x1
	v_dual_ashrrev_i32 v168, s19, v168 :: v_dual_ashrrev_i32 v169, s19, v169
	v_dual_lshlrev_b32 v168, 2, v168 :: v_dual_lshlrev_b32 v169, 2, v169
	s_wait_dscnt 0x0
	v_ashrrev_i32_e32 v165, s20, v166
	s_delay_alu instid0(VALU_DEP_2) | instskip(NEXT) | instid1(VALU_DEP_3)
	v_and_b32_e32 v168, 0x4040404, v168
	v_and_b32_e32 v169, 0x4040404, v169
	s_delay_alu instid0(VALU_DEP_3) | instskip(SKIP_1) | instid1(VALU_DEP_4)
	v_and_b32_e32 v166, 0x3030303, v165
	v_bfe_u32 v165, v165, 24, 2
	v_dual_lshrrev_b32 v191, 24, v168 :: v_dual_lshrrev_b32 v192, 16, v168
	v_lshrrev_b16 v172, 8, v168
	s_delay_alu instid0(VALU_DEP_4) | instskip(SKIP_1) | instid1(VALU_DEP_4)
	v_lshrrev_b32_e32 v190, 16, v166
	v_lshrrev_b16 v189, 8, v166
	v_sub_nc_u16 v165, v165, v191
	v_lshrrev_b32_e32 v191, 16, v169
	s_delay_alu instid0(VALU_DEP_4) | instskip(SKIP_1) | instid1(VALU_DEP_4)
	v_sub_nc_u16 v239, v190, v192
	v_sub_nc_u16 v190, v166, v168
	v_lshlrev_b16 v165, 8, v165
	s_delay_alu instid0(VALU_DEP_1) | instskip(SKIP_3) | instid1(VALU_DEP_3)
	v_bitop3_b16 v240, v239, v165, 0xff bitop3:0xec
	v_sub_nc_u16 v165, v189, v172
	v_lshrrev_b32_e32 v189, 24, v169
	v_lshrrev_b16 v172, 8, v169
	v_lshlrev_b16 v241, 8, v165
	v_ashrrev_i32_e32 v165, s20, v167
	s_delay_alu instid0(VALU_DEP_1) | instskip(SKIP_1) | instid1(VALU_DEP_2)
	v_and_b32_e32 v166, 0x3030303, v165
	v_bfe_u32 v165, v165, 24, 2
	v_lshrrev_b32_e32 v168, 16, v166
	v_lshrrev_b16 v167, 8, v166
	s_delay_alu instid0(VALU_DEP_3)
	v_sub_nc_u16 v165, v165, v189
	v_sub_nc_u16 v189, v166, v169
	v_bfe_i32 v166, v173, 0, 8
	v_sub_nc_u16 v242, v168, v191
	v_add_nc_u32_e32 v191, s22, v55
	v_lshlrev_b16 v165, 8, v165
	s_delay_alu instid0(VALU_DEP_4) | instskip(NEXT) | instid1(VALU_DEP_2)
	v_mul_i32_i24_e32 v168, v166, v224
	v_bitop3_b16 v243, v242, v165, 0xff bitop3:0xec
	v_sub_nc_u16 v165, v167, v172
	v_bfe_i32 v167, v170, 8, 8
	v_bfe_i32 v172, v231, 8, 8
	;; [unrolled: 1-line block ×3, first 2 shown]
	s_delay_alu instid0(VALU_DEP_4) | instskip(NEXT) | instid1(VALU_DEP_4)
	v_lshlrev_b16 v244, 8, v165
	v_mad_i32_i24 v169, v167, v225, v168
	v_perm_b32 v168, v174, v171, 0xc0c0500
	v_add3_u32 v165, s23, v163, v138
	v_bfe_i32 v171, v228, 8, 8
	s_delay_alu instid0(VALU_DEP_3)
	v_dot4_i32_iu8 v0, v168, v245, v169 neg_lo:[1,1,0]
	v_bfe_i32 v169, v180, 0, 8
	v_mul_i32_i24_e32 v180, v208, v172
	v_perm_b32 v172, v176, v177, 0xc05000c
	ds_load_b32 v165, v165
	v_mul_i32_i24_e32 v174, v206, v171
	v_bfe_i32 v171, v181, 0, 8
	v_mad_i32_i24 v0, v170, v222, v0
	v_or_b32_e32 v172, v172, v175
	v_mul_i32_i24_e32 v173, v218, v169
	v_bfe_i32 v175, v179, 8, 8
	v_mul_i32_i24_e32 v178, v207, v171
	v_bfe_i32 v179, v241, 8, 8
	v_dot4_i32_iu8 v0, v172, v209, v0 neg_lo:[1,1,0]
	s_delay_alu instid0(VALU_DEP_1)
	v_add3_u32 v0, v0, v173, v174
	v_perm_b32 v173, v227, v226, 0xc0c0500
	v_bfe_i32 v174, v183, 0, 8
	v_mul_i32_i24_e32 v183, v214, v179
	v_bfe_i32 v179, v189, 0, 8
	v_perm_b32 v226, v227, v226, 0xc05000c
	v_perm_b32 v227, v228, v228, 0xc0c0c01
	v_dot4_i32_iu8 v0, v210, v173, v0 neg_lo:[1,1,0]
	v_mul_i32_i24_e32 v176, v174, v219
	v_perm_b32 v173, v230, v229, 0xc0c0500
	s_delay_alu instid0(VALU_DEP_4)
	v_or_b32_e32 v228, v226, v227
	v_perm_b32 v227, v230, v229, 0xc05000c
	v_perm_b32 v229, v231, v231, 0xc0c0c01
	v_add3_u32 v0, v0, v178, v180
	v_mad_i32_i24 v177, v175, v220, v176
	v_perm_b32 v176, v184, v182, 0xc0c0500
	v_bfe_i32 v180, v244, 8, 8
	v_bfe_i32 v178, v188, 0, 8
	v_mul_i32_i24_e32 v184, v199, v179
	v_or_b32_e32 v229, v227, v229
	v_dot4_i32_iu8 v0, v211, v173, v0 neg_lo:[1,1,0]
	ds_load_u16 v173, v191
	v_dot4_i32_iu8 v4, v176, v246, v177 neg_lo:[1,1,0]
	v_mul_i32_i24_e32 v188, v217, v180
	v_perm_b32 v180, v186, v187, 0xc05000c
	v_bfe_i32 v177, v190, 0, 8
	s_delay_alu instid0(VALU_DEP_4) | instskip(NEXT) | instid1(VALU_DEP_3)
	v_mad_i32_i24 v4, v178, v215, v4
	v_or_b32_e32 v180, v180, v185
	s_delay_alu instid0(VALU_DEP_3) | instskip(NEXT) | instid1(VALU_DEP_2)
	v_mul_i32_i24_e32 v182, v114, v177
	v_dot4_i32_iu8 v4, v180, v221, v4 neg_lo:[1,1,0]
	s_delay_alu instid0(VALU_DEP_1) | instskip(SKIP_4) | instid1(VALU_DEP_3)
	v_add3_u32 v4, v4, v182, v183
	v_perm_b32 v182, v240, v239, 0xc0c0500
	s_wait_dscnt 0x0
	v_lshrrev_b16 v181, 8, v173
	v_bfe_i32 v173, v173, 0, 8
	v_dot4_i32_iu8 v4, v232, v182, v4 neg_lo:[1,1,0]
	v_perm_b32 v182, v243, v242, 0xc0c0500
	s_delay_alu instid0(VALU_DEP_3) | instskip(SKIP_1) | instid1(VALU_DEP_4)
	v_mul_lo_u32 v0, v0, v173
	v_bfe_i32 v181, v181, 0, 8
	v_add3_u32 v4, v4, v184, v188
	v_add3_u32 v188, s21, v139, v130
	s_delay_alu instid0(VALU_DEP_2) | instskip(SKIP_3) | instid1(VALU_DEP_2)
	v_dot4_i32_iu8 v4, v233, v182, v4 neg_lo:[1,1,0]
	ds_load_2addr_b32 v[184:185], v188 offset1:1
	v_mad_u32 v0, v4, v181, v0
	v_mul_f32_e32 v4, v115, v165
	v_cvt_f32_i32_e32 v0, v0
	s_delay_alu instid0(VALU_DEP_1)
	v_mul_f32_e32 v4, v4, v0
	v_add_nc_u32_e32 v0, 0x1080, v237
	s_wait_dscnt 0x0
	v_ashrrev_i32_e32 v185, s19, v185
	ds_load_2addr_b32 v[182:183], v0 offset1:1
	v_dual_ashrrev_i32 v184, s19, v184 :: v_dual_lshlrev_b32 v185, 2, v185
	s_delay_alu instid0(VALU_DEP_1) | instskip(NEXT) | instid1(VALU_DEP_2)
	v_lshlrev_b32_e32 v184, 2, v184
	v_and_b32_e32 v185, 0x4040404, v185
	s_delay_alu instid0(VALU_DEP_2) | instskip(NEXT) | instid1(VALU_DEP_2)
	v_and_b32_e32 v184, 0x4040404, v184
	v_dual_lshrrev_b32 v192, 24, v185 :: v_dual_lshrrev_b32 v193, 16, v185
	s_delay_alu instid0(VALU_DEP_2) | instskip(SKIP_3) | instid1(VALU_DEP_1)
	v_lshrrev_b16 v189, 8, v184
	v_dual_lshrrev_b32 v190, 24, v184 :: v_dual_lshrrev_b32 v191, 16, v184
	s_wait_dscnt 0x0
	v_ashrrev_i32_e32 v0, s20, v182
	v_and_b32_e32 v182, 0x3030303, v0
	v_bfe_u32 v0, v0, 24, 2
	s_delay_alu instid0(VALU_DEP_2) | instskip(SKIP_1) | instid1(VALU_DEP_3)
	v_lshrrev_b16 v186, 8, v182
	v_lshrrev_b32_e32 v187, 16, v182
	v_sub_nc_u16 v0, v0, v190
	s_delay_alu instid0(VALU_DEP_3)
	v_sub_nc_u16 v186, v186, v189
	v_sub_nc_u16 v189, v182, v184
	v_ashrrev_i32_e32 v182, s20, v183
	v_sub_nc_u16 v187, v187, v191
	v_lshrrev_b16 v191, 8, v185
	v_lshlrev_b16 v0, 8, v0
	v_lshlrev_b16 v186, 8, v186
	v_and_b32_e32 v183, 0x3030303, v182
	v_bfe_u32 v182, v182, 24, 2
	s_delay_alu instid0(VALU_DEP_4) | instskip(NEXT) | instid1(VALU_DEP_3)
	v_bitop3_b16 v0, v187, v0, 0xff bitop3:0xec
	v_lshrrev_b32_e32 v190, 16, v183
	s_delay_alu instid0(VALU_DEP_3) | instskip(SKIP_1) | instid1(VALU_DEP_3)
	v_sub_nc_u16 v182, v182, v192
	v_lshrrev_b16 v184, 8, v183
	v_sub_nc_u16 v190, v190, v193
	s_delay_alu instid0(VALU_DEP_3) | instskip(SKIP_1) | instid1(VALU_DEP_2)
	v_lshlrev_b16 v182, 8, v182
	v_sub_nc_u16 v193, v183, v185
	v_bitop3_b16 v192, v190, v182, 0xff bitop3:0xec
	v_sub_nc_u16 v182, v184, v191
	ds_load_2addr_b32 v[184:185], v188 offset0:2 offset1:3
	v_lshlrev_b16 v191, 8, v182
	v_add_nc_u32_e32 v182, 0x1088, v237
	ds_load_2addr_b32 v[182:183], v182 offset1:1
	s_wait_dscnt 0x1
	v_dual_ashrrev_i32 v184, s19, v184 :: v_dual_ashrrev_i32 v185, s19, v185
	s_delay_alu instid0(VALU_DEP_1) | instskip(SKIP_2) | instid1(VALU_DEP_2)
	v_dual_lshlrev_b32 v184, 2, v184 :: v_dual_lshlrev_b32 v185, 2, v185
	s_wait_dscnt 0x0
	v_ashrrev_i32_e32 v182, s20, v182
	v_and_b32_e32 v184, 0x4040404, v184
	s_delay_alu instid0(VALU_DEP_3) | instskip(NEXT) | instid1(VALU_DEP_3)
	v_and_b32_e32 v185, 0x4040404, v185
	v_and_b32_e32 v194, 0x3030303, v182
	v_bfe_u32 v182, v182, 24, 2
	s_delay_alu instid0(VALU_DEP_4) | instskip(SKIP_1) | instid1(VALU_DEP_4)
	v_dual_lshrrev_b32 v198, 24, v184 :: v_dual_lshrrev_b32 v200, 16, v184
	v_lshrrev_b16 v197, 8, v184
	v_lshrrev_b32_e32 v196, 16, v194
	v_lshrrev_b16 v195, 8, v194
	v_sub_nc_u16 v194, v194, v184
	v_sub_nc_u16 v182, v182, v198
	v_lshrrev_b32_e32 v198, 16, v185
	v_sub_nc_u16 v247, v196, v200
	v_lshrrev_b16 v196, 8, v185
	s_delay_alu instid0(VALU_DEP_4) | instskip(NEXT) | instid1(VALU_DEP_1)
	v_lshlrev_b16 v182, 8, v182
	v_bitop3_b16 v248, v247, v182, 0xff bitop3:0xec
	v_sub_nc_u16 v182, v195, v197
	v_lshrrev_b32_e32 v197, 24, v185
	s_delay_alu instid0(VALU_DEP_2) | instskip(SKIP_1) | instid1(VALU_DEP_1)
	v_lshlrev_b16 v249, 8, v182
	v_ashrrev_i32_e32 v182, s20, v183
	v_and_b32_e32 v183, 0x3030303, v182
	v_bfe_u32 v182, v182, 24, 2
	s_delay_alu instid0(VALU_DEP_2) | instskip(NEXT) | instid1(VALU_DEP_2)
	v_lshrrev_b32_e32 v195, 16, v183
	v_sub_nc_u16 v182, v182, v197
	v_lshrrev_b16 v184, 8, v183
	s_delay_alu instid0(VALU_DEP_3) | instskip(NEXT) | instid1(VALU_DEP_3)
	v_sub_nc_u16 v250, v195, v198
	v_lshlrev_b16 v182, 8, v182
	v_sub_nc_u16 v195, v183, v185
	s_delay_alu instid0(VALU_DEP_2)
	v_bitop3_b16 v251, v250, v182, 0xff bitop3:0xec
	v_sub_nc_u16 v182, v184, v196
	ds_load_2addr_b32 v[184:185], v188 offset0:4 offset1:5
	v_lshlrev_b16 v252, 8, v182
	v_add_nc_u32_e32 v182, 0x1090, v237
	ds_load_2addr_b32 v[182:183], v182 offset1:1
	s_wait_dscnt 0x1
	v_dual_ashrrev_i32 v184, s19, v184 :: v_dual_ashrrev_i32 v185, s19, v185
	s_delay_alu instid0(VALU_DEP_1) | instskip(SKIP_2) | instid1(VALU_DEP_2)
	v_dual_lshlrev_b32 v184, 2, v184 :: v_dual_lshlrev_b32 v185, 2, v185
	s_wait_dscnt 0x0
	v_ashrrev_i32_e32 v182, s20, v182
	v_and_b32_e32 v184, 0x4040404, v184
	s_delay_alu instid0(VALU_DEP_3) | instskip(NEXT) | instid1(VALU_DEP_3)
	v_and_b32_e32 v185, 0x4040404, v185
	v_and_b32_e32 v196, 0x3030303, v182
	v_bfe_u32 v182, v182, 24, 2
	s_delay_alu instid0(VALU_DEP_4) | instskip(SKIP_1) | instid1(VALU_DEP_4)
	v_dual_lshrrev_b32 v201, 24, v184 :: v_dual_lshrrev_b32 v202, 16, v184
	v_lshrrev_b16 v200, 8, v184
	v_lshrrev_b32_e32 v198, 16, v196
	v_lshrrev_b16 v197, 8, v196
	v_dual_lshrrev_b32 v203, 24, v185 :: v_dual_lshrrev_b32 v204, 16, v185
	v_sub_nc_u16 v196, v196, v184
	v_sub_nc_u16 v182, v182, v201
	;; [unrolled: 1-line block ×3, first 2 shown]
	v_lshrrev_b16 v202, 8, v185
	s_delay_alu instid0(VALU_DEP_3) | instskip(NEXT) | instid1(VALU_DEP_1)
	v_lshlrev_b16 v182, 8, v182
	v_bitop3_b16 v201, v198, v182, 0xff bitop3:0xec
	v_sub_nc_u16 v182, v197, v200
	s_delay_alu instid0(VALU_DEP_1) | instskip(SKIP_1) | instid1(VALU_DEP_1)
	v_lshlrev_b16 v197, 8, v182
	v_ashrrev_i32_e32 v182, s20, v183
	v_and_b32_e32 v183, 0x3030303, v182
	v_bfe_u32 v182, v182, 24, 2
	s_delay_alu instid0(VALU_DEP_2) | instskip(NEXT) | instid1(VALU_DEP_2)
	v_lshrrev_b32_e32 v200, 16, v183
	v_sub_nc_u16 v182, v182, v203
	v_lshrrev_b16 v184, 8, v183
	s_delay_alu instid0(VALU_DEP_3) | instskip(NEXT) | instid1(VALU_DEP_3)
	v_sub_nc_u16 v200, v200, v204
	v_lshlrev_b16 v182, 8, v182
	v_sub_nc_u16 v204, v183, v185
	s_delay_alu instid0(VALU_DEP_2)
	v_bitop3_b16 v203, v200, v182, 0xff bitop3:0xec
	v_sub_nc_u16 v182, v184, v202
	ds_load_2addr_b32 v[184:185], v188 offset0:6 offset1:7
	v_lshlrev_b16 v202, 8, v182
	v_add_nc_u32_e32 v182, 0x1098, v237
	ds_load_2addr_b32 v[182:183], v182 offset1:1
	s_wait_dscnt 0x1
	v_dual_ashrrev_i32 v184, s19, v184 :: v_dual_ashrrev_i32 v185, s19, v185
	s_delay_alu instid0(VALU_DEP_1) | instskip(SKIP_2) | instid1(VALU_DEP_2)
	v_dual_lshlrev_b32 v184, 2, v184 :: v_dual_lshlrev_b32 v185, 2, v185
	s_wait_dscnt 0x0
	v_ashrrev_i32_e32 v182, s20, v182
	v_and_b32_e32 v185, 0x4040404, v185
	s_delay_alu instid0(VALU_DEP_3) | instskip(NEXT) | instid1(VALU_DEP_3)
	v_and_b32_e32 v184, 0x4040404, v184
	v_and_b32_e32 v205, 0x3030303, v182
	v_bfe_u32 v182, v182, 24, 2
	s_delay_alu instid0(VALU_DEP_3) | instskip(SKIP_1) | instid1(VALU_DEP_4)
	v_dual_lshrrev_b32 v234, 24, v184 :: v_dual_lshrrev_b32 v235, 16, v184
	v_lshrrev_b16 v188, 8, v184
	v_lshrrev_b32_e32 v213, 16, v205
	v_lshrrev_b16 v212, 8, v205
	v_sub_nc_u16 v205, v205, v184
	v_sub_nc_u16 v182, v182, v234
	v_lshrrev_b32_e32 v234, 16, v185
	v_sub_nc_u16 v253, v213, v235
	v_lshrrev_b32_e32 v213, 24, v185
	s_delay_alu instid0(VALU_DEP_4) | instskip(NEXT) | instid1(VALU_DEP_1)
	v_lshlrev_b16 v182, 8, v182
	v_bitop3_b16 v254, v253, v182, 0xff bitop3:0xec
	v_sub_nc_u16 v182, v212, v188
	v_lshrrev_b16 v212, 8, v185
	s_delay_alu instid0(VALU_DEP_2) | instskip(SKIP_1) | instid1(VALU_DEP_1)
	v_lshlrev_b16 v255, 8, v182
	v_ashrrev_i32_e32 v182, s20, v183
	v_and_b32_e32 v183, 0x3030303, v182
	s_delay_alu instid0(VALU_DEP_1) | instskip(SKIP_3) | instid1(VALU_DEP_3)
	v_lshrrev_b32_e32 v188, 16, v183
	v_bfe_u32 v182, v182, 24, 2
	v_lshrrev_b16 v184, 8, v183
	s_set_vgpr_msb 64                       ;  msbs: dst=1 src0=0 src1=0 src2=0
	v_sub_nc_u16 v0 /*v256*/, v188, v234
	s_set_vgpr_msb 0                        ;  msbs: dst=0 src0=0 src1=0 src2=0
	v_sub_nc_u16 v182, v182, v213
	v_sub_nc_u16 v213, v183, v185
	v_bfe_i32 v183, v189, 0, 8
	v_bfe_i32 v189, v252, 8, 8
	;; [unrolled: 1-line block ×3, first 2 shown]
	v_lshlrev_b16 v182, 8, v182
	s_delay_alu instid0(VALU_DEP_4) | instskip(NEXT) | instid1(VALU_DEP_4)
	v_mul_i32_i24_e32 v185, v183, v224
	v_mul_i32_i24_e32 v234, v208, v189
	v_perm_b32 v189, v192, v190, 0xc05000c
	v_perm_b32 v190, v191, v191, 0xc0c0c01
	v_bfe_i32 v191, v196, 0, 8
	v_bfe_i32 v192, v197, 8, 8
	;; [unrolled: 1-line block ×3, first 2 shown]
	s_set_vgpr_msb 0x41                     ;  msbs: dst=1 src0=1 src1=0 src2=0
	v_bitop3_b16 v1 /*v257*/, v0 /*v256*/, v182, 0xff bitop3:0xec
	s_set_vgpr_msb 0                        ;  msbs: dst=0 src0=0 src1=0 src2=0
	v_sub_nc_u16 v182, v184, v212
	v_bfe_i32 v184, v186, 8, 8
	v_or_b32_e32 v189, v189, v190
	v_perm_b32 v190, v248, v247, 0xc0c0500
	s_set_vgpr_msb 64                       ;  msbs: dst=1 src0=0 src1=0 src2=0
	v_lshlrev_b16 v2 /*v258*/, 8, v182
	s_set_vgpr_msb 0                        ;  msbs: dst=0 src0=0 src1=0 src2=0
	v_mad_i32_i24 v186, v184, v225, v185
	v_perm_b32 v185, v0, v187, 0xc0c0500
	v_bfe_i32 v187, v194, 0, 8
	v_mul_i32_i24_e32 v194, v206, v188
	v_bfe_i32 v188, v195, 0, 8
	v_add3_u32 v182, s23, v140, v131
	v_dot4_i32_iu8 v0, v185, v245, v186 neg_lo:[1,1,0]
	v_bfe_i32 v186, v193, 0, 8
	v_mul_i32_i24_e32 v193, v218, v187
	v_mul_i32_i24_e32 v195, v207, v188
	ds_load_b32 v182, v182
	v_add_nc_u32_e32 v212, s22, v57
	v_mad_i32_i24 v0, v186, v222, v0
	s_delay_alu instid0(VALU_DEP_1) | instskip(NEXT) | instid1(VALU_DEP_1)
	v_dot4_i32_iu8 v0, v189, v209, v0 neg_lo:[1,1,0]
	v_add3_u32 v0, v0, v193, v194
	v_mul_i32_i24_e32 v193, v191, v219
	s_delay_alu instid0(VALU_DEP_2) | instskip(NEXT) | instid1(VALU_DEP_2)
	v_dot4_i32_iu8 v0, v210, v190, v0 neg_lo:[1,1,0]
	v_mad_i32_i24 v194, v192, v220, v193
	v_perm_b32 v193, v201, v198, 0xc0c0500
	v_perm_b32 v190, v251, v250, 0xc0c0500
	v_mul_i32_i24_e32 v201, v214, v196
	v_bfe_i32 v196, v213, 0, 8
	v_add3_u32 v0, v0, v195, v234
	v_dot4_i32_iu8 v197, v193, v246, v194 neg_lo:[1,1,0]
	v_bfe_i32 v194, v204, 0, 8
	v_bfe_i32 v195, v205, 0, 8
	s_set_vgpr_msb 1                        ;  msbs: dst=0 src0=1 src1=0 src2=0
	v_bfe_i32 v204, v2 /*v258*/, 8, 8
	s_set_vgpr_msb 0                        ;  msbs: dst=0 src0=0 src1=0 src2=0
	v_mul_i32_i24_e32 v205, v199, v196
	v_dot4_i32_iu8 v0, v211, v190, v0 neg_lo:[1,1,0]
	ds_load_u16 v190, v212
	v_mad_i32_i24 v213, v194, v215, v197
	v_perm_b32 v197, v203, v200, 0xc05000c
	v_perm_b32 v200, v202, v202, 0xc0c0c01
	v_mul_i32_i24_e32 v198, v114, v195
	v_mul_i32_i24_e32 v204, v217, v204
	s_delay_alu instid0(VALU_DEP_3) | instskip(NEXT) | instid1(VALU_DEP_1)
	v_or_b32_e32 v197, v197, v200
	v_dot4_i32_iu8 v200, v197, v221, v213 neg_lo:[1,1,0]
	s_delay_alu instid0(VALU_DEP_1) | instskip(SKIP_4) | instid1(VALU_DEP_3)
	v_add3_u32 v198, v200, v198, v201
	v_perm_b32 v200, v254, v253, 0xc0c0500
	s_wait_dscnt 0x0
	v_lshrrev_b16 v212, 8, v190
	v_bfe_i32 v190, v190, 0, 8
	v_dot4_i32_iu8 v198, v232, v200, v198 neg_lo:[1,1,0]
	s_set_vgpr_msb 5                        ;  msbs: dst=0 src0=1 src1=1 src2=0
	v_perm_b32 v200, v1 /*v257*/, v0 /*v256*/, 0xc0c0500
	s_set_vgpr_msb 0                        ;  msbs: dst=0 src0=0 src1=0 src2=0
	v_mul_lo_u32 v0, v0, v190
	v_add3_u32 v198, v198, v205, v204
	s_delay_alu instid0(VALU_DEP_1) | instskip(SKIP_2) | instid1(VALU_DEP_2)
	v_dot4_i32_iu8 v200, v233, v200, v198 neg_lo:[1,1,0]
	v_bfe_i32 v198, v212, 0, 8
	v_add3_u32 v212, s21, v141, v132
	v_mad_u32 v0, v200, v198, v0
	v_mul_f32_e32 v200, v115, v182
	ds_load_2addr_b32 v[202:203], v212 offset1:1
	v_cvt_f32_i32_e32 v0, v0
	s_delay_alu instid0(VALU_DEP_1) | instskip(SKIP_4) | instid1(VALU_DEP_1)
	v_mul_f32_e32 v236, v200, v0
	v_add_nc_u32_e32 v0, 0x2100, v237
	ds_load_2addr_b32 v[200:201], v0 offset1:1
	s_wait_dscnt 0x1
	v_dual_ashrrev_i32 v202, s19, v202 :: v_dual_ashrrev_i32 v203, s19, v203
	v_dual_lshlrev_b32 v202, 2, v202 :: v_dual_lshlrev_b32 v203, 2, v203
	s_delay_alu instid0(VALU_DEP_1) | instskip(NEXT) | instid1(VALU_DEP_2)
	v_and_b32_e32 v202, 0x4040404, v202
	v_and_b32_e32 v203, 0x4040404, v203
	s_delay_alu instid0(VALU_DEP_2) | instskip(SKIP_2) | instid1(VALU_DEP_3)
	v_lshrrev_b16 v213, 8, v202
	v_dual_lshrrev_b32 v234, 24, v202 :: v_dual_lshrrev_b32 v235, 16, v202
	s_wait_dscnt 0x0
	v_dual_lshrrev_b32 v238, 24, v203 :: v_dual_ashrrev_i32 v0, s20, v200
	s_set_vgpr_msb 64                       ;  msbs: dst=1 src0=0 src1=0 src2=0
	v_lshrrev_b32_e32 v3 /*v259*/, 16, v203
	s_set_vgpr_msb 0                        ;  msbs: dst=0 src0=0 src1=0 src2=0
	s_delay_alu instid0(VALU_DEP_2) | instskip(NEXT) | instid1(VALU_DEP_1)
	v_and_b32_e32 v200, 0x3030303, v0
	v_lshrrev_b16 v204, 8, v200
	v_lshrrev_b32_e32 v205, 16, v200
	v_bfe_u32 v0, v0, 24, 2
	s_delay_alu instid0(VALU_DEP_3) | instskip(SKIP_2) | instid1(VALU_DEP_4)
	v_sub_nc_u16 v204, v204, v213
	v_sub_nc_u16 v213, v200, v202
	v_ashrrev_i32_e32 v200, s20, v201
	v_sub_nc_u16 v0, v0, v234
	v_sub_nc_u16 v205, v205, v235
	v_lshrrev_b16 v235, 8, v203
	v_lshlrev_b16 v204, 8, v204
	v_and_b32_e32 v201, 0x3030303, v200
	v_bfe_u32 v200, v200, 24, 2
	v_lshlrev_b16 v0, 8, v0
	s_delay_alu instid0(VALU_DEP_3) | instskip(SKIP_1) | instid1(VALU_DEP_3)
	v_lshrrev_b32_e32 v234, 16, v201
	v_lshrrev_b16 v202, 8, v201
	v_bitop3_b16 v0, v205, v0, 0xff bitop3:0xec
	v_sub_nc_u16 v200, v200, v238
	s_set_vgpr_msb 4                        ;  msbs: dst=0 src0=0 src1=1 src2=0
	v_sub_nc_u16 v234, v234, v3 /*v259*/
	s_set_vgpr_msb 64                       ;  msbs: dst=1 src0=0 src1=0 src2=0
	v_sub_nc_u16 v3 /*v259*/, v201, v203
	s_set_vgpr_msb 0                        ;  msbs: dst=0 src0=0 src1=0 src2=0
	v_lshlrev_b16 v200, 8, v200
	s_delay_alu instid0(VALU_DEP_1)
	v_bitop3_b16 v238, v234, v200, 0xff bitop3:0xec
	v_sub_nc_u16 v200, v202, v235
	ds_load_2addr_b32 v[202:203], v212 offset0:2 offset1:3
	v_lshlrev_b16 v235, 8, v200
	v_add_nc_u32_e32 v200, 0x2108, v237
	ds_load_2addr_b32 v[200:201], v200 offset1:1
	s_wait_dscnt 0x1
	v_dual_ashrrev_i32 v202, s19, v202 :: v_dual_ashrrev_i32 v203, s19, v203
	s_delay_alu instid0(VALU_DEP_1) | instskip(SKIP_2) | instid1(VALU_DEP_2)
	v_dual_lshlrev_b32 v202, 2, v202 :: v_dual_lshlrev_b32 v203, 2, v203
	s_wait_dscnt 0x0
	v_ashrrev_i32_e32 v200, s20, v200
	v_and_b32_e32 v202, 0x4040404, v202
	s_delay_alu instid0(VALU_DEP_3) | instskip(SKIP_1) | instid1(VALU_DEP_3)
	v_and_b32_e32 v203, 0x4040404, v203
	s_set_vgpr_msb 64                       ;  msbs: dst=1 src0=0 src1=0 src2=0
	v_and_b32_e32 v4 /*v260*/, 0x3030303, v200
	s_set_vgpr_msb 0                        ;  msbs: dst=0 src0=0 src1=0 src2=0
	v_bfe_u32 v200, v200, 24, 2
	s_set_vgpr_msb 64                       ;  msbs: dst=1 src0=0 src1=0 src2=0
	v_dual_lshrrev_b32 v8 /*v264*/, 24, v202 :: v_dual_lshrrev_b32 v9 /*v265*/, 16, v202
	v_lshrrev_b16 v7 /*v263*/, 8, v202
	s_set_vgpr_msb 0x44                     ;  msbs: dst=1 src0=0 src1=1 src2=0
	v_lshrrev_b32_e32 v6 /*v262*/, 16, v4 /*v260*/
	v_lshrrev_b16 v5 /*v261*/, 8, v4 /*v260*/
	s_set_vgpr_msb 0x41                     ;  msbs: dst=1 src0=1 src1=0 src2=0
	v_dual_lshrrev_b32 v10 /*v266*/, 24, v203 :: v_dual_lshrrev_b32 v11 /*v267*/, 16, v203
	v_sub_nc_u16 v4 /*v260*/, v4 /*v260*/, v202
	s_set_vgpr_msb 4                        ;  msbs: dst=0 src0=0 src1=1 src2=0
	v_sub_nc_u16 v200, v200, v8 /*v264*/
	s_set_vgpr_msb 0x45                     ;  msbs: dst=1 src0=1 src1=1 src2=0
	v_sub_nc_u16 v6 /*v262*/, v6 /*v262*/, v9 /*v265*/
	s_set_vgpr_msb 64                       ;  msbs: dst=1 src0=0 src1=0 src2=0
	v_lshrrev_b16 v9 /*v265*/, 8, v203
	s_set_vgpr_msb 0                        ;  msbs: dst=0 src0=0 src1=0 src2=0
	v_lshlrev_b16 v200, 8, v200
	s_set_vgpr_msb 0x41                     ;  msbs: dst=1 src0=1 src1=0 src2=0
	s_delay_alu instid0(VALU_DEP_1) | instskip(SKIP_3) | instid1(VALU_DEP_1)
	v_bitop3_b16 v8 /*v264*/, v6 /*v262*/, v200, 0xff bitop3:0xec
	s_set_vgpr_msb 5                        ;  msbs: dst=0 src0=1 src1=1 src2=0
	v_sub_nc_u16 v200, v5 /*v261*/, v7 /*v263*/
	s_set_vgpr_msb 64                       ;  msbs: dst=1 src0=0 src1=0 src2=0
	v_lshlrev_b16 v5 /*v261*/, 8, v200
	s_set_vgpr_msb 0                        ;  msbs: dst=0 src0=0 src1=0 src2=0
	v_ashrrev_i32_e32 v200, s20, v201
	s_delay_alu instid0(VALU_DEP_1) | instskip(SKIP_2) | instid1(VALU_DEP_2)
	v_and_b32_e32 v201, 0x3030303, v200
	v_bfe_u32 v200, v200, 24, 2
	s_set_vgpr_msb 64                       ;  msbs: dst=1 src0=0 src1=0 src2=0
	v_lshrrev_b32_e32 v7 /*v263*/, 16, v201
	s_set_vgpr_msb 4                        ;  msbs: dst=0 src0=0 src1=1 src2=0
	s_delay_alu instid0(VALU_DEP_2)
	v_sub_nc_u16 v200, v200, v10 /*v266*/
	s_set_vgpr_msb 0                        ;  msbs: dst=0 src0=0 src1=0 src2=0
	v_lshrrev_b16 v202, 8, v201
	s_set_vgpr_msb 0x45                     ;  msbs: dst=1 src0=1 src1=1 src2=0
	v_sub_nc_u16 v7 /*v263*/, v7 /*v263*/, v11 /*v267*/
	s_set_vgpr_msb 0                        ;  msbs: dst=0 src0=0 src1=0 src2=0
	v_lshlrev_b16 v200, 8, v200
	s_set_vgpr_msb 64                       ;  msbs: dst=1 src0=0 src1=0 src2=0
	v_sub_nc_u16 v11 /*v267*/, v201, v203
	s_set_vgpr_msb 0x41                     ;  msbs: dst=1 src0=1 src1=0 src2=0
	s_delay_alu instid0(VALU_DEP_2)
	v_bitop3_b16 v10 /*v266*/, v7 /*v263*/, v200, 0xff bitop3:0xec
	s_set_vgpr_msb 4                        ;  msbs: dst=0 src0=0 src1=1 src2=0
	v_sub_nc_u16 v200, v202, v9 /*v265*/
	ds_load_2addr_b32 v[202:203], v212 offset0:4 offset1:5
	s_set_vgpr_msb 64                       ;  msbs: dst=1 src0=0 src1=0 src2=0
	v_lshlrev_b16 v9 /*v265*/, 8, v200
	s_set_vgpr_msb 0                        ;  msbs: dst=0 src0=0 src1=0 src2=0
	v_add_nc_u32_e32 v200, 0x2110, v237
	ds_load_2addr_b32 v[200:201], v200 offset1:1
	s_wait_dscnt 0x1
	v_dual_ashrrev_i32 v202, s19, v202 :: v_dual_ashrrev_i32 v203, s19, v203
	s_delay_alu instid0(VALU_DEP_1) | instskip(SKIP_2) | instid1(VALU_DEP_2)
	v_dual_lshlrev_b32 v202, 2, v202 :: v_dual_lshlrev_b32 v203, 2, v203
	s_wait_dscnt 0x0
	v_ashrrev_i32_e32 v200, s20, v200
	v_and_b32_e32 v202, 0x4040404, v202
	s_delay_alu instid0(VALU_DEP_3) | instskip(SKIP_1) | instid1(VALU_DEP_3)
	v_and_b32_e32 v203, 0x4040404, v203
	s_set_vgpr_msb 64                       ;  msbs: dst=1 src0=0 src1=0 src2=0
	v_and_b32_e32 v12 /*v268*/, 0x3030303, v200
	s_set_vgpr_msb 0                        ;  msbs: dst=0 src0=0 src1=0 src2=0
	v_bfe_u32 v200, v200, 24, 2
	s_set_vgpr_msb 64                       ;  msbs: dst=1 src0=0 src1=0 src2=0
	v_dual_lshrrev_b32 v16 /*v272*/, 24, v202 :: v_dual_lshrrev_b32 v17 /*v273*/, 16, v202
	v_lshrrev_b16 v15 /*v271*/, 8, v202
	s_set_vgpr_msb 0x44                     ;  msbs: dst=1 src0=0 src1=1 src2=0
	v_lshrrev_b32_e32 v14 /*v270*/, 16, v12 /*v268*/
	v_lshrrev_b16 v13 /*v269*/, 8, v12 /*v268*/
	s_set_vgpr_msb 0x41                     ;  msbs: dst=1 src0=1 src1=0 src2=0
	v_lshrrev_b32_e32 v19 /*v275*/, 16, v203
	v_sub_nc_u16 v12 /*v268*/, v12 /*v268*/, v202
	s_set_vgpr_msb 4                        ;  msbs: dst=0 src0=0 src1=1 src2=0
	v_sub_nc_u16 v200, v200, v16 /*v272*/
	s_set_vgpr_msb 0x45                     ;  msbs: dst=1 src0=1 src1=1 src2=0
	v_sub_nc_u16 v14 /*v270*/, v14 /*v270*/, v17 /*v273*/
	s_set_vgpr_msb 64                       ;  msbs: dst=1 src0=0 src1=0 src2=0
	v_lshrrev_b16 v17 /*v273*/, 8, v203
	v_lshrrev_b32_e32 v18 /*v274*/, 24, v203
	s_set_vgpr_msb 0                        ;  msbs: dst=0 src0=0 src1=0 src2=0
	v_lshlrev_b16 v200, 8, v200
	s_set_vgpr_msb 0x41                     ;  msbs: dst=1 src0=1 src1=0 src2=0
	s_delay_alu instid0(VALU_DEP_1) | instskip(SKIP_3) | instid1(VALU_DEP_1)
	v_bitop3_b16 v16 /*v272*/, v14 /*v270*/, v200, 0xff bitop3:0xec
	s_set_vgpr_msb 5                        ;  msbs: dst=0 src0=1 src1=1 src2=0
	v_sub_nc_u16 v200, v13 /*v269*/, v15 /*v271*/
	s_set_vgpr_msb 64                       ;  msbs: dst=1 src0=0 src1=0 src2=0
	v_lshlrev_b16 v13 /*v269*/, 8, v200
	s_set_vgpr_msb 0                        ;  msbs: dst=0 src0=0 src1=0 src2=0
	v_ashrrev_i32_e32 v200, s20, v201
	s_delay_alu instid0(VALU_DEP_1) | instskip(SKIP_2) | instid1(VALU_DEP_2)
	v_and_b32_e32 v201, 0x3030303, v200
	v_bfe_u32 v200, v200, 24, 2
	s_set_vgpr_msb 64                       ;  msbs: dst=1 src0=0 src1=0 src2=0
	v_lshrrev_b32_e32 v15 /*v271*/, 16, v201
	s_set_vgpr_msb 0                        ;  msbs: dst=0 src0=0 src1=0 src2=0
	v_lshrrev_b16 v202, 8, v201
	s_set_vgpr_msb 4                        ;  msbs: dst=0 src0=0 src1=1 src2=0
	v_sub_nc_u16 v200, v200, v18 /*v274*/
	s_set_vgpr_msb 0x45                     ;  msbs: dst=1 src0=1 src1=1 src2=0
	v_sub_nc_u16 v15 /*v271*/, v15 /*v271*/, v19 /*v275*/
	s_set_vgpr_msb 64                       ;  msbs: dst=1 src0=0 src1=0 src2=0
	v_sub_nc_u16 v19 /*v275*/, v201, v203
	s_set_vgpr_msb 0                        ;  msbs: dst=0 src0=0 src1=0 src2=0
	v_lshlrev_b16 v200, 8, v200
	s_set_vgpr_msb 0x41                     ;  msbs: dst=1 src0=1 src1=0 src2=0
	s_delay_alu instid0(VALU_DEP_1)
	v_bitop3_b16 v18 /*v274*/, v15 /*v271*/, v200, 0xff bitop3:0xec
	s_set_vgpr_msb 4                        ;  msbs: dst=0 src0=0 src1=1 src2=0
	v_sub_nc_u16 v200, v202, v17 /*v273*/
	ds_load_2addr_b32 v[202:203], v212 offset0:6 offset1:7
	s_set_vgpr_msb 64                       ;  msbs: dst=1 src0=0 src1=0 src2=0
	v_lshlrev_b16 v17 /*v273*/, 8, v200
	s_set_vgpr_msb 0                        ;  msbs: dst=0 src0=0 src1=0 src2=0
	v_add_nc_u32_e32 v200, 0x2118, v237
	ds_load_2addr_b32 v[200:201], v200 offset1:1
	s_wait_dscnt 0x1
	v_dual_ashrrev_i32 v202, s19, v202 :: v_dual_ashrrev_i32 v203, s19, v203
	s_delay_alu instid0(VALU_DEP_1) | instskip(SKIP_2) | instid1(VALU_DEP_2)
	v_dual_lshlrev_b32 v202, 2, v202 :: v_dual_lshlrev_b32 v203, 2, v203
	s_wait_dscnt 0x0
	v_ashrrev_i32_e32 v200, s20, v200
	v_and_b32_e32 v202, 0x4040404, v202
	s_delay_alu instid0(VALU_DEP_3) | instskip(SKIP_1) | instid1(VALU_DEP_3)
	v_and_b32_e32 v203, 0x4040404, v203
	s_set_vgpr_msb 64                       ;  msbs: dst=1 src0=0 src1=0 src2=0
	v_and_b32_e32 v20 /*v276*/, 0x3030303, v200
	s_set_vgpr_msb 0                        ;  msbs: dst=0 src0=0 src1=0 src2=0
	v_bfe_u32 v200, v200, 24, 2
	s_set_vgpr_msb 64                       ;  msbs: dst=1 src0=0 src1=0 src2=0
	v_dual_lshrrev_b32 v23 /*v279*/, 24, v202 :: v_dual_lshrrev_b32 v24 /*v280*/, 16, v202
	v_lshrrev_b32_e32 v25 /*v281*/, 24, v203
	s_set_vgpr_msb 0x44                     ;  msbs: dst=1 src0=0 src1=1 src2=0
	v_lshrrev_b32_e32 v22 /*v278*/, 16, v20 /*v276*/
	v_lshrrev_b16 v21 /*v277*/, 8, v20 /*v276*/
	s_set_vgpr_msb 0                        ;  msbs: dst=0 src0=0 src1=0 src2=0
	v_lshrrev_b16 v212, 8, v202
	s_set_vgpr_msb 0x41                     ;  msbs: dst=1 src0=1 src1=0 src2=0
	v_sub_nc_u16 v20 /*v276*/, v20 /*v276*/, v202
	v_lshrrev_b32_e32 v26 /*v282*/, 16, v203
	s_set_vgpr_msb 4                        ;  msbs: dst=0 src0=0 src1=1 src2=0
	v_sub_nc_u16 v200, v200, v23 /*v279*/
	s_set_vgpr_msb 0x45                     ;  msbs: dst=1 src0=1 src1=1 src2=0
	v_sub_nc_u16 v22 /*v278*/, v22 /*v278*/, v24 /*v280*/
	s_set_vgpr_msb 64                       ;  msbs: dst=1 src0=0 src1=0 src2=0
	v_lshrrev_b16 v24 /*v280*/, 8, v203
	s_set_vgpr_msb 0                        ;  msbs: dst=0 src0=0 src1=0 src2=0
	v_lshlrev_b16 v200, 8, v200
	s_set_vgpr_msb 0x41                     ;  msbs: dst=1 src0=1 src1=0 src2=0
	s_delay_alu instid0(VALU_DEP_1) | instskip(SKIP_3) | instid1(VALU_DEP_1)
	v_bitop3_b16 v23 /*v279*/, v22 /*v278*/, v200, 0xff bitop3:0xec
	s_set_vgpr_msb 1                        ;  msbs: dst=0 src0=1 src1=0 src2=0
	v_sub_nc_u16 v200, v21 /*v277*/, v212
	s_set_vgpr_msb 64                       ;  msbs: dst=1 src0=0 src1=0 src2=0
	v_lshlrev_b16 v21 /*v277*/, 8, v200
	s_set_vgpr_msb 0                        ;  msbs: dst=0 src0=0 src1=0 src2=0
	v_ashrrev_i32_e32 v200, s20, v201
	s_delay_alu instid0(VALU_DEP_1) | instskip(SKIP_1) | instid1(VALU_DEP_2)
	v_and_b32_e32 v201, 0x3030303, v200
	v_bfe_u32 v200, v200, 24, 2
	v_lshrrev_b16 v202, 8, v201
	v_lshrrev_b32_e32 v212, 16, v201
	s_set_vgpr_msb 64                       ;  msbs: dst=1 src0=0 src1=0 src2=0
	v_sub_nc_u16 v27 /*v283*/, v201, v203
	s_set_vgpr_msb 0                        ;  msbs: dst=0 src0=0 src1=0 src2=0
	v_bfe_i32 v201, v213, 0, 8
	s_set_vgpr_msb 1                        ;  msbs: dst=0 src0=1 src1=0 src2=0
	v_bfe_i32 v213, v5 /*v261*/, 8, 8
	s_set_vgpr_msb 4                        ;  msbs: dst=0 src0=0 src1=1 src2=0
	v_sub_nc_u16 v200, v200, v25 /*v281*/
	s_set_vgpr_msb 0                        ;  msbs: dst=0 src0=0 src1=0 src2=0
	v_mul_i32_i24_e32 v203, v201, v224
	v_mul_i32_i24_e32 v213, v206, v213
	s_set_vgpr_msb 1                        ;  msbs: dst=0 src0=1 src1=0 src2=0
	v_bfe_i32 v206, v11 /*v267*/, 0, 8
	v_lshlrev_b16 v200, 8, v200
	s_set_vgpr_msb 64                       ;  msbs: dst=1 src0=0 src1=0 src2=0
	s_delay_alu instid0(VALU_DEP_2)
	v_mul_i32_i24_e32 v11 /*v267*/, v207, v206
	s_set_vgpr_msb 0                        ;  msbs: dst=0 src0=0 src1=0 src2=0
	v_perm_b32 v207, v238, v234, 0xc05000c
	v_perm_b32 v234, v235, v235, 0xc0c0c01
	s_set_vgpr_msb 1                        ;  msbs: dst=0 src0=1 src1=0 src2=0
	v_bfe_i32 v238, v21 /*v277*/, 8, 8
	s_set_vgpr_msb 0                        ;  msbs: dst=0 src0=0 src1=0 src2=0
	s_delay_alu instid0(VALU_DEP_2)
	v_or_b32_e32 v207, v207, v234
	s_set_vgpr_msb 0x44                     ;  msbs: dst=1 src0=0 src1=1 src2=0
	v_sub_nc_u16 v26 /*v282*/, v212, v26 /*v282*/
	s_set_vgpr_msb 0                        ;  msbs: dst=0 src0=0 src1=0 src2=0
	v_add_nc_u32_e32 v212, s22, v59
	v_mul_i32_i24_e32 v238, v214, v238
	s_set_vgpr_msb 1                        ;  msbs: dst=0 src0=1 src1=0 src2=0
	v_bfe_i32 v214, v27 /*v283*/, 0, 8
	s_set_vgpr_msb 0x41                     ;  msbs: dst=1 src0=1 src1=0 src2=0
	v_bitop3_b16 v25 /*v281*/, v26 /*v282*/, v200, 0xff bitop3:0xec
	s_set_vgpr_msb 4                        ;  msbs: dst=0 src0=0 src1=1 src2=0
	v_sub_nc_u16 v200, v202, v24 /*v280*/
	v_bfe_i32 v202, v204, 8, 8
	s_set_vgpr_msb 64                       ;  msbs: dst=1 src0=0 src1=0 src2=0
	s_delay_alu instid0(VALU_DEP_2) | instskip(SKIP_1) | instid1(VALU_DEP_2)
	v_lshlrev_b16 v24 /*v280*/, 8, v200
	s_set_vgpr_msb 0                        ;  msbs: dst=0 src0=0 src1=0 src2=0
	v_mad_i32_i24 v204, v202, v225, v203
	v_perm_b32 v203, v0, v205, 0xc0c0500
	s_set_vgpr_msb 1                        ;  msbs: dst=0 src0=1 src1=0 src2=0
	v_bfe_i32 v205, v4 /*v260*/, 0, 8
	s_set_vgpr_msb 0x41                     ;  msbs: dst=1 src0=1 src1=0 src2=0
	v_bfe_i32 v4 /*v260*/, v9 /*v265*/, 8, 8
	s_set_vgpr_msb 0                        ;  msbs: dst=0 src0=0 src1=0 src2=0
	v_add3_u32 v200, s23, v142, v133
	v_dot4_i32_iu8 v0, v203, v245, v204 neg_lo:[1,1,0]
	s_set_vgpr_msb 1                        ;  msbs: dst=0 src0=1 src1=0 src2=0
	v_bfe_i32 v204, v3 /*v259*/, 0, 8
	s_set_vgpr_msb 64                       ;  msbs: dst=1 src0=0 src1=0 src2=0
	v_mul_i32_i24_e32 v3 /*v259*/, v218, v205
	s_set_vgpr_msb 4                        ;  msbs: dst=0 src0=0 src1=1 src2=0
	v_mul_i32_i24_e32 v208, v208, v4 /*v260*/
	ds_load_b32 v200, v200
	s_set_vgpr_msb 0x41                     ;  msbs: dst=1 src0=1 src1=0 src2=0
	v_bfe_i32 v4 /*v260*/, v24 /*v280*/, 8, 8
	s_set_vgpr_msb 0                        ;  msbs: dst=0 src0=0 src1=0 src2=0
	v_mad_i32_i24 v0, v204, v222, v0
	s_set_vgpr_msb 0x44                     ;  msbs: dst=1 src0=0 src1=1 src2=0
	s_delay_alu instid0(VALU_DEP_2)
	v_mul_i32_i24_e32 v4 /*v260*/, v217, v4 /*v260*/
	s_set_vgpr_msb 5                        ;  msbs: dst=0 src0=1 src1=1 src2=0
	v_perm_b32 v217, v18 /*v274*/, v15 /*v271*/, 0xc05000c
	s_set_vgpr_msb 0                        ;  msbs: dst=0 src0=0 src1=0 src2=0
	v_dot4_i32_iu8 v0, v207, v209, v0 neg_lo:[1,1,0]
	s_set_vgpr_msb 5                        ;  msbs: dst=0 src0=1 src1=1 src2=0
	v_perm_b32 v209, v8 /*v264*/, v6 /*v262*/, 0xc0c0500
	s_set_vgpr_msb 4                        ;  msbs: dst=0 src0=0 src1=1 src2=0
	s_delay_alu instid0(VALU_DEP_2) | instskip(SKIP_3) | instid1(VALU_DEP_2)
	v_add3_u32 v0, v0, v3 /*v259*/, v213
	s_set_vgpr_msb 1                        ;  msbs: dst=0 src0=1 src1=0 src2=0
	v_bfe_i32 v213, v20 /*v276*/, 0, 8
	s_set_vgpr_msb 0                        ;  msbs: dst=0 src0=0 src1=0 src2=0
	v_dot4_i32_iu8 v0, v210, v209, v0 neg_lo:[1,1,0]
	s_set_vgpr_msb 1                        ;  msbs: dst=0 src0=1 src1=0 src2=0
	v_bfe_i32 v209, v12 /*v268*/, 0, 8
	v_bfe_i32 v210, v13 /*v269*/, 8, 8
	s_set_vgpr_msb 0x45                     ;  msbs: dst=1 src0=1 src1=1 src2=0
	v_perm_b32 v12 /*v268*/, v17 /*v273*/, v17 /*v273*/, 0xc0c0c01
	s_set_vgpr_msb 64                       ;  msbs: dst=1 src0=0 src1=0 src2=0
	v_mul_i32_i24_e32 v3 /*v259*/, v114, v213
	s_set_vgpr_msb 4                        ;  msbs: dst=0 src0=0 src1=1 src2=0
	v_add3_u32 v0, v0, v11 /*v267*/, v208
	s_set_vgpr_msb 5                        ;  msbs: dst=0 src0=1 src1=1 src2=0
	v_perm_b32 v208, v10 /*v266*/, v7 /*v263*/, 0xc0c0500
	s_set_vgpr_msb 64                       ;  msbs: dst=1 src0=0 src1=0 src2=0
	v_mul_i32_i24_e32 v11 /*v267*/, v199, v214
	s_set_vgpr_msb 4                        ;  msbs: dst=0 src0=0 src1=1 src2=0
	v_or_b32_e32 v217, v217, v12 /*v268*/
	s_set_vgpr_msb 0                        ;  msbs: dst=0 src0=0 src1=0 src2=0
	v_dot4_i32_iu8 v0, v211, v208, v0 neg_lo:[1,1,0]
	v_mul_i32_i24_e32 v211, v209, v219
	ds_load_u16 v208, v212
	v_mad_i32_i24 v212, v210, v220, v211
	s_set_vgpr_msb 5                        ;  msbs: dst=0 src0=1 src1=1 src2=0
	v_perm_b32 v211, v16 /*v272*/, v14 /*v270*/, 0xc0c0500
	s_set_vgpr_msb 0                        ;  msbs: dst=0 src0=0 src1=0 src2=0
	s_delay_alu instid0(VALU_DEP_1) | instskip(SKIP_3) | instid1(VALU_DEP_1)
	v_dot4_i32_iu8 v235, v211, v246, v212 neg_lo:[1,1,0]
	s_set_vgpr_msb 1                        ;  msbs: dst=0 src0=1 src1=0 src2=0
	v_bfe_i32 v212, v19 /*v275*/, 0, 8
	s_set_vgpr_msb 0                        ;  msbs: dst=0 src0=0 src1=0 src2=0
	v_mad_i32_i24 v235, v212, v215, v235
	s_wait_dscnt 0x0
	v_lshrrev_b16 v234, 8, v208
	s_delay_alu instid0(VALU_DEP_2)
	v_dot4_i32_iu8 v221, v217, v221, v235 neg_lo:[1,1,0]
	s_set_vgpr_msb 5                        ;  msbs: dst=0 src0=1 src1=1 src2=0
	v_perm_b32 v235, v23 /*v279*/, v22 /*v278*/, 0xc0c0500
	s_set_vgpr_msb 4                        ;  msbs: dst=0 src0=0 src1=1 src2=0
	v_bfe_i32 v208, v208, 0, 8
	v_add3_u32 v221, v221, v3 /*v259*/, v238
	s_set_vgpr_msb 0                        ;  msbs: dst=0 src0=0 src1=0 src2=0
	s_delay_alu instid0(VALU_DEP_2) | instskip(NEXT) | instid1(VALU_DEP_2)
	v_mul_lo_u32 v0, v0, v208
	v_dot4_i32_iu8 v221, v232, v235, v221 neg_lo:[1,1,0]
	s_set_vgpr_msb 5                        ;  msbs: dst=0 src0=1 src1=1 src2=0
	v_perm_b32 v232, v25 /*v281*/, v26 /*v282*/, 0xc0c0500
	s_set_vgpr_msb 20                       ;  msbs: dst=0 src0=0 src1=1 src2=1
	s_delay_alu instid0(VALU_DEP_2) | instskip(SKIP_3) | instid1(VALU_DEP_2)
	v_add3_u32 v221, v221, v11 /*v267*/, v4 /*v260*/
	s_set_vgpr_msb 64                       ;  msbs: dst=1 src0=0 src1=0 src2=0
	v_add3_u32 v11 /*v267*/, s21, v143, v134
	s_set_vgpr_msb 0                        ;  msbs: dst=0 src0=0 src1=0 src2=0
	v_dot4_i32_iu8 v232, v233, v232, v221 neg_lo:[1,1,0]
	v_bfe_i32 v221, v234, 0, 8
	s_set_vgpr_msb 1                        ;  msbs: dst=0 src0=1 src1=0 src2=0
	ds_load_2addr_b32 v[234:235], v11 /*v267*/ offset1:1
	s_set_vgpr_msb 0                        ;  msbs: dst=0 src0=0 src1=0 src2=0
	v_mad_u32 v0, v232, v221, v0
	v_mul_f32_e32 v232, v115, v200
	s_delay_alu instid0(VALU_DEP_2) | instskip(NEXT) | instid1(VALU_DEP_1)
	v_cvt_f32_i32_e32 v0, v0
	v_mul_f32_e32 v238, v232, v0
	v_add_nc_u32_e32 v0, 0x3180, v237
	s_wait_dscnt 0x0
	v_ashrrev_i32_e32 v235, s19, v235
	ds_load_2addr_b32 v[232:233], v0 offset1:1
	v_dual_ashrrev_i32 v234, s19, v234 :: v_dual_lshlrev_b32 v235, 2, v235
	s_delay_alu instid0(VALU_DEP_1) | instskip(NEXT) | instid1(VALU_DEP_2)
	v_lshlrev_b32_e32 v234, 2, v234
	v_and_b32_e32 v235, 0x4040404, v235
	s_delay_alu instid0(VALU_DEP_2) | instskip(SKIP_1) | instid1(VALU_DEP_2)
	v_and_b32_e32 v234, 0x4040404, v234
	s_set_vgpr_msb 64                       ;  msbs: dst=1 src0=0 src1=0 src2=0
	v_dual_lshrrev_b32 v15 /*v271*/, 24, v235 :: v_dual_lshrrev_b32 v16 /*v272*/, 16, v235
	s_delay_alu instid0(VALU_DEP_2) | instskip(SKIP_4) | instid1(VALU_DEP_1)
	v_dual_lshrrev_b32 v13 /*v269*/, 24, v234 :: v_dual_lshrrev_b32 v14 /*v270*/, 16, v234
	v_lshrrev_b16 v12 /*v268*/, 8, v234
	s_wait_dscnt 0x0
	s_set_vgpr_msb 0                        ;  msbs: dst=0 src0=0 src1=0 src2=0
	v_ashrrev_i32_e32 v0, s20, v232
	v_and_b32_e32 v232, 0x3030303, v0
	v_bfe_u32 v0, v0, 24, 2
	s_set_vgpr_msb 64                       ;  msbs: dst=1 src0=0 src1=0 src2=0
	s_delay_alu instid0(VALU_DEP_2) | instskip(SKIP_1) | instid1(VALU_DEP_2)
	v_lshrrev_b32_e32 v4 /*v260*/, 16, v232
	s_set_vgpr_msb 4                        ;  msbs: dst=0 src0=0 src1=1 src2=0
	v_sub_nc_u16 v0, v0, v13 /*v269*/
	s_set_vgpr_msb 64                       ;  msbs: dst=1 src0=0 src1=0 src2=0
	v_lshrrev_b16 v3 /*v259*/, 8, v232
	s_set_vgpr_msb 0x45                     ;  msbs: dst=1 src0=1 src1=1 src2=0
	v_sub_nc_u16 v4 /*v260*/, v4 /*v260*/, v14 /*v270*/
	s_set_vgpr_msb 0                        ;  msbs: dst=0 src0=0 src1=0 src2=0
	v_lshlrev_b16 v0, 8, v0
	s_set_vgpr_msb 64                       ;  msbs: dst=1 src0=0 src1=0 src2=0
	v_sub_nc_u16 v14 /*v270*/, v232, v234
	s_set_vgpr_msb 0x41                     ;  msbs: dst=1 src0=1 src1=0 src2=0
	s_delay_alu instid0(VALU_DEP_2)
	v_bitop3_b16 v13 /*v269*/, v4 /*v260*/, v0, 0xff bitop3:0xec
	s_set_vgpr_msb 5                        ;  msbs: dst=0 src0=1 src1=1 src2=0
	v_sub_nc_u16 v0, v3 /*v259*/, v12 /*v268*/
	s_set_vgpr_msb 0x41                     ;  msbs: dst=1 src0=1 src1=0 src2=0
	v_lshrrev_b16 v12 /*v268*/, 8, v235
	v_bfe_i32 v14 /*v270*/, v14 /*v270*/, 0, 8
	s_set_vgpr_msb 0x45                     ;  msbs: dst=1 src0=1 src1=1 src2=0
	v_perm_b32 v4 /*v260*/, v13 /*v269*/, v4 /*v260*/, 0xc0c0500
	s_set_vgpr_msb 64                       ;  msbs: dst=1 src0=0 src1=0 src2=0
	v_lshlrev_b16 v3 /*v259*/, 8, v0
	s_set_vgpr_msb 0                        ;  msbs: dst=0 src0=0 src1=0 src2=0
	v_ashrrev_i32_e32 v0, s20, v233
	s_set_vgpr_msb 4                        ;  msbs: dst=0 src0=0 src1=1 src2=0
	v_mul_i32_i24_e32 v224, v224, v14 /*v270*/
	s_set_vgpr_msb 0x41                     ;  msbs: dst=1 src0=1 src1=0 src2=0
	v_bfe_i32 v3 /*v259*/, v3 /*v259*/, 8, 8
	s_set_vgpr_msb 0                        ;  msbs: dst=0 src0=0 src1=0 src2=0
	v_and_b32_e32 v232, 0x3030303, v0
	v_bfe_u32 v0, v0, 24, 2
	s_set_vgpr_msb 4                        ;  msbs: dst=0 src0=0 src1=1 src2=0
	v_mad_i32_i24 v224, v225, v3 /*v259*/, v224
	s_set_vgpr_msb 0                        ;  msbs: dst=0 src0=0 src1=0 src2=0
	v_lshrrev_b32_e32 v234, 16, v232
	v_lshrrev_b16 v233, 8, v232
	s_set_vgpr_msb 64                       ;  msbs: dst=1 src0=0 src1=0 src2=0
	v_sub_nc_u16 v17 /*v273*/, v232, v235
	s_set_vgpr_msb 4                        ;  msbs: dst=0 src0=0 src1=1 src2=0
	v_sub_nc_u16 v0, v0, v15 /*v271*/
	v_dot4_i32_iu8 v224, v245, v4 /*v260*/, v224 neg_lo:[1,1,0]
	s_set_vgpr_msb 0x44                     ;  msbs: dst=1 src0=0 src1=1 src2=0
	v_sub_nc_u16 v16 /*v272*/, v234, v16 /*v272*/
	s_set_vgpr_msb 1                        ;  msbs: dst=0 src0=1 src1=0 src2=0
	ds_load_2addr_b32 v[234:235], v11 /*v267*/ offset0:2 offset1:3
	v_bfe_i32 v245, v17 /*v273*/, 0, 8
	v_lshlrev_b16 v0, 8, v0
	s_set_vgpr_msb 0                        ;  msbs: dst=0 src0=0 src1=0 src2=0
	s_delay_alu instid0(VALU_DEP_2) | instskip(SKIP_1) | instid1(VALU_DEP_2)
	v_mul_i32_i24_e32 v222, v222, v245
	s_set_vgpr_msb 0x41                     ;  msbs: dst=1 src0=1 src1=0 src2=0
	v_bitop3_b16 v15 /*v271*/, v16 /*v272*/, v0, 0xff bitop3:0xec
	s_set_vgpr_msb 4                        ;  msbs: dst=0 src0=0 src1=1 src2=0
	v_sub_nc_u16 v0, v233, v12 /*v268*/
	s_set_vgpr_msb 64                       ;  msbs: dst=1 src0=0 src1=0 src2=0
	s_delay_alu instid0(VALU_DEP_1) | instskip(SKIP_2) | instid1(VALU_DEP_2)
	v_lshlrev_b16 v12 /*v268*/, 8, v0
	s_set_vgpr_msb 1                        ;  msbs: dst=0 src0=1 src1=0 src2=0
	v_add_nc_u32_e32 v0, 0x3188, v237
	v_bfe_i32 v225, v12 /*v268*/, 8, 8
	s_set_vgpr_msb 0                        ;  msbs: dst=0 src0=0 src1=0 src2=0
	ds_load_2addr_b32 v[232:233], v0 offset1:1
	s_wait_dscnt 0x1
	v_dual_ashrrev_i32 v234, s19, v234 :: v_dual_ashrrev_i32 v235, s19, v235
	v_mul_i32_i24_e32 v223, v223, v225
	s_delay_alu instid0(VALU_DEP_2) | instskip(NEXT) | instid1(VALU_DEP_2)
	v_dual_lshlrev_b32 v234, 2, v234 :: v_dual_lshlrev_b32 v235, 2, v235
	v_add3_u32 v222, v224, v222, v223
	s_set_vgpr_msb 5                        ;  msbs: dst=0 src0=1 src1=1 src2=0
	v_perm_b32 v223, v15 /*v271*/, v16 /*v272*/, 0xc0c0500
	s_set_vgpr_msb 0                        ;  msbs: dst=0 src0=0 src1=0 src2=0
	v_and_b32_e32 v234, 0x4040404, v234
	v_and_b32_e32 v235, 0x4040404, v235
	s_delay_alu instid0(VALU_DEP_3) | instskip(SKIP_1) | instid1(VALU_DEP_3)
	v_dot4_i32_iu8 v1, v1, v223, v222 neg_lo:[1,1,0]
	s_set_vgpr_msb 64                       ;  msbs: dst=1 src0=0 src1=0 src2=0
	v_dual_lshrrev_b32 v27 /*v283*/, 24, v234 :: v_dual_lshrrev_b32 v28 /*v284*/, 16, v234
	s_delay_alu instid0(VALU_DEP_3)
	v_lshrrev_b32_e32 v29 /*v285*/, 16, v235
	v_lshrrev_b16 v20 /*v276*/, 8, v234
	s_wait_dscnt 0x0
	s_set_vgpr_msb 0                        ;  msbs: dst=0 src0=0 src1=0 src2=0
	v_ashrrev_i32_e32 v0, s20, v232
	s_set_vgpr_msb 64                       ;  msbs: dst=1 src0=0 src1=0 src2=0
	v_lshrrev_b16 v30 /*v286*/, 8, v235
	s_set_vgpr_msb 0                        ;  msbs: dst=0 src0=0 src1=0 src2=0
	s_delay_alu instid0(VALU_DEP_2) | instskip(SKIP_2) | instid1(VALU_DEP_2)
	v_and_b32_e32 v232, 0x3030303, v0
	v_bfe_u32 v0, v0, 24, 2
	s_set_vgpr_msb 64                       ;  msbs: dst=1 src0=0 src1=0 src2=0
	v_lshrrev_b32_e32 v19 /*v275*/, 16, v232
	v_lshrrev_b16 v18 /*v274*/, 8, v232
	s_set_vgpr_msb 4                        ;  msbs: dst=0 src0=0 src1=1 src2=0
	v_sub_nc_u16 v0, v0, v27 /*v283*/
	s_set_vgpr_msb 0x45                     ;  msbs: dst=1 src0=1 src1=1 src2=0
	v_sub_nc_u16 v19 /*v275*/, v19 /*v275*/, v28 /*v284*/
	s_set_vgpr_msb 64                       ;  msbs: dst=1 src0=0 src1=0 src2=0
	v_lshrrev_b32_e32 v28 /*v284*/, 24, v235
	s_set_vgpr_msb 0                        ;  msbs: dst=0 src0=0 src1=0 src2=0
	v_lshlrev_b16 v0, 8, v0
	s_set_vgpr_msb 0x41                     ;  msbs: dst=1 src0=1 src1=0 src2=0
	s_delay_alu instid0(VALU_DEP_1) | instskip(SKIP_4) | instid1(VALU_DEP_2)
	v_bitop3_b16 v27 /*v283*/, v19 /*v275*/, v0, 0xff bitop3:0xec
	s_set_vgpr_msb 5                        ;  msbs: dst=0 src0=1 src1=1 src2=0
	v_sub_nc_u16 v0, v18 /*v274*/, v20 /*v276*/
	s_set_vgpr_msb 64                       ;  msbs: dst=1 src0=0 src1=0 src2=0
	v_sub_nc_u16 v20 /*v276*/, v232, v234
	v_lshlrev_b16 v18 /*v274*/, 8, v0
	s_set_vgpr_msb 0                        ;  msbs: dst=0 src0=0 src1=0 src2=0
	v_ashrrev_i32_e32 v0, s20, v233
	s_set_vgpr_msb 0x41                     ;  msbs: dst=1 src0=1 src1=0 src2=0
	v_bfe_i32 v13 /*v269*/, v20 /*v276*/, 0, 8
	s_set_vgpr_msb 0                        ;  msbs: dst=0 src0=0 src1=0 src2=0
	s_delay_alu instid0(VALU_DEP_2) | instskip(SKIP_3) | instid1(VALU_DEP_2)
	v_bfe_u32 v232, v0, 24, 2
	v_and_b32_e32 v0, 0x3030303, v0
	s_set_vgpr_msb 1                        ;  msbs: dst=0 src0=1 src1=0 src2=0
	v_mad_i32_i24 v1, v13 /*v269*/, v218, v1
	v_lshrrev_b16 v234, 8, v0
	v_lshrrev_b32_e32 v233, 16, v0
	s_set_vgpr_msb 64                       ;  msbs: dst=1 src0=0 src1=0 src2=0
	v_sub_nc_u16 v31 /*v287*/, v0, v235
	s_set_vgpr_msb 4                        ;  msbs: dst=0 src0=0 src1=1 src2=0
	v_sub_nc_u16 v0, v234, v30 /*v286*/
	s_set_vgpr_msb 0x44                     ;  msbs: dst=1 src0=0 src1=1 src2=0
	v_sub_nc_u16 v29 /*v285*/, v233, v29 /*v285*/
	s_set_vgpr_msb 1                        ;  msbs: dst=0 src0=1 src1=0 src2=0
	ds_load_2addr_b32 v[234:235], v11 /*v267*/ offset0:4 offset1:5
	v_lshlrev_b16 v0, 8, v0
	s_set_vgpr_msb 0x41                     ;  msbs: dst=1 src0=1 src1=0 src2=0
	s_delay_alu instid0(VALU_DEP_1) | instskip(SKIP_3) | instid1(VALU_DEP_1)
	v_bitop3_b16 v30 /*v286*/, v31 /*v287*/, v0, 0xff bitop3:0xec
	s_set_vgpr_msb 4                        ;  msbs: dst=0 src0=0 src1=1 src2=0
	v_sub_nc_u16 v0, v232, v28 /*v284*/
	s_set_vgpr_msb 0                        ;  msbs: dst=0 src0=0 src1=0 src2=0
	v_lshlrev_b16 v0, 8, v0
	s_set_vgpr_msb 0x41                     ;  msbs: dst=1 src0=1 src1=0 src2=0
	s_delay_alu instid0(VALU_DEP_1)
	v_bitop3_b16 v28 /*v284*/, v29 /*v285*/, v0, 0xff bitop3:0xec
	s_set_vgpr_msb 0                        ;  msbs: dst=0 src0=0 src1=0 src2=0
	v_add_nc_u32_e32 v0, 0x3190, v237
	s_wait_dscnt 0x0
	v_dual_ashrrev_i32 v234, s19, v234 :: v_dual_ashrrev_i32 v235, s19, v235
	ds_load_2addr_b32 v[232:233], v0 offset1:1
	v_dual_lshlrev_b32 v234, 2, v234 :: v_dual_lshlrev_b32 v235, 2, v235
	s_delay_alu instid0(VALU_DEP_1) | instskip(NEXT) | instid1(VALU_DEP_2)
	v_and_b32_e32 v234, 0x4040404, v234
	v_and_b32_e32 v235, 0x4040404, v235
	s_set_vgpr_msb 64                       ;  msbs: dst=1 src0=0 src1=0 src2=0
	s_delay_alu instid0(VALU_DEP_2) | instskip(SKIP_1) | instid1(VALU_DEP_3)
	v_dual_lshrrev_b32 v35 /*v291*/, 24, v234 :: v_dual_lshrrev_b32 v36 /*v292*/, 16, v234
	v_lshrrev_b16 v34 /*v290*/, 8, v234
	v_dual_lshrrev_b32 v37 /*v293*/, 24, v235 :: v_dual_lshrrev_b32 v38 /*v294*/, 16, v235
	s_wait_dscnt 0x0
	s_set_vgpr_msb 0                        ;  msbs: dst=0 src0=0 src1=0 src2=0
	v_ashrrev_i32_e32 v0, s20, v232
	s_delay_alu instid0(VALU_DEP_1) | instskip(SKIP_2) | instid1(VALU_DEP_2)
	v_and_b32_e32 v232, 0x3030303, v0
	v_bfe_u32 v0, v0, 24, 2
	s_set_vgpr_msb 64                       ;  msbs: dst=1 src0=0 src1=0 src2=0
	v_lshrrev_b32_e32 v33 /*v289*/, 16, v232
	v_lshrrev_b16 v32 /*v288*/, 8, v232
	s_set_vgpr_msb 4                        ;  msbs: dst=0 src0=0 src1=1 src2=0
	v_sub_nc_u16 v0, v0, v35 /*v291*/
	s_set_vgpr_msb 0x45                     ;  msbs: dst=1 src0=1 src1=1 src2=0
	v_sub_nc_u16 v33 /*v289*/, v33 /*v289*/, v36 /*v292*/
	s_set_vgpr_msb 64                       ;  msbs: dst=1 src0=0 src1=0 src2=0
	v_sub_nc_u16 v36 /*v292*/, v232, v234
	s_set_vgpr_msb 0                        ;  msbs: dst=0 src0=0 src1=0 src2=0
	v_lshlrev_b16 v0, 8, v0
	s_set_vgpr_msb 0x41                     ;  msbs: dst=1 src0=1 src1=0 src2=0
	s_delay_alu instid0(VALU_DEP_2) | instskip(NEXT) | instid1(VALU_DEP_2)
	v_bfe_i32 v20 /*v276*/, v36 /*v292*/, 0, 8
	v_bitop3_b16 v35 /*v291*/, v33 /*v289*/, v0, 0xff bitop3:0xec
	s_set_vgpr_msb 5                        ;  msbs: dst=0 src0=1 src1=1 src2=0
	v_sub_nc_u16 v0, v32 /*v288*/, v34 /*v290*/
	s_set_vgpr_msb 64                       ;  msbs: dst=1 src0=0 src1=0 src2=0
	v_lshrrev_b16 v34 /*v290*/, 8, v235
	s_set_vgpr_msb 4                        ;  msbs: dst=0 src0=0 src1=1 src2=0
	v_mul_i32_i24_e32 v218, v219, v20 /*v276*/
	s_set_vgpr_msb 64                       ;  msbs: dst=1 src0=0 src1=0 src2=0
	v_lshlrev_b16 v32 /*v288*/, 8, v0
	s_set_vgpr_msb 0                        ;  msbs: dst=0 src0=0 src1=0 src2=0
	v_ashrrev_i32_e32 v0, s20, v233
	s_set_vgpr_msb 0x41                     ;  msbs: dst=1 src0=1 src1=0 src2=0
	s_delay_alu instid0(VALU_DEP_2) | instskip(SKIP_1) | instid1(VALU_DEP_2)
	v_bfe_i32 v17 /*v273*/, v32 /*v288*/, 8, 8
	s_set_vgpr_msb 0                        ;  msbs: dst=0 src0=0 src1=0 src2=0
	v_and_b32_e32 v232, 0x3030303, v0
	s_set_vgpr_msb 4                        ;  msbs: dst=0 src0=0 src1=1 src2=0
	s_delay_alu instid0(VALU_DEP_2) | instskip(SKIP_1) | instid1(VALU_DEP_2)
	v_mad_i32_i24 v218, v220, v17 /*v273*/, v218
	s_set_vgpr_msb 0                        ;  msbs: dst=0 src0=0 src1=0 src2=0
	v_lshrrev_b32_e32 v234, 16, v232
	v_bfe_u32 v0, v0, 24, 2
	v_lshrrev_b16 v233, 8, v232
	s_set_vgpr_msb 64                       ;  msbs: dst=1 src0=0 src1=0 src2=0
	v_sub_nc_u16 v39 /*v295*/, v232, v235
	s_set_vgpr_msb 5                        ;  msbs: dst=0 src0=1 src1=1 src2=0
	v_perm_b32 v220, v35 /*v291*/, v33 /*v289*/, 0xc0c0500
	s_set_vgpr_msb 0x44                     ;  msbs: dst=1 src0=0 src1=1 src2=0
	v_sub_nc_u16 v38 /*v294*/, v234, v38 /*v294*/
	s_set_vgpr_msb 4                        ;  msbs: dst=0 src0=0 src1=1 src2=0
	v_sub_nc_u16 v0, v0, v37 /*v293*/
	s_set_vgpr_msb 1                        ;  msbs: dst=0 src0=1 src1=0 src2=0
	ds_load_2addr_b32 v[234:235], v11 /*v267*/ offset0:6 offset1:7
	s_set_vgpr_msb 0                        ;  msbs: dst=0 src0=0 src1=0 src2=0
	v_dot4_i32_iu8 v218, v246, v220, v218 neg_lo:[1,1,0]
	s_set_vgpr_msb 1                        ;  msbs: dst=0 src0=1 src1=0 src2=0
	v_bfe_i32 v246, v39 /*v295*/, 0, 8
	v_lshlrev_b16 v0, 8, v0
	s_set_vgpr_msb 0                        ;  msbs: dst=0 src0=0 src1=0 src2=0
	s_delay_alu instid0(VALU_DEP_2) | instskip(SKIP_1) | instid1(VALU_DEP_2)
	v_mul_i32_i24_e32 v215, v215, v246
	s_set_vgpr_msb 0x41                     ;  msbs: dst=1 src0=1 src1=0 src2=0
	v_bitop3_b16 v37 /*v293*/, v38 /*v294*/, v0, 0xff bitop3:0xec
	s_set_vgpr_msb 4                        ;  msbs: dst=0 src0=0 src1=1 src2=0
	v_sub_nc_u16 v0, v233, v34 /*v290*/
	s_set_vgpr_msb 64                       ;  msbs: dst=1 src0=0 src1=0 src2=0
	s_delay_alu instid0(VALU_DEP_1) | instskip(SKIP_2) | instid1(VALU_DEP_2)
	v_lshlrev_b16 v34 /*v290*/, 8, v0
	s_set_vgpr_msb 1                        ;  msbs: dst=0 src0=1 src1=0 src2=0
	v_add_nc_u32_e32 v0, 0x3198, v237
	v_bfe_i32 v219, v34 /*v290*/, 8, 8
	s_set_vgpr_msb 0                        ;  msbs: dst=0 src0=0 src1=0 src2=0
	ds_load_2addr_b32 v[232:233], v0 offset1:1
	s_wait_dscnt 0x1
	v_dual_ashrrev_i32 v234, s19, v234 :: v_dual_ashrrev_i32 v235, s19, v235
	v_mul_i32_i24_e32 v216, v216, v219
	s_delay_alu instid0(VALU_DEP_2) | instskip(NEXT) | instid1(VALU_DEP_2)
	v_dual_lshlrev_b32 v234, 2, v234 :: v_dual_lshlrev_b32 v235, 2, v235
	v_add3_u32 v215, v218, v215, v216
	s_set_vgpr_msb 5                        ;  msbs: dst=0 src0=1 src1=1 src2=0
	v_perm_b32 v216, v37 /*v293*/, v38 /*v294*/, 0xc0c0500
	s_set_vgpr_msb 0                        ;  msbs: dst=0 src0=0 src1=0 src2=0
	v_and_b32_e32 v234, 0x4040404, v234
	v_and_b32_e32 v235, 0x4040404, v235
	s_delay_alu instid0(VALU_DEP_3) | instskip(SKIP_1) | instid1(VALU_DEP_3)
	v_dot4_i32_iu8 v5, v5, v216, v215 neg_lo:[1,1,0]
	s_set_vgpr_msb 64                       ;  msbs: dst=1 src0=0 src1=0 src2=0
	v_dual_lshrrev_b32 v41 /*v297*/, 24, v234 :: v_dual_lshrrev_b32 v42 /*v298*/, 16, v234
	s_delay_alu instid0(VALU_DEP_3)
	v_lshrrev_b32_e32 v43 /*v299*/, 24, v235
	v_lshrrev_b16 v11 /*v267*/, 8, v234
	s_wait_dscnt 0x0
	s_set_vgpr_msb 0                        ;  msbs: dst=0 src0=0 src1=0 src2=0
	v_ashrrev_i32_e32 v0, s20, v232
	s_set_vgpr_msb 64                       ;  msbs: dst=1 src0=0 src1=0 src2=0
	v_lshrrev_b32_e32 v44 /*v300*/, 16, v235
	s_set_vgpr_msb 0                        ;  msbs: dst=0 src0=0 src1=0 src2=0
	s_delay_alu instid0(VALU_DEP_2) | instskip(SKIP_2) | instid1(VALU_DEP_2)
	v_and_b32_e32 v232, 0x3030303, v0
	v_bfe_u32 v0, v0, 24, 2
	s_set_vgpr_msb 64                       ;  msbs: dst=1 src0=0 src1=0 src2=0
	v_lshrrev_b32_e32 v40 /*v296*/, 16, v232
	s_set_vgpr_msb 0                        ;  msbs: dst=0 src0=0 src1=0 src2=0
	v_lshrrev_b16 v237, 8, v232
	v_sub_nc_u16 v232, v232, v234
	s_set_vgpr_msb 4                        ;  msbs: dst=0 src0=0 src1=1 src2=0
	v_sub_nc_u16 v0, v0, v41 /*v297*/
	s_set_vgpr_msb 0x45                     ;  msbs: dst=1 src0=1 src1=1 src2=0
	v_sub_nc_u16 v40 /*v296*/, v40 /*v296*/, v42 /*v298*/
	s_set_vgpr_msb 64                       ;  msbs: dst=1 src0=0 src1=0 src2=0
	v_lshrrev_b16 v42 /*v298*/, 8, v235
	v_bfe_i32 v32 /*v288*/, v232, 0, 8
	s_set_vgpr_msb 1                        ;  msbs: dst=0 src0=1 src1=0 src2=0
	v_lshlrev_b16 v0, 8, v0
	s_delay_alu instid0(VALU_DEP_2) | instskip(SKIP_1) | instid1(VALU_DEP_2)
	v_mad_i32_i24 v215, v32 /*v288*/, v114, v5
	s_set_vgpr_msb 0x41                     ;  msbs: dst=1 src0=1 src1=0 src2=0
	v_bitop3_b16 v41 /*v297*/, v40 /*v296*/, v0, 0xff bitop3:0xec
	s_set_vgpr_msb 4                        ;  msbs: dst=0 src0=0 src1=1 src2=0
	v_sub_nc_u16 v0, v237, v11 /*v267*/
	s_set_vgpr_msb 0                        ;  msbs: dst=0 src0=0 src1=0 src2=0
	v_or_b32_e32 v5, s18, v123
	s_set_vgpr_msb 64                       ;  msbs: dst=1 src0=0 src1=0 src2=0
	s_delay_alu instid0(VALU_DEP_2) | instskip(SKIP_3) | instid1(VALU_DEP_2)
	v_lshlrev_b16 v11 /*v267*/, 8, v0
	s_set_vgpr_msb 0                        ;  msbs: dst=0 src0=0 src1=0 src2=0
	v_ashrrev_i32_e32 v0, s20, v233
	v_dual_lshlrev_b32 v216, 2, v5 :: v_dual_lshrrev_b32 v5, 1, v5
	v_and_b32_e32 v233, 0x3030303, v0
	v_bfe_u32 v0, v0, 24, 2
	s_delay_alu instid0(VALU_DEP_2) | instskip(SKIP_1) | instid1(VALU_DEP_2)
	v_lshrrev_b32_e32 v237, 16, v233
	s_set_vgpr_msb 4                        ;  msbs: dst=0 src0=0 src1=1 src2=0
	v_sub_nc_u16 v0, v0, v43 /*v299*/
	s_set_vgpr_msb 0                        ;  msbs: dst=0 src0=0 src1=0 src2=0
	v_lshrrev_b16 v234, 8, v233
	s_set_vgpr_msb 64                       ;  msbs: dst=1 src0=0 src1=0 src2=0
	v_sub_nc_u16 v45 /*v301*/, v233, v235
	s_set_vgpr_msb 0x44                     ;  msbs: dst=1 src0=0 src1=1 src2=0
	v_sub_nc_u16 v44 /*v300*/, v237, v44 /*v300*/
	s_set_vgpr_msb 0                        ;  msbs: dst=0 src0=0 src1=0 src2=0
	v_lshlrev_b16 v0, 8, v0
	v_perm_b32 v237, v244, v244, 0xc0c0c01
	s_set_vgpr_msb 0x41                     ;  msbs: dst=1 src0=1 src1=0 src2=0
	s_delay_alu instid0(VALU_DEP_2) | instskip(SKIP_3) | instid1(VALU_DEP_1)
	v_bitop3_b16 v43 /*v299*/, v44 /*v300*/, v0, 0xff bitop3:0xec
	s_set_vgpr_msb 4                        ;  msbs: dst=0 src0=0 src1=1 src2=0
	v_sub_nc_u16 v0, v234, v42 /*v298*/
	s_set_vgpr_msb 64                       ;  msbs: dst=1 src0=0 src1=0 src2=0
	v_lshlrev_b16 v42 /*v298*/, 8, v0
	s_set_vgpr_msb 0                        ;  msbs: dst=0 src0=0 src1=0 src2=0
	v_add3_u32 v0, s23, v144, v135
	ds_load_b32 v0, v0
	ds_load_b32 v114, v5 offset:38816
	ds_load_b128 v[222:225], v216 offset:25344
	ds_load_b128 v[232:235], v216 offset:25360
	s_wait_dscnt 0x1
	v_bfe_i32 v216, v222, 0, 8
	v_bfe_i32 v218, v222, 8, 8
	v_perm_b32 v222, v222, v222, 0xc0c0302
	v_bfe_i32 v219, v223, 0, 8
	v_perm_b32 v223, v223, v223, 0xc030201
	s_set_vgpr_msb 64                       ;  msbs: dst=1 src0=0 src1=0 src2=0
	v_bfe_i32 v33 /*v289*/, v224, 0, 8
	v_perm_b32 v50 /*v306*/, v224, v224, 0xc030201
	v_bfe_i32 v35 /*v291*/, v225, 0, 8
	s_set_vgpr_msb 0                        ;  msbs: dst=0 src0=0 src1=0 src2=0
	v_perm_b32 v226, v225, v225, 0xc030201
	s_wait_dscnt 0x0
	s_set_vgpr_msb 64                       ;  msbs: dst=1 src0=0 src1=0 src2=0
	v_bfe_i32 v36 /*v292*/, v232, 0, 8
	v_bfe_i32 v39 /*v295*/, v232, 8, 8
	s_set_vgpr_msb 0                        ;  msbs: dst=0 src0=0 src1=0 src2=0
	v_perm_b32 v230, v232, v232, 0xc0c0302
	s_set_vgpr_msb 64                       ;  msbs: dst=1 src0=0 src1=0 src2=0
	v_bfe_i32 v47 /*v303*/, v233, 0, 8
	s_set_vgpr_msb 0                        ;  msbs: dst=0 src0=0 src1=0 src2=0
	v_perm_b32 v231, v233, v233, 0xc030201
	s_set_vgpr_msb 64                       ;  msbs: dst=1 src0=0 src1=0 src2=0
	v_bfe_i32 v48 /*v304*/, v234, 0, 8
	s_set_vgpr_msb 0                        ;  msbs: dst=0 src0=0 src1=0 src2=0
	v_perm_b32 v232, v234, v234, 0xc030201
	v_perm_b32 v233, v240, v239, 0xc05000c
	;; [unrolled: 1-line block ×3, first 2 shown]
	s_set_vgpr_msb 64                       ;  msbs: dst=1 src0=0 src1=0 src2=0
	v_bfe_i32 v49 /*v305*/, v235, 0, 8
	s_set_vgpr_msb 5                        ;  msbs: dst=0 src0=1 src1=1 src2=0
	v_perm_b32 v239, v21 /*v277*/, v21 /*v277*/, 0xc0c0c01
	s_set_vgpr_msb 0                        ;  msbs: dst=0 src0=0 src1=0 src2=0
	v_mul_i32_i24_e32 v5, v216, v166
	s_set_vgpr_msb 1                        ;  msbs: dst=0 src0=1 src1=0 src2=0
	v_mul_i32_i24_e32 v227, v36 /*v292*/, v174
	s_set_vgpr_msb 0                        ;  msbs: dst=0 src0=0 src1=0 src2=0
	v_or_b32_e32 v233, v233, v234
	v_perm_b32 v234, v235, v235, 0xc030201
	v_perm_b32 v235, v243, v242, 0xc05000c
	v_mad_i32_i24 v5, v218, v167, v5
	s_set_vgpr_msb 1                        ;  msbs: dst=0 src0=1 src1=0 src2=0
	v_mad_i32_i24 v227, v39 /*v295*/, v175, v227
	s_set_vgpr_msb 0                        ;  msbs: dst=0 src0=0 src1=0 src2=0
	v_or_b32_e32 v235, v235, v237
	v_perm_b32 v237, v255, v255, 0xc0c0c01
	v_dot4_i32_iu8 v5, v222, v168, v5 neg_lo:[1,1,0]
	v_dot4_i32_iu8 v227, v230, v176, v227 neg_lo:[1,1,0]
	s_delay_alu instid0(VALU_DEP_2) | instskip(SKIP_1) | instid1(VALU_DEP_2)
	v_mad_i32_i24 v5, v219, v170, v5
	s_set_vgpr_msb 1                        ;  msbs: dst=0 src0=1 src1=0 src2=0
	v_mad_i32_i24 v227, v47 /*v303*/, v178, v227
	s_set_vgpr_msb 0                        ;  msbs: dst=0 src0=0 src1=0 src2=0
	s_delay_alu instid0(VALU_DEP_2) | instskip(NEXT) | instid1(VALU_DEP_2)
	v_dot4_i32_iu8 v5, v223, v172, v5 neg_lo:[1,1,0]
	v_dot4_i32_iu8 v227, v231, v180, v227 neg_lo:[1,1,0]
	s_set_vgpr_msb 4                        ;  msbs: dst=0 src0=0 src1=1 src2=0
	s_delay_alu instid0(VALU_DEP_2) | instskip(NEXT) | instid1(VALU_DEP_2)
	v_mad_i32_i24 v5, v169, v33 /*v289*/, v5
	v_mad_i32_i24 v227, v177, v48 /*v304*/, v227
	s_delay_alu instid0(VALU_DEP_2) | instskip(SKIP_1) | instid1(VALU_DEP_2)
	v_dot4_i32_iu8 v5, v228, v50 /*v306*/, v5 neg_lo:[1,1,0]
	s_set_vgpr_msb 0                        ;  msbs: dst=0 src0=0 src1=0 src2=0
	v_dot4_i32_iu8 v227, v233, v232, v227 neg_lo:[1,1,0]
	s_set_vgpr_msb 4                        ;  msbs: dst=0 src0=0 src1=1 src2=0
	s_delay_alu instid0(VALU_DEP_2) | instskip(NEXT) | instid1(VALU_DEP_2)
	v_mad_i32_i24 v5, v171, v35 /*v291*/, v5
	v_mad_i32_i24 v227, v179, v49 /*v305*/, v227
	s_set_vgpr_msb 0                        ;  msbs: dst=0 src0=0 src1=0 src2=0
	s_delay_alu instid0(VALU_DEP_2) | instskip(NEXT) | instid1(VALU_DEP_2)
	v_dot4_i32_iu8 v5, v229, v226, v5 neg_lo:[1,1,0]
	v_dot4_i32_iu8 v227, v235, v234, v227 neg_lo:[1,1,0]
	s_delay_alu instid0(VALU_DEP_2) | instskip(NEXT) | instid1(VALU_DEP_1)
	v_mul_lo_u32 v5, v5, v173
	v_mad_u32 v5, v227, v181, v5
	v_mul_f32_e32 v227, v165, v114
	s_delay_alu instid0(VALU_DEP_2) | instskip(NEXT) | instid1(VALU_DEP_1)
	v_cvt_f32_i32_e32 v5, v5
	v_mul_f32_e32 v5, v227, v5
	v_perm_b32 v227, v249, v249, 0xc0c0c01
	s_delay_alu instid0(VALU_DEP_2) | instskip(SKIP_2) | instid1(VALU_DEP_2)
	v_pk_add_f32 v[46:47], v[46:47], v[4:5]
	v_mul_i32_i24_e32 v4, v216, v183
	v_perm_b32 v5, v248, v247, 0xc05000c
	v_mad_i32_i24 v4, v218, v184, v4
	s_delay_alu instid0(VALU_DEP_2) | instskip(SKIP_2) | instid1(VALU_DEP_4)
	v_or_b32_e32 v240, v5, v227
	v_perm_b32 v5, v251, v250, 0xc05000c
	v_perm_b32 v227, v252, v252, 0xc0c0c01
	v_dot4_i32_iu8 v4, v222, v185, v4 neg_lo:[1,1,0]
	s_delay_alu instid0(VALU_DEP_2)
	v_or_b32_e32 v241, v5, v227
	s_set_vgpr_msb 1                        ;  msbs: dst=0 src0=1 src1=0 src2=0
	v_mul_i32_i24_e32 v5, v36 /*v292*/, v191
	s_set_vgpr_msb 0                        ;  msbs: dst=0 src0=0 src1=0 src2=0
	v_perm_b32 v227, v254, v253, 0xc05000c
	v_mad_i32_i24 v4, v219, v186, v4
	s_set_vgpr_msb 1                        ;  msbs: dst=0 src0=1 src1=0 src2=0
	v_mad_i32_i24 v5, v39 /*v295*/, v192, v5
	s_set_vgpr_msb 0                        ;  msbs: dst=0 src0=0 src1=0 src2=0
	v_or_b32_e32 v242, v227, v237
	s_set_vgpr_msb 5                        ;  msbs: dst=0 src0=1 src1=1 src2=0
	v_perm_b32 v227, v1 /*v257*/, v0 /*v256*/, 0xc05000c
	v_perm_b32 v237, v2 /*v258*/, v2 /*v258*/, 0xc0c0c01
	s_set_vgpr_msb 0                        ;  msbs: dst=0 src0=0 src1=0 src2=0
	v_dot4_i32_iu8 v4, v223, v189, v4 neg_lo:[1,1,0]
	v_dot4_i32_iu8 v5, v230, v193, v5 neg_lo:[1,1,0]
	s_delay_alu instid0(VALU_DEP_3)
	v_or_b32_e32 v243, v227, v237
	s_set_vgpr_msb 5                        ;  msbs: dst=0 src0=1 src1=1 src2=0
	v_perm_b32 v227, v5 /*v261*/, v5 /*v261*/, 0xc0c0c01
	s_set_vgpr_msb 4                        ;  msbs: dst=0 src0=0 src1=1 src2=0
	v_mad_i32_i24 v4, v187, v33 /*v289*/, v4
	s_set_vgpr_msb 1                        ;  msbs: dst=0 src0=1 src1=0 src2=0
	v_mad_i32_i24 v5, v47 /*v303*/, v194, v5
	s_set_vgpr_msb 4                        ;  msbs: dst=0 src0=0 src1=1 src2=0
	s_delay_alu instid0(VALU_DEP_2) | instskip(SKIP_1) | instid1(VALU_DEP_2)
	v_dot4_i32_iu8 v4, v240, v50 /*v306*/, v4 neg_lo:[1,1,0]
	s_set_vgpr_msb 0                        ;  msbs: dst=0 src0=0 src1=0 src2=0
	v_dot4_i32_iu8 v5, v231, v197, v5 neg_lo:[1,1,0]
	s_set_vgpr_msb 4                        ;  msbs: dst=0 src0=0 src1=1 src2=0
	s_delay_alu instid0(VALU_DEP_2) | instskip(NEXT) | instid1(VALU_DEP_2)
	v_mad_i32_i24 v4, v188, v35 /*v291*/, v4
	v_mad_i32_i24 v5, v195, v48 /*v304*/, v5
	s_set_vgpr_msb 0                        ;  msbs: dst=0 src0=0 src1=0 src2=0
	s_delay_alu instid0(VALU_DEP_2) | instskip(NEXT) | instid1(VALU_DEP_2)
	v_dot4_i32_iu8 v4, v241, v226, v4 neg_lo:[1,1,0]
	v_dot4_i32_iu8 v5, v242, v232, v5 neg_lo:[1,1,0]
	s_delay_alu instid0(VALU_DEP_2) | instskip(SKIP_1) | instid1(VALU_DEP_2)
	v_mul_lo_u32 v4, v4, v190
	s_set_vgpr_msb 4                        ;  msbs: dst=0 src0=0 src1=1 src2=0
	v_mad_i32_i24 v5, v196, v49 /*v305*/, v5
	s_set_vgpr_msb 0                        ;  msbs: dst=0 src0=0 src1=0 src2=0
	s_delay_alu instid0(VALU_DEP_1) | instskip(NEXT) | instid1(VALU_DEP_1)
	v_dot4_i32_iu8 v5, v243, v234, v5 neg_lo:[1,1,0]
	v_mad_u32 v4, v5, v198, v4
	v_mul_f32_e32 v5, v182, v114
	s_delay_alu instid0(VALU_DEP_2) | instskip(NEXT) | instid1(VALU_DEP_1)
	v_cvt_f32_i32_e32 v4, v4
	v_mul_f32_e32 v237, v5, v4
	v_mul_i32_i24_e32 v4, v216, v201
	s_set_vgpr_msb 5                        ;  msbs: dst=0 src0=1 src1=1 src2=0
	v_perm_b32 v5, v8 /*v264*/, v6 /*v262*/, 0xc05000c
	s_set_vgpr_msb 0                        ;  msbs: dst=0 src0=0 src1=0 src2=0
	v_pk_add_f32 v[44:45], v[44:45], v[236:237]
	v_mad_i32_i24 v4, v218, v202, v4
	s_delay_alu instid0(VALU_DEP_3)
	v_or_b32_e32 v236, v5, v227
	s_set_vgpr_msb 5                        ;  msbs: dst=0 src0=1 src1=1 src2=0
	v_perm_b32 v5, v10 /*v266*/, v7 /*v263*/, 0xc05000c
	v_perm_b32 v227, v9 /*v265*/, v9 /*v265*/, 0xc0c0c01
	s_set_vgpr_msb 0                        ;  msbs: dst=0 src0=0 src1=0 src2=0
	v_dot4_i32_iu8 v4, v222, v203, v4 neg_lo:[1,1,0]
	s_delay_alu instid0(VALU_DEP_2)
	v_or_b32_e32 v237, v5, v227
	s_set_vgpr_msb 1                        ;  msbs: dst=0 src0=1 src1=0 src2=0
	v_mul_i32_i24_e32 v5, v36 /*v292*/, v209
	s_set_vgpr_msb 5                        ;  msbs: dst=0 src0=1 src1=1 src2=0
	v_perm_b32 v227, v23 /*v279*/, v22 /*v278*/, 0xc05000c
	s_set_vgpr_msb 0                        ;  msbs: dst=0 src0=0 src1=0 src2=0
	v_mad_i32_i24 v4, v219, v204, v4
	s_set_vgpr_msb 1                        ;  msbs: dst=0 src0=1 src1=0 src2=0
	v_mad_i32_i24 v5, v39 /*v295*/, v210, v5
	s_set_vgpr_msb 0                        ;  msbs: dst=0 src0=0 src1=0 src2=0
	v_or_b32_e32 v244, v227, v239
	s_set_vgpr_msb 5                        ;  msbs: dst=0 src0=1 src1=1 src2=0
	v_perm_b32 v227, v25 /*v281*/, v26 /*v282*/, 0xc05000c
	v_perm_b32 v239, v24 /*v280*/, v24 /*v280*/, 0xc0c0c01
	s_set_vgpr_msb 0                        ;  msbs: dst=0 src0=0 src1=0 src2=0
	v_dot4_i32_iu8 v4, v223, v207, v4 neg_lo:[1,1,0]
	v_dot4_i32_iu8 v5, v230, v211, v5 neg_lo:[1,1,0]
	s_delay_alu instid0(VALU_DEP_3) | instskip(SKIP_1) | instid1(VALU_DEP_3)
	v_or_b32_e32 v247, v227, v239
	s_set_vgpr_msb 4                        ;  msbs: dst=0 src0=0 src1=1 src2=0
	v_mad_i32_i24 v4, v205, v33 /*v289*/, v4
	s_set_vgpr_msb 1                        ;  msbs: dst=0 src0=1 src1=0 src2=0
	v_mad_i32_i24 v5, v47 /*v303*/, v212, v5
	s_set_vgpr_msb 4                        ;  msbs: dst=0 src0=0 src1=1 src2=0
	s_delay_alu instid0(VALU_DEP_2) | instskip(SKIP_1) | instid1(VALU_DEP_2)
	v_dot4_i32_iu8 v4, v236, v50 /*v306*/, v4 neg_lo:[1,1,0]
	s_set_vgpr_msb 0                        ;  msbs: dst=0 src0=0 src1=0 src2=0
	v_dot4_i32_iu8 v5, v231, v217, v5 neg_lo:[1,1,0]
	s_set_vgpr_msb 4                        ;  msbs: dst=0 src0=0 src1=1 src2=0
	s_delay_alu instid0(VALU_DEP_2) | instskip(NEXT) | instid1(VALU_DEP_2)
	v_mad_i32_i24 v4, v206, v35 /*v291*/, v4
	v_mad_i32_i24 v5, v213, v48 /*v304*/, v5
	s_set_vgpr_msb 0                        ;  msbs: dst=0 src0=0 src1=0 src2=0
	s_delay_alu instid0(VALU_DEP_2) | instskip(NEXT) | instid1(VALU_DEP_2)
	v_dot4_i32_iu8 v4, v237, v226, v4 neg_lo:[1,1,0]
	v_dot4_i32_iu8 v5, v244, v232, v5 neg_lo:[1,1,0]
	s_delay_alu instid0(VALU_DEP_2) | instskip(SKIP_1) | instid1(VALU_DEP_2)
	v_mul_lo_u32 v4, v4, v208
	s_set_vgpr_msb 4                        ;  msbs: dst=0 src0=0 src1=1 src2=0
	v_mad_i32_i24 v5, v214, v49 /*v305*/, v5
	s_set_vgpr_msb 0                        ;  msbs: dst=0 src0=0 src1=0 src2=0
	s_delay_alu instid0(VALU_DEP_1) | instskip(NEXT) | instid1(VALU_DEP_1)
	v_dot4_i32_iu8 v5, v247, v234, v5 neg_lo:[1,1,0]
	v_mad_u32 v4, v5, v221, v4
	v_mul_f32_e32 v5, v200, v114
	s_delay_alu instid0(VALU_DEP_2) | instskip(NEXT) | instid1(VALU_DEP_1)
	v_cvt_f32_i32_e32 v4, v4
	v_mul_f32_e32 v239, v5, v4
	s_set_vgpr_msb 1                        ;  msbs: dst=0 src0=1 src1=0 src2=0
	v_mul_i32_i24_e32 v4, v14 /*v270*/, v216
	s_set_vgpr_msb 5                        ;  msbs: dst=0 src0=1 src1=1 src2=0
	v_perm_b32 v5, v15 /*v271*/, v16 /*v272*/, 0xc05000c
	v_perm_b32 v216, v12 /*v268*/, v12 /*v268*/, 0xc0c0c01
	s_set_vgpr_msb 0                        ;  msbs: dst=0 src0=0 src1=0 src2=0
	v_pk_add_f32 v[42:43], v[42:43], v[238:239]
	s_set_vgpr_msb 1                        ;  msbs: dst=0 src0=1 src1=0 src2=0
	v_mad_i32_i24 v4, v3 /*v259*/, v218, v4
	s_set_vgpr_msb 5                        ;  msbs: dst=0 src0=1 src1=1 src2=0
	v_perm_b32 v218, v34 /*v290*/, v34 /*v290*/, 0xc0c0c01
	s_set_vgpr_msb 0                        ;  msbs: dst=0 src0=0 src1=0 src2=0
	v_or_b32_e32 v238, v5, v216
	s_set_vgpr_msb 5                        ;  msbs: dst=0 src0=1 src1=1 src2=0
	v_mul_i32_i24_e32 v5, v20 /*v276*/, v36 /*v292*/
	v_perm_b32 v216, v37 /*v293*/, v38 /*v294*/, 0xc05000c
	s_set_vgpr_msb 1                        ;  msbs: dst=0 src0=1 src1=0 src2=0
	v_dot4_i32_iu8 v4, v4 /*v260*/, v222, v4 neg_lo:[1,1,0]
	s_set_vgpr_msb 5                        ;  msbs: dst=0 src0=1 src1=1 src2=0
	v_mad_i32_i24 v5, v17 /*v273*/, v39 /*v295*/, v5
	s_set_vgpr_msb 0                        ;  msbs: dst=0 src0=0 src1=0 src2=0
	s_delay_alu instid0(VALU_DEP_2) | instskip(NEXT) | instid1(VALU_DEP_2)
	v_mad_i32_i24 v4, v245, v219, v4
	v_dot4_i32_iu8 v5, v220, v230, v5 neg_lo:[1,1,0]
	v_or_b32_e32 v230, v216, v218
	s_set_vgpr_msb 1                        ;  msbs: dst=0 src0=1 src1=0 src2=0
	ds_load_u16 v216, v46 /*v302*/
	s_set_vgpr_msb 0                        ;  msbs: dst=0 src0=0 src1=0 src2=0
	v_dot4_i32_iu8 v4, v238, v223, v4 neg_lo:[1,1,0]
	s_set_vgpr_msb 4                        ;  msbs: dst=0 src0=0 src1=1 src2=0
	v_mad_i32_i24 v5, v246, v47 /*v303*/, v5
	s_set_vgpr_msb 5                        ;  msbs: dst=0 src0=1 src1=1 src2=0
	s_delay_alu instid0(VALU_DEP_2) | instskip(SKIP_1) | instid1(VALU_DEP_2)
	v_mad_i32_i24 v4, v33 /*v289*/, v13 /*v269*/, v4
	s_set_vgpr_msb 0                        ;  msbs: dst=0 src0=0 src1=0 src2=0
	v_dot4_i32_iu8 v5, v230, v231, v5 neg_lo:[1,1,0]
	s_set_vgpr_msb 5                        ;  msbs: dst=0 src0=1 src1=1 src2=0
	v_bfe_i32 v231, v45 /*v301*/, 0, 8
	s_delay_alu instid0(VALU_DEP_2)
	v_mad_i32_i24 v5, v48 /*v304*/, v32 /*v288*/, v5
	s_wait_dscnt 0x0
	s_set_vgpr_msb 0                        ;  msbs: dst=0 src0=0 src1=0 src2=0
	v_lshrrev_b16 v218, 8, v216
	v_bfe_i32 v248, v216, 0, 8
	s_set_vgpr_msb 5                        ;  msbs: dst=0 src0=1 src1=1 src2=0
	v_perm_b32 v216, v19 /*v275*/, v18 /*v274*/, 0xc0c0401
	s_set_vgpr_msb 0                        ;  msbs: dst=0 src0=0 src1=0 src2=0
	v_bfe_i32 v239, v218, 0, 8
	v_perm_b32 v218, v224, v224, 0xc0c0201
	s_delay_alu instid0(VALU_DEP_1) | instskip(SKIP_4) | instid1(VALU_DEP_1)
	v_dot4_i32_iu8 v4, v218, v216, v4 neg_lo:[1,1,0]
	s_set_vgpr_msb 5                        ;  msbs: dst=0 src0=1 src1=1 src2=0
	v_perm_b32 v216, v41 /*v297*/, v40 /*v296*/, 0xc05000c
	v_perm_b32 v218, v11 /*v267*/, v11 /*v267*/, 0xc0c0c01
	s_set_vgpr_msb 0                        ;  msbs: dst=0 src0=0 src1=0 src2=0
	v_or_b32_e32 v249, v216, v218
	s_delay_alu instid0(VALU_DEP_1) | instskip(SKIP_1) | instid1(VALU_DEP_2)
	v_dot4_i32_iu8 v6, v6, v249, v215 neg_lo:[1,1,0]
	v_perm_b32 v215, v225, v224, 0xc0c0403
	v_mad_i32_i24 v6, v199, v231, v6
	s_set_vgpr_msb 5                        ;  msbs: dst=0 src0=1 src1=1 src2=0
	v_perm_b32 v199, v31 /*v287*/, v27 /*v283*/, 0xc0c0401
	s_set_vgpr_msb 0                        ;  msbs: dst=0 src0=0 src1=0 src2=0
	s_delay_alu instid0(VALU_DEP_1) | instskip(SKIP_4) | instid1(VALU_DEP_1)
	v_dot4_i32_iu8 v4, v215, v199, v4 neg_lo:[1,1,0]
	s_set_vgpr_msb 5                        ;  msbs: dst=0 src0=1 src1=1 src2=0
	v_perm_b32 v199, v28 /*v284*/, v29 /*v285*/, 0xc05000c
	v_perm_b32 v215, v30 /*v286*/, v30 /*v286*/, 0xc0c0c01
	s_set_vgpr_msb 0                        ;  msbs: dst=0 src0=0 src1=0 src2=0
	v_or_b32_e32 v199, v199, v215
	s_set_vgpr_msb 5                        ;  msbs: dst=0 src0=1 src1=1 src2=0
	v_perm_b32 v215, v42 /*v298*/, v42 /*v298*/, 0xc0c0c01
	s_set_vgpr_msb 0                        ;  msbs: dst=0 src0=0 src1=0 src2=0
	s_delay_alu instid0(VALU_DEP_2) | instskip(SKIP_3) | instid1(VALU_DEP_2)
	v_dot4_i32_iu8 v4, v226, v199, v4 neg_lo:[1,1,0]
	s_set_vgpr_msb 5                        ;  msbs: dst=0 src0=1 src1=1 src2=0
	v_perm_b32 v199, v43 /*v299*/, v44 /*v300*/, 0xc05000c
	s_set_vgpr_msb 0                        ;  msbs: dst=0 src0=0 src1=0 src2=0
	v_mul_lo_u32 v4, v4, v248
	s_delay_alu instid0(VALU_DEP_2) | instskip(SKIP_3) | instid1(VALU_DEP_2)
	v_or_b32_e32 v199, v199, v215
	s_set_vgpr_msb 5                        ;  msbs: dst=0 src0=1 src1=1 src2=0
	v_perm_b32 v215, v18 /*v274*/, v18 /*v274*/, 0xc0c0c01
	s_set_vgpr_msb 0                        ;  msbs: dst=0 src0=0 src1=0 src2=0
	v_dot4_i32_iu8 v6, v7, v199, v6 neg_lo:[1,1,0]
	s_set_vgpr_msb 5                        ;  msbs: dst=0 src0=1 src1=1 src2=0
	v_perm_b32 v7, v27 /*v283*/, v19 /*v275*/, 0xc05000c
	s_set_vgpr_msb 0                        ;  msbs: dst=0 src0=0 src1=0 src2=0
	s_delay_alu instid0(VALU_DEP_2) | instskip(NEXT) | instid1(VALU_DEP_2)
	v_mul_lo_u32 v6, v6, v239
	v_or_b32_e32 v215, v7, v215
	s_set_vgpr_msb 5                        ;  msbs: dst=0 src0=1 src1=1 src2=0
	v_perm_b32 v7, v28 /*v284*/, v29 /*v285*/, 0x5000c0c
	s_set_vgpr_msb 0                        ;  msbs: dst=0 src0=0 src1=0 src2=0
	s_delay_alu instid0(VALU_DEP_2) | instskip(SKIP_4) | instid1(VALU_DEP_2)
	v_dot4_i32_iu8 v1, v2, v215, v1 neg_lo:[1,1,0]
	v_dot4_i32_iu8 v2, v232, v249, v5 neg_lo:[1,1,0]
	s_set_vgpr_msb 5                        ;  msbs: dst=0 src0=1 src1=1 src2=0
	v_perm_b32 v5, v30 /*v286*/, v31 /*v287*/, 0xc0c0500
	s_set_vgpr_msb 1                        ;  msbs: dst=0 src0=1 src1=0 src2=0
	v_mad_i32_i24 v2, v49 /*v305*/, v231, v2
	s_set_vgpr_msb 0                        ;  msbs: dst=0 src0=0 src1=0 src2=0
	s_delay_alu instid0(VALU_DEP_2) | instskip(NEXT) | instid1(VALU_DEP_2)
	v_or_b32_e32 v232, v7, v5
	v_dot4_i32_iu8 v2, v234, v199, v2 neg_lo:[1,1,0]
	s_delay_alu instid0(VALU_DEP_2) | instskip(NEXT) | instid1(VALU_DEP_2)
	v_dot4_i32_iu8 v1, v3, v232, v1 neg_lo:[1,1,0]
	v_mad_u32 v4, v2, v239, v4
	s_delay_alu instid0(VALU_DEP_2) | instskip(NEXT) | instid1(VALU_DEP_2)
	v_mad_u32 v1, v1, v248, v6
	v_cvt_f32_i32_e32 v4, v4
	s_delay_alu instid0(VALU_DEP_2) | instskip(SKIP_2) | instid1(VALU_DEP_2)
	v_pk_mul_f32 v[2:3], v[0:1], v[114:115] op_sel_hi:[0,1]
	v_cvt_f32_i32_e32 v5, v1
	v_or_b32_e32 v1, s18, v124
	v_pk_fma_f32 v[40:41], v[2:3], v[4:5], v[40:41]
	s_delay_alu instid0(VALU_DEP_2)
	v_dual_lshlrev_b32 v6, 2, v1 :: v_dual_lshrrev_b32 v1, 1, v1
	ds_load_b32 v1, v1 offset:38816
	ds_load_b128 v[2:5], v6 offset:25344
	ds_load_b128 v[222:225], v6 offset:25360
	s_wait_dscnt 0x1
	v_bfe_i32 v7, v2, 0, 8
	v_bfe_i32 v115, v2, 8, 8
	v_perm_b32 v2, v2, v2, 0xc0c0302
	v_bfe_i32 v216, v3, 0, 8
	v_perm_b32 v3, v3, v3, 0xc030201
	;; [unrolled: 2-line block ×4, first 2 shown]
	s_wait_dscnt 0x0
	v_bfe_i32 v226, v222, 0, 8
	v_bfe_i32 v227, v222, 8, 8
	v_perm_b32 v222, v222, v222, 0xc0c0302
	v_bfe_i32 v234, v223, 0, 8
	v_perm_b32 v223, v223, v223, 0xc030201
	;; [unrolled: 2-line block ×4, first 2 shown]
	v_mul_i32_i24_e32 v6, v7, v166
	v_mul_i32_i24_e32 v114, v226, v174
	;; [unrolled: 1-line block ×3, first 2 shown]
	s_delay_alu instid0(VALU_DEP_3) | instskip(NEXT) | instid1(VALU_DEP_3)
	v_mad_i32_i24 v6, v115, v167, v6
	v_mad_i32_i24 v114, v227, v175, v114
	s_delay_alu instid0(VALU_DEP_3) | instskip(NEXT) | instid1(VALU_DEP_3)
	v_mad_i32_i24 v253, v227, v192, v253
	v_dot4_i32_iu8 v6, v2, v168, v6 neg_lo:[1,1,0]
	s_delay_alu instid0(VALU_DEP_3) | instskip(NEXT) | instid1(VALU_DEP_3)
	v_dot4_i32_iu8 v114, v222, v176, v114 neg_lo:[1,1,0]
	v_dot4_i32_iu8 v253, v222, v193, v253 neg_lo:[1,1,0]
	s_delay_alu instid0(VALU_DEP_3) | instskip(NEXT) | instid1(VALU_DEP_3)
	v_mad_i32_i24 v6, v216, v170, v6
	v_mad_i32_i24 v114, v234, v178, v114
	s_delay_alu instid0(VALU_DEP_3) | instskip(NEXT) | instid1(VALU_DEP_3)
	v_mad_i32_i24 v253, v234, v194, v253
	v_dot4_i32_iu8 v6, v3, v172, v6 neg_lo:[1,1,0]
	s_delay_alu instid0(VALU_DEP_3) | instskip(NEXT) | instid1(VALU_DEP_3)
	v_dot4_i32_iu8 v114, v223, v180, v114 neg_lo:[1,1,0]
	v_dot4_i32_iu8 v253, v223, v197, v253 neg_lo:[1,1,0]
	;; [unrolled: 9-line block ×4, first 2 shown]
	s_delay_alu instid0(VALU_DEP_3) | instskip(NEXT) | instid1(VALU_DEP_1)
	v_mul_lo_u32 v6, v6, v173
	v_mad_u32 v6, v114, v181, v6
	v_mul_f32_e32 v114, v165, v1
	s_delay_alu instid0(VALU_DEP_2) | instskip(NEXT) | instid1(VALU_DEP_1)
	v_cvt_f32_i32_e32 v6, v6
	v_mul_f32_e32 v6, v114, v6
	v_mul_i32_i24_e32 v114, v7, v183
	s_delay_alu instid0(VALU_DEP_1) | instskip(NEXT) | instid1(VALU_DEP_1)
	v_mad_i32_i24 v114, v115, v184, v114
	v_dot4_i32_iu8 v114, v2, v185, v114 neg_lo:[1,1,0]
	s_delay_alu instid0(VALU_DEP_1) | instskip(NEXT) | instid1(VALU_DEP_1)
	v_mad_i32_i24 v114, v216, v186, v114
	v_dot4_i32_iu8 v114, v3, v189, v114 neg_lo:[1,1,0]
	;; [unrolled: 3-line block ×4, first 2 shown]
	s_delay_alu instid0(VALU_DEP_1) | instskip(NEXT) | instid1(VALU_DEP_1)
	v_mul_lo_u32 v114, v114, v190
	v_mad_u32 v114, v253, v198, v114
	v_mul_f32_e32 v253, v182, v1
	s_delay_alu instid0(VALU_DEP_2) | instskip(NEXT) | instid1(VALU_DEP_1)
	v_cvt_f32_i32_e32 v114, v114
	v_mul_f32_e32 v114, v253, v114
	v_mul_i32_i24_e32 v253, v7, v201
	s_set_vgpr_msb 1                        ;  msbs: dst=0 src0=1 src1=0 src2=0
	v_mul_i32_i24_e32 v7, v14 /*v270*/, v7
	s_set_vgpr_msb 0                        ;  msbs: dst=0 src0=0 src1=0 src2=0
	s_delay_alu instid0(VALU_DEP_2) | instskip(SKIP_1) | instid1(VALU_DEP_2)
	v_mad_i32_i24 v253, v115, v202, v253
	s_set_vgpr_msb 1                        ;  msbs: dst=0 src0=1 src1=0 src2=0
	v_mad_i32_i24 v7, v3 /*v259*/, v115, v7
	s_set_vgpr_msb 0                        ;  msbs: dst=0 src0=0 src1=0 src2=0
	s_delay_alu instid0(VALU_DEP_2) | instskip(SKIP_1) | instid1(VALU_DEP_2)
	v_dot4_i32_iu8 v253, v2, v203, v253 neg_lo:[1,1,0]
	s_set_vgpr_msb 1                        ;  msbs: dst=0 src0=1 src1=0 src2=0
	v_dot4_i32_iu8 v2, v4 /*v260*/, v2, v7 neg_lo:[1,1,0]
	s_set_vgpr_msb 0                        ;  msbs: dst=0 src0=0 src1=0 src2=0
	s_delay_alu instid0(VALU_DEP_2) | instskip(NEXT) | instid1(VALU_DEP_2)
	v_mad_i32_i24 v253, v216, v204, v253
	v_mad_i32_i24 v2, v245, v216, v2
	s_delay_alu instid0(VALU_DEP_2) | instskip(NEXT) | instid1(VALU_DEP_2)
	v_dot4_i32_iu8 v253, v3, v207, v253 neg_lo:[1,1,0]
	v_dot4_i32_iu8 v2, v238, v3, v2 neg_lo:[1,1,0]
	s_set_vgpr_msb 1                        ;  msbs: dst=0 src0=1 src1=0 src2=0
	v_mul_i32_i24_e32 v3, v20 /*v276*/, v226
	s_set_vgpr_msb 0                        ;  msbs: dst=0 src0=0 src1=0 src2=0
	v_mad_i32_i24 v253, v205, v219, v253
	s_set_vgpr_msb 4                        ;  msbs: dst=0 src0=0 src1=1 src2=0
	v_mad_i32_i24 v2, v219, v13 /*v269*/, v2
	s_set_vgpr_msb 1                        ;  msbs: dst=0 src0=1 src1=0 src2=0
	v_mad_i32_i24 v3, v17 /*v273*/, v227, v3
	s_set_vgpr_msb 0                        ;  msbs: dst=0 src0=0 src1=0 src2=0
	v_dot4_i32_iu8 v253, v236, v4, v253 neg_lo:[1,1,0]
	v_dot4_i32_iu8 v2, v4, v215, v2 neg_lo:[1,1,0]
	s_delay_alu instid0(VALU_DEP_3) | instskip(NEXT) | instid1(VALU_DEP_3)
	v_dot4_i32_iu8 v3, v220, v222, v3 neg_lo:[1,1,0]
	v_mad_i32_i24 v218, v206, v218, v253
	s_delay_alu instid0(VALU_DEP_3) | instskip(NEXT) | instid1(VALU_DEP_3)
	v_dot4_i32_iu8 v2, v232, v5, v2 neg_lo:[1,1,0]
	v_mad_i32_i24 v3, v246, v234, v3
	s_delay_alu instid0(VALU_DEP_3) | instskip(SKIP_1) | instid1(VALU_DEP_3)
	v_dot4_i32_iu8 v218, v237, v252, v218 neg_lo:[1,1,0]
	v_mul_i32_i24_e32 v252, v226, v209
	v_dot4_i32_iu8 v3, v230, v223, v3 neg_lo:[1,1,0]
	v_mul_lo_u32 v2, v2, v248
	s_delay_alu instid0(VALU_DEP_4) | instskip(NEXT) | instid1(VALU_DEP_4)
	v_mul_lo_u32 v218, v218, v208
	v_mad_i32_i24 v252, v227, v210, v252
	s_set_vgpr_msb 4                        ;  msbs: dst=0 src0=0 src1=1 src2=0
	v_mad_i32_i24 v3, v250, v32 /*v288*/, v3
	s_set_vgpr_msb 0                        ;  msbs: dst=0 src0=0 src1=0 src2=0
	s_delay_alu instid0(VALU_DEP_2) | instskip(NEXT) | instid1(VALU_DEP_2)
	v_dot4_i32_iu8 v252, v222, v211, v252 neg_lo:[1,1,0]
	v_dot4_i32_iu8 v3, v224, v249, v3 neg_lo:[1,1,0]
	s_delay_alu instid0(VALU_DEP_2) | instskip(NEXT) | instid1(VALU_DEP_2)
	v_mad_i32_i24 v252, v234, v212, v252
	v_mad_i32_i24 v3, v231, v251, v3
	s_delay_alu instid0(VALU_DEP_2) | instskip(NEXT) | instid1(VALU_DEP_2)
	v_dot4_i32_iu8 v252, v223, v217, v252 neg_lo:[1,1,0]
	v_dot4_i32_iu8 v3, v199, v225, v3 neg_lo:[1,1,0]
	s_delay_alu instid0(VALU_DEP_2) | instskip(NEXT) | instid1(VALU_DEP_2)
	v_mad_i32_i24 v252, v213, v250, v252
	v_mad_u32 v2, v3, v239, v2
	s_delay_alu instid0(VALU_DEP_2) | instskip(NEXT) | instid1(VALU_DEP_1)
	v_dot4_i32_iu8 v252, v244, v224, v252 neg_lo:[1,1,0]
	v_mad_i32_i24 v252, v214, v251, v252
	s_delay_alu instid0(VALU_DEP_3) | instskip(NEXT) | instid1(VALU_DEP_2)
	v_cvt_f32_i32_e32 v2, v2
	v_dot4_i32_iu8 v252, v247, v225, v252 neg_lo:[1,1,0]
	s_delay_alu instid0(VALU_DEP_1) | instskip(SKIP_2) | instid1(VALU_DEP_1)
	v_mad_u32 v218, v252, v221, v218
	v_mul_f32_e32 v252, v200, v1
	v_mul_f32_e32 v1, v0, v1
	v_dual_mul_f32 v226, v1, v2 :: v_dual_bitop2_b32 v1, s18, v125 bitop3:0x54
	s_delay_alu instid0(VALU_DEP_4) | instskip(NEXT) | instid1(VALU_DEP_2)
	v_cvt_f32_i32_e32 v218, v218
	v_dual_lshlrev_b32 v7, 2, v1 :: v_dual_lshrrev_b32 v1, 1, v1
	ds_load_b32 v1, v1 offset:38816
	ds_load_b128 v[2:5], v7 offset:25344
	ds_load_b128 v[222:225], v7 offset:25360
	v_mul_f32_e32 v218, v252, v218
	s_wait_dscnt 0x1
	v_bfe_i32 v216, v2, 0, 8
	v_bfe_i32 v227, v2, 8, 8
	v_perm_b32 v2, v2, v2, 0xc0c0302
	v_bfe_i32 v234, v3, 0, 8
	v_perm_b32 v3, v3, v3, 0xc030201
	;; [unrolled: 2-line block ×3, first 2 shown]
	v_bfe_i32 v219, v5, 0, 8
	s_set_vgpr_msb 64                       ;  msbs: dst=1 src0=0 src1=0 src2=0
	v_perm_b32 v0 /*v256*/, v5, v5, 0xc030201
	s_wait_dscnt 0x0
	s_set_vgpr_msb 0                        ;  msbs: dst=0 src0=0 src1=0 src2=0
	v_bfe_i32 v251, v222, 0, 8
	v_bfe_i32 v252, v222, 8, 8
	v_perm_b32 v222, v222, v222, 0xc0c0302
	v_bfe_i32 v253, v223, 0, 8
	v_perm_b32 v223, v223, v223, 0xc030201
	v_bfe_i32 v254, v224, 0, 8
	v_perm_b32 v224, v224, v224, 0xc030201
	v_bfe_i32 v255, v225, 0, 8
	v_perm_b32 v225, v225, v225, 0xc030201
	v_mul_i32_i24_e32 v7, v216, v166
	v_mul_i32_i24_e32 v115, v251, v174
	s_delay_alu instid0(VALU_DEP_2) | instskip(NEXT) | instid1(VALU_DEP_2)
	v_mad_i32_i24 v7, v227, v167, v7
	v_mad_i32_i24 v115, v252, v175, v115
	s_delay_alu instid0(VALU_DEP_2) | instskip(NEXT) | instid1(VALU_DEP_2)
	v_dot4_i32_iu8 v7, v2, v168, v7 neg_lo:[1,1,0]
	v_dot4_i32_iu8 v115, v222, v176, v115 neg_lo:[1,1,0]
	s_delay_alu instid0(VALU_DEP_2) | instskip(NEXT) | instid1(VALU_DEP_2)
	v_mad_i32_i24 v7, v234, v170, v7
	v_mad_i32_i24 v115, v253, v178, v115
	s_delay_alu instid0(VALU_DEP_2) | instskip(NEXT) | instid1(VALU_DEP_2)
	v_dot4_i32_iu8 v7, v3, v172, v7 neg_lo:[1,1,0]
	v_dot4_i32_iu8 v115, v223, v180, v115 neg_lo:[1,1,0]
	s_delay_alu instid0(VALU_DEP_2) | instskip(NEXT) | instid1(VALU_DEP_2)
	v_mad_i32_i24 v7, v169, v250, v7
	v_mad_i32_i24 v115, v177, v254, v115
	s_delay_alu instid0(VALU_DEP_2) | instskip(NEXT) | instid1(VALU_DEP_2)
	v_dot4_i32_iu8 v7, v228, v4, v7 neg_lo:[1,1,0]
	v_dot4_i32_iu8 v115, v233, v224, v115 neg_lo:[1,1,0]
	s_delay_alu instid0(VALU_DEP_2) | instskip(NEXT) | instid1(VALU_DEP_2)
	v_mad_i32_i24 v7, v171, v219, v7
	v_mad_i32_i24 v115, v179, v255, v115
	s_set_vgpr_msb 4                        ;  msbs: dst=0 src0=0 src1=1 src2=0
	s_delay_alu instid0(VALU_DEP_2) | instskip(SKIP_1) | instid1(VALU_DEP_2)
	v_dot4_i32_iu8 v7, v229, v0 /*v256*/, v7 neg_lo:[1,1,0]
	s_set_vgpr_msb 0                        ;  msbs: dst=0 src0=0 src1=0 src2=0
	v_dot4_i32_iu8 v115, v235, v225, v115 neg_lo:[1,1,0]
	s_delay_alu instid0(VALU_DEP_2) | instskip(NEXT) | instid1(VALU_DEP_1)
	v_mul_lo_u32 v7, v7, v173
	v_mad_u32 v7, v115, v181, v7
	v_mul_f32_e32 v115, v165, v1
	s_delay_alu instid0(VALU_DEP_2) | instskip(NEXT) | instid1(VALU_DEP_1)
	v_cvt_f32_i32_e32 v7, v7
	v_mul_f32_e32 v7, v115, v7
	s_delay_alu instid0(VALU_DEP_1) | instskip(SKIP_2) | instid1(VALU_DEP_2)
	v_pk_add_f32 v[38:39], v[38:39], v[6:7]
	v_mul_i32_i24_e32 v6, v216, v183
	v_mul_i32_i24_e32 v7, v251, v191
	v_mad_i32_i24 v6, v227, v184, v6
	s_delay_alu instid0(VALU_DEP_2) | instskip(NEXT) | instid1(VALU_DEP_2)
	v_mad_i32_i24 v7, v252, v192, v7
	v_dot4_i32_iu8 v6, v2, v185, v6 neg_lo:[1,1,0]
	s_delay_alu instid0(VALU_DEP_2) | instskip(NEXT) | instid1(VALU_DEP_2)
	v_dot4_i32_iu8 v7, v222, v193, v7 neg_lo:[1,1,0]
	v_mad_i32_i24 v6, v234, v186, v6
	s_delay_alu instid0(VALU_DEP_2) | instskip(NEXT) | instid1(VALU_DEP_2)
	v_mad_i32_i24 v7, v253, v194, v7
	v_dot4_i32_iu8 v6, v3, v189, v6 neg_lo:[1,1,0]
	s_delay_alu instid0(VALU_DEP_2) | instskip(NEXT) | instid1(VALU_DEP_2)
	v_dot4_i32_iu8 v7, v223, v197, v7 neg_lo:[1,1,0]
	;; [unrolled: 6-line block ×3, first 2 shown]
	v_mad_i32_i24 v6, v188, v219, v6
	s_delay_alu instid0(VALU_DEP_2) | instskip(SKIP_1) | instid1(VALU_DEP_2)
	v_mad_i32_i24 v7, v196, v255, v7
	s_set_vgpr_msb 4                        ;  msbs: dst=0 src0=0 src1=1 src2=0
	v_dot4_i32_iu8 v6, v241, v0 /*v256*/, v6 neg_lo:[1,1,0]
	s_set_vgpr_msb 0                        ;  msbs: dst=0 src0=0 src1=0 src2=0
	s_delay_alu instid0(VALU_DEP_2) | instskip(NEXT) | instid1(VALU_DEP_2)
	v_dot4_i32_iu8 v7, v243, v225, v7 neg_lo:[1,1,0]
	v_mul_lo_u32 v6, v6, v190
	s_delay_alu instid0(VALU_DEP_1) | instskip(SKIP_1) | instid1(VALU_DEP_2)
	v_mad_u32 v6, v7, v198, v6
	v_mul_f32_e32 v7, v182, v1
	v_cvt_f32_i32_e32 v6, v6
	s_delay_alu instid0(VALU_DEP_1) | instskip(SKIP_2) | instid1(VALU_DEP_3)
	v_mul_f32_e32 v115, v7, v6
	v_mul_i32_i24_e32 v6, v216, v201
	v_mul_i32_i24_e32 v7, v251, v209
	v_pk_add_f32 v[36:37], v[36:37], v[114:115]
	s_delay_alu instid0(VALU_DEP_3) | instskip(NEXT) | instid1(VALU_DEP_3)
	v_mad_i32_i24 v6, v227, v202, v6
	v_mad_i32_i24 v7, v252, v210, v7
	s_delay_alu instid0(VALU_DEP_2) | instskip(NEXT) | instid1(VALU_DEP_2)
	v_dot4_i32_iu8 v6, v2, v203, v6 neg_lo:[1,1,0]
	v_dot4_i32_iu8 v7, v222, v211, v7 neg_lo:[1,1,0]
	s_delay_alu instid0(VALU_DEP_2) | instskip(NEXT) | instid1(VALU_DEP_2)
	v_mad_i32_i24 v6, v234, v204, v6
	v_mad_i32_i24 v7, v253, v212, v7
	s_delay_alu instid0(VALU_DEP_2) | instskip(NEXT) | instid1(VALU_DEP_2)
	v_dot4_i32_iu8 v6, v3, v207, v6 neg_lo:[1,1,0]
	v_dot4_i32_iu8 v7, v223, v217, v7 neg_lo:[1,1,0]
	s_delay_alu instid0(VALU_DEP_2) | instskip(NEXT) | instid1(VALU_DEP_2)
	;; [unrolled: 6-line block ×3, first 2 shown]
	v_mad_i32_i24 v6, v206, v219, v6
	v_mad_i32_i24 v7, v214, v255, v7
	s_set_vgpr_msb 4                        ;  msbs: dst=0 src0=0 src1=1 src2=0
	s_delay_alu instid0(VALU_DEP_2) | instskip(SKIP_1) | instid1(VALU_DEP_2)
	v_dot4_i32_iu8 v6, v237, v0 /*v256*/, v6 neg_lo:[1,1,0]
	s_set_vgpr_msb 0                        ;  msbs: dst=0 src0=0 src1=0 src2=0
	v_dot4_i32_iu8 v7, v247, v225, v7 neg_lo:[1,1,0]
	s_delay_alu instid0(VALU_DEP_2) | instskip(NEXT) | instid1(VALU_DEP_1)
	v_mul_lo_u32 v6, v6, v208
	v_mad_u32 v6, v7, v221, v6
	v_mul_f32_e32 v7, v200, v1
	v_mul_f32_e32 v1, v0, v1
	s_delay_alu instid0(VALU_DEP_3) | instskip(NEXT) | instid1(VALU_DEP_1)
	v_cvt_f32_i32_e32 v6, v6
	v_mul_f32_e32 v219, v7, v6
	s_set_vgpr_msb 1                        ;  msbs: dst=0 src0=1 src1=0 src2=0
	v_mul_i32_i24_e32 v6, v14 /*v270*/, v216
	s_set_vgpr_msb 0                        ;  msbs: dst=0 src0=0 src1=0 src2=0
	s_delay_alu instid0(VALU_DEP_2) | instskip(SKIP_1) | instid1(VALU_DEP_2)
	v_pk_add_f32 v[34:35], v[34:35], v[218:219]
	s_set_vgpr_msb 1                        ;  msbs: dst=0 src0=1 src1=0 src2=0
	v_mad_i32_i24 v6, v3 /*v259*/, v227, v6
	s_delay_alu instid0(VALU_DEP_1) | instskip(SKIP_1) | instid1(VALU_DEP_1)
	v_dot4_i32_iu8 v2, v4 /*v260*/, v2, v6 neg_lo:[1,1,0]
	s_set_vgpr_msb 0                        ;  msbs: dst=0 src0=0 src1=0 src2=0
	v_mad_i32_i24 v2, v245, v234, v2
	s_delay_alu instid0(VALU_DEP_1) | instskip(SKIP_3) | instid1(VALU_DEP_2)
	v_dot4_i32_iu8 v2, v238, v3, v2 neg_lo:[1,1,0]
	s_set_vgpr_msb 1                        ;  msbs: dst=0 src0=1 src1=0 src2=0
	v_mul_i32_i24_e32 v3, v20 /*v276*/, v251
	s_set_vgpr_msb 4                        ;  msbs: dst=0 src0=0 src1=1 src2=0
	v_mad_i32_i24 v2, v250, v13 /*v269*/, v2
	s_set_vgpr_msb 1                        ;  msbs: dst=0 src0=1 src1=0 src2=0
	s_delay_alu instid0(VALU_DEP_2) | instskip(SKIP_1) | instid1(VALU_DEP_2)
	v_mad_i32_i24 v3, v17 /*v273*/, v252, v3
	s_set_vgpr_msb 0                        ;  msbs: dst=0 src0=0 src1=0 src2=0
	v_dot4_i32_iu8 v2, v4, v215, v2 neg_lo:[1,1,0]
	s_delay_alu instid0(VALU_DEP_2) | instskip(NEXT) | instid1(VALU_DEP_2)
	v_dot4_i32_iu8 v3, v220, v222, v3 neg_lo:[1,1,0]
	v_dot4_i32_iu8 v2, v232, v5, v2 neg_lo:[1,1,0]
	s_delay_alu instid0(VALU_DEP_2) | instskip(NEXT) | instid1(VALU_DEP_2)
	v_mad_i32_i24 v3, v246, v253, v3
	v_mul_lo_u32 v2, v2, v248
	s_delay_alu instid0(VALU_DEP_2) | instskip(SKIP_1) | instid1(VALU_DEP_1)
	v_dot4_i32_iu8 v3, v230, v223, v3 neg_lo:[1,1,0]
	s_set_vgpr_msb 4                        ;  msbs: dst=0 src0=0 src1=1 src2=0
	v_mad_i32_i24 v3, v254, v32 /*v288*/, v3
	s_set_vgpr_msb 0                        ;  msbs: dst=0 src0=0 src1=0 src2=0
	s_delay_alu instid0(VALU_DEP_1) | instskip(NEXT) | instid1(VALU_DEP_1)
	v_dot4_i32_iu8 v3, v224, v249, v3 neg_lo:[1,1,0]
	v_mad_i32_i24 v3, v231, v255, v3
	s_delay_alu instid0(VALU_DEP_1) | instskip(NEXT) | instid1(VALU_DEP_1)
	v_dot4_i32_iu8 v3, v199, v225, v3 neg_lo:[1,1,0]
	v_mad_u32 v2, v3, v239, v2
	s_delay_alu instid0(VALU_DEP_1) | instskip(NEXT) | instid1(VALU_DEP_1)
	v_cvt_f32_i32_e32 v2, v2
	v_mul_f32_e32 v227, v1, v2
	v_or_b32_e32 v1, s18, v126
	s_delay_alu instid0(VALU_DEP_2) | instskip(NEXT) | instid1(VALU_DEP_2)
	v_pk_add_f32 v[30:31], v[30:31], v[226:227]
	v_dual_lshlrev_b32 v6, 2, v1 :: v_dual_lshrrev_b32 v1, 1, v1
	ds_load_b32 v1, v1 offset:38816
	ds_load_b128 v[2:5], v6 offset:25344
	ds_load_b128 v[222:225], v6 offset:25360
	s_wait_dscnt 0x1
	v_bfe_i32 v7, v2, 0, 8
	v_bfe_i32 v115, v2, 8, 8
	v_perm_b32 v2, v2, v2, 0xc0c0302
	v_bfe_i32 v216, v3, 0, 8
	v_perm_b32 v3, v3, v3, 0xc030201
	;; [unrolled: 2-line block ×4, first 2 shown]
	s_wait_dscnt 0x0
	v_bfe_i32 v226, v222, 0, 8
	v_bfe_i32 v227, v222, 8, 8
	v_perm_b32 v222, v222, v222, 0xc0c0302
	v_bfe_i32 v234, v223, 0, 8
	v_perm_b32 v223, v223, v223, 0xc030201
	;; [unrolled: 2-line block ×4, first 2 shown]
	v_mul_i32_i24_e32 v6, v7, v166
	v_mul_i32_i24_e32 v114, v226, v174
	v_mul_i32_i24_e32 v253, v226, v191
	s_delay_alu instid0(VALU_DEP_3) | instskip(NEXT) | instid1(VALU_DEP_3)
	v_mad_i32_i24 v6, v115, v167, v6
	v_mad_i32_i24 v114, v227, v175, v114
	s_delay_alu instid0(VALU_DEP_3) | instskip(NEXT) | instid1(VALU_DEP_3)
	v_mad_i32_i24 v253, v227, v192, v253
	v_dot4_i32_iu8 v6, v2, v168, v6 neg_lo:[1,1,0]
	s_delay_alu instid0(VALU_DEP_3) | instskip(NEXT) | instid1(VALU_DEP_3)
	v_dot4_i32_iu8 v114, v222, v176, v114 neg_lo:[1,1,0]
	v_dot4_i32_iu8 v253, v222, v193, v253 neg_lo:[1,1,0]
	s_delay_alu instid0(VALU_DEP_3) | instskip(NEXT) | instid1(VALU_DEP_3)
	v_mad_i32_i24 v6, v216, v170, v6
	v_mad_i32_i24 v114, v234, v178, v114
	s_delay_alu instid0(VALU_DEP_3) | instskip(NEXT) | instid1(VALU_DEP_3)
	v_mad_i32_i24 v253, v234, v194, v253
	v_dot4_i32_iu8 v6, v3, v172, v6 neg_lo:[1,1,0]
	s_delay_alu instid0(VALU_DEP_3) | instskip(NEXT) | instid1(VALU_DEP_3)
	v_dot4_i32_iu8 v114, v223, v180, v114 neg_lo:[1,1,0]
	v_dot4_i32_iu8 v253, v223, v197, v253 neg_lo:[1,1,0]
	;; [unrolled: 9-line block ×4, first 2 shown]
	s_delay_alu instid0(VALU_DEP_3) | instskip(NEXT) | instid1(VALU_DEP_1)
	v_mul_lo_u32 v6, v6, v173
	v_mad_u32 v6, v114, v181, v6
	v_mul_f32_e32 v114, v165, v1
	s_delay_alu instid0(VALU_DEP_2) | instskip(NEXT) | instid1(VALU_DEP_1)
	v_cvt_f32_i32_e32 v6, v6
	v_mul_f32_e32 v6, v114, v6
	v_mul_i32_i24_e32 v114, v7, v183
	s_delay_alu instid0(VALU_DEP_1) | instskip(NEXT) | instid1(VALU_DEP_1)
	v_mad_i32_i24 v114, v115, v184, v114
	v_dot4_i32_iu8 v114, v2, v185, v114 neg_lo:[1,1,0]
	s_delay_alu instid0(VALU_DEP_1) | instskip(NEXT) | instid1(VALU_DEP_1)
	v_mad_i32_i24 v114, v216, v186, v114
	v_dot4_i32_iu8 v114, v3, v189, v114 neg_lo:[1,1,0]
	;; [unrolled: 3-line block ×4, first 2 shown]
	s_delay_alu instid0(VALU_DEP_1) | instskip(NEXT) | instid1(VALU_DEP_1)
	v_mul_lo_u32 v114, v114, v190
	v_mad_u32 v114, v253, v198, v114
	v_mul_f32_e32 v253, v182, v1
	s_delay_alu instid0(VALU_DEP_2) | instskip(NEXT) | instid1(VALU_DEP_1)
	v_cvt_f32_i32_e32 v114, v114
	v_mul_f32_e32 v114, v253, v114
	v_mul_i32_i24_e32 v253, v7, v201
	s_set_vgpr_msb 1                        ;  msbs: dst=0 src0=1 src1=0 src2=0
	v_mul_i32_i24_e32 v7, v14 /*v270*/, v7
	s_set_vgpr_msb 0                        ;  msbs: dst=0 src0=0 src1=0 src2=0
	s_delay_alu instid0(VALU_DEP_2) | instskip(SKIP_1) | instid1(VALU_DEP_2)
	v_mad_i32_i24 v253, v115, v202, v253
	s_set_vgpr_msb 1                        ;  msbs: dst=0 src0=1 src1=0 src2=0
	v_mad_i32_i24 v7, v3 /*v259*/, v115, v7
	s_set_vgpr_msb 0                        ;  msbs: dst=0 src0=0 src1=0 src2=0
	s_delay_alu instid0(VALU_DEP_2) | instskip(SKIP_1) | instid1(VALU_DEP_2)
	v_dot4_i32_iu8 v253, v2, v203, v253 neg_lo:[1,1,0]
	s_set_vgpr_msb 1                        ;  msbs: dst=0 src0=1 src1=0 src2=0
	v_dot4_i32_iu8 v2, v4 /*v260*/, v2, v7 neg_lo:[1,1,0]
	s_set_vgpr_msb 0                        ;  msbs: dst=0 src0=0 src1=0 src2=0
	s_delay_alu instid0(VALU_DEP_2) | instskip(NEXT) | instid1(VALU_DEP_2)
	v_mad_i32_i24 v253, v216, v204, v253
	v_mad_i32_i24 v2, v245, v216, v2
	s_delay_alu instid0(VALU_DEP_2) | instskip(NEXT) | instid1(VALU_DEP_2)
	v_dot4_i32_iu8 v253, v3, v207, v253 neg_lo:[1,1,0]
	v_dot4_i32_iu8 v2, v238, v3, v2 neg_lo:[1,1,0]
	s_set_vgpr_msb 1                        ;  msbs: dst=0 src0=1 src1=0 src2=0
	v_mul_i32_i24_e32 v3, v20 /*v276*/, v226
	s_set_vgpr_msb 0                        ;  msbs: dst=0 src0=0 src1=0 src2=0
	v_mad_i32_i24 v253, v205, v219, v253
	s_set_vgpr_msb 4                        ;  msbs: dst=0 src0=0 src1=1 src2=0
	v_mad_i32_i24 v2, v219, v13 /*v269*/, v2
	s_set_vgpr_msb 1                        ;  msbs: dst=0 src0=1 src1=0 src2=0
	v_mad_i32_i24 v3, v17 /*v273*/, v227, v3
	s_set_vgpr_msb 0                        ;  msbs: dst=0 src0=0 src1=0 src2=0
	v_dot4_i32_iu8 v253, v236, v4, v253 neg_lo:[1,1,0]
	v_dot4_i32_iu8 v2, v4, v215, v2 neg_lo:[1,1,0]
	s_delay_alu instid0(VALU_DEP_3) | instskip(NEXT) | instid1(VALU_DEP_3)
	v_dot4_i32_iu8 v3, v220, v222, v3 neg_lo:[1,1,0]
	v_mad_i32_i24 v218, v206, v218, v253
	s_delay_alu instid0(VALU_DEP_3) | instskip(NEXT) | instid1(VALU_DEP_3)
	v_dot4_i32_iu8 v2, v232, v5, v2 neg_lo:[1,1,0]
	v_mad_i32_i24 v3, v246, v234, v3
	s_delay_alu instid0(VALU_DEP_3) | instskip(SKIP_1) | instid1(VALU_DEP_3)
	v_dot4_i32_iu8 v218, v237, v252, v218 neg_lo:[1,1,0]
	v_mul_i32_i24_e32 v252, v226, v209
	v_dot4_i32_iu8 v3, v230, v223, v3 neg_lo:[1,1,0]
	v_mul_lo_u32 v2, v2, v248
	s_delay_alu instid0(VALU_DEP_4) | instskip(NEXT) | instid1(VALU_DEP_4)
	v_mul_lo_u32 v218, v218, v208
	v_mad_i32_i24 v252, v227, v210, v252
	s_set_vgpr_msb 4                        ;  msbs: dst=0 src0=0 src1=1 src2=0
	v_mad_i32_i24 v3, v250, v32 /*v288*/, v3
	s_set_vgpr_msb 0                        ;  msbs: dst=0 src0=0 src1=0 src2=0
	s_delay_alu instid0(VALU_DEP_2) | instskip(NEXT) | instid1(VALU_DEP_2)
	v_dot4_i32_iu8 v252, v222, v211, v252 neg_lo:[1,1,0]
	v_dot4_i32_iu8 v3, v224, v249, v3 neg_lo:[1,1,0]
	s_delay_alu instid0(VALU_DEP_2) | instskip(NEXT) | instid1(VALU_DEP_2)
	v_mad_i32_i24 v252, v234, v212, v252
	v_mad_i32_i24 v3, v231, v251, v3
	s_delay_alu instid0(VALU_DEP_2) | instskip(NEXT) | instid1(VALU_DEP_2)
	v_dot4_i32_iu8 v252, v223, v217, v252 neg_lo:[1,1,0]
	v_dot4_i32_iu8 v3, v199, v225, v3 neg_lo:[1,1,0]
	s_delay_alu instid0(VALU_DEP_2) | instskip(NEXT) | instid1(VALU_DEP_2)
	v_mad_i32_i24 v252, v213, v250, v252
	v_mad_u32 v2, v3, v239, v2
	s_delay_alu instid0(VALU_DEP_2) | instskip(NEXT) | instid1(VALU_DEP_1)
	v_dot4_i32_iu8 v252, v244, v224, v252 neg_lo:[1,1,0]
	v_mad_i32_i24 v252, v214, v251, v252
	s_delay_alu instid0(VALU_DEP_3) | instskip(NEXT) | instid1(VALU_DEP_2)
	v_cvt_f32_i32_e32 v2, v2
	v_dot4_i32_iu8 v252, v247, v225, v252 neg_lo:[1,1,0]
	s_delay_alu instid0(VALU_DEP_1) | instskip(SKIP_2) | instid1(VALU_DEP_1)
	v_mad_u32 v218, v252, v221, v218
	v_mul_f32_e32 v252, v200, v1
	v_mul_f32_e32 v1, v0, v1
	v_dual_mul_f32 v226, v1, v2 :: v_dual_bitop2_b32 v1, s18, v127 bitop3:0x54
	s_delay_alu instid0(VALU_DEP_4) | instskip(NEXT) | instid1(VALU_DEP_2)
	v_cvt_f32_i32_e32 v218, v218
	v_dual_lshlrev_b32 v7, 2, v1 :: v_dual_lshrrev_b32 v1, 1, v1
	ds_load_b32 v1, v1 offset:38816
	ds_load_b128 v[2:5], v7 offset:25344
	ds_load_b128 v[222:225], v7 offset:25360
	v_mul_f32_e32 v218, v252, v218
	s_wait_dscnt 0x1
	v_bfe_i32 v216, v2, 0, 8
	v_bfe_i32 v227, v2, 8, 8
	v_perm_b32 v2, v2, v2, 0xc0c0302
	v_bfe_i32 v234, v3, 0, 8
	v_perm_b32 v3, v3, v3, 0xc030201
	;; [unrolled: 2-line block ×3, first 2 shown]
	v_bfe_i32 v219, v5, 0, 8
	s_wait_dscnt 0x0
	v_bfe_i32 v251, v222, 0, 8
	v_bfe_i32 v252, v222, 8, 8
	v_perm_b32 v222, v222, v222, 0xc0c0302
	v_bfe_i32 v253, v223, 0, 8
	v_mul_i32_i24_e32 v7, v216, v166
	v_mul_i32_i24_e32 v115, v251, v174
	v_perm_b32 v223, v223, v223, 0xc030201
	v_bfe_i32 v254, v224, 0, 8
	s_set_vgpr_msb 64                       ;  msbs: dst=1 src0=0 src1=0 src2=0
	v_perm_b32 v0 /*v256*/, v5, v5, 0xc030201
	s_set_vgpr_msb 0                        ;  msbs: dst=0 src0=0 src1=0 src2=0
	v_mad_i32_i24 v7, v227, v167, v7
	v_mad_i32_i24 v115, v252, v175, v115
	v_perm_b32 v224, v224, v224, 0xc030201
	v_bfe_i32 v255, v225, 0, 8
	v_perm_b32 v225, v225, v225, 0xc030201
	v_dot4_i32_iu8 v7, v2, v168, v7 neg_lo:[1,1,0]
	v_dot4_i32_iu8 v115, v222, v176, v115 neg_lo:[1,1,0]
	s_delay_alu instid0(VALU_DEP_2) | instskip(NEXT) | instid1(VALU_DEP_2)
	v_mad_i32_i24 v7, v234, v170, v7
	v_mad_i32_i24 v115, v253, v178, v115
	s_delay_alu instid0(VALU_DEP_2) | instskip(NEXT) | instid1(VALU_DEP_2)
	v_dot4_i32_iu8 v7, v3, v172, v7 neg_lo:[1,1,0]
	v_dot4_i32_iu8 v115, v223, v180, v115 neg_lo:[1,1,0]
	s_delay_alu instid0(VALU_DEP_2) | instskip(NEXT) | instid1(VALU_DEP_2)
	v_mad_i32_i24 v7, v169, v250, v7
	v_mad_i32_i24 v115, v177, v254, v115
	s_delay_alu instid0(VALU_DEP_2) | instskip(NEXT) | instid1(VALU_DEP_2)
	v_dot4_i32_iu8 v7, v228, v4, v7 neg_lo:[1,1,0]
	v_dot4_i32_iu8 v115, v233, v224, v115 neg_lo:[1,1,0]
	s_delay_alu instid0(VALU_DEP_2) | instskip(NEXT) | instid1(VALU_DEP_2)
	v_mad_i32_i24 v7, v171, v219, v7
	v_mad_i32_i24 v115, v179, v255, v115
	s_set_vgpr_msb 4                        ;  msbs: dst=0 src0=0 src1=1 src2=0
	s_delay_alu instid0(VALU_DEP_2) | instskip(SKIP_1) | instid1(VALU_DEP_2)
	v_dot4_i32_iu8 v7, v229, v0 /*v256*/, v7 neg_lo:[1,1,0]
	s_set_vgpr_msb 0                        ;  msbs: dst=0 src0=0 src1=0 src2=0
	v_dot4_i32_iu8 v115, v235, v225, v115 neg_lo:[1,1,0]
	s_delay_alu instid0(VALU_DEP_2) | instskip(NEXT) | instid1(VALU_DEP_1)
	v_mul_lo_u32 v7, v7, v173
	v_mad_u32 v7, v115, v181, v7
	v_mul_f32_e32 v115, v165, v1
	s_delay_alu instid0(VALU_DEP_2) | instskip(NEXT) | instid1(VALU_DEP_1)
	v_cvt_f32_i32_e32 v7, v7
	v_mul_f32_e32 v7, v115, v7
	s_delay_alu instid0(VALU_DEP_1) | instskip(SKIP_2) | instid1(VALU_DEP_2)
	v_pk_add_f32 v[28:29], v[28:29], v[6:7]
	v_mul_i32_i24_e32 v6, v216, v183
	v_mul_i32_i24_e32 v7, v251, v191
	v_mad_i32_i24 v6, v227, v184, v6
	s_delay_alu instid0(VALU_DEP_2) | instskip(NEXT) | instid1(VALU_DEP_2)
	v_mad_i32_i24 v7, v252, v192, v7
	v_dot4_i32_iu8 v6, v2, v185, v6 neg_lo:[1,1,0]
	s_delay_alu instid0(VALU_DEP_2) | instskip(NEXT) | instid1(VALU_DEP_2)
	v_dot4_i32_iu8 v7, v222, v193, v7 neg_lo:[1,1,0]
	v_mad_i32_i24 v6, v234, v186, v6
	s_delay_alu instid0(VALU_DEP_2) | instskip(NEXT) | instid1(VALU_DEP_2)
	v_mad_i32_i24 v7, v253, v194, v7
	v_dot4_i32_iu8 v6, v3, v189, v6 neg_lo:[1,1,0]
	s_delay_alu instid0(VALU_DEP_2) | instskip(NEXT) | instid1(VALU_DEP_2)
	v_dot4_i32_iu8 v7, v223, v197, v7 neg_lo:[1,1,0]
	;; [unrolled: 6-line block ×3, first 2 shown]
	v_mad_i32_i24 v6, v188, v219, v6
	s_delay_alu instid0(VALU_DEP_2) | instskip(SKIP_1) | instid1(VALU_DEP_2)
	v_mad_i32_i24 v7, v196, v255, v7
	s_set_vgpr_msb 4                        ;  msbs: dst=0 src0=0 src1=1 src2=0
	v_dot4_i32_iu8 v6, v241, v0 /*v256*/, v6 neg_lo:[1,1,0]
	s_set_vgpr_msb 0                        ;  msbs: dst=0 src0=0 src1=0 src2=0
	s_delay_alu instid0(VALU_DEP_2) | instskip(NEXT) | instid1(VALU_DEP_2)
	v_dot4_i32_iu8 v7, v243, v225, v7 neg_lo:[1,1,0]
	v_mul_lo_u32 v6, v6, v190
	s_delay_alu instid0(VALU_DEP_1) | instskip(SKIP_1) | instid1(VALU_DEP_2)
	v_mad_u32 v6, v7, v198, v6
	v_mul_f32_e32 v7, v182, v1
	v_cvt_f32_i32_e32 v6, v6
	s_delay_alu instid0(VALU_DEP_1) | instskip(SKIP_2) | instid1(VALU_DEP_3)
	v_mul_f32_e32 v115, v7, v6
	v_mul_i32_i24_e32 v6, v216, v201
	v_mul_i32_i24_e32 v7, v251, v209
	v_pk_add_f32 v[26:27], v[26:27], v[114:115]
	s_delay_alu instid0(VALU_DEP_3) | instskip(NEXT) | instid1(VALU_DEP_3)
	v_mad_i32_i24 v6, v227, v202, v6
	v_mad_i32_i24 v7, v252, v210, v7
	s_delay_alu instid0(VALU_DEP_2) | instskip(NEXT) | instid1(VALU_DEP_2)
	v_dot4_i32_iu8 v6, v2, v203, v6 neg_lo:[1,1,0]
	v_dot4_i32_iu8 v7, v222, v211, v7 neg_lo:[1,1,0]
	s_delay_alu instid0(VALU_DEP_2) | instskip(NEXT) | instid1(VALU_DEP_2)
	v_mad_i32_i24 v6, v234, v204, v6
	v_mad_i32_i24 v7, v253, v212, v7
	s_delay_alu instid0(VALU_DEP_2) | instskip(NEXT) | instid1(VALU_DEP_2)
	v_dot4_i32_iu8 v6, v3, v207, v6 neg_lo:[1,1,0]
	v_dot4_i32_iu8 v7, v223, v217, v7 neg_lo:[1,1,0]
	s_delay_alu instid0(VALU_DEP_2) | instskip(NEXT) | instid1(VALU_DEP_2)
	;; [unrolled: 6-line block ×3, first 2 shown]
	v_mad_i32_i24 v6, v206, v219, v6
	v_mad_i32_i24 v7, v214, v255, v7
	s_set_vgpr_msb 4                        ;  msbs: dst=0 src0=0 src1=1 src2=0
	s_delay_alu instid0(VALU_DEP_2) | instskip(SKIP_1) | instid1(VALU_DEP_2)
	v_dot4_i32_iu8 v6, v237, v0 /*v256*/, v6 neg_lo:[1,1,0]
	s_set_vgpr_msb 0                        ;  msbs: dst=0 src0=0 src1=0 src2=0
	v_dot4_i32_iu8 v7, v247, v225, v7 neg_lo:[1,1,0]
	s_delay_alu instid0(VALU_DEP_2) | instskip(NEXT) | instid1(VALU_DEP_1)
	v_mul_lo_u32 v6, v6, v208
	v_mad_u32 v6, v7, v221, v6
	v_mul_f32_e32 v7, v200, v1
	v_mul_f32_e32 v1, v0, v1
	s_delay_alu instid0(VALU_DEP_3) | instskip(NEXT) | instid1(VALU_DEP_1)
	v_cvt_f32_i32_e32 v6, v6
	v_mul_f32_e32 v219, v7, v6
	s_set_vgpr_msb 1                        ;  msbs: dst=0 src0=1 src1=0 src2=0
	v_mul_i32_i24_e32 v6, v14 /*v270*/, v216
	s_set_vgpr_msb 0                        ;  msbs: dst=0 src0=0 src1=0 src2=0
	s_delay_alu instid0(VALU_DEP_2) | instskip(SKIP_1) | instid1(VALU_DEP_2)
	v_pk_add_f32 v[24:25], v[24:25], v[218:219]
	s_set_vgpr_msb 1                        ;  msbs: dst=0 src0=1 src1=0 src2=0
	v_mad_i32_i24 v6, v3 /*v259*/, v227, v6
	s_delay_alu instid0(VALU_DEP_1) | instskip(SKIP_1) | instid1(VALU_DEP_1)
	v_dot4_i32_iu8 v2, v4 /*v260*/, v2, v6 neg_lo:[1,1,0]
	s_set_vgpr_msb 0                        ;  msbs: dst=0 src0=0 src1=0 src2=0
	v_mad_i32_i24 v2, v245, v234, v2
	s_delay_alu instid0(VALU_DEP_1) | instskip(SKIP_3) | instid1(VALU_DEP_2)
	v_dot4_i32_iu8 v2, v238, v3, v2 neg_lo:[1,1,0]
	s_set_vgpr_msb 1                        ;  msbs: dst=0 src0=1 src1=0 src2=0
	v_mul_i32_i24_e32 v3, v20 /*v276*/, v251
	s_set_vgpr_msb 4                        ;  msbs: dst=0 src0=0 src1=1 src2=0
	v_mad_i32_i24 v2, v250, v13 /*v269*/, v2
	s_set_vgpr_msb 1                        ;  msbs: dst=0 src0=1 src1=0 src2=0
	s_delay_alu instid0(VALU_DEP_2) | instskip(SKIP_1) | instid1(VALU_DEP_2)
	v_mad_i32_i24 v3, v17 /*v273*/, v252, v3
	s_set_vgpr_msb 0                        ;  msbs: dst=0 src0=0 src1=0 src2=0
	v_dot4_i32_iu8 v2, v4, v215, v2 neg_lo:[1,1,0]
	s_delay_alu instid0(VALU_DEP_2) | instskip(NEXT) | instid1(VALU_DEP_2)
	v_dot4_i32_iu8 v3, v220, v222, v3 neg_lo:[1,1,0]
	v_dot4_i32_iu8 v2, v232, v5, v2 neg_lo:[1,1,0]
	s_delay_alu instid0(VALU_DEP_2) | instskip(NEXT) | instid1(VALU_DEP_2)
	v_mad_i32_i24 v3, v246, v253, v3
	v_mul_lo_u32 v2, v2, v248
	s_delay_alu instid0(VALU_DEP_2) | instskip(SKIP_1) | instid1(VALU_DEP_1)
	v_dot4_i32_iu8 v3, v230, v223, v3 neg_lo:[1,1,0]
	s_set_vgpr_msb 4                        ;  msbs: dst=0 src0=0 src1=1 src2=0
	v_mad_i32_i24 v3, v254, v32 /*v288*/, v3
	s_set_vgpr_msb 0                        ;  msbs: dst=0 src0=0 src1=0 src2=0
	s_delay_alu instid0(VALU_DEP_1) | instskip(NEXT) | instid1(VALU_DEP_1)
	v_dot4_i32_iu8 v3, v224, v249, v3 neg_lo:[1,1,0]
	v_mad_i32_i24 v3, v231, v255, v3
	s_delay_alu instid0(VALU_DEP_1) | instskip(NEXT) | instid1(VALU_DEP_1)
	v_dot4_i32_iu8 v3, v199, v225, v3 neg_lo:[1,1,0]
	v_mad_u32 v2, v3, v239, v2
	s_delay_alu instid0(VALU_DEP_1) | instskip(NEXT) | instid1(VALU_DEP_1)
	v_cvt_f32_i32_e32 v2, v2
	v_dual_mul_f32 v227, v1, v2 :: v_dual_bitop2_b32 v1, s18, v128 bitop3:0x54
	s_delay_alu instid0(VALU_DEP_1) | instskip(NEXT) | instid1(VALU_DEP_2)
	v_pk_add_f32 v[22:23], v[22:23], v[226:227]
	v_dual_lshlrev_b32 v6, 2, v1 :: v_dual_lshrrev_b32 v1, 1, v1
	ds_load_b32 v1, v1 offset:38816
	ds_load_b128 v[2:5], v6 offset:25344
	ds_load_b128 v[222:225], v6 offset:25360
	s_wait_dscnt 0x1
	v_bfe_i32 v7, v2, 0, 8
	v_bfe_i32 v115, v2, 8, 8
	v_perm_b32 v2, v2, v2, 0xc0c0302
	s_wait_dscnt 0x0
	v_bfe_i32 v226, v222, 0, 8
	v_bfe_i32 v218, v3, 0, 8
	v_mul_i32_i24_e32 v6, v7, v166
	v_bfe_i32 v227, v222, 8, 8
	v_perm_b32 v3, v3, v3, 0xc030201
	v_mul_i32_i24_e32 v114, v226, v174
	v_perm_b32 v222, v222, v222, 0xc0c0302
	v_mad_i32_i24 v6, v115, v167, v6
	v_bfe_i32 v219, v4, 0, 8
	v_bfe_i32 v234, v223, 0, 8
	v_mad_i32_i24 v114, v227, v175, v114
	v_perm_b32 v4, v4, v4, 0xc030201
	v_dot4_i32_iu8 v6, v2, v168, v6 neg_lo:[1,1,0]
	v_perm_b32 v223, v223, v223, 0xc030201
	v_bfe_i32 v216, v5, 0, 8
	v_dot4_i32_iu8 v114, v222, v176, v114 neg_lo:[1,1,0]
	v_bfe_i32 v250, v224, 0, 8
	v_mad_i32_i24 v6, v218, v170, v6
	v_perm_b32 v252, v5, v5, 0xc030201
	v_perm_b32 v224, v224, v224, 0xc030201
	v_mad_i32_i24 v114, v234, v178, v114
	v_bfe_i32 v251, v225, 0, 8
	v_dot4_i32_iu8 v6, v3, v172, v6 neg_lo:[1,1,0]
	v_perm_b32 v225, v225, v225, 0xc030201
	v_mul_i32_i24_e32 v253, v226, v191
	v_dot4_i32_iu8 v114, v223, v180, v114 neg_lo:[1,1,0]
	s_delay_alu instid0(VALU_DEP_4) | instskip(NEXT) | instid1(VALU_DEP_3)
	v_mad_i32_i24 v6, v169, v219, v6
	v_mad_i32_i24 v253, v227, v192, v253
	s_delay_alu instid0(VALU_DEP_3) | instskip(NEXT) | instid1(VALU_DEP_3)
	v_mad_i32_i24 v114, v177, v250, v114
	v_dot4_i32_iu8 v6, v228, v4, v6 neg_lo:[1,1,0]
	s_delay_alu instid0(VALU_DEP_3) | instskip(NEXT) | instid1(VALU_DEP_3)
	v_dot4_i32_iu8 v253, v222, v193, v253 neg_lo:[1,1,0]
	v_dot4_i32_iu8 v114, v233, v224, v114 neg_lo:[1,1,0]
	s_delay_alu instid0(VALU_DEP_3) | instskip(NEXT) | instid1(VALU_DEP_3)
	v_mad_i32_i24 v6, v171, v216, v6
	v_mad_i32_i24 v253, v234, v194, v253
	s_delay_alu instid0(VALU_DEP_3) | instskip(NEXT) | instid1(VALU_DEP_3)
	v_mad_i32_i24 v114, v179, v251, v114
	v_dot4_i32_iu8 v6, v229, v252, v6 neg_lo:[1,1,0]
	s_delay_alu instid0(VALU_DEP_3) | instskip(NEXT) | instid1(VALU_DEP_3)
	v_dot4_i32_iu8 v253, v223, v197, v253 neg_lo:[1,1,0]
	v_dot4_i32_iu8 v114, v235, v225, v114 neg_lo:[1,1,0]
	s_delay_alu instid0(VALU_DEP_3) | instskip(NEXT) | instid1(VALU_DEP_3)
	v_mul_lo_u32 v6, v6, v173
	v_mad_i32_i24 v253, v195, v250, v253
	s_delay_alu instid0(VALU_DEP_1) | instskip(NEXT) | instid1(VALU_DEP_3)
	v_dot4_i32_iu8 v253, v242, v224, v253 neg_lo:[1,1,0]
	v_mad_u32 v6, v114, v181, v6
	v_mul_f32_e32 v114, v165, v1
	s_delay_alu instid0(VALU_DEP_3) | instskip(NEXT) | instid1(VALU_DEP_1)
	v_mad_i32_i24 v253, v196, v251, v253
	v_dot4_i32_iu8 v253, v243, v225, v253 neg_lo:[1,1,0]
	s_delay_alu instid0(VALU_DEP_4) | instskip(NEXT) | instid1(VALU_DEP_1)
	v_cvt_f32_i32_e32 v6, v6
	v_mul_f32_e32 v6, v114, v6
	v_mul_i32_i24_e32 v114, v7, v183
	s_delay_alu instid0(VALU_DEP_1) | instskip(NEXT) | instid1(VALU_DEP_1)
	v_mad_i32_i24 v114, v115, v184, v114
	v_dot4_i32_iu8 v114, v2, v185, v114 neg_lo:[1,1,0]
	s_delay_alu instid0(VALU_DEP_1) | instskip(NEXT) | instid1(VALU_DEP_1)
	v_mad_i32_i24 v114, v218, v186, v114
	v_dot4_i32_iu8 v114, v3, v189, v114 neg_lo:[1,1,0]
	;; [unrolled: 3-line block ×4, first 2 shown]
	s_delay_alu instid0(VALU_DEP_1) | instskip(NEXT) | instid1(VALU_DEP_1)
	v_mul_lo_u32 v114, v114, v190
	v_mad_u32 v114, v253, v198, v114
	v_mul_f32_e32 v253, v182, v1
	s_delay_alu instid0(VALU_DEP_2) | instskip(NEXT) | instid1(VALU_DEP_1)
	v_cvt_f32_i32_e32 v114, v114
	v_mul_f32_e32 v114, v253, v114
	v_mul_i32_i24_e32 v253, v7, v201
	s_set_vgpr_msb 1                        ;  msbs: dst=0 src0=1 src1=0 src2=0
	v_mul_i32_i24_e32 v7, v14 /*v270*/, v7
	s_set_vgpr_msb 0                        ;  msbs: dst=0 src0=0 src1=0 src2=0
	s_delay_alu instid0(VALU_DEP_2) | instskip(SKIP_1) | instid1(VALU_DEP_2)
	v_mad_i32_i24 v253, v115, v202, v253
	s_set_vgpr_msb 1                        ;  msbs: dst=0 src0=1 src1=0 src2=0
	v_mad_i32_i24 v7, v3 /*v259*/, v115, v7
	s_set_vgpr_msb 0                        ;  msbs: dst=0 src0=0 src1=0 src2=0
	s_delay_alu instid0(VALU_DEP_2) | instskip(SKIP_1) | instid1(VALU_DEP_2)
	v_dot4_i32_iu8 v253, v2, v203, v253 neg_lo:[1,1,0]
	s_set_vgpr_msb 1                        ;  msbs: dst=0 src0=1 src1=0 src2=0
	v_dot4_i32_iu8 v2, v4 /*v260*/, v2, v7 neg_lo:[1,1,0]
	s_set_vgpr_msb 0                        ;  msbs: dst=0 src0=0 src1=0 src2=0
	s_delay_alu instid0(VALU_DEP_2) | instskip(NEXT) | instid1(VALU_DEP_2)
	v_mad_i32_i24 v253, v218, v204, v253
	v_mad_i32_i24 v2, v245, v218, v2
	s_delay_alu instid0(VALU_DEP_2) | instskip(NEXT) | instid1(VALU_DEP_2)
	v_dot4_i32_iu8 v253, v3, v207, v253 neg_lo:[1,1,0]
	v_dot4_i32_iu8 v2, v238, v3, v2 neg_lo:[1,1,0]
	s_set_vgpr_msb 1                        ;  msbs: dst=0 src0=1 src1=0 src2=0
	v_mul_i32_i24_e32 v3, v20 /*v276*/, v226
	s_set_vgpr_msb 0                        ;  msbs: dst=0 src0=0 src1=0 src2=0
	v_mad_i32_i24 v253, v205, v219, v253
	s_set_vgpr_msb 4                        ;  msbs: dst=0 src0=0 src1=1 src2=0
	v_mad_i32_i24 v2, v219, v13 /*v269*/, v2
	s_set_vgpr_msb 1                        ;  msbs: dst=0 src0=1 src1=0 src2=0
	v_mad_i32_i24 v3, v17 /*v273*/, v227, v3
	s_set_vgpr_msb 0                        ;  msbs: dst=0 src0=0 src1=0 src2=0
	v_dot4_i32_iu8 v253, v236, v4, v253 neg_lo:[1,1,0]
	v_dot4_i32_iu8 v2, v4, v215, v2 neg_lo:[1,1,0]
	s_delay_alu instid0(VALU_DEP_3) | instskip(NEXT) | instid1(VALU_DEP_3)
	v_dot4_i32_iu8 v3, v220, v222, v3 neg_lo:[1,1,0]
	v_mad_i32_i24 v216, v206, v216, v253
	s_delay_alu instid0(VALU_DEP_3) | instskip(NEXT) | instid1(VALU_DEP_3)
	v_dot4_i32_iu8 v2, v232, v5, v2 neg_lo:[1,1,0]
	v_mad_i32_i24 v3, v246, v234, v3
	s_delay_alu instid0(VALU_DEP_3) | instskip(SKIP_1) | instid1(VALU_DEP_3)
	v_dot4_i32_iu8 v216, v237, v252, v216 neg_lo:[1,1,0]
	v_mul_i32_i24_e32 v252, v226, v209
	v_dot4_i32_iu8 v3, v230, v223, v3 neg_lo:[1,1,0]
	v_mul_lo_u32 v2, v2, v248
	s_delay_alu instid0(VALU_DEP_4) | instskip(NEXT) | instid1(VALU_DEP_4)
	v_mul_lo_u32 v216, v216, v208
	v_mad_i32_i24 v252, v227, v210, v252
	s_set_vgpr_msb 4                        ;  msbs: dst=0 src0=0 src1=1 src2=0
	v_mad_i32_i24 v3, v250, v32 /*v288*/, v3
	s_set_vgpr_msb 0                        ;  msbs: dst=0 src0=0 src1=0 src2=0
	s_delay_alu instid0(VALU_DEP_2) | instskip(NEXT) | instid1(VALU_DEP_2)
	v_dot4_i32_iu8 v252, v222, v211, v252 neg_lo:[1,1,0]
	v_dot4_i32_iu8 v3, v224, v249, v3 neg_lo:[1,1,0]
	s_delay_alu instid0(VALU_DEP_2) | instskip(NEXT) | instid1(VALU_DEP_2)
	v_mad_i32_i24 v252, v234, v212, v252
	v_mad_i32_i24 v3, v231, v251, v3
	s_delay_alu instid0(VALU_DEP_2) | instskip(NEXT) | instid1(VALU_DEP_2)
	v_dot4_i32_iu8 v252, v223, v217, v252 neg_lo:[1,1,0]
	v_dot4_i32_iu8 v3, v199, v225, v3 neg_lo:[1,1,0]
	s_delay_alu instid0(VALU_DEP_2) | instskip(NEXT) | instid1(VALU_DEP_2)
	v_mad_i32_i24 v252, v213, v250, v252
	v_mad_u32 v2, v3, v239, v2
	s_delay_alu instid0(VALU_DEP_2) | instskip(NEXT) | instid1(VALU_DEP_1)
	v_dot4_i32_iu8 v252, v244, v224, v252 neg_lo:[1,1,0]
	v_mad_i32_i24 v252, v214, v251, v252
	s_delay_alu instid0(VALU_DEP_3) | instskip(NEXT) | instid1(VALU_DEP_2)
	v_cvt_f32_i32_e32 v2, v2
	v_dot4_i32_iu8 v252, v247, v225, v252 neg_lo:[1,1,0]
	s_delay_alu instid0(VALU_DEP_1) | instskip(SKIP_2) | instid1(VALU_DEP_1)
	v_mad_u32 v216, v252, v221, v216
	v_mul_f32_e32 v252, v200, v1
	v_mul_f32_e32 v1, v0, v1
	v_dual_mul_f32 v218, v1, v2 :: v_dual_bitop2_b32 v1, s18, v129 bitop3:0x54
	s_delay_alu instid0(VALU_DEP_4) | instskip(NEXT) | instid1(VALU_DEP_2)
	v_cvt_f32_i32_e32 v216, v216
	v_dual_lshlrev_b32 v7, 2, v1 :: v_dual_lshrrev_b32 v1, 1, v1
	ds_load_b32 v1, v1 offset:38816
	ds_load_b128 v[2:5], v7 offset:25344
	ds_load_b128 v[222:225], v7 offset:25360
	v_mul_f32_e32 v216, v252, v216
	s_wait_dscnt 0x2
	v_mul_f32_e32 v0, v0, v1
	s_wait_dscnt 0x1
	v_bfe_i32 v219, v2, 0, 8
	v_bfe_i32 v226, v2, 8, 8
	v_perm_b32 v2, v2, v2, 0xc0c0302
	s_wait_dscnt 0x0
	v_bfe_i32 v251, v222, 0, 8
	v_bfe_i32 v227, v3, 0, 8
	v_mul_i32_i24_e32 v7, v219, v166
	v_bfe_i32 v252, v222, 8, 8
	v_perm_b32 v3, v3, v3, 0xc030201
	v_mul_i32_i24_e32 v115, v251, v174
	v_bfe_i32 v234, v4, 0, 8
	v_mad_i32_i24 v7, v226, v167, v7
	v_perm_b32 v167, v222, v222, 0xc0c0302
	v_bfe_i32 v253, v223, 0, 8
	v_mad_i32_i24 v115, v252, v175, v115
	v_perm_b32 v4, v4, v4, 0xc030201
	v_dot4_i32_iu8 v7, v2, v168, v7 neg_lo:[1,1,0]
	v_perm_b32 v168, v223, v223, 0xc030201
	v_bfe_i32 v250, v5, 0, 8
	v_dot4_i32_iu8 v115, v167, v176, v115 neg_lo:[1,1,0]
	v_bfe_i32 v254, v224, 0, 8
	v_mad_i32_i24 v7, v227, v170, v7
	v_perm_b32 v166, v5, v5, 0xc030201
	v_bfe_i32 v255, v225, 0, 8
	v_mad_i32_i24 v115, v253, v178, v115
	v_perm_b32 v170, v225, v225, 0xc030201
	v_dot4_i32_iu8 v7, v3, v172, v7 neg_lo:[1,1,0]
	s_delay_alu instid0(VALU_DEP_3) | instskip(NEXT) | instid1(VALU_DEP_2)
	v_dot4_i32_iu8 v115, v168, v180, v115 neg_lo:[1,1,0]
	v_mad_i32_i24 v7, v169, v234, v7
	v_perm_b32 v169, v224, v224, 0xc030201
	s_delay_alu instid0(VALU_DEP_3) | instskip(NEXT) | instid1(VALU_DEP_3)
	v_mad_i32_i24 v115, v177, v254, v115
	v_dot4_i32_iu8 v7, v228, v4, v7 neg_lo:[1,1,0]
	s_delay_alu instid0(VALU_DEP_2) | instskip(NEXT) | instid1(VALU_DEP_2)
	v_dot4_i32_iu8 v115, v233, v169, v115 neg_lo:[1,1,0]
	v_mad_i32_i24 v7, v171, v250, v7
	s_delay_alu instid0(VALU_DEP_2) | instskip(NEXT) | instid1(VALU_DEP_2)
	v_mad_i32_i24 v115, v179, v255, v115
	v_dot4_i32_iu8 v7, v229, v166, v7 neg_lo:[1,1,0]
	s_delay_alu instid0(VALU_DEP_2) | instskip(NEXT) | instid1(VALU_DEP_2)
	v_dot4_i32_iu8 v115, v235, v170, v115 neg_lo:[1,1,0]
	v_mul_lo_u32 v7, v7, v173
	s_delay_alu instid0(VALU_DEP_1) | instskip(SKIP_1) | instid1(VALU_DEP_2)
	v_mad_u32 v7, v115, v181, v7
	v_mul_f32_e32 v115, v165, v1
	v_cvt_f32_i32_e32 v7, v7
	s_delay_alu instid0(VALU_DEP_1) | instskip(NEXT) | instid1(VALU_DEP_1)
	v_mul_f32_e32 v7, v115, v7
	v_pk_add_f32 v[20:21], v[20:21], v[6:7]
	v_mul_i32_i24_e32 v6, v219, v183
	v_mul_i32_i24_e32 v7, v251, v191
	s_delay_alu instid0(VALU_DEP_2) | instskip(NEXT) | instid1(VALU_DEP_2)
	v_mad_i32_i24 v6, v226, v184, v6
	v_mad_i32_i24 v7, v252, v192, v7
	s_delay_alu instid0(VALU_DEP_2) | instskip(NEXT) | instid1(VALU_DEP_2)
	v_dot4_i32_iu8 v6, v2, v185, v6 neg_lo:[1,1,0]
	v_dot4_i32_iu8 v7, v167, v193, v7 neg_lo:[1,1,0]
	s_delay_alu instid0(VALU_DEP_2) | instskip(NEXT) | instid1(VALU_DEP_2)
	v_mad_i32_i24 v6, v227, v186, v6
	v_mad_i32_i24 v7, v253, v194, v7
	s_delay_alu instid0(VALU_DEP_2) | instskip(NEXT) | instid1(VALU_DEP_2)
	v_dot4_i32_iu8 v6, v3, v189, v6 neg_lo:[1,1,0]
	v_dot4_i32_iu8 v7, v168, v197, v7 neg_lo:[1,1,0]
	;; [unrolled: 6-line block ×4, first 2 shown]
	s_delay_alu instid0(VALU_DEP_2) | instskip(NEXT) | instid1(VALU_DEP_1)
	v_mul_lo_u32 v6, v6, v190
	v_mad_u32 v6, v7, v198, v6
	v_mul_f32_e32 v7, v182, v1
	s_delay_alu instid0(VALU_DEP_2) | instskip(NEXT) | instid1(VALU_DEP_1)
	v_cvt_f32_i32_e32 v6, v6
	v_mul_f32_e32 v115, v7, v6
	v_mul_i32_i24_e32 v6, v219, v201
	v_mul_i32_i24_e32 v7, v251, v209
	s_delay_alu instid0(VALU_DEP_3) | instskip(NEXT) | instid1(VALU_DEP_3)
	v_pk_add_f32 v[18:19], v[18:19], v[114:115]
	v_mad_i32_i24 v6, v226, v202, v6
	s_delay_alu instid0(VALU_DEP_3) | instskip(NEXT) | instid1(VALU_DEP_2)
	v_mad_i32_i24 v7, v252, v210, v7
	v_dot4_i32_iu8 v6, v2, v203, v6 neg_lo:[1,1,0]
	s_delay_alu instid0(VALU_DEP_2) | instskip(NEXT) | instid1(VALU_DEP_2)
	v_dot4_i32_iu8 v7, v167, v211, v7 neg_lo:[1,1,0]
	v_mad_i32_i24 v6, v227, v204, v6
	s_delay_alu instid0(VALU_DEP_2) | instskip(NEXT) | instid1(VALU_DEP_2)
	v_mad_i32_i24 v7, v253, v212, v7
	v_dot4_i32_iu8 v6, v3, v207, v6 neg_lo:[1,1,0]
	s_delay_alu instid0(VALU_DEP_2) | instskip(NEXT) | instid1(VALU_DEP_2)
	v_dot4_i32_iu8 v7, v168, v217, v7 neg_lo:[1,1,0]
	v_mad_i32_i24 v6, v205, v234, v6
	s_delay_alu instid0(VALU_DEP_2) | instskip(NEXT) | instid1(VALU_DEP_2)
	;; [unrolled: 6-line block ×3, first 2 shown]
	v_mad_i32_i24 v7, v214, v255, v7
	v_dot4_i32_iu8 v6, v237, v166, v6 neg_lo:[1,1,0]
	s_delay_alu instid0(VALU_DEP_2) | instskip(NEXT) | instid1(VALU_DEP_2)
	v_dot4_i32_iu8 v7, v247, v170, v7 neg_lo:[1,1,0]
	v_mul_lo_u32 v6, v6, v208
	s_delay_alu instid0(VALU_DEP_1) | instskip(SKIP_1) | instid1(VALU_DEP_2)
	v_mad_u32 v6, v7, v221, v6
	v_mul_f32_e32 v7, v200, v1
	v_cvt_f32_i32_e32 v6, v6
	s_delay_alu instid0(VALU_DEP_1) | instskip(SKIP_3) | instid1(VALU_DEP_2)
	v_mul_f32_e32 v217, v7, v6
	s_set_vgpr_msb 1                        ;  msbs: dst=0 src0=1 src1=0 src2=0
	v_mul_i32_i24_e32 v6, v14 /*v270*/, v219
	s_set_vgpr_msb 0                        ;  msbs: dst=0 src0=0 src1=0 src2=0
	v_pk_add_f32 v[16:17], v[16:17], v[216:217]
	s_set_vgpr_msb 1                        ;  msbs: dst=0 src0=1 src1=0 src2=0
	s_delay_alu instid0(VALU_DEP_2) | instskip(NEXT) | instid1(VALU_DEP_1)
	v_mad_i32_i24 v6, v3 /*v259*/, v226, v6
	v_dot4_i32_iu8 v2, v4 /*v260*/, v2, v6 neg_lo:[1,1,0]
	s_set_vgpr_msb 0                        ;  msbs: dst=0 src0=0 src1=0 src2=0
	s_delay_alu instid0(VALU_DEP_1) | instskip(NEXT) | instid1(VALU_DEP_1)
	v_mad_i32_i24 v2, v245, v227, v2
	v_dot4_i32_iu8 v2, v238, v3, v2 neg_lo:[1,1,0]
	s_set_vgpr_msb 1                        ;  msbs: dst=0 src0=1 src1=0 src2=0
	v_mul_i32_i24_e32 v3, v20 /*v276*/, v251
	s_set_vgpr_msb 4                        ;  msbs: dst=0 src0=0 src1=1 src2=0
	s_delay_alu instid0(VALU_DEP_2) | instskip(SKIP_1) | instid1(VALU_DEP_2)
	v_mad_i32_i24 v2, v234, v13 /*v269*/, v2
	s_set_vgpr_msb 1                        ;  msbs: dst=0 src0=1 src1=0 src2=0
	v_mad_i32_i24 v3, v17 /*v273*/, v252, v3
	s_set_vgpr_msb 0                        ;  msbs: dst=0 src0=0 src1=0 src2=0
	s_delay_alu instid0(VALU_DEP_2) | instskip(NEXT) | instid1(VALU_DEP_2)
	v_dot4_i32_iu8 v2, v4, v215, v2 neg_lo:[1,1,0]
	v_dot4_i32_iu8 v3, v220, v167, v3 neg_lo:[1,1,0]
	s_delay_alu instid0(VALU_DEP_2) | instskip(NEXT) | instid1(VALU_DEP_2)
	v_dot4_i32_iu8 v2, v232, v5, v2 neg_lo:[1,1,0]
	v_mad_i32_i24 v3, v246, v253, v3
	s_delay_alu instid0(VALU_DEP_2) | instskip(NEXT) | instid1(VALU_DEP_2)
	v_mul_lo_u32 v2, v2, v248
	v_dot4_i32_iu8 v3, v230, v168, v3 neg_lo:[1,1,0]
	s_set_vgpr_msb 4                        ;  msbs: dst=0 src0=0 src1=1 src2=0
	s_delay_alu instid0(VALU_DEP_1) | instskip(SKIP_1) | instid1(VALU_DEP_1)
	v_mad_i32_i24 v3, v254, v32 /*v288*/, v3
	s_set_vgpr_msb 0                        ;  msbs: dst=0 src0=0 src1=0 src2=0
	v_dot4_i32_iu8 v3, v169, v249, v3 neg_lo:[1,1,0]
	s_delay_alu instid0(VALU_DEP_1) | instskip(NEXT) | instid1(VALU_DEP_1)
	v_mad_i32_i24 v3, v231, v255, v3
	v_dot4_i32_iu8 v3, v199, v170, v3 neg_lo:[1,1,0]
	s_delay_alu instid0(VALU_DEP_1) | instskip(NEXT) | instid1(VALU_DEP_1)
	v_mad_u32 v2, v3, v239, v2
	v_cvt_f32_i32_e32 v1, v2
	s_delay_alu instid0(VALU_DEP_1) | instskip(NEXT) | instid1(VALU_DEP_1)
	v_mul_f32_e32 v219, v0, v1
	v_pk_add_f32 v[14:15], v[14:15], v[218:219]
	s_cbranch_scc1 .LBB129_10
; %bb.11:                               ;   in Loop: Header=BB129_8 Depth=2
	v_lshl_add_u32 v0, s16, 5, v13
	v_lshl_add_u32 v1, s16, 2, v164
	s_barrier_signal -1
	s_barrier_wait -1
	s_delay_alu instid0(VALU_DEP_2) | instskip(SKIP_1) | instid1(SALU_CYCLE_1)
	v_lshrrev_b32_e32 v0, 3, v0
	s_add_co_i32 s12, s12, 2
	s_lshl_b32 s16, s12, 3
	s_delay_alu instid0(VALU_DEP_1) | instskip(SKIP_1) | instid1(VALU_DEP_2)
	v_add_nc_u32_e32 v2, s5, v0
	v_mad_nc_u64_u32 v[0:1], v1, 36, s[2:3]
	v_dual_add_nc_u32 v3, v2, v122 :: v_dual_add_nc_u32 v168, v2, v119
	v_dual_add_nc_u32 v4, v2, v113 :: v_dual_add_nc_u32 v6, v2, v116
	;; [unrolled: 1-line block ×4, first 2 shown]
	s_delay_alu instid0(VALU_DEP_4) | instskip(NEXT) | instid1(VALU_DEP_4)
	v_mad_nc_i64_i32 v[2:3], v3, 36, v[60:61]
	v_mad_nc_i64_i32 v[4:5], v4, 36, v[60:61]
	;; [unrolled: 1-line block ×8, first 2 shown]
	s_clause 0x8
	global_load_b32 v165, v[0:1], off
	global_load_b32 v174, v[2:3], off offset:4
	global_load_b32 v175, v[4:5], off offset:4
	;; [unrolled: 1-line block ×8, first 2 shown]
	s_wait_loadcnt 0x8
	s_wait_xcnt 0x8
	v_cvt_f32_f16_e64 v0, v165
	s_wait_loadcnt 0x7
	ds_store_b32 v103, v174
	s_wait_loadcnt 0x6
	ds_store_b32 v89, v175
	;; [unrolled: 2-line block ×8, first 2 shown]
	ds_store_b32 v111, v0
	s_wait_dscnt 0x0
	s_barrier_signal -1
	s_barrier_wait -1
.LBB129_12:                             ;   Parent Loop BB129_6 Depth=1
                                        ;     Parent Loop BB129_8 Depth=2
                                        ; =>    This Inner Loop Header: Depth=3
	s_lshl_b32 s17, s13, 2
	s_and_b32 s19, s13, 6
	s_and_b32 s17, s17, 24
	;; [unrolled: 1-line block ×3, first 2 shown]
	v_or_b32_e32 v0, s17, v160
	v_lshl_add_u32 v215, s21, 2, v161
	s_lshr_b32 s20, s13, 4
	s_bfe_u32 s18, s13, 0x30001
	s_lshl_b32 s22, s20, 2
	v_dual_lshlrev_b32 v4, 2, v0 :: v_dual_lshrrev_b32 v0, 1, v0
	s_lshl_b32 s20, s20, 5
	s_and_b32 s21, s13, -2
	s_addk_co_i32 s20, 0x4200
	ds_load_b32 v115, v0 offset:38816
	ds_load_b128 v[0:3], v4 offset:25344
	ds_load_b128 v[4:7], v4 offset:25360
	ds_load_2addr_b32 v[166:167], v215 offset1:1
	v_add3_u32 v172, s20, v136, v162
	s_add_co_i32 s22, s22, 0x9380
	s_add_co_i32 s13, s13, 2
	s_delay_alu instid0(SALU_CYCLE_1)
	s_cmp_lt_u32 s13, s16
	ds_load_2addr_b32 v[168:169], v172 offset1:1
	s_wait_dscnt 0x3
	v_bfe_i32 v207, v0, 0, 8
	v_bfe_i32 v208, v0, 8, 8
	s_wait_dscnt 0x1
	v_ashrrev_i32_e32 v165, s19, v166
	v_bfe_i32 v230, v3, 8, 8
	v_perm_b32 v239, v0, v0, 0xc0c0302
	v_bfe_i32 v205, v1, 0, 8
	v_bfe_i32 v202, v2, 0, 8
	v_and_b32_e32 v166, 0x3030303, v165
	v_bfe_u32 v165, v165, 24, 2
	v_bfe_i32 v228, v2, 8, 8
	s_wait_dscnt 0x0
	v_ashrrev_i32_e32 v168, s18, v168
	v_perm_b32 v231, v1, v1, 0xc030201
	v_lshrrev_b32_e32 v171, 16, v166
	v_lshrrev_b16 v170, 8, v166
	v_bfe_i32 v229, v3, 0, 8
	v_lshlrev_b32_e32 v168, 2, v168
	v_perm_b32 v232, v2, v2, 0xc0c0302
	v_bfe_i32 v203, v4, 0, 8
	v_bfe_i32 v204, v4, 8, 8
	v_perm_b32 v233, v3, v3, 0xc0c0302
	v_and_b32_e32 v168, 0x4040404, v168
	v_bfe_i32 v237, v7, 8, 8
	v_perm_b32 v241, v4, v4, 0xc0c0302
	v_bfe_i32 v200, v5, 0, 8
	v_bfe_i32 v114, v6, 0, 8
	v_dual_lshrrev_b32 v174, 24, v168 :: v_dual_lshrrev_b32 v175, 16, v168
	v_lshrrev_b16 v173, 8, v168
	v_bfe_i32 v236, v6, 8, 8
	v_perm_b32 v238, v5, v5, 0xc030201
	s_delay_alu instid0(VALU_DEP_4)
	v_sub_nc_u16 v165, v165, v174
	v_sub_nc_u16 v171, v171, v175
	v_bfe_i32 v182, v7, 0, 8
	v_perm_b32 v242, v6, v6, 0xc0c0302
	v_perm_b32 v243, v7, v7, 0xc0c0302
	v_lshlrev_b16 v165, 8, v165
	v_bfe_i32 v206, v1, 8, 8
	v_perm_b32 v1, v1, v1, 0xc0c0302
	v_bfe_i32 v201, v5, 8, 8
	v_perm_b32 v5, v5, v5, 0xc0c0302
	v_bitop3_b16 v174, v171, v165, 0xff bitop3:0xec
	v_sub_nc_u16 v165, v170, v173
	v_sub_nc_u16 v173, v166, v168
	v_perm_b32 v6, v6, v6, 0xc030201
	v_perm_b32 v7, v7, v7, 0xc030201
	;; [unrolled: 1-line block ×3, first 2 shown]
	v_lshlrev_b16 v170, 8, v165
	v_dual_ashrrev_i32 v165, s19, v167 :: v_dual_ashrrev_i32 v169, s18, v169
	s_delay_alu instid0(VALU_DEP_1) | instskip(SKIP_1) | instid1(VALU_DEP_2)
	v_and_b32_e32 v166, 0x3030303, v165
	v_bfe_u32 v165, v165, 24, 2
	v_dual_lshlrev_b32 v169, 2, v169 :: v_dual_lshrrev_b32 v168, 16, v166
	v_lshrrev_b16 v167, 8, v166
	s_delay_alu instid0(VALU_DEP_2) | instskip(NEXT) | instid1(VALU_DEP_1)
	v_and_b32_e32 v169, 0x4040404, v169
	v_dual_lshrrev_b32 v176, 24, v169 :: v_dual_lshrrev_b32 v177, 16, v169
	v_lshrrev_b16 v175, 8, v169
	v_sub_nc_u16 v178, v166, v169
	s_delay_alu instid0(VALU_DEP_3) | instskip(NEXT) | instid1(VALU_DEP_4)
	v_sub_nc_u16 v165, v165, v176
	v_sub_nc_u16 v177, v168, v177
	ds_load_2addr_b32 v[168:169], v172 offset0:2 offset1:3
	v_lshlrev_b16 v165, 8, v165
	s_delay_alu instid0(VALU_DEP_1) | instskip(SKIP_3) | instid1(VALU_DEP_1)
	v_bitop3_b16 v176, v177, v165, 0xff bitop3:0xec
	v_sub_nc_u16 v165, v167, v175
	ds_load_2addr_b32 v[166:167], v215 offset0:2 offset1:3
	v_lshlrev_b16 v175, 8, v165
	v_perm_b32 v175, v175, v175, 0xc0c0c01
	s_wait_dscnt 0x1
	v_dual_ashrrev_i32 v168, s18, v168 :: v_dual_ashrrev_i32 v169, s18, v169
	s_delay_alu instid0(VALU_DEP_1) | instskip(SKIP_2) | instid1(VALU_DEP_2)
	v_dual_lshlrev_b32 v168, 2, v168 :: v_dual_lshlrev_b32 v169, 2, v169
	s_wait_dscnt 0x0
	v_ashrrev_i32_e32 v165, s19, v166
	v_and_b32_e32 v168, 0x4040404, v168
	s_delay_alu instid0(VALU_DEP_3) | instskip(NEXT) | instid1(VALU_DEP_3)
	v_and_b32_e32 v169, 0x4040404, v169
	v_and_b32_e32 v166, 0x3030303, v165
	v_bfe_u32 v165, v165, 24, 2
	s_delay_alu instid0(VALU_DEP_4) | instskip(SKIP_1) | instid1(VALU_DEP_4)
	v_dual_lshrrev_b32 v183, 24, v168 :: v_dual_lshrrev_b32 v184, 16, v168
	v_lshrrev_b16 v181, 8, v168
	v_lshrrev_b32_e32 v180, 16, v166
	v_lshrrev_b16 v179, 8, v166
	s_delay_alu instid0(VALU_DEP_4) | instskip(SKIP_1) | instid1(VALU_DEP_4)
	v_sub_nc_u16 v165, v165, v183
	v_lshrrev_b32_e32 v183, 16, v169
	v_sub_nc_u16 v209, v180, v184
	v_sub_nc_u16 v180, v166, v168
	s_delay_alu instid0(VALU_DEP_4) | instskip(NEXT) | instid1(VALU_DEP_1)
	v_lshlrev_b16 v165, 8, v165
	v_bitop3_b16 v210, v209, v165, 0xff bitop3:0xec
	v_sub_nc_u16 v165, v179, v181
	v_lshrrev_b32_e32 v181, 24, v169
	v_lshrrev_b16 v179, 8, v169
	s_delay_alu instid0(VALU_DEP_3) | instskip(SKIP_1) | instid1(VALU_DEP_1)
	v_lshlrev_b16 v211, 8, v165
	v_ashrrev_i32_e32 v165, s19, v167
	v_and_b32_e32 v166, 0x3030303, v165
	v_bfe_u32 v165, v165, 24, 2
	s_delay_alu instid0(VALU_DEP_2) | instskip(SKIP_1) | instid1(VALU_DEP_3)
	v_lshrrev_b32_e32 v168, 16, v166
	v_lshrrev_b16 v167, 8, v166
	v_sub_nc_u16 v165, v165, v181
	v_sub_nc_u16 v181, v166, v169
	s_delay_alu instid0(VALU_DEP_4) | instskip(SKIP_2) | instid1(VALU_DEP_1)
	v_sub_nc_u16 v212, v168, v183
	ds_load_2addr_b32 v[168:169], v172 offset0:4 offset1:5
	v_lshlrev_b16 v165, 8, v165
	v_bitop3_b16 v213, v212, v165, 0xff bitop3:0xec
	v_sub_nc_u16 v165, v167, v179
	ds_load_2addr_b32 v[166:167], v215 offset0:4 offset1:5
	v_lshlrev_b16 v214, 8, v165
	s_wait_dscnt 0x1
	v_dual_ashrrev_i32 v168, s18, v168 :: v_dual_ashrrev_i32 v169, s18, v169
	s_delay_alu instid0(VALU_DEP_1) | instskip(SKIP_2) | instid1(VALU_DEP_2)
	v_dual_lshlrev_b32 v168, 2, v168 :: v_dual_lshlrev_b32 v169, 2, v169
	s_wait_dscnt 0x0
	v_ashrrev_i32_e32 v165, s19, v166
	v_and_b32_e32 v168, 0x4040404, v168
	s_delay_alu instid0(VALU_DEP_3) | instskip(NEXT) | instid1(VALU_DEP_3)
	v_and_b32_e32 v169, 0x4040404, v169
	v_and_b32_e32 v166, 0x3030303, v165
	v_bfe_u32 v165, v165, 24, 2
	s_delay_alu instid0(VALU_DEP_4) | instskip(SKIP_1) | instid1(VALU_DEP_4)
	v_dual_lshrrev_b32 v185, 24, v168 :: v_dual_lshrrev_b32 v186, 16, v168
	v_lshrrev_b16 v184, 8, v168
	v_lshrrev_b32_e32 v183, 16, v166
	v_lshrrev_b16 v179, 8, v166
	s_delay_alu instid0(VALU_DEP_4) | instskip(SKIP_1) | instid1(VALU_DEP_4)
	v_sub_nc_u16 v165, v165, v185
	v_dual_lshrrev_b32 v187, 24, v169 :: v_dual_lshrrev_b32 v188, 16, v169
	v_sub_nc_u16 v183, v183, v186
	v_lshrrev_b16 v186, 8, v169
	s_delay_alu instid0(VALU_DEP_4) | instskip(NEXT) | instid1(VALU_DEP_1)
	v_lshlrev_b16 v165, 8, v165
	v_bitop3_b16 v185, v183, v165, 0xff bitop3:0xec
	v_sub_nc_u16 v165, v179, v184
	v_sub_nc_u16 v184, v166, v168
	s_delay_alu instid0(VALU_DEP_2) | instskip(SKIP_1) | instid1(VALU_DEP_1)
	v_lshlrev_b16 v179, 8, v165
	v_ashrrev_i32_e32 v165, s19, v167
	v_and_b32_e32 v166, 0x3030303, v165
	v_bfe_u32 v165, v165, 24, 2
	s_delay_alu instid0(VALU_DEP_2) | instskip(SKIP_2) | instid1(VALU_DEP_4)
	v_lshrrev_b32_e32 v168, 16, v166
	v_lshrrev_b16 v167, 8, v166
	v_sub_nc_u16 v189, v166, v169
	v_sub_nc_u16 v165, v165, v187
	s_delay_alu instid0(VALU_DEP_4) | instskip(SKIP_2) | instid1(VALU_DEP_1)
	v_sub_nc_u16 v188, v168, v188
	ds_load_2addr_b32 v[168:169], v172 offset0:6 offset1:7
	v_lshlrev_b16 v165, 8, v165
	v_bitop3_b16 v187, v188, v165, 0xff bitop3:0xec
	v_sub_nc_u16 v165, v167, v186
	ds_load_2addr_b32 v[166:167], v215 offset0:6 offset1:7
	v_lshlrev_b16 v186, 8, v165
	s_delay_alu instid0(VALU_DEP_1) | instskip(SKIP_2) | instid1(VALU_DEP_1)
	v_perm_b32 v186, v186, v186, 0xc0c0c01
	s_wait_dscnt 0x1
	v_dual_ashrrev_i32 v168, s18, v168 :: v_dual_ashrrev_i32 v169, s18, v169
	v_dual_lshlrev_b32 v168, 2, v168 :: v_dual_lshlrev_b32 v169, 2, v169
	s_wait_dscnt 0x0
	v_ashrrev_i32_e32 v165, s19, v166
	s_delay_alu instid0(VALU_DEP_2) | instskip(NEXT) | instid1(VALU_DEP_3)
	v_and_b32_e32 v168, 0x4040404, v168
	v_and_b32_e32 v169, 0x4040404, v169
	s_delay_alu instid0(VALU_DEP_3) | instskip(SKIP_1) | instid1(VALU_DEP_4)
	v_and_b32_e32 v166, 0x3030303, v165
	v_bfe_u32 v165, v165, 24, 2
	v_dual_lshrrev_b32 v192, 24, v168 :: v_dual_lshrrev_b32 v193, 16, v168
	v_lshrrev_b16 v172, 8, v168
	s_delay_alu instid0(VALU_DEP_4) | instskip(SKIP_1) | instid1(VALU_DEP_4)
	v_lshrrev_b32_e32 v191, 16, v166
	v_lshrrev_b16 v190, 8, v166
	v_sub_nc_u16 v165, v165, v192
	v_lshrrev_b32_e32 v192, 16, v169
	s_delay_alu instid0(VALU_DEP_4) | instskip(SKIP_1) | instid1(VALU_DEP_4)
	v_sub_nc_u16 v216, v191, v193
	v_sub_nc_u16 v191, v166, v168
	v_lshlrev_b16 v165, 8, v165
	s_delay_alu instid0(VALU_DEP_1) | instskip(SKIP_3) | instid1(VALU_DEP_3)
	v_bitop3_b16 v217, v216, v165, 0xff bitop3:0xec
	v_sub_nc_u16 v165, v190, v172
	v_lshrrev_b32_e32 v190, 24, v169
	v_lshrrev_b16 v172, 8, v169
	v_lshlrev_b16 v218, 8, v165
	v_ashrrev_i32_e32 v165, s19, v167
	s_delay_alu instid0(VALU_DEP_1) | instskip(SKIP_1) | instid1(VALU_DEP_2)
	v_and_b32_e32 v166, 0x3030303, v165
	v_bfe_u32 v165, v165, 24, 2
	v_lshrrev_b32_e32 v168, 16, v166
	v_lshrrev_b16 v167, 8, v166
	s_delay_alu instid0(VALU_DEP_3)
	v_sub_nc_u16 v165, v165, v190
	v_sub_nc_u16 v190, v166, v169
	v_bfe_i32 v166, v173, 0, 8
	v_sub_nc_u16 v220, v168, v192
	v_add_nc_u32_e32 v192, s21, v55
	v_lshlrev_b16 v165, 8, v165
	s_delay_alu instid0(VALU_DEP_4) | instskip(NEXT) | instid1(VALU_DEP_2)
	v_mul_i32_i24_e32 v168, v166, v207
	v_bitop3_b16 v221, v220, v165, 0xff bitop3:0xec
	v_sub_nc_u16 v165, v167, v172
	v_bfe_i32 v167, v170, 8, 8
	v_bfe_i32 v172, v214, 8, 8
	;; [unrolled: 1-line block ×3, first 2 shown]
	s_delay_alu instid0(VALU_DEP_4) | instskip(NEXT) | instid1(VALU_DEP_4)
	v_lshlrev_b16 v222, 8, v165
	v_mad_i32_i24 v169, v167, v208, v168
	v_perm_b32 v168, v174, v171, 0xc0c0500
	v_add3_u32 v165, s22, v163, v138
	v_bfe_i32 v171, v211, 8, 8
	s_delay_alu instid0(VALU_DEP_3)
	v_dot4_i32_iu8 v0, v168, v239, v169 neg_lo:[1,1,0]
	v_bfe_i32 v169, v180, 0, 8
	v_mul_i32_i24_e32 v180, v230, v172
	v_perm_b32 v172, v176, v177, 0xc05000c
	ds_load_b32 v165, v165
	v_mul_i32_i24_e32 v174, v228, v171
	v_bfe_i32 v171, v181, 0, 8
	v_mad_i32_i24 v0, v170, v205, v0
	v_or_b32_e32 v172, v172, v175
	v_mul_i32_i24_e32 v173, v202, v169
	v_bfe_i32 v175, v179, 8, 8
	v_mul_i32_i24_e32 v178, v229, v171
	v_bfe_i32 v179, v218, 8, 8
	v_dot4_i32_iu8 v0, v172, v231, v0 neg_lo:[1,1,0]
	s_delay_alu instid0(VALU_DEP_1)
	v_add3_u32 v0, v0, v173, v174
	v_perm_b32 v173, v210, v209, 0xc0c0500
	v_bfe_i32 v174, v184, 0, 8
	v_mul_i32_i24_e32 v184, v236, v179
	v_bfe_i32 v179, v190, 0, 8
	v_perm_b32 v209, v210, v209, 0xc05000c
	v_perm_b32 v210, v211, v211, 0xc0c0c01
	v_perm_b32 v211, v213, v212, 0xc05000c
	v_dot4_i32_iu8 v0, v232, v173, v0 neg_lo:[1,1,0]
	v_mul_i32_i24_e32 v176, v174, v203
	v_perm_b32 v173, v213, v212, 0xc0c0500
	v_perm_b32 v212, v214, v214, 0xc0c0c01
	v_or_b32_e32 v209, v209, v210
	v_perm_b32 v213, v217, v216, 0xc05000c
	v_perm_b32 v214, v218, v218, 0xc0c0c01
	v_add3_u32 v0, v0, v178, v180
	v_mad_i32_i24 v177, v175, v204, v176
	v_perm_b32 v176, v185, v183, 0xc0c0500
	v_bfe_i32 v180, v222, 8, 8
	v_bfe_i32 v178, v189, 0, 8
	v_mul_i32_i24_e32 v185, v182, v179
	v_dot4_i32_iu8 v0, v233, v173, v0 neg_lo:[1,1,0]
	ds_load_u16 v173, v192
	v_dot4_i32_iu8 v4, v176, v241, v177 neg_lo:[1,1,0]
	v_mul_i32_i24_e32 v189, v237, v180
	v_perm_b32 v180, v187, v188, 0xc05000c
	v_bfe_i32 v177, v191, 0, 8
	s_delay_alu instid0(VALU_DEP_4) | instskip(NEXT) | instid1(VALU_DEP_3)
	v_mad_i32_i24 v4, v178, v200, v4
	v_or_b32_e32 v180, v180, v186
	s_delay_alu instid0(VALU_DEP_3) | instskip(NEXT) | instid1(VALU_DEP_2)
	v_mul_i32_i24_e32 v183, v114, v177
	v_dot4_i32_iu8 v4, v180, v238, v4 neg_lo:[1,1,0]
	s_delay_alu instid0(VALU_DEP_1)
	v_add3_u32 v4, v4, v183, v184
	v_perm_b32 v183, v217, v216, 0xc0c0500
	v_perm_b32 v216, v222, v222, 0xc0c0c01
	s_wait_dscnt 0x0
	v_lshrrev_b16 v181, 8, v173
	v_bfe_i32 v173, v173, 0, 8
	v_dot4_i32_iu8 v4, v242, v183, v4 neg_lo:[1,1,0]
	v_perm_b32 v183, v221, v220, 0xc0c0500
	s_delay_alu instid0(VALU_DEP_4) | instskip(NEXT) | instid1(VALU_DEP_4)
	v_bfe_i32 v181, v181, 0, 8
	v_mul_lo_u32 v0, v0, v173
	s_delay_alu instid0(VALU_DEP_4) | instskip(SKIP_1) | instid1(VALU_DEP_2)
	v_add3_u32 v4, v4, v185, v189
	v_add3_u32 v189, s20, v139, v130
	v_dot4_i32_iu8 v4, v243, v183, v4 neg_lo:[1,1,0]
	ds_load_2addr_b32 v[186:187], v189 offset1:1
	v_mad_u32 v0, v4, v181, v0
	v_mul_f32_e32 v4, v115, v165
	s_delay_alu instid0(VALU_DEP_2) | instskip(NEXT) | instid1(VALU_DEP_1)
	v_cvt_f32_i32_e32 v0, v0
	v_mul_f32_e32 v4, v4, v0
	v_add_nc_u32_e32 v0, 0x1080, v215
	s_wait_dscnt 0x0
	v_ashrrev_i32_e32 v187, s18, v187
	ds_load_2addr_b32 v[184:185], v0 offset1:1
	v_dual_ashrrev_i32 v186, s18, v186 :: v_dual_lshlrev_b32 v187, 2, v187
	s_delay_alu instid0(VALU_DEP_1) | instskip(NEXT) | instid1(VALU_DEP_2)
	v_lshlrev_b32_e32 v186, 2, v186
	v_and_b32_e32 v187, 0x4040404, v187
	s_delay_alu instid0(VALU_DEP_2) | instskip(NEXT) | instid1(VALU_DEP_2)
	v_and_b32_e32 v186, 0x4040404, v186
	v_dual_lshrrev_b32 v193, 24, v187 :: v_dual_lshrrev_b32 v194, 16, v187
	s_delay_alu instid0(VALU_DEP_2) | instskip(SKIP_3) | instid1(VALU_DEP_1)
	v_lshrrev_b16 v190, 8, v186
	v_dual_lshrrev_b32 v191, 24, v186 :: v_dual_lshrrev_b32 v192, 16, v186
	s_wait_dscnt 0x0
	v_ashrrev_i32_e32 v0, s19, v184
	v_and_b32_e32 v183, 0x3030303, v0
	v_bfe_u32 v0, v0, 24, 2
	s_delay_alu instid0(VALU_DEP_2) | instskip(SKIP_1) | instid1(VALU_DEP_3)
	v_lshrrev_b16 v184, 8, v183
	v_lshrrev_b32_e32 v188, 16, v183
	v_sub_nc_u16 v0, v0, v191
	v_sub_nc_u16 v191, v183, v186
	v_ashrrev_i32_e32 v183, s19, v185
	v_sub_nc_u16 v184, v184, v190
	v_sub_nc_u16 v188, v188, v192
	v_lshrrev_b16 v192, 8, v187
	v_lshlrev_b16 v0, 8, v0
	s_delay_alu instid0(VALU_DEP_4) | instskip(SKIP_2) | instid1(VALU_DEP_4)
	v_lshlrev_b16 v190, 8, v184
	v_and_b32_e32 v184, 0x3030303, v183
	v_bfe_u32 v183, v183, 24, 2
	v_bitop3_b16 v0, v188, v0, 0xff bitop3:0xec
	s_delay_alu instid0(VALU_DEP_3) | instskip(SKIP_3) | instid1(VALU_DEP_4)
	v_lshrrev_b32_e32 v186, 16, v184
	v_lshrrev_b16 v185, 8, v184
	v_sub_nc_u16 v195, v184, v187
	v_sub_nc_u16 v183, v183, v193
	;; [unrolled: 1-line block ×3, first 2 shown]
	ds_load_2addr_b32 v[186:187], v189 offset0:2 offset1:3
	v_lshlrev_b16 v183, 8, v183
	s_delay_alu instid0(VALU_DEP_1) | instskip(SKIP_1) | instid1(VALU_DEP_1)
	v_bitop3_b16 v193, v194, v183, 0xff bitop3:0xec
	v_sub_nc_u16 v183, v185, v192
	v_lshlrev_b16 v192, 8, v183
	v_add_nc_u32_e32 v183, 0x1088, v215
	s_delay_alu instid0(VALU_DEP_2) | instskip(SKIP_3) | instid1(VALU_DEP_1)
	v_perm_b32 v192, v192, v192, 0xc0c0c01
	ds_load_2addr_b32 v[184:185], v183 offset1:1
	s_wait_dscnt 0x1
	v_dual_ashrrev_i32 v186, s18, v186 :: v_dual_ashrrev_i32 v187, s18, v187
	v_dual_lshlrev_b32 v186, 2, v186 :: v_dual_lshlrev_b32 v187, 2, v187
	s_delay_alu instid0(VALU_DEP_1) | instskip(NEXT) | instid1(VALU_DEP_2)
	v_and_b32_e32 v186, 0x4040404, v186
	v_and_b32_e32 v187, 0x4040404, v187
	s_delay_alu instid0(VALU_DEP_2) | instskip(SKIP_3) | instid1(VALU_DEP_1)
	v_dual_lshrrev_b32 v199, 24, v186 :: v_dual_lshrrev_b32 v219, 16, v186
	v_lshrrev_b16 v198, 8, v186
	s_wait_dscnt 0x0
	v_ashrrev_i32_e32 v183, s19, v184
	v_and_b32_e32 v184, 0x3030303, v183
	s_delay_alu instid0(VALU_DEP_1) | instskip(SKIP_2) | instid1(VALU_DEP_3)
	v_lshrrev_b32_e32 v197, 16, v184
	v_bfe_u32 v183, v183, 24, 2
	v_lshrrev_b16 v196, 8, v184
	v_sub_nc_u16 v248, v197, v219
	s_delay_alu instid0(VALU_DEP_3) | instskip(SKIP_2) | instid1(VALU_DEP_3)
	v_sub_nc_u16 v183, v183, v199
	v_sub_nc_u16 v197, v184, v186
	v_lshrrev_b32_e32 v199, 16, v187
	v_lshlrev_b16 v183, 8, v183
	s_delay_alu instid0(VALU_DEP_1) | instskip(SKIP_3) | instid1(VALU_DEP_3)
	v_bitop3_b16 v249, v248, v183, 0xff bitop3:0xec
	v_sub_nc_u16 v183, v196, v198
	v_lshrrev_b32_e32 v198, 24, v187
	v_lshrrev_b16 v196, 8, v187
	v_lshlrev_b16 v250, 8, v183
	v_ashrrev_i32_e32 v183, s19, v185
	s_delay_alu instid0(VALU_DEP_1) | instskip(SKIP_1) | instid1(VALU_DEP_2)
	v_and_b32_e32 v184, 0x3030303, v183
	v_bfe_u32 v183, v183, 24, 2
	v_lshrrev_b32_e32 v186, 16, v184
	v_lshrrev_b16 v185, 8, v184
	s_delay_alu instid0(VALU_DEP_3) | instskip(SKIP_1) | instid1(VALU_DEP_4)
	v_sub_nc_u16 v183, v183, v198
	v_sub_nc_u16 v198, v184, v187
	;; [unrolled: 1-line block ×3, first 2 shown]
	ds_load_2addr_b32 v[186:187], v189 offset0:4 offset1:5
	v_lshlrev_b16 v183, 8, v183
	s_delay_alu instid0(VALU_DEP_1) | instskip(SKIP_1) | instid1(VALU_DEP_1)
	v_bitop3_b16 v252, v251, v183, 0xff bitop3:0xec
	v_sub_nc_u16 v183, v185, v196
	v_lshlrev_b16 v253, 8, v183
	v_add_nc_u32_e32 v183, 0x1090, v215
	ds_load_2addr_b32 v[184:185], v183 offset1:1
	s_wait_dscnt 0x1
	v_dual_ashrrev_i32 v186, s18, v186 :: v_dual_ashrrev_i32 v187, s18, v187
	s_delay_alu instid0(VALU_DEP_1) | instskip(NEXT) | instid1(VALU_DEP_1)
	v_dual_lshlrev_b32 v186, 2, v186 :: v_dual_lshlrev_b32 v187, 2, v187
	v_and_b32_e32 v186, 0x4040404, v186
	s_delay_alu instid0(VALU_DEP_2) | instskip(NEXT) | instid1(VALU_DEP_2)
	v_and_b32_e32 v187, 0x4040404, v187
	v_dual_lshrrev_b32 v223, 24, v186 :: v_dual_lshrrev_b32 v224, 16, v186
	v_lshrrev_b16 v219, 8, v186
	s_wait_dscnt 0x0
	s_delay_alu instid0(VALU_DEP_3) | instskip(SKIP_1) | instid1(VALU_DEP_2)
	v_dual_ashrrev_i32 v183, s19, v184 :: v_dual_lshrrev_b32 v225, 24, v187
	v_lshrrev_b32_e32 v226, 16, v187
	v_and_b32_e32 v184, 0x3030303, v183
	s_delay_alu instid0(VALU_DEP_1) | instskip(SKIP_2) | instid1(VALU_DEP_3)
	v_lshrrev_b32_e32 v199, 16, v184
	v_bfe_u32 v183, v183, 24, 2
	v_lshrrev_b16 v196, 8, v184
	v_sub_nc_u16 v199, v199, v224
	s_delay_alu instid0(VALU_DEP_3) | instskip(SKIP_1) | instid1(VALU_DEP_2)
	v_sub_nc_u16 v183, v183, v223
	v_lshrrev_b16 v224, 8, v187
	v_lshlrev_b16 v183, 8, v183
	s_delay_alu instid0(VALU_DEP_1) | instskip(SKIP_2) | instid1(VALU_DEP_2)
	v_bitop3_b16 v223, v199, v183, 0xff bitop3:0xec
	v_sub_nc_u16 v183, v196, v219
	v_sub_nc_u16 v219, v184, v186
	v_lshlrev_b16 v196, 8, v183
	v_ashrrev_i32_e32 v183, s19, v185
	s_delay_alu instid0(VALU_DEP_1) | instskip(SKIP_1) | instid1(VALU_DEP_2)
	v_and_b32_e32 v184, 0x3030303, v183
	v_bfe_u32 v183, v183, 24, 2
	v_lshrrev_b32_e32 v186, 16, v184
	v_lshrrev_b16 v185, 8, v184
	v_sub_nc_u16 v227, v184, v187
	s_delay_alu instid0(VALU_DEP_4) | instskip(NEXT) | instid1(VALU_DEP_4)
	v_sub_nc_u16 v183, v183, v225
	v_sub_nc_u16 v226, v186, v226
	ds_load_2addr_b32 v[186:187], v189 offset0:6 offset1:7
	v_lshlrev_b16 v183, 8, v183
	s_delay_alu instid0(VALU_DEP_1) | instskip(SKIP_1) | instid1(VALU_DEP_1)
	v_bitop3_b16 v225, v226, v183, 0xff bitop3:0xec
	v_sub_nc_u16 v183, v185, v224
	v_lshlrev_b16 v224, 8, v183
	v_add_nc_u32_e32 v183, 0x1098, v215
	s_delay_alu instid0(VALU_DEP_2) | instskip(SKIP_3) | instid1(VALU_DEP_1)
	v_perm_b32 v224, v224, v224, 0xc0c0c01
	ds_load_2addr_b32 v[184:185], v183 offset1:1
	s_wait_dscnt 0x1
	v_dual_ashrrev_i32 v186, s18, v186 :: v_dual_ashrrev_i32 v187, s18, v187
	v_dual_lshlrev_b32 v186, 2, v186 :: v_dual_lshlrev_b32 v187, 2, v187
	s_delay_alu instid0(VALU_DEP_1) | instskip(NEXT) | instid1(VALU_DEP_2)
	v_and_b32_e32 v186, 0x4040404, v186
	v_and_b32_e32 v187, 0x4040404, v187
	s_delay_alu instid0(VALU_DEP_2) | instskip(SKIP_3) | instid1(VALU_DEP_1)
	v_dual_lshrrev_b32 v240, 24, v186 :: v_dual_lshrrev_b32 v244, 16, v186
	v_lshrrev_b16 v189, 8, v186
	s_wait_dscnt 0x0
	v_ashrrev_i32_e32 v183, s19, v184
	v_and_b32_e32 v184, 0x3030303, v183
	s_delay_alu instid0(VALU_DEP_1) | instskip(SKIP_2) | instid1(VALU_DEP_3)
	v_lshrrev_b32_e32 v235, 16, v184
	v_bfe_u32 v183, v183, 24, 2
	v_lshrrev_b16 v234, 8, v184
	v_sub_nc_u16 v254, v235, v244
	s_delay_alu instid0(VALU_DEP_3) | instskip(SKIP_2) | instid1(VALU_DEP_3)
	v_sub_nc_u16 v183, v183, v240
	v_sub_nc_u16 v235, v184, v186
	v_lshrrev_b32_e32 v240, 16, v187
	v_lshlrev_b16 v183, 8, v183
	s_delay_alu instid0(VALU_DEP_1) | instskip(SKIP_3) | instid1(VALU_DEP_4)
	v_bitop3_b16 v255, v254, v183, 0xff bitop3:0xec
	v_sub_nc_u16 v183, v234, v189
	v_lshrrev_b32_e32 v234, 24, v187
	v_lshrrev_b16 v189, 8, v187
	v_perm_b32 v217, v255, v254, 0xc05000c
	s_set_vgpr_msb 64                       ;  msbs: dst=1 src0=0 src1=0 src2=0
	v_lshlrev_b16 v0 /*v256*/, 8, v183
	s_set_vgpr_msb 0                        ;  msbs: dst=0 src0=0 src1=0 src2=0
	v_ashrrev_i32_e32 v183, s19, v185
	s_set_vgpr_msb 5                        ;  msbs: dst=0 src0=1 src1=1 src2=0
	s_delay_alu instid0(VALU_DEP_2) | instskip(SKIP_1) | instid1(VALU_DEP_2)
	v_perm_b32 v218, v0 /*v256*/, v0 /*v256*/, 0xc0c0c01
	s_set_vgpr_msb 0                        ;  msbs: dst=0 src0=0 src1=0 src2=0
	v_and_b32_e32 v184, 0x3030303, v183
	v_bfe_u32 v183, v183, 24, 2
	s_delay_alu instid0(VALU_DEP_2) | instskip(SKIP_1) | instid1(VALU_DEP_3)
	v_dual_lshrrev_b32 v186, 16, v184 :: v_dual_bitop2_b32 v217, v217, v218 bitop3:0x54
	v_lshrrev_b16 v185, 8, v184
	v_sub_nc_u16 v183, v183, v234
	v_sub_nc_u16 v234, v184, v187
	v_bfe_i32 v184, v191, 0, 8
	s_set_vgpr_msb 64                       ;  msbs: dst=1 src0=0 src1=0 src2=0
	v_sub_nc_u16 v1 /*v257*/, v186, v240
	s_set_vgpr_msb 0                        ;  msbs: dst=0 src0=0 src1=0 src2=0
	v_lshlrev_b16 v183, 8, v183
	v_mul_i32_i24_e32 v186, v184, v207
	s_set_vgpr_msb 0x41                     ;  msbs: dst=1 src0=1 src1=0 src2=0
	s_delay_alu instid0(VALU_DEP_2)
	v_bitop3_b16 v2 /*v258*/, v1 /*v257*/, v183, 0xff bitop3:0xec
	s_set_vgpr_msb 0                        ;  msbs: dst=0 src0=0 src1=0 src2=0
	v_sub_nc_u16 v183, v185, v189
	v_bfe_i32 v185, v190, 8, 8
	v_bfe_i32 v189, v250, 8, 8
	;; [unrolled: 1-line block ×3, first 2 shown]
	s_set_vgpr_msb 5                        ;  msbs: dst=0 src0=1 src1=1 src2=0
	v_perm_b32 v218, v2 /*v258*/, v1 /*v257*/, 0xc05000c
	s_set_vgpr_msb 64                       ;  msbs: dst=1 src0=0 src1=0 src2=0
	v_lshlrev_b16 v3 /*v259*/, 8, v183
	s_set_vgpr_msb 0                        ;  msbs: dst=0 src0=0 src1=0 src2=0
	v_mad_i32_i24 v187, v185, v208, v186
	v_perm_b32 v186, v0, v188, 0xc0c0500
	v_bfe_i32 v188, v197, 0, 8
	v_add3_u32 v183, s22, v140, v131
	s_delay_alu instid0(VALU_DEP_3)
	v_dot4_i32_iu8 v0, v186, v239, v187 neg_lo:[1,1,0]
	v_bfe_i32 v187, v195, 0, 8
	v_mul_i32_i24_e32 v195, v228, v189
	v_bfe_i32 v189, v198, 0, 8
	v_mul_i32_i24_e32 v198, v230, v190
	v_perm_b32 v190, v193, v194, 0xc05000c
	v_add_nc_u32_e32 v240, s21, v57
	v_mul_i32_i24_e32 v191, v202, v188
	v_bfe_i32 v193, v196, 8, 8
	ds_load_b32 v183, v183
	v_bfe_i32 v196, v235, 0, 8
	v_mad_i32_i24 v0, v187, v205, v0
	v_or_b32_e32 v190, v190, v192
	v_bfe_i32 v192, v219, 0, 8
	v_mul_i32_i24_e32 v197, v229, v189
	s_delay_alu instid0(VALU_DEP_3) | instskip(NEXT) | instid1(VALU_DEP_3)
	v_dot4_i32_iu8 v0, v190, v231, v0 neg_lo:[1,1,0]
	v_mul_i32_i24_e32 v194, v192, v203
	s_delay_alu instid0(VALU_DEP_2) | instskip(SKIP_1) | instid1(VALU_DEP_3)
	v_add3_u32 v0, v0, v191, v195
	v_perm_b32 v191, v249, v248, 0xc0c0500
	v_mad_i32_i24 v195, v193, v204, v194
	v_perm_b32 v194, v223, v199, 0xc0c0500
	v_mul_i32_i24_e32 v199, v114, v196
	s_set_vgpr_msb 1                        ;  msbs: dst=0 src0=1 src1=0 src2=0
	v_bfe_i32 v223, v3 /*v259*/, 8, 8
	s_set_vgpr_msb 0                        ;  msbs: dst=0 src0=0 src1=0 src2=0
	v_dot4_i32_iu8 v0, v232, v191, v0 neg_lo:[1,1,0]
	v_perm_b32 v191, v252, v251, 0xc0c0500
	s_delay_alu instid0(VALU_DEP_3) | instskip(NEXT) | instid1(VALU_DEP_3)
	v_mul_i32_i24_e32 v223, v237, v223
	v_add3_u32 v0, v0, v197, v198
	v_dot4_i32_iu8 v198, v194, v241, v195 neg_lo:[1,1,0]
	v_bfe_i32 v195, v227, 0, 8
	s_set_vgpr_msb 1                        ;  msbs: dst=0 src0=1 src1=0 src2=0
	v_bfe_i32 v197, v0 /*v256*/, 8, 8
	s_set_vgpr_msb 0                        ;  msbs: dst=0 src0=0 src1=0 src2=0
	v_dot4_i32_iu8 v0, v233, v191, v0 neg_lo:[1,1,0]
	ds_load_u16 v191, v240
	v_mul_i32_i24_e32 v219, v236, v197
	v_bfe_i32 v197, v234, 0, 8
	v_mad_i32_i24 v234, v195, v200, v198
	v_perm_b32 v198, v225, v226, 0xc05000c
	s_delay_alu instid0(VALU_DEP_3) | instskip(NEXT) | instid1(VALU_DEP_2)
	v_mul_i32_i24_e32 v227, v182, v197
	v_or_b32_e32 v198, v198, v224
	s_delay_alu instid0(VALU_DEP_1) | instskip(SKIP_1) | instid1(VALU_DEP_2)
	v_dot4_i32_iu8 v224, v198, v238, v234 neg_lo:[1,1,0]
	v_add3_u32 v234, s20, v141, v132
	v_add3_u32 v199, v224, v199, v219
	v_perm_b32 v219, v255, v254, 0xc0c0500
	s_wait_dscnt 0x0
	v_lshrrev_b16 v240, 8, v191
	v_bfe_i32 v191, v191, 0, 8
	s_delay_alu instid0(VALU_DEP_3)
	v_dot4_i32_iu8 v199, v242, v219, v199 neg_lo:[1,1,0]
	s_set_vgpr_msb 5                        ;  msbs: dst=0 src0=1 src1=1 src2=0
	v_perm_b32 v219, v2 /*v258*/, v1 /*v257*/, 0xc0c0500
	s_set_vgpr_msb 0                        ;  msbs: dst=0 src0=0 src1=0 src2=0
	v_mul_lo_u32 v0, v0, v191
	v_add3_u32 v199, v199, v227, v223
	ds_load_2addr_b32 v[226:227], v234 offset1:1
	v_dot4_i32_iu8 v219, v243, v219, v199 neg_lo:[1,1,0]
	v_bfe_i32 v199, v240, 0, 8
	s_delay_alu instid0(VALU_DEP_1) | instskip(SKIP_3) | instid1(VALU_DEP_3)
	v_mad_u32 v0, v219, v199, v0
	v_mul_f32_e32 v219, v115, v183
	s_wait_dscnt 0x0
	v_ashrrev_i32_e32 v227, s18, v227
	v_cvt_f32_i32_e32 v0, v0
	s_delay_alu instid0(VALU_DEP_1) | instskip(SKIP_1) | instid1(VALU_DEP_2)
	v_dual_mul_f32 v240, v219, v0 :: v_dual_lshlrev_b32 v227, 2, v227
	v_add_nc_u32_e32 v0, 0x2100, v215
	v_and_b32_e32 v227, 0x4040404, v227
	ds_load_2addr_b32 v[224:225], v0 offset1:1
	v_dual_ashrrev_i32 v226, s18, v226 :: v_dual_lshrrev_b32 v246, 24, v227
	s_delay_alu instid0(VALU_DEP_1) | instskip(NEXT) | instid1(VALU_DEP_1)
	v_dual_lshrrev_b32 v247, 16, v227 :: v_dual_lshlrev_b32 v226, 2, v226
	v_and_b32_e32 v226, 0x4040404, v226
	s_delay_alu instid0(VALU_DEP_1) | instskip(SKIP_3) | instid1(VALU_DEP_1)
	v_lshrrev_b16 v235, 8, v226
	v_dual_lshrrev_b32 v244, 24, v226 :: v_dual_lshrrev_b32 v245, 16, v226
	s_wait_dscnt 0x0
	v_ashrrev_i32_e32 v0, s19, v224
	v_and_b32_e32 v219, 0x3030303, v0
	s_delay_alu instid0(VALU_DEP_1) | instskip(SKIP_2) | instid1(VALU_DEP_3)
	v_lshrrev_b16 v223, 8, v219
	v_lshrrev_b32_e32 v224, 16, v219
	v_bfe_u32 v0, v0, 24, 2
	v_sub_nc_u16 v223, v223, v235
	s_delay_alu instid0(VALU_DEP_3) | instskip(NEXT) | instid1(VALU_DEP_3)
	v_sub_nc_u16 v245, v224, v245
	v_sub_nc_u16 v0, v0, v244
	v_lshrrev_b16 v244, 8, v227
	s_delay_alu instid0(VALU_DEP_4) | instskip(SKIP_3) | instid1(VALU_DEP_3)
	v_lshlrev_b16 v235, 8, v223
	v_sub_nc_u16 v223, v219, v226
	v_ashrrev_i32_e32 v219, s19, v225
	v_lshlrev_b16 v0, 8, v0
	v_bfe_i32 v223, v223, 0, 8
	s_delay_alu instid0(VALU_DEP_3) | instskip(SKIP_1) | instid1(VALU_DEP_4)
	v_and_b32_e32 v224, 0x3030303, v219
	v_bfe_u32 v219, v219, 24, 2
	v_bitop3_b16 v0, v245, v0, 0xff bitop3:0xec
	s_delay_alu instid0(VALU_DEP_3)
	v_lshrrev_b32_e32 v226, 16, v224
	v_lshrrev_b16 v225, 8, v224
	s_set_vgpr_msb 64                       ;  msbs: dst=1 src0=0 src1=0 src2=0
	v_sub_nc_u16 v4 /*v260*/, v224, v227
	s_set_vgpr_msb 0                        ;  msbs: dst=0 src0=0 src1=0 src2=0
	v_sub_nc_u16 v219, v219, v246
	v_sub_nc_u16 v247, v226, v247
	ds_load_2addr_b32 v[226:227], v234 offset0:2 offset1:3
	v_lshlrev_b16 v219, 8, v219
	s_delay_alu instid0(VALU_DEP_1) | instskip(SKIP_1) | instid1(VALU_DEP_1)
	v_bitop3_b16 v246, v247, v219, 0xff bitop3:0xec
	v_sub_nc_u16 v219, v225, v244
	v_lshlrev_b16 v244, 8, v219
	v_add_nc_u32_e32 v219, 0x2108, v215
	s_delay_alu instid0(VALU_DEP_2) | instskip(SKIP_3) | instid1(VALU_DEP_1)
	v_perm_b32 v244, v244, v244, 0xc0c0c01
	ds_load_2addr_b32 v[224:225], v219 offset1:1
	s_wait_dscnt 0x1
	v_dual_ashrrev_i32 v226, s18, v226 :: v_dual_ashrrev_i32 v227, s18, v227
	v_dual_lshlrev_b32 v226, 2, v226 :: v_dual_lshlrev_b32 v227, 2, v227
	s_delay_alu instid0(VALU_DEP_1) | instskip(NEXT) | instid1(VALU_DEP_2)
	v_and_b32_e32 v226, 0x4040404, v226
	v_and_b32_e32 v227, 0x4040404, v227
	s_set_vgpr_msb 64                       ;  msbs: dst=1 src0=0 src1=0 src2=0
	s_delay_alu instid0(VALU_DEP_2) | instskip(NEXT) | instid1(VALU_DEP_2)
	v_dual_lshrrev_b32 v8 /*v264*/, 24, v226 :: v_dual_lshrrev_b32 v9 /*v265*/, 16, v226
	v_lshrrev_b32_e32 v10 /*v266*/, 24, v227
	v_lshrrev_b16 v7 /*v263*/, 8, v226
	s_wait_dscnt 0x0
	s_set_vgpr_msb 0                        ;  msbs: dst=0 src0=0 src1=0 src2=0
	v_ashrrev_i32_e32 v219, s19, v224
	s_set_vgpr_msb 64                       ;  msbs: dst=1 src0=0 src1=0 src2=0
	v_lshrrev_b32_e32 v11 /*v267*/, 16, v227
	s_set_vgpr_msb 0                        ;  msbs: dst=0 src0=0 src1=0 src2=0
	s_delay_alu instid0(VALU_DEP_2) | instskip(SKIP_2) | instid1(VALU_DEP_2)
	v_and_b32_e32 v224, 0x3030303, v219
	v_bfe_u32 v219, v219, 24, 2
	s_set_vgpr_msb 64                       ;  msbs: dst=1 src0=0 src1=0 src2=0
	v_lshrrev_b32_e32 v6 /*v262*/, 16, v224
	v_lshrrev_b16 v5 /*v261*/, 8, v224
	s_set_vgpr_msb 4                        ;  msbs: dst=0 src0=0 src1=1 src2=0
	v_sub_nc_u16 v219, v219, v8 /*v264*/
	s_set_vgpr_msb 0x45                     ;  msbs: dst=1 src0=1 src1=1 src2=0
	v_sub_nc_u16 v6 /*v262*/, v6 /*v262*/, v9 /*v265*/
	s_set_vgpr_msb 64                       ;  msbs: dst=1 src0=0 src1=0 src2=0
	v_sub_nc_u16 v9 /*v265*/, v224, v226
	s_set_vgpr_msb 0                        ;  msbs: dst=0 src0=0 src1=0 src2=0
	v_lshlrev_b16 v219, 8, v219
	s_set_vgpr_msb 0x41                     ;  msbs: dst=1 src0=1 src1=0 src2=0
	s_delay_alu instid0(VALU_DEP_1) | instskip(SKIP_4) | instid1(VALU_DEP_2)
	v_bitop3_b16 v8 /*v264*/, v6 /*v262*/, v219, 0xff bitop3:0xec
	s_set_vgpr_msb 5                        ;  msbs: dst=0 src0=1 src1=1 src2=0
	v_sub_nc_u16 v219, v5 /*v261*/, v7 /*v263*/
	s_set_vgpr_msb 64                       ;  msbs: dst=1 src0=0 src1=0 src2=0
	v_lshrrev_b16 v7 /*v263*/, 8, v227
	v_lshlrev_b16 v5 /*v261*/, 8, v219
	s_set_vgpr_msb 0                        ;  msbs: dst=0 src0=0 src1=0 src2=0
	v_ashrrev_i32_e32 v219, s19, v225
	s_delay_alu instid0(VALU_DEP_1) | instskip(SKIP_1) | instid1(VALU_DEP_2)
	v_and_b32_e32 v224, 0x3030303, v219
	v_bfe_u32 v219, v219, 24, 2
	v_lshrrev_b32_e32 v226, 16, v224
	s_set_vgpr_msb 4                        ;  msbs: dst=0 src0=0 src1=1 src2=0
	s_delay_alu instid0(VALU_DEP_2)
	v_sub_nc_u16 v219, v219, v10 /*v266*/
	s_set_vgpr_msb 0                        ;  msbs: dst=0 src0=0 src1=0 src2=0
	v_lshrrev_b16 v225, 8, v224
	s_set_vgpr_msb 64                       ;  msbs: dst=1 src0=0 src1=0 src2=0
	v_sub_nc_u16 v12 /*v268*/, v224, v227
	s_set_vgpr_msb 0x44                     ;  msbs: dst=1 src0=0 src1=1 src2=0
	v_sub_nc_u16 v11 /*v267*/, v226, v11 /*v267*/
	s_set_vgpr_msb 0                        ;  msbs: dst=0 src0=0 src1=0 src2=0
	v_lshlrev_b16 v219, 8, v219
	ds_load_2addr_b32 v[226:227], v234 offset0:4 offset1:5
	s_set_vgpr_msb 0x41                     ;  msbs: dst=1 src0=1 src1=0 src2=0
	v_bitop3_b16 v10 /*v266*/, v11 /*v267*/, v219, 0xff bitop3:0xec
	s_set_vgpr_msb 4                        ;  msbs: dst=0 src0=0 src1=1 src2=0
	v_sub_nc_u16 v219, v225, v7 /*v263*/
	s_set_vgpr_msb 64                       ;  msbs: dst=1 src0=0 src1=0 src2=0
	s_delay_alu instid0(VALU_DEP_1)
	v_lshlrev_b16 v7 /*v263*/, 8, v219
	s_set_vgpr_msb 0                        ;  msbs: dst=0 src0=0 src1=0 src2=0
	v_add_nc_u32_e32 v219, 0x2110, v215
	ds_load_2addr_b32 v[224:225], v219 offset1:1
	s_wait_dscnt 0x1
	v_dual_ashrrev_i32 v226, s18, v226 :: v_dual_ashrrev_i32 v227, s18, v227
	s_delay_alu instid0(VALU_DEP_1) | instskip(NEXT) | instid1(VALU_DEP_1)
	v_dual_lshlrev_b32 v226, 2, v226 :: v_dual_lshlrev_b32 v227, 2, v227
	v_and_b32_e32 v226, 0x4040404, v226
	s_delay_alu instid0(VALU_DEP_2) | instskip(SKIP_1) | instid1(VALU_DEP_2)
	v_and_b32_e32 v227, 0x4040404, v227
	s_set_vgpr_msb 64                       ;  msbs: dst=1 src0=0 src1=0 src2=0
	v_dual_lshrrev_b32 v16 /*v272*/, 24, v226 :: v_dual_lshrrev_b32 v17 /*v273*/, 16, v226
	s_wait_dscnt 0x0
	s_set_vgpr_msb 0                        ;  msbs: dst=0 src0=0 src1=0 src2=0
	v_ashrrev_i32_e32 v219, s19, v224
	s_set_vgpr_msb 64                       ;  msbs: dst=1 src0=0 src1=0 src2=0
	v_lshrrev_b16 v15 /*v271*/, 8, v226
	v_dual_lshrrev_b32 v18 /*v274*/, 24, v227 :: v_dual_lshrrev_b32 v19 /*v275*/, 16, v227
	s_set_vgpr_msb 0                        ;  msbs: dst=0 src0=0 src1=0 src2=0
	v_and_b32_e32 v224, 0x3030303, v219
	v_bfe_u32 v219, v219, 24, 2
	s_set_vgpr_msb 64                       ;  msbs: dst=1 src0=0 src1=0 src2=0
	s_delay_alu instid0(VALU_DEP_2)
	v_lshrrev_b32_e32 v14 /*v270*/, 16, v224
	v_lshrrev_b16 v13 /*v269*/, 8, v224
	s_set_vgpr_msb 4                        ;  msbs: dst=0 src0=0 src1=1 src2=0
	v_sub_nc_u16 v219, v219, v16 /*v272*/
	s_set_vgpr_msb 0x45                     ;  msbs: dst=1 src0=1 src1=1 src2=0
	v_sub_nc_u16 v14 /*v270*/, v14 /*v270*/, v17 /*v273*/
	s_set_vgpr_msb 64                       ;  msbs: dst=1 src0=0 src1=0 src2=0
	v_lshrrev_b16 v17 /*v273*/, 8, v227
	s_set_vgpr_msb 0                        ;  msbs: dst=0 src0=0 src1=0 src2=0
	v_lshlrev_b16 v219, 8, v219
	s_set_vgpr_msb 0x41                     ;  msbs: dst=1 src0=1 src1=0 src2=0
	s_delay_alu instid0(VALU_DEP_1) | instskip(SKIP_4) | instid1(VALU_DEP_2)
	v_bitop3_b16 v16 /*v272*/, v14 /*v270*/, v219, 0xff bitop3:0xec
	s_set_vgpr_msb 5                        ;  msbs: dst=0 src0=1 src1=1 src2=0
	v_sub_nc_u16 v219, v13 /*v269*/, v15 /*v271*/
	s_set_vgpr_msb 64                       ;  msbs: dst=1 src0=0 src1=0 src2=0
	v_sub_nc_u16 v15 /*v271*/, v224, v226
	v_lshlrev_b16 v13 /*v269*/, 8, v219
	s_set_vgpr_msb 0                        ;  msbs: dst=0 src0=0 src1=0 src2=0
	v_ashrrev_i32_e32 v219, s19, v225
	s_delay_alu instid0(VALU_DEP_1) | instskip(NEXT) | instid1(VALU_DEP_1)
	v_and_b32_e32 v224, 0x3030303, v219
	v_lshrrev_b32_e32 v226, 16, v224
	v_bfe_u32 v219, v219, 24, 2
	v_lshrrev_b16 v225, 8, v224
	s_set_vgpr_msb 64                       ;  msbs: dst=1 src0=0 src1=0 src2=0
	v_sub_nc_u16 v20 /*v276*/, v224, v227
	s_set_vgpr_msb 0x44                     ;  msbs: dst=1 src0=0 src1=1 src2=0
	v_sub_nc_u16 v19 /*v275*/, v226, v19 /*v275*/
	s_set_vgpr_msb 4                        ;  msbs: dst=0 src0=0 src1=1 src2=0
	v_sub_nc_u16 v219, v219, v18 /*v274*/
	ds_load_2addr_b32 v[226:227], v234 offset0:6 offset1:7
	s_set_vgpr_msb 0                        ;  msbs: dst=0 src0=0 src1=0 src2=0
	v_lshlrev_b16 v219, 8, v219
	s_set_vgpr_msb 0x41                     ;  msbs: dst=1 src0=1 src1=0 src2=0
	s_delay_alu instid0(VALU_DEP_1) | instskip(SKIP_3) | instid1(VALU_DEP_1)
	v_bitop3_b16 v18 /*v274*/, v19 /*v275*/, v219, 0xff bitop3:0xec
	s_set_vgpr_msb 4                        ;  msbs: dst=0 src0=0 src1=1 src2=0
	v_sub_nc_u16 v219, v225, v17 /*v273*/
	s_set_vgpr_msb 64                       ;  msbs: dst=1 src0=0 src1=0 src2=0
	v_lshlrev_b16 v17 /*v273*/, 8, v219
	s_set_vgpr_msb 0                        ;  msbs: dst=0 src0=0 src1=0 src2=0
	v_add_nc_u32_e32 v219, 0x2118, v215
	s_wait_dscnt 0x0
	v_ashrrev_i32_e32 v226, s18, v226
	ds_load_2addr_b32 v[224:225], v219 offset1:1
	v_dual_ashrrev_i32 v227, s18, v227 :: v_dual_lshlrev_b32 v226, 2, v226
	s_delay_alu instid0(VALU_DEP_1) | instskip(NEXT) | instid1(VALU_DEP_2)
	v_lshlrev_b32_e32 v227, 2, v227
	v_and_b32_e32 v226, 0x4040404, v226
	s_delay_alu instid0(VALU_DEP_2) | instskip(SKIP_1) | instid1(VALU_DEP_2)
	v_and_b32_e32 v227, 0x4040404, v227
	s_set_vgpr_msb 64                       ;  msbs: dst=1 src0=0 src1=0 src2=0
	v_dual_lshrrev_b32 v23 /*v279*/, 24, v226 :: v_dual_lshrrev_b32 v24 /*v280*/, 16, v226
	s_delay_alu instid0(VALU_DEP_2)
	v_lshrrev_b32_e32 v25 /*v281*/, 24, v227
	s_set_vgpr_msb 0                        ;  msbs: dst=0 src0=0 src1=0 src2=0
	v_lshrrev_b16 v234, 8, v226
	s_set_vgpr_msb 64                       ;  msbs: dst=1 src0=0 src1=0 src2=0
	v_lshrrev_b32_e32 v26 /*v282*/, 16, v227
	s_wait_dscnt 0x0
	s_set_vgpr_msb 0                        ;  msbs: dst=0 src0=0 src1=0 src2=0
	v_ashrrev_i32_e32 v219, s19, v224
	s_delay_alu instid0(VALU_DEP_1) | instskip(SKIP_2) | instid1(VALU_DEP_2)
	v_and_b32_e32 v224, 0x3030303, v219
	v_bfe_u32 v219, v219, 24, 2
	s_set_vgpr_msb 64                       ;  msbs: dst=1 src0=0 src1=0 src2=0
	v_lshrrev_b32_e32 v22 /*v278*/, 16, v224
	v_lshrrev_b16 v21 /*v277*/, 8, v224
	s_set_vgpr_msb 4                        ;  msbs: dst=0 src0=0 src1=1 src2=0
	v_sub_nc_u16 v219, v219, v23 /*v279*/
	s_set_vgpr_msb 0x45                     ;  msbs: dst=1 src0=1 src1=1 src2=0
	v_sub_nc_u16 v22 /*v278*/, v22 /*v278*/, v24 /*v280*/
	s_set_vgpr_msb 64                       ;  msbs: dst=1 src0=0 src1=0 src2=0
	v_sub_nc_u16 v24 /*v280*/, v224, v226
	s_set_vgpr_msb 0                        ;  msbs: dst=0 src0=0 src1=0 src2=0
	v_lshlrev_b16 v219, 8, v219
	s_set_vgpr_msb 0x41                     ;  msbs: dst=1 src0=1 src1=0 src2=0
	s_delay_alu instid0(VALU_DEP_1)
	v_bitop3_b16 v23 /*v279*/, v22 /*v278*/, v219, 0xff bitop3:0xec
	s_set_vgpr_msb 1                        ;  msbs: dst=0 src0=1 src1=0 src2=0
	v_sub_nc_u16 v219, v21 /*v277*/, v234
	v_lshrrev_b16 v234, 8, v227
	s_set_vgpr_msb 5                        ;  msbs: dst=0 src0=1 src1=1 src2=0
	v_perm_b32 v222, v23 /*v279*/, v22 /*v278*/, 0xc05000c
	s_set_vgpr_msb 64                       ;  msbs: dst=1 src0=0 src1=0 src2=0
	v_lshlrev_b16 v21 /*v277*/, 8, v219
	s_set_vgpr_msb 0                        ;  msbs: dst=0 src0=0 src1=0 src2=0
	v_ashrrev_i32_e32 v219, s19, v225
	s_delay_alu instid0(VALU_DEP_1) | instskip(SKIP_1) | instid1(VALU_DEP_2)
	v_and_b32_e32 v224, 0x3030303, v219
	v_bfe_u32 v219, v219, 24, 2
	v_lshrrev_b32_e32 v226, 16, v224
	s_set_vgpr_msb 4                        ;  msbs: dst=0 src0=0 src1=1 src2=0
	s_delay_alu instid0(VALU_DEP_2)
	v_sub_nc_u16 v219, v219, v25 /*v281*/
	s_set_vgpr_msb 0                        ;  msbs: dst=0 src0=0 src1=0 src2=0
	v_lshrrev_b16 v225, 8, v224
	s_set_vgpr_msb 64                       ;  msbs: dst=1 src0=0 src1=0 src2=0
	v_sub_nc_u16 v27 /*v283*/, v224, v227
	s_set_vgpr_msb 0                        ;  msbs: dst=0 src0=0 src1=0 src2=0
	v_bfe_i32 v224, v235, 8, 8
	s_set_vgpr_msb 1                        ;  msbs: dst=0 src0=1 src1=0 src2=0
	v_bfe_i32 v235, v5 /*v261*/, 8, 8
	v_bfe_i32 v227, v9 /*v265*/, 0, 8
	s_set_vgpr_msb 0x44                     ;  msbs: dst=1 src0=0 src1=1 src2=0
	v_sub_nc_u16 v26 /*v282*/, v226, v26 /*v282*/
	s_set_vgpr_msb 0                        ;  msbs: dst=0 src0=0 src1=0 src2=0
	v_lshlrev_b16 v219, 8, v219
	v_mul_i32_i24_e32 v235, v228, v235
	s_set_vgpr_msb 1                        ;  msbs: dst=0 src0=1 src1=0 src2=0
	v_bfe_i32 v228, v12 /*v268*/, 0, 8
	s_set_vgpr_msb 0x45                     ;  msbs: dst=1 src0=1 src1=1 src2=0
	v_perm_b32 v12 /*v268*/, v17 /*v273*/, v17 /*v273*/, 0xc0c0c01
	s_set_vgpr_msb 0x41                     ;  msbs: dst=1 src0=1 src1=0 src2=0
	v_bitop3_b16 v25 /*v281*/, v26 /*v282*/, v219, 0xff bitop3:0xec
	s_set_vgpr_msb 0                        ;  msbs: dst=0 src0=0 src1=0 src2=0
	v_sub_nc_u16 v219, v225, v234
	v_mul_i32_i24_e32 v225, v223, v207
	s_set_vgpr_msb 64                       ;  msbs: dst=1 src0=0 src1=0 src2=0
	v_mul_i32_i24_e32 v9 /*v265*/, v229, v228
	s_set_vgpr_msb 0                        ;  msbs: dst=0 src0=0 src1=0 src2=0
	v_perm_b32 v229, v246, v247, 0xc05000c
	v_add_nc_u32_e32 v234, s21, v59
	s_set_vgpr_msb 1                        ;  msbs: dst=0 src0=1 src1=0 src2=0
	v_bfe_i32 v246, v21 /*v277*/, 8, 8
	s_set_vgpr_msb 0                        ;  msbs: dst=0 src0=0 src1=0 src2=0
	v_mad_i32_i24 v226, v224, v208, v225
	v_perm_b32 v225, v0, v245, 0xc0c0500
	v_or_b32_e32 v229, v229, v244
	v_mul_i32_i24_e32 v245, v202, v227
	s_set_vgpr_msb 64                       ;  msbs: dst=1 src0=0 src1=0 src2=0
	v_lshlrev_b16 v28 /*v284*/, 8, v219
	s_set_vgpr_msb 0                        ;  msbs: dst=0 src0=0 src1=0 src2=0
	v_add3_u32 v219, s22, v142, v133
	v_mul_i32_i24_e32 v246, v236, v246
	s_set_vgpr_msb 1                        ;  msbs: dst=0 src0=1 src1=0 src2=0
	v_bfe_i32 v236, v27 /*v283*/, 0, 8
	s_set_vgpr_msb 0                        ;  msbs: dst=0 src0=0 src1=0 src2=0
	v_dot4_i32_iu8 v0, v225, v239, v226 neg_lo:[1,1,0]
	s_set_vgpr_msb 1                        ;  msbs: dst=0 src0=1 src1=0 src2=0
	v_bfe_i32 v226, v4 /*v260*/, 0, 8
	s_set_vgpr_msb 0x41                     ;  msbs: dst=1 src0=1 src1=0 src2=0
	v_bfe_i32 v4 /*v260*/, v7 /*v263*/, 8, 8
	s_set_vgpr_msb 0                        ;  msbs: dst=0 src0=0 src1=0 src2=0
	ds_load_b32 v219, v219
	v_mad_i32_i24 v0, v226, v205, v0
	s_set_vgpr_msb 4                        ;  msbs: dst=0 src0=0 src1=1 src2=0
	v_mul_i32_i24_e32 v230, v230, v4 /*v260*/
	s_set_vgpr_msb 0x41                     ;  msbs: dst=1 src0=1 src1=0 src2=0
	v_bfe_i32 v4 /*v260*/, v28 /*v284*/, 8, 8
	s_set_vgpr_msb 0                        ;  msbs: dst=0 src0=0 src1=0 src2=0
	v_dot4_i32_iu8 v0, v229, v231, v0 neg_lo:[1,1,0]
	s_set_vgpr_msb 5                        ;  msbs: dst=0 src0=1 src1=1 src2=0
	v_perm_b32 v231, v8 /*v264*/, v6 /*v262*/, 0xc0c0500
	s_set_vgpr_msb 0x44                     ;  msbs: dst=1 src0=0 src1=1 src2=0
	v_mul_i32_i24_e32 v4 /*v260*/, v237, v4 /*v260*/
	s_set_vgpr_msb 5                        ;  msbs: dst=0 src0=1 src1=1 src2=0
	v_perm_b32 v237, v18 /*v274*/, v19 /*v275*/, 0xc05000c
	s_set_vgpr_msb 0                        ;  msbs: dst=0 src0=0 src1=0 src2=0
	v_add3_u32 v0, v0, v245, v235
	s_set_vgpr_msb 1                        ;  msbs: dst=0 src0=1 src1=0 src2=0
	v_bfe_i32 v235, v24 /*v280*/, 0, 8
	s_set_vgpr_msb 4                        ;  msbs: dst=0 src0=0 src1=1 src2=0
	v_or_b32_e32 v237, v237, v12 /*v268*/
	s_set_vgpr_msb 0                        ;  msbs: dst=0 src0=0 src1=0 src2=0
	v_dot4_i32_iu8 v0, v232, v231, v0 neg_lo:[1,1,0]
	s_set_vgpr_msb 1                        ;  msbs: dst=0 src0=1 src1=0 src2=0
	v_bfe_i32 v231, v15 /*v271*/, 0, 8
	v_bfe_i32 v232, v13 /*v269*/, 8, 8
	s_set_vgpr_msb 0                        ;  msbs: dst=0 src0=0 src1=0 src2=0
	v_mul_i32_i24_e32 v247, v114, v235
	s_set_vgpr_msb 4                        ;  msbs: dst=0 src0=0 src1=1 src2=0
	v_add3_u32 v0, v0, v9 /*v265*/, v230
	s_set_vgpr_msb 5                        ;  msbs: dst=0 src0=1 src1=1 src2=0
	v_perm_b32 v230, v10 /*v266*/, v11 /*v267*/, 0xc0c0500
	s_set_vgpr_msb 64                       ;  msbs: dst=1 src0=0 src1=0 src2=0
	v_mul_i32_i24_e32 v9 /*v265*/, v182, v236
	s_set_vgpr_msb 0                        ;  msbs: dst=0 src0=0 src1=0 src2=0
	s_delay_alu instid0(VALU_DEP_2)
	v_dot4_i32_iu8 v0, v233, v230, v0 neg_lo:[1,1,0]
	v_mul_i32_i24_e32 v233, v231, v203
	ds_load_u16 v230, v234
	v_or_b32_e32 v213, v213, v214
	v_perm_b32 v214, v221, v220, 0xc05000c
	s_set_vgpr_msb 5                        ;  msbs: dst=0 src0=1 src1=1 src2=0
	v_perm_b32 v220, v3 /*v259*/, v3 /*v259*/, 0xc0c0c01
	v_perm_b32 v221, v7 /*v263*/, v7 /*v263*/, 0xc0c0c01
	s_set_vgpr_msb 0                        ;  msbs: dst=0 src0=0 src1=0 src2=0
	v_mad_i32_i24 v234, v232, v204, v233
	s_set_vgpr_msb 5                        ;  msbs: dst=0 src0=1 src1=1 src2=0
	v_perm_b32 v233, v16 /*v272*/, v14 /*v270*/, 0xc0c0500
	s_set_vgpr_msb 0                        ;  msbs: dst=0 src0=0 src1=0 src2=0
	v_or_b32_e32 v214, v214, v216
	v_perm_b32 v216, v253, v253, 0xc0c0c01
	v_or_b32_e32 v218, v218, v220
	s_set_vgpr_msb 5                        ;  msbs: dst=0 src0=1 src1=1 src2=0
	v_perm_b32 v220, v5 /*v261*/, v5 /*v261*/, 0xc0c0c01
	s_set_vgpr_msb 0                        ;  msbs: dst=0 src0=0 src1=0 src2=0
	v_dot4_i32_iu8 v245, v233, v241, v234 neg_lo:[1,1,0]
	s_set_vgpr_msb 1                        ;  msbs: dst=0 src0=1 src1=0 src2=0
	v_bfe_i32 v234, v20 /*v276*/, 0, 8
	s_set_vgpr_msb 0                        ;  msbs: dst=0 src0=0 src1=0 src2=0
	s_delay_alu instid0(VALU_DEP_1) | instskip(SKIP_3) | instid1(VALU_DEP_3)
	v_mad_i32_i24 v245, v234, v200, v245
	s_wait_dscnt 0x0
	v_lshrrev_b16 v244, 8, v230
	v_bfe_i32 v230, v230, 0, 8
	v_dot4_i32_iu8 v238, v237, v238, v245 neg_lo:[1,1,0]
	s_set_vgpr_msb 5                        ;  msbs: dst=0 src0=1 src1=1 src2=0
	v_perm_b32 v245, v23 /*v279*/, v22 /*v278*/, 0xc0c0500
	s_set_vgpr_msb 0                        ;  msbs: dst=0 src0=0 src1=0 src2=0
	v_mul_lo_u32 v0, v0, v230
	v_add3_u32 v238, v238, v247, v246
	s_delay_alu instid0(VALU_DEP_1) | instskip(SKIP_3) | instid1(VALU_DEP_2)
	v_dot4_i32_iu8 v238, v242, v245, v238 neg_lo:[1,1,0]
	s_set_vgpr_msb 5                        ;  msbs: dst=0 src0=1 src1=1 src2=0
	v_perm_b32 v242, v25 /*v281*/, v26 /*v282*/, 0xc0c0500
	s_set_vgpr_msb 20                       ;  msbs: dst=0 src0=0 src1=1 src2=1
	v_add3_u32 v238, v238, v9 /*v265*/, v4 /*v260*/
	s_set_vgpr_msb 64                       ;  msbs: dst=1 src0=0 src1=0 src2=0
	v_add3_u32 v9 /*v265*/, s20, v143, v134
	s_set_vgpr_msb 0                        ;  msbs: dst=0 src0=0 src1=0 src2=0
	s_delay_alu instid0(VALU_DEP_2)
	v_dot4_i32_iu8 v242, v243, v242, v238 neg_lo:[1,1,0]
	v_bfe_i32 v238, v244, 0, 8
	s_set_vgpr_msb 1                        ;  msbs: dst=0 src0=1 src1=0 src2=0
	ds_load_2addr_b32 v[246:247], v9 /*v265*/ offset1:1
	s_set_vgpr_msb 0                        ;  msbs: dst=0 src0=0 src1=0 src2=0
	v_mad_u32 v0, v242, v238, v0
	v_mul_f32_e32 v242, v115, v219
	s_delay_alu instid0(VALU_DEP_2) | instskip(NEXT) | instid1(VALU_DEP_1)
	v_cvt_f32_i32_e32 v0, v0
	v_mul_f32_e32 v242, v242, v0
	v_add_nc_u32_e32 v0, 0x3180, v215
	s_wait_dscnt 0x0
	v_dual_ashrrev_i32 v246, s18, v246 :: v_dual_ashrrev_i32 v247, s18, v247
	ds_load_2addr_b32 v[244:245], v0 offset1:1
	v_dual_lshlrev_b32 v246, 2, v246 :: v_dual_lshlrev_b32 v247, 2, v247
	s_delay_alu instid0(VALU_DEP_1) | instskip(NEXT) | instid1(VALU_DEP_2)
	v_and_b32_e32 v246, 0x4040404, v246
	v_and_b32_e32 v247, 0x4040404, v247
	s_set_vgpr_msb 64                       ;  msbs: dst=1 src0=0 src1=0 src2=0
	s_delay_alu instid0(VALU_DEP_2) | instskip(SKIP_1) | instid1(VALU_DEP_3)
	v_dual_lshrrev_b32 v13 /*v269*/, 24, v246 :: v_dual_lshrrev_b32 v14 /*v270*/, 16, v246
	v_lshrrev_b16 v12 /*v268*/, 8, v246
	v_dual_lshrrev_b32 v15 /*v271*/, 24, v247 :: v_dual_lshrrev_b32 v16 /*v272*/, 16, v247
	s_wait_dscnt 0x0
	s_set_vgpr_msb 0                        ;  msbs: dst=0 src0=0 src1=0 src2=0
	v_ashrrev_i32_e32 v0, s19, v244
	s_delay_alu instid0(VALU_DEP_1) | instskip(SKIP_2) | instid1(VALU_DEP_2)
	v_and_b32_e32 v243, 0x3030303, v0
	v_bfe_u32 v0, v0, 24, 2
	s_set_vgpr_msb 64                       ;  msbs: dst=1 src0=0 src1=0 src2=0
	v_lshrrev_b32_e32 v4 /*v260*/, 16, v243
	s_set_vgpr_msb 4                        ;  msbs: dst=0 src0=0 src1=1 src2=0
	s_delay_alu instid0(VALU_DEP_2)
	v_sub_nc_u16 v0, v0, v13 /*v269*/
	s_set_vgpr_msb 0                        ;  msbs: dst=0 src0=0 src1=0 src2=0
	v_lshrrev_b16 v244, 8, v243
	v_sub_nc_u16 v243, v243, v246
	s_set_vgpr_msb 0x45                     ;  msbs: dst=1 src0=1 src1=1 src2=0
	v_sub_nc_u16 v4 /*v260*/, v4 /*v260*/, v14 /*v270*/
	s_set_vgpr_msb 0                        ;  msbs: dst=0 src0=0 src1=0 src2=0
	v_lshlrev_b16 v0, 8, v0
	s_set_vgpr_msb 0x41                     ;  msbs: dst=1 src0=1 src1=0 src2=0
	v_lshrrev_b16 v14 /*v270*/, 8, v247
	s_delay_alu instid0(VALU_DEP_2) | instskip(SKIP_3) | instid1(VALU_DEP_1)
	v_bitop3_b16 v13 /*v269*/, v4 /*v260*/, v0, 0xff bitop3:0xec
	s_set_vgpr_msb 4                        ;  msbs: dst=0 src0=0 src1=1 src2=0
	v_sub_nc_u16 v0, v244, v12 /*v268*/
	s_set_vgpr_msb 64                       ;  msbs: dst=1 src0=0 src1=0 src2=0
	v_lshlrev_b16 v12 /*v268*/, 8, v0
	s_set_vgpr_msb 0                        ;  msbs: dst=0 src0=0 src1=0 src2=0
	v_ashrrev_i32_e32 v0, s19, v245
	s_set_vgpr_msb 0x41                     ;  msbs: dst=1 src0=1 src1=0 src2=0
	s_delay_alu instid0(VALU_DEP_2) | instskip(SKIP_1) | instid1(VALU_DEP_2)
	v_bfe_i32 v12 /*v268*/, v12 /*v268*/, 8, 8
	s_set_vgpr_msb 0                        ;  msbs: dst=0 src0=0 src1=0 src2=0
	v_and_b32_e32 v244, 0x3030303, v0
	v_bfe_u32 v0, v0, 24, 2
	s_delay_alu instid0(VALU_DEP_2)
	v_lshrrev_b32_e32 v246, 16, v244
	v_lshrrev_b16 v245, 8, v244
	s_set_vgpr_msb 64                       ;  msbs: dst=1 src0=0 src1=0 src2=0
	v_sub_nc_u16 v17 /*v273*/, v244, v247
	s_set_vgpr_msb 4                        ;  msbs: dst=0 src0=0 src1=1 src2=0
	v_sub_nc_u16 v0, v0, v15 /*v271*/
	s_set_vgpr_msb 0x44                     ;  msbs: dst=1 src0=0 src1=1 src2=0
	v_sub_nc_u16 v16 /*v272*/, v246, v16 /*v272*/
	s_set_vgpr_msb 1                        ;  msbs: dst=0 src0=1 src1=0 src2=0
	ds_load_2addr_b32 v[246:247], v9 /*v265*/ offset0:2 offset1:3
	v_lshlrev_b16 v0, 8, v0
	s_set_vgpr_msb 0x41                     ;  msbs: dst=1 src0=1 src1=0 src2=0
	s_delay_alu instid0(VALU_DEP_1) | instskip(SKIP_3) | instid1(VALU_DEP_1)
	v_bitop3_b16 v15 /*v271*/, v16 /*v272*/, v0, 0xff bitop3:0xec
	s_set_vgpr_msb 4                        ;  msbs: dst=0 src0=0 src1=1 src2=0
	v_sub_nc_u16 v0, v245, v14 /*v270*/
	s_set_vgpr_msb 64                       ;  msbs: dst=1 src0=0 src1=0 src2=0
	v_lshlrev_b16 v14 /*v270*/, 8, v0
	s_set_vgpr_msb 0                        ;  msbs: dst=0 src0=0 src1=0 src2=0
	v_add_nc_u32_e32 v0, 0x3188, v215
	ds_load_2addr_b32 v[244:245], v0 offset1:1
	s_wait_dscnt 0x1
	v_dual_ashrrev_i32 v246, s18, v246 :: v_dual_ashrrev_i32 v247, s18, v247
	s_delay_alu instid0(VALU_DEP_1) | instskip(NEXT) | instid1(VALU_DEP_1)
	v_dual_lshlrev_b32 v246, 2, v246 :: v_dual_lshlrev_b32 v247, 2, v247
	v_and_b32_e32 v246, 0x4040404, v246
	s_delay_alu instid0(VALU_DEP_2) | instskip(SKIP_1) | instid1(VALU_DEP_2)
	v_and_b32_e32 v247, 0x4040404, v247
	s_set_vgpr_msb 64                       ;  msbs: dst=1 src0=0 src1=0 src2=0
	v_dual_lshrrev_b32 v24 /*v280*/, 24, v246 :: v_dual_lshrrev_b32 v27 /*v283*/, 16, v246
	s_delay_alu instid0(VALU_DEP_2)
	v_lshrrev_b32_e32 v29 /*v285*/, 16, v247
	v_lshrrev_b16 v20 /*v276*/, 8, v246
	s_wait_dscnt 0x0
	s_set_vgpr_msb 0                        ;  msbs: dst=0 src0=0 src1=0 src2=0
	v_ashrrev_i32_e32 v0, s19, v244
	s_set_vgpr_msb 64                       ;  msbs: dst=1 src0=0 src1=0 src2=0
	v_lshrrev_b16 v30 /*v286*/, 8, v247
	s_set_vgpr_msb 0                        ;  msbs: dst=0 src0=0 src1=0 src2=0
	s_delay_alu instid0(VALU_DEP_2) | instskip(SKIP_2) | instid1(VALU_DEP_2)
	v_and_b32_e32 v244, 0x3030303, v0
	v_bfe_u32 v0, v0, 24, 2
	s_set_vgpr_msb 64                       ;  msbs: dst=1 src0=0 src1=0 src2=0
	v_lshrrev_b32_e32 v19 /*v275*/, 16, v244
	v_lshrrev_b16 v18 /*v274*/, 8, v244
	s_set_vgpr_msb 4                        ;  msbs: dst=0 src0=0 src1=1 src2=0
	v_sub_nc_u16 v0, v0, v24 /*v280*/
	s_set_vgpr_msb 0x45                     ;  msbs: dst=1 src0=1 src1=1 src2=0
	v_sub_nc_u16 v19 /*v275*/, v19 /*v275*/, v27 /*v283*/
	s_set_vgpr_msb 64                       ;  msbs: dst=1 src0=0 src1=0 src2=0
	v_lshrrev_b32_e32 v27 /*v283*/, 24, v247
	s_set_vgpr_msb 0                        ;  msbs: dst=0 src0=0 src1=0 src2=0
	v_lshlrev_b16 v0, 8, v0
	s_set_vgpr_msb 0x41                     ;  msbs: dst=1 src0=1 src1=0 src2=0
	s_delay_alu instid0(VALU_DEP_1) | instskip(SKIP_4) | instid1(VALU_DEP_2)
	v_bitop3_b16 v24 /*v280*/, v19 /*v275*/, v0, 0xff bitop3:0xec
	s_set_vgpr_msb 5                        ;  msbs: dst=0 src0=1 src1=1 src2=0
	v_sub_nc_u16 v0, v18 /*v274*/, v20 /*v276*/
	s_set_vgpr_msb 64                       ;  msbs: dst=1 src0=0 src1=0 src2=0
	v_sub_nc_u16 v20 /*v276*/, v244, v246
	v_lshlrev_b16 v18 /*v274*/, 8, v0
	s_set_vgpr_msb 0                        ;  msbs: dst=0 src0=0 src1=0 src2=0
	v_ashrrev_i32_e32 v0, s19, v245
	s_delay_alu instid0(VALU_DEP_1) | instskip(SKIP_1) | instid1(VALU_DEP_1)
	v_bfe_u32 v244, v0, 24, 2
	v_and_b32_e32 v0, 0x3030303, v0
	v_lshrrev_b16 v246, 8, v0
	v_lshrrev_b32_e32 v245, 16, v0
	s_set_vgpr_msb 64                       ;  msbs: dst=1 src0=0 src1=0 src2=0
	v_sub_nc_u16 v31 /*v287*/, v0, v247
	s_set_vgpr_msb 4                        ;  msbs: dst=0 src0=0 src1=1 src2=0
	v_sub_nc_u16 v0, v246, v30 /*v286*/
	s_set_vgpr_msb 0x44                     ;  msbs: dst=1 src0=0 src1=1 src2=0
	v_sub_nc_u16 v29 /*v285*/, v245, v29 /*v285*/
	s_set_vgpr_msb 1                        ;  msbs: dst=0 src0=1 src1=0 src2=0
	ds_load_2addr_b32 v[246:247], v9 /*v265*/ offset0:4 offset1:5
	v_lshlrev_b16 v0, 8, v0
	s_set_vgpr_msb 0x41                     ;  msbs: dst=1 src0=1 src1=0 src2=0
	s_delay_alu instid0(VALU_DEP_1) | instskip(SKIP_3) | instid1(VALU_DEP_1)
	v_bitop3_b16 v30 /*v286*/, v31 /*v287*/, v0, 0xff bitop3:0xec
	s_set_vgpr_msb 4                        ;  msbs: dst=0 src0=0 src1=1 src2=0
	v_sub_nc_u16 v0, v244, v27 /*v283*/
	s_set_vgpr_msb 0                        ;  msbs: dst=0 src0=0 src1=0 src2=0
	v_lshlrev_b16 v0, 8, v0
	s_set_vgpr_msb 0x41                     ;  msbs: dst=1 src0=1 src1=0 src2=0
	s_delay_alu instid0(VALU_DEP_1)
	v_bitop3_b16 v27 /*v283*/, v29 /*v285*/, v0, 0xff bitop3:0xec
	s_set_vgpr_msb 0                        ;  msbs: dst=0 src0=0 src1=0 src2=0
	v_add_nc_u32_e32 v0, 0x3190, v215
	s_wait_dscnt 0x0
	v_dual_ashrrev_i32 v246, s18, v246 :: v_dual_ashrrev_i32 v247, s18, v247
	ds_load_2addr_b32 v[244:245], v0 offset1:1
	v_dual_lshlrev_b32 v246, 2, v246 :: v_dual_lshlrev_b32 v247, 2, v247
	s_delay_alu instid0(VALU_DEP_1) | instskip(NEXT) | instid1(VALU_DEP_2)
	v_and_b32_e32 v246, 0x4040404, v246
	v_and_b32_e32 v247, 0x4040404, v247
	s_set_vgpr_msb 64                       ;  msbs: dst=1 src0=0 src1=0 src2=0
	s_delay_alu instid0(VALU_DEP_2) | instskip(SKIP_1) | instid1(VALU_DEP_3)
	v_dual_lshrrev_b32 v35 /*v291*/, 24, v246 :: v_dual_lshrrev_b32 v36 /*v292*/, 16, v246
	v_lshrrev_b16 v34 /*v290*/, 8, v246
	v_dual_lshrrev_b32 v37 /*v293*/, 24, v247 :: v_dual_lshrrev_b32 v38 /*v294*/, 16, v247
	s_wait_dscnt 0x0
	s_set_vgpr_msb 0                        ;  msbs: dst=0 src0=0 src1=0 src2=0
	v_ashrrev_i32_e32 v0, s19, v244
	s_delay_alu instid0(VALU_DEP_1) | instskip(SKIP_2) | instid1(VALU_DEP_2)
	v_and_b32_e32 v244, 0x3030303, v0
	v_bfe_u32 v0, v0, 24, 2
	s_set_vgpr_msb 64                       ;  msbs: dst=1 src0=0 src1=0 src2=0
	v_lshrrev_b32_e32 v33 /*v289*/, 16, v244
	s_set_vgpr_msb 4                        ;  msbs: dst=0 src0=0 src1=1 src2=0
	s_delay_alu instid0(VALU_DEP_2)
	v_sub_nc_u16 v0, v0, v35 /*v291*/
	s_set_vgpr_msb 64                       ;  msbs: dst=1 src0=0 src1=0 src2=0
	v_lshrrev_b16 v32 /*v288*/, 8, v244
	s_set_vgpr_msb 0x45                     ;  msbs: dst=1 src0=1 src1=1 src2=0
	v_sub_nc_u16 v33 /*v289*/, v33 /*v289*/, v36 /*v292*/
	s_set_vgpr_msb 0                        ;  msbs: dst=0 src0=0 src1=0 src2=0
	v_lshlrev_b16 v0, 8, v0
	s_set_vgpr_msb 64                       ;  msbs: dst=1 src0=0 src1=0 src2=0
	v_sub_nc_u16 v36 /*v292*/, v244, v246
	s_set_vgpr_msb 0x41                     ;  msbs: dst=1 src0=1 src1=0 src2=0
	s_delay_alu instid0(VALU_DEP_2) | instskip(SKIP_4) | instid1(VALU_DEP_2)
	v_bitop3_b16 v35 /*v291*/, v33 /*v289*/, v0, 0xff bitop3:0xec
	s_set_vgpr_msb 5                        ;  msbs: dst=0 src0=1 src1=1 src2=0
	v_sub_nc_u16 v0, v32 /*v288*/, v34 /*v290*/
	s_set_vgpr_msb 64                       ;  msbs: dst=1 src0=0 src1=0 src2=0
	v_lshrrev_b16 v34 /*v290*/, 8, v247
	v_lshlrev_b16 v32 /*v288*/, 8, v0
	s_set_vgpr_msb 0                        ;  msbs: dst=0 src0=0 src1=0 src2=0
	v_ashrrev_i32_e32 v0, s19, v245
	s_delay_alu instid0(VALU_DEP_1) | instskip(SKIP_1) | instid1(VALU_DEP_2)
	v_and_b32_e32 v244, 0x3030303, v0
	v_bfe_u32 v0, v0, 24, 2
	v_lshrrev_b32_e32 v246, 16, v244
	v_lshrrev_b16 v245, 8, v244
	s_set_vgpr_msb 64                       ;  msbs: dst=1 src0=0 src1=0 src2=0
	v_sub_nc_u16 v39 /*v295*/, v244, v247
	s_set_vgpr_msb 4                        ;  msbs: dst=0 src0=0 src1=1 src2=0
	v_sub_nc_u16 v0, v0, v37 /*v293*/
	s_set_vgpr_msb 0x44                     ;  msbs: dst=1 src0=0 src1=1 src2=0
	v_sub_nc_u16 v38 /*v294*/, v246, v38 /*v294*/
	s_set_vgpr_msb 1                        ;  msbs: dst=0 src0=1 src1=0 src2=0
	ds_load_2addr_b32 v[246:247], v9 /*v265*/ offset0:6 offset1:7
	v_lshlrev_b16 v0, 8, v0
	s_set_vgpr_msb 0x41                     ;  msbs: dst=1 src0=1 src1=0 src2=0
	s_delay_alu instid0(VALU_DEP_1) | instskip(SKIP_3) | instid1(VALU_DEP_1)
	v_bitop3_b16 v37 /*v293*/, v38 /*v294*/, v0, 0xff bitop3:0xec
	s_set_vgpr_msb 4                        ;  msbs: dst=0 src0=0 src1=1 src2=0
	v_sub_nc_u16 v0, v245, v34 /*v290*/
	s_set_vgpr_msb 64                       ;  msbs: dst=1 src0=0 src1=0 src2=0
	v_lshlrev_b16 v34 /*v290*/, 8, v0
	s_set_vgpr_msb 0                        ;  msbs: dst=0 src0=0 src1=0 src2=0
	v_add_nc_u32_e32 v0, 0x3198, v215
	ds_load_2addr_b32 v[244:245], v0 offset1:1
	s_wait_dscnt 0x1
	v_dual_ashrrev_i32 v246, s18, v246 :: v_dual_ashrrev_i32 v247, s18, v247
	s_delay_alu instid0(VALU_DEP_1) | instskip(NEXT) | instid1(VALU_DEP_1)
	v_dual_lshlrev_b32 v246, 2, v246 :: v_dual_lshlrev_b32 v247, 2, v247
	v_and_b32_e32 v246, 0x4040404, v246
	s_delay_alu instid0(VALU_DEP_2) | instskip(SKIP_1) | instid1(VALU_DEP_2)
	v_and_b32_e32 v247, 0x4040404, v247
	s_set_vgpr_msb 64                       ;  msbs: dst=1 src0=0 src1=0 src2=0
	v_dual_lshrrev_b32 v41 /*v297*/, 24, v246 :: v_dual_lshrrev_b32 v42 /*v298*/, 16, v246
	v_lshrrev_b16 v9 /*v265*/, 8, v246
	s_delay_alu instid0(VALU_DEP_3) | instskip(SKIP_3) | instid1(VALU_DEP_1)
	v_dual_lshrrev_b32 v43 /*v299*/, 24, v247 :: v_dual_lshrrev_b32 v44 /*v300*/, 16, v247
	s_wait_dscnt 0x0
	s_set_vgpr_msb 0                        ;  msbs: dst=0 src0=0 src1=0 src2=0
	v_ashrrev_i32_e32 v0, s19, v244
	v_and_b32_e32 v215, 0x3030303, v0
	v_bfe_u32 v0, v0, 24, 2
	s_set_vgpr_msb 64                       ;  msbs: dst=1 src0=0 src1=0 src2=0
	s_delay_alu instid0(VALU_DEP_2) | instskip(SKIP_1) | instid1(VALU_DEP_2)
	v_lshrrev_b32_e32 v40 /*v296*/, 16, v215
	s_set_vgpr_msb 4                        ;  msbs: dst=0 src0=0 src1=1 src2=0
	v_sub_nc_u16 v0, v0, v41 /*v297*/
	s_set_vgpr_msb 0                        ;  msbs: dst=0 src0=0 src1=0 src2=0
	v_lshrrev_b16 v244, 8, v215
	v_sub_nc_u16 v215, v215, v246
	s_set_vgpr_msb 0x45                     ;  msbs: dst=1 src0=1 src1=1 src2=0
	v_sub_nc_u16 v40 /*v296*/, v40 /*v296*/, v42 /*v298*/
	s_set_vgpr_msb 64                       ;  msbs: dst=1 src0=0 src1=0 src2=0
	v_lshrrev_b16 v42 /*v298*/, 8, v247
	s_set_vgpr_msb 0                        ;  msbs: dst=0 src0=0 src1=0 src2=0
	v_lshlrev_b16 v0, 8, v0
	v_bfe_i32 v215, v215, 0, 8
	s_set_vgpr_msb 0x41                     ;  msbs: dst=1 src0=1 src1=0 src2=0
	s_delay_alu instid0(VALU_DEP_2) | instskip(SKIP_3) | instid1(VALU_DEP_1)
	v_bitop3_b16 v41 /*v297*/, v40 /*v296*/, v0, 0xff bitop3:0xec
	s_set_vgpr_msb 4                        ;  msbs: dst=0 src0=0 src1=1 src2=0
	v_sub_nc_u16 v0, v244, v9 /*v265*/
	s_set_vgpr_msb 0                        ;  msbs: dst=0 src0=0 src1=0 src2=0
	v_lshlrev_b16 v244, 8, v0
	v_ashrrev_i32_e32 v0, s19, v245
	s_delay_alu instid0(VALU_DEP_1) | instskip(SKIP_2) | instid1(VALU_DEP_2)
	v_and_b32_e32 v245, 0x3030303, v0
	v_bfe_u32 v0, v0, 24, 2
	s_set_vgpr_msb 64                       ;  msbs: dst=1 src0=0 src1=0 src2=0
	v_lshrrev_b32_e32 v9 /*v265*/, 16, v245
	s_set_vgpr_msb 4                        ;  msbs: dst=0 src0=0 src1=1 src2=0
	s_delay_alu instid0(VALU_DEP_2)
	v_sub_nc_u16 v0, v0, v43 /*v299*/
	s_set_vgpr_msb 0                        ;  msbs: dst=0 src0=0 src1=0 src2=0
	v_lshrrev_b16 v246, 8, v245
	v_sub_nc_u16 v245, v245, v247
	s_set_vgpr_msb 0x45                     ;  msbs: dst=1 src0=1 src1=1 src2=0
	v_sub_nc_u16 v9 /*v265*/, v9 /*v265*/, v44 /*v300*/
	s_set_vgpr_msb 0                        ;  msbs: dst=0 src0=0 src1=0 src2=0
	v_lshlrev_b16 v0, 8, v0
	s_set_vgpr_msb 0x41                     ;  msbs: dst=1 src0=1 src1=0 src2=0
	s_delay_alu instid0(VALU_DEP_1)
	v_bitop3_b16 v43 /*v299*/, v9 /*v265*/, v0, 0xff bitop3:0xec
	s_set_vgpr_msb 4                        ;  msbs: dst=0 src0=0 src1=1 src2=0
	v_sub_nc_u16 v0, v246, v42 /*v298*/
	s_set_vgpr_msb 64                       ;  msbs: dst=1 src0=0 src1=0 src2=0
	v_bfe_i32 v42 /*v298*/, v243, 0, 8
	s_set_vgpr_msb 0                        ;  msbs: dst=0 src0=0 src1=0 src2=0
	s_delay_alu instid0(VALU_DEP_2) | instskip(SKIP_1) | instid1(VALU_DEP_2)
	v_lshlrev_b16 v246, 8, v0
	s_set_vgpr_msb 4                        ;  msbs: dst=0 src0=0 src1=1 src2=0
	v_mul_i32_i24_e32 v207, v207, v42 /*v298*/
	s_set_vgpr_msb 0                        ;  msbs: dst=0 src0=0 src1=0 src2=0
	v_add3_u32 v0, s22, v144, v135
	s_set_vgpr_msb 4                        ;  msbs: dst=0 src0=0 src1=1 src2=0
	s_delay_alu instid0(VALU_DEP_2)
	v_mad_i32_i24 v207, v208, v12 /*v268*/, v207
	s_set_vgpr_msb 5                        ;  msbs: dst=0 src0=1 src1=1 src2=0
	v_perm_b32 v208, v13 /*v269*/, v4 /*v260*/, 0xc0c0500
	s_set_vgpr_msb 0x41                     ;  msbs: dst=1 src0=1 src1=0 src2=0
	v_bfe_i32 v4 /*v260*/, v17 /*v273*/, 0, 8
	v_bfe_i32 v17 /*v273*/, v36 /*v292*/, 0, 8
	;; [unrolled: 1-line block ×4, first 2 shown]
	s_set_vgpr_msb 0                        ;  msbs: dst=0 src0=0 src1=0 src2=0
	ds_load_b32 v0, v0
	v_or_b32_e32 v211, v211, v212
	v_dot4_i32_iu8 v207, v239, v208, v207 neg_lo:[1,1,0]
	s_set_vgpr_msb 1                        ;  msbs: dst=0 src0=1 src1=0 src2=0
	v_bfe_i32 v239, v14 /*v270*/, 8, 8
	s_set_vgpr_msb 4                        ;  msbs: dst=0 src0=0 src1=1 src2=0
	v_mul_i32_i24_e32 v205, v205, v4 /*v260*/
	v_mul_i32_i24_e32 v200, v200, v32 /*v288*/
	s_set_vgpr_msb 0                        ;  msbs: dst=0 src0=0 src1=0 src2=0
	v_mul_i32_i24_e32 v206, v206, v239
	s_set_vgpr_msb 1                        ;  msbs: dst=0 src0=1 src1=0 src2=0
	v_bfe_i32 v239, v20 /*v276*/, 0, 8
	s_set_vgpr_msb 0x45                     ;  msbs: dst=1 src0=1 src1=1 src2=0
	v_perm_b32 v20 /*v276*/, v35 /*v291*/, v33 /*v289*/, 0xc0c0500
	s_set_vgpr_msb 0                        ;  msbs: dst=0 src0=0 src1=0 src2=0
	v_add3_u32 v205, v207, v205, v206
	s_set_vgpr_msb 5                        ;  msbs: dst=0 src0=1 src1=1 src2=0
	v_perm_b32 v206, v15 /*v271*/, v16 /*v272*/, 0xc0c0500
	s_set_vgpr_msb 0                        ;  msbs: dst=0 src0=0 src1=0 src2=0
	s_delay_alu instid0(VALU_DEP_1) | instskip(NEXT) | instid1(VALU_DEP_1)
	v_dot4_i32_iu8 v1, v1, v206, v205 neg_lo:[1,1,0]
	v_mad_i32_i24 v1, v239, v202, v1
	s_set_vgpr_msb 4                        ;  msbs: dst=0 src0=0 src1=1 src2=0
	v_mul_i32_i24_e32 v202, v203, v17 /*v273*/
	s_set_vgpr_msb 1                        ;  msbs: dst=0 src0=1 src1=0 src2=0
	v_bfe_i32 v203, v34 /*v290*/, 8, 8
	s_set_vgpr_msb 4                        ;  msbs: dst=0 src0=0 src1=1 src2=0
	s_delay_alu instid0(VALU_DEP_2) | instskip(SKIP_1) | instid1(VALU_DEP_2)
	v_mad_i32_i24 v202, v204, v13 /*v269*/, v202
	s_set_vgpr_msb 0                        ;  msbs: dst=0 src0=0 src1=0 src2=0
	v_mul_i32_i24_e32 v201, v201, v203
	s_set_vgpr_msb 4                        ;  msbs: dst=0 src0=0 src1=1 src2=0
	s_delay_alu instid0(VALU_DEP_2) | instskip(SKIP_1) | instid1(VALU_DEP_1)
	v_dot4_i32_iu8 v202, v241, v20 /*v276*/, v202 neg_lo:[1,1,0]
	s_set_vgpr_msb 0                        ;  msbs: dst=0 src0=0 src1=0 src2=0
	v_add3_u32 v200, v202, v200, v201
	s_set_vgpr_msb 5                        ;  msbs: dst=0 src0=1 src1=1 src2=0
	v_perm_b32 v201, v37 /*v293*/, v38 /*v294*/, 0xc0c0500
	s_set_vgpr_msb 0                        ;  msbs: dst=0 src0=0 src1=0 src2=0
	s_delay_alu instid0(VALU_DEP_1) | instskip(SKIP_1) | instid1(VALU_DEP_1)
	v_dot4_i32_iu8 v5, v5, v201, v200 neg_lo:[1,1,0]
	s_set_vgpr_msb 64                       ;  msbs: dst=1 src0=0 src1=0 src2=0
	v_mad_i32_i24 v33 /*v289*/, v215, v114, v5
	s_set_vgpr_msb 0                        ;  msbs: dst=0 src0=0 src1=0 src2=0
	v_or_b32_e32 v5, s17, v123
	s_delay_alu instid0(VALU_DEP_1)
	v_dual_add_nc_u32 v247, s21, v63 :: v_dual_lshlrev_b32 v204, 2, v5
	v_lshrrev_b32_e32 v5, 1, v5
	ds_load_b32 v114, v5 offset:38816
	ds_load_b128 v[200:203], v204 offset:25344
	ds_load_b128 v[204:207], v204 offset:25360
	s_wait_dscnt 0x1
	s_set_vgpr_msb 64                       ;  msbs: dst=1 src0=0 src1=0 src2=0
	v_bfe_i32 v35 /*v291*/, v200, 0, 8
	v_bfe_i32 v36 /*v292*/, v200, 8, 8
	s_set_vgpr_msb 0                        ;  msbs: dst=0 src0=0 src1=0 src2=0
	v_perm_b32 v200, v200, v200, 0xc0c0302
	s_set_vgpr_msb 64                       ;  msbs: dst=1 src0=0 src1=0 src2=0
	v_bfe_i32 v39 /*v295*/, v201, 0, 8
	s_set_vgpr_msb 0                        ;  msbs: dst=0 src0=0 src1=0 src2=0
	v_perm_b32 v201, v201, v201, 0xc030201
	s_set_vgpr_msb 64                       ;  msbs: dst=1 src0=0 src1=0 src2=0
	v_bfe_i32 v44 /*v300*/, v202, 0, 8
	v_perm_b32 v50 /*v306*/, v202, v202, 0xc030201
	s_set_vgpr_msb 0                        ;  msbs: dst=0 src0=0 src1=0 src2=0
	v_bfe_i32 v243, v203, 0, 8
	v_perm_b32 v210, v203, v203, 0xc030201
	s_wait_dscnt 0x0
	s_set_vgpr_msb 64                       ;  msbs: dst=1 src0=0 src1=0 src2=0
	v_bfe_i32 v45 /*v301*/, v204, 0, 8
	v_bfe_i32 v46 /*v302*/, v204, 8, 8
	s_set_vgpr_msb 0                        ;  msbs: dst=0 src0=0 src1=0 src2=0
	v_perm_b32 v204, v204, v204, 0xc0c0302
	s_set_vgpr_msb 64                       ;  msbs: dst=1 src0=0 src1=0 src2=0
	v_bfe_i32 v47 /*v303*/, v205, 0, 8
	s_set_vgpr_msb 0                        ;  msbs: dst=0 src0=0 src1=0 src2=0
	v_perm_b32 v205, v205, v205, 0xc030201
	s_set_vgpr_msb 64                       ;  msbs: dst=1 src0=0 src1=0 src2=0
	;; [unrolled: 4-line block ×3, first 2 shown]
	v_bfe_i32 v49 /*v305*/, v207, 0, 8
	s_set_vgpr_msb 0                        ;  msbs: dst=0 src0=0 src1=0 src2=0
	v_perm_b32 v207, v207, v207, 0xc030201
	s_set_vgpr_msb 1                        ;  msbs: dst=0 src0=1 src1=0 src2=0
	v_mul_i32_i24_e32 v5, v35 /*v291*/, v166
	v_mul_i32_i24_e32 v212, v45 /*v301*/, v174
	s_delay_alu instid0(VALU_DEP_2) | instskip(NEXT) | instid1(VALU_DEP_2)
	v_mad_i32_i24 v5, v36 /*v292*/, v167, v5
	v_mad_i32_i24 v212, v46 /*v302*/, v175, v212
	s_set_vgpr_msb 0                        ;  msbs: dst=0 src0=0 src1=0 src2=0
	s_delay_alu instid0(VALU_DEP_2) | instskip(NEXT) | instid1(VALU_DEP_2)
	v_dot4_i32_iu8 v5, v200, v168, v5 neg_lo:[1,1,0]
	v_dot4_i32_iu8 v212, v204, v176, v212 neg_lo:[1,1,0]
	s_set_vgpr_msb 1                        ;  msbs: dst=0 src0=1 src1=0 src2=0
	s_delay_alu instid0(VALU_DEP_2) | instskip(NEXT) | instid1(VALU_DEP_2)
	v_mad_i32_i24 v5, v39 /*v295*/, v170, v5
	v_mad_i32_i24 v212, v47 /*v303*/, v178, v212
	s_set_vgpr_msb 0                        ;  msbs: dst=0 src0=0 src1=0 src2=0
	s_delay_alu instid0(VALU_DEP_2) | instskip(NEXT) | instid1(VALU_DEP_2)
	v_dot4_i32_iu8 v5, v201, v172, v5 neg_lo:[1,1,0]
	v_dot4_i32_iu8 v212, v205, v180, v212 neg_lo:[1,1,0]
	s_set_vgpr_msb 4                        ;  msbs: dst=0 src0=0 src1=1 src2=0
	s_delay_alu instid0(VALU_DEP_2) | instskip(NEXT) | instid1(VALU_DEP_2)
	v_mad_i32_i24 v5, v169, v44 /*v300*/, v5
	v_mad_i32_i24 v212, v177, v48 /*v304*/, v212
	s_delay_alu instid0(VALU_DEP_2) | instskip(SKIP_1) | instid1(VALU_DEP_2)
	v_dot4_i32_iu8 v5, v209, v50 /*v306*/, v5 neg_lo:[1,1,0]
	s_set_vgpr_msb 0                        ;  msbs: dst=0 src0=0 src1=0 src2=0
	v_dot4_i32_iu8 v212, v213, v206, v212 neg_lo:[1,1,0]
	s_delay_alu instid0(VALU_DEP_2) | instskip(SKIP_1) | instid1(VALU_DEP_2)
	v_mad_i32_i24 v5, v171, v243, v5
	s_set_vgpr_msb 4                        ;  msbs: dst=0 src0=0 src1=1 src2=0
	v_mad_i32_i24 v212, v179, v49 /*v305*/, v212
	s_set_vgpr_msb 0                        ;  msbs: dst=0 src0=0 src1=0 src2=0
	s_delay_alu instid0(VALU_DEP_2) | instskip(NEXT) | instid1(VALU_DEP_2)
	v_dot4_i32_iu8 v5, v211, v210, v5 neg_lo:[1,1,0]
	v_dot4_i32_iu8 v212, v214, v207, v212 neg_lo:[1,1,0]
	s_delay_alu instid0(VALU_DEP_2) | instskip(NEXT) | instid1(VALU_DEP_1)
	v_mul_lo_u32 v5, v5, v173
	v_mad_u32 v5, v212, v181, v5
	v_mul_f32_e32 v212, v165, v114
	s_delay_alu instid0(VALU_DEP_2) | instskip(NEXT) | instid1(VALU_DEP_1)
	v_cvt_f32_i32_e32 v5, v5
	v_mul_f32_e32 v5, v212, v5
	v_perm_b32 v212, v250, v250, 0xc0c0c01
	s_delay_alu instid0(VALU_DEP_2)
	v_pk_add_f32 v[46:47], v[46:47], v[4:5]
	s_set_vgpr_msb 1                        ;  msbs: dst=0 src0=1 src1=0 src2=0
	v_mul_i32_i24_e32 v4, v35 /*v291*/, v184
	s_set_vgpr_msb 0                        ;  msbs: dst=0 src0=0 src1=0 src2=0
	v_perm_b32 v5, v249, v248, 0xc05000c
	s_set_vgpr_msb 1                        ;  msbs: dst=0 src0=1 src1=0 src2=0
	s_delay_alu instid0(VALU_DEP_2) | instskip(SKIP_1) | instid1(VALU_DEP_2)
	v_mad_i32_i24 v4, v36 /*v292*/, v185, v4
	s_set_vgpr_msb 0                        ;  msbs: dst=0 src0=0 src1=0 src2=0
	v_or_b32_e32 v212, v5, v212
	v_perm_b32 v5, v252, v251, 0xc05000c
	s_delay_alu instid0(VALU_DEP_3) | instskip(NEXT) | instid1(VALU_DEP_2)
	v_dot4_i32_iu8 v4, v200, v186, v4 neg_lo:[1,1,0]
	v_or_b32_e32 v216, v5, v216
	s_set_vgpr_msb 1                        ;  msbs: dst=0 src0=1 src1=0 src2=0
	v_mul_i32_i24_e32 v5, v45 /*v301*/, v192
	s_delay_alu instid0(VALU_DEP_3) | instskip(NEXT) | instid1(VALU_DEP_2)
	v_mad_i32_i24 v4, v39 /*v295*/, v187, v4
	v_mad_i32_i24 v5, v46 /*v302*/, v193, v5
	s_set_vgpr_msb 0                        ;  msbs: dst=0 src0=0 src1=0 src2=0
	s_delay_alu instid0(VALU_DEP_2) | instskip(NEXT) | instid1(VALU_DEP_2)
	v_dot4_i32_iu8 v4, v201, v190, v4 neg_lo:[1,1,0]
	v_dot4_i32_iu8 v5, v204, v194, v5 neg_lo:[1,1,0]
	s_set_vgpr_msb 4                        ;  msbs: dst=0 src0=0 src1=1 src2=0
	s_delay_alu instid0(VALU_DEP_2) | instskip(SKIP_1) | instid1(VALU_DEP_2)
	v_mad_i32_i24 v4, v188, v44 /*v300*/, v4
	s_set_vgpr_msb 1                        ;  msbs: dst=0 src0=1 src1=0 src2=0
	v_mad_i32_i24 v5, v47 /*v303*/, v195, v5
	s_set_vgpr_msb 4                        ;  msbs: dst=0 src0=0 src1=1 src2=0
	s_delay_alu instid0(VALU_DEP_2) | instskip(SKIP_1) | instid1(VALU_DEP_2)
	v_dot4_i32_iu8 v4, v212, v50 /*v306*/, v4 neg_lo:[1,1,0]
	s_set_vgpr_msb 0                        ;  msbs: dst=0 src0=0 src1=0 src2=0
	v_dot4_i32_iu8 v5, v205, v198, v5 neg_lo:[1,1,0]
	s_delay_alu instid0(VALU_DEP_2) | instskip(SKIP_1) | instid1(VALU_DEP_2)
	v_mad_i32_i24 v4, v189, v243, v4
	s_set_vgpr_msb 4                        ;  msbs: dst=0 src0=0 src1=1 src2=0
	v_mad_i32_i24 v5, v196, v48 /*v304*/, v5
	s_set_vgpr_msb 0                        ;  msbs: dst=0 src0=0 src1=0 src2=0
	s_delay_alu instid0(VALU_DEP_2) | instskip(NEXT) | instid1(VALU_DEP_2)
	v_dot4_i32_iu8 v4, v216, v210, v4 neg_lo:[1,1,0]
	v_dot4_i32_iu8 v5, v217, v206, v5 neg_lo:[1,1,0]
	s_delay_alu instid0(VALU_DEP_2) | instskip(SKIP_1) | instid1(VALU_DEP_2)
	v_mul_lo_u32 v4, v4, v191
	s_set_vgpr_msb 4                        ;  msbs: dst=0 src0=0 src1=1 src2=0
	v_mad_i32_i24 v5, v197, v49 /*v305*/, v5
	s_set_vgpr_msb 0                        ;  msbs: dst=0 src0=0 src1=0 src2=0
	s_delay_alu instid0(VALU_DEP_1) | instskip(NEXT) | instid1(VALU_DEP_1)
	v_dot4_i32_iu8 v5, v218, v207, v5 neg_lo:[1,1,0]
	v_mad_u32 v4, v5, v199, v4
	v_mul_f32_e32 v5, v183, v114
	s_delay_alu instid0(VALU_DEP_2) | instskip(NEXT) | instid1(VALU_DEP_1)
	v_cvt_f32_i32_e32 v4, v4
	v_mul_f32_e32 v241, v5, v4
	s_set_vgpr_msb 1                        ;  msbs: dst=0 src0=1 src1=0 src2=0
	v_mul_i32_i24_e32 v4, v35 /*v291*/, v223
	s_set_vgpr_msb 5                        ;  msbs: dst=0 src0=1 src1=1 src2=0
	v_perm_b32 v5, v8 /*v264*/, v6 /*v262*/, 0xc05000c
	s_set_vgpr_msb 0                        ;  msbs: dst=0 src0=0 src1=0 src2=0
	v_pk_add_f32 v[44:45], v[44:45], v[240:241]
	s_set_vgpr_msb 1                        ;  msbs: dst=0 src0=1 src1=0 src2=0
	v_mad_i32_i24 v4, v36 /*v292*/, v224, v4
	s_set_vgpr_msb 0                        ;  msbs: dst=0 src0=0 src1=0 src2=0
	v_or_b32_e32 v220, v5, v220
	s_set_vgpr_msb 5                        ;  msbs: dst=0 src0=1 src1=1 src2=0
	v_perm_b32 v5, v10 /*v266*/, v11 /*v267*/, 0xc05000c
	v_perm_b32 v240, v21 /*v277*/, v21 /*v277*/, 0xc0c0c01
	;; [unrolled: 1-line block ×3, first 2 shown]
	s_set_vgpr_msb 0                        ;  msbs: dst=0 src0=0 src1=0 src2=0
	v_dot4_i32_iu8 v4, v200, v225, v4 neg_lo:[1,1,0]
	v_or_b32_e32 v221, v5, v221
	s_set_vgpr_msb 1                        ;  msbs: dst=0 src0=1 src1=0 src2=0
	v_mul_i32_i24_e32 v5, v45 /*v301*/, v231
	s_set_vgpr_msb 0                        ;  msbs: dst=0 src0=0 src1=0 src2=0
	v_or_b32_e32 v222, v222, v240
	s_set_vgpr_msb 5                        ;  msbs: dst=0 src0=1 src1=1 src2=0
	v_perm_b32 v240, v25 /*v281*/, v26 /*v282*/, 0xc05000c
	s_set_vgpr_msb 1                        ;  msbs: dst=0 src0=1 src1=0 src2=0
	v_mad_i32_i24 v4, v39 /*v295*/, v226, v4
	v_mad_i32_i24 v5, v46 /*v302*/, v232, v5
	s_set_vgpr_msb 0                        ;  msbs: dst=0 src0=0 src1=0 src2=0
	v_or_b32_e32 v240, v240, v241
	s_delay_alu instid0(VALU_DEP_3) | instskip(NEXT) | instid1(VALU_DEP_3)
	v_dot4_i32_iu8 v4, v201, v229, v4 neg_lo:[1,1,0]
	v_dot4_i32_iu8 v5, v204, v233, v5 neg_lo:[1,1,0]
	s_set_vgpr_msb 4                        ;  msbs: dst=0 src0=0 src1=1 src2=0
	s_delay_alu instid0(VALU_DEP_2) | instskip(SKIP_1) | instid1(VALU_DEP_2)
	v_mad_i32_i24 v4, v227, v44 /*v300*/, v4
	s_set_vgpr_msb 1                        ;  msbs: dst=0 src0=1 src1=0 src2=0
	v_mad_i32_i24 v5, v47 /*v303*/, v234, v5
	s_set_vgpr_msb 4                        ;  msbs: dst=0 src0=0 src1=1 src2=0
	s_delay_alu instid0(VALU_DEP_2) | instskip(SKIP_1) | instid1(VALU_DEP_2)
	v_dot4_i32_iu8 v4, v220, v50 /*v306*/, v4 neg_lo:[1,1,0]
	s_set_vgpr_msb 0                        ;  msbs: dst=0 src0=0 src1=0 src2=0
	v_dot4_i32_iu8 v5, v205, v237, v5 neg_lo:[1,1,0]
	s_delay_alu instid0(VALU_DEP_2) | instskip(SKIP_1) | instid1(VALU_DEP_2)
	v_mad_i32_i24 v4, v228, v243, v4
	s_set_vgpr_msb 4                        ;  msbs: dst=0 src0=0 src1=1 src2=0
	v_mad_i32_i24 v5, v235, v48 /*v304*/, v5
	s_set_vgpr_msb 0                        ;  msbs: dst=0 src0=0 src1=0 src2=0
	s_delay_alu instid0(VALU_DEP_2) | instskip(NEXT) | instid1(VALU_DEP_2)
	v_dot4_i32_iu8 v4, v221, v210, v4 neg_lo:[1,1,0]
	v_dot4_i32_iu8 v5, v222, v206, v5 neg_lo:[1,1,0]
	s_delay_alu instid0(VALU_DEP_2) | instskip(SKIP_1) | instid1(VALU_DEP_2)
	v_mul_lo_u32 v4, v4, v230
	s_set_vgpr_msb 4                        ;  msbs: dst=0 src0=0 src1=1 src2=0
	v_mad_i32_i24 v5, v236, v49 /*v305*/, v5
	s_set_vgpr_msb 0                        ;  msbs: dst=0 src0=0 src1=0 src2=0
	s_delay_alu instid0(VALU_DEP_1) | instskip(NEXT) | instid1(VALU_DEP_1)
	v_dot4_i32_iu8 v5, v240, v207, v5 neg_lo:[1,1,0]
	v_mad_u32 v4, v5, v238, v4
	v_mul_f32_e32 v5, v219, v114
	s_delay_alu instid0(VALU_DEP_2) | instskip(NEXT) | instid1(VALU_DEP_1)
	v_cvt_f32_i32_e32 v4, v4
	v_mul_f32_e32 v243, v5, v4
	s_set_vgpr_msb 5                        ;  msbs: dst=0 src0=1 src1=1 src2=0
	v_mul_i32_i24_e32 v4, v42 /*v298*/, v35 /*v291*/
	v_perm_b32 v5, v15 /*v271*/, v16 /*v272*/, 0xc05000c
	s_set_vgpr_msb 0                        ;  msbs: dst=0 src0=0 src1=0 src2=0
	v_pk_add_f32 v[42:43], v[42:43], v[242:243]
	s_set_vgpr_msb 5                        ;  msbs: dst=0 src0=1 src1=1 src2=0
	v_mad_i32_i24 v4, v12 /*v268*/, v36 /*v292*/, v4
	s_set_vgpr_msb 0                        ;  msbs: dst=0 src0=0 src1=0 src2=0
	v_bfe_i32 v243, v245, 0, 8
	s_delay_alu instid0(VALU_DEP_2) | instskip(SKIP_2) | instid1(VALU_DEP_2)
	v_dot4_i32_iu8 v4, v208, v200, v4 neg_lo:[1,1,0]
	s_set_vgpr_msb 5                        ;  msbs: dst=0 src0=1 src1=1 src2=0
	v_perm_b32 v200, v14 /*v270*/, v14 /*v270*/, 0xc0c0c01
	v_mad_i32_i24 v4, v4 /*v260*/, v39 /*v295*/, v4
	s_set_vgpr_msb 0                        ;  msbs: dst=0 src0=0 src1=0 src2=0
	s_delay_alu instid0(VALU_DEP_2)
	v_or_b32_e32 v241, v5, v200
	s_set_vgpr_msb 5                        ;  msbs: dst=0 src0=1 src1=1 src2=0
	v_perm_b32 v200, v37 /*v293*/, v38 /*v294*/, 0xc05000c
	v_mul_i32_i24_e32 v5, v17 /*v273*/, v45 /*v301*/
	s_set_vgpr_msb 0                        ;  msbs: dst=0 src0=0 src1=0 src2=0
	v_dot4_i32_iu8 v4, v241, v201, v4 neg_lo:[1,1,0]
	s_set_vgpr_msb 5                        ;  msbs: dst=0 src0=1 src1=1 src2=0
	v_perm_b32 v201, v34 /*v290*/, v34 /*v290*/, 0xc0c0c01
	v_mad_i32_i24 v5, v13 /*v269*/, v46 /*v302*/, v5
	s_set_vgpr_msb 1                        ;  msbs: dst=0 src0=1 src1=0 src2=0
	v_mad_i32_i24 v4, v44 /*v300*/, v239, v4
	s_set_vgpr_msb 0                        ;  msbs: dst=0 src0=0 src1=0 src2=0
	v_or_b32_e32 v242, v200, v201
	ds_load_u16 v200, v247
	s_set_vgpr_msb 1                        ;  msbs: dst=0 src0=1 src1=0 src2=0
	v_dot4_i32_iu8 v5, v20 /*v276*/, v204, v5 neg_lo:[1,1,0]
	s_set_vgpr_msb 5                        ;  msbs: dst=0 src0=1 src1=1 src2=0
	s_delay_alu instid0(VALU_DEP_1) | instskip(SKIP_1) | instid1(VALU_DEP_1)
	v_mad_i32_i24 v5, v32 /*v288*/, v47 /*v303*/, v5
	s_set_vgpr_msb 0                        ;  msbs: dst=0 src0=0 src1=0 src2=0
	v_dot4_i32_iu8 v5, v242, v205, v5 neg_lo:[1,1,0]
	s_set_vgpr_msb 1                        ;  msbs: dst=0 src0=1 src1=0 src2=0
	s_delay_alu instid0(VALU_DEP_1)
	v_mad_i32_i24 v5, v48 /*v304*/, v215, v5
	s_wait_dscnt 0x0
	v_lshrrev_b16 v201, 8, v200
	s_set_vgpr_msb 0                        ;  msbs: dst=0 src0=0 src1=0 src2=0
	v_bfe_i32 v247, v200, 0, 8
	s_set_vgpr_msb 5                        ;  msbs: dst=0 src0=1 src1=1 src2=0
	v_perm_b32 v200, v19 /*v275*/, v18 /*v274*/, 0xc0c0401
	s_set_vgpr_msb 0                        ;  msbs: dst=0 src0=0 src1=0 src2=0
	v_bfe_i32 v245, v201, 0, 8
	v_perm_b32 v201, v202, v202, 0xc0c0201
	s_delay_alu instid0(VALU_DEP_1) | instskip(SKIP_4) | instid1(VALU_DEP_1)
	v_dot4_i32_iu8 v4, v201, v200, v4 neg_lo:[1,1,0]
	s_set_vgpr_msb 5                        ;  msbs: dst=0 src0=1 src1=1 src2=0
	v_perm_b32 v200, v41 /*v297*/, v40 /*v296*/, 0xc05000c
	s_set_vgpr_msb 16                       ;  msbs: dst=0 src0=0 src1=0 src2=1
	v_perm_b32 v201, v244, v244, 0xc0c0c01
	v_or_b32_e32 v244, v200, v201
	v_perm_b32 v200, v203, v202, 0xc0c0403
	s_delay_alu instid0(VALU_DEP_2) | instskip(SKIP_1) | instid1(VALU_DEP_1)
	v_dot4_i32_iu8 v6, v6, v244, v33 /*v289*/ neg_lo:[1,1,0]
	s_set_vgpr_msb 0                        ;  msbs: dst=0 src0=0 src1=0 src2=0
	v_mad_i32_i24 v6, v182, v243, v6
	s_set_vgpr_msb 5                        ;  msbs: dst=0 src0=1 src1=1 src2=0
	v_perm_b32 v182, v31 /*v287*/, v24 /*v280*/, 0xc0c0401
	s_set_vgpr_msb 0                        ;  msbs: dst=0 src0=0 src1=0 src2=0
	s_delay_alu instid0(VALU_DEP_1) | instskip(SKIP_4) | instid1(VALU_DEP_1)
	v_dot4_i32_iu8 v4, v200, v182, v4 neg_lo:[1,1,0]
	s_set_vgpr_msb 5                        ;  msbs: dst=0 src0=1 src1=1 src2=0
	v_perm_b32 v182, v27 /*v283*/, v29 /*v285*/, 0xc05000c
	v_perm_b32 v200, v30 /*v286*/, v30 /*v286*/, 0xc0c0c01
	s_set_vgpr_msb 0                        ;  msbs: dst=0 src0=0 src1=0 src2=0
	v_or_b32_e32 v182, v182, v200
	v_perm_b32 v200, v246, v246, 0xc0c0c01
	s_delay_alu instid0(VALU_DEP_2) | instskip(SKIP_3) | instid1(VALU_DEP_2)
	v_dot4_i32_iu8 v4, v210, v182, v4 neg_lo:[1,1,0]
	s_set_vgpr_msb 5                        ;  msbs: dst=0 src0=1 src1=1 src2=0
	v_perm_b32 v182, v43 /*v299*/, v9 /*v265*/, 0xc05000c
	s_set_vgpr_msb 0                        ;  msbs: dst=0 src0=0 src1=0 src2=0
	v_mul_lo_u32 v4, v4, v247
	s_delay_alu instid0(VALU_DEP_2) | instskip(SKIP_3) | instid1(VALU_DEP_2)
	v_or_b32_e32 v210, v182, v200
	s_set_vgpr_msb 5                        ;  msbs: dst=0 src0=1 src1=1 src2=0
	v_perm_b32 v182, v18 /*v274*/, v18 /*v274*/, 0xc0c0c01
	s_set_vgpr_msb 0                        ;  msbs: dst=0 src0=0 src1=0 src2=0
	v_dot4_i32_iu8 v6, v7, v210, v6 neg_lo:[1,1,0]
	s_set_vgpr_msb 5                        ;  msbs: dst=0 src0=1 src1=1 src2=0
	v_perm_b32 v7, v24 /*v280*/, v19 /*v275*/, 0xc05000c
	s_set_vgpr_msb 0                        ;  msbs: dst=0 src0=0 src1=0 src2=0
	s_delay_alu instid0(VALU_DEP_2) | instskip(NEXT) | instid1(VALU_DEP_2)
	v_mul_lo_u32 v6, v6, v245
	v_or_b32_e32 v246, v7, v182
	s_set_vgpr_msb 5                        ;  msbs: dst=0 src0=1 src1=1 src2=0
	v_perm_b32 v7, v27 /*v283*/, v29 /*v285*/, 0x5000c0c
	s_set_vgpr_msb 0                        ;  msbs: dst=0 src0=0 src1=0 src2=0
	s_delay_alu instid0(VALU_DEP_2) | instskip(SKIP_4) | instid1(VALU_DEP_2)
	v_dot4_i32_iu8 v1, v2, v246, v1 neg_lo:[1,1,0]
	v_dot4_i32_iu8 v2, v206, v244, v5 neg_lo:[1,1,0]
	s_set_vgpr_msb 5                        ;  msbs: dst=0 src0=1 src1=1 src2=0
	v_perm_b32 v5, v30 /*v286*/, v31 /*v287*/, 0xc0c0500
	s_set_vgpr_msb 1                        ;  msbs: dst=0 src0=1 src1=0 src2=0
	v_mad_i32_i24 v2, v49 /*v305*/, v243, v2
	s_set_vgpr_msb 0                        ;  msbs: dst=0 src0=0 src1=0 src2=0
	s_delay_alu instid0(VALU_DEP_2) | instskip(NEXT) | instid1(VALU_DEP_2)
	v_or_b32_e32 v248, v7, v5
	v_dot4_i32_iu8 v2, v207, v210, v2 neg_lo:[1,1,0]
	s_delay_alu instid0(VALU_DEP_2) | instskip(NEXT) | instid1(VALU_DEP_2)
	v_dot4_i32_iu8 v1, v3, v248, v1 neg_lo:[1,1,0]
	v_mad_u32 v4, v2, v245, v4
	s_delay_alu instid0(VALU_DEP_2) | instskip(NEXT) | instid1(VALU_DEP_2)
	v_mad_u32 v1, v1, v247, v6
	v_cvt_f32_i32_e32 v4, v4
	s_delay_alu instid0(VALU_DEP_2) | instskip(SKIP_2) | instid1(VALU_DEP_2)
	v_pk_mul_f32 v[2:3], v[0:1], v[114:115] op_sel_hi:[0,1]
	v_cvt_f32_i32_e32 v5, v1
	v_or_b32_e32 v1, s17, v124
	v_pk_fma_f32 v[40:41], v[2:3], v[4:5], v[40:41]
	s_delay_alu instid0(VALU_DEP_2)
	v_dual_lshlrev_b32 v6, 2, v1 :: v_dual_lshrrev_b32 v1, 1, v1
	ds_load_b32 v1, v1 offset:38816
	ds_load_b128 v[2:5], v6 offset:25344
	ds_load_b128 v[200:203], v6 offset:25360
	s_wait_dscnt 0x1
	v_bfe_i32 v7, v2, 0, 8
	v_bfe_i32 v115, v2, 8, 8
	v_perm_b32 v2, v2, v2, 0xc0c0302
	v_bfe_i32 v182, v3, 0, 8
	v_perm_b32 v3, v3, v3, 0xc030201
	;; [unrolled: 2-line block ×4, first 2 shown]
	s_wait_dscnt 0x0
	v_bfe_i32 v206, v200, 0, 8
	v_bfe_i32 v207, v200, 8, 8
	v_perm_b32 v200, v200, v200, 0xc0c0302
	v_bfe_i32 v249, v201, 0, 8
	v_perm_b32 v201, v201, v201, 0xc030201
	;; [unrolled: 2-line block ×4, first 2 shown]
	v_mul_i32_i24_e32 v6, v7, v166
	v_mul_i32_i24_e32 v114, v206, v174
	;; [unrolled: 1-line block ×3, first 2 shown]
	s_delay_alu instid0(VALU_DEP_3) | instskip(NEXT) | instid1(VALU_DEP_3)
	v_mad_i32_i24 v6, v115, v167, v6
	v_mad_i32_i24 v114, v207, v175, v114
	s_delay_alu instid0(VALU_DEP_3) | instskip(NEXT) | instid1(VALU_DEP_3)
	v_mad_i32_i24 v253, v207, v193, v253
	v_dot4_i32_iu8 v6, v2, v168, v6 neg_lo:[1,1,0]
	s_delay_alu instid0(VALU_DEP_3) | instskip(NEXT) | instid1(VALU_DEP_3)
	v_dot4_i32_iu8 v114, v200, v176, v114 neg_lo:[1,1,0]
	v_dot4_i32_iu8 v253, v200, v194, v253 neg_lo:[1,1,0]
	s_delay_alu instid0(VALU_DEP_3) | instskip(NEXT) | instid1(VALU_DEP_3)
	v_mad_i32_i24 v6, v182, v170, v6
	v_mad_i32_i24 v114, v249, v178, v114
	s_delay_alu instid0(VALU_DEP_3) | instskip(NEXT) | instid1(VALU_DEP_3)
	v_mad_i32_i24 v253, v249, v195, v253
	v_dot4_i32_iu8 v6, v3, v172, v6 neg_lo:[1,1,0]
	s_delay_alu instid0(VALU_DEP_3) | instskip(NEXT) | instid1(VALU_DEP_3)
	v_dot4_i32_iu8 v114, v201, v180, v114 neg_lo:[1,1,0]
	v_dot4_i32_iu8 v253, v201, v198, v253 neg_lo:[1,1,0]
	;; [unrolled: 9-line block ×4, first 2 shown]
	s_delay_alu instid0(VALU_DEP_3) | instskip(NEXT) | instid1(VALU_DEP_1)
	v_mul_lo_u32 v6, v6, v173
	v_mad_u32 v6, v114, v181, v6
	v_mul_f32_e32 v114, v165, v1
	s_delay_alu instid0(VALU_DEP_2) | instskip(NEXT) | instid1(VALU_DEP_1)
	v_cvt_f32_i32_e32 v6, v6
	v_mul_f32_e32 v6, v114, v6
	v_mul_i32_i24_e32 v114, v7, v184
	s_delay_alu instid0(VALU_DEP_1) | instskip(NEXT) | instid1(VALU_DEP_1)
	v_mad_i32_i24 v114, v115, v185, v114
	v_dot4_i32_iu8 v114, v2, v186, v114 neg_lo:[1,1,0]
	s_delay_alu instid0(VALU_DEP_1) | instskip(NEXT) | instid1(VALU_DEP_1)
	v_mad_i32_i24 v114, v182, v187, v114
	v_dot4_i32_iu8 v114, v3, v190, v114 neg_lo:[1,1,0]
	;; [unrolled: 3-line block ×4, first 2 shown]
	s_delay_alu instid0(VALU_DEP_1) | instskip(NEXT) | instid1(VALU_DEP_1)
	v_mul_lo_u32 v114, v114, v191
	v_mad_u32 v114, v253, v199, v114
	v_mul_f32_e32 v253, v183, v1
	s_delay_alu instid0(VALU_DEP_2) | instskip(NEXT) | instid1(VALU_DEP_1)
	v_cvt_f32_i32_e32 v114, v114
	v_mul_f32_e32 v114, v253, v114
	v_mul_i32_i24_e32 v253, v7, v223
	s_set_vgpr_msb 1                        ;  msbs: dst=0 src0=1 src1=0 src2=0
	v_mul_i32_i24_e32 v7, v42 /*v298*/, v7
	s_set_vgpr_msb 0                        ;  msbs: dst=0 src0=0 src1=0 src2=0
	s_delay_alu instid0(VALU_DEP_2) | instskip(SKIP_1) | instid1(VALU_DEP_2)
	v_mad_i32_i24 v253, v115, v224, v253
	s_set_vgpr_msb 1                        ;  msbs: dst=0 src0=1 src1=0 src2=0
	v_mad_i32_i24 v7, v12 /*v268*/, v115, v7
	s_set_vgpr_msb 0                        ;  msbs: dst=0 src0=0 src1=0 src2=0
	s_delay_alu instid0(VALU_DEP_2) | instskip(NEXT) | instid1(VALU_DEP_2)
	v_dot4_i32_iu8 v253, v2, v225, v253 neg_lo:[1,1,0]
	v_dot4_i32_iu8 v2, v208, v2, v7 neg_lo:[1,1,0]
	s_delay_alu instid0(VALU_DEP_2) | instskip(SKIP_1) | instid1(VALU_DEP_2)
	v_mad_i32_i24 v253, v182, v226, v253
	s_set_vgpr_msb 1                        ;  msbs: dst=0 src0=1 src1=0 src2=0
	v_mad_i32_i24 v2, v4 /*v260*/, v182, v2
	s_set_vgpr_msb 0                        ;  msbs: dst=0 src0=0 src1=0 src2=0
	s_delay_alu instid0(VALU_DEP_2) | instskip(NEXT) | instid1(VALU_DEP_2)
	v_dot4_i32_iu8 v253, v3, v229, v253 neg_lo:[1,1,0]
	v_dot4_i32_iu8 v2, v241, v3, v2 neg_lo:[1,1,0]
	s_set_vgpr_msb 1                        ;  msbs: dst=0 src0=1 src1=0 src2=0
	v_mul_i32_i24_e32 v3, v17 /*v273*/, v206
	s_set_vgpr_msb 0                        ;  msbs: dst=0 src0=0 src1=0 src2=0
	v_mad_i32_i24 v253, v227, v205, v253
	v_mad_i32_i24 v2, v205, v239, v2
	s_set_vgpr_msb 1                        ;  msbs: dst=0 src0=1 src1=0 src2=0
	v_mad_i32_i24 v3, v13 /*v269*/, v207, v3
	s_set_vgpr_msb 0                        ;  msbs: dst=0 src0=0 src1=0 src2=0
	v_dot4_i32_iu8 v253, v220, v4, v253 neg_lo:[1,1,0]
	v_dot4_i32_iu8 v2, v4, v246, v2 neg_lo:[1,1,0]
	s_set_vgpr_msb 1                        ;  msbs: dst=0 src0=1 src1=0 src2=0
	v_dot4_i32_iu8 v3, v20 /*v276*/, v200, v3 neg_lo:[1,1,0]
	s_set_vgpr_msb 0                        ;  msbs: dst=0 src0=0 src1=0 src2=0
	v_mad_i32_i24 v204, v228, v204, v253
	v_dot4_i32_iu8 v2, v248, v5, v2 neg_lo:[1,1,0]
	s_set_vgpr_msb 1                        ;  msbs: dst=0 src0=1 src1=0 src2=0
	v_mad_i32_i24 v3, v32 /*v288*/, v249, v3
	s_set_vgpr_msb 0                        ;  msbs: dst=0 src0=0 src1=0 src2=0
	v_dot4_i32_iu8 v204, v221, v252, v204 neg_lo:[1,1,0]
	v_mul_i32_i24_e32 v252, v206, v231
	s_delay_alu instid0(VALU_DEP_3) | instskip(SKIP_1) | instid1(VALU_DEP_4)
	v_dot4_i32_iu8 v3, v242, v201, v3 neg_lo:[1,1,0]
	v_mul_lo_u32 v2, v2, v247
	v_mul_lo_u32 v204, v204, v230
	s_delay_alu instid0(VALU_DEP_4) | instskip(NEXT) | instid1(VALU_DEP_4)
	v_mad_i32_i24 v252, v207, v232, v252
	v_mad_i32_i24 v3, v250, v215, v3
	s_delay_alu instid0(VALU_DEP_2) | instskip(NEXT) | instid1(VALU_DEP_2)
	v_dot4_i32_iu8 v252, v200, v233, v252 neg_lo:[1,1,0]
	v_dot4_i32_iu8 v3, v202, v244, v3 neg_lo:[1,1,0]
	s_delay_alu instid0(VALU_DEP_2) | instskip(NEXT) | instid1(VALU_DEP_2)
	v_mad_i32_i24 v252, v249, v234, v252
	v_mad_i32_i24 v3, v243, v251, v3
	s_delay_alu instid0(VALU_DEP_2) | instskip(NEXT) | instid1(VALU_DEP_2)
	v_dot4_i32_iu8 v252, v201, v237, v252 neg_lo:[1,1,0]
	v_dot4_i32_iu8 v3, v210, v203, v3 neg_lo:[1,1,0]
	s_delay_alu instid0(VALU_DEP_2) | instskip(NEXT) | instid1(VALU_DEP_2)
	v_mad_i32_i24 v252, v235, v250, v252
	v_mad_u32 v2, v3, v245, v2
	s_delay_alu instid0(VALU_DEP_2) | instskip(NEXT) | instid1(VALU_DEP_1)
	v_dot4_i32_iu8 v252, v222, v202, v252 neg_lo:[1,1,0]
	v_mad_i32_i24 v252, v236, v251, v252
	s_delay_alu instid0(VALU_DEP_3) | instskip(NEXT) | instid1(VALU_DEP_2)
	v_cvt_f32_i32_e32 v2, v2
	v_dot4_i32_iu8 v252, v240, v203, v252 neg_lo:[1,1,0]
	s_delay_alu instid0(VALU_DEP_1) | instskip(SKIP_1) | instid1(VALU_DEP_1)
	v_mad_u32 v204, v252, v238, v204
	v_dual_mul_f32 v252, v219, v1 :: v_dual_mul_f32 v1, v0, v1
	v_dual_mul_f32 v206, v1, v2 :: v_dual_bitop2_b32 v1, s17, v125 bitop3:0x54
	s_delay_alu instid0(VALU_DEP_3) | instskip(NEXT) | instid1(VALU_DEP_2)
	v_cvt_f32_i32_e32 v204, v204
	v_dual_lshlrev_b32 v7, 2, v1 :: v_dual_lshrrev_b32 v1, 1, v1
	ds_load_b32 v1, v1 offset:38816
	ds_load_b128 v[2:5], v7 offset:25344
	ds_load_b128 v[200:203], v7 offset:25360
	v_mul_f32_e32 v204, v252, v204
	s_wait_dscnt 0x1
	v_bfe_i32 v182, v2, 0, 8
	v_bfe_i32 v207, v2, 8, 8
	v_perm_b32 v2, v2, v2, 0xc0c0302
	v_bfe_i32 v249, v3, 0, 8
	v_perm_b32 v3, v3, v3, 0xc030201
	;; [unrolled: 2-line block ×3, first 2 shown]
	v_bfe_i32 v205, v5, 0, 8
	s_set_vgpr_msb 64                       ;  msbs: dst=1 src0=0 src1=0 src2=0
	v_perm_b32 v0 /*v256*/, v5, v5, 0xc030201
	s_wait_dscnt 0x0
	s_set_vgpr_msb 0                        ;  msbs: dst=0 src0=0 src1=0 src2=0
	v_bfe_i32 v251, v200, 0, 8
	v_bfe_i32 v252, v200, 8, 8
	v_perm_b32 v200, v200, v200, 0xc0c0302
	v_bfe_i32 v253, v201, 0, 8
	v_perm_b32 v201, v201, v201, 0xc030201
	;; [unrolled: 2-line block ×4, first 2 shown]
	v_mul_i32_i24_e32 v7, v182, v166
	v_mul_i32_i24_e32 v115, v251, v174
	s_delay_alu instid0(VALU_DEP_2) | instskip(NEXT) | instid1(VALU_DEP_2)
	v_mad_i32_i24 v7, v207, v167, v7
	v_mad_i32_i24 v115, v252, v175, v115
	s_delay_alu instid0(VALU_DEP_2) | instskip(NEXT) | instid1(VALU_DEP_2)
	v_dot4_i32_iu8 v7, v2, v168, v7 neg_lo:[1,1,0]
	v_dot4_i32_iu8 v115, v200, v176, v115 neg_lo:[1,1,0]
	s_delay_alu instid0(VALU_DEP_2) | instskip(NEXT) | instid1(VALU_DEP_2)
	v_mad_i32_i24 v7, v249, v170, v7
	v_mad_i32_i24 v115, v253, v178, v115
	s_delay_alu instid0(VALU_DEP_2) | instskip(NEXT) | instid1(VALU_DEP_2)
	v_dot4_i32_iu8 v7, v3, v172, v7 neg_lo:[1,1,0]
	v_dot4_i32_iu8 v115, v201, v180, v115 neg_lo:[1,1,0]
	;; [unrolled: 6-line block ×3, first 2 shown]
	s_delay_alu instid0(VALU_DEP_2) | instskip(NEXT) | instid1(VALU_DEP_2)
	v_mad_i32_i24 v7, v171, v205, v7
	v_mad_i32_i24 v115, v179, v255, v115
	s_set_vgpr_msb 4                        ;  msbs: dst=0 src0=0 src1=1 src2=0
	s_delay_alu instid0(VALU_DEP_2) | instskip(SKIP_1) | instid1(VALU_DEP_2)
	v_dot4_i32_iu8 v7, v211, v0 /*v256*/, v7 neg_lo:[1,1,0]
	s_set_vgpr_msb 0                        ;  msbs: dst=0 src0=0 src1=0 src2=0
	v_dot4_i32_iu8 v115, v214, v203, v115 neg_lo:[1,1,0]
	s_delay_alu instid0(VALU_DEP_2) | instskip(NEXT) | instid1(VALU_DEP_1)
	v_mul_lo_u32 v7, v7, v173
	v_mad_u32 v7, v115, v181, v7
	v_mul_f32_e32 v115, v165, v1
	s_delay_alu instid0(VALU_DEP_2) | instskip(NEXT) | instid1(VALU_DEP_1)
	v_cvt_f32_i32_e32 v7, v7
	v_mul_f32_e32 v7, v115, v7
	s_delay_alu instid0(VALU_DEP_1) | instskip(SKIP_2) | instid1(VALU_DEP_2)
	v_pk_add_f32 v[38:39], v[38:39], v[6:7]
	v_mul_i32_i24_e32 v6, v182, v184
	v_mul_i32_i24_e32 v7, v251, v192
	v_mad_i32_i24 v6, v207, v185, v6
	s_delay_alu instid0(VALU_DEP_2) | instskip(NEXT) | instid1(VALU_DEP_2)
	v_mad_i32_i24 v7, v252, v193, v7
	v_dot4_i32_iu8 v6, v2, v186, v6 neg_lo:[1,1,0]
	s_delay_alu instid0(VALU_DEP_2) | instskip(NEXT) | instid1(VALU_DEP_2)
	v_dot4_i32_iu8 v7, v200, v194, v7 neg_lo:[1,1,0]
	v_mad_i32_i24 v6, v249, v187, v6
	s_delay_alu instid0(VALU_DEP_2) | instskip(NEXT) | instid1(VALU_DEP_2)
	v_mad_i32_i24 v7, v253, v195, v7
	v_dot4_i32_iu8 v6, v3, v190, v6 neg_lo:[1,1,0]
	s_delay_alu instid0(VALU_DEP_2) | instskip(NEXT) | instid1(VALU_DEP_2)
	v_dot4_i32_iu8 v7, v201, v198, v7 neg_lo:[1,1,0]
	;; [unrolled: 6-line block ×3, first 2 shown]
	v_mad_i32_i24 v6, v189, v205, v6
	s_delay_alu instid0(VALU_DEP_2) | instskip(SKIP_1) | instid1(VALU_DEP_2)
	v_mad_i32_i24 v7, v197, v255, v7
	s_set_vgpr_msb 4                        ;  msbs: dst=0 src0=0 src1=1 src2=0
	v_dot4_i32_iu8 v6, v216, v0 /*v256*/, v6 neg_lo:[1,1,0]
	s_set_vgpr_msb 0                        ;  msbs: dst=0 src0=0 src1=0 src2=0
	s_delay_alu instid0(VALU_DEP_2) | instskip(NEXT) | instid1(VALU_DEP_2)
	v_dot4_i32_iu8 v7, v218, v203, v7 neg_lo:[1,1,0]
	v_mul_lo_u32 v6, v6, v191
	s_delay_alu instid0(VALU_DEP_1) | instskip(SKIP_1) | instid1(VALU_DEP_2)
	v_mad_u32 v6, v7, v199, v6
	v_mul_f32_e32 v7, v183, v1
	v_cvt_f32_i32_e32 v6, v6
	s_delay_alu instid0(VALU_DEP_1) | instskip(SKIP_2) | instid1(VALU_DEP_3)
	v_mul_f32_e32 v115, v7, v6
	v_mul_i32_i24_e32 v6, v182, v223
	v_mul_i32_i24_e32 v7, v251, v231
	v_pk_add_f32 v[36:37], v[36:37], v[114:115]
	s_delay_alu instid0(VALU_DEP_3) | instskip(NEXT) | instid1(VALU_DEP_3)
	v_mad_i32_i24 v6, v207, v224, v6
	v_mad_i32_i24 v7, v252, v232, v7
	s_delay_alu instid0(VALU_DEP_2) | instskip(NEXT) | instid1(VALU_DEP_2)
	v_dot4_i32_iu8 v6, v2, v225, v6 neg_lo:[1,1,0]
	v_dot4_i32_iu8 v7, v200, v233, v7 neg_lo:[1,1,0]
	s_delay_alu instid0(VALU_DEP_2) | instskip(NEXT) | instid1(VALU_DEP_2)
	v_mad_i32_i24 v6, v249, v226, v6
	v_mad_i32_i24 v7, v253, v234, v7
	s_delay_alu instid0(VALU_DEP_2) | instskip(NEXT) | instid1(VALU_DEP_2)
	v_dot4_i32_iu8 v6, v3, v229, v6 neg_lo:[1,1,0]
	v_dot4_i32_iu8 v7, v201, v237, v7 neg_lo:[1,1,0]
	s_delay_alu instid0(VALU_DEP_2) | instskip(NEXT) | instid1(VALU_DEP_2)
	;; [unrolled: 6-line block ×3, first 2 shown]
	v_mad_i32_i24 v6, v228, v205, v6
	v_mad_i32_i24 v7, v236, v255, v7
	s_set_vgpr_msb 4                        ;  msbs: dst=0 src0=0 src1=1 src2=0
	s_delay_alu instid0(VALU_DEP_2) | instskip(SKIP_1) | instid1(VALU_DEP_2)
	v_dot4_i32_iu8 v6, v221, v0 /*v256*/, v6 neg_lo:[1,1,0]
	s_set_vgpr_msb 0                        ;  msbs: dst=0 src0=0 src1=0 src2=0
	v_dot4_i32_iu8 v7, v240, v203, v7 neg_lo:[1,1,0]
	s_delay_alu instid0(VALU_DEP_2) | instskip(NEXT) | instid1(VALU_DEP_1)
	v_mul_lo_u32 v6, v6, v230
	v_mad_u32 v6, v7, v238, v6
	v_dual_mul_f32 v7, v219, v1 :: v_dual_mul_f32 v1, v0, v1
	s_delay_alu instid0(VALU_DEP_2) | instskip(NEXT) | instid1(VALU_DEP_1)
	v_cvt_f32_i32_e32 v6, v6
	v_mul_f32_e32 v205, v7, v6
	s_set_vgpr_msb 1                        ;  msbs: dst=0 src0=1 src1=0 src2=0
	v_mul_i32_i24_e32 v6, v42 /*v298*/, v182
	s_set_vgpr_msb 0                        ;  msbs: dst=0 src0=0 src1=0 src2=0
	s_delay_alu instid0(VALU_DEP_2) | instskip(SKIP_1) | instid1(VALU_DEP_2)
	v_pk_add_f32 v[34:35], v[34:35], v[204:205]
	s_set_vgpr_msb 1                        ;  msbs: dst=0 src0=1 src1=0 src2=0
	v_mad_i32_i24 v6, v12 /*v268*/, v207, v6
	s_set_vgpr_msb 0                        ;  msbs: dst=0 src0=0 src1=0 src2=0
	s_delay_alu instid0(VALU_DEP_1) | instskip(SKIP_1) | instid1(VALU_DEP_1)
	v_dot4_i32_iu8 v2, v208, v2, v6 neg_lo:[1,1,0]
	s_set_vgpr_msb 1                        ;  msbs: dst=0 src0=1 src1=0 src2=0
	v_mad_i32_i24 v2, v4 /*v260*/, v249, v2
	s_set_vgpr_msb 0                        ;  msbs: dst=0 src0=0 src1=0 src2=0
	s_delay_alu instid0(VALU_DEP_1) | instskip(SKIP_3) | instid1(VALU_DEP_2)
	v_dot4_i32_iu8 v2, v241, v3, v2 neg_lo:[1,1,0]
	s_set_vgpr_msb 1                        ;  msbs: dst=0 src0=1 src1=0 src2=0
	v_mul_i32_i24_e32 v3, v17 /*v273*/, v251
	s_set_vgpr_msb 0                        ;  msbs: dst=0 src0=0 src1=0 src2=0
	v_mad_i32_i24 v2, v250, v239, v2
	s_set_vgpr_msb 1                        ;  msbs: dst=0 src0=1 src1=0 src2=0
	s_delay_alu instid0(VALU_DEP_2) | instskip(SKIP_1) | instid1(VALU_DEP_2)
	v_mad_i32_i24 v3, v13 /*v269*/, v252, v3
	s_set_vgpr_msb 0                        ;  msbs: dst=0 src0=0 src1=0 src2=0
	v_dot4_i32_iu8 v2, v4, v246, v2 neg_lo:[1,1,0]
	s_set_vgpr_msb 1                        ;  msbs: dst=0 src0=1 src1=0 src2=0
	s_delay_alu instid0(VALU_DEP_2) | instskip(SKIP_1) | instid1(VALU_DEP_2)
	v_dot4_i32_iu8 v3, v20 /*v276*/, v200, v3 neg_lo:[1,1,0]
	s_set_vgpr_msb 0                        ;  msbs: dst=0 src0=0 src1=0 src2=0
	v_dot4_i32_iu8 v2, v248, v5, v2 neg_lo:[1,1,0]
	s_set_vgpr_msb 1                        ;  msbs: dst=0 src0=1 src1=0 src2=0
	s_delay_alu instid0(VALU_DEP_2) | instskip(SKIP_1) | instid1(VALU_DEP_2)
	v_mad_i32_i24 v3, v32 /*v288*/, v253, v3
	s_set_vgpr_msb 0                        ;  msbs: dst=0 src0=0 src1=0 src2=0
	v_mul_lo_u32 v2, v2, v247
	s_delay_alu instid0(VALU_DEP_2) | instskip(NEXT) | instid1(VALU_DEP_1)
	v_dot4_i32_iu8 v3, v242, v201, v3 neg_lo:[1,1,0]
	v_mad_i32_i24 v3, v254, v215, v3
	s_delay_alu instid0(VALU_DEP_1) | instskip(NEXT) | instid1(VALU_DEP_1)
	v_dot4_i32_iu8 v3, v202, v244, v3 neg_lo:[1,1,0]
	v_mad_i32_i24 v3, v243, v255, v3
	s_delay_alu instid0(VALU_DEP_1) | instskip(NEXT) | instid1(VALU_DEP_1)
	v_dot4_i32_iu8 v3, v210, v203, v3 neg_lo:[1,1,0]
	v_mad_u32 v2, v3, v245, v2
	s_delay_alu instid0(VALU_DEP_1) | instskip(NEXT) | instid1(VALU_DEP_1)
	v_cvt_f32_i32_e32 v2, v2
	v_mul_f32_e32 v207, v1, v2
	v_or_b32_e32 v1, s17, v126
	s_delay_alu instid0(VALU_DEP_2) | instskip(NEXT) | instid1(VALU_DEP_2)
	v_pk_add_f32 v[30:31], v[30:31], v[206:207]
	v_dual_lshlrev_b32 v6, 2, v1 :: v_dual_lshrrev_b32 v1, 1, v1
	ds_load_b32 v1, v1 offset:38816
	ds_load_b128 v[2:5], v6 offset:25344
	ds_load_b128 v[200:203], v6 offset:25360
	s_wait_dscnt 0x1
	v_bfe_i32 v7, v2, 0, 8
	v_bfe_i32 v115, v2, 8, 8
	v_perm_b32 v2, v2, v2, 0xc0c0302
	v_bfe_i32 v182, v3, 0, 8
	v_perm_b32 v3, v3, v3, 0xc030201
	;; [unrolled: 2-line block ×4, first 2 shown]
	s_wait_dscnt 0x0
	v_bfe_i32 v206, v200, 0, 8
	v_bfe_i32 v207, v200, 8, 8
	v_perm_b32 v200, v200, v200, 0xc0c0302
	v_bfe_i32 v249, v201, 0, 8
	v_perm_b32 v201, v201, v201, 0xc030201
	;; [unrolled: 2-line block ×4, first 2 shown]
	v_mul_i32_i24_e32 v6, v7, v166
	v_mul_i32_i24_e32 v114, v206, v174
	;; [unrolled: 1-line block ×3, first 2 shown]
	s_delay_alu instid0(VALU_DEP_3) | instskip(NEXT) | instid1(VALU_DEP_3)
	v_mad_i32_i24 v6, v115, v167, v6
	v_mad_i32_i24 v114, v207, v175, v114
	s_delay_alu instid0(VALU_DEP_3) | instskip(NEXT) | instid1(VALU_DEP_3)
	v_mad_i32_i24 v253, v207, v193, v253
	v_dot4_i32_iu8 v6, v2, v168, v6 neg_lo:[1,1,0]
	s_delay_alu instid0(VALU_DEP_3) | instskip(NEXT) | instid1(VALU_DEP_3)
	v_dot4_i32_iu8 v114, v200, v176, v114 neg_lo:[1,1,0]
	v_dot4_i32_iu8 v253, v200, v194, v253 neg_lo:[1,1,0]
	s_delay_alu instid0(VALU_DEP_3) | instskip(NEXT) | instid1(VALU_DEP_3)
	v_mad_i32_i24 v6, v182, v170, v6
	v_mad_i32_i24 v114, v249, v178, v114
	s_delay_alu instid0(VALU_DEP_3) | instskip(NEXT) | instid1(VALU_DEP_3)
	v_mad_i32_i24 v253, v249, v195, v253
	v_dot4_i32_iu8 v6, v3, v172, v6 neg_lo:[1,1,0]
	s_delay_alu instid0(VALU_DEP_3) | instskip(NEXT) | instid1(VALU_DEP_3)
	v_dot4_i32_iu8 v114, v201, v180, v114 neg_lo:[1,1,0]
	v_dot4_i32_iu8 v253, v201, v198, v253 neg_lo:[1,1,0]
	;; [unrolled: 9-line block ×4, first 2 shown]
	s_delay_alu instid0(VALU_DEP_3) | instskip(NEXT) | instid1(VALU_DEP_1)
	v_mul_lo_u32 v6, v6, v173
	v_mad_u32 v6, v114, v181, v6
	v_mul_f32_e32 v114, v165, v1
	s_delay_alu instid0(VALU_DEP_2) | instskip(NEXT) | instid1(VALU_DEP_1)
	v_cvt_f32_i32_e32 v6, v6
	v_mul_f32_e32 v6, v114, v6
	v_mul_i32_i24_e32 v114, v7, v184
	s_delay_alu instid0(VALU_DEP_1) | instskip(NEXT) | instid1(VALU_DEP_1)
	v_mad_i32_i24 v114, v115, v185, v114
	v_dot4_i32_iu8 v114, v2, v186, v114 neg_lo:[1,1,0]
	s_delay_alu instid0(VALU_DEP_1) | instskip(NEXT) | instid1(VALU_DEP_1)
	v_mad_i32_i24 v114, v182, v187, v114
	v_dot4_i32_iu8 v114, v3, v190, v114 neg_lo:[1,1,0]
	;; [unrolled: 3-line block ×4, first 2 shown]
	s_delay_alu instid0(VALU_DEP_1) | instskip(NEXT) | instid1(VALU_DEP_1)
	v_mul_lo_u32 v114, v114, v191
	v_mad_u32 v114, v253, v199, v114
	v_mul_f32_e32 v253, v183, v1
	s_delay_alu instid0(VALU_DEP_2) | instskip(NEXT) | instid1(VALU_DEP_1)
	v_cvt_f32_i32_e32 v114, v114
	v_mul_f32_e32 v114, v253, v114
	v_mul_i32_i24_e32 v253, v7, v223
	s_set_vgpr_msb 1                        ;  msbs: dst=0 src0=1 src1=0 src2=0
	v_mul_i32_i24_e32 v7, v42 /*v298*/, v7
	s_set_vgpr_msb 0                        ;  msbs: dst=0 src0=0 src1=0 src2=0
	s_delay_alu instid0(VALU_DEP_2) | instskip(SKIP_1) | instid1(VALU_DEP_2)
	v_mad_i32_i24 v253, v115, v224, v253
	s_set_vgpr_msb 1                        ;  msbs: dst=0 src0=1 src1=0 src2=0
	v_mad_i32_i24 v7, v12 /*v268*/, v115, v7
	s_set_vgpr_msb 0                        ;  msbs: dst=0 src0=0 src1=0 src2=0
	s_delay_alu instid0(VALU_DEP_2) | instskip(NEXT) | instid1(VALU_DEP_2)
	v_dot4_i32_iu8 v253, v2, v225, v253 neg_lo:[1,1,0]
	v_dot4_i32_iu8 v2, v208, v2, v7 neg_lo:[1,1,0]
	s_delay_alu instid0(VALU_DEP_2) | instskip(SKIP_1) | instid1(VALU_DEP_2)
	v_mad_i32_i24 v253, v182, v226, v253
	s_set_vgpr_msb 1                        ;  msbs: dst=0 src0=1 src1=0 src2=0
	v_mad_i32_i24 v2, v4 /*v260*/, v182, v2
	s_set_vgpr_msb 0                        ;  msbs: dst=0 src0=0 src1=0 src2=0
	s_delay_alu instid0(VALU_DEP_2) | instskip(NEXT) | instid1(VALU_DEP_2)
	v_dot4_i32_iu8 v253, v3, v229, v253 neg_lo:[1,1,0]
	v_dot4_i32_iu8 v2, v241, v3, v2 neg_lo:[1,1,0]
	s_set_vgpr_msb 1                        ;  msbs: dst=0 src0=1 src1=0 src2=0
	v_mul_i32_i24_e32 v3, v17 /*v273*/, v206
	s_set_vgpr_msb 0                        ;  msbs: dst=0 src0=0 src1=0 src2=0
	v_mad_i32_i24 v253, v227, v205, v253
	v_mad_i32_i24 v2, v205, v239, v2
	s_set_vgpr_msb 1                        ;  msbs: dst=0 src0=1 src1=0 src2=0
	v_mad_i32_i24 v3, v13 /*v269*/, v207, v3
	s_set_vgpr_msb 0                        ;  msbs: dst=0 src0=0 src1=0 src2=0
	v_dot4_i32_iu8 v253, v220, v4, v253 neg_lo:[1,1,0]
	v_dot4_i32_iu8 v2, v4, v246, v2 neg_lo:[1,1,0]
	s_set_vgpr_msb 1                        ;  msbs: dst=0 src0=1 src1=0 src2=0
	v_dot4_i32_iu8 v3, v20 /*v276*/, v200, v3 neg_lo:[1,1,0]
	s_set_vgpr_msb 0                        ;  msbs: dst=0 src0=0 src1=0 src2=0
	v_mad_i32_i24 v204, v228, v204, v253
	v_dot4_i32_iu8 v2, v248, v5, v2 neg_lo:[1,1,0]
	s_set_vgpr_msb 1                        ;  msbs: dst=0 src0=1 src1=0 src2=0
	v_mad_i32_i24 v3, v32 /*v288*/, v249, v3
	s_set_vgpr_msb 0                        ;  msbs: dst=0 src0=0 src1=0 src2=0
	v_dot4_i32_iu8 v204, v221, v252, v204 neg_lo:[1,1,0]
	v_mul_i32_i24_e32 v252, v206, v231
	s_delay_alu instid0(VALU_DEP_3) | instskip(SKIP_1) | instid1(VALU_DEP_4)
	v_dot4_i32_iu8 v3, v242, v201, v3 neg_lo:[1,1,0]
	v_mul_lo_u32 v2, v2, v247
	v_mul_lo_u32 v204, v204, v230
	s_delay_alu instid0(VALU_DEP_4) | instskip(NEXT) | instid1(VALU_DEP_4)
	v_mad_i32_i24 v252, v207, v232, v252
	v_mad_i32_i24 v3, v250, v215, v3
	s_delay_alu instid0(VALU_DEP_2) | instskip(NEXT) | instid1(VALU_DEP_2)
	v_dot4_i32_iu8 v252, v200, v233, v252 neg_lo:[1,1,0]
	v_dot4_i32_iu8 v3, v202, v244, v3 neg_lo:[1,1,0]
	s_delay_alu instid0(VALU_DEP_2) | instskip(NEXT) | instid1(VALU_DEP_2)
	v_mad_i32_i24 v252, v249, v234, v252
	v_mad_i32_i24 v3, v243, v251, v3
	s_delay_alu instid0(VALU_DEP_2) | instskip(NEXT) | instid1(VALU_DEP_2)
	v_dot4_i32_iu8 v252, v201, v237, v252 neg_lo:[1,1,0]
	v_dot4_i32_iu8 v3, v210, v203, v3 neg_lo:[1,1,0]
	s_delay_alu instid0(VALU_DEP_2) | instskip(NEXT) | instid1(VALU_DEP_2)
	v_mad_i32_i24 v252, v235, v250, v252
	v_mad_u32 v2, v3, v245, v2
	s_delay_alu instid0(VALU_DEP_2) | instskip(NEXT) | instid1(VALU_DEP_1)
	v_dot4_i32_iu8 v252, v222, v202, v252 neg_lo:[1,1,0]
	v_mad_i32_i24 v252, v236, v251, v252
	s_delay_alu instid0(VALU_DEP_3) | instskip(NEXT) | instid1(VALU_DEP_2)
	v_cvt_f32_i32_e32 v2, v2
	v_dot4_i32_iu8 v252, v240, v203, v252 neg_lo:[1,1,0]
	s_delay_alu instid0(VALU_DEP_1) | instskip(SKIP_1) | instid1(VALU_DEP_1)
	v_mad_u32 v204, v252, v238, v204
	v_dual_mul_f32 v252, v219, v1 :: v_dual_mul_f32 v1, v0, v1
	v_dual_mul_f32 v206, v1, v2 :: v_dual_bitop2_b32 v1, s17, v127 bitop3:0x54
	s_delay_alu instid0(VALU_DEP_3) | instskip(NEXT) | instid1(VALU_DEP_2)
	v_cvt_f32_i32_e32 v204, v204
	v_dual_lshlrev_b32 v7, 2, v1 :: v_dual_lshrrev_b32 v1, 1, v1
	ds_load_b32 v1, v1 offset:38816
	ds_load_b128 v[2:5], v7 offset:25344
	ds_load_b128 v[200:203], v7 offset:25360
	v_mul_f32_e32 v204, v252, v204
	s_wait_dscnt 0x1
	v_bfe_i32 v182, v2, 0, 8
	v_bfe_i32 v207, v2, 8, 8
	v_perm_b32 v2, v2, v2, 0xc0c0302
	v_bfe_i32 v249, v3, 0, 8
	v_perm_b32 v3, v3, v3, 0xc030201
	;; [unrolled: 2-line block ×3, first 2 shown]
	v_bfe_i32 v205, v5, 0, 8
	s_set_vgpr_msb 64                       ;  msbs: dst=1 src0=0 src1=0 src2=0
	v_perm_b32 v0 /*v256*/, v5, v5, 0xc030201
	s_wait_dscnt 0x0
	s_set_vgpr_msb 0                        ;  msbs: dst=0 src0=0 src1=0 src2=0
	v_bfe_i32 v251, v200, 0, 8
	v_bfe_i32 v252, v200, 8, 8
	v_perm_b32 v200, v200, v200, 0xc0c0302
	v_bfe_i32 v253, v201, 0, 8
	v_perm_b32 v201, v201, v201, 0xc030201
	;; [unrolled: 2-line block ×4, first 2 shown]
	v_mul_i32_i24_e32 v7, v182, v166
	v_mul_i32_i24_e32 v115, v251, v174
	s_delay_alu instid0(VALU_DEP_2) | instskip(NEXT) | instid1(VALU_DEP_2)
	v_mad_i32_i24 v7, v207, v167, v7
	v_mad_i32_i24 v115, v252, v175, v115
	s_delay_alu instid0(VALU_DEP_2) | instskip(NEXT) | instid1(VALU_DEP_2)
	v_dot4_i32_iu8 v7, v2, v168, v7 neg_lo:[1,1,0]
	v_dot4_i32_iu8 v115, v200, v176, v115 neg_lo:[1,1,0]
	s_delay_alu instid0(VALU_DEP_2) | instskip(NEXT) | instid1(VALU_DEP_2)
	v_mad_i32_i24 v7, v249, v170, v7
	v_mad_i32_i24 v115, v253, v178, v115
	s_delay_alu instid0(VALU_DEP_2) | instskip(NEXT) | instid1(VALU_DEP_2)
	v_dot4_i32_iu8 v7, v3, v172, v7 neg_lo:[1,1,0]
	v_dot4_i32_iu8 v115, v201, v180, v115 neg_lo:[1,1,0]
	;; [unrolled: 6-line block ×3, first 2 shown]
	s_delay_alu instid0(VALU_DEP_2) | instskip(NEXT) | instid1(VALU_DEP_2)
	v_mad_i32_i24 v7, v171, v205, v7
	v_mad_i32_i24 v115, v179, v255, v115
	s_set_vgpr_msb 4                        ;  msbs: dst=0 src0=0 src1=1 src2=0
	s_delay_alu instid0(VALU_DEP_2) | instskip(SKIP_1) | instid1(VALU_DEP_2)
	v_dot4_i32_iu8 v7, v211, v0 /*v256*/, v7 neg_lo:[1,1,0]
	s_set_vgpr_msb 0                        ;  msbs: dst=0 src0=0 src1=0 src2=0
	v_dot4_i32_iu8 v115, v214, v203, v115 neg_lo:[1,1,0]
	s_delay_alu instid0(VALU_DEP_2) | instskip(NEXT) | instid1(VALU_DEP_1)
	v_mul_lo_u32 v7, v7, v173
	v_mad_u32 v7, v115, v181, v7
	v_mul_f32_e32 v115, v165, v1
	s_delay_alu instid0(VALU_DEP_2) | instskip(NEXT) | instid1(VALU_DEP_1)
	v_cvt_f32_i32_e32 v7, v7
	v_mul_f32_e32 v7, v115, v7
	s_delay_alu instid0(VALU_DEP_1) | instskip(SKIP_2) | instid1(VALU_DEP_2)
	v_pk_add_f32 v[28:29], v[28:29], v[6:7]
	v_mul_i32_i24_e32 v6, v182, v184
	v_mul_i32_i24_e32 v7, v251, v192
	v_mad_i32_i24 v6, v207, v185, v6
	s_delay_alu instid0(VALU_DEP_2) | instskip(NEXT) | instid1(VALU_DEP_2)
	v_mad_i32_i24 v7, v252, v193, v7
	v_dot4_i32_iu8 v6, v2, v186, v6 neg_lo:[1,1,0]
	s_delay_alu instid0(VALU_DEP_2) | instskip(NEXT) | instid1(VALU_DEP_2)
	v_dot4_i32_iu8 v7, v200, v194, v7 neg_lo:[1,1,0]
	v_mad_i32_i24 v6, v249, v187, v6
	s_delay_alu instid0(VALU_DEP_2) | instskip(NEXT) | instid1(VALU_DEP_2)
	v_mad_i32_i24 v7, v253, v195, v7
	v_dot4_i32_iu8 v6, v3, v190, v6 neg_lo:[1,1,0]
	s_delay_alu instid0(VALU_DEP_2) | instskip(NEXT) | instid1(VALU_DEP_2)
	v_dot4_i32_iu8 v7, v201, v198, v7 neg_lo:[1,1,0]
	;; [unrolled: 6-line block ×3, first 2 shown]
	v_mad_i32_i24 v6, v189, v205, v6
	s_delay_alu instid0(VALU_DEP_2) | instskip(SKIP_1) | instid1(VALU_DEP_2)
	v_mad_i32_i24 v7, v197, v255, v7
	s_set_vgpr_msb 4                        ;  msbs: dst=0 src0=0 src1=1 src2=0
	v_dot4_i32_iu8 v6, v216, v0 /*v256*/, v6 neg_lo:[1,1,0]
	s_set_vgpr_msb 0                        ;  msbs: dst=0 src0=0 src1=0 src2=0
	s_delay_alu instid0(VALU_DEP_2) | instskip(NEXT) | instid1(VALU_DEP_2)
	v_dot4_i32_iu8 v7, v218, v203, v7 neg_lo:[1,1,0]
	v_mul_lo_u32 v6, v6, v191
	s_delay_alu instid0(VALU_DEP_1) | instskip(SKIP_1) | instid1(VALU_DEP_2)
	v_mad_u32 v6, v7, v199, v6
	v_mul_f32_e32 v7, v183, v1
	v_cvt_f32_i32_e32 v6, v6
	s_delay_alu instid0(VALU_DEP_1) | instskip(SKIP_2) | instid1(VALU_DEP_2)
	v_mul_f32_e32 v115, v7, v6
	v_mul_i32_i24_e32 v6, v182, v223
	v_mul_i32_i24_e32 v7, v251, v231
	v_mad_i32_i24 v6, v207, v224, v6
	s_delay_alu instid0(VALU_DEP_2) | instskip(NEXT) | instid1(VALU_DEP_2)
	v_mad_i32_i24 v7, v252, v232, v7
	v_dot4_i32_iu8 v6, v2, v225, v6 neg_lo:[1,1,0]
	s_delay_alu instid0(VALU_DEP_2) | instskip(NEXT) | instid1(VALU_DEP_2)
	v_dot4_i32_iu8 v7, v200, v233, v7 neg_lo:[1,1,0]
	v_mad_i32_i24 v6, v249, v226, v6
	s_delay_alu instid0(VALU_DEP_2) | instskip(NEXT) | instid1(VALU_DEP_2)
	v_mad_i32_i24 v7, v253, v234, v7
	v_dot4_i32_iu8 v6, v3, v229, v6 neg_lo:[1,1,0]
	s_delay_alu instid0(VALU_DEP_2) | instskip(NEXT) | instid1(VALU_DEP_2)
	v_dot4_i32_iu8 v7, v201, v237, v7 neg_lo:[1,1,0]
	;; [unrolled: 6-line block ×3, first 2 shown]
	v_mad_i32_i24 v6, v228, v205, v6
	s_delay_alu instid0(VALU_DEP_2) | instskip(SKIP_1) | instid1(VALU_DEP_2)
	v_mad_i32_i24 v7, v236, v255, v7
	s_set_vgpr_msb 4                        ;  msbs: dst=0 src0=0 src1=1 src2=0
	v_dot4_i32_iu8 v6, v221, v0 /*v256*/, v6 neg_lo:[1,1,0]
	s_set_vgpr_msb 0                        ;  msbs: dst=0 src0=0 src1=0 src2=0
	s_delay_alu instid0(VALU_DEP_2) | instskip(NEXT) | instid1(VALU_DEP_2)
	v_dot4_i32_iu8 v7, v240, v203, v7 neg_lo:[1,1,0]
	v_mul_lo_u32 v6, v6, v230
	s_delay_alu instid0(VALU_DEP_1) | instskip(SKIP_1) | instid1(VALU_DEP_2)
	v_mad_u32 v6, v7, v238, v6
	v_dual_mul_f32 v7, v219, v1 :: v_dual_mul_f32 v1, v0, v1
	v_cvt_f32_i32_e32 v6, v6
	s_delay_alu instid0(VALU_DEP_1)
	v_mul_f32_e32 v205, v7, v6
	s_set_vgpr_msb 1                        ;  msbs: dst=0 src0=1 src1=0 src2=0
	v_mul_i32_i24_e32 v6, v42 /*v298*/, v182
	s_set_vgpr_msb 0                        ;  msbs: dst=0 src0=0 src1=0 src2=0
	v_pk_add_f32 v[26:27], v[26:27], v[114:115]
	v_pk_add_f32 v[24:25], v[24:25], v[204:205]
	s_set_vgpr_msb 1                        ;  msbs: dst=0 src0=1 src1=0 src2=0
	v_mad_i32_i24 v6, v12 /*v268*/, v207, v6
	s_set_vgpr_msb 0                        ;  msbs: dst=0 src0=0 src1=0 src2=0
	s_delay_alu instid0(VALU_DEP_1) | instskip(SKIP_1) | instid1(VALU_DEP_1)
	v_dot4_i32_iu8 v2, v208, v2, v6 neg_lo:[1,1,0]
	s_set_vgpr_msb 1                        ;  msbs: dst=0 src0=1 src1=0 src2=0
	v_mad_i32_i24 v2, v4 /*v260*/, v249, v2
	s_set_vgpr_msb 0                        ;  msbs: dst=0 src0=0 src1=0 src2=0
	s_delay_alu instid0(VALU_DEP_1) | instskip(SKIP_3) | instid1(VALU_DEP_2)
	v_dot4_i32_iu8 v2, v241, v3, v2 neg_lo:[1,1,0]
	s_set_vgpr_msb 1                        ;  msbs: dst=0 src0=1 src1=0 src2=0
	v_mul_i32_i24_e32 v3, v17 /*v273*/, v251
	s_set_vgpr_msb 0                        ;  msbs: dst=0 src0=0 src1=0 src2=0
	v_mad_i32_i24 v2, v250, v239, v2
	s_set_vgpr_msb 1                        ;  msbs: dst=0 src0=1 src1=0 src2=0
	s_delay_alu instid0(VALU_DEP_2) | instskip(SKIP_1) | instid1(VALU_DEP_2)
	v_mad_i32_i24 v3, v13 /*v269*/, v252, v3
	s_set_vgpr_msb 0                        ;  msbs: dst=0 src0=0 src1=0 src2=0
	v_dot4_i32_iu8 v2, v4, v246, v2 neg_lo:[1,1,0]
	s_set_vgpr_msb 1                        ;  msbs: dst=0 src0=1 src1=0 src2=0
	s_delay_alu instid0(VALU_DEP_2) | instskip(SKIP_1) | instid1(VALU_DEP_2)
	v_dot4_i32_iu8 v3, v20 /*v276*/, v200, v3 neg_lo:[1,1,0]
	s_set_vgpr_msb 0                        ;  msbs: dst=0 src0=0 src1=0 src2=0
	v_dot4_i32_iu8 v2, v248, v5, v2 neg_lo:[1,1,0]
	s_set_vgpr_msb 1                        ;  msbs: dst=0 src0=1 src1=0 src2=0
	s_delay_alu instid0(VALU_DEP_2) | instskip(SKIP_1) | instid1(VALU_DEP_2)
	v_mad_i32_i24 v3, v32 /*v288*/, v253, v3
	s_set_vgpr_msb 0                        ;  msbs: dst=0 src0=0 src1=0 src2=0
	v_mul_lo_u32 v2, v2, v247
	s_delay_alu instid0(VALU_DEP_2) | instskip(NEXT) | instid1(VALU_DEP_1)
	v_dot4_i32_iu8 v3, v242, v201, v3 neg_lo:[1,1,0]
	v_mad_i32_i24 v3, v254, v215, v3
	s_delay_alu instid0(VALU_DEP_1) | instskip(NEXT) | instid1(VALU_DEP_1)
	v_dot4_i32_iu8 v3, v202, v244, v3 neg_lo:[1,1,0]
	v_mad_i32_i24 v3, v243, v255, v3
	s_delay_alu instid0(VALU_DEP_1) | instskip(NEXT) | instid1(VALU_DEP_1)
	v_dot4_i32_iu8 v3, v210, v203, v3 neg_lo:[1,1,0]
	v_mad_u32 v2, v3, v245, v2
	s_delay_alu instid0(VALU_DEP_1) | instskip(NEXT) | instid1(VALU_DEP_1)
	v_cvt_f32_i32_e32 v2, v2
	v_dual_mul_f32 v207, v1, v2 :: v_dual_bitop2_b32 v1, s17, v128 bitop3:0x54
	s_delay_alu instid0(VALU_DEP_1) | instskip(NEXT) | instid1(VALU_DEP_2)
	v_pk_add_f32 v[22:23], v[22:23], v[206:207]
	v_dual_lshlrev_b32 v6, 2, v1 :: v_dual_lshrrev_b32 v1, 1, v1
	ds_load_b32 v1, v1 offset:38816
	ds_load_b128 v[2:5], v6 offset:25344
	ds_load_b128 v[200:203], v6 offset:25360
	s_wait_dscnt 0x1
	v_bfe_i32 v7, v2, 0, 8
	v_bfe_i32 v115, v2, 8, 8
	v_perm_b32 v2, v2, v2, 0xc0c0302
	v_bfe_i32 v204, v3, 0, 8
	v_perm_b32 v3, v3, v3, 0xc030201
	;; [unrolled: 2-line block ×4, first 2 shown]
	s_wait_dscnt 0x0
	v_bfe_i32 v206, v200, 0, 8
	v_bfe_i32 v207, v200, 8, 8
	v_perm_b32 v200, v200, v200, 0xc0c0302
	v_bfe_i32 v249, v201, 0, 8
	v_perm_b32 v201, v201, v201, 0xc030201
	;; [unrolled: 2-line block ×4, first 2 shown]
	v_mul_i32_i24_e32 v6, v7, v166
	v_mul_i32_i24_e32 v114, v206, v174
	;; [unrolled: 1-line block ×3, first 2 shown]
	s_delay_alu instid0(VALU_DEP_3) | instskip(NEXT) | instid1(VALU_DEP_3)
	v_mad_i32_i24 v6, v115, v167, v6
	v_mad_i32_i24 v114, v207, v175, v114
	s_delay_alu instid0(VALU_DEP_3) | instskip(NEXT) | instid1(VALU_DEP_3)
	v_mad_i32_i24 v253, v207, v193, v253
	v_dot4_i32_iu8 v6, v2, v168, v6 neg_lo:[1,1,0]
	s_delay_alu instid0(VALU_DEP_3) | instskip(NEXT) | instid1(VALU_DEP_3)
	v_dot4_i32_iu8 v114, v200, v176, v114 neg_lo:[1,1,0]
	v_dot4_i32_iu8 v253, v200, v194, v253 neg_lo:[1,1,0]
	s_delay_alu instid0(VALU_DEP_3) | instskip(NEXT) | instid1(VALU_DEP_3)
	v_mad_i32_i24 v6, v204, v170, v6
	v_mad_i32_i24 v114, v249, v178, v114
	s_delay_alu instid0(VALU_DEP_3) | instskip(NEXT) | instid1(VALU_DEP_3)
	v_mad_i32_i24 v253, v249, v195, v253
	v_dot4_i32_iu8 v6, v3, v172, v6 neg_lo:[1,1,0]
	s_delay_alu instid0(VALU_DEP_3) | instskip(NEXT) | instid1(VALU_DEP_3)
	v_dot4_i32_iu8 v114, v201, v180, v114 neg_lo:[1,1,0]
	v_dot4_i32_iu8 v253, v201, v198, v253 neg_lo:[1,1,0]
	;; [unrolled: 9-line block ×4, first 2 shown]
	s_delay_alu instid0(VALU_DEP_3) | instskip(NEXT) | instid1(VALU_DEP_1)
	v_mul_lo_u32 v6, v6, v173
	v_mad_u32 v6, v114, v181, v6
	v_mul_f32_e32 v114, v165, v1
	s_delay_alu instid0(VALU_DEP_2) | instskip(NEXT) | instid1(VALU_DEP_1)
	v_cvt_f32_i32_e32 v6, v6
	v_mul_f32_e32 v6, v114, v6
	v_mul_i32_i24_e32 v114, v7, v184
	s_delay_alu instid0(VALU_DEP_1) | instskip(NEXT) | instid1(VALU_DEP_1)
	v_mad_i32_i24 v114, v115, v185, v114
	v_dot4_i32_iu8 v114, v2, v186, v114 neg_lo:[1,1,0]
	s_delay_alu instid0(VALU_DEP_1) | instskip(NEXT) | instid1(VALU_DEP_1)
	v_mad_i32_i24 v114, v204, v187, v114
	v_dot4_i32_iu8 v114, v3, v190, v114 neg_lo:[1,1,0]
	s_delay_alu instid0(VALU_DEP_1) | instskip(NEXT) | instid1(VALU_DEP_1)
	v_mad_i32_i24 v114, v188, v205, v114
	v_dot4_i32_iu8 v114, v212, v4, v114 neg_lo:[1,1,0]
	s_delay_alu instid0(VALU_DEP_1) | instskip(NEXT) | instid1(VALU_DEP_1)
	v_mad_i32_i24 v114, v189, v182, v114
	v_dot4_i32_iu8 v114, v216, v252, v114 neg_lo:[1,1,0]
	s_delay_alu instid0(VALU_DEP_1) | instskip(NEXT) | instid1(VALU_DEP_1)
	v_mul_lo_u32 v114, v114, v191
	v_mad_u32 v114, v253, v199, v114
	v_mul_f32_e32 v253, v183, v1
	s_delay_alu instid0(VALU_DEP_2) | instskip(NEXT) | instid1(VALU_DEP_1)
	v_cvt_f32_i32_e32 v114, v114
	v_mul_f32_e32 v114, v253, v114
	v_mul_i32_i24_e32 v253, v7, v223
	s_set_vgpr_msb 1                        ;  msbs: dst=0 src0=1 src1=0 src2=0
	v_mul_i32_i24_e32 v7, v42 /*v298*/, v7
	s_set_vgpr_msb 0                        ;  msbs: dst=0 src0=0 src1=0 src2=0
	s_delay_alu instid0(VALU_DEP_2) | instskip(SKIP_1) | instid1(VALU_DEP_2)
	v_mad_i32_i24 v253, v115, v224, v253
	s_set_vgpr_msb 1                        ;  msbs: dst=0 src0=1 src1=0 src2=0
	v_mad_i32_i24 v7, v12 /*v268*/, v115, v7
	s_set_vgpr_msb 0                        ;  msbs: dst=0 src0=0 src1=0 src2=0
	s_delay_alu instid0(VALU_DEP_2) | instskip(NEXT) | instid1(VALU_DEP_2)
	v_dot4_i32_iu8 v253, v2, v225, v253 neg_lo:[1,1,0]
	v_dot4_i32_iu8 v2, v208, v2, v7 neg_lo:[1,1,0]
	s_delay_alu instid0(VALU_DEP_2) | instskip(SKIP_1) | instid1(VALU_DEP_2)
	v_mad_i32_i24 v253, v204, v226, v253
	s_set_vgpr_msb 1                        ;  msbs: dst=0 src0=1 src1=0 src2=0
	v_mad_i32_i24 v2, v4 /*v260*/, v204, v2
	s_set_vgpr_msb 0                        ;  msbs: dst=0 src0=0 src1=0 src2=0
	s_delay_alu instid0(VALU_DEP_2) | instskip(NEXT) | instid1(VALU_DEP_2)
	v_dot4_i32_iu8 v253, v3, v229, v253 neg_lo:[1,1,0]
	v_dot4_i32_iu8 v2, v241, v3, v2 neg_lo:[1,1,0]
	s_set_vgpr_msb 1                        ;  msbs: dst=0 src0=1 src1=0 src2=0
	v_mul_i32_i24_e32 v3, v17 /*v273*/, v206
	s_set_vgpr_msb 0                        ;  msbs: dst=0 src0=0 src1=0 src2=0
	v_mad_i32_i24 v253, v227, v205, v253
	v_mad_i32_i24 v2, v205, v239, v2
	s_set_vgpr_msb 1                        ;  msbs: dst=0 src0=1 src1=0 src2=0
	v_mad_i32_i24 v3, v13 /*v269*/, v207, v3
	s_set_vgpr_msb 0                        ;  msbs: dst=0 src0=0 src1=0 src2=0
	v_dot4_i32_iu8 v253, v220, v4, v253 neg_lo:[1,1,0]
	v_dot4_i32_iu8 v2, v4, v246, v2 neg_lo:[1,1,0]
	s_set_vgpr_msb 1                        ;  msbs: dst=0 src0=1 src1=0 src2=0
	v_dot4_i32_iu8 v3, v20 /*v276*/, v200, v3 neg_lo:[1,1,0]
	s_set_vgpr_msb 0                        ;  msbs: dst=0 src0=0 src1=0 src2=0
	v_mad_i32_i24 v182, v228, v182, v253
	v_dot4_i32_iu8 v2, v248, v5, v2 neg_lo:[1,1,0]
	s_set_vgpr_msb 1                        ;  msbs: dst=0 src0=1 src1=0 src2=0
	v_mad_i32_i24 v3, v32 /*v288*/, v249, v3
	s_set_vgpr_msb 0                        ;  msbs: dst=0 src0=0 src1=0 src2=0
	v_dot4_i32_iu8 v182, v221, v252, v182 neg_lo:[1,1,0]
	v_mul_i32_i24_e32 v252, v206, v231
	s_delay_alu instid0(VALU_DEP_3) | instskip(SKIP_1) | instid1(VALU_DEP_4)
	v_dot4_i32_iu8 v3, v242, v201, v3 neg_lo:[1,1,0]
	v_mul_lo_u32 v2, v2, v247
	v_mul_lo_u32 v182, v182, v230
	s_delay_alu instid0(VALU_DEP_4) | instskip(NEXT) | instid1(VALU_DEP_4)
	v_mad_i32_i24 v252, v207, v232, v252
	v_mad_i32_i24 v3, v250, v215, v3
	s_delay_alu instid0(VALU_DEP_2) | instskip(NEXT) | instid1(VALU_DEP_2)
	v_dot4_i32_iu8 v252, v200, v233, v252 neg_lo:[1,1,0]
	v_dot4_i32_iu8 v3, v202, v244, v3 neg_lo:[1,1,0]
	s_delay_alu instid0(VALU_DEP_2) | instskip(NEXT) | instid1(VALU_DEP_2)
	v_mad_i32_i24 v252, v249, v234, v252
	v_mad_i32_i24 v3, v243, v251, v3
	s_delay_alu instid0(VALU_DEP_2) | instskip(NEXT) | instid1(VALU_DEP_2)
	v_dot4_i32_iu8 v252, v201, v237, v252 neg_lo:[1,1,0]
	v_dot4_i32_iu8 v3, v210, v203, v3 neg_lo:[1,1,0]
	s_delay_alu instid0(VALU_DEP_2) | instskip(NEXT) | instid1(VALU_DEP_2)
	v_mad_i32_i24 v252, v235, v250, v252
	v_mad_u32 v2, v3, v245, v2
	s_delay_alu instid0(VALU_DEP_2) | instskip(NEXT) | instid1(VALU_DEP_1)
	v_dot4_i32_iu8 v252, v222, v202, v252 neg_lo:[1,1,0]
	v_mad_i32_i24 v252, v236, v251, v252
	s_delay_alu instid0(VALU_DEP_3) | instskip(NEXT) | instid1(VALU_DEP_2)
	v_cvt_f32_i32_e32 v2, v2
	v_dot4_i32_iu8 v252, v240, v203, v252 neg_lo:[1,1,0]
	s_delay_alu instid0(VALU_DEP_1) | instskip(SKIP_1) | instid1(VALU_DEP_1)
	v_mad_u32 v182, v252, v238, v182
	v_dual_mul_f32 v252, v219, v1 :: v_dual_mul_f32 v1, v0, v1
	v_dual_mul_f32 v204, v1, v2 :: v_dual_bitop2_b32 v1, s17, v129 bitop3:0x54
	s_delay_alu instid0(VALU_DEP_3) | instskip(NEXT) | instid1(VALU_DEP_2)
	v_cvt_f32_i32_e32 v182, v182
	v_dual_lshlrev_b32 v7, 2, v1 :: v_dual_lshrrev_b32 v1, 1, v1
	ds_load_b32 v1, v1 offset:38816
	ds_load_b128 v[2:5], v7 offset:25344
	ds_load_b128 v[200:203], v7 offset:25360
	v_mul_f32_e32 v182, v252, v182
	s_wait_dscnt 0x2
	v_mul_f32_e32 v0, v0, v1
	s_wait_dscnt 0x1
	v_bfe_i32 v205, v2, 0, 8
	v_bfe_i32 v206, v2, 8, 8
	v_perm_b32 v2, v2, v2, 0xc0c0302
	s_wait_dscnt 0x0
	v_bfe_i32 v251, v200, 0, 8
	v_bfe_i32 v207, v3, 0, 8
	v_mul_i32_i24_e32 v7, v205, v166
	v_bfe_i32 v252, v200, 8, 8
	v_perm_b32 v3, v3, v3, 0xc030201
	v_mul_i32_i24_e32 v115, v251, v174
	v_bfe_i32 v249, v4, 0, 8
	v_mad_i32_i24 v7, v206, v167, v7
	v_perm_b32 v167, v200, v200, 0xc0c0302
	v_bfe_i32 v253, v201, 0, 8
	v_mad_i32_i24 v115, v252, v175, v115
	v_perm_b32 v4, v4, v4, 0xc030201
	v_dot4_i32_iu8 v7, v2, v168, v7 neg_lo:[1,1,0]
	v_perm_b32 v168, v201, v201, 0xc030201
	v_bfe_i32 v250, v5, 0, 8
	v_dot4_i32_iu8 v115, v167, v176, v115 neg_lo:[1,1,0]
	v_bfe_i32 v254, v202, 0, 8
	v_mad_i32_i24 v7, v207, v170, v7
	v_perm_b32 v166, v5, v5, 0xc030201
	v_bfe_i32 v255, v203, 0, 8
	v_mad_i32_i24 v115, v253, v178, v115
	v_perm_b32 v170, v203, v203, 0xc030201
	v_dot4_i32_iu8 v7, v3, v172, v7 neg_lo:[1,1,0]
	s_delay_alu instid0(VALU_DEP_3) | instskip(NEXT) | instid1(VALU_DEP_2)
	v_dot4_i32_iu8 v115, v168, v180, v115 neg_lo:[1,1,0]
	v_mad_i32_i24 v7, v169, v249, v7
	v_perm_b32 v169, v202, v202, 0xc030201
	s_delay_alu instid0(VALU_DEP_3) | instskip(NEXT) | instid1(VALU_DEP_3)
	v_mad_i32_i24 v115, v177, v254, v115
	v_dot4_i32_iu8 v7, v209, v4, v7 neg_lo:[1,1,0]
	s_delay_alu instid0(VALU_DEP_2) | instskip(NEXT) | instid1(VALU_DEP_2)
	v_dot4_i32_iu8 v115, v213, v169, v115 neg_lo:[1,1,0]
	v_mad_i32_i24 v7, v171, v250, v7
	s_delay_alu instid0(VALU_DEP_2) | instskip(NEXT) | instid1(VALU_DEP_2)
	v_mad_i32_i24 v115, v179, v255, v115
	v_dot4_i32_iu8 v7, v211, v166, v7 neg_lo:[1,1,0]
	s_delay_alu instid0(VALU_DEP_2) | instskip(NEXT) | instid1(VALU_DEP_2)
	v_dot4_i32_iu8 v115, v214, v170, v115 neg_lo:[1,1,0]
	v_mul_lo_u32 v7, v7, v173
	s_delay_alu instid0(VALU_DEP_1) | instskip(SKIP_1) | instid1(VALU_DEP_2)
	v_mad_u32 v7, v115, v181, v7
	v_mul_f32_e32 v115, v165, v1
	v_cvt_f32_i32_e32 v7, v7
	s_delay_alu instid0(VALU_DEP_1) | instskip(NEXT) | instid1(VALU_DEP_1)
	v_mul_f32_e32 v7, v115, v7
	v_pk_add_f32 v[20:21], v[20:21], v[6:7]
	v_mul_i32_i24_e32 v6, v205, v184
	v_mul_i32_i24_e32 v7, v251, v192
	s_delay_alu instid0(VALU_DEP_2) | instskip(NEXT) | instid1(VALU_DEP_2)
	v_mad_i32_i24 v6, v206, v185, v6
	v_mad_i32_i24 v7, v252, v193, v7
	s_delay_alu instid0(VALU_DEP_2) | instskip(NEXT) | instid1(VALU_DEP_2)
	v_dot4_i32_iu8 v6, v2, v186, v6 neg_lo:[1,1,0]
	v_dot4_i32_iu8 v7, v167, v194, v7 neg_lo:[1,1,0]
	s_delay_alu instid0(VALU_DEP_2) | instskip(NEXT) | instid1(VALU_DEP_2)
	v_mad_i32_i24 v6, v207, v187, v6
	v_mad_i32_i24 v7, v253, v195, v7
	s_delay_alu instid0(VALU_DEP_2) | instskip(NEXT) | instid1(VALU_DEP_2)
	v_dot4_i32_iu8 v6, v3, v190, v6 neg_lo:[1,1,0]
	v_dot4_i32_iu8 v7, v168, v198, v7 neg_lo:[1,1,0]
	;; [unrolled: 6-line block ×4, first 2 shown]
	s_delay_alu instid0(VALU_DEP_2) | instskip(NEXT) | instid1(VALU_DEP_1)
	v_mul_lo_u32 v6, v6, v191
	v_mad_u32 v6, v7, v199, v6
	v_mul_f32_e32 v7, v183, v1
	s_delay_alu instid0(VALU_DEP_2) | instskip(NEXT) | instid1(VALU_DEP_1)
	v_cvt_f32_i32_e32 v6, v6
	v_mul_f32_e32 v115, v7, v6
	v_mul_i32_i24_e32 v6, v205, v223
	v_mul_i32_i24_e32 v7, v251, v231
	s_delay_alu instid0(VALU_DEP_3) | instskip(NEXT) | instid1(VALU_DEP_3)
	v_pk_add_f32 v[18:19], v[18:19], v[114:115]
	v_mad_i32_i24 v6, v206, v224, v6
	s_delay_alu instid0(VALU_DEP_3) | instskip(NEXT) | instid1(VALU_DEP_2)
	v_mad_i32_i24 v7, v252, v232, v7
	v_dot4_i32_iu8 v6, v2, v225, v6 neg_lo:[1,1,0]
	s_delay_alu instid0(VALU_DEP_2) | instskip(NEXT) | instid1(VALU_DEP_2)
	v_dot4_i32_iu8 v7, v167, v233, v7 neg_lo:[1,1,0]
	v_mad_i32_i24 v6, v207, v226, v6
	s_delay_alu instid0(VALU_DEP_2) | instskip(NEXT) | instid1(VALU_DEP_2)
	v_mad_i32_i24 v7, v253, v234, v7
	v_dot4_i32_iu8 v6, v3, v229, v6 neg_lo:[1,1,0]
	s_delay_alu instid0(VALU_DEP_2) | instskip(NEXT) | instid1(VALU_DEP_2)
	v_dot4_i32_iu8 v7, v168, v237, v7 neg_lo:[1,1,0]
	v_mad_i32_i24 v6, v227, v249, v6
	s_delay_alu instid0(VALU_DEP_2) | instskip(NEXT) | instid1(VALU_DEP_2)
	;; [unrolled: 6-line block ×3, first 2 shown]
	v_mad_i32_i24 v7, v236, v255, v7
	v_dot4_i32_iu8 v6, v221, v166, v6 neg_lo:[1,1,0]
	s_delay_alu instid0(VALU_DEP_2) | instskip(NEXT) | instid1(VALU_DEP_2)
	v_dot4_i32_iu8 v7, v240, v170, v7 neg_lo:[1,1,0]
	v_mul_lo_u32 v6, v6, v230
	s_delay_alu instid0(VALU_DEP_1) | instskip(SKIP_1) | instid1(VALU_DEP_2)
	v_mad_u32 v6, v7, v238, v6
	v_mul_f32_e32 v7, v219, v1
	v_cvt_f32_i32_e32 v6, v6
	s_delay_alu instid0(VALU_DEP_1) | instskip(SKIP_2) | instid1(VALU_DEP_1)
	v_mul_f32_e32 v183, v7, v6
	s_set_vgpr_msb 1                        ;  msbs: dst=0 src0=1 src1=0 src2=0
	v_mul_i32_i24_e32 v6, v42 /*v298*/, v205
	v_mad_i32_i24 v6, v12 /*v268*/, v206, v6
	s_set_vgpr_msb 0                        ;  msbs: dst=0 src0=0 src1=0 src2=0
	s_delay_alu instid0(VALU_DEP_1) | instskip(SKIP_1) | instid1(VALU_DEP_1)
	v_dot4_i32_iu8 v2, v208, v2, v6 neg_lo:[1,1,0]
	s_set_vgpr_msb 1                        ;  msbs: dst=0 src0=1 src1=0 src2=0
	v_mad_i32_i24 v2, v4 /*v260*/, v207, v2
	s_set_vgpr_msb 0                        ;  msbs: dst=0 src0=0 src1=0 src2=0
	s_delay_alu instid0(VALU_DEP_1) | instskip(SKIP_3) | instid1(VALU_DEP_2)
	v_dot4_i32_iu8 v2, v241, v3, v2 neg_lo:[1,1,0]
	s_set_vgpr_msb 1                        ;  msbs: dst=0 src0=1 src1=0 src2=0
	v_mul_i32_i24_e32 v3, v17 /*v273*/, v251
	s_set_vgpr_msb 0                        ;  msbs: dst=0 src0=0 src1=0 src2=0
	v_mad_i32_i24 v2, v249, v239, v2
	s_set_vgpr_msb 1                        ;  msbs: dst=0 src0=1 src1=0 src2=0
	s_delay_alu instid0(VALU_DEP_2) | instskip(SKIP_1) | instid1(VALU_DEP_2)
	v_mad_i32_i24 v3, v13 /*v269*/, v252, v3
	s_set_vgpr_msb 0                        ;  msbs: dst=0 src0=0 src1=0 src2=0
	v_dot4_i32_iu8 v2, v4, v246, v2 neg_lo:[1,1,0]
	s_set_vgpr_msb 1                        ;  msbs: dst=0 src0=1 src1=0 src2=0
	s_delay_alu instid0(VALU_DEP_2) | instskip(SKIP_1) | instid1(VALU_DEP_2)
	v_dot4_i32_iu8 v3, v20 /*v276*/, v167, v3 neg_lo:[1,1,0]
	s_set_vgpr_msb 0                        ;  msbs: dst=0 src0=0 src1=0 src2=0
	v_dot4_i32_iu8 v2, v248, v5, v2 neg_lo:[1,1,0]
	s_set_vgpr_msb 1                        ;  msbs: dst=0 src0=1 src1=0 src2=0
	s_delay_alu instid0(VALU_DEP_2) | instskip(SKIP_1) | instid1(VALU_DEP_2)
	v_mad_i32_i24 v3, v32 /*v288*/, v253, v3
	s_set_vgpr_msb 0                        ;  msbs: dst=0 src0=0 src1=0 src2=0
	v_mul_lo_u32 v2, v2, v247
	s_delay_alu instid0(VALU_DEP_2) | instskip(NEXT) | instid1(VALU_DEP_1)
	v_dot4_i32_iu8 v3, v242, v168, v3 neg_lo:[1,1,0]
	v_mad_i32_i24 v3, v254, v215, v3
	s_delay_alu instid0(VALU_DEP_1) | instskip(NEXT) | instid1(VALU_DEP_1)
	v_dot4_i32_iu8 v3, v169, v244, v3 neg_lo:[1,1,0]
	v_mad_i32_i24 v3, v243, v255, v3
	s_delay_alu instid0(VALU_DEP_1) | instskip(NEXT) | instid1(VALU_DEP_1)
	v_dot4_i32_iu8 v3, v210, v170, v3 neg_lo:[1,1,0]
	v_mad_u32 v2, v3, v245, v2
	s_delay_alu instid0(VALU_DEP_1) | instskip(NEXT) | instid1(VALU_DEP_1)
	v_cvt_f32_i32_e32 v1, v2
	v_mul_f32_e32 v205, v0, v1
	v_pk_add_f32 v[16:17], v[16:17], v[182:183]
	s_delay_alu instid0(VALU_DEP_2)
	v_pk_add_f32 v[14:15], v[14:15], v[204:205]
	s_cbranch_scc1 .LBB129_12
; %bb.13:                               ;   in Loop: Header=BB129_8 Depth=2
	s_cmp_eq_u32 s12, 4
	s_barrier_signal -1
	s_barrier_wait -1
	s_cselect_b32 s13, -1, 0
	s_delay_alu instid0(SALU_CYCLE_1)
	s_and_b32 vcc_lo, exec_lo, s13
	s_cbranch_vccz .LBB129_8
	s_branch .LBB129_5
.LBB129_14:
	v_dual_mov_b32 v1, v9 :: v_dual_mov_b32 v2, v13
.LBB129_15:
	s_wait_xcnt 0x0
	s_mov_b32 s0, exec_lo
	v_cmpx_gt_u32_e64 s4, v51
	s_cbranch_execz .LBB129_66
; %bb.16:
	v_mul_lo_u32 v5, v51, s6
	v_add_nc_u32_e32 v0, s14, v2
	s_delay_alu instid0(VALU_DEP_1)
	v_cmp_gt_u32_e32 vcc_lo, s6, v0
	s_and_saveexec_b32 s0, vcc_lo
	s_cbranch_execz .LBB129_18
; %bb.17:
	s_delay_alu instid0(VALU_DEP_3)
	v_add_nc_u32_e32 v2, v0, v5
	s_wait_kmcnt 0x0
	global_store_b32 v2, v46, s[8:9] scale_offset
.LBB129_18:
	s_wait_xcnt 0x0
	s_or_b32 exec_lo, exec_lo, s0
	v_add_nc_u32_e32 v2, 32, v0
	s_delay_alu instid0(VALU_DEP_1)
	v_cmp_gt_u32_e64 s0, s6, v2
	s_and_saveexec_b32 s1, s0
	s_cbranch_execz .LBB129_20
; %bb.19:
	v_add_nc_u32_e32 v3, v2, v5
	s_wait_kmcnt 0x0
	global_store_b32 v3, v44, s[8:9] scale_offset
.LBB129_20:
	s_wait_xcnt 0x0
	s_or_b32 exec_lo, exec_lo, s1
	v_add_nc_u32_e32 v3, 64, v0
	s_delay_alu instid0(VALU_DEP_1)
	v_cmp_gt_u32_e64 s1, s6, v3
	s_and_saveexec_b32 s2, s1
	s_cbranch_execz .LBB129_22
; %bb.21:
	v_add_nc_u32_e32 v4, v3, v5
	s_wait_kmcnt 0x0
	global_store_b32 v4, v42, s[8:9] scale_offset
.LBB129_22:
	;; [unrolled: 12-line block ×3, first 2 shown]
	s_wait_xcnt 0x0
	s_or_b32 exec_lo, exec_lo, s3
	v_add3_u32 v5, v1, s7, 8
	s_delay_alu instid0(VALU_DEP_1)
	v_cmp_gt_u32_e64 s3, s4, v5
	s_and_b32 exec_lo, exec_lo, s3
	s_cbranch_execz .LBB129_66
; %bb.25:
	v_mul_lo_u32 v5, v5, s6
	s_and_saveexec_b32 s3, vcc_lo
	s_cbranch_execnz .LBB129_67
; %bb.26:
	s_or_b32 exec_lo, exec_lo, s3
	s_and_saveexec_b32 s3, s0
	s_cbranch_execnz .LBB129_68
.LBB129_27:
	s_or_b32 exec_lo, exec_lo, s3
	s_and_saveexec_b32 s3, s1
	s_cbranch_execnz .LBB129_69
.LBB129_28:
	s_or_b32 exec_lo, exec_lo, s3
	s_and_saveexec_b32 s3, s2
	s_cbranch_execz .LBB129_30
.LBB129_29:
	v_add_nc_u32_e32 v5, v5, v4
	s_wait_kmcnt 0x0
	global_store_b32 v5, v40, s[8:9] scale_offset
.LBB129_30:
	s_wait_xcnt 0x0
	s_or_b32 exec_lo, exec_lo, s3
	v_add3_u32 v5, v1, s7, 16
	s_delay_alu instid0(VALU_DEP_1)
	v_cmp_gt_u32_e64 s3, s4, v5
	s_and_b32 exec_lo, exec_lo, s3
	s_cbranch_execz .LBB129_66
; %bb.31:
	v_mul_lo_u32 v5, v5, s6
	s_and_saveexec_b32 s3, vcc_lo
	s_cbranch_execnz .LBB129_70
; %bb.32:
	s_or_b32 exec_lo, exec_lo, s3
	s_and_saveexec_b32 s3, s0
	s_cbranch_execnz .LBB129_71
.LBB129_33:
	s_or_b32 exec_lo, exec_lo, s3
	s_and_saveexec_b32 s3, s1
	s_cbranch_execnz .LBB129_72
.LBB129_34:
	s_or_b32 exec_lo, exec_lo, s3
	s_and_saveexec_b32 s3, s2
	s_cbranch_execz .LBB129_36
.LBB129_35:
	v_add_nc_u32_e32 v5, v5, v4
	s_wait_kmcnt 0x0
	global_store_b32 v5, v30, s[8:9] scale_offset
.LBB129_36:
	s_wait_xcnt 0x0
	s_or_b32 exec_lo, exec_lo, s3
	v_add3_u32 v5, v1, s7, 24
	s_delay_alu instid0(VALU_DEP_1)
	v_cmp_gt_u32_e64 s3, s4, v5
	s_and_b32 exec_lo, exec_lo, s3
	s_cbranch_execz .LBB129_66
; %bb.37:
	v_mul_lo_u32 v5, v5, s6
	s_and_saveexec_b32 s3, vcc_lo
	s_cbranch_execnz .LBB129_73
; %bb.38:
	s_or_b32 exec_lo, exec_lo, s3
	s_and_saveexec_b32 s3, s0
	s_cbranch_execnz .LBB129_74
.LBB129_39:
	s_or_b32 exec_lo, exec_lo, s3
	s_and_saveexec_b32 s3, s1
	s_cbranch_execnz .LBB129_75
.LBB129_40:
	s_or_b32 exec_lo, exec_lo, s3
	s_and_saveexec_b32 s3, s2
	s_cbranch_execz .LBB129_42
.LBB129_41:
	v_add_nc_u32_e32 v5, v5, v4
	s_wait_kmcnt 0x0
	global_store_b32 v5, v31, s[8:9] scale_offset
.LBB129_42:
	s_wait_xcnt 0x0
	s_or_b32 exec_lo, exec_lo, s3
	v_add3_u32 v5, v1, s7, 32
	s_delay_alu instid0(VALU_DEP_1)
	v_cmp_gt_u32_e64 s3, s4, v5
	s_and_b32 exec_lo, exec_lo, s3
	s_cbranch_execz .LBB129_66
; %bb.43:
	v_mul_lo_u32 v5, v5, s6
	s_and_saveexec_b32 s3, vcc_lo
	s_cbranch_execnz .LBB129_76
; %bb.44:
	s_or_b32 exec_lo, exec_lo, s3
	s_and_saveexec_b32 s3, s0
	s_cbranch_execnz .LBB129_77
.LBB129_45:
	s_or_b32 exec_lo, exec_lo, s3
	s_and_saveexec_b32 s3, s1
	s_cbranch_execnz .LBB129_78
.LBB129_46:
	s_or_b32 exec_lo, exec_lo, s3
	s_and_saveexec_b32 s3, s2
	s_cbranch_execz .LBB129_48
.LBB129_47:
	v_add_nc_u32_e32 v5, v5, v4
	s_wait_kmcnt 0x0
	global_store_b32 v5, v22, s[8:9] scale_offset
.LBB129_48:
	s_wait_xcnt 0x0
	s_or_b32 exec_lo, exec_lo, s3
	v_add3_u32 v5, v1, s7, 40
	s_delay_alu instid0(VALU_DEP_1)
	v_cmp_gt_u32_e64 s3, s4, v5
	s_and_b32 exec_lo, exec_lo, s3
	s_cbranch_execz .LBB129_66
; %bb.49:
	v_mul_lo_u32 v5, v5, s6
	s_and_saveexec_b32 s3, vcc_lo
	s_cbranch_execnz .LBB129_79
; %bb.50:
	s_or_b32 exec_lo, exec_lo, s3
	s_and_saveexec_b32 s3, s0
	s_cbranch_execnz .LBB129_80
.LBB129_51:
	s_or_b32 exec_lo, exec_lo, s3
	s_and_saveexec_b32 s3, s1
	s_cbranch_execnz .LBB129_81
.LBB129_52:
	s_or_b32 exec_lo, exec_lo, s3
	s_and_saveexec_b32 s3, s2
	s_cbranch_execz .LBB129_54
.LBB129_53:
	v_add_nc_u32_e32 v5, v5, v4
	s_wait_kmcnt 0x0
	global_store_b32 v5, v23, s[8:9] scale_offset
.LBB129_54:
	s_wait_xcnt 0x0
	s_or_b32 exec_lo, exec_lo, s3
	v_add3_u32 v5, v1, s7, 48
	s_delay_alu instid0(VALU_DEP_1)
	v_cmp_gt_u32_e64 s3, s4, v5
	s_and_b32 exec_lo, exec_lo, s3
	s_cbranch_execz .LBB129_66
; %bb.55:
	v_mul_lo_u32 v5, v5, s6
	s_and_saveexec_b32 s3, vcc_lo
	s_cbranch_execnz .LBB129_82
; %bb.56:
	s_or_b32 exec_lo, exec_lo, s3
	s_and_saveexec_b32 s3, s0
	s_cbranch_execnz .LBB129_83
.LBB129_57:
	s_or_b32 exec_lo, exec_lo, s3
	s_and_saveexec_b32 s3, s1
	s_cbranch_execnz .LBB129_84
.LBB129_58:
	s_or_b32 exec_lo, exec_lo, s3
	s_and_saveexec_b32 s3, s2
	s_cbranch_execz .LBB129_60
.LBB129_59:
	v_add_nc_u32_e32 v5, v5, v4
	s_wait_kmcnt 0x0
	global_store_b32 v5, v14, s[8:9] scale_offset
.LBB129_60:
	s_wait_xcnt 0x0
	s_or_b32 exec_lo, exec_lo, s3
	v_add3_u32 v1, v1, s7, 56
	s_delay_alu instid0(VALU_DEP_1)
	v_cmp_gt_u32_e64 s3, s4, v1
	s_and_b32 exec_lo, exec_lo, s3
	s_cbranch_execz .LBB129_66
; %bb.61:
	v_mul_lo_u32 v1, v1, s6
	s_and_saveexec_b32 s3, vcc_lo
	s_cbranch_execnz .LBB129_85
; %bb.62:
	s_or_b32 exec_lo, exec_lo, s3
	s_and_saveexec_b32 s3, s0
	s_cbranch_execnz .LBB129_86
.LBB129_63:
	s_or_b32 exec_lo, exec_lo, s3
	s_and_saveexec_b32 s0, s1
	s_cbranch_execnz .LBB129_87
.LBB129_64:
	s_or_b32 exec_lo, exec_lo, s0
	s_delay_alu instid0(SALU_CYCLE_1)
	s_and_b32 exec_lo, exec_lo, s2
	s_cbranch_execz .LBB129_66
.LBB129_65:
	v_add_nc_u32_e32 v0, v1, v4
	s_wait_kmcnt 0x0
	global_store_b32 v0, v15, s[8:9] scale_offset
.LBB129_66:
	s_sendmsg sendmsg(MSG_DEALLOC_VGPRS)
	s_endpgm
.LBB129_67:
	s_delay_alu instid0(VALU_DEP_1)
	v_add_nc_u32_e32 v6, v5, v0
	s_wait_kmcnt 0x0
	global_store_b32 v6, v47, s[8:9] scale_offset
	s_wait_xcnt 0x0
	s_or_b32 exec_lo, exec_lo, s3
	s_and_saveexec_b32 s3, s0
	s_cbranch_execz .LBB129_27
.LBB129_68:
	s_delay_alu instid0(VALU_DEP_1)
	v_add_nc_u32_e32 v6, v5, v2
	s_wait_kmcnt 0x0
	global_store_b32 v6, v45, s[8:9] scale_offset
	s_wait_xcnt 0x0
	s_or_b32 exec_lo, exec_lo, s3
	s_and_saveexec_b32 s3, s1
	s_cbranch_execz .LBB129_28
.LBB129_69:
	s_delay_alu instid0(VALU_DEP_1)
	v_add_nc_u32_e32 v6, v5, v3
	s_wait_kmcnt 0x0
	global_store_b32 v6, v43, s[8:9] scale_offset
	s_wait_xcnt 0x0
	s_or_b32 exec_lo, exec_lo, s3
	s_and_saveexec_b32 s3, s2
	s_cbranch_execnz .LBB129_29
	s_branch .LBB129_30
.LBB129_70:
	s_delay_alu instid0(VALU_DEP_1)
	v_add_nc_u32_e32 v6, v5, v0
	s_wait_kmcnt 0x0
	global_store_b32 v6, v38, s[8:9] scale_offset
	s_wait_xcnt 0x0
	s_or_b32 exec_lo, exec_lo, s3
	s_and_saveexec_b32 s3, s0
	s_cbranch_execz .LBB129_33
.LBB129_71:
	s_delay_alu instid0(VALU_DEP_1)
	v_add_nc_u32_e32 v6, v5, v2
	s_wait_kmcnt 0x0
	global_store_b32 v6, v36, s[8:9] scale_offset
	s_wait_xcnt 0x0
	s_or_b32 exec_lo, exec_lo, s3
	s_and_saveexec_b32 s3, s1
	s_cbranch_execz .LBB129_34
.LBB129_72:
	s_delay_alu instid0(VALU_DEP_1)
	v_add_nc_u32_e32 v6, v5, v3
	s_wait_kmcnt 0x0
	global_store_b32 v6, v34, s[8:9] scale_offset
	s_wait_xcnt 0x0
	s_or_b32 exec_lo, exec_lo, s3
	s_and_saveexec_b32 s3, s2
	s_cbranch_execnz .LBB129_35
	s_branch .LBB129_36
.LBB129_73:
	s_delay_alu instid0(VALU_DEP_1)
	v_add_nc_u32_e32 v6, v5, v0
	s_wait_kmcnt 0x0
	global_store_b32 v6, v39, s[8:9] scale_offset
	s_wait_xcnt 0x0
	s_or_b32 exec_lo, exec_lo, s3
	s_and_saveexec_b32 s3, s0
	s_cbranch_execz .LBB129_39
.LBB129_74:
	s_delay_alu instid0(VALU_DEP_1)
	v_add_nc_u32_e32 v6, v5, v2
	s_wait_kmcnt 0x0
	global_store_b32 v6, v37, s[8:9] scale_offset
	s_wait_xcnt 0x0
	s_or_b32 exec_lo, exec_lo, s3
	s_and_saveexec_b32 s3, s1
	s_cbranch_execz .LBB129_40
.LBB129_75:
	s_delay_alu instid0(VALU_DEP_1)
	v_add_nc_u32_e32 v6, v5, v3
	s_wait_kmcnt 0x0
	global_store_b32 v6, v35, s[8:9] scale_offset
	s_wait_xcnt 0x0
	s_or_b32 exec_lo, exec_lo, s3
	s_and_saveexec_b32 s3, s2
	s_cbranch_execnz .LBB129_41
	s_branch .LBB129_42
.LBB129_76:
	s_delay_alu instid0(VALU_DEP_1)
	v_add_nc_u32_e32 v6, v5, v0
	s_wait_kmcnt 0x0
	global_store_b32 v6, v28, s[8:9] scale_offset
	s_wait_xcnt 0x0
	s_or_b32 exec_lo, exec_lo, s3
	s_and_saveexec_b32 s3, s0
	s_cbranch_execz .LBB129_45
.LBB129_77:
	s_delay_alu instid0(VALU_DEP_1)
	v_add_nc_u32_e32 v6, v5, v2
	s_wait_kmcnt 0x0
	global_store_b32 v6, v26, s[8:9] scale_offset
	s_wait_xcnt 0x0
	s_or_b32 exec_lo, exec_lo, s3
	s_and_saveexec_b32 s3, s1
	s_cbranch_execz .LBB129_46
.LBB129_78:
	s_delay_alu instid0(VALU_DEP_1)
	v_add_nc_u32_e32 v6, v5, v3
	s_wait_kmcnt 0x0
	global_store_b32 v6, v24, s[8:9] scale_offset
	s_wait_xcnt 0x0
	s_or_b32 exec_lo, exec_lo, s3
	s_and_saveexec_b32 s3, s2
	s_cbranch_execnz .LBB129_47
	s_branch .LBB129_48
.LBB129_79:
	s_delay_alu instid0(VALU_DEP_1)
	v_add_nc_u32_e32 v6, v5, v0
	s_wait_kmcnt 0x0
	global_store_b32 v6, v29, s[8:9] scale_offset
	s_wait_xcnt 0x0
	s_or_b32 exec_lo, exec_lo, s3
	s_and_saveexec_b32 s3, s0
	s_cbranch_execz .LBB129_51
.LBB129_80:
	s_delay_alu instid0(VALU_DEP_1)
	v_add_nc_u32_e32 v6, v5, v2
	s_wait_kmcnt 0x0
	global_store_b32 v6, v27, s[8:9] scale_offset
	s_wait_xcnt 0x0
	s_or_b32 exec_lo, exec_lo, s3
	s_and_saveexec_b32 s3, s1
	s_cbranch_execz .LBB129_52
.LBB129_81:
	s_delay_alu instid0(VALU_DEP_1)
	v_add_nc_u32_e32 v6, v5, v3
	s_wait_kmcnt 0x0
	global_store_b32 v6, v25, s[8:9] scale_offset
	s_wait_xcnt 0x0
	s_or_b32 exec_lo, exec_lo, s3
	s_and_saveexec_b32 s3, s2
	s_cbranch_execnz .LBB129_53
	s_branch .LBB129_54
.LBB129_82:
	s_delay_alu instid0(VALU_DEP_1)
	v_add_nc_u32_e32 v6, v5, v0
	s_wait_kmcnt 0x0
	global_store_b32 v6, v20, s[8:9] scale_offset
	s_wait_xcnt 0x0
	s_or_b32 exec_lo, exec_lo, s3
	s_and_saveexec_b32 s3, s0
	s_cbranch_execz .LBB129_57
.LBB129_83:
	s_delay_alu instid0(VALU_DEP_1)
	v_add_nc_u32_e32 v6, v5, v2
	s_wait_kmcnt 0x0
	global_store_b32 v6, v18, s[8:9] scale_offset
	s_wait_xcnt 0x0
	s_or_b32 exec_lo, exec_lo, s3
	s_and_saveexec_b32 s3, s1
	s_cbranch_execz .LBB129_58
.LBB129_84:
	s_delay_alu instid0(VALU_DEP_1)
	v_add_nc_u32_e32 v6, v5, v3
	s_wait_kmcnt 0x0
	global_store_b32 v6, v16, s[8:9] scale_offset
	s_wait_xcnt 0x0
	s_or_b32 exec_lo, exec_lo, s3
	s_and_saveexec_b32 s3, s2
	s_cbranch_execnz .LBB129_59
	s_branch .LBB129_60
.LBB129_85:
	s_delay_alu instid0(VALU_DEP_1)
	v_add_nc_u32_e32 v0, v1, v0
	s_wait_kmcnt 0x0
	global_store_b32 v0, v21, s[8:9] scale_offset
	s_wait_xcnt 0x0
	s_or_b32 exec_lo, exec_lo, s3
	s_and_saveexec_b32 s3, s0
	s_cbranch_execz .LBB129_63
.LBB129_86:
	s_delay_alu instid0(VALU_DEP_1)
	v_add_nc_u32_e32 v0, v1, v2
	s_wait_kmcnt 0x0
	global_store_b32 v0, v19, s[8:9] scale_offset
	s_wait_xcnt 0x0
	s_or_b32 exec_lo, exec_lo, s3
	s_and_saveexec_b32 s0, s1
	s_cbranch_execz .LBB129_64
.LBB129_87:
	s_delay_alu instid0(VALU_DEP_1) | instskip(SKIP_4) | instid1(SALU_CYCLE_1)
	v_add_nc_u32_e32 v0, v1, v3
	s_wait_kmcnt 0x0
	global_store_b32 v0, v17, s[8:9] scale_offset
	s_wait_xcnt 0x0
	s_or_b32 exec_lo, exec_lo, s0
	s_and_b32 exec_lo, exec_lo, s2
	s_cbranch_execnz .LBB129_65
	s_branch .LBB129_66
	.section	.rodata,"a",@progbits
	.p2align	6, 0x0
	.amdhsa_kernel _ZL12mul_mat_q3_KIfLb0EEvPKvS1_PT_iiiii
		.amdhsa_group_segment_fixed_size 39840
		.amdhsa_private_segment_fixed_size 0
		.amdhsa_kernarg_size 44
		.amdhsa_user_sgpr_count 2
		.amdhsa_user_sgpr_dispatch_ptr 0
		.amdhsa_user_sgpr_queue_ptr 0
		.amdhsa_user_sgpr_kernarg_segment_ptr 1
		.amdhsa_user_sgpr_dispatch_id 0
		.amdhsa_user_sgpr_kernarg_preload_length 0
		.amdhsa_user_sgpr_kernarg_preload_offset 0
		.amdhsa_user_sgpr_private_segment_size 0
		.amdhsa_wavefront_size32 1
		.amdhsa_uses_dynamic_stack 0
		.amdhsa_enable_private_segment 0
		.amdhsa_system_sgpr_workgroup_id_x 1
		.amdhsa_system_sgpr_workgroup_id_y 1
		.amdhsa_system_sgpr_workgroup_id_z 0
		.amdhsa_system_sgpr_workgroup_info 0
		.amdhsa_system_vgpr_workitem_id 1
		.amdhsa_next_free_vgpr 307
		.amdhsa_next_free_sgpr 24
		.amdhsa_named_barrier_count 0
		.amdhsa_reserve_vcc 1
		.amdhsa_float_round_mode_32 0
		.amdhsa_float_round_mode_16_64 0
		.amdhsa_float_denorm_mode_32 3
		.amdhsa_float_denorm_mode_16_64 3
		.amdhsa_fp16_overflow 0
		.amdhsa_memory_ordered 1
		.amdhsa_forward_progress 1
		.amdhsa_inst_pref_size 255
		.amdhsa_round_robin_scheduling 0
		.amdhsa_exception_fp_ieee_invalid_op 0
		.amdhsa_exception_fp_denorm_src 0
		.amdhsa_exception_fp_ieee_div_zero 0
		.amdhsa_exception_fp_ieee_overflow 0
		.amdhsa_exception_fp_ieee_underflow 0
		.amdhsa_exception_fp_ieee_inexact 0
		.amdhsa_exception_int_div_zero 0
	.end_amdhsa_kernel
	.section	.text._ZL12mul_mat_q3_KIfLb0EEvPKvS1_PT_iiiii,"axG",@progbits,_ZL12mul_mat_q3_KIfLb0EEvPKvS1_PT_iiiii,comdat
.Lfunc_end129:
	.size	_ZL12mul_mat_q3_KIfLb0EEvPKvS1_PT_iiiii, .Lfunc_end129-_ZL12mul_mat_q3_KIfLb0EEvPKvS1_PT_iiiii
                                        ; -- End function
	.set _ZL12mul_mat_q3_KIfLb0EEvPKvS1_PT_iiiii.num_vgpr, 307
	.set _ZL12mul_mat_q3_KIfLb0EEvPKvS1_PT_iiiii.num_agpr, 0
	.set _ZL12mul_mat_q3_KIfLb0EEvPKvS1_PT_iiiii.numbered_sgpr, 24
	.set _ZL12mul_mat_q3_KIfLb0EEvPKvS1_PT_iiiii.num_named_barrier, 0
	.set _ZL12mul_mat_q3_KIfLb0EEvPKvS1_PT_iiiii.private_seg_size, 0
	.set _ZL12mul_mat_q3_KIfLb0EEvPKvS1_PT_iiiii.uses_vcc, 1
	.set _ZL12mul_mat_q3_KIfLb0EEvPKvS1_PT_iiiii.uses_flat_scratch, 0
	.set _ZL12mul_mat_q3_KIfLb0EEvPKvS1_PT_iiiii.has_dyn_sized_stack, 0
	.set _ZL12mul_mat_q3_KIfLb0EEvPKvS1_PT_iiiii.has_recursion, 0
	.set _ZL12mul_mat_q3_KIfLb0EEvPKvS1_PT_iiiii.has_indirect_call, 0
	.section	.AMDGPU.csdata,"",@progbits
; Kernel info:
; codeLenInByte = 41628
; TotalNumSgprs: 26
; NumVgprs: 307
; ScratchSize: 0
; MemoryBound: 0
; FloatMode: 240
; IeeeMode: 1
; LDSByteSize: 39840 bytes/workgroup (compile time only)
; SGPRBlocks: 0
; VGPRBlocks: 19
; NumSGPRsForWavesPerEU: 26
; NumVGPRsForWavesPerEU: 307
; NamedBarCnt: 0
; Occupancy: 3
; WaveLimiterHint : 0
; COMPUTE_PGM_RSRC2:SCRATCH_EN: 0
; COMPUTE_PGM_RSRC2:USER_SGPR: 2
; COMPUTE_PGM_RSRC2:TRAP_HANDLER: 0
; COMPUTE_PGM_RSRC2:TGID_X_EN: 1
; COMPUTE_PGM_RSRC2:TGID_Y_EN: 1
; COMPUTE_PGM_RSRC2:TGID_Z_EN: 0
; COMPUTE_PGM_RSRC2:TIDIG_COMP_CNT: 1
	.section	.text._ZL12mul_mat_q3_KIfLb1EEvPKvS1_PT_iiiii,"axG",@progbits,_ZL12mul_mat_q3_KIfLb1EEvPKvS1_PT_iiiii,comdat
	.globl	_ZL12mul_mat_q3_KIfLb1EEvPKvS1_PT_iiiii ; -- Begin function _ZL12mul_mat_q3_KIfLb1EEvPKvS1_PT_iiiii
	.p2align	8
	.type	_ZL12mul_mat_q3_KIfLb1EEvPKvS1_PT_iiiii,@function
_ZL12mul_mat_q3_KIfLb1EEvPKvS1_PT_iiiii: ; @_ZL12mul_mat_q3_KIfLb1EEvPKvS1_PT_iiiii
; %bb.0:
	s_clause 0x1
	s_load_b128 s[4:7], s[0:1], 0x18
	s_load_b32 s12, s[0:1], 0x28
	s_bfe_u32 s2, ttmp6, 0x4000c
	s_bfe_u32 s8, ttmp6, 0x40010
	s_add_co_i32 s2, s2, 1
	s_and_b32 s3, ttmp6, 15
	s_mul_i32 s2, ttmp9, s2
	s_add_co_i32 s8, s8, 1
	s_add_co_i32 s3, s3, s2
	s_mul_i32 s2, ttmp7, s8
	s_bfe_u32 s8, ttmp6, 0x40004
	s_getreg_b32 s9, hwreg(HW_REG_IB_STS2, 6, 4)
	s_add_co_i32 s8, s8, s2
	s_cmp_eq_u32 s9, 0
	v_bfe_u32 v9, v0, 10, 10
	s_cselect_b32 s8, ttmp7, s8
	v_and_b32_e32 v11, 0x3ff, v0
	s_cselect_b32 s2, ttmp9, s3
	s_lshl_b32 s13, s8, 6
	s_mov_b32 s3, 0
	s_wait_kmcnt 0x0
	s_cmp_gt_i32 s4, 0xff
	s_cbranch_scc1 .LBB130_2
; %bb.1:
	v_bfe_u32 v1, v0, 10, 10
	v_and_b32_e32 v2, 0x3ff, v0
	s_delay_alu instid0(VALU_DEP_2)
	v_add_nc_u32_e32 v53, s13, v1
	s_branch .LBB130_3
.LBB130_2:
	s_mov_b32 s3, -1
                                        ; implicit-def: $vgpr1
                                        ; implicit-def: $vgpr2
                                        ; implicit-def: $vgpr53
.LBB130_3:
	s_load_b64 s[8:9], s[0:1], 0x10
	v_dual_mov_b32 v13, 0 :: v_dual_mov_b32 v12, 0
	v_dual_mov_b32 v21, 0 :: v_dual_mov_b32 v20, 0
	v_dual_mov_b32 v33, 0 :: v_dual_mov_b32 v32, 0
	v_dual_mov_b32 v40, 0 :: v_dual_mov_b32 v41, 0
	v_dual_mov_b32 v15, 0 :: v_dual_mov_b32 v14, 0
	v_dual_mov_b32 v25, 0 :: v_dual_mov_b32 v24, 0
	v_dual_mov_b32 v35, 0 :: v_dual_mov_b32 v34, 0
	v_dual_mov_b32 v43, 0 :: v_dual_mov_b32 v42, 0
	v_dual_mov_b32 v17, 0 :: v_dual_mov_b32 v16, 0
	v_dual_mov_b32 v27, 0 :: v_dual_mov_b32 v26, 0
	v_dual_mov_b32 v37, 0 :: v_dual_mov_b32 v36, 0
	v_dual_mov_b32 v45, 0 :: v_dual_mov_b32 v44, 0
	v_dual_mov_b32 v19, 0 :: v_dual_mov_b32 v18, 0
	v_dual_mov_b32 v29, 0 :: v_dual_mov_b32 v28, 0
	v_dual_mov_b32 v39, 0 :: v_dual_mov_b32 v38, 0
	v_dual_mov_b32 v47, 0 :: v_dual_mov_b32 v46, 0
	s_and_not1_b32 vcc_lo, exec_lo, s3
	s_lshl_b32 s14, s2, 7
	s_cbranch_vccnz .LBB130_15
; %bb.4:
	v_bfe_u32 v26, v0, 1, 9
	v_dual_add_nc_u32 v27, 8, v9 :: v_dual_bitop2_b32 v110, 15, v0 bitop3:0x40
	s_not_b32 s2, s14
	v_bfe_u32 v8, v0, 4, 6
	s_delay_alu instid0(VALU_DEP_3) | instskip(SKIP_2) | instid1(VALU_DEP_3)
	v_lshl_add_u32 v1, v9, 4, v26
	s_add_co_i32 s5, s5, s2
	v_dual_add_nc_u32 v28, 16, v9 :: v_dual_bitop2_b32 v10, 1, v0 bitop3:0x40
	v_lshl_add_u32 v23, v9, 1, v8
	s_delay_alu instid0(VALU_DEP_3) | instskip(SKIP_3) | instid1(VALU_DEP_3)
	v_and_b32_e32 v1, 0x7f, v1
	v_dual_lshlrev_b32 v22, 2, v110 :: v_dual_bitop2_b32 v112, 7, v0 bitop3:0x40
	v_add_nc_u32_e32 v53, s13, v9
	s_add_co_i32 s16, s6, -1
	v_dual_lshlrev_b32 v1, 2, v10 :: v_dual_min_i32 v29, s5, v1
	v_cvt_f64_i32_e32 v[2:3], s16
	s_delay_alu instid0(VALU_DEP_3) | instskip(SKIP_1) | instid1(VALU_DEP_4)
	v_dual_add_nc_u32 v6, 8, v53 :: v_dual_add_nc_u32 v12, 16, v53
	v_add_nc_u32_e32 v14, 24, v53
	v_dual_ashrrev_i32 v7, 31, v29 :: v_dual_min_i32 v32, s5, v23
	v_dual_add_nc_u32 v16, 32, v53 :: v_dual_add_nc_u32 v18, 40, v53
	s_delay_alu instid0(VALU_DEP_2)
	v_dual_add_nc_u32 v20, 48, v53 :: v_dual_lshrrev_b32 v7, 28, v7
	v_add_nc_u32_e32 v24, 56, v53
	v_cvt_f64_u32_e32 v[4:5], v53
	v_cvt_f64_u32_e32 v[12:13], v12
	;; [unrolled: 1-line block ×3, first 2 shown]
	v_add_nc_u32_e32 v19, v29, v7
	v_cvt_f64_u32_e32 v[6:7], v6
	v_cvt_f64_u32_e32 v[16:17], v16
	v_add_min_i32_e64 v34, v23, 32, s5
	s_delay_alu instid0(VALU_DEP_4) | instskip(SKIP_3) | instid1(VALU_DEP_4)
	v_dual_lshrrev_b32 v30, 31, v32 :: v_dual_ashrrev_i32 v25, 4, v19
	v_cvt_f64_u32_e32 v[18:19], v18
	v_cvt_f64_u32_e32 v[20:21], v20
	v_add_min_i32_e64 v38, v23, 48, s5
	v_dual_lshrrev_b32 v37, 31, v34 :: v_dual_lshlrev_b32 v31, 2, v25
	v_cvt_f64_u32_e32 v[24:25], v24
	v_add_min_i32_e64 v33, v23, 16, s5
	v_add_min_i32_e64 v41, v23, 64, s5
	s_delay_alu instid0(VALU_DEP_4)
	v_add_lshl_u32 v37, v34, v37, 1
	v_add_min_i32_e64 v44, 0x50, v23, s5
	v_add_min_i32_e64 v45, 0x60, v23, s5
	v_lshlrev_b32_e32 v42, 6, v33
	v_lshrrev_b32_e32 v43, 31, v41
	v_dual_lshrrev_b32 v40, 31, v38 :: v_dual_bitop2_b32 v37, -4, v37 bitop3:0x40
	s_delay_alu instid0(VALU_DEP_4)
	v_lshrrev_b32_e32 v46, 31, v45
	v_bfe_u32 v48, v0, 3, 7
	v_add_lshl_u32 v30, v32, v30, 1
	v_lshrrev_b32_e32 v35, 31, v33
	v_add_lshl_u32 v40, v38, v40, 1
	v_add_lshl_u32 v46, v45, v46, 1
	v_add_min_i32_e64 v100, 0x70, v23, s5
	v_lshl_add_u32 v23, v9, 2, v48
	v_min_num_f64_e32 v[4:5], v[4:5], v[2:3]
	v_min_num_f64_e32 v[12:13], v[12:13], v[2:3]
	;; [unrolled: 1-line block ×3, first 2 shown]
	v_and_b32_e32 v46, -4, v46
	v_min_num_f64_e32 v[6:7], v[6:7], v[2:3]
	v_min_num_f64_e32 v[16:17], v[16:17], v[2:3]
	v_add3_u32 v1, v31, v1, 0x9380
	v_and_b32_e32 v31, -4, v30
	v_add_lshl_u32 v35, v33, v35, 1
	v_min_num_f64_e32 v[18:19], v[18:19], v[2:3]
	v_dual_min_num_f64 v[20:21], v[20:21], v[2:3] :: v_dual_lshlrev_b32 v49, 6, v41
	v_dual_lshlrev_b32 v48, 6, v44 :: v_dual_lshlrev_b32 v36, 3, v29
	v_dual_min_num_f64 v[2:3], v[24:25], v[2:3] :: v_dual_lshlrev_b32 v30, 2, v112
	v_lshrrev_b32_e32 v24, 31, v44
	v_and_b32_e32 v25, -4, v40
	v_dual_lshlrev_b32 v39, 6, v32 :: v_dual_bitop2_b32 v35, -4, v35 bitop3:0x40
	v_dual_lshlrev_b32 v47, 6, v38 :: v_dual_lshrrev_b32 v50, 31, v100
	s_delay_alu instid0(VALU_DEP_4) | instskip(SKIP_1) | instid1(VALU_DEP_4)
	v_add_lshl_u32 v24, v44, v24, 1
	v_add3_u32 v31, v31, v22, 0x4200
	v_add3_u32 v35, v35, v22, 0x4200
	;; [unrolled: 1-line block ×3, first 2 shown]
	v_add_lshl_u32 v43, v41, v43, 1
	v_dual_lshlrev_b32 v40, 6, v34 :: v_dual_bitop2_b32 v24, -4, v24 bitop3:0x40
	v_add3_u32 v25, v25, v22, 0x4200
	s_wait_xcnt 0x0
	s_load_b128 s[0:3], s[0:1], 0x0
	v_and_b32_e32 v43, -4, v43
	v_cvt_i32_f64_e32 v4, v[4:5]
	v_add3_u32 v24, v24, v22, 0x4200
	v_dual_add_nc_u32 v71, v25, v47 :: v_dual_lshlrev_b32 v25, 6, v100
	v_cvt_i32_f64_e32 v5, v[6:7]
	v_cvt_i32_f64_e32 v6, v[12:13]
	;; [unrolled: 1-line block ×4, first 2 shown]
	v_lshlrev_b32_e32 v14, 5, v11
	v_and_b32_e32 v15, 0xfc, v0
	v_add_nc_u32_e32 v17, 32, v11
	v_cvt_i32_f64_e32 v13, v[18:19]
	v_cvt_i32_f64_e32 v16, v[20:21]
	v_add3_u32 v43, v43, v22, 0x4200
	v_add3_u32 v55, v14, v15, 0x8300
	v_cvt_i32_f64_e32 v2, v[2:3]
	v_add_nc_u32_e32 v3, 64, v11
	v_dual_lshlrev_b32 v15, 5, v17 :: v_dual_min_i32 v102, s5, v23
	v_add_nc_u32_e32 v14, 0x60, v11
	v_and_b32_e32 v18, 0x1fc, v17
	s_delay_alu instid0(VALU_DEP_4) | instskip(SKIP_1) | instid1(VALU_DEP_4)
	v_lshlrev_b32_e32 v19, 5, v3
	v_and_b32_e32 v20, 0x1fc, v3
	v_dual_add_nc_u32 v63, v1, v36 :: v_dual_lshlrev_b32 v21, 5, v14
	v_and_b32_e32 v51, 0x1fc, v14
	v_add3_u32 v57, v15, v18, 0x8300
	v_ashrrev_i32_e32 v15, 31, v102
	v_add_min_i32_e64 v18, v23, 32, s5
	v_add3_u32 v59, v19, v20, 0x8300
	v_add3_u32 v61, v21, v51, 0x8300
	v_lshlrev_b32_e32 v19, 6, v45
	v_add_lshl_u32 v20, v100, v50, 1
	v_dual_lshrrev_b32 v15, 30, v15 :: v_dual_ashrrev_i32 v1, 31, v18
	v_add_nc_u32_e32 v65, v31, v39
	v_add_min_i32_e64 v21, v23, 64, s5
	s_delay_alu instid0(VALU_DEP_3) | instskip(NEXT) | instid1(VALU_DEP_4)
	v_dual_add_nc_u32 v15, v102, v15 :: v_dual_bitop2_b32 v20, -4, v20 bitop3:0x40
	v_dual_lshrrev_b32 v1, 30, v1 :: v_dual_add_nc_u32 v67, v35, v42
	s_delay_alu instid0(VALU_DEP_3) | instskip(SKIP_1) | instid1(VALU_DEP_3)
	v_ashrrev_i32_e32 v31, 31, v21
	v_add_min_i32_e64 v35, 0x60, v23, s5
	v_dual_add_nc_u32 v1, v18, v1 :: v_dual_bitop2_b32 v15, -4, v15 bitop3:0x40
	s_delay_alu instid0(VALU_DEP_3) | instskip(NEXT) | instid1(VALU_DEP_3)
	v_dual_add_nc_u32 v69, v37, v40 :: v_dual_lshrrev_b32 v23, 30, v31
	v_ashrrev_i32_e32 v31, 31, v35
	v_add3_u32 v46, v46, v22, 0x4200
	s_delay_alu instid0(VALU_DEP_4) | instskip(NEXT) | instid1(VALU_DEP_4)
	v_and_b32_e32 v1, -4, v1
	v_dual_add_nc_u32 v73, v43, v49 :: v_dual_add_nc_u32 v23, v21, v23
	s_delay_alu instid0(VALU_DEP_4) | instskip(SKIP_2) | instid1(VALU_DEP_4)
	v_lshrrev_b32_e32 v31, 30, v31
	v_add3_u32 v20, v20, v22, 0x4200
	v_add3_u32 v15, v15, v30, 0x8300
	v_dual_lshlrev_b32 v36, 5, v102 :: v_dual_bitop2_b32 v23, -4, v23 bitop3:0x40
	s_delay_alu instid0(VALU_DEP_4) | instskip(SKIP_3) | instid1(VALU_DEP_4)
	v_dual_add_nc_u32 v31, v35, v31 :: v_dual_add_nc_u32 v75, v24, v48
	v_add3_u32 v1, v1, v30, 0x8300
	v_dual_lshlrev_b32 v24, 5, v18 :: v_dual_add_nc_u32 v77, v46, v19
	v_and_b32_e32 v19, 31, v0
	v_and_b32_e32 v31, -4, v31
	v_add3_u32 v23, v23, v30, 0x8300
	v_dual_add_nc_u32 v79, v20, v25 :: v_dual_add_nc_u32 v81, v15, v36
	v_dual_lshlrev_b32 v20, 5, v21 :: v_dual_lshlrev_b32 v15, 5, v35
	s_delay_alu instid0(VALU_DEP_4) | instskip(SKIP_3) | instid1(VALU_DEP_4)
	v_add3_u32 v25, v31, v30, 0x8300
	v_lshl_or_b32 v19, v19, 2, 0x6300
	v_dual_add_nc_u32 v83, v1, v24 :: v_dual_lshlrev_b32 v1, 7, v9
	v_dual_lshlrev_b32 v24, 7, v27 :: v_dual_lshlrev_b32 v31, 7, v28
	v_dual_add_nc_u32 v85, v23, v20 :: v_dual_add_nc_u32 v87, v25, v15
	v_add_nc_u32_e32 v15, 24, v9
	s_delay_alu instid0(VALU_DEP_3) | instskip(NEXT) | instid1(VALU_DEP_4)
	v_dual_add_nc_u32 v89, v19, v1 :: v_dual_add_nc_u32 v91, v19, v24
	v_dual_add_nc_u32 v93, v19, v31 :: v_dual_add_nc_u32 v20, 32, v9
	;; [unrolled: 1-line block ×3, first 2 shown]
	s_delay_alu instid0(VALU_DEP_4) | instskip(NEXT) | instid1(VALU_DEP_3)
	v_dual_add_nc_u32 v36, 56, v9 :: v_dual_lshlrev_b32 v1, 7, v15
	v_lshlrev_b32_e32 v23, 7, v20
	s_delay_alu instid0(VALU_DEP_3) | instskip(NEXT) | instid1(VALU_DEP_3)
	v_dual_lshlrev_b32 v31, 7, v24 :: v_dual_lshlrev_b32 v37, 7, v25
	v_dual_lshlrev_b32 v39, 7, v36 :: v_dual_add_nc_u32 v95, v19, v1
	v_bfe_u32 v1, v0, 2, 8
	s_delay_alu instid0(VALU_DEP_3) | instskip(NEXT) | instid1(VALU_DEP_4)
	v_dual_add_nc_u32 v99, v19, v31 :: v_dual_bitop2_b32 v0, 3, v0 bitop3:0x40
	v_dual_add_nc_u32 v97, v19, v23 :: v_dual_add_nc_u32 v101, v19, v37
	s_delay_alu instid0(VALU_DEP_3) | instskip(SKIP_1) | instid1(VALU_DEP_4)
	v_lshl_add_u32 v1, v9, 3, v1
	v_add_nc_u32_e32 v103, v19, v39
	v_add_nc_u16 v19, v0, -2
	v_cmp_gt_u32_e32 vcc_lo, 2, v0
	s_ashr_i32 s10, s4, 31
	v_dual_lshlrev_b32 v31, 2, v0 :: v_dual_bitop2_b32 v1, 63, v1 bitop3:0x40
	s_lshr_b32 s10, s10, 24
	v_cndmask_b32_e32 v19, v19, v0, vcc_lo
	s_ashr_i32 s11, s7, 31
	s_delay_alu instid0(VALU_DEP_2)
	v_or_b32_e32 v37, s13, v1
	s_add_co_i32 s4, s4, s10
	s_lshr_b32 s10, s11, 27
	v_mov_b32_e32 v23, 0
	v_lshl_or_b32 v39, v1, 4, v31
	v_and_b32_e32 v1, 0xff, v19
	v_min_i32_e32 v19, s16, v37
	s_ashr_i32 s15, s4, 8
	s_add_co_i32 s4, s7, s10
	s_delay_alu instid0(VALU_DEP_2)
	v_dual_lshlrev_b32 v40, 2, v11 :: v_dual_lshlrev_b32 v48, 2, v1
	s_ashr_i32 s4, s4, 5
	v_dual_mov_b32 v31, v23 :: v_dual_min_i32 v37, s5, v9
	v_mad_u32 v105, v19, s4, v0
	v_dual_mov_b32 v1, v23 :: v_dual_min_i32 v19, s5, v27
	v_dual_lshlrev_b32 v138, 5, v27 :: v_dual_min_i32 v42, s5, v28
	v_dual_lshlrev_b32 v139, 5, v28 :: v_dual_min_i32 v43, s5, v15
	;; [unrolled: 1-line block ×6, first 2 shown]
	v_add_min_i32_e64 v68, v9, 64, s5
	v_add_min_i32_e64 v70, 0x48, v9, s5
	;; [unrolled: 1-line block ×8, first 2 shown]
	v_cmp_lt_u32_e32 vcc_lo, 7, v110
	v_dual_mov_b32 v49, v23 :: v_dual_lshlrev_b32 v107, 1, v0
	v_and_b32_e32 v0, 28, v40
	v_mul_lo_u32 v134, s4, v12
	v_dual_lshlrev_b32 v12, 1, v11 :: v_dual_lshlrev_b32 v149, 6, v14
	v_mad_u32 v109, 0x84, v37, v40
	v_mad_u32 v111, 0x84, v19, v40
	;; [unrolled: 1-line block ×16, first 2 shown]
	v_mul_lo_u32 v130, s4, v4
	v_mul_lo_u32 v131, s4, v5
	;; [unrolled: 1-line block ×36, first 2 shown]
	v_dual_lshlrev_b32 v144, 5, v36 :: v_dual_lshrrev_b32 v4, 4, v17
	v_dual_lshrrev_b32 v2, 1, v17 :: v_dual_lshrrev_b32 v5, 1, v3
	v_dual_lshrrev_b32 v6, 4, v3 :: v_dual_lshlrev_b32 v147, 6, v3
	v_dual_lshlrev_b32 v148, 3, v3 :: v_dual_lshrrev_b32 v3, 1, v14
	v_lshrrev_b32_e32 v7, 4, v14
	v_cndmask_b32_e64 v110, 0, 1, vcc_lo
	v_cmp_lt_u32_e32 vcc_lo, 3, v112
	s_mul_i32 s10, s15, s14
	v_add_nc_u32_e32 v129, 0x97a0, v39
	v_dual_lshlrev_b32 v145, 6, v17 :: v_dual_lshlrev_b32 v146, 3, v17
	v_dual_lshlrev_b32 v150, 3, v14 :: v_dual_bitop2_b32 v152, 4, v12 bitop3:0x40
	s_wait_kmcnt 0x0
	v_add_nc_u64_e32 v[50:51], s[2:3], v[0:1]
	v_dual_lshlrev_b32 v151, 2, v26 :: v_dual_lshlrev_b32 v153, 2, v12
	v_mov_b64_e32 v[40:41], 0
	v_mov_b64_e32 v[32:33], 0
	;; [unrolled: 1-line block ×16, first 2 shown]
	s_ashr_i32 s11, s10, 31
	v_dual_lshlrev_b32 v154, 2, v2 :: v_dual_lshlrev_b32 v155, 2, v4
	v_dual_lshlrev_b32 v156, 2, v5 :: v_dual_lshlrev_b32 v157, 2, v6
	;; [unrolled: 1-line block ×4, first 2 shown]
	v_mul_u32_u24_e32 v161, 0x84, v11
	v_lshlrev_b32_e32 v162, 6, v11
	v_cndmask_b32_e64 v112, 0, 1, vcc_lo
	s_mul_u64 s[10:11], s[10:11], 0x6e
	s_mov_b32 s5, 0
	s_add_nc_u64 s[0:1], s[0:1], s[10:11]
	s_mov_b32 s4, s5
	s_branch .LBB130_6
.LBB130_5:                              ;   in Loop: Header=BB130_6 Depth=1
	s_add_co_i32 s4, s4, 2
	s_delay_alu instid0(SALU_CYCLE_1)
	s_cmp_ge_i32 s4, s15
	s_cbranch_scc1 .LBB130_14
.LBB130_6:                              ; =>This Loop Header: Depth=1
                                        ;     Child Loop BB130_8 Depth 2
                                        ;       Child Loop BB130_10 Depth 3
                                        ;       Child Loop BB130_12 Depth 3
	s_mul_u64 s[10:11], s[4:5], 0x6e
	s_lshl_b32 s7, s4, 3
	s_add_nc_u64 s[10:11], s[0:1], s[10:11]
	v_add_nc_u32_e32 v164, s7, v105
	v_mad_nc_u64_u32 v[0:1], 0x6e, v8, s[10:11]
	s_delay_alu instid0(VALU_DEP_1) | instskip(NEXT) | instid1(VALU_DEP_1)
	v_mad_nc_i64_i32 v[2:3], 0x6e, v52, v[0:1]
	v_add_nc_u64_e32 v[2:3], v[2:3], v[22:23]
	global_load_b32 v2, v[2:3], off offset:32
	s_wait_loadcnt 0x0
	ds_store_b32 v109, v2
	s_wait_xcnt 0x0
	v_mad_nc_i64_i32 v[2:3], 0x6e, v54, v[0:1]
	s_delay_alu instid0(VALU_DEP_1)
	v_add_nc_u64_e32 v[2:3], v[2:3], v[22:23]
	global_load_b32 v2, v[2:3], off offset:32
	s_wait_loadcnt 0x0
	ds_store_b32 v111, v2
	s_wait_xcnt 0x0
	v_mad_nc_i64_i32 v[2:3], 0x6e, v56, v[0:1]
	s_delay_alu instid0(VALU_DEP_1)
	;; [unrolled: 7-line block ×13, first 2 shown]
	v_add_nc_u64_e32 v[2:3], v[2:3], v[22:23]
	global_load_b32 v2, v[2:3], off offset:32
	s_wait_loadcnt 0x0
	ds_store_b32 v126, v2
	s_wait_xcnt 0x0
	v_mad_nc_i64_i32 v[2:3], 0x6e, v80, v[0:1]
	v_mad_nc_i64_i32 v[0:1], 0x6e, v82, v[0:1]
	s_delay_alu instid0(VALU_DEP_2) | instskip(NEXT) | instid1(VALU_DEP_2)
	v_add_nc_u64_e32 v[2:3], v[2:3], v[22:23]
	v_add_nc_u64_e32 v[0:1], v[0:1], v[22:23]
	s_clause 0x1
	global_load_b32 v2, v[2:3], off offset:32
	global_load_b32 v0, v[0:1], off offset:32
	s_wait_loadcnt 0x1
	ds_store_b32 v127, v2
	s_wait_loadcnt 0x0
	ds_store_b32 v128, v0
	s_wait_xcnt 0x0
	v_mad_nc_i64_i32 v[0:1], 0x6e, v84, s[10:11]
	s_delay_alu instid0(VALU_DEP_1)
	v_mad_nc_u64_u32 v[0:1], 0x6e, v10, v[0:1]
	global_load_u16 v0, v[0:1], off offset:108
	s_wait_loadcnt 0x0
	s_wait_xcnt 0x0
	v_cvt_f32_f16_e32 v0, v0
	ds_store_b32 v63, v0
	v_mad_nc_u64_u32 v[0:1], 0x6e, v110, s[10:11]
	s_delay_alu instid0(VALU_DEP_1) | instskip(NEXT) | instid1(VALU_DEP_1)
	v_add_nc_u64_e32 v[0:1], v[0:1], v[30:31]
	v_mad_nc_i64_i32 v[2:3], 0x6e, v86, v[0:1]
	global_load_b32 v2, v[2:3], off
	s_wait_loadcnt 0x0
	s_wait_xcnt 0x0
	v_not_b32_e32 v2, v2
	ds_store_b32 v65, v2
	v_mad_nc_i64_i32 v[2:3], 0x6e, v88, v[0:1]
	global_load_b32 v2, v[2:3], off
	s_wait_loadcnt 0x0
	s_wait_xcnt 0x0
	v_not_b32_e32 v2, v2
	ds_store_b32 v67, v2
	;; [unrolled: 6-line block ×6, first 2 shown]
	v_mad_nc_i64_i32 v[2:3], 0x6e, v98, v[0:1]
	v_mad_nc_i64_i32 v[0:1], 0x6e, v100, v[0:1]
	s_clause 0x1
	global_load_b32 v2, v[2:3], off
	global_load_b32 v0, v[0:1], off
	s_wait_loadcnt 0x1
	s_wait_xcnt 0x1
	v_not_b32_e32 v2, v2
	s_wait_loadcnt 0x0
	s_wait_xcnt 0x0
	v_not_b32_e32 v0, v0
	ds_store_b32 v77, v2
	ds_store_b32 v79, v0
	v_mad_nc_u64_u32 v[0:1], 0x6e, v112, s[10:11]
	s_mov_b32 s10, 0
	s_delay_alu instid0(VALU_DEP_1) | instskip(NEXT) | instid1(VALU_DEP_1)
	v_mad_nc_i64_i32 v[2:3], 0x6e, v102, v[0:1]
	v_add_nc_u64_e32 v[4:5], v[2:3], v[48:49]
	s_clause 0x1
	global_load_b32 v2, v[2:3], off offset:104
	global_load_b32 v4, v[4:5], off offset:96
	s_wait_loadcnt 0x1
	s_wait_xcnt 0x1
	v_ashrrev_i32_e32 v2, v107, v2
	s_wait_loadcnt 0x0
	s_wait_xcnt 0x0
	s_delay_alu instid0(VALU_DEP_1) | instskip(NEXT) | instid1(VALU_DEP_1)
	v_dual_lshlrev_b32 v2, 4, v2 :: v_dual_ashrrev_i32 v4, v152, v4
	v_and_b32_e32 v4, 0xf0f0f0f, v4
	s_delay_alu instid0(VALU_DEP_1) | instskip(NEXT) | instid1(VALU_DEP_1)
	v_and_or_b32 v2, 0x30303030, v2, v4
	v_lshlrev_b16 v4, 8, v2
	v_lshrrev_b32_e32 v3, 16, v2
	s_delay_alu instid0(VALU_DEP_2) | instskip(NEXT) | instid1(VALU_DEP_1)
	v_add_nc_u16 v4, 0xe000, v4
	v_lshrrev_b16 v4, 8, v4
	s_delay_alu instid0(VALU_DEP_1) | instskip(NEXT) | instid1(VALU_DEP_4)
	v_bitop3_b16 v2, v2, v4, 0x3f00 bitop3:0xec
	v_lshlrev_b16 v4, 8, v3
	s_delay_alu instid0(VALU_DEP_2) | instskip(NEXT) | instid1(VALU_DEP_2)
	v_add_nc_u16 v2, 0xe000, v2
	v_add_nc_u16 v4, 0xe000, v4
	s_delay_alu instid0(VALU_DEP_2) | instskip(NEXT) | instid1(VALU_DEP_2)
	v_and_b32_e32 v2, 0xffff, v2
	v_lshrrev_b16 v4, 8, v4
	s_delay_alu instid0(VALU_DEP_1) | instskip(NEXT) | instid1(VALU_DEP_1)
	v_bitop3_b16 v3, v3, v4, 0x3f00 bitop3:0xec
	v_add_nc_u16 v3, 0xe000, v3
	s_delay_alu instid0(VALU_DEP_1) | instskip(NEXT) | instid1(VALU_DEP_1)
	v_lshlrev_b32_e32 v3, 16, v3
	v_or_b32_e32 v2, v2, v3
	ds_store_b32 v81, v2
	v_mad_nc_i64_i32 v[2:3], 0x6e, v104, v[0:1]
	s_delay_alu instid0(VALU_DEP_1)
	v_add_nc_u64_e32 v[4:5], v[2:3], v[48:49]
	s_clause 0x1
	global_load_b32 v2, v[2:3], off offset:104
	global_load_b32 v4, v[4:5], off offset:96
	s_wait_loadcnt 0x1
	s_wait_xcnt 0x1
	v_ashrrev_i32_e32 v2, v107, v2
	s_wait_loadcnt 0x0
	s_wait_xcnt 0x0
	s_delay_alu instid0(VALU_DEP_1) | instskip(NEXT) | instid1(VALU_DEP_1)
	v_dual_lshlrev_b32 v2, 4, v2 :: v_dual_ashrrev_i32 v4, v152, v4
	v_and_b32_e32 v4, 0xf0f0f0f, v4
	s_delay_alu instid0(VALU_DEP_1) | instskip(NEXT) | instid1(VALU_DEP_1)
	v_and_or_b32 v2, 0x30303030, v2, v4
	v_lshlrev_b16 v4, 8, v2
	v_lshrrev_b32_e32 v3, 16, v2
	s_delay_alu instid0(VALU_DEP_2) | instskip(NEXT) | instid1(VALU_DEP_1)
	v_add_nc_u16 v4, 0xe000, v4
	v_lshrrev_b16 v4, 8, v4
	s_delay_alu instid0(VALU_DEP_1) | instskip(NEXT) | instid1(VALU_DEP_4)
	v_bitop3_b16 v2, v2, v4, 0x3f00 bitop3:0xec
	v_lshlrev_b16 v4, 8, v3
	s_delay_alu instid0(VALU_DEP_2) | instskip(NEXT) | instid1(VALU_DEP_2)
	v_add_nc_u16 v2, 0xe000, v2
	v_add_nc_u16 v4, 0xe000, v4
	s_delay_alu instid0(VALU_DEP_2) | instskip(NEXT) | instid1(VALU_DEP_2)
	v_and_b32_e32 v2, 0xffff, v2
	v_lshrrev_b16 v4, 8, v4
	s_delay_alu instid0(VALU_DEP_1) | instskip(NEXT) | instid1(VALU_DEP_1)
	v_bitop3_b16 v3, v3, v4, 0x3f00 bitop3:0xec
	v_add_nc_u16 v3, 0xe000, v3
	s_delay_alu instid0(VALU_DEP_1) | instskip(NEXT) | instid1(VALU_DEP_1)
	v_lshlrev_b32_e32 v3, 16, v3
	v_or_b32_e32 v2, v2, v3
	ds_store_b32 v83, v2
	v_mad_nc_i64_i32 v[2:3], 0x6e, v106, v[0:1]
	v_mad_nc_i64_i32 v[0:1], 0x6e, v108, v[0:1]
	s_delay_alu instid0(VALU_DEP_2)
	v_add_nc_u64_e32 v[4:5], v[2:3], v[48:49]
	s_clause 0x1
	global_load_b32 v2, v[2:3], off offset:104
	global_load_b32 v4, v[4:5], off offset:96
	s_wait_loadcnt 0x1
	s_wait_xcnt 0x1
	v_ashrrev_i32_e32 v2, v107, v2
	s_wait_loadcnt 0x0
	s_wait_xcnt 0x0
	s_delay_alu instid0(VALU_DEP_1) | instskip(NEXT) | instid1(VALU_DEP_1)
	v_dual_lshlrev_b32 v2, 4, v2 :: v_dual_ashrrev_i32 v4, v152, v4
	v_and_b32_e32 v4, 0xf0f0f0f, v4
	s_delay_alu instid0(VALU_DEP_1) | instskip(NEXT) | instid1(VALU_DEP_1)
	v_and_or_b32 v2, 0x30303030, v2, v4
	v_lshlrev_b16 v4, 8, v2
	v_lshrrev_b32_e32 v3, 16, v2
	s_delay_alu instid0(VALU_DEP_2) | instskip(NEXT) | instid1(VALU_DEP_1)
	v_add_nc_u16 v4, 0xe000, v4
	v_lshrrev_b16 v4, 8, v4
	s_delay_alu instid0(VALU_DEP_1) | instskip(NEXT) | instid1(VALU_DEP_4)
	v_bitop3_b16 v2, v2, v4, 0x3f00 bitop3:0xec
	v_lshlrev_b16 v4, 8, v3
	s_delay_alu instid0(VALU_DEP_2) | instskip(NEXT) | instid1(VALU_DEP_2)
	v_add_nc_u16 v2, 0xe000, v2
	v_add_nc_u16 v4, 0xe000, v4
	s_delay_alu instid0(VALU_DEP_2) | instskip(NEXT) | instid1(VALU_DEP_2)
	v_and_b32_e32 v2, 0xffff, v2
	v_lshrrev_b16 v4, 8, v4
	s_delay_alu instid0(VALU_DEP_1) | instskip(NEXT) | instid1(VALU_DEP_1)
	v_bitop3_b16 v3, v3, v4, 0x3f00 bitop3:0xec
	v_add_nc_u16 v3, 0xe000, v3
	s_delay_alu instid0(VALU_DEP_1) | instskip(NEXT) | instid1(VALU_DEP_1)
	v_lshlrev_b32_e32 v3, 16, v3
	v_or_b32_e32 v2, v2, v3
	ds_store_b32 v85, v2
	v_add_nc_u64_e32 v[2:3], v[0:1], v[48:49]
	s_clause 0x1
	global_load_b32 v0, v[0:1], off offset:104
	global_load_b32 v2, v[2:3], off offset:96
	s_wait_loadcnt 0x1
	s_wait_xcnt 0x1
	v_ashrrev_i32_e32 v0, v107, v0
	s_wait_loadcnt 0x0
	s_wait_xcnt 0x0
	s_delay_alu instid0(VALU_DEP_1) | instskip(NEXT) | instid1(VALU_DEP_1)
	v_dual_lshlrev_b32 v0, 4, v0 :: v_dual_ashrrev_i32 v2, v152, v2
	v_and_b32_e32 v2, 0xf0f0f0f, v2
	s_delay_alu instid0(VALU_DEP_1) | instskip(NEXT) | instid1(VALU_DEP_1)
	v_and_or_b32 v0, 0x30303030, v0, v2
	v_lshlrev_b16 v2, 8, v0
	v_lshrrev_b32_e32 v1, 16, v0
	s_delay_alu instid0(VALU_DEP_2) | instskip(NEXT) | instid1(VALU_DEP_1)
	v_add_nc_u16 v2, 0xe000, v2
	v_lshrrev_b16 v2, 8, v2
	s_delay_alu instid0(VALU_DEP_1) | instskip(NEXT) | instid1(VALU_DEP_4)
	v_bitop3_b16 v0, v0, v2, 0x3f00 bitop3:0xec
	v_lshlrev_b16 v2, 8, v1
	s_delay_alu instid0(VALU_DEP_2) | instskip(NEXT) | instid1(VALU_DEP_2)
	v_add_nc_u16 v0, 0xe000, v0
	v_add_nc_u16 v2, 0xe000, v2
	s_delay_alu instid0(VALU_DEP_2) | instskip(NEXT) | instid1(VALU_DEP_2)
	v_and_b32_e32 v0, 0xffff, v0
	v_lshrrev_b16 v2, 8, v2
	s_delay_alu instid0(VALU_DEP_1) | instskip(NEXT) | instid1(VALU_DEP_1)
	v_bitop3_b16 v1, v1, v2, 0x3f00 bitop3:0xec
	v_add_nc_u16 v1, 0xe000, v1
	s_delay_alu instid0(VALU_DEP_1) | instskip(NEXT) | instid1(VALU_DEP_1)
	v_lshlrev_b32_e32 v1, 16, v1
	v_or_b32_e32 v0, v0, v1
	ds_store_b32 v87, v0
	s_branch .LBB130_8
.LBB130_7:                              ;   in Loop: Header=BB130_8 Depth=2
                                        ; implicit-def: $sgpr10
	s_and_b32 vcc_lo, exec_lo, s11
	s_cbranch_vccnz .LBB130_5
.LBB130_8:                              ;   Parent Loop BB130_6 Depth=1
                                        ; =>  This Loop Header: Depth=2
                                        ;       Child Loop BB130_10 Depth 3
                                        ;       Child Loop BB130_12 Depth 3
	s_lshr_b32 s11, s10, 1
	s_delay_alu instid0(SALU_CYCLE_1) | instskip(NEXT) | instid1(SALU_CYCLE_1)
	s_or_b32 s11, s11, s4
	s_cmp_lt_i32 s11, s15
	s_mov_b32 s11, -1
	s_cbranch_scc0 .LBB130_7
; %bb.9:                                ;   in Loop: Header=BB130_8 Depth=2
	v_lshl_add_u32 v0, s10, 5, v11
	v_lshl_add_u32 v1, s10, 2, v164
	s_or_b32 s16, s10, 1
	s_lshl_b32 s17, s10, 3
	s_lshl_b32 s11, s16, 3
	v_lshrrev_b32_e32 v0, 3, v0
	s_delay_alu instid0(VALU_DEP_1) | instskip(SKIP_1) | instid1(VALU_DEP_2)
	v_add_nc_u32_e32 v2, s7, v0
	v_mad_nc_u64_u32 v[0:1], v1, 36, s[2:3]
	v_dual_add_nc_u32 v3, v2, v137 :: v_dual_add_nc_u32 v168, v2, v134
	v_dual_add_nc_u32 v4, v2, v130 :: v_dual_add_nc_u32 v6, v2, v131
	;; [unrolled: 1-line block ×4, first 2 shown]
	s_delay_alu instid0(VALU_DEP_4) | instskip(NEXT) | instid1(VALU_DEP_4)
	v_mad_nc_i64_i32 v[2:3], v3, 36, v[50:51]
	v_mad_nc_i64_i32 v[4:5], v4, 36, v[50:51]
	;; [unrolled: 1-line block ×8, first 2 shown]
	s_clause 0x8
	global_load_b32 v165, v[0:1], off
	global_load_b32 v174, v[2:3], off offset:4
	global_load_b32 v175, v[4:5], off offset:4
	;; [unrolled: 1-line block ×8, first 2 shown]
	s_wait_loadcnt 0x8
	s_wait_xcnt 0x8
	v_cvt_f32_f16_e64 v0, v165
	s_wait_loadcnt 0x7
	ds_store_b32 v103, v174
	s_wait_loadcnt 0x6
	ds_store_b32 v89, v175
	s_wait_loadcnt 0x5
	ds_store_b32 v91, v176
	s_wait_loadcnt 0x4
	ds_store_b32 v93, v177
	s_wait_loadcnt 0x3
	ds_store_b32 v95, v178
	s_wait_loadcnt 0x2
	ds_store_b32 v97, v179
	s_wait_loadcnt 0x1
	ds_store_b32 v99, v180
	s_wait_loadcnt 0x0
	ds_store_b32 v101, v181
	ds_store_b32 v129, v0
	s_wait_dscnt 0x0
	s_barrier_signal -1
	s_barrier_wait -1
.LBB130_10:                             ;   Parent Loop BB130_6 Depth=1
                                        ;     Parent Loop BB130_8 Depth=2
                                        ; =>    This Inner Loop Header: Depth=3
	s_lshl_b32 s18, s17, 2
	s_and_b32 s20, s17, 6
	s_and_b32 s18, s18, 24
	;; [unrolled: 1-line block ×3, first 2 shown]
	v_or_b32_e32 v0, s18, v160
	v_lshl_add_u32 v237, s22, 2, v161
	s_lshr_b32 s21, s17, 4
	s_bfe_u32 s19, s17, 0x30001
	s_lshl_b32 s23, s21, 2
	v_dual_lshlrev_b32 v4, 2, v0 :: v_dual_lshrrev_b32 v0, 1, v0
	s_lshl_b32 s21, s21, 5
	s_and_b32 s22, s17, -2
	s_addk_co_i32 s21, 0x4200
	ds_load_b32 v115, v0 offset:38816
	ds_load_b128 v[0:3], v4 offset:25344
	ds_load_b128 v[4:7], v4 offset:25360
	ds_load_2addr_b32 v[166:167], v237 offset1:1
	v_add3_u32 v172, s21, v151, v162
	s_add_co_i32 s23, s23, 0x9380
	s_add_co_i32 s17, s17, 2
	s_set_vgpr_msb 64                       ;  msbs: dst=1 src0=0 src1=0 src2=0
	v_add_nc_u32_e32 v46 /*v302*/, s22, v61
	s_cmp_lt_u32 s17, s11
	s_set_vgpr_msb 0                        ;  msbs: dst=0 src0=0 src1=0 src2=0
	ds_load_2addr_b32 v[168:169], v172 offset1:1
	s_wait_dscnt 0x3
	v_bfe_i32 v224, v0, 0, 8
	v_bfe_i32 v225, v0, 8, 8
	s_wait_dscnt 0x1
	v_ashrrev_i32_e32 v165, s20, v166
	v_bfe_i32 v208, v3, 8, 8
	v_perm_b32 v245, v0, v0, 0xc0c0302
	v_bfe_i32 v222, v1, 0, 8
	v_bfe_i32 v218, v2, 0, 8
	v_and_b32_e32 v166, 0x3030303, v165
	s_wait_dscnt 0x0
	v_ashrrev_i32_e32 v168, s19, v168
	v_bfe_u32 v165, v165, 24, 2
	v_ashrrev_i32_e32 v169, s19, v169
	v_bfe_i32 v206, v2, 8, 8
	s_delay_alu instid0(VALU_DEP_4) | instskip(SKIP_1) | instid1(VALU_DEP_4)
	v_dual_lshrrev_b32 v171, 16, v166 :: v_dual_lshlrev_b32 v168, 2, v168
	v_lshrrev_b16 v170, 8, v166
	v_lshlrev_b32_e32 v169, 2, v169
	v_perm_b32 v209, v1, v1, 0xc030201
	v_bfe_i32 v207, v3, 0, 8
	v_and_b32_e32 v168, 0x4040404, v168
	v_perm_b32 v210, v2, v2, 0xc0c0302
	v_and_b32_e32 v169, 0x4040404, v169
	v_bfe_i32 v219, v4, 0, 8
	v_bfe_i32 v220, v4, 8, 8
	v_dual_lshrrev_b32 v174, 24, v168 :: v_dual_lshrrev_b32 v175, 16, v168
	v_lshrrev_b16 v173, 8, v168
	v_dual_lshrrev_b32 v176, 24, v169 :: v_dual_lshrrev_b32 v177, 16, v169
	s_delay_alu instid0(VALU_DEP_3) | instskip(NEXT) | instid1(VALU_DEP_4)
	v_sub_nc_u16 v165, v165, v174
	v_sub_nc_u16 v171, v171, v175
	v_lshrrev_b16 v175, 8, v169
	v_perm_b32 v211, v3, v3, 0xc0c0302
	v_bfe_i32 v217, v7, 8, 8
	v_lshlrev_b16 v165, 8, v165
	v_perm_b32 v246, v4, v4, 0xc0c0302
	v_bfe_i32 v215, v5, 0, 8
	v_bfe_i32 v114, v6, 0, 8
	;; [unrolled: 1-line block ×3, first 2 shown]
	v_bitop3_b16 v174, v171, v165, 0xff bitop3:0xec
	v_sub_nc_u16 v165, v170, v173
	v_sub_nc_u16 v173, v166, v168
	v_perm_b32 v221, v5, v5, 0xc030201
	v_bfe_i32 v199, v7, 0, 8
	v_perm_b32 v232, v6, v6, 0xc0c0302
	v_lshlrev_b16 v170, 8, v165
	v_ashrrev_i32_e32 v165, s20, v167
	v_perm_b32 v233, v7, v7, 0xc0c0302
	v_bfe_i32 v223, v1, 8, 8
	v_perm_b32 v1, v1, v1, 0xc0c0302
	v_bfe_i32 v216, v5, 8, 8
	v_and_b32_e32 v166, 0x3030303, v165
	v_bfe_u32 v165, v165, 24, 2
	v_perm_b32 v5, v5, v5, 0xc0c0302
	v_perm_b32 v6, v6, v6, 0xc030201
	;; [unrolled: 1-line block ×3, first 2 shown]
	v_lshrrev_b32_e32 v168, 16, v166
	v_sub_nc_u16 v165, v165, v176
	v_lshrrev_b16 v167, 8, v166
	v_sub_nc_u16 v178, v166, v169
	v_perm_b32 v2, v2, v2, 0xc030201
	v_sub_nc_u16 v177, v168, v177
	v_lshlrev_b16 v165, 8, v165
	ds_load_2addr_b32 v[168:169], v172 offset0:2 offset1:3
	v_bitop3_b16 v176, v177, v165, 0xff bitop3:0xec
	v_sub_nc_u16 v165, v167, v175
	ds_load_2addr_b32 v[166:167], v237 offset0:2 offset1:3
	v_lshlrev_b16 v175, 8, v165
	s_delay_alu instid0(VALU_DEP_1) | instskip(SKIP_3) | instid1(VALU_DEP_1)
	v_perm_b32 v175, v175, v175, 0xc0c0c01
	s_wait_dscnt 0x1
	v_dual_ashrrev_i32 v168, s19, v168 :: v_dual_ashrrev_i32 v169, s19, v169
	s_wait_dscnt 0x0
	v_dual_lshlrev_b32 v168, 2, v168 :: v_dual_ashrrev_i32 v165, s20, v166
	s_delay_alu instid0(VALU_DEP_2) | instskip(NEXT) | instid1(VALU_DEP_2)
	v_lshlrev_b32_e32 v169, 2, v169
	v_and_b32_e32 v168, 0x4040404, v168
	s_delay_alu instid0(VALU_DEP_3) | instskip(SKIP_1) | instid1(VALU_DEP_4)
	v_and_b32_e32 v166, 0x3030303, v165
	v_bfe_u32 v165, v165, 24, 2
	v_and_b32_e32 v169, 0x4040404, v169
	s_delay_alu instid0(VALU_DEP_4) | instskip(NEXT) | instid1(VALU_DEP_4)
	v_dual_lshrrev_b32 v182, 24, v168 :: v_dual_lshrrev_b32 v183, 16, v168
	v_lshrrev_b32_e32 v180, 16, v166
	v_lshrrev_b16 v179, 8, v166
	v_lshrrev_b16 v181, 8, v168
	s_delay_alu instid0(VALU_DEP_4) | instskip(SKIP_3) | instid1(VALU_DEP_4)
	v_sub_nc_u16 v165, v165, v182
	v_lshrrev_b32_e32 v182, 16, v169
	v_sub_nc_u16 v226, v180, v183
	v_sub_nc_u16 v180, v166, v168
	v_lshlrev_b16 v165, 8, v165
	s_delay_alu instid0(VALU_DEP_1) | instskip(SKIP_3) | instid1(VALU_DEP_3)
	v_bitop3_b16 v227, v226, v165, 0xff bitop3:0xec
	v_sub_nc_u16 v165, v179, v181
	v_lshrrev_b32_e32 v181, 24, v169
	v_lshrrev_b16 v179, 8, v169
	v_lshlrev_b16 v228, 8, v165
	v_ashrrev_i32_e32 v165, s20, v167
	s_delay_alu instid0(VALU_DEP_1) | instskip(SKIP_1) | instid1(VALU_DEP_2)
	v_and_b32_e32 v166, 0x3030303, v165
	v_bfe_u32 v165, v165, 24, 2
	v_lshrrev_b32_e32 v168, 16, v166
	s_delay_alu instid0(VALU_DEP_2) | instskip(SKIP_2) | instid1(VALU_DEP_4)
	v_sub_nc_u16 v165, v165, v181
	v_lshrrev_b16 v167, 8, v166
	v_sub_nc_u16 v181, v166, v169
	v_sub_nc_u16 v229, v168, v182
	s_delay_alu instid0(VALU_DEP_4)
	v_lshlrev_b16 v165, 8, v165
	ds_load_2addr_b32 v[168:169], v172 offset0:4 offset1:5
	v_bitop3_b16 v230, v229, v165, 0xff bitop3:0xec
	v_sub_nc_u16 v165, v167, v179
	ds_load_2addr_b32 v[166:167], v237 offset0:4 offset1:5
	v_lshlrev_b16 v231, 8, v165
	s_wait_dscnt 0x1
	v_dual_ashrrev_i32 v168, s19, v168 :: v_dual_ashrrev_i32 v169, s19, v169
	s_wait_dscnt 0x0
	s_delay_alu instid0(VALU_DEP_1) | instskip(NEXT) | instid1(VALU_DEP_2)
	v_dual_lshlrev_b32 v168, 2, v168 :: v_dual_ashrrev_i32 v165, s20, v166
	v_lshlrev_b32_e32 v169, 2, v169
	s_delay_alu instid0(VALU_DEP_2) | instskip(NEXT) | instid1(VALU_DEP_3)
	v_and_b32_e32 v168, 0x4040404, v168
	v_and_b32_e32 v166, 0x3030303, v165
	v_bfe_u32 v165, v165, 24, 2
	s_delay_alu instid0(VALU_DEP_4) | instskip(NEXT) | instid1(VALU_DEP_4)
	v_and_b32_e32 v169, 0x4040404, v169
	v_dual_lshrrev_b32 v184, 24, v168 :: v_dual_lshrrev_b32 v185, 16, v168
	s_delay_alu instid0(VALU_DEP_4) | instskip(SKIP_2) | instid1(VALU_DEP_4)
	v_lshrrev_b32_e32 v182, 16, v166
	v_lshrrev_b16 v179, 8, v166
	v_lshrrev_b16 v183, 8, v168
	v_sub_nc_u16 v165, v165, v184
	v_dual_lshrrev_b32 v186, 24, v169 :: v_dual_lshrrev_b32 v187, 16, v169
	v_sub_nc_u16 v182, v182, v185
	v_lshrrev_b16 v185, 8, v169
	s_delay_alu instid0(VALU_DEP_4) | instskip(NEXT) | instid1(VALU_DEP_1)
	v_lshlrev_b16 v165, 8, v165
	v_bitop3_b16 v184, v182, v165, 0xff bitop3:0xec
	v_sub_nc_u16 v165, v179, v183
	v_sub_nc_u16 v183, v166, v168
	s_delay_alu instid0(VALU_DEP_2) | instskip(SKIP_1) | instid1(VALU_DEP_1)
	v_lshlrev_b16 v179, 8, v165
	v_ashrrev_i32_e32 v165, s20, v167
	v_and_b32_e32 v166, 0x3030303, v165
	v_bfe_u32 v165, v165, 24, 2
	s_delay_alu instid0(VALU_DEP_2) | instskip(NEXT) | instid1(VALU_DEP_2)
	v_lshrrev_b32_e32 v168, 16, v166
	v_sub_nc_u16 v165, v165, v186
	v_lshrrev_b16 v167, 8, v166
	v_sub_nc_u16 v188, v166, v169
	s_delay_alu instid0(VALU_DEP_4) | instskip(NEXT) | instid1(VALU_DEP_4)
	v_sub_nc_u16 v187, v168, v187
	v_lshlrev_b16 v165, 8, v165
	ds_load_2addr_b32 v[168:169], v172 offset0:6 offset1:7
	v_bitop3_b16 v186, v187, v165, 0xff bitop3:0xec
	v_sub_nc_u16 v165, v167, v185
	ds_load_2addr_b32 v[166:167], v237 offset0:6 offset1:7
	v_lshlrev_b16 v185, 8, v165
	s_delay_alu instid0(VALU_DEP_1) | instskip(SKIP_3) | instid1(VALU_DEP_1)
	v_perm_b32 v185, v185, v185, 0xc0c0c01
	s_wait_dscnt 0x1
	v_dual_ashrrev_i32 v168, s19, v168 :: v_dual_ashrrev_i32 v169, s19, v169
	s_wait_dscnt 0x0
	v_dual_lshlrev_b32 v168, 2, v168 :: v_dual_ashrrev_i32 v165, s20, v166
	s_delay_alu instid0(VALU_DEP_2) | instskip(NEXT) | instid1(VALU_DEP_2)
	v_lshlrev_b32_e32 v169, 2, v169
	v_and_b32_e32 v168, 0x4040404, v168
	s_delay_alu instid0(VALU_DEP_3) | instskip(SKIP_1) | instid1(VALU_DEP_4)
	v_and_b32_e32 v166, 0x3030303, v165
	v_bfe_u32 v165, v165, 24, 2
	v_and_b32_e32 v169, 0x4040404, v169
	s_delay_alu instid0(VALU_DEP_4) | instskip(NEXT) | instid1(VALU_DEP_4)
	v_dual_lshrrev_b32 v191, 24, v168 :: v_dual_lshrrev_b32 v192, 16, v168
	v_lshrrev_b32_e32 v190, 16, v166
	v_lshrrev_b16 v189, 8, v166
	v_lshrrev_b16 v172, 8, v168
	s_delay_alu instid0(VALU_DEP_4) | instskip(SKIP_3) | instid1(VALU_DEP_4)
	v_sub_nc_u16 v165, v165, v191
	v_lshrrev_b32_e32 v191, 16, v169
	v_sub_nc_u16 v239, v190, v192
	v_sub_nc_u16 v190, v166, v168
	v_lshlrev_b16 v165, 8, v165
	s_delay_alu instid0(VALU_DEP_1) | instskip(SKIP_3) | instid1(VALU_DEP_3)
	v_bitop3_b16 v240, v239, v165, 0xff bitop3:0xec
	v_sub_nc_u16 v165, v189, v172
	v_lshrrev_b32_e32 v189, 24, v169
	v_lshrrev_b16 v172, 8, v169
	v_lshlrev_b16 v241, 8, v165
	v_ashrrev_i32_e32 v165, s20, v167
	s_delay_alu instid0(VALU_DEP_1) | instskip(SKIP_1) | instid1(VALU_DEP_2)
	v_and_b32_e32 v166, 0x3030303, v165
	v_bfe_u32 v165, v165, 24, 2
	v_lshrrev_b32_e32 v168, 16, v166
	s_delay_alu instid0(VALU_DEP_2)
	v_sub_nc_u16 v165, v165, v189
	v_lshrrev_b16 v167, 8, v166
	v_sub_nc_u16 v189, v166, v169
	v_bfe_i32 v166, v173, 0, 8
	v_sub_nc_u16 v242, v168, v191
	v_lshlrev_b16 v165, 8, v165
	v_add_nc_u32_e32 v191, s22, v55
	s_delay_alu instid0(VALU_DEP_4) | instskip(NEXT) | instid1(VALU_DEP_3)
	v_mul_i32_i24_e32 v168, v166, v224
	v_bitop3_b16 v243, v242, v165, 0xff bitop3:0xec
	v_sub_nc_u16 v165, v167, v172
	v_bfe_i32 v167, v170, 8, 8
	v_bfe_i32 v172, v231, 8, 8
	;; [unrolled: 1-line block ×3, first 2 shown]
	s_delay_alu instid0(VALU_DEP_4) | instskip(NEXT) | instid1(VALU_DEP_4)
	v_lshlrev_b16 v244, 8, v165
	v_mad_i32_i24 v169, v167, v225, v168
	v_perm_b32 v168, v174, v171, 0xc0c0500
	v_add3_u32 v165, s23, v163, v153
	v_bfe_i32 v171, v228, 8, 8
	s_delay_alu instid0(VALU_DEP_3)
	v_dot4_i32_iu8 v0, v168, v245, v169 neg_lo:[1,1,0]
	v_bfe_i32 v169, v180, 0, 8
	v_mul_i32_i24_e32 v180, v208, v172
	v_perm_b32 v172, v176, v177, 0xc05000c
	ds_load_b32 v165, v165
	v_mad_i32_i24 v0, v170, v222, v0
	v_mul_i32_i24_e32 v173, v218, v169
	v_mul_i32_i24_e32 v174, v206, v171
	v_or_b32_e32 v172, v172, v175
	v_bfe_i32 v171, v181, 0, 8
	v_bfe_i32 v175, v179, 8, 8
	;; [unrolled: 1-line block ×3, first 2 shown]
	s_delay_alu instid0(VALU_DEP_4) | instskip(NEXT) | instid1(VALU_DEP_4)
	v_dot4_i32_iu8 v0, v172, v209, v0 neg_lo:[1,1,0]
	v_mul_i32_i24_e32 v178, v207, v171
	s_delay_alu instid0(VALU_DEP_2)
	v_add3_u32 v0, v0, v173, v174
	v_perm_b32 v173, v227, v226, 0xc0c0500
	v_bfe_i32 v174, v183, 0, 8
	v_mul_i32_i24_e32 v183, v214, v179
	v_bfe_i32 v179, v189, 0, 8
	v_perm_b32 v226, v227, v226, 0xc05000c
	v_dot4_i32_iu8 v0, v210, v173, v0 neg_lo:[1,1,0]
	v_mul_i32_i24_e32 v176, v174, v219
	v_perm_b32 v173, v230, v229, 0xc0c0500
	v_perm_b32 v227, v228, v228, 0xc0c0c01
	s_delay_alu instid0(VALU_DEP_4) | instskip(NEXT) | instid1(VALU_DEP_4)
	v_add3_u32 v0, v0, v178, v180
	v_mad_i32_i24 v177, v175, v220, v176
	v_perm_b32 v176, v184, v182, 0xc0c0500
	v_bfe_i32 v180, v244, 8, 8
	v_bfe_i32 v178, v188, 0, 8
	v_dot4_i32_iu8 v0, v211, v173, v0 neg_lo:[1,1,0]
	ds_load_u16 v173, v191
	v_dot4_i32_iu8 v4, v176, v246, v177 neg_lo:[1,1,0]
	v_mul_i32_i24_e32 v188, v217, v180
	v_perm_b32 v180, v186, v187, 0xc05000c
	v_bfe_i32 v177, v190, 0, 8
	v_mul_i32_i24_e32 v184, v199, v179
	v_mad_i32_i24 v4, v178, v215, v4
	v_or_b32_e32 v228, v226, v227
	v_or_b32_e32 v180, v180, v185
	v_mul_i32_i24_e32 v182, v114, v177
	v_perm_b32 v227, v230, v229, 0xc05000c
	v_perm_b32 v229, v231, v231, 0xc0c0c01
	s_delay_alu instid0(VALU_DEP_4) | instskip(NEXT) | instid1(VALU_DEP_2)
	v_dot4_i32_iu8 v4, v180, v221, v4 neg_lo:[1,1,0]
	v_or_b32_e32 v229, v227, v229
	s_delay_alu instid0(VALU_DEP_2) | instskip(SKIP_4) | instid1(VALU_DEP_3)
	v_add3_u32 v4, v4, v182, v183
	v_perm_b32 v182, v240, v239, 0xc0c0500
	s_wait_dscnt 0x0
	v_lshrrev_b16 v181, 8, v173
	v_bfe_i32 v173, v173, 0, 8
	v_dot4_i32_iu8 v4, v232, v182, v4 neg_lo:[1,1,0]
	v_perm_b32 v182, v243, v242, 0xc0c0500
	s_delay_alu instid0(VALU_DEP_3) | instskip(SKIP_1) | instid1(VALU_DEP_4)
	v_mul_lo_u32 v0, v0, v173
	v_bfe_i32 v181, v181, 0, 8
	v_add3_u32 v4, v4, v184, v188
	v_add3_u32 v188, s21, v154, v145
	s_delay_alu instid0(VALU_DEP_2) | instskip(SKIP_3) | instid1(VALU_DEP_2)
	v_dot4_i32_iu8 v4, v233, v182, v4 neg_lo:[1,1,0]
	ds_load_2addr_b32 v[184:185], v188 offset1:1
	v_mad_u32 v0, v4, v181, v0
	v_mul_f32_e32 v4, v115, v165
	v_cvt_f32_i32_e32 v0, v0
	s_delay_alu instid0(VALU_DEP_1)
	v_mul_f32_e32 v4, v4, v0
	v_add_nc_u32_e32 v0, 0x1080, v237
	s_wait_dscnt 0x0
	v_ashrrev_i32_e32 v185, s19, v185
	ds_load_2addr_b32 v[182:183], v0 offset1:1
	v_dual_ashrrev_i32 v184, s19, v184 :: v_dual_lshlrev_b32 v185, 2, v185
	s_delay_alu instid0(VALU_DEP_1) | instskip(NEXT) | instid1(VALU_DEP_2)
	v_lshlrev_b32_e32 v184, 2, v184
	v_and_b32_e32 v185, 0x4040404, v185
	s_delay_alu instid0(VALU_DEP_2) | instskip(NEXT) | instid1(VALU_DEP_2)
	v_and_b32_e32 v184, 0x4040404, v184
	v_dual_lshrrev_b32 v192, 24, v185 :: v_dual_lshrrev_b32 v193, 16, v185
	s_delay_alu instid0(VALU_DEP_2) | instskip(SKIP_3) | instid1(VALU_DEP_1)
	v_lshrrev_b16 v189, 8, v184
	v_dual_lshrrev_b32 v190, 24, v184 :: v_dual_lshrrev_b32 v191, 16, v184
	s_wait_dscnt 0x0
	v_ashrrev_i32_e32 v0, s20, v182
	v_and_b32_e32 v182, 0x3030303, v0
	v_bfe_u32 v0, v0, 24, 2
	s_delay_alu instid0(VALU_DEP_2) | instskip(SKIP_1) | instid1(VALU_DEP_3)
	v_lshrrev_b16 v186, 8, v182
	v_lshrrev_b32_e32 v187, 16, v182
	v_sub_nc_u16 v0, v0, v190
	s_delay_alu instid0(VALU_DEP_3)
	v_sub_nc_u16 v186, v186, v189
	v_sub_nc_u16 v189, v182, v184
	v_ashrrev_i32_e32 v182, s20, v183
	v_sub_nc_u16 v187, v187, v191
	v_lshrrev_b16 v191, 8, v185
	v_lshlrev_b16 v0, 8, v0
	v_lshlrev_b16 v186, 8, v186
	v_and_b32_e32 v183, 0x3030303, v182
	v_bfe_u32 v182, v182, 24, 2
	s_delay_alu instid0(VALU_DEP_4) | instskip(NEXT) | instid1(VALU_DEP_3)
	v_bitop3_b16 v0, v187, v0, 0xff bitop3:0xec
	v_lshrrev_b32_e32 v190, 16, v183
	s_delay_alu instid0(VALU_DEP_3) | instskip(SKIP_1) | instid1(VALU_DEP_3)
	v_sub_nc_u16 v182, v182, v192
	v_lshrrev_b16 v184, 8, v183
	v_sub_nc_u16 v190, v190, v193
	s_delay_alu instid0(VALU_DEP_3) | instskip(SKIP_1) | instid1(VALU_DEP_2)
	v_lshlrev_b16 v182, 8, v182
	v_sub_nc_u16 v193, v183, v185
	v_bitop3_b16 v192, v190, v182, 0xff bitop3:0xec
	v_sub_nc_u16 v182, v184, v191
	ds_load_2addr_b32 v[184:185], v188 offset0:2 offset1:3
	v_lshlrev_b16 v191, 8, v182
	v_add_nc_u32_e32 v182, 0x1088, v237
	ds_load_2addr_b32 v[182:183], v182 offset1:1
	s_wait_dscnt 0x1
	v_dual_ashrrev_i32 v184, s19, v184 :: v_dual_ashrrev_i32 v185, s19, v185
	s_delay_alu instid0(VALU_DEP_1) | instskip(SKIP_2) | instid1(VALU_DEP_2)
	v_dual_lshlrev_b32 v184, 2, v184 :: v_dual_lshlrev_b32 v185, 2, v185
	s_wait_dscnt 0x0
	v_ashrrev_i32_e32 v182, s20, v182
	v_and_b32_e32 v184, 0x4040404, v184
	s_delay_alu instid0(VALU_DEP_3) | instskip(NEXT) | instid1(VALU_DEP_3)
	v_and_b32_e32 v185, 0x4040404, v185
	v_and_b32_e32 v194, 0x3030303, v182
	v_bfe_u32 v182, v182, 24, 2
	s_delay_alu instid0(VALU_DEP_4) | instskip(SKIP_1) | instid1(VALU_DEP_4)
	v_dual_lshrrev_b32 v198, 24, v184 :: v_dual_lshrrev_b32 v200, 16, v184
	v_lshrrev_b16 v197, 8, v184
	v_lshrrev_b32_e32 v196, 16, v194
	v_lshrrev_b16 v195, 8, v194
	s_delay_alu instid0(VALU_DEP_4)
	v_sub_nc_u16 v182, v182, v198
	v_lshrrev_b32_e32 v198, 16, v185
	v_sub_nc_u16 v194, v194, v184
	v_sub_nc_u16 v247, v196, v200
	v_lshrrev_b16 v196, 8, v185
	v_lshlrev_b16 v182, 8, v182
	s_delay_alu instid0(VALU_DEP_1) | instskip(SKIP_2) | instid1(VALU_DEP_2)
	v_bitop3_b16 v248, v247, v182, 0xff bitop3:0xec
	v_sub_nc_u16 v182, v195, v197
	v_lshrrev_b32_e32 v197, 24, v185
	v_lshlrev_b16 v249, 8, v182
	v_ashrrev_i32_e32 v182, s20, v183
	s_delay_alu instid0(VALU_DEP_1) | instskip(SKIP_1) | instid1(VALU_DEP_2)
	v_and_b32_e32 v183, 0x3030303, v182
	v_bfe_u32 v182, v182, 24, 2
	v_lshrrev_b32_e32 v195, 16, v183
	s_delay_alu instid0(VALU_DEP_2) | instskip(SKIP_1) | instid1(VALU_DEP_3)
	v_sub_nc_u16 v182, v182, v197
	v_lshrrev_b16 v184, 8, v183
	v_sub_nc_u16 v250, v195, v198
	s_delay_alu instid0(VALU_DEP_3) | instskip(SKIP_1) | instid1(VALU_DEP_2)
	v_lshlrev_b16 v182, 8, v182
	v_sub_nc_u16 v195, v183, v185
	v_bitop3_b16 v251, v250, v182, 0xff bitop3:0xec
	v_sub_nc_u16 v182, v184, v196
	ds_load_2addr_b32 v[184:185], v188 offset0:4 offset1:5
	v_lshlrev_b16 v252, 8, v182
	v_add_nc_u32_e32 v182, 0x1090, v237
	ds_load_2addr_b32 v[182:183], v182 offset1:1
	s_wait_dscnt 0x1
	v_dual_ashrrev_i32 v184, s19, v184 :: v_dual_ashrrev_i32 v185, s19, v185
	s_delay_alu instid0(VALU_DEP_1) | instskip(SKIP_2) | instid1(VALU_DEP_2)
	v_dual_lshlrev_b32 v184, 2, v184 :: v_dual_lshlrev_b32 v185, 2, v185
	s_wait_dscnt 0x0
	v_ashrrev_i32_e32 v182, s20, v182
	v_and_b32_e32 v184, 0x4040404, v184
	s_delay_alu instid0(VALU_DEP_3) | instskip(NEXT) | instid1(VALU_DEP_3)
	v_and_b32_e32 v185, 0x4040404, v185
	v_and_b32_e32 v196, 0x3030303, v182
	v_bfe_u32 v182, v182, 24, 2
	s_delay_alu instid0(VALU_DEP_4) | instskip(SKIP_1) | instid1(VALU_DEP_4)
	v_dual_lshrrev_b32 v201, 24, v184 :: v_dual_lshrrev_b32 v202, 16, v184
	v_lshrrev_b16 v200, 8, v184
	v_lshrrev_b32_e32 v198, 16, v196
	v_lshrrev_b16 v197, 8, v196
	s_delay_alu instid0(VALU_DEP_4) | instskip(SKIP_1) | instid1(VALU_DEP_4)
	v_sub_nc_u16 v182, v182, v201
	v_dual_lshrrev_b32 v203, 24, v185 :: v_dual_lshrrev_b32 v204, 16, v185
	v_sub_nc_u16 v198, v198, v202
	v_sub_nc_u16 v196, v196, v184
	s_delay_alu instid0(VALU_DEP_4) | instskip(SKIP_1) | instid1(VALU_DEP_2)
	v_lshlrev_b16 v182, 8, v182
	v_lshrrev_b16 v202, 8, v185
	v_bitop3_b16 v201, v198, v182, 0xff bitop3:0xec
	v_sub_nc_u16 v182, v197, v200
	s_delay_alu instid0(VALU_DEP_1) | instskip(SKIP_1) | instid1(VALU_DEP_1)
	v_lshlrev_b16 v197, 8, v182
	v_ashrrev_i32_e32 v182, s20, v183
	v_and_b32_e32 v183, 0x3030303, v182
	v_bfe_u32 v182, v182, 24, 2
	s_delay_alu instid0(VALU_DEP_2) | instskip(NEXT) | instid1(VALU_DEP_2)
	v_lshrrev_b32_e32 v200, 16, v183
	v_sub_nc_u16 v182, v182, v203
	v_lshrrev_b16 v184, 8, v183
	s_delay_alu instid0(VALU_DEP_3) | instskip(NEXT) | instid1(VALU_DEP_3)
	v_sub_nc_u16 v200, v200, v204
	v_lshlrev_b16 v182, 8, v182
	v_sub_nc_u16 v204, v183, v185
	s_delay_alu instid0(VALU_DEP_2)
	v_bitop3_b16 v203, v200, v182, 0xff bitop3:0xec
	v_sub_nc_u16 v182, v184, v202
	ds_load_2addr_b32 v[184:185], v188 offset0:6 offset1:7
	v_lshlrev_b16 v202, 8, v182
	v_add_nc_u32_e32 v182, 0x1098, v237
	ds_load_2addr_b32 v[182:183], v182 offset1:1
	s_wait_dscnt 0x1
	v_dual_ashrrev_i32 v184, s19, v184 :: v_dual_ashrrev_i32 v185, s19, v185
	s_delay_alu instid0(VALU_DEP_1) | instskip(SKIP_2) | instid1(VALU_DEP_2)
	v_dual_lshlrev_b32 v184, 2, v184 :: v_dual_lshlrev_b32 v185, 2, v185
	s_wait_dscnt 0x0
	v_ashrrev_i32_e32 v182, s20, v182
	v_and_b32_e32 v184, 0x4040404, v184
	s_delay_alu instid0(VALU_DEP_3) | instskip(NEXT) | instid1(VALU_DEP_3)
	v_and_b32_e32 v185, 0x4040404, v185
	v_and_b32_e32 v205, 0x3030303, v182
	v_bfe_u32 v182, v182, 24, 2
	s_delay_alu instid0(VALU_DEP_4) | instskip(SKIP_1) | instid1(VALU_DEP_4)
	v_dual_lshrrev_b32 v234, 24, v184 :: v_dual_lshrrev_b32 v235, 16, v184
	v_lshrrev_b16 v188, 8, v184
	v_lshrrev_b32_e32 v213, 16, v205
	v_lshrrev_b16 v212, 8, v205
	s_delay_alu instid0(VALU_DEP_4)
	v_sub_nc_u16 v182, v182, v234
	v_lshrrev_b32_e32 v234, 16, v185
	v_sub_nc_u16 v205, v205, v184
	v_sub_nc_u16 v253, v213, v235
	v_lshrrev_b32_e32 v213, 24, v185
	v_lshlrev_b16 v182, 8, v182
	s_delay_alu instid0(VALU_DEP_1) | instskip(SKIP_2) | instid1(VALU_DEP_2)
	v_bitop3_b16 v254, v253, v182, 0xff bitop3:0xec
	v_sub_nc_u16 v182, v212, v188
	v_lshrrev_b16 v212, 8, v185
	v_lshlrev_b16 v255, 8, v182
	v_ashrrev_i32_e32 v182, s20, v183
	s_delay_alu instid0(VALU_DEP_1) | instskip(NEXT) | instid1(VALU_DEP_1)
	v_and_b32_e32 v183, 0x3030303, v182
	v_lshrrev_b32_e32 v188, 16, v183
	v_bfe_u32 v182, v182, 24, 2
	v_lshrrev_b16 v184, 8, v183
	s_set_vgpr_msb 64                       ;  msbs: dst=1 src0=0 src1=0 src2=0
	s_delay_alu instid0(VALU_DEP_3)
	v_sub_nc_u16 v0 /*v256*/, v188, v234
	s_set_vgpr_msb 0                        ;  msbs: dst=0 src0=0 src1=0 src2=0
	v_sub_nc_u16 v182, v182, v213
	v_sub_nc_u16 v213, v183, v185
	v_bfe_i32 v183, v189, 0, 8
	v_bfe_i32 v189, v252, 8, 8
	;; [unrolled: 1-line block ×3, first 2 shown]
	v_lshlrev_b16 v182, 8, v182
	s_delay_alu instid0(VALU_DEP_4) | instskip(NEXT) | instid1(VALU_DEP_4)
	v_mul_i32_i24_e32 v185, v183, v224
	v_mul_i32_i24_e32 v234, v208, v189
	v_perm_b32 v189, v192, v190, 0xc05000c
	s_set_vgpr_msb 0x41                     ;  msbs: dst=1 src0=1 src1=0 src2=0
	v_bitop3_b16 v1 /*v257*/, v0 /*v256*/, v182, 0xff bitop3:0xec
	s_set_vgpr_msb 0                        ;  msbs: dst=0 src0=0 src1=0 src2=0
	v_sub_nc_u16 v182, v184, v212
	v_bfe_i32 v184, v186, 8, 8
	v_perm_b32 v190, v191, v191, 0xc0c0c01
	v_bfe_i32 v191, v196, 0, 8
	v_bfe_i32 v192, v197, 8, 8
	s_set_vgpr_msb 64                       ;  msbs: dst=1 src0=0 src1=0 src2=0
	v_lshlrev_b16 v2 /*v258*/, 8, v182
	s_set_vgpr_msb 0                        ;  msbs: dst=0 src0=0 src1=0 src2=0
	v_mad_i32_i24 v186, v184, v225, v185
	v_perm_b32 v185, v0, v187, 0xc0c0500
	v_bfe_i32 v187, v194, 0, 8
	v_or_b32_e32 v189, v189, v190
	v_mul_i32_i24_e32 v194, v206, v188
	v_bfe_i32 v188, v195, 0, 8
	v_dot4_i32_iu8 v0, v185, v245, v186 neg_lo:[1,1,0]
	v_bfe_i32 v186, v193, 0, 8
	v_mul_i32_i24_e32 v193, v218, v187
	v_perm_b32 v190, v248, v247, 0xc0c0500
	v_add3_u32 v182, s23, v155, v146
	v_mul_i32_i24_e32 v195, v207, v188
	v_mad_i32_i24 v0, v186, v222, v0
	v_bfe_i32 v196, v255, 8, 8
	ds_load_b32 v182, v182
	v_add_nc_u32_e32 v212, s22, v57
	v_dot4_i32_iu8 v0, v189, v209, v0 neg_lo:[1,1,0]
	s_delay_alu instid0(VALU_DEP_1) | instskip(SKIP_1) | instid1(VALU_DEP_2)
	v_add3_u32 v0, v0, v193, v194
	v_mul_i32_i24_e32 v193, v191, v219
	v_dot4_i32_iu8 v0, v210, v190, v0 neg_lo:[1,1,0]
	s_delay_alu instid0(VALU_DEP_2)
	v_mad_i32_i24 v194, v192, v220, v193
	v_perm_b32 v193, v201, v198, 0xc0c0500
	v_perm_b32 v190, v251, v250, 0xc0c0500
	v_mul_i32_i24_e32 v201, v214, v196
	v_add3_u32 v0, v0, v195, v234
	v_bfe_i32 v196, v213, 0, 8
	v_dot4_i32_iu8 v197, v193, v246, v194 neg_lo:[1,1,0]
	v_bfe_i32 v194, v204, 0, 8
	v_bfe_i32 v195, v205, 0, 8
	v_dot4_i32_iu8 v0, v211, v190, v0 neg_lo:[1,1,0]
	ds_load_u16 v190, v212
	s_set_vgpr_msb 1                        ;  msbs: dst=0 src0=1 src1=0 src2=0
	v_bfe_i32 v204, v2 /*v258*/, 8, 8
	s_set_vgpr_msb 0                        ;  msbs: dst=0 src0=0 src1=0 src2=0
	v_mad_i32_i24 v213, v194, v215, v197
	v_perm_b32 v197, v203, v200, 0xc05000c
	v_perm_b32 v200, v202, v202, 0xc0c0c01
	v_mul_i32_i24_e32 v198, v114, v195
	v_mul_i32_i24_e32 v205, v199, v196
	;; [unrolled: 1-line block ×3, first 2 shown]
	s_delay_alu instid0(VALU_DEP_4) | instskip(NEXT) | instid1(VALU_DEP_1)
	v_or_b32_e32 v197, v197, v200
	v_dot4_i32_iu8 v200, v197, v221, v213 neg_lo:[1,1,0]
	s_delay_alu instid0(VALU_DEP_1) | instskip(SKIP_4) | instid1(VALU_DEP_3)
	v_add3_u32 v198, v200, v198, v201
	v_perm_b32 v200, v254, v253, 0xc0c0500
	s_wait_dscnt 0x0
	v_lshrrev_b16 v212, 8, v190
	v_bfe_i32 v190, v190, 0, 8
	v_dot4_i32_iu8 v198, v232, v200, v198 neg_lo:[1,1,0]
	s_set_vgpr_msb 5                        ;  msbs: dst=0 src0=1 src1=1 src2=0
	v_perm_b32 v200, v1 /*v257*/, v0 /*v256*/, 0xc0c0500
	s_set_vgpr_msb 0                        ;  msbs: dst=0 src0=0 src1=0 src2=0
	v_mul_lo_u32 v0, v0, v190
	v_add3_u32 v198, v198, v205, v204
	s_delay_alu instid0(VALU_DEP_1) | instskip(SKIP_2) | instid1(VALU_DEP_2)
	v_dot4_i32_iu8 v200, v233, v200, v198 neg_lo:[1,1,0]
	v_bfe_i32 v198, v212, 0, 8
	v_add3_u32 v212, s21, v156, v147
	v_mad_u32 v0, v200, v198, v0
	v_mul_f32_e32 v200, v115, v182
	ds_load_2addr_b32 v[202:203], v212 offset1:1
	v_cvt_f32_i32_e32 v0, v0
	s_delay_alu instid0(VALU_DEP_1) | instskip(SKIP_4) | instid1(VALU_DEP_1)
	v_mul_f32_e32 v236, v200, v0
	v_add_nc_u32_e32 v0, 0x2100, v237
	ds_load_2addr_b32 v[200:201], v0 offset1:1
	s_wait_dscnt 0x1
	v_dual_ashrrev_i32 v202, s19, v202 :: v_dual_ashrrev_i32 v203, s19, v203
	v_dual_lshlrev_b32 v202, 2, v202 :: v_dual_lshlrev_b32 v203, 2, v203
	s_delay_alu instid0(VALU_DEP_1) | instskip(NEXT) | instid1(VALU_DEP_2)
	v_and_b32_e32 v202, 0x4040404, v202
	v_and_b32_e32 v203, 0x4040404, v203
	s_delay_alu instid0(VALU_DEP_2) | instskip(SKIP_2) | instid1(VALU_DEP_3)
	v_lshrrev_b16 v213, 8, v202
	v_dual_lshrrev_b32 v234, 24, v202 :: v_dual_lshrrev_b32 v235, 16, v202
	s_wait_dscnt 0x0
	v_dual_lshrrev_b32 v238, 24, v203 :: v_dual_ashrrev_i32 v0, s20, v200
	s_set_vgpr_msb 64                       ;  msbs: dst=1 src0=0 src1=0 src2=0
	v_lshrrev_b32_e32 v3 /*v259*/, 16, v203
	s_set_vgpr_msb 0                        ;  msbs: dst=0 src0=0 src1=0 src2=0
	s_delay_alu instid0(VALU_DEP_2) | instskip(NEXT) | instid1(VALU_DEP_1)
	v_and_b32_e32 v200, 0x3030303, v0
	v_lshrrev_b16 v204, 8, v200
	v_lshrrev_b32_e32 v205, 16, v200
	v_bfe_u32 v0, v0, 24, 2
	s_delay_alu instid0(VALU_DEP_3) | instskip(SKIP_2) | instid1(VALU_DEP_4)
	v_sub_nc_u16 v204, v204, v213
	v_sub_nc_u16 v213, v200, v202
	v_ashrrev_i32_e32 v200, s20, v201
	v_sub_nc_u16 v0, v0, v234
	v_sub_nc_u16 v205, v205, v235
	v_lshrrev_b16 v235, 8, v203
	v_lshlrev_b16 v204, 8, v204
	v_and_b32_e32 v201, 0x3030303, v200
	v_bfe_u32 v200, v200, 24, 2
	v_lshlrev_b16 v0, 8, v0
	s_delay_alu instid0(VALU_DEP_3) | instskip(NEXT) | instid1(VALU_DEP_3)
	v_lshrrev_b32_e32 v234, 16, v201
	v_sub_nc_u16 v200, v200, v238
	v_lshrrev_b16 v202, 8, v201
	s_delay_alu instid0(VALU_DEP_4)
	v_bitop3_b16 v0, v205, v0, 0xff bitop3:0xec
	s_set_vgpr_msb 4                        ;  msbs: dst=0 src0=0 src1=1 src2=0
	v_sub_nc_u16 v234, v234, v3 /*v259*/
	s_set_vgpr_msb 0                        ;  msbs: dst=0 src0=0 src1=0 src2=0
	v_lshlrev_b16 v200, 8, v200
	s_set_vgpr_msb 64                       ;  msbs: dst=1 src0=0 src1=0 src2=0
	v_sub_nc_u16 v3 /*v259*/, v201, v203
	s_set_vgpr_msb 0                        ;  msbs: dst=0 src0=0 src1=0 src2=0
	s_delay_alu instid0(VALU_DEP_2)
	v_bitop3_b16 v238, v234, v200, 0xff bitop3:0xec
	v_sub_nc_u16 v200, v202, v235
	ds_load_2addr_b32 v[202:203], v212 offset0:2 offset1:3
	v_lshlrev_b16 v235, 8, v200
	v_add_nc_u32_e32 v200, 0x2108, v237
	ds_load_2addr_b32 v[200:201], v200 offset1:1
	s_wait_dscnt 0x1
	v_dual_ashrrev_i32 v202, s19, v202 :: v_dual_ashrrev_i32 v203, s19, v203
	s_delay_alu instid0(VALU_DEP_1) | instskip(SKIP_2) | instid1(VALU_DEP_2)
	v_dual_lshlrev_b32 v202, 2, v202 :: v_dual_lshlrev_b32 v203, 2, v203
	s_wait_dscnt 0x0
	v_ashrrev_i32_e32 v200, s20, v200
	v_and_b32_e32 v202, 0x4040404, v202
	s_delay_alu instid0(VALU_DEP_3) | instskip(SKIP_1) | instid1(VALU_DEP_3)
	v_and_b32_e32 v203, 0x4040404, v203
	s_set_vgpr_msb 64                       ;  msbs: dst=1 src0=0 src1=0 src2=0
	v_and_b32_e32 v4 /*v260*/, 0x3030303, v200
	s_set_vgpr_msb 0                        ;  msbs: dst=0 src0=0 src1=0 src2=0
	v_bfe_u32 v200, v200, 24, 2
	s_set_vgpr_msb 64                       ;  msbs: dst=1 src0=0 src1=0 src2=0
	v_dual_lshrrev_b32 v8 /*v264*/, 24, v202 :: v_dual_lshrrev_b32 v9 /*v265*/, 16, v202
	v_lshrrev_b16 v7 /*v263*/, 8, v202
	s_set_vgpr_msb 0x44                     ;  msbs: dst=1 src0=0 src1=1 src2=0
	v_lshrrev_b32_e32 v6 /*v262*/, 16, v4 /*v260*/
	v_lshrrev_b16 v5 /*v261*/, 8, v4 /*v260*/
	s_set_vgpr_msb 4                        ;  msbs: dst=0 src0=0 src1=1 src2=0
	v_sub_nc_u16 v200, v200, v8 /*v264*/
	s_set_vgpr_msb 64                       ;  msbs: dst=1 src0=0 src1=0 src2=0
	v_dual_lshrrev_b32 v10 /*v266*/, 24, v203 :: v_dual_lshrrev_b32 v11 /*v267*/, 16, v203
	s_set_vgpr_msb 0x45                     ;  msbs: dst=1 src0=1 src1=1 src2=0
	v_sub_nc_u16 v6 /*v262*/, v6 /*v262*/, v9 /*v265*/
	s_set_vgpr_msb 0x41                     ;  msbs: dst=1 src0=1 src1=0 src2=0
	v_sub_nc_u16 v4 /*v260*/, v4 /*v260*/, v202
	s_set_vgpr_msb 0                        ;  msbs: dst=0 src0=0 src1=0 src2=0
	v_lshlrev_b16 v200, 8, v200
	s_set_vgpr_msb 0x41                     ;  msbs: dst=1 src0=1 src1=0 src2=0
	v_lshrrev_b16 v9 /*v265*/, 8, v203
	s_delay_alu instid0(VALU_DEP_2) | instskip(SKIP_3) | instid1(VALU_DEP_1)
	v_bitop3_b16 v8 /*v264*/, v6 /*v262*/, v200, 0xff bitop3:0xec
	s_set_vgpr_msb 5                        ;  msbs: dst=0 src0=1 src1=1 src2=0
	v_sub_nc_u16 v200, v5 /*v261*/, v7 /*v263*/
	s_set_vgpr_msb 64                       ;  msbs: dst=1 src0=0 src1=0 src2=0
	v_lshlrev_b16 v5 /*v261*/, 8, v200
	s_set_vgpr_msb 0                        ;  msbs: dst=0 src0=0 src1=0 src2=0
	v_ashrrev_i32_e32 v200, s20, v201
	s_delay_alu instid0(VALU_DEP_1) | instskip(SKIP_2) | instid1(VALU_DEP_2)
	v_and_b32_e32 v201, 0x3030303, v200
	v_bfe_u32 v200, v200, 24, 2
	s_set_vgpr_msb 64                       ;  msbs: dst=1 src0=0 src1=0 src2=0
	v_lshrrev_b32_e32 v7 /*v263*/, 16, v201
	s_set_vgpr_msb 4                        ;  msbs: dst=0 src0=0 src1=1 src2=0
	s_delay_alu instid0(VALU_DEP_2)
	v_sub_nc_u16 v200, v200, v10 /*v266*/
	s_set_vgpr_msb 0                        ;  msbs: dst=0 src0=0 src1=0 src2=0
	v_lshrrev_b16 v202, 8, v201
	s_set_vgpr_msb 0x45                     ;  msbs: dst=1 src0=1 src1=1 src2=0
	v_sub_nc_u16 v7 /*v263*/, v7 /*v263*/, v11 /*v267*/
	s_set_vgpr_msb 0                        ;  msbs: dst=0 src0=0 src1=0 src2=0
	v_lshlrev_b16 v200, 8, v200
	s_set_vgpr_msb 64                       ;  msbs: dst=1 src0=0 src1=0 src2=0
	v_sub_nc_u16 v11 /*v267*/, v201, v203
	s_set_vgpr_msb 0x41                     ;  msbs: dst=1 src0=1 src1=0 src2=0
	s_delay_alu instid0(VALU_DEP_2)
	v_bitop3_b16 v10 /*v266*/, v7 /*v263*/, v200, 0xff bitop3:0xec
	s_set_vgpr_msb 4                        ;  msbs: dst=0 src0=0 src1=1 src2=0
	v_sub_nc_u16 v200, v202, v9 /*v265*/
	ds_load_2addr_b32 v[202:203], v212 offset0:4 offset1:5
	s_set_vgpr_msb 64                       ;  msbs: dst=1 src0=0 src1=0 src2=0
	v_lshlrev_b16 v9 /*v265*/, 8, v200
	s_set_vgpr_msb 0                        ;  msbs: dst=0 src0=0 src1=0 src2=0
	v_add_nc_u32_e32 v200, 0x2110, v237
	ds_load_2addr_b32 v[200:201], v200 offset1:1
	s_wait_dscnt 0x1
	v_dual_ashrrev_i32 v202, s19, v202 :: v_dual_ashrrev_i32 v203, s19, v203
	s_delay_alu instid0(VALU_DEP_1) | instskip(SKIP_2) | instid1(VALU_DEP_2)
	v_dual_lshlrev_b32 v202, 2, v202 :: v_dual_lshlrev_b32 v203, 2, v203
	s_wait_dscnt 0x0
	v_ashrrev_i32_e32 v200, s20, v200
	v_and_b32_e32 v202, 0x4040404, v202
	s_delay_alu instid0(VALU_DEP_3) | instskip(SKIP_1) | instid1(VALU_DEP_3)
	v_and_b32_e32 v203, 0x4040404, v203
	s_set_vgpr_msb 64                       ;  msbs: dst=1 src0=0 src1=0 src2=0
	v_and_b32_e32 v12 /*v268*/, 0x3030303, v200
	s_set_vgpr_msb 0                        ;  msbs: dst=0 src0=0 src1=0 src2=0
	v_bfe_u32 v200, v200, 24, 2
	s_set_vgpr_msb 64                       ;  msbs: dst=1 src0=0 src1=0 src2=0
	v_dual_lshrrev_b32 v16 /*v272*/, 24, v202 :: v_dual_lshrrev_b32 v17 /*v273*/, 16, v202
	v_lshrrev_b16 v15 /*v271*/, 8, v202
	s_set_vgpr_msb 0x44                     ;  msbs: dst=1 src0=0 src1=1 src2=0
	v_lshrrev_b32_e32 v14 /*v270*/, 16, v12 /*v268*/
	v_lshrrev_b16 v13 /*v269*/, 8, v12 /*v268*/
	s_set_vgpr_msb 4                        ;  msbs: dst=0 src0=0 src1=1 src2=0
	v_sub_nc_u16 v200, v200, v16 /*v272*/
	s_set_vgpr_msb 64                       ;  msbs: dst=1 src0=0 src1=0 src2=0
	v_dual_lshrrev_b32 v18 /*v274*/, 24, v203 :: v_dual_lshrrev_b32 v19 /*v275*/, 16, v203
	s_set_vgpr_msb 0x45                     ;  msbs: dst=1 src0=1 src1=1 src2=0
	v_sub_nc_u16 v14 /*v270*/, v14 /*v270*/, v17 /*v273*/
	s_set_vgpr_msb 0x41                     ;  msbs: dst=1 src0=1 src1=0 src2=0
	v_sub_nc_u16 v12 /*v268*/, v12 /*v268*/, v202
	s_set_vgpr_msb 0                        ;  msbs: dst=0 src0=0 src1=0 src2=0
	v_lshlrev_b16 v200, 8, v200
	s_set_vgpr_msb 0x41                     ;  msbs: dst=1 src0=1 src1=0 src2=0
	v_lshrrev_b16 v17 /*v273*/, 8, v203
	s_delay_alu instid0(VALU_DEP_2) | instskip(SKIP_3) | instid1(VALU_DEP_1)
	v_bitop3_b16 v16 /*v272*/, v14 /*v270*/, v200, 0xff bitop3:0xec
	s_set_vgpr_msb 5                        ;  msbs: dst=0 src0=1 src1=1 src2=0
	v_sub_nc_u16 v200, v13 /*v269*/, v15 /*v271*/
	s_set_vgpr_msb 64                       ;  msbs: dst=1 src0=0 src1=0 src2=0
	v_lshlrev_b16 v13 /*v269*/, 8, v200
	s_set_vgpr_msb 0                        ;  msbs: dst=0 src0=0 src1=0 src2=0
	v_ashrrev_i32_e32 v200, s20, v201
	s_delay_alu instid0(VALU_DEP_1) | instskip(SKIP_2) | instid1(VALU_DEP_2)
	v_and_b32_e32 v201, 0x3030303, v200
	v_bfe_u32 v200, v200, 24, 2
	s_set_vgpr_msb 64                       ;  msbs: dst=1 src0=0 src1=0 src2=0
	v_lshrrev_b32_e32 v15 /*v271*/, 16, v201
	s_set_vgpr_msb 4                        ;  msbs: dst=0 src0=0 src1=1 src2=0
	s_delay_alu instid0(VALU_DEP_2)
	v_sub_nc_u16 v200, v200, v18 /*v274*/
	s_set_vgpr_msb 0                        ;  msbs: dst=0 src0=0 src1=0 src2=0
	v_lshrrev_b16 v202, 8, v201
	s_set_vgpr_msb 0x45                     ;  msbs: dst=1 src0=1 src1=1 src2=0
	v_sub_nc_u16 v15 /*v271*/, v15 /*v271*/, v19 /*v275*/
	s_set_vgpr_msb 0                        ;  msbs: dst=0 src0=0 src1=0 src2=0
	v_lshlrev_b16 v200, 8, v200
	s_set_vgpr_msb 64                       ;  msbs: dst=1 src0=0 src1=0 src2=0
	v_sub_nc_u16 v19 /*v275*/, v201, v203
	s_set_vgpr_msb 0x41                     ;  msbs: dst=1 src0=1 src1=0 src2=0
	s_delay_alu instid0(VALU_DEP_2)
	v_bitop3_b16 v18 /*v274*/, v15 /*v271*/, v200, 0xff bitop3:0xec
	s_set_vgpr_msb 4                        ;  msbs: dst=0 src0=0 src1=1 src2=0
	v_sub_nc_u16 v200, v202, v17 /*v273*/
	ds_load_2addr_b32 v[202:203], v212 offset0:6 offset1:7
	s_set_vgpr_msb 64                       ;  msbs: dst=1 src0=0 src1=0 src2=0
	v_lshlrev_b16 v17 /*v273*/, 8, v200
	s_set_vgpr_msb 0                        ;  msbs: dst=0 src0=0 src1=0 src2=0
	v_add_nc_u32_e32 v200, 0x2118, v237
	ds_load_2addr_b32 v[200:201], v200 offset1:1
	s_wait_dscnt 0x1
	v_dual_ashrrev_i32 v202, s19, v202 :: v_dual_ashrrev_i32 v203, s19, v203
	s_delay_alu instid0(VALU_DEP_1) | instskip(SKIP_2) | instid1(VALU_DEP_2)
	v_dual_lshlrev_b32 v202, 2, v202 :: v_dual_lshlrev_b32 v203, 2, v203
	s_wait_dscnt 0x0
	v_ashrrev_i32_e32 v200, s20, v200
	v_and_b32_e32 v202, 0x4040404, v202
	s_delay_alu instid0(VALU_DEP_3) | instskip(SKIP_1) | instid1(VALU_DEP_3)
	v_and_b32_e32 v203, 0x4040404, v203
	s_set_vgpr_msb 64                       ;  msbs: dst=1 src0=0 src1=0 src2=0
	v_and_b32_e32 v20 /*v276*/, 0x3030303, v200
	s_set_vgpr_msb 0                        ;  msbs: dst=0 src0=0 src1=0 src2=0
	v_bfe_u32 v200, v200, 24, 2
	s_set_vgpr_msb 64                       ;  msbs: dst=1 src0=0 src1=0 src2=0
	v_dual_lshrrev_b32 v23 /*v279*/, 24, v202 :: v_dual_lshrrev_b32 v24 /*v280*/, 16, v202
	v_lshrrev_b32_e32 v25 /*v281*/, 24, v203
	s_set_vgpr_msb 0x44                     ;  msbs: dst=1 src0=0 src1=1 src2=0
	v_lshrrev_b32_e32 v22 /*v278*/, 16, v20 /*v276*/
	v_lshrrev_b16 v21 /*v277*/, 8, v20 /*v276*/
	s_set_vgpr_msb 4                        ;  msbs: dst=0 src0=0 src1=1 src2=0
	v_sub_nc_u16 v200, v200, v23 /*v279*/
	s_set_vgpr_msb 0                        ;  msbs: dst=0 src0=0 src1=0 src2=0
	v_lshrrev_b16 v212, 8, v202
	s_set_vgpr_msb 0x41                     ;  msbs: dst=1 src0=1 src1=0 src2=0
	v_sub_nc_u16 v20 /*v276*/, v20 /*v276*/, v202
	s_set_vgpr_msb 0x45                     ;  msbs: dst=1 src0=1 src1=1 src2=0
	v_sub_nc_u16 v22 /*v278*/, v22 /*v278*/, v24 /*v280*/
	s_set_vgpr_msb 64                       ;  msbs: dst=1 src0=0 src1=0 src2=0
	v_lshrrev_b32_e32 v26 /*v282*/, 16, v203
	s_set_vgpr_msb 0                        ;  msbs: dst=0 src0=0 src1=0 src2=0
	v_lshlrev_b16 v200, 8, v200
	s_set_vgpr_msb 0x41                     ;  msbs: dst=1 src0=1 src1=0 src2=0
	v_lshrrev_b16 v24 /*v280*/, 8, v203
	s_delay_alu instid0(VALU_DEP_2) | instskip(SKIP_3) | instid1(VALU_DEP_1)
	v_bitop3_b16 v23 /*v279*/, v22 /*v278*/, v200, 0xff bitop3:0xec
	s_set_vgpr_msb 1                        ;  msbs: dst=0 src0=1 src1=0 src2=0
	v_sub_nc_u16 v200, v21 /*v277*/, v212
	s_set_vgpr_msb 64                       ;  msbs: dst=1 src0=0 src1=0 src2=0
	v_lshlrev_b16 v21 /*v277*/, 8, v200
	s_set_vgpr_msb 0                        ;  msbs: dst=0 src0=0 src1=0 src2=0
	v_ashrrev_i32_e32 v200, s20, v201
	s_delay_alu instid0(VALU_DEP_1) | instskip(SKIP_1) | instid1(VALU_DEP_2)
	v_and_b32_e32 v201, 0x3030303, v200
	v_bfe_u32 v200, v200, 24, 2
	v_lshrrev_b16 v202, 8, v201
	v_lshrrev_b32_e32 v212, 16, v201
	s_set_vgpr_msb 64                       ;  msbs: dst=1 src0=0 src1=0 src2=0
	v_sub_nc_u16 v27 /*v283*/, v201, v203
	s_set_vgpr_msb 0                        ;  msbs: dst=0 src0=0 src1=0 src2=0
	v_bfe_i32 v201, v213, 0, 8
	s_set_vgpr_msb 1                        ;  msbs: dst=0 src0=1 src1=0 src2=0
	v_bfe_i32 v213, v5 /*v261*/, 8, 8
	s_set_vgpr_msb 4                        ;  msbs: dst=0 src0=0 src1=1 src2=0
	v_sub_nc_u16 v200, v200, v25 /*v281*/
	s_set_vgpr_msb 0                        ;  msbs: dst=0 src0=0 src1=0 src2=0
	v_mul_i32_i24_e32 v203, v201, v224
	v_mul_i32_i24_e32 v213, v206, v213
	s_set_vgpr_msb 1                        ;  msbs: dst=0 src0=1 src1=0 src2=0
	v_bfe_i32 v206, v11 /*v267*/, 0, 8
	v_lshlrev_b16 v200, 8, v200
	s_set_vgpr_msb 64                       ;  msbs: dst=1 src0=0 src1=0 src2=0
	s_delay_alu instid0(VALU_DEP_2)
	v_mul_i32_i24_e32 v11 /*v267*/, v207, v206
	s_set_vgpr_msb 0                        ;  msbs: dst=0 src0=0 src1=0 src2=0
	v_perm_b32 v207, v238, v234, 0xc05000c
	v_perm_b32 v234, v235, v235, 0xc0c0c01
	s_set_vgpr_msb 1                        ;  msbs: dst=0 src0=1 src1=0 src2=0
	v_bfe_i32 v238, v21 /*v277*/, 8, 8
	s_set_vgpr_msb 0                        ;  msbs: dst=0 src0=0 src1=0 src2=0
	s_delay_alu instid0(VALU_DEP_2)
	v_or_b32_e32 v207, v207, v234
	s_set_vgpr_msb 0x44                     ;  msbs: dst=1 src0=0 src1=1 src2=0
	v_sub_nc_u16 v26 /*v282*/, v212, v26 /*v282*/
	s_set_vgpr_msb 0                        ;  msbs: dst=0 src0=0 src1=0 src2=0
	v_add_nc_u32_e32 v212, s22, v59
	v_mul_i32_i24_e32 v238, v214, v238
	s_set_vgpr_msb 1                        ;  msbs: dst=0 src0=1 src1=0 src2=0
	v_bfe_i32 v214, v27 /*v283*/, 0, 8
	s_set_vgpr_msb 0x41                     ;  msbs: dst=1 src0=1 src1=0 src2=0
	v_bitop3_b16 v25 /*v281*/, v26 /*v282*/, v200, 0xff bitop3:0xec
	s_set_vgpr_msb 4                        ;  msbs: dst=0 src0=0 src1=1 src2=0
	v_sub_nc_u16 v200, v202, v24 /*v280*/
	v_bfe_i32 v202, v204, 8, 8
	s_set_vgpr_msb 64                       ;  msbs: dst=1 src0=0 src1=0 src2=0
	s_delay_alu instid0(VALU_DEP_2) | instskip(SKIP_1) | instid1(VALU_DEP_2)
	v_lshlrev_b16 v24 /*v280*/, 8, v200
	s_set_vgpr_msb 0                        ;  msbs: dst=0 src0=0 src1=0 src2=0
	v_mad_i32_i24 v204, v202, v225, v203
	v_perm_b32 v203, v0, v205, 0xc0c0500
	s_set_vgpr_msb 1                        ;  msbs: dst=0 src0=1 src1=0 src2=0
	v_bfe_i32 v205, v4 /*v260*/, 0, 8
	s_set_vgpr_msb 0x41                     ;  msbs: dst=1 src0=1 src1=0 src2=0
	v_bfe_i32 v4 /*v260*/, v9 /*v265*/, 8, 8
	s_set_vgpr_msb 0                        ;  msbs: dst=0 src0=0 src1=0 src2=0
	v_add3_u32 v200, s23, v157, v148
	v_dot4_i32_iu8 v0, v203, v245, v204 neg_lo:[1,1,0]
	s_set_vgpr_msb 1                        ;  msbs: dst=0 src0=1 src1=0 src2=0
	v_bfe_i32 v204, v3 /*v259*/, 0, 8
	s_set_vgpr_msb 64                       ;  msbs: dst=1 src0=0 src1=0 src2=0
	v_mul_i32_i24_e32 v3 /*v259*/, v218, v205
	s_set_vgpr_msb 4                        ;  msbs: dst=0 src0=0 src1=1 src2=0
	v_mul_i32_i24_e32 v208, v208, v4 /*v260*/
	ds_load_b32 v200, v200
	s_set_vgpr_msb 0x41                     ;  msbs: dst=1 src0=1 src1=0 src2=0
	v_bfe_i32 v4 /*v260*/, v24 /*v280*/, 8, 8
	s_set_vgpr_msb 0                        ;  msbs: dst=0 src0=0 src1=0 src2=0
	v_mad_i32_i24 v0, v204, v222, v0
	s_set_vgpr_msb 0x44                     ;  msbs: dst=1 src0=0 src1=1 src2=0
	s_delay_alu instid0(VALU_DEP_2) | instskip(SKIP_1) | instid1(VALU_DEP_2)
	v_mul_i32_i24_e32 v4 /*v260*/, v217, v4 /*v260*/
	s_set_vgpr_msb 0                        ;  msbs: dst=0 src0=0 src1=0 src2=0
	v_dot4_i32_iu8 v0, v207, v209, v0 neg_lo:[1,1,0]
	s_set_vgpr_msb 5                        ;  msbs: dst=0 src0=1 src1=1 src2=0
	v_perm_b32 v209, v8 /*v264*/, v6 /*v262*/, 0xc0c0500
	v_perm_b32 v217, v18 /*v274*/, v15 /*v271*/, 0xc05000c
	s_set_vgpr_msb 4                        ;  msbs: dst=0 src0=0 src1=1 src2=0
	v_add3_u32 v0, v0, v3 /*v259*/, v213
	s_set_vgpr_msb 1                        ;  msbs: dst=0 src0=1 src1=0 src2=0
	v_bfe_i32 v213, v20 /*v276*/, 0, 8
	s_set_vgpr_msb 0                        ;  msbs: dst=0 src0=0 src1=0 src2=0
	s_delay_alu instid0(VALU_DEP_2)
	v_dot4_i32_iu8 v0, v210, v209, v0 neg_lo:[1,1,0]
	s_set_vgpr_msb 1                        ;  msbs: dst=0 src0=1 src1=0 src2=0
	v_bfe_i32 v209, v12 /*v268*/, 0, 8
	v_bfe_i32 v210, v13 /*v269*/, 8, 8
	s_set_vgpr_msb 0x45                     ;  msbs: dst=1 src0=1 src1=1 src2=0
	v_perm_b32 v12 /*v268*/, v17 /*v273*/, v17 /*v273*/, 0xc0c0c01
	s_set_vgpr_msb 64                       ;  msbs: dst=1 src0=0 src1=0 src2=0
	v_mul_i32_i24_e32 v3 /*v259*/, v114, v213
	s_set_vgpr_msb 4                        ;  msbs: dst=0 src0=0 src1=1 src2=0
	v_add3_u32 v0, v0, v11 /*v267*/, v208
	s_set_vgpr_msb 5                        ;  msbs: dst=0 src0=1 src1=1 src2=0
	v_perm_b32 v208, v10 /*v266*/, v7 /*v263*/, 0xc0c0500
	s_set_vgpr_msb 64                       ;  msbs: dst=1 src0=0 src1=0 src2=0
	v_mul_i32_i24_e32 v11 /*v267*/, v199, v214
	s_set_vgpr_msb 4                        ;  msbs: dst=0 src0=0 src1=1 src2=0
	v_or_b32_e32 v217, v217, v12 /*v268*/
	s_set_vgpr_msb 0                        ;  msbs: dst=0 src0=0 src1=0 src2=0
	v_dot4_i32_iu8 v0, v211, v208, v0 neg_lo:[1,1,0]
	v_mul_i32_i24_e32 v211, v209, v219
	ds_load_u16 v208, v212
	v_mad_i32_i24 v212, v210, v220, v211
	s_set_vgpr_msb 5                        ;  msbs: dst=0 src0=1 src1=1 src2=0
	v_perm_b32 v211, v16 /*v272*/, v14 /*v270*/, 0xc0c0500
	s_set_vgpr_msb 0                        ;  msbs: dst=0 src0=0 src1=0 src2=0
	s_delay_alu instid0(VALU_DEP_1) | instskip(SKIP_3) | instid1(VALU_DEP_1)
	v_dot4_i32_iu8 v235, v211, v246, v212 neg_lo:[1,1,0]
	s_set_vgpr_msb 1                        ;  msbs: dst=0 src0=1 src1=0 src2=0
	v_bfe_i32 v212, v19 /*v275*/, 0, 8
	s_set_vgpr_msb 0                        ;  msbs: dst=0 src0=0 src1=0 src2=0
	v_mad_i32_i24 v235, v212, v215, v235
	s_wait_dscnt 0x0
	v_lshrrev_b16 v234, 8, v208
	s_delay_alu instid0(VALU_DEP_2)
	v_dot4_i32_iu8 v221, v217, v221, v235 neg_lo:[1,1,0]
	s_set_vgpr_msb 5                        ;  msbs: dst=0 src0=1 src1=1 src2=0
	v_perm_b32 v235, v23 /*v279*/, v22 /*v278*/, 0xc0c0500
	s_set_vgpr_msb 4                        ;  msbs: dst=0 src0=0 src1=1 src2=0
	v_bfe_i32 v208, v208, 0, 8
	v_add3_u32 v221, v221, v3 /*v259*/, v238
	s_set_vgpr_msb 0                        ;  msbs: dst=0 src0=0 src1=0 src2=0
	s_delay_alu instid0(VALU_DEP_2) | instskip(NEXT) | instid1(VALU_DEP_2)
	v_mul_lo_u32 v0, v0, v208
	v_dot4_i32_iu8 v221, v232, v235, v221 neg_lo:[1,1,0]
	s_set_vgpr_msb 5                        ;  msbs: dst=0 src0=1 src1=1 src2=0
	v_perm_b32 v232, v25 /*v281*/, v26 /*v282*/, 0xc0c0500
	s_set_vgpr_msb 20                       ;  msbs: dst=0 src0=0 src1=1 src2=1
	s_delay_alu instid0(VALU_DEP_2) | instskip(SKIP_3) | instid1(VALU_DEP_2)
	v_add3_u32 v221, v221, v11 /*v267*/, v4 /*v260*/
	s_set_vgpr_msb 64                       ;  msbs: dst=1 src0=0 src1=0 src2=0
	v_add3_u32 v11 /*v267*/, s21, v158, v149
	s_set_vgpr_msb 0                        ;  msbs: dst=0 src0=0 src1=0 src2=0
	v_dot4_i32_iu8 v232, v233, v232, v221 neg_lo:[1,1,0]
	v_bfe_i32 v221, v234, 0, 8
	s_set_vgpr_msb 1                        ;  msbs: dst=0 src0=1 src1=0 src2=0
	ds_load_2addr_b32 v[234:235], v11 /*v267*/ offset1:1
	s_set_vgpr_msb 0                        ;  msbs: dst=0 src0=0 src1=0 src2=0
	v_mad_u32 v0, v232, v221, v0
	v_mul_f32_e32 v232, v115, v200
	s_delay_alu instid0(VALU_DEP_2) | instskip(NEXT) | instid1(VALU_DEP_1)
	v_cvt_f32_i32_e32 v0, v0
	v_mul_f32_e32 v238, v232, v0
	v_add_nc_u32_e32 v0, 0x3180, v237
	s_wait_dscnt 0x0
	v_ashrrev_i32_e32 v235, s19, v235
	ds_load_2addr_b32 v[232:233], v0 offset1:1
	v_dual_ashrrev_i32 v234, s19, v234 :: v_dual_lshlrev_b32 v235, 2, v235
	s_delay_alu instid0(VALU_DEP_1) | instskip(NEXT) | instid1(VALU_DEP_2)
	v_lshlrev_b32_e32 v234, 2, v234
	v_and_b32_e32 v235, 0x4040404, v235
	s_delay_alu instid0(VALU_DEP_2) | instskip(SKIP_1) | instid1(VALU_DEP_2)
	v_and_b32_e32 v234, 0x4040404, v234
	s_set_vgpr_msb 64                       ;  msbs: dst=1 src0=0 src1=0 src2=0
	v_dual_lshrrev_b32 v15 /*v271*/, 24, v235 :: v_dual_lshrrev_b32 v16 /*v272*/, 16, v235
	s_delay_alu instid0(VALU_DEP_2) | instskip(SKIP_4) | instid1(VALU_DEP_1)
	v_dual_lshrrev_b32 v13 /*v269*/, 24, v234 :: v_dual_lshrrev_b32 v14 /*v270*/, 16, v234
	v_lshrrev_b16 v12 /*v268*/, 8, v234
	s_wait_dscnt 0x0
	s_set_vgpr_msb 0                        ;  msbs: dst=0 src0=0 src1=0 src2=0
	v_ashrrev_i32_e32 v0, s20, v232
	v_and_b32_e32 v232, 0x3030303, v0
	v_bfe_u32 v0, v0, 24, 2
	s_set_vgpr_msb 64                       ;  msbs: dst=1 src0=0 src1=0 src2=0
	s_delay_alu instid0(VALU_DEP_2) | instskip(SKIP_1) | instid1(VALU_DEP_2)
	v_lshrrev_b32_e32 v4 /*v260*/, 16, v232
	s_set_vgpr_msb 4                        ;  msbs: dst=0 src0=0 src1=1 src2=0
	v_sub_nc_u16 v0, v0, v13 /*v269*/
	s_set_vgpr_msb 64                       ;  msbs: dst=1 src0=0 src1=0 src2=0
	v_lshrrev_b16 v3 /*v259*/, 8, v232
	s_set_vgpr_msb 0x45                     ;  msbs: dst=1 src0=1 src1=1 src2=0
	v_sub_nc_u16 v4 /*v260*/, v4 /*v260*/, v14 /*v270*/
	s_set_vgpr_msb 0                        ;  msbs: dst=0 src0=0 src1=0 src2=0
	v_lshlrev_b16 v0, 8, v0
	s_set_vgpr_msb 64                       ;  msbs: dst=1 src0=0 src1=0 src2=0
	v_sub_nc_u16 v14 /*v270*/, v232, v234
	s_set_vgpr_msb 0x41                     ;  msbs: dst=1 src0=1 src1=0 src2=0
	s_delay_alu instid0(VALU_DEP_2)
	v_bitop3_b16 v13 /*v269*/, v4 /*v260*/, v0, 0xff bitop3:0xec
	s_set_vgpr_msb 5                        ;  msbs: dst=0 src0=1 src1=1 src2=0
	v_sub_nc_u16 v0, v3 /*v259*/, v12 /*v268*/
	s_set_vgpr_msb 0x41                     ;  msbs: dst=1 src0=1 src1=0 src2=0
	v_lshrrev_b16 v12 /*v268*/, 8, v235
	v_bfe_i32 v14 /*v270*/, v14 /*v270*/, 0, 8
	s_set_vgpr_msb 0x45                     ;  msbs: dst=1 src0=1 src1=1 src2=0
	v_perm_b32 v4 /*v260*/, v13 /*v269*/, v4 /*v260*/, 0xc0c0500
	s_set_vgpr_msb 64                       ;  msbs: dst=1 src0=0 src1=0 src2=0
	v_lshlrev_b16 v3 /*v259*/, 8, v0
	s_set_vgpr_msb 0                        ;  msbs: dst=0 src0=0 src1=0 src2=0
	v_ashrrev_i32_e32 v0, s20, v233
	s_set_vgpr_msb 4                        ;  msbs: dst=0 src0=0 src1=1 src2=0
	v_mul_i32_i24_e32 v224, v224, v14 /*v270*/
	s_set_vgpr_msb 0x41                     ;  msbs: dst=1 src0=1 src1=0 src2=0
	v_bfe_i32 v3 /*v259*/, v3 /*v259*/, 8, 8
	s_set_vgpr_msb 0                        ;  msbs: dst=0 src0=0 src1=0 src2=0
	v_and_b32_e32 v232, 0x3030303, v0
	v_bfe_u32 v0, v0, 24, 2
	s_set_vgpr_msb 4                        ;  msbs: dst=0 src0=0 src1=1 src2=0
	v_mad_i32_i24 v224, v225, v3 /*v259*/, v224
	s_set_vgpr_msb 0                        ;  msbs: dst=0 src0=0 src1=0 src2=0
	v_lshrrev_b32_e32 v234, 16, v232
	s_set_vgpr_msb 4                        ;  msbs: dst=0 src0=0 src1=1 src2=0
	v_sub_nc_u16 v0, v0, v15 /*v271*/
	s_set_vgpr_msb 0                        ;  msbs: dst=0 src0=0 src1=0 src2=0
	v_lshrrev_b16 v233, 8, v232
	s_set_vgpr_msb 64                       ;  msbs: dst=1 src0=0 src1=0 src2=0
	v_sub_nc_u16 v17 /*v273*/, v232, v235
	s_set_vgpr_msb 4                        ;  msbs: dst=0 src0=0 src1=1 src2=0
	v_dot4_i32_iu8 v224, v245, v4 /*v260*/, v224 neg_lo:[1,1,0]
	s_set_vgpr_msb 0x44                     ;  msbs: dst=1 src0=0 src1=1 src2=0
	v_sub_nc_u16 v16 /*v272*/, v234, v16 /*v272*/
	s_set_vgpr_msb 1                        ;  msbs: dst=0 src0=1 src1=0 src2=0
	v_lshlrev_b16 v0, 8, v0
	ds_load_2addr_b32 v[234:235], v11 /*v267*/ offset0:2 offset1:3
	v_bfe_i32 v245, v17 /*v273*/, 0, 8
	s_set_vgpr_msb 0x41                     ;  msbs: dst=1 src0=1 src1=0 src2=0
	v_bitop3_b16 v15 /*v271*/, v16 /*v272*/, v0, 0xff bitop3:0xec
	s_set_vgpr_msb 4                        ;  msbs: dst=0 src0=0 src1=1 src2=0
	v_sub_nc_u16 v0, v233, v12 /*v268*/
	s_set_vgpr_msb 0                        ;  msbs: dst=0 src0=0 src1=0 src2=0
	v_mul_i32_i24_e32 v222, v222, v245
	s_set_vgpr_msb 64                       ;  msbs: dst=1 src0=0 src1=0 src2=0
	s_delay_alu instid0(VALU_DEP_2) | instskip(SKIP_2) | instid1(VALU_DEP_2)
	v_lshlrev_b16 v12 /*v268*/, 8, v0
	s_set_vgpr_msb 1                        ;  msbs: dst=0 src0=1 src1=0 src2=0
	v_add_nc_u32_e32 v0, 0x3188, v237
	v_bfe_i32 v225, v12 /*v268*/, 8, 8
	s_set_vgpr_msb 0                        ;  msbs: dst=0 src0=0 src1=0 src2=0
	ds_load_2addr_b32 v[232:233], v0 offset1:1
	s_wait_dscnt 0x1
	v_dual_ashrrev_i32 v234, s19, v234 :: v_dual_ashrrev_i32 v235, s19, v235
	v_mul_i32_i24_e32 v223, v223, v225
	s_delay_alu instid0(VALU_DEP_2) | instskip(NEXT) | instid1(VALU_DEP_2)
	v_dual_lshlrev_b32 v234, 2, v234 :: v_dual_lshlrev_b32 v235, 2, v235
	v_add3_u32 v222, v224, v222, v223
	s_set_vgpr_msb 5                        ;  msbs: dst=0 src0=1 src1=1 src2=0
	v_perm_b32 v223, v15 /*v271*/, v16 /*v272*/, 0xc0c0500
	s_set_vgpr_msb 0                        ;  msbs: dst=0 src0=0 src1=0 src2=0
	v_and_b32_e32 v234, 0x4040404, v234
	v_and_b32_e32 v235, 0x4040404, v235
	s_delay_alu instid0(VALU_DEP_3) | instskip(SKIP_1) | instid1(VALU_DEP_3)
	v_dot4_i32_iu8 v1, v1, v223, v222 neg_lo:[1,1,0]
	s_set_vgpr_msb 64                       ;  msbs: dst=1 src0=0 src1=0 src2=0
	v_lshrrev_b32_e32 v27 /*v283*/, 24, v234
	s_wait_dscnt 0x0
	s_set_vgpr_msb 0                        ;  msbs: dst=0 src0=0 src1=0 src2=0
	v_ashrrev_i32_e32 v0, s20, v232
	s_set_vgpr_msb 64                       ;  msbs: dst=1 src0=0 src1=0 src2=0
	v_dual_lshrrev_b32 v28 /*v284*/, 16, v234 :: v_dual_lshrrev_b32 v29 /*v285*/, 16, v235
	v_lshrrev_b16 v20 /*v276*/, 8, v234
	v_lshrrev_b16 v30 /*v286*/, 8, v235
	s_set_vgpr_msb 0                        ;  msbs: dst=0 src0=0 src1=0 src2=0
	v_and_b32_e32 v232, 0x3030303, v0
	v_bfe_u32 v0, v0, 24, 2
	s_set_vgpr_msb 64                       ;  msbs: dst=1 src0=0 src1=0 src2=0
	s_delay_alu instid0(VALU_DEP_2) | instskip(SKIP_1) | instid1(VALU_DEP_2)
	v_lshrrev_b32_e32 v19 /*v275*/, 16, v232
	s_set_vgpr_msb 4                        ;  msbs: dst=0 src0=0 src1=1 src2=0
	v_sub_nc_u16 v0, v0, v27 /*v283*/
	s_set_vgpr_msb 64                       ;  msbs: dst=1 src0=0 src1=0 src2=0
	v_lshrrev_b16 v18 /*v274*/, 8, v232
	s_set_vgpr_msb 0x45                     ;  msbs: dst=1 src0=1 src1=1 src2=0
	v_sub_nc_u16 v19 /*v275*/, v19 /*v275*/, v28 /*v284*/
	s_set_vgpr_msb 0                        ;  msbs: dst=0 src0=0 src1=0 src2=0
	v_lshlrev_b16 v0, 8, v0
	s_set_vgpr_msb 0x41                     ;  msbs: dst=1 src0=1 src1=0 src2=0
	v_lshrrev_b32_e32 v28 /*v284*/, 24, v235
	s_delay_alu instid0(VALU_DEP_2) | instskip(SKIP_4) | instid1(VALU_DEP_2)
	v_bitop3_b16 v27 /*v283*/, v19 /*v275*/, v0, 0xff bitop3:0xec
	s_set_vgpr_msb 5                        ;  msbs: dst=0 src0=1 src1=1 src2=0
	v_sub_nc_u16 v0, v18 /*v274*/, v20 /*v276*/
	s_set_vgpr_msb 64                       ;  msbs: dst=1 src0=0 src1=0 src2=0
	v_sub_nc_u16 v20 /*v276*/, v232, v234
	v_lshlrev_b16 v18 /*v274*/, 8, v0
	s_set_vgpr_msb 0                        ;  msbs: dst=0 src0=0 src1=0 src2=0
	v_ashrrev_i32_e32 v0, s20, v233
	s_set_vgpr_msb 0x41                     ;  msbs: dst=1 src0=1 src1=0 src2=0
	v_bfe_i32 v13 /*v269*/, v20 /*v276*/, 0, 8
	s_set_vgpr_msb 0                        ;  msbs: dst=0 src0=0 src1=0 src2=0
	s_delay_alu instid0(VALU_DEP_2) | instskip(SKIP_3) | instid1(VALU_DEP_2)
	v_bfe_u32 v232, v0, 24, 2
	v_and_b32_e32 v0, 0x3030303, v0
	s_set_vgpr_msb 1                        ;  msbs: dst=0 src0=1 src1=0 src2=0
	v_mad_i32_i24 v1, v13 /*v269*/, v218, v1
	v_lshrrev_b16 v234, 8, v0
	v_lshrrev_b32_e32 v233, 16, v0
	s_set_vgpr_msb 64                       ;  msbs: dst=1 src0=0 src1=0 src2=0
	v_sub_nc_u16 v31 /*v287*/, v0, v235
	s_set_vgpr_msb 4                        ;  msbs: dst=0 src0=0 src1=1 src2=0
	v_sub_nc_u16 v0, v234, v30 /*v286*/
	s_set_vgpr_msb 0x44                     ;  msbs: dst=1 src0=0 src1=1 src2=0
	v_sub_nc_u16 v29 /*v285*/, v233, v29 /*v285*/
	s_set_vgpr_msb 1                        ;  msbs: dst=0 src0=1 src1=0 src2=0
	ds_load_2addr_b32 v[234:235], v11 /*v267*/ offset0:4 offset1:5
	v_lshlrev_b16 v0, 8, v0
	s_set_vgpr_msb 0x41                     ;  msbs: dst=1 src0=1 src1=0 src2=0
	s_delay_alu instid0(VALU_DEP_1) | instskip(SKIP_3) | instid1(VALU_DEP_1)
	v_bitop3_b16 v30 /*v286*/, v31 /*v287*/, v0, 0xff bitop3:0xec
	s_set_vgpr_msb 4                        ;  msbs: dst=0 src0=0 src1=1 src2=0
	v_sub_nc_u16 v0, v232, v28 /*v284*/
	s_set_vgpr_msb 0                        ;  msbs: dst=0 src0=0 src1=0 src2=0
	v_lshlrev_b16 v0, 8, v0
	s_set_vgpr_msb 0x41                     ;  msbs: dst=1 src0=1 src1=0 src2=0
	s_delay_alu instid0(VALU_DEP_1)
	v_bitop3_b16 v28 /*v284*/, v29 /*v285*/, v0, 0xff bitop3:0xec
	s_set_vgpr_msb 0                        ;  msbs: dst=0 src0=0 src1=0 src2=0
	v_add_nc_u32_e32 v0, 0x3190, v237
	s_wait_dscnt 0x0
	v_dual_ashrrev_i32 v234, s19, v234 :: v_dual_ashrrev_i32 v235, s19, v235
	ds_load_2addr_b32 v[232:233], v0 offset1:1
	v_dual_lshlrev_b32 v234, 2, v234 :: v_dual_lshlrev_b32 v235, 2, v235
	s_delay_alu instid0(VALU_DEP_1) | instskip(NEXT) | instid1(VALU_DEP_2)
	v_and_b32_e32 v234, 0x4040404, v234
	v_and_b32_e32 v235, 0x4040404, v235
	s_set_vgpr_msb 64                       ;  msbs: dst=1 src0=0 src1=0 src2=0
	s_delay_alu instid0(VALU_DEP_2) | instskip(SKIP_1) | instid1(VALU_DEP_3)
	v_dual_lshrrev_b32 v35 /*v291*/, 24, v234 :: v_dual_lshrrev_b32 v36 /*v292*/, 16, v234
	v_lshrrev_b16 v34 /*v290*/, 8, v234
	v_dual_lshrrev_b32 v37 /*v293*/, 24, v235 :: v_dual_lshrrev_b32 v38 /*v294*/, 16, v235
	s_wait_dscnt 0x0
	s_set_vgpr_msb 0                        ;  msbs: dst=0 src0=0 src1=0 src2=0
	v_ashrrev_i32_e32 v0, s20, v232
	s_delay_alu instid0(VALU_DEP_1) | instskip(SKIP_2) | instid1(VALU_DEP_2)
	v_and_b32_e32 v232, 0x3030303, v0
	v_bfe_u32 v0, v0, 24, 2
	s_set_vgpr_msb 64                       ;  msbs: dst=1 src0=0 src1=0 src2=0
	v_lshrrev_b32_e32 v33 /*v289*/, 16, v232
	s_set_vgpr_msb 4                        ;  msbs: dst=0 src0=0 src1=1 src2=0
	s_delay_alu instid0(VALU_DEP_2)
	v_sub_nc_u16 v0, v0, v35 /*v291*/
	s_set_vgpr_msb 64                       ;  msbs: dst=1 src0=0 src1=0 src2=0
	v_lshrrev_b16 v32 /*v288*/, 8, v232
	s_set_vgpr_msb 0x45                     ;  msbs: dst=1 src0=1 src1=1 src2=0
	v_sub_nc_u16 v33 /*v289*/, v33 /*v289*/, v36 /*v292*/
	s_set_vgpr_msb 0                        ;  msbs: dst=0 src0=0 src1=0 src2=0
	v_lshlrev_b16 v0, 8, v0
	s_set_vgpr_msb 64                       ;  msbs: dst=1 src0=0 src1=0 src2=0
	v_sub_nc_u16 v36 /*v292*/, v232, v234
	s_set_vgpr_msb 0x41                     ;  msbs: dst=1 src0=1 src1=0 src2=0
	s_delay_alu instid0(VALU_DEP_2)
	v_bitop3_b16 v35 /*v291*/, v33 /*v289*/, v0, 0xff bitop3:0xec
	s_set_vgpr_msb 5                        ;  msbs: dst=0 src0=1 src1=1 src2=0
	v_sub_nc_u16 v0, v32 /*v288*/, v34 /*v290*/
	s_set_vgpr_msb 0x41                     ;  msbs: dst=1 src0=1 src1=0 src2=0
	v_lshrrev_b16 v34 /*v290*/, 8, v235
	v_bfe_i32 v20 /*v276*/, v36 /*v292*/, 0, 8
	s_delay_alu instid0(VALU_DEP_3)
	v_lshlrev_b16 v32 /*v288*/, 8, v0
	s_set_vgpr_msb 0                        ;  msbs: dst=0 src0=0 src1=0 src2=0
	v_ashrrev_i32_e32 v0, s20, v233
	s_set_vgpr_msb 4                        ;  msbs: dst=0 src0=0 src1=1 src2=0
	v_mul_i32_i24_e32 v218, v219, v20 /*v276*/
	s_set_vgpr_msb 0x41                     ;  msbs: dst=1 src0=1 src1=0 src2=0
	v_bfe_i32 v17 /*v273*/, v32 /*v288*/, 8, 8
	s_set_vgpr_msb 0                        ;  msbs: dst=0 src0=0 src1=0 src2=0
	v_and_b32_e32 v232, 0x3030303, v0
	s_set_vgpr_msb 4                        ;  msbs: dst=0 src0=0 src1=1 src2=0
	s_delay_alu instid0(VALU_DEP_2) | instskip(SKIP_1) | instid1(VALU_DEP_2)
	v_mad_i32_i24 v218, v220, v17 /*v273*/, v218
	s_set_vgpr_msb 0                        ;  msbs: dst=0 src0=0 src1=0 src2=0
	v_lshrrev_b32_e32 v234, 16, v232
	v_bfe_u32 v0, v0, 24, 2
	v_lshrrev_b16 v233, 8, v232
	s_set_vgpr_msb 64                       ;  msbs: dst=1 src0=0 src1=0 src2=0
	v_sub_nc_u16 v39 /*v295*/, v232, v235
	s_set_vgpr_msb 5                        ;  msbs: dst=0 src0=1 src1=1 src2=0
	v_perm_b32 v220, v35 /*v291*/, v33 /*v289*/, 0xc0c0500
	s_set_vgpr_msb 0x44                     ;  msbs: dst=1 src0=0 src1=1 src2=0
	v_sub_nc_u16 v38 /*v294*/, v234, v38 /*v294*/
	s_set_vgpr_msb 4                        ;  msbs: dst=0 src0=0 src1=1 src2=0
	v_sub_nc_u16 v0, v0, v37 /*v293*/
	s_set_vgpr_msb 1                        ;  msbs: dst=0 src0=1 src1=0 src2=0
	ds_load_2addr_b32 v[234:235], v11 /*v267*/ offset0:6 offset1:7
	s_set_vgpr_msb 0                        ;  msbs: dst=0 src0=0 src1=0 src2=0
	v_dot4_i32_iu8 v218, v246, v220, v218 neg_lo:[1,1,0]
	s_set_vgpr_msb 1                        ;  msbs: dst=0 src0=1 src1=0 src2=0
	v_bfe_i32 v246, v39 /*v295*/, 0, 8
	v_lshlrev_b16 v0, 8, v0
	s_set_vgpr_msb 0                        ;  msbs: dst=0 src0=0 src1=0 src2=0
	s_delay_alu instid0(VALU_DEP_2) | instskip(SKIP_1) | instid1(VALU_DEP_2)
	v_mul_i32_i24_e32 v215, v215, v246
	s_set_vgpr_msb 0x41                     ;  msbs: dst=1 src0=1 src1=0 src2=0
	v_bitop3_b16 v37 /*v293*/, v38 /*v294*/, v0, 0xff bitop3:0xec
	s_set_vgpr_msb 4                        ;  msbs: dst=0 src0=0 src1=1 src2=0
	v_sub_nc_u16 v0, v233, v34 /*v290*/
	s_set_vgpr_msb 64                       ;  msbs: dst=1 src0=0 src1=0 src2=0
	s_delay_alu instid0(VALU_DEP_1)
	v_lshlrev_b16 v34 /*v290*/, 8, v0
	s_set_vgpr_msb 0                        ;  msbs: dst=0 src0=0 src1=0 src2=0
	v_add_nc_u32_e32 v0, 0x3198, v237
	s_wait_dscnt 0x0
	v_ashrrev_i32_e32 v234, s19, v234
	ds_load_2addr_b32 v[232:233], v0 offset1:1
	v_ashrrev_i32_e32 v235, s19, v235
	s_set_vgpr_msb 1                        ;  msbs: dst=0 src0=1 src1=0 src2=0
	v_bfe_i32 v219, v34 /*v290*/, 8, 8
	s_delay_alu instid0(VALU_DEP_2) | instskip(SKIP_1) | instid1(VALU_DEP_2)
	v_dual_lshlrev_b32 v234, 2, v234 :: v_dual_lshlrev_b32 v235, 2, v235
	s_set_vgpr_msb 0                        ;  msbs: dst=0 src0=0 src1=0 src2=0
	v_mul_i32_i24_e32 v216, v216, v219
	s_delay_alu instid0(VALU_DEP_2) | instskip(NEXT) | instid1(VALU_DEP_3)
	v_and_b32_e32 v234, 0x4040404, v234
	v_and_b32_e32 v235, 0x4040404, v235
	s_delay_alu instid0(VALU_DEP_3)
	v_add3_u32 v215, v218, v215, v216
	s_set_vgpr_msb 5                        ;  msbs: dst=0 src0=1 src1=1 src2=0
	v_perm_b32 v216, v37 /*v293*/, v38 /*v294*/, 0xc0c0500
	s_set_vgpr_msb 64                       ;  msbs: dst=1 src0=0 src1=0 src2=0
	v_dual_lshrrev_b32 v41 /*v297*/, 24, v234 :: v_dual_lshrrev_b32 v42 /*v298*/, 16, v234
	v_lshrrev_b32_e32 v43 /*v299*/, 24, v235
	v_lshrrev_b16 v11 /*v267*/, 8, v234
	v_lshrrev_b32_e32 v44 /*v300*/, 16, v235
	s_set_vgpr_msb 0                        ;  msbs: dst=0 src0=0 src1=0 src2=0
	v_dot4_i32_iu8 v5, v5, v216, v215 neg_lo:[1,1,0]
	s_wait_dscnt 0x0
	v_ashrrev_i32_e32 v0, s20, v232
	s_delay_alu instid0(VALU_DEP_1) | instskip(SKIP_2) | instid1(VALU_DEP_2)
	v_and_b32_e32 v232, 0x3030303, v0
	v_bfe_u32 v0, v0, 24, 2
	s_set_vgpr_msb 64                       ;  msbs: dst=1 src0=0 src1=0 src2=0
	v_lshrrev_b32_e32 v40 /*v296*/, 16, v232
	s_set_vgpr_msb 0                        ;  msbs: dst=0 src0=0 src1=0 src2=0
	v_lshrrev_b16 v237, 8, v232
	v_sub_nc_u16 v232, v232, v234
	s_set_vgpr_msb 4                        ;  msbs: dst=0 src0=0 src1=1 src2=0
	v_sub_nc_u16 v0, v0, v41 /*v297*/
	s_set_vgpr_msb 0x45                     ;  msbs: dst=1 src0=1 src1=1 src2=0
	v_sub_nc_u16 v40 /*v296*/, v40 /*v296*/, v42 /*v298*/
	s_set_vgpr_msb 64                       ;  msbs: dst=1 src0=0 src1=0 src2=0
	v_lshrrev_b16 v42 /*v298*/, 8, v235
	v_bfe_i32 v32 /*v288*/, v232, 0, 8
	s_set_vgpr_msb 1                        ;  msbs: dst=0 src0=1 src1=0 src2=0
	v_lshlrev_b16 v0, 8, v0
	s_delay_alu instid0(VALU_DEP_2) | instskip(SKIP_1) | instid1(VALU_DEP_2)
	v_mad_i32_i24 v215, v32 /*v288*/, v114, v5
	s_set_vgpr_msb 0x41                     ;  msbs: dst=1 src0=1 src1=0 src2=0
	v_bitop3_b16 v41 /*v297*/, v40 /*v296*/, v0, 0xff bitop3:0xec
	s_set_vgpr_msb 4                        ;  msbs: dst=0 src0=0 src1=1 src2=0
	v_sub_nc_u16 v0, v237, v11 /*v267*/
	s_set_vgpr_msb 0                        ;  msbs: dst=0 src0=0 src1=0 src2=0
	v_or_b32_e32 v5, s18, v138
	s_set_vgpr_msb 64                       ;  msbs: dst=1 src0=0 src1=0 src2=0
	s_delay_alu instid0(VALU_DEP_2) | instskip(SKIP_3) | instid1(VALU_DEP_2)
	v_lshlrev_b16 v11 /*v267*/, 8, v0
	s_set_vgpr_msb 0                        ;  msbs: dst=0 src0=0 src1=0 src2=0
	v_ashrrev_i32_e32 v0, s20, v233
	v_dual_lshlrev_b32 v216, 2, v5 :: v_dual_lshrrev_b32 v5, 1, v5
	v_and_b32_e32 v233, 0x3030303, v0
	v_bfe_u32 v0, v0, 24, 2
	s_delay_alu instid0(VALU_DEP_2) | instskip(SKIP_1) | instid1(VALU_DEP_2)
	v_lshrrev_b32_e32 v237, 16, v233
	s_set_vgpr_msb 4                        ;  msbs: dst=0 src0=0 src1=1 src2=0
	v_sub_nc_u16 v0, v0, v43 /*v299*/
	s_set_vgpr_msb 0                        ;  msbs: dst=0 src0=0 src1=0 src2=0
	v_lshrrev_b16 v234, 8, v233
	s_set_vgpr_msb 64                       ;  msbs: dst=1 src0=0 src1=0 src2=0
	v_sub_nc_u16 v45 /*v301*/, v233, v235
	s_set_vgpr_msb 0x44                     ;  msbs: dst=1 src0=0 src1=1 src2=0
	v_sub_nc_u16 v44 /*v300*/, v237, v44 /*v300*/
	s_set_vgpr_msb 0                        ;  msbs: dst=0 src0=0 src1=0 src2=0
	v_lshlrev_b16 v0, 8, v0
	v_perm_b32 v237, v244, v244, 0xc0c0c01
	s_set_vgpr_msb 0x41                     ;  msbs: dst=1 src0=1 src1=0 src2=0
	s_delay_alu instid0(VALU_DEP_2) | instskip(SKIP_3) | instid1(VALU_DEP_1)
	v_bitop3_b16 v43 /*v299*/, v44 /*v300*/, v0, 0xff bitop3:0xec
	s_set_vgpr_msb 4                        ;  msbs: dst=0 src0=0 src1=1 src2=0
	v_sub_nc_u16 v0, v234, v42 /*v298*/
	s_set_vgpr_msb 64                       ;  msbs: dst=1 src0=0 src1=0 src2=0
	v_lshlrev_b16 v42 /*v298*/, 8, v0
	s_set_vgpr_msb 0                        ;  msbs: dst=0 src0=0 src1=0 src2=0
	v_add3_u32 v0, s23, v159, v150
	ds_load_b32 v0, v0
	ds_load_b32 v114, v5 offset:38816
	ds_load_b128 v[222:225], v216 offset:25344
	ds_load_b128 v[232:235], v216 offset:25360
	s_wait_dscnt 0x1
	v_bfe_i32 v216, v222, 0, 8
	v_bfe_i32 v218, v222, 8, 8
	v_perm_b32 v222, v222, v222, 0xc0c0302
	v_bfe_i32 v219, v223, 0, 8
	v_perm_b32 v223, v223, v223, 0xc030201
	s_set_vgpr_msb 64                       ;  msbs: dst=1 src0=0 src1=0 src2=0
	v_bfe_i32 v33 /*v289*/, v224, 0, 8
	v_perm_b32 v50 /*v306*/, v224, v224, 0xc030201
	v_bfe_i32 v35 /*v291*/, v225, 0, 8
	s_set_vgpr_msb 0                        ;  msbs: dst=0 src0=0 src1=0 src2=0
	v_perm_b32 v226, v225, v225, 0xc030201
	s_wait_dscnt 0x0
	s_set_vgpr_msb 64                       ;  msbs: dst=1 src0=0 src1=0 src2=0
	v_bfe_i32 v36 /*v292*/, v232, 0, 8
	v_bfe_i32 v39 /*v295*/, v232, 8, 8
	s_set_vgpr_msb 0                        ;  msbs: dst=0 src0=0 src1=0 src2=0
	v_perm_b32 v230, v232, v232, 0xc0c0302
	s_set_vgpr_msb 64                       ;  msbs: dst=1 src0=0 src1=0 src2=0
	v_bfe_i32 v47 /*v303*/, v233, 0, 8
	s_set_vgpr_msb 0                        ;  msbs: dst=0 src0=0 src1=0 src2=0
	v_perm_b32 v231, v233, v233, 0xc030201
	s_set_vgpr_msb 64                       ;  msbs: dst=1 src0=0 src1=0 src2=0
	v_bfe_i32 v48 /*v304*/, v234, 0, 8
	s_set_vgpr_msb 0                        ;  msbs: dst=0 src0=0 src1=0 src2=0
	v_perm_b32 v232, v234, v234, 0xc030201
	v_perm_b32 v233, v240, v239, 0xc05000c
	;; [unrolled: 1-line block ×3, first 2 shown]
	s_set_vgpr_msb 64                       ;  msbs: dst=1 src0=0 src1=0 src2=0
	v_bfe_i32 v49 /*v305*/, v235, 0, 8
	s_set_vgpr_msb 5                        ;  msbs: dst=0 src0=1 src1=1 src2=0
	v_perm_b32 v239, v21 /*v277*/, v21 /*v277*/, 0xc0c0c01
	s_set_vgpr_msb 0                        ;  msbs: dst=0 src0=0 src1=0 src2=0
	v_mul_i32_i24_e32 v5, v216, v166
	s_set_vgpr_msb 1                        ;  msbs: dst=0 src0=1 src1=0 src2=0
	v_mul_i32_i24_e32 v227, v36 /*v292*/, v174
	s_set_vgpr_msb 0                        ;  msbs: dst=0 src0=0 src1=0 src2=0
	v_or_b32_e32 v233, v233, v234
	v_perm_b32 v234, v235, v235, 0xc030201
	v_perm_b32 v235, v243, v242, 0xc05000c
	v_mad_i32_i24 v5, v218, v167, v5
	s_set_vgpr_msb 1                        ;  msbs: dst=0 src0=1 src1=0 src2=0
	v_mad_i32_i24 v227, v39 /*v295*/, v175, v227
	s_set_vgpr_msb 0                        ;  msbs: dst=0 src0=0 src1=0 src2=0
	v_or_b32_e32 v235, v235, v237
	v_perm_b32 v237, v255, v255, 0xc0c0c01
	v_dot4_i32_iu8 v5, v222, v168, v5 neg_lo:[1,1,0]
	v_dot4_i32_iu8 v227, v230, v176, v227 neg_lo:[1,1,0]
	s_delay_alu instid0(VALU_DEP_2) | instskip(SKIP_1) | instid1(VALU_DEP_2)
	v_mad_i32_i24 v5, v219, v170, v5
	s_set_vgpr_msb 1                        ;  msbs: dst=0 src0=1 src1=0 src2=0
	v_mad_i32_i24 v227, v47 /*v303*/, v178, v227
	s_set_vgpr_msb 0                        ;  msbs: dst=0 src0=0 src1=0 src2=0
	s_delay_alu instid0(VALU_DEP_2) | instskip(NEXT) | instid1(VALU_DEP_2)
	v_dot4_i32_iu8 v5, v223, v172, v5 neg_lo:[1,1,0]
	v_dot4_i32_iu8 v227, v231, v180, v227 neg_lo:[1,1,0]
	s_set_vgpr_msb 4                        ;  msbs: dst=0 src0=0 src1=1 src2=0
	s_delay_alu instid0(VALU_DEP_2) | instskip(NEXT) | instid1(VALU_DEP_2)
	v_mad_i32_i24 v5, v169, v33 /*v289*/, v5
	v_mad_i32_i24 v227, v177, v48 /*v304*/, v227
	s_delay_alu instid0(VALU_DEP_2) | instskip(SKIP_1) | instid1(VALU_DEP_2)
	v_dot4_i32_iu8 v5, v228, v50 /*v306*/, v5 neg_lo:[1,1,0]
	s_set_vgpr_msb 0                        ;  msbs: dst=0 src0=0 src1=0 src2=0
	v_dot4_i32_iu8 v227, v233, v232, v227 neg_lo:[1,1,0]
	s_set_vgpr_msb 4                        ;  msbs: dst=0 src0=0 src1=1 src2=0
	s_delay_alu instid0(VALU_DEP_2) | instskip(NEXT) | instid1(VALU_DEP_2)
	v_mad_i32_i24 v5, v171, v35 /*v291*/, v5
	v_mad_i32_i24 v227, v179, v49 /*v305*/, v227
	s_set_vgpr_msb 0                        ;  msbs: dst=0 src0=0 src1=0 src2=0
	s_delay_alu instid0(VALU_DEP_2) | instskip(NEXT) | instid1(VALU_DEP_2)
	v_dot4_i32_iu8 v5, v229, v226, v5 neg_lo:[1,1,0]
	v_dot4_i32_iu8 v227, v235, v234, v227 neg_lo:[1,1,0]
	s_delay_alu instid0(VALU_DEP_2) | instskip(NEXT) | instid1(VALU_DEP_1)
	v_mul_lo_u32 v5, v5, v173
	v_mad_u32 v5, v227, v181, v5
	v_mul_f32_e32 v227, v165, v114
	s_delay_alu instid0(VALU_DEP_2) | instskip(NEXT) | instid1(VALU_DEP_1)
	v_cvt_f32_i32_e32 v5, v5
	v_mul_f32_e32 v5, v227, v5
	v_perm_b32 v227, v249, v249, 0xc0c0c01
	s_delay_alu instid0(VALU_DEP_2) | instskip(SKIP_2) | instid1(VALU_DEP_2)
	v_pk_add_f32 v[46:47], v[46:47], v[4:5]
	v_mul_i32_i24_e32 v4, v216, v183
	v_perm_b32 v5, v248, v247, 0xc05000c
	v_mad_i32_i24 v4, v218, v184, v4
	s_delay_alu instid0(VALU_DEP_2) | instskip(SKIP_2) | instid1(VALU_DEP_4)
	v_or_b32_e32 v240, v5, v227
	v_perm_b32 v5, v251, v250, 0xc05000c
	v_perm_b32 v227, v252, v252, 0xc0c0c01
	v_dot4_i32_iu8 v4, v222, v185, v4 neg_lo:[1,1,0]
	s_delay_alu instid0(VALU_DEP_2)
	v_or_b32_e32 v241, v5, v227
	s_set_vgpr_msb 1                        ;  msbs: dst=0 src0=1 src1=0 src2=0
	v_mul_i32_i24_e32 v5, v36 /*v292*/, v191
	s_set_vgpr_msb 0                        ;  msbs: dst=0 src0=0 src1=0 src2=0
	v_perm_b32 v227, v254, v253, 0xc05000c
	v_mad_i32_i24 v4, v219, v186, v4
	s_set_vgpr_msb 1                        ;  msbs: dst=0 src0=1 src1=0 src2=0
	v_mad_i32_i24 v5, v39 /*v295*/, v192, v5
	s_set_vgpr_msb 0                        ;  msbs: dst=0 src0=0 src1=0 src2=0
	v_or_b32_e32 v242, v227, v237
	s_set_vgpr_msb 5                        ;  msbs: dst=0 src0=1 src1=1 src2=0
	v_perm_b32 v227, v1 /*v257*/, v0 /*v256*/, 0xc05000c
	v_perm_b32 v237, v2 /*v258*/, v2 /*v258*/, 0xc0c0c01
	s_set_vgpr_msb 0                        ;  msbs: dst=0 src0=0 src1=0 src2=0
	v_dot4_i32_iu8 v4, v223, v189, v4 neg_lo:[1,1,0]
	v_dot4_i32_iu8 v5, v230, v193, v5 neg_lo:[1,1,0]
	s_delay_alu instid0(VALU_DEP_3)
	v_or_b32_e32 v243, v227, v237
	s_set_vgpr_msb 5                        ;  msbs: dst=0 src0=1 src1=1 src2=0
	v_perm_b32 v227, v5 /*v261*/, v5 /*v261*/, 0xc0c0c01
	s_set_vgpr_msb 4                        ;  msbs: dst=0 src0=0 src1=1 src2=0
	v_mad_i32_i24 v4, v187, v33 /*v289*/, v4
	s_set_vgpr_msb 1                        ;  msbs: dst=0 src0=1 src1=0 src2=0
	v_mad_i32_i24 v5, v47 /*v303*/, v194, v5
	s_set_vgpr_msb 4                        ;  msbs: dst=0 src0=0 src1=1 src2=0
	s_delay_alu instid0(VALU_DEP_2) | instskip(SKIP_1) | instid1(VALU_DEP_2)
	v_dot4_i32_iu8 v4, v240, v50 /*v306*/, v4 neg_lo:[1,1,0]
	s_set_vgpr_msb 0                        ;  msbs: dst=0 src0=0 src1=0 src2=0
	v_dot4_i32_iu8 v5, v231, v197, v5 neg_lo:[1,1,0]
	s_set_vgpr_msb 4                        ;  msbs: dst=0 src0=0 src1=1 src2=0
	s_delay_alu instid0(VALU_DEP_2) | instskip(NEXT) | instid1(VALU_DEP_2)
	v_mad_i32_i24 v4, v188, v35 /*v291*/, v4
	v_mad_i32_i24 v5, v195, v48 /*v304*/, v5
	s_set_vgpr_msb 0                        ;  msbs: dst=0 src0=0 src1=0 src2=0
	s_delay_alu instid0(VALU_DEP_2) | instskip(NEXT) | instid1(VALU_DEP_2)
	v_dot4_i32_iu8 v4, v241, v226, v4 neg_lo:[1,1,0]
	v_dot4_i32_iu8 v5, v242, v232, v5 neg_lo:[1,1,0]
	s_delay_alu instid0(VALU_DEP_2) | instskip(SKIP_1) | instid1(VALU_DEP_2)
	v_mul_lo_u32 v4, v4, v190
	s_set_vgpr_msb 4                        ;  msbs: dst=0 src0=0 src1=1 src2=0
	v_mad_i32_i24 v5, v196, v49 /*v305*/, v5
	s_set_vgpr_msb 0                        ;  msbs: dst=0 src0=0 src1=0 src2=0
	s_delay_alu instid0(VALU_DEP_1) | instskip(NEXT) | instid1(VALU_DEP_1)
	v_dot4_i32_iu8 v5, v243, v234, v5 neg_lo:[1,1,0]
	v_mad_u32 v4, v5, v198, v4
	v_mul_f32_e32 v5, v182, v114
	s_delay_alu instid0(VALU_DEP_2) | instskip(NEXT) | instid1(VALU_DEP_1)
	v_cvt_f32_i32_e32 v4, v4
	v_mul_f32_e32 v237, v5, v4
	v_mul_i32_i24_e32 v4, v216, v201
	s_set_vgpr_msb 5                        ;  msbs: dst=0 src0=1 src1=1 src2=0
	v_perm_b32 v5, v8 /*v264*/, v6 /*v262*/, 0xc05000c
	s_set_vgpr_msb 0                        ;  msbs: dst=0 src0=0 src1=0 src2=0
	v_pk_add_f32 v[44:45], v[44:45], v[236:237]
	v_mad_i32_i24 v4, v218, v202, v4
	s_delay_alu instid0(VALU_DEP_3)
	v_or_b32_e32 v236, v5, v227
	s_set_vgpr_msb 5                        ;  msbs: dst=0 src0=1 src1=1 src2=0
	v_perm_b32 v5, v10 /*v266*/, v7 /*v263*/, 0xc05000c
	v_perm_b32 v227, v9 /*v265*/, v9 /*v265*/, 0xc0c0c01
	s_set_vgpr_msb 0                        ;  msbs: dst=0 src0=0 src1=0 src2=0
	v_dot4_i32_iu8 v4, v222, v203, v4 neg_lo:[1,1,0]
	s_delay_alu instid0(VALU_DEP_2)
	v_or_b32_e32 v237, v5, v227
	s_set_vgpr_msb 1                        ;  msbs: dst=0 src0=1 src1=0 src2=0
	v_mul_i32_i24_e32 v5, v36 /*v292*/, v209
	s_set_vgpr_msb 5                        ;  msbs: dst=0 src0=1 src1=1 src2=0
	v_perm_b32 v227, v23 /*v279*/, v22 /*v278*/, 0xc05000c
	s_set_vgpr_msb 0                        ;  msbs: dst=0 src0=0 src1=0 src2=0
	v_mad_i32_i24 v4, v219, v204, v4
	s_set_vgpr_msb 1                        ;  msbs: dst=0 src0=1 src1=0 src2=0
	v_mad_i32_i24 v5, v39 /*v295*/, v210, v5
	s_set_vgpr_msb 0                        ;  msbs: dst=0 src0=0 src1=0 src2=0
	v_or_b32_e32 v244, v227, v239
	s_set_vgpr_msb 5                        ;  msbs: dst=0 src0=1 src1=1 src2=0
	v_perm_b32 v227, v25 /*v281*/, v26 /*v282*/, 0xc05000c
	v_perm_b32 v239, v24 /*v280*/, v24 /*v280*/, 0xc0c0c01
	s_set_vgpr_msb 0                        ;  msbs: dst=0 src0=0 src1=0 src2=0
	v_dot4_i32_iu8 v4, v223, v207, v4 neg_lo:[1,1,0]
	v_dot4_i32_iu8 v5, v230, v211, v5 neg_lo:[1,1,0]
	s_delay_alu instid0(VALU_DEP_3) | instskip(SKIP_1) | instid1(VALU_DEP_3)
	v_or_b32_e32 v247, v227, v239
	s_set_vgpr_msb 4                        ;  msbs: dst=0 src0=0 src1=1 src2=0
	v_mad_i32_i24 v4, v205, v33 /*v289*/, v4
	s_set_vgpr_msb 1                        ;  msbs: dst=0 src0=1 src1=0 src2=0
	v_mad_i32_i24 v5, v47 /*v303*/, v212, v5
	s_set_vgpr_msb 4                        ;  msbs: dst=0 src0=0 src1=1 src2=0
	s_delay_alu instid0(VALU_DEP_2) | instskip(SKIP_1) | instid1(VALU_DEP_2)
	v_dot4_i32_iu8 v4, v236, v50 /*v306*/, v4 neg_lo:[1,1,0]
	s_set_vgpr_msb 0                        ;  msbs: dst=0 src0=0 src1=0 src2=0
	v_dot4_i32_iu8 v5, v231, v217, v5 neg_lo:[1,1,0]
	s_set_vgpr_msb 4                        ;  msbs: dst=0 src0=0 src1=1 src2=0
	s_delay_alu instid0(VALU_DEP_2) | instskip(NEXT) | instid1(VALU_DEP_2)
	v_mad_i32_i24 v4, v206, v35 /*v291*/, v4
	v_mad_i32_i24 v5, v213, v48 /*v304*/, v5
	s_set_vgpr_msb 0                        ;  msbs: dst=0 src0=0 src1=0 src2=0
	s_delay_alu instid0(VALU_DEP_2) | instskip(NEXT) | instid1(VALU_DEP_2)
	v_dot4_i32_iu8 v4, v237, v226, v4 neg_lo:[1,1,0]
	v_dot4_i32_iu8 v5, v244, v232, v5 neg_lo:[1,1,0]
	s_delay_alu instid0(VALU_DEP_2) | instskip(SKIP_1) | instid1(VALU_DEP_2)
	v_mul_lo_u32 v4, v4, v208
	s_set_vgpr_msb 4                        ;  msbs: dst=0 src0=0 src1=1 src2=0
	v_mad_i32_i24 v5, v214, v49 /*v305*/, v5
	s_set_vgpr_msb 0                        ;  msbs: dst=0 src0=0 src1=0 src2=0
	s_delay_alu instid0(VALU_DEP_1) | instskip(NEXT) | instid1(VALU_DEP_1)
	v_dot4_i32_iu8 v5, v247, v234, v5 neg_lo:[1,1,0]
	v_mad_u32 v4, v5, v221, v4
	v_mul_f32_e32 v5, v200, v114
	s_delay_alu instid0(VALU_DEP_2) | instskip(NEXT) | instid1(VALU_DEP_1)
	v_cvt_f32_i32_e32 v4, v4
	v_mul_f32_e32 v239, v5, v4
	s_set_vgpr_msb 1                        ;  msbs: dst=0 src0=1 src1=0 src2=0
	v_mul_i32_i24_e32 v4, v14 /*v270*/, v216
	s_set_vgpr_msb 5                        ;  msbs: dst=0 src0=1 src1=1 src2=0
	v_perm_b32 v5, v15 /*v271*/, v16 /*v272*/, 0xc05000c
	v_perm_b32 v216, v12 /*v268*/, v12 /*v268*/, 0xc0c0c01
	s_set_vgpr_msb 0                        ;  msbs: dst=0 src0=0 src1=0 src2=0
	v_pk_add_f32 v[42:43], v[42:43], v[238:239]
	s_set_vgpr_msb 1                        ;  msbs: dst=0 src0=1 src1=0 src2=0
	v_mad_i32_i24 v4, v3 /*v259*/, v218, v4
	s_set_vgpr_msb 5                        ;  msbs: dst=0 src0=1 src1=1 src2=0
	v_perm_b32 v218, v34 /*v290*/, v34 /*v290*/, 0xc0c0c01
	s_set_vgpr_msb 0                        ;  msbs: dst=0 src0=0 src1=0 src2=0
	v_or_b32_e32 v238, v5, v216
	s_set_vgpr_msb 5                        ;  msbs: dst=0 src0=1 src1=1 src2=0
	v_mul_i32_i24_e32 v5, v20 /*v276*/, v36 /*v292*/
	v_perm_b32 v216, v37 /*v293*/, v38 /*v294*/, 0xc05000c
	s_set_vgpr_msb 1                        ;  msbs: dst=0 src0=1 src1=0 src2=0
	v_dot4_i32_iu8 v4, v4 /*v260*/, v222, v4 neg_lo:[1,1,0]
	s_set_vgpr_msb 5                        ;  msbs: dst=0 src0=1 src1=1 src2=0
	v_mad_i32_i24 v5, v17 /*v273*/, v39 /*v295*/, v5
	s_set_vgpr_msb 0                        ;  msbs: dst=0 src0=0 src1=0 src2=0
	s_delay_alu instid0(VALU_DEP_2) | instskip(NEXT) | instid1(VALU_DEP_2)
	v_mad_i32_i24 v4, v245, v219, v4
	v_dot4_i32_iu8 v5, v220, v230, v5 neg_lo:[1,1,0]
	v_or_b32_e32 v230, v216, v218
	s_set_vgpr_msb 1                        ;  msbs: dst=0 src0=1 src1=0 src2=0
	ds_load_u16 v216, v46 /*v302*/
	s_set_vgpr_msb 0                        ;  msbs: dst=0 src0=0 src1=0 src2=0
	v_dot4_i32_iu8 v4, v238, v223, v4 neg_lo:[1,1,0]
	s_set_vgpr_msb 4                        ;  msbs: dst=0 src0=0 src1=1 src2=0
	v_mad_i32_i24 v5, v246, v47 /*v303*/, v5
	s_set_vgpr_msb 5                        ;  msbs: dst=0 src0=1 src1=1 src2=0
	s_delay_alu instid0(VALU_DEP_2) | instskip(SKIP_1) | instid1(VALU_DEP_2)
	v_mad_i32_i24 v4, v33 /*v289*/, v13 /*v269*/, v4
	s_set_vgpr_msb 0                        ;  msbs: dst=0 src0=0 src1=0 src2=0
	v_dot4_i32_iu8 v5, v230, v231, v5 neg_lo:[1,1,0]
	s_set_vgpr_msb 5                        ;  msbs: dst=0 src0=1 src1=1 src2=0
	v_bfe_i32 v231, v45 /*v301*/, 0, 8
	s_delay_alu instid0(VALU_DEP_2)
	v_mad_i32_i24 v5, v48 /*v304*/, v32 /*v288*/, v5
	s_wait_dscnt 0x0
	s_set_vgpr_msb 0                        ;  msbs: dst=0 src0=0 src1=0 src2=0
	v_lshrrev_b16 v218, 8, v216
	v_bfe_i32 v248, v216, 0, 8
	s_set_vgpr_msb 5                        ;  msbs: dst=0 src0=1 src1=1 src2=0
	v_perm_b32 v216, v19 /*v275*/, v18 /*v274*/, 0xc0c0401
	s_set_vgpr_msb 0                        ;  msbs: dst=0 src0=0 src1=0 src2=0
	v_bfe_i32 v239, v218, 0, 8
	v_perm_b32 v218, v224, v224, 0xc0c0201
	s_delay_alu instid0(VALU_DEP_1) | instskip(SKIP_4) | instid1(VALU_DEP_1)
	v_dot4_i32_iu8 v4, v218, v216, v4 neg_lo:[1,1,0]
	s_set_vgpr_msb 5                        ;  msbs: dst=0 src0=1 src1=1 src2=0
	v_perm_b32 v216, v41 /*v297*/, v40 /*v296*/, 0xc05000c
	v_perm_b32 v218, v11 /*v267*/, v11 /*v267*/, 0xc0c0c01
	s_set_vgpr_msb 0                        ;  msbs: dst=0 src0=0 src1=0 src2=0
	v_or_b32_e32 v249, v216, v218
	s_delay_alu instid0(VALU_DEP_1) | instskip(SKIP_1) | instid1(VALU_DEP_2)
	v_dot4_i32_iu8 v6, v6, v249, v215 neg_lo:[1,1,0]
	v_perm_b32 v215, v225, v224, 0xc0c0403
	v_mad_i32_i24 v6, v199, v231, v6
	s_set_vgpr_msb 5                        ;  msbs: dst=0 src0=1 src1=1 src2=0
	v_perm_b32 v199, v31 /*v287*/, v27 /*v283*/, 0xc0c0401
	s_set_vgpr_msb 0                        ;  msbs: dst=0 src0=0 src1=0 src2=0
	s_delay_alu instid0(VALU_DEP_1) | instskip(SKIP_4) | instid1(VALU_DEP_1)
	v_dot4_i32_iu8 v4, v215, v199, v4 neg_lo:[1,1,0]
	s_set_vgpr_msb 5                        ;  msbs: dst=0 src0=1 src1=1 src2=0
	v_perm_b32 v199, v28 /*v284*/, v29 /*v285*/, 0xc05000c
	v_perm_b32 v215, v30 /*v286*/, v30 /*v286*/, 0xc0c0c01
	s_set_vgpr_msb 0                        ;  msbs: dst=0 src0=0 src1=0 src2=0
	v_or_b32_e32 v199, v199, v215
	s_set_vgpr_msb 5                        ;  msbs: dst=0 src0=1 src1=1 src2=0
	v_perm_b32 v215, v42 /*v298*/, v42 /*v298*/, 0xc0c0c01
	s_set_vgpr_msb 0                        ;  msbs: dst=0 src0=0 src1=0 src2=0
	s_delay_alu instid0(VALU_DEP_2) | instskip(SKIP_3) | instid1(VALU_DEP_2)
	v_dot4_i32_iu8 v4, v226, v199, v4 neg_lo:[1,1,0]
	s_set_vgpr_msb 5                        ;  msbs: dst=0 src0=1 src1=1 src2=0
	v_perm_b32 v199, v43 /*v299*/, v44 /*v300*/, 0xc05000c
	s_set_vgpr_msb 0                        ;  msbs: dst=0 src0=0 src1=0 src2=0
	v_mul_lo_u32 v4, v4, v248
	s_delay_alu instid0(VALU_DEP_2) | instskip(SKIP_3) | instid1(VALU_DEP_2)
	v_or_b32_e32 v199, v199, v215
	s_set_vgpr_msb 5                        ;  msbs: dst=0 src0=1 src1=1 src2=0
	v_perm_b32 v215, v18 /*v274*/, v18 /*v274*/, 0xc0c0c01
	s_set_vgpr_msb 0                        ;  msbs: dst=0 src0=0 src1=0 src2=0
	v_dot4_i32_iu8 v6, v7, v199, v6 neg_lo:[1,1,0]
	s_set_vgpr_msb 5                        ;  msbs: dst=0 src0=1 src1=1 src2=0
	v_perm_b32 v7, v27 /*v283*/, v19 /*v275*/, 0xc05000c
	s_set_vgpr_msb 0                        ;  msbs: dst=0 src0=0 src1=0 src2=0
	s_delay_alu instid0(VALU_DEP_2) | instskip(NEXT) | instid1(VALU_DEP_2)
	v_mul_lo_u32 v6, v6, v239
	v_or_b32_e32 v215, v7, v215
	s_set_vgpr_msb 5                        ;  msbs: dst=0 src0=1 src1=1 src2=0
	v_perm_b32 v7, v28 /*v284*/, v29 /*v285*/, 0x5000c0c
	s_set_vgpr_msb 0                        ;  msbs: dst=0 src0=0 src1=0 src2=0
	s_delay_alu instid0(VALU_DEP_2) | instskip(SKIP_4) | instid1(VALU_DEP_2)
	v_dot4_i32_iu8 v1, v2, v215, v1 neg_lo:[1,1,0]
	v_dot4_i32_iu8 v2, v232, v249, v5 neg_lo:[1,1,0]
	s_set_vgpr_msb 5                        ;  msbs: dst=0 src0=1 src1=1 src2=0
	v_perm_b32 v5, v30 /*v286*/, v31 /*v287*/, 0xc0c0500
	s_set_vgpr_msb 1                        ;  msbs: dst=0 src0=1 src1=0 src2=0
	v_mad_i32_i24 v2, v49 /*v305*/, v231, v2
	s_set_vgpr_msb 0                        ;  msbs: dst=0 src0=0 src1=0 src2=0
	s_delay_alu instid0(VALU_DEP_2) | instskip(NEXT) | instid1(VALU_DEP_2)
	v_or_b32_e32 v232, v7, v5
	v_dot4_i32_iu8 v2, v234, v199, v2 neg_lo:[1,1,0]
	s_delay_alu instid0(VALU_DEP_2) | instskip(NEXT) | instid1(VALU_DEP_2)
	v_dot4_i32_iu8 v1, v3, v232, v1 neg_lo:[1,1,0]
	v_mad_u32 v4, v2, v239, v4
	s_delay_alu instid0(VALU_DEP_2) | instskip(NEXT) | instid1(VALU_DEP_2)
	v_mad_u32 v1, v1, v248, v6
	v_cvt_f32_i32_e32 v4, v4
	s_delay_alu instid0(VALU_DEP_2) | instskip(SKIP_2) | instid1(VALU_DEP_2)
	v_pk_mul_f32 v[2:3], v[0:1], v[114:115] op_sel_hi:[0,1]
	v_cvt_f32_i32_e32 v5, v1
	v_or_b32_e32 v1, s18, v139
	v_pk_fma_f32 v[40:41], v[2:3], v[4:5], v[40:41]
	s_delay_alu instid0(VALU_DEP_2)
	v_dual_lshlrev_b32 v6, 2, v1 :: v_dual_lshrrev_b32 v1, 1, v1
	ds_load_b32 v1, v1 offset:38816
	ds_load_b128 v[2:5], v6 offset:25344
	ds_load_b128 v[222:225], v6 offset:25360
	s_wait_dscnt 0x1
	v_bfe_i32 v7, v2, 0, 8
	v_bfe_i32 v115, v2, 8, 8
	v_perm_b32 v2, v2, v2, 0xc0c0302
	v_bfe_i32 v216, v3, 0, 8
	v_perm_b32 v3, v3, v3, 0xc030201
	;; [unrolled: 2-line block ×4, first 2 shown]
	s_wait_dscnt 0x0
	v_bfe_i32 v226, v222, 0, 8
	v_bfe_i32 v227, v222, 8, 8
	v_perm_b32 v222, v222, v222, 0xc0c0302
	v_bfe_i32 v234, v223, 0, 8
	v_perm_b32 v223, v223, v223, 0xc030201
	;; [unrolled: 2-line block ×4, first 2 shown]
	v_mul_i32_i24_e32 v6, v7, v166
	v_mul_i32_i24_e32 v114, v226, v174
	;; [unrolled: 1-line block ×3, first 2 shown]
	s_delay_alu instid0(VALU_DEP_3) | instskip(NEXT) | instid1(VALU_DEP_3)
	v_mad_i32_i24 v6, v115, v167, v6
	v_mad_i32_i24 v114, v227, v175, v114
	s_delay_alu instid0(VALU_DEP_3) | instskip(NEXT) | instid1(VALU_DEP_3)
	v_mad_i32_i24 v253, v227, v192, v253
	v_dot4_i32_iu8 v6, v2, v168, v6 neg_lo:[1,1,0]
	s_delay_alu instid0(VALU_DEP_3) | instskip(NEXT) | instid1(VALU_DEP_3)
	v_dot4_i32_iu8 v114, v222, v176, v114 neg_lo:[1,1,0]
	v_dot4_i32_iu8 v253, v222, v193, v253 neg_lo:[1,1,0]
	s_delay_alu instid0(VALU_DEP_3) | instskip(NEXT) | instid1(VALU_DEP_3)
	v_mad_i32_i24 v6, v216, v170, v6
	v_mad_i32_i24 v114, v234, v178, v114
	s_delay_alu instid0(VALU_DEP_3) | instskip(NEXT) | instid1(VALU_DEP_3)
	v_mad_i32_i24 v253, v234, v194, v253
	v_dot4_i32_iu8 v6, v3, v172, v6 neg_lo:[1,1,0]
	s_delay_alu instid0(VALU_DEP_3) | instskip(NEXT) | instid1(VALU_DEP_3)
	v_dot4_i32_iu8 v114, v223, v180, v114 neg_lo:[1,1,0]
	v_dot4_i32_iu8 v253, v223, v197, v253 neg_lo:[1,1,0]
	;; [unrolled: 9-line block ×4, first 2 shown]
	s_delay_alu instid0(VALU_DEP_3) | instskip(NEXT) | instid1(VALU_DEP_1)
	v_mul_lo_u32 v6, v6, v173
	v_mad_u32 v6, v114, v181, v6
	v_mul_f32_e32 v114, v165, v1
	s_delay_alu instid0(VALU_DEP_2) | instskip(NEXT) | instid1(VALU_DEP_1)
	v_cvt_f32_i32_e32 v6, v6
	v_mul_f32_e32 v6, v114, v6
	v_mul_i32_i24_e32 v114, v7, v183
	s_delay_alu instid0(VALU_DEP_1) | instskip(NEXT) | instid1(VALU_DEP_1)
	v_mad_i32_i24 v114, v115, v184, v114
	v_dot4_i32_iu8 v114, v2, v185, v114 neg_lo:[1,1,0]
	s_delay_alu instid0(VALU_DEP_1) | instskip(NEXT) | instid1(VALU_DEP_1)
	v_mad_i32_i24 v114, v216, v186, v114
	v_dot4_i32_iu8 v114, v3, v189, v114 neg_lo:[1,1,0]
	;; [unrolled: 3-line block ×4, first 2 shown]
	s_delay_alu instid0(VALU_DEP_1) | instskip(NEXT) | instid1(VALU_DEP_1)
	v_mul_lo_u32 v114, v114, v190
	v_mad_u32 v114, v253, v198, v114
	v_mul_f32_e32 v253, v182, v1
	s_delay_alu instid0(VALU_DEP_2) | instskip(NEXT) | instid1(VALU_DEP_1)
	v_cvt_f32_i32_e32 v114, v114
	v_mul_f32_e32 v114, v253, v114
	v_mul_i32_i24_e32 v253, v7, v201
	s_set_vgpr_msb 1                        ;  msbs: dst=0 src0=1 src1=0 src2=0
	v_mul_i32_i24_e32 v7, v14 /*v270*/, v7
	s_set_vgpr_msb 0                        ;  msbs: dst=0 src0=0 src1=0 src2=0
	s_delay_alu instid0(VALU_DEP_2) | instskip(SKIP_1) | instid1(VALU_DEP_2)
	v_mad_i32_i24 v253, v115, v202, v253
	s_set_vgpr_msb 1                        ;  msbs: dst=0 src0=1 src1=0 src2=0
	v_mad_i32_i24 v7, v3 /*v259*/, v115, v7
	s_set_vgpr_msb 0                        ;  msbs: dst=0 src0=0 src1=0 src2=0
	s_delay_alu instid0(VALU_DEP_2) | instskip(SKIP_1) | instid1(VALU_DEP_2)
	v_dot4_i32_iu8 v253, v2, v203, v253 neg_lo:[1,1,0]
	s_set_vgpr_msb 1                        ;  msbs: dst=0 src0=1 src1=0 src2=0
	v_dot4_i32_iu8 v2, v4 /*v260*/, v2, v7 neg_lo:[1,1,0]
	s_set_vgpr_msb 0                        ;  msbs: dst=0 src0=0 src1=0 src2=0
	s_delay_alu instid0(VALU_DEP_2) | instskip(NEXT) | instid1(VALU_DEP_2)
	v_mad_i32_i24 v253, v216, v204, v253
	v_mad_i32_i24 v2, v245, v216, v2
	s_delay_alu instid0(VALU_DEP_2) | instskip(NEXT) | instid1(VALU_DEP_2)
	v_dot4_i32_iu8 v253, v3, v207, v253 neg_lo:[1,1,0]
	v_dot4_i32_iu8 v2, v238, v3, v2 neg_lo:[1,1,0]
	s_set_vgpr_msb 1                        ;  msbs: dst=0 src0=1 src1=0 src2=0
	v_mul_i32_i24_e32 v3, v20 /*v276*/, v226
	s_set_vgpr_msb 0                        ;  msbs: dst=0 src0=0 src1=0 src2=0
	v_mad_i32_i24 v253, v205, v219, v253
	s_set_vgpr_msb 4                        ;  msbs: dst=0 src0=0 src1=1 src2=0
	v_mad_i32_i24 v2, v219, v13 /*v269*/, v2
	s_set_vgpr_msb 1                        ;  msbs: dst=0 src0=1 src1=0 src2=0
	v_mad_i32_i24 v3, v17 /*v273*/, v227, v3
	s_set_vgpr_msb 0                        ;  msbs: dst=0 src0=0 src1=0 src2=0
	v_dot4_i32_iu8 v253, v236, v4, v253 neg_lo:[1,1,0]
	v_dot4_i32_iu8 v2, v4, v215, v2 neg_lo:[1,1,0]
	s_delay_alu instid0(VALU_DEP_3) | instskip(NEXT) | instid1(VALU_DEP_3)
	v_dot4_i32_iu8 v3, v220, v222, v3 neg_lo:[1,1,0]
	v_mad_i32_i24 v218, v206, v218, v253
	s_delay_alu instid0(VALU_DEP_3) | instskip(NEXT) | instid1(VALU_DEP_3)
	v_dot4_i32_iu8 v2, v232, v5, v2 neg_lo:[1,1,0]
	v_mad_i32_i24 v3, v246, v234, v3
	s_delay_alu instid0(VALU_DEP_3) | instskip(SKIP_1) | instid1(VALU_DEP_3)
	v_dot4_i32_iu8 v218, v237, v252, v218 neg_lo:[1,1,0]
	v_mul_i32_i24_e32 v252, v226, v209
	v_dot4_i32_iu8 v3, v230, v223, v3 neg_lo:[1,1,0]
	v_mul_lo_u32 v2, v2, v248
	s_delay_alu instid0(VALU_DEP_4) | instskip(NEXT) | instid1(VALU_DEP_4)
	v_mul_lo_u32 v218, v218, v208
	v_mad_i32_i24 v252, v227, v210, v252
	s_set_vgpr_msb 4                        ;  msbs: dst=0 src0=0 src1=1 src2=0
	v_mad_i32_i24 v3, v250, v32 /*v288*/, v3
	s_set_vgpr_msb 0                        ;  msbs: dst=0 src0=0 src1=0 src2=0
	s_delay_alu instid0(VALU_DEP_2) | instskip(NEXT) | instid1(VALU_DEP_2)
	v_dot4_i32_iu8 v252, v222, v211, v252 neg_lo:[1,1,0]
	v_dot4_i32_iu8 v3, v224, v249, v3 neg_lo:[1,1,0]
	s_delay_alu instid0(VALU_DEP_2) | instskip(NEXT) | instid1(VALU_DEP_2)
	v_mad_i32_i24 v252, v234, v212, v252
	v_mad_i32_i24 v3, v231, v251, v3
	s_delay_alu instid0(VALU_DEP_2) | instskip(NEXT) | instid1(VALU_DEP_2)
	v_dot4_i32_iu8 v252, v223, v217, v252 neg_lo:[1,1,0]
	v_dot4_i32_iu8 v3, v199, v225, v3 neg_lo:[1,1,0]
	s_delay_alu instid0(VALU_DEP_2) | instskip(NEXT) | instid1(VALU_DEP_2)
	v_mad_i32_i24 v252, v213, v250, v252
	v_mad_u32 v2, v3, v239, v2
	s_delay_alu instid0(VALU_DEP_2) | instskip(NEXT) | instid1(VALU_DEP_1)
	v_dot4_i32_iu8 v252, v244, v224, v252 neg_lo:[1,1,0]
	v_mad_i32_i24 v252, v214, v251, v252
	s_delay_alu instid0(VALU_DEP_3) | instskip(NEXT) | instid1(VALU_DEP_2)
	v_cvt_f32_i32_e32 v2, v2
	v_dot4_i32_iu8 v252, v247, v225, v252 neg_lo:[1,1,0]
	s_delay_alu instid0(VALU_DEP_1) | instskip(SKIP_2) | instid1(VALU_DEP_1)
	v_mad_u32 v218, v252, v221, v218
	v_mul_f32_e32 v252, v200, v1
	v_mul_f32_e32 v1, v0, v1
	v_dual_mul_f32 v226, v1, v2 :: v_dual_bitop2_b32 v1, s18, v140 bitop3:0x54
	s_delay_alu instid0(VALU_DEP_4) | instskip(NEXT) | instid1(VALU_DEP_2)
	v_cvt_f32_i32_e32 v218, v218
	v_dual_lshlrev_b32 v7, 2, v1 :: v_dual_lshrrev_b32 v1, 1, v1
	ds_load_b32 v1, v1 offset:38816
	ds_load_b128 v[2:5], v7 offset:25344
	ds_load_b128 v[222:225], v7 offset:25360
	v_mul_f32_e32 v218, v252, v218
	s_wait_dscnt 0x1
	v_bfe_i32 v216, v2, 0, 8
	v_bfe_i32 v227, v2, 8, 8
	v_perm_b32 v2, v2, v2, 0xc0c0302
	v_bfe_i32 v234, v3, 0, 8
	v_perm_b32 v3, v3, v3, 0xc030201
	v_bfe_i32 v250, v4, 0, 8
	v_perm_b32 v4, v4, v4, 0xc030201
	v_bfe_i32 v219, v5, 0, 8
	s_set_vgpr_msb 64                       ;  msbs: dst=1 src0=0 src1=0 src2=0
	v_perm_b32 v0 /*v256*/, v5, v5, 0xc030201
	s_wait_dscnt 0x0
	s_set_vgpr_msb 0                        ;  msbs: dst=0 src0=0 src1=0 src2=0
	v_bfe_i32 v251, v222, 0, 8
	v_bfe_i32 v252, v222, 8, 8
	v_perm_b32 v222, v222, v222, 0xc0c0302
	v_bfe_i32 v253, v223, 0, 8
	v_perm_b32 v223, v223, v223, 0xc030201
	;; [unrolled: 2-line block ×4, first 2 shown]
	v_mul_i32_i24_e32 v7, v216, v166
	v_mul_i32_i24_e32 v115, v251, v174
	s_delay_alu instid0(VALU_DEP_2) | instskip(NEXT) | instid1(VALU_DEP_2)
	v_mad_i32_i24 v7, v227, v167, v7
	v_mad_i32_i24 v115, v252, v175, v115
	s_delay_alu instid0(VALU_DEP_2) | instskip(NEXT) | instid1(VALU_DEP_2)
	v_dot4_i32_iu8 v7, v2, v168, v7 neg_lo:[1,1,0]
	v_dot4_i32_iu8 v115, v222, v176, v115 neg_lo:[1,1,0]
	s_delay_alu instid0(VALU_DEP_2) | instskip(NEXT) | instid1(VALU_DEP_2)
	v_mad_i32_i24 v7, v234, v170, v7
	v_mad_i32_i24 v115, v253, v178, v115
	s_delay_alu instid0(VALU_DEP_2) | instskip(NEXT) | instid1(VALU_DEP_2)
	v_dot4_i32_iu8 v7, v3, v172, v7 neg_lo:[1,1,0]
	v_dot4_i32_iu8 v115, v223, v180, v115 neg_lo:[1,1,0]
	;; [unrolled: 6-line block ×3, first 2 shown]
	s_delay_alu instid0(VALU_DEP_2) | instskip(NEXT) | instid1(VALU_DEP_2)
	v_mad_i32_i24 v7, v171, v219, v7
	v_mad_i32_i24 v115, v179, v255, v115
	s_set_vgpr_msb 4                        ;  msbs: dst=0 src0=0 src1=1 src2=0
	s_delay_alu instid0(VALU_DEP_2) | instskip(SKIP_1) | instid1(VALU_DEP_2)
	v_dot4_i32_iu8 v7, v229, v0 /*v256*/, v7 neg_lo:[1,1,0]
	s_set_vgpr_msb 0                        ;  msbs: dst=0 src0=0 src1=0 src2=0
	v_dot4_i32_iu8 v115, v235, v225, v115 neg_lo:[1,1,0]
	s_delay_alu instid0(VALU_DEP_2) | instskip(NEXT) | instid1(VALU_DEP_1)
	v_mul_lo_u32 v7, v7, v173
	v_mad_u32 v7, v115, v181, v7
	v_mul_f32_e32 v115, v165, v1
	s_delay_alu instid0(VALU_DEP_2) | instskip(NEXT) | instid1(VALU_DEP_1)
	v_cvt_f32_i32_e32 v7, v7
	v_mul_f32_e32 v7, v115, v7
	s_delay_alu instid0(VALU_DEP_1) | instskip(SKIP_2) | instid1(VALU_DEP_2)
	v_pk_add_f32 v[38:39], v[38:39], v[6:7]
	v_mul_i32_i24_e32 v6, v216, v183
	v_mul_i32_i24_e32 v7, v251, v191
	v_mad_i32_i24 v6, v227, v184, v6
	s_delay_alu instid0(VALU_DEP_2) | instskip(NEXT) | instid1(VALU_DEP_2)
	v_mad_i32_i24 v7, v252, v192, v7
	v_dot4_i32_iu8 v6, v2, v185, v6 neg_lo:[1,1,0]
	s_delay_alu instid0(VALU_DEP_2) | instskip(NEXT) | instid1(VALU_DEP_2)
	v_dot4_i32_iu8 v7, v222, v193, v7 neg_lo:[1,1,0]
	v_mad_i32_i24 v6, v234, v186, v6
	s_delay_alu instid0(VALU_DEP_2) | instskip(NEXT) | instid1(VALU_DEP_2)
	v_mad_i32_i24 v7, v253, v194, v7
	v_dot4_i32_iu8 v6, v3, v189, v6 neg_lo:[1,1,0]
	s_delay_alu instid0(VALU_DEP_2) | instskip(NEXT) | instid1(VALU_DEP_2)
	v_dot4_i32_iu8 v7, v223, v197, v7 neg_lo:[1,1,0]
	v_mad_i32_i24 v6, v187, v250, v6
	s_delay_alu instid0(VALU_DEP_2) | instskip(NEXT) | instid1(VALU_DEP_2)
	v_mad_i32_i24 v7, v195, v254, v7
	v_dot4_i32_iu8 v6, v240, v4, v6 neg_lo:[1,1,0]
	s_delay_alu instid0(VALU_DEP_2) | instskip(NEXT) | instid1(VALU_DEP_2)
	v_dot4_i32_iu8 v7, v242, v224, v7 neg_lo:[1,1,0]
	v_mad_i32_i24 v6, v188, v219, v6
	s_delay_alu instid0(VALU_DEP_2) | instskip(SKIP_1) | instid1(VALU_DEP_2)
	v_mad_i32_i24 v7, v196, v255, v7
	s_set_vgpr_msb 4                        ;  msbs: dst=0 src0=0 src1=1 src2=0
	v_dot4_i32_iu8 v6, v241, v0 /*v256*/, v6 neg_lo:[1,1,0]
	s_set_vgpr_msb 0                        ;  msbs: dst=0 src0=0 src1=0 src2=0
	s_delay_alu instid0(VALU_DEP_2) | instskip(NEXT) | instid1(VALU_DEP_2)
	v_dot4_i32_iu8 v7, v243, v225, v7 neg_lo:[1,1,0]
	v_mul_lo_u32 v6, v6, v190
	s_delay_alu instid0(VALU_DEP_1) | instskip(SKIP_1) | instid1(VALU_DEP_2)
	v_mad_u32 v6, v7, v198, v6
	v_mul_f32_e32 v7, v182, v1
	v_cvt_f32_i32_e32 v6, v6
	s_delay_alu instid0(VALU_DEP_1) | instskip(SKIP_2) | instid1(VALU_DEP_3)
	v_mul_f32_e32 v115, v7, v6
	v_mul_i32_i24_e32 v6, v216, v201
	v_mul_i32_i24_e32 v7, v251, v209
	v_pk_add_f32 v[36:37], v[36:37], v[114:115]
	s_delay_alu instid0(VALU_DEP_3) | instskip(NEXT) | instid1(VALU_DEP_3)
	v_mad_i32_i24 v6, v227, v202, v6
	v_mad_i32_i24 v7, v252, v210, v7
	s_delay_alu instid0(VALU_DEP_2) | instskip(NEXT) | instid1(VALU_DEP_2)
	v_dot4_i32_iu8 v6, v2, v203, v6 neg_lo:[1,1,0]
	v_dot4_i32_iu8 v7, v222, v211, v7 neg_lo:[1,1,0]
	s_delay_alu instid0(VALU_DEP_2) | instskip(NEXT) | instid1(VALU_DEP_2)
	v_mad_i32_i24 v6, v234, v204, v6
	v_mad_i32_i24 v7, v253, v212, v7
	s_delay_alu instid0(VALU_DEP_2) | instskip(NEXT) | instid1(VALU_DEP_2)
	v_dot4_i32_iu8 v6, v3, v207, v6 neg_lo:[1,1,0]
	v_dot4_i32_iu8 v7, v223, v217, v7 neg_lo:[1,1,0]
	s_delay_alu instid0(VALU_DEP_2) | instskip(NEXT) | instid1(VALU_DEP_2)
	;; [unrolled: 6-line block ×3, first 2 shown]
	v_mad_i32_i24 v6, v206, v219, v6
	v_mad_i32_i24 v7, v214, v255, v7
	s_set_vgpr_msb 4                        ;  msbs: dst=0 src0=0 src1=1 src2=0
	s_delay_alu instid0(VALU_DEP_2) | instskip(SKIP_1) | instid1(VALU_DEP_2)
	v_dot4_i32_iu8 v6, v237, v0 /*v256*/, v6 neg_lo:[1,1,0]
	s_set_vgpr_msb 0                        ;  msbs: dst=0 src0=0 src1=0 src2=0
	v_dot4_i32_iu8 v7, v247, v225, v7 neg_lo:[1,1,0]
	s_delay_alu instid0(VALU_DEP_2) | instskip(NEXT) | instid1(VALU_DEP_1)
	v_mul_lo_u32 v6, v6, v208
	v_mad_u32 v6, v7, v221, v6
	v_mul_f32_e32 v7, v200, v1
	v_mul_f32_e32 v1, v0, v1
	s_delay_alu instid0(VALU_DEP_3) | instskip(NEXT) | instid1(VALU_DEP_1)
	v_cvt_f32_i32_e32 v6, v6
	v_mul_f32_e32 v219, v7, v6
	s_set_vgpr_msb 1                        ;  msbs: dst=0 src0=1 src1=0 src2=0
	v_mul_i32_i24_e32 v6, v14 /*v270*/, v216
	s_set_vgpr_msb 0                        ;  msbs: dst=0 src0=0 src1=0 src2=0
	s_delay_alu instid0(VALU_DEP_2) | instskip(SKIP_1) | instid1(VALU_DEP_2)
	v_pk_add_f32 v[34:35], v[34:35], v[218:219]
	s_set_vgpr_msb 1                        ;  msbs: dst=0 src0=1 src1=0 src2=0
	v_mad_i32_i24 v6, v3 /*v259*/, v227, v6
	s_delay_alu instid0(VALU_DEP_1) | instskip(SKIP_1) | instid1(VALU_DEP_1)
	v_dot4_i32_iu8 v2, v4 /*v260*/, v2, v6 neg_lo:[1,1,0]
	s_set_vgpr_msb 0                        ;  msbs: dst=0 src0=0 src1=0 src2=0
	v_mad_i32_i24 v2, v245, v234, v2
	s_delay_alu instid0(VALU_DEP_1) | instskip(SKIP_3) | instid1(VALU_DEP_2)
	v_dot4_i32_iu8 v2, v238, v3, v2 neg_lo:[1,1,0]
	s_set_vgpr_msb 1                        ;  msbs: dst=0 src0=1 src1=0 src2=0
	v_mul_i32_i24_e32 v3, v20 /*v276*/, v251
	s_set_vgpr_msb 4                        ;  msbs: dst=0 src0=0 src1=1 src2=0
	v_mad_i32_i24 v2, v250, v13 /*v269*/, v2
	s_set_vgpr_msb 1                        ;  msbs: dst=0 src0=1 src1=0 src2=0
	s_delay_alu instid0(VALU_DEP_2) | instskip(SKIP_1) | instid1(VALU_DEP_2)
	v_mad_i32_i24 v3, v17 /*v273*/, v252, v3
	s_set_vgpr_msb 0                        ;  msbs: dst=0 src0=0 src1=0 src2=0
	v_dot4_i32_iu8 v2, v4, v215, v2 neg_lo:[1,1,0]
	s_delay_alu instid0(VALU_DEP_2) | instskip(NEXT) | instid1(VALU_DEP_2)
	v_dot4_i32_iu8 v3, v220, v222, v3 neg_lo:[1,1,0]
	v_dot4_i32_iu8 v2, v232, v5, v2 neg_lo:[1,1,0]
	s_delay_alu instid0(VALU_DEP_2) | instskip(NEXT) | instid1(VALU_DEP_2)
	v_mad_i32_i24 v3, v246, v253, v3
	v_mul_lo_u32 v2, v2, v248
	s_delay_alu instid0(VALU_DEP_2) | instskip(SKIP_1) | instid1(VALU_DEP_1)
	v_dot4_i32_iu8 v3, v230, v223, v3 neg_lo:[1,1,0]
	s_set_vgpr_msb 4                        ;  msbs: dst=0 src0=0 src1=1 src2=0
	v_mad_i32_i24 v3, v254, v32 /*v288*/, v3
	s_set_vgpr_msb 0                        ;  msbs: dst=0 src0=0 src1=0 src2=0
	s_delay_alu instid0(VALU_DEP_1) | instskip(NEXT) | instid1(VALU_DEP_1)
	v_dot4_i32_iu8 v3, v224, v249, v3 neg_lo:[1,1,0]
	v_mad_i32_i24 v3, v231, v255, v3
	s_delay_alu instid0(VALU_DEP_1) | instskip(NEXT) | instid1(VALU_DEP_1)
	v_dot4_i32_iu8 v3, v199, v225, v3 neg_lo:[1,1,0]
	v_mad_u32 v2, v3, v239, v2
	s_delay_alu instid0(VALU_DEP_1) | instskip(NEXT) | instid1(VALU_DEP_1)
	v_cvt_f32_i32_e32 v2, v2
	v_dual_mul_f32 v227, v1, v2 :: v_dual_bitop2_b32 v1, s18, v141 bitop3:0x54
	s_delay_alu instid0(VALU_DEP_1) | instskip(NEXT) | instid1(VALU_DEP_2)
	v_pk_add_f32 v[32:33], v[32:33], v[226:227]
	v_dual_lshlrev_b32 v6, 2, v1 :: v_dual_lshrrev_b32 v1, 1, v1
	ds_load_b32 v1, v1 offset:38816
	ds_load_b128 v[2:5], v6 offset:25344
	ds_load_b128 v[222:225], v6 offset:25360
	s_wait_dscnt 0x1
	v_bfe_i32 v7, v2, 0, 8
	v_bfe_i32 v115, v2, 8, 8
	v_perm_b32 v2, v2, v2, 0xc0c0302
	v_bfe_i32 v216, v3, 0, 8
	v_perm_b32 v3, v3, v3, 0xc030201
	;; [unrolled: 2-line block ×4, first 2 shown]
	s_wait_dscnt 0x0
	v_bfe_i32 v226, v222, 0, 8
	v_bfe_i32 v227, v222, 8, 8
	v_perm_b32 v222, v222, v222, 0xc0c0302
	v_bfe_i32 v234, v223, 0, 8
	v_perm_b32 v223, v223, v223, 0xc030201
	;; [unrolled: 2-line block ×4, first 2 shown]
	v_mul_i32_i24_e32 v6, v7, v166
	v_mul_i32_i24_e32 v114, v226, v174
	;; [unrolled: 1-line block ×3, first 2 shown]
	s_delay_alu instid0(VALU_DEP_3) | instskip(NEXT) | instid1(VALU_DEP_3)
	v_mad_i32_i24 v6, v115, v167, v6
	v_mad_i32_i24 v114, v227, v175, v114
	s_delay_alu instid0(VALU_DEP_3) | instskip(NEXT) | instid1(VALU_DEP_3)
	v_mad_i32_i24 v253, v227, v192, v253
	v_dot4_i32_iu8 v6, v2, v168, v6 neg_lo:[1,1,0]
	s_delay_alu instid0(VALU_DEP_3) | instskip(NEXT) | instid1(VALU_DEP_3)
	v_dot4_i32_iu8 v114, v222, v176, v114 neg_lo:[1,1,0]
	v_dot4_i32_iu8 v253, v222, v193, v253 neg_lo:[1,1,0]
	s_delay_alu instid0(VALU_DEP_3) | instskip(NEXT) | instid1(VALU_DEP_3)
	v_mad_i32_i24 v6, v216, v170, v6
	v_mad_i32_i24 v114, v234, v178, v114
	s_delay_alu instid0(VALU_DEP_3) | instskip(NEXT) | instid1(VALU_DEP_3)
	v_mad_i32_i24 v253, v234, v194, v253
	v_dot4_i32_iu8 v6, v3, v172, v6 neg_lo:[1,1,0]
	s_delay_alu instid0(VALU_DEP_3) | instskip(NEXT) | instid1(VALU_DEP_3)
	v_dot4_i32_iu8 v114, v223, v180, v114 neg_lo:[1,1,0]
	v_dot4_i32_iu8 v253, v223, v197, v253 neg_lo:[1,1,0]
	;; [unrolled: 9-line block ×4, first 2 shown]
	s_delay_alu instid0(VALU_DEP_3) | instskip(NEXT) | instid1(VALU_DEP_1)
	v_mul_lo_u32 v6, v6, v173
	v_mad_u32 v6, v114, v181, v6
	v_mul_f32_e32 v114, v165, v1
	s_delay_alu instid0(VALU_DEP_2) | instskip(NEXT) | instid1(VALU_DEP_1)
	v_cvt_f32_i32_e32 v6, v6
	v_mul_f32_e32 v6, v114, v6
	v_mul_i32_i24_e32 v114, v7, v183
	s_delay_alu instid0(VALU_DEP_1) | instskip(NEXT) | instid1(VALU_DEP_1)
	v_mad_i32_i24 v114, v115, v184, v114
	v_dot4_i32_iu8 v114, v2, v185, v114 neg_lo:[1,1,0]
	s_delay_alu instid0(VALU_DEP_1) | instskip(NEXT) | instid1(VALU_DEP_1)
	v_mad_i32_i24 v114, v216, v186, v114
	v_dot4_i32_iu8 v114, v3, v189, v114 neg_lo:[1,1,0]
	;; [unrolled: 3-line block ×4, first 2 shown]
	s_delay_alu instid0(VALU_DEP_1) | instskip(NEXT) | instid1(VALU_DEP_1)
	v_mul_lo_u32 v114, v114, v190
	v_mad_u32 v114, v253, v198, v114
	v_mul_f32_e32 v253, v182, v1
	s_delay_alu instid0(VALU_DEP_2) | instskip(NEXT) | instid1(VALU_DEP_1)
	v_cvt_f32_i32_e32 v114, v114
	v_mul_f32_e32 v114, v253, v114
	v_mul_i32_i24_e32 v253, v7, v201
	s_set_vgpr_msb 1                        ;  msbs: dst=0 src0=1 src1=0 src2=0
	v_mul_i32_i24_e32 v7, v14 /*v270*/, v7
	s_set_vgpr_msb 0                        ;  msbs: dst=0 src0=0 src1=0 src2=0
	s_delay_alu instid0(VALU_DEP_2) | instskip(SKIP_1) | instid1(VALU_DEP_2)
	v_mad_i32_i24 v253, v115, v202, v253
	s_set_vgpr_msb 1                        ;  msbs: dst=0 src0=1 src1=0 src2=0
	v_mad_i32_i24 v7, v3 /*v259*/, v115, v7
	s_set_vgpr_msb 0                        ;  msbs: dst=0 src0=0 src1=0 src2=0
	s_delay_alu instid0(VALU_DEP_2) | instskip(SKIP_1) | instid1(VALU_DEP_2)
	v_dot4_i32_iu8 v253, v2, v203, v253 neg_lo:[1,1,0]
	s_set_vgpr_msb 1                        ;  msbs: dst=0 src0=1 src1=0 src2=0
	v_dot4_i32_iu8 v2, v4 /*v260*/, v2, v7 neg_lo:[1,1,0]
	s_set_vgpr_msb 0                        ;  msbs: dst=0 src0=0 src1=0 src2=0
	s_delay_alu instid0(VALU_DEP_2) | instskip(NEXT) | instid1(VALU_DEP_2)
	v_mad_i32_i24 v253, v216, v204, v253
	v_mad_i32_i24 v2, v245, v216, v2
	s_delay_alu instid0(VALU_DEP_2) | instskip(NEXT) | instid1(VALU_DEP_2)
	v_dot4_i32_iu8 v253, v3, v207, v253 neg_lo:[1,1,0]
	v_dot4_i32_iu8 v2, v238, v3, v2 neg_lo:[1,1,0]
	s_set_vgpr_msb 1                        ;  msbs: dst=0 src0=1 src1=0 src2=0
	v_mul_i32_i24_e32 v3, v20 /*v276*/, v226
	s_set_vgpr_msb 0                        ;  msbs: dst=0 src0=0 src1=0 src2=0
	v_mad_i32_i24 v253, v205, v219, v253
	s_set_vgpr_msb 4                        ;  msbs: dst=0 src0=0 src1=1 src2=0
	v_mad_i32_i24 v2, v219, v13 /*v269*/, v2
	s_set_vgpr_msb 1                        ;  msbs: dst=0 src0=1 src1=0 src2=0
	v_mad_i32_i24 v3, v17 /*v273*/, v227, v3
	s_set_vgpr_msb 0                        ;  msbs: dst=0 src0=0 src1=0 src2=0
	v_dot4_i32_iu8 v253, v236, v4, v253 neg_lo:[1,1,0]
	v_dot4_i32_iu8 v2, v4, v215, v2 neg_lo:[1,1,0]
	s_delay_alu instid0(VALU_DEP_3) | instskip(NEXT) | instid1(VALU_DEP_3)
	v_dot4_i32_iu8 v3, v220, v222, v3 neg_lo:[1,1,0]
	v_mad_i32_i24 v218, v206, v218, v253
	s_delay_alu instid0(VALU_DEP_3) | instskip(NEXT) | instid1(VALU_DEP_3)
	v_dot4_i32_iu8 v2, v232, v5, v2 neg_lo:[1,1,0]
	v_mad_i32_i24 v3, v246, v234, v3
	s_delay_alu instid0(VALU_DEP_3) | instskip(SKIP_1) | instid1(VALU_DEP_3)
	v_dot4_i32_iu8 v218, v237, v252, v218 neg_lo:[1,1,0]
	v_mul_i32_i24_e32 v252, v226, v209
	v_dot4_i32_iu8 v3, v230, v223, v3 neg_lo:[1,1,0]
	v_mul_lo_u32 v2, v2, v248
	s_delay_alu instid0(VALU_DEP_4) | instskip(NEXT) | instid1(VALU_DEP_4)
	v_mul_lo_u32 v218, v218, v208
	v_mad_i32_i24 v252, v227, v210, v252
	s_set_vgpr_msb 4                        ;  msbs: dst=0 src0=0 src1=1 src2=0
	v_mad_i32_i24 v3, v250, v32 /*v288*/, v3
	s_set_vgpr_msb 0                        ;  msbs: dst=0 src0=0 src1=0 src2=0
	s_delay_alu instid0(VALU_DEP_2) | instskip(NEXT) | instid1(VALU_DEP_2)
	v_dot4_i32_iu8 v252, v222, v211, v252 neg_lo:[1,1,0]
	v_dot4_i32_iu8 v3, v224, v249, v3 neg_lo:[1,1,0]
	s_delay_alu instid0(VALU_DEP_2) | instskip(NEXT) | instid1(VALU_DEP_2)
	v_mad_i32_i24 v252, v234, v212, v252
	v_mad_i32_i24 v3, v231, v251, v3
	s_delay_alu instid0(VALU_DEP_2) | instskip(NEXT) | instid1(VALU_DEP_2)
	v_dot4_i32_iu8 v252, v223, v217, v252 neg_lo:[1,1,0]
	v_dot4_i32_iu8 v3, v199, v225, v3 neg_lo:[1,1,0]
	s_delay_alu instid0(VALU_DEP_2) | instskip(NEXT) | instid1(VALU_DEP_2)
	v_mad_i32_i24 v252, v213, v250, v252
	v_mad_u32 v2, v3, v239, v2
	s_delay_alu instid0(VALU_DEP_2) | instskip(NEXT) | instid1(VALU_DEP_1)
	v_dot4_i32_iu8 v252, v244, v224, v252 neg_lo:[1,1,0]
	v_mad_i32_i24 v252, v214, v251, v252
	s_delay_alu instid0(VALU_DEP_3) | instskip(NEXT) | instid1(VALU_DEP_2)
	v_cvt_f32_i32_e32 v2, v2
	v_dot4_i32_iu8 v252, v247, v225, v252 neg_lo:[1,1,0]
	s_delay_alu instid0(VALU_DEP_1) | instskip(SKIP_2) | instid1(VALU_DEP_1)
	v_mad_u32 v218, v252, v221, v218
	v_mul_f32_e32 v252, v200, v1
	v_mul_f32_e32 v1, v0, v1
	;; [unrolled: 1-line block ×3, first 2 shown]
	v_or_b32_e32 v1, s18, v142
	v_cvt_f32_i32_e32 v218, v218
	s_delay_alu instid0(VALU_DEP_2)
	v_dual_lshlrev_b32 v7, 2, v1 :: v_dual_lshrrev_b32 v1, 1, v1
	ds_load_b32 v1, v1 offset:38816
	ds_load_b128 v[2:5], v7 offset:25344
	ds_load_b128 v[222:225], v7 offset:25360
	v_mul_f32_e32 v218, v252, v218
	s_wait_dscnt 0x1
	v_bfe_i32 v216, v2, 0, 8
	v_bfe_i32 v227, v2, 8, 8
	v_perm_b32 v2, v2, v2, 0xc0c0302
	v_bfe_i32 v234, v3, 0, 8
	v_perm_b32 v3, v3, v3, 0xc030201
	;; [unrolled: 2-line block ×3, first 2 shown]
	v_bfe_i32 v219, v5, 0, 8
	s_set_vgpr_msb 64                       ;  msbs: dst=1 src0=0 src1=0 src2=0
	v_perm_b32 v0 /*v256*/, v5, v5, 0xc030201
	s_wait_dscnt 0x0
	s_set_vgpr_msb 0                        ;  msbs: dst=0 src0=0 src1=0 src2=0
	v_bfe_i32 v251, v222, 0, 8
	v_bfe_i32 v252, v222, 8, 8
	v_perm_b32 v222, v222, v222, 0xc0c0302
	v_bfe_i32 v253, v223, 0, 8
	v_perm_b32 v223, v223, v223, 0xc030201
	;; [unrolled: 2-line block ×4, first 2 shown]
	v_mul_i32_i24_e32 v7, v216, v166
	v_mul_i32_i24_e32 v115, v251, v174
	s_delay_alu instid0(VALU_DEP_2) | instskip(NEXT) | instid1(VALU_DEP_2)
	v_mad_i32_i24 v7, v227, v167, v7
	v_mad_i32_i24 v115, v252, v175, v115
	s_delay_alu instid0(VALU_DEP_2) | instskip(NEXT) | instid1(VALU_DEP_2)
	v_dot4_i32_iu8 v7, v2, v168, v7 neg_lo:[1,1,0]
	v_dot4_i32_iu8 v115, v222, v176, v115 neg_lo:[1,1,0]
	s_delay_alu instid0(VALU_DEP_2) | instskip(NEXT) | instid1(VALU_DEP_2)
	v_mad_i32_i24 v7, v234, v170, v7
	v_mad_i32_i24 v115, v253, v178, v115
	s_delay_alu instid0(VALU_DEP_2) | instskip(NEXT) | instid1(VALU_DEP_2)
	v_dot4_i32_iu8 v7, v3, v172, v7 neg_lo:[1,1,0]
	v_dot4_i32_iu8 v115, v223, v180, v115 neg_lo:[1,1,0]
	;; [unrolled: 6-line block ×3, first 2 shown]
	s_delay_alu instid0(VALU_DEP_2) | instskip(NEXT) | instid1(VALU_DEP_2)
	v_mad_i32_i24 v7, v171, v219, v7
	v_mad_i32_i24 v115, v179, v255, v115
	s_set_vgpr_msb 4                        ;  msbs: dst=0 src0=0 src1=1 src2=0
	s_delay_alu instid0(VALU_DEP_2) | instskip(SKIP_1) | instid1(VALU_DEP_2)
	v_dot4_i32_iu8 v7, v229, v0 /*v256*/, v7 neg_lo:[1,1,0]
	s_set_vgpr_msb 0                        ;  msbs: dst=0 src0=0 src1=0 src2=0
	v_dot4_i32_iu8 v115, v235, v225, v115 neg_lo:[1,1,0]
	s_delay_alu instid0(VALU_DEP_2) | instskip(NEXT) | instid1(VALU_DEP_1)
	v_mul_lo_u32 v7, v7, v173
	v_mad_u32 v7, v115, v181, v7
	v_mul_f32_e32 v115, v165, v1
	s_delay_alu instid0(VALU_DEP_2) | instskip(NEXT) | instid1(VALU_DEP_1)
	v_cvt_f32_i32_e32 v7, v7
	v_mul_f32_e32 v7, v115, v7
	s_delay_alu instid0(VALU_DEP_1) | instskip(SKIP_2) | instid1(VALU_DEP_2)
	v_pk_add_f32 v[28:29], v[28:29], v[6:7]
	v_mul_i32_i24_e32 v6, v216, v183
	v_mul_i32_i24_e32 v7, v251, v191
	v_mad_i32_i24 v6, v227, v184, v6
	s_delay_alu instid0(VALU_DEP_2) | instskip(NEXT) | instid1(VALU_DEP_2)
	v_mad_i32_i24 v7, v252, v192, v7
	v_dot4_i32_iu8 v6, v2, v185, v6 neg_lo:[1,1,0]
	s_delay_alu instid0(VALU_DEP_2) | instskip(NEXT) | instid1(VALU_DEP_2)
	v_dot4_i32_iu8 v7, v222, v193, v7 neg_lo:[1,1,0]
	v_mad_i32_i24 v6, v234, v186, v6
	s_delay_alu instid0(VALU_DEP_2) | instskip(NEXT) | instid1(VALU_DEP_2)
	v_mad_i32_i24 v7, v253, v194, v7
	v_dot4_i32_iu8 v6, v3, v189, v6 neg_lo:[1,1,0]
	s_delay_alu instid0(VALU_DEP_2) | instskip(NEXT) | instid1(VALU_DEP_2)
	v_dot4_i32_iu8 v7, v223, v197, v7 neg_lo:[1,1,0]
	;; [unrolled: 6-line block ×3, first 2 shown]
	v_mad_i32_i24 v6, v188, v219, v6
	s_delay_alu instid0(VALU_DEP_2) | instskip(SKIP_1) | instid1(VALU_DEP_2)
	v_mad_i32_i24 v7, v196, v255, v7
	s_set_vgpr_msb 4                        ;  msbs: dst=0 src0=0 src1=1 src2=0
	v_dot4_i32_iu8 v6, v241, v0 /*v256*/, v6 neg_lo:[1,1,0]
	s_set_vgpr_msb 0                        ;  msbs: dst=0 src0=0 src1=0 src2=0
	s_delay_alu instid0(VALU_DEP_2) | instskip(NEXT) | instid1(VALU_DEP_2)
	v_dot4_i32_iu8 v7, v243, v225, v7 neg_lo:[1,1,0]
	v_mul_lo_u32 v6, v6, v190
	s_delay_alu instid0(VALU_DEP_1) | instskip(SKIP_1) | instid1(VALU_DEP_2)
	v_mad_u32 v6, v7, v198, v6
	v_mul_f32_e32 v7, v182, v1
	v_cvt_f32_i32_e32 v6, v6
	s_delay_alu instid0(VALU_DEP_1) | instskip(SKIP_2) | instid1(VALU_DEP_3)
	v_mul_f32_e32 v115, v7, v6
	v_mul_i32_i24_e32 v6, v216, v201
	v_mul_i32_i24_e32 v7, v251, v209
	v_pk_add_f32 v[26:27], v[26:27], v[114:115]
	s_delay_alu instid0(VALU_DEP_3) | instskip(NEXT) | instid1(VALU_DEP_3)
	v_mad_i32_i24 v6, v227, v202, v6
	v_mad_i32_i24 v7, v252, v210, v7
	s_delay_alu instid0(VALU_DEP_2) | instskip(NEXT) | instid1(VALU_DEP_2)
	v_dot4_i32_iu8 v6, v2, v203, v6 neg_lo:[1,1,0]
	v_dot4_i32_iu8 v7, v222, v211, v7 neg_lo:[1,1,0]
	s_delay_alu instid0(VALU_DEP_2) | instskip(NEXT) | instid1(VALU_DEP_2)
	v_mad_i32_i24 v6, v234, v204, v6
	v_mad_i32_i24 v7, v253, v212, v7
	s_delay_alu instid0(VALU_DEP_2) | instskip(NEXT) | instid1(VALU_DEP_2)
	v_dot4_i32_iu8 v6, v3, v207, v6 neg_lo:[1,1,0]
	v_dot4_i32_iu8 v7, v223, v217, v7 neg_lo:[1,1,0]
	s_delay_alu instid0(VALU_DEP_2) | instskip(NEXT) | instid1(VALU_DEP_2)
	;; [unrolled: 6-line block ×3, first 2 shown]
	v_mad_i32_i24 v6, v206, v219, v6
	v_mad_i32_i24 v7, v214, v255, v7
	s_set_vgpr_msb 4                        ;  msbs: dst=0 src0=0 src1=1 src2=0
	s_delay_alu instid0(VALU_DEP_2) | instskip(SKIP_1) | instid1(VALU_DEP_2)
	v_dot4_i32_iu8 v6, v237, v0 /*v256*/, v6 neg_lo:[1,1,0]
	s_set_vgpr_msb 0                        ;  msbs: dst=0 src0=0 src1=0 src2=0
	v_dot4_i32_iu8 v7, v247, v225, v7 neg_lo:[1,1,0]
	s_delay_alu instid0(VALU_DEP_2) | instskip(NEXT) | instid1(VALU_DEP_1)
	v_mul_lo_u32 v6, v6, v208
	v_mad_u32 v6, v7, v221, v6
	v_mul_f32_e32 v7, v200, v1
	v_mul_f32_e32 v1, v0, v1
	s_delay_alu instid0(VALU_DEP_3) | instskip(NEXT) | instid1(VALU_DEP_1)
	v_cvt_f32_i32_e32 v6, v6
	v_mul_f32_e32 v219, v7, v6
	s_set_vgpr_msb 1                        ;  msbs: dst=0 src0=1 src1=0 src2=0
	v_mul_i32_i24_e32 v6, v14 /*v270*/, v216
	s_set_vgpr_msb 0                        ;  msbs: dst=0 src0=0 src1=0 src2=0
	s_delay_alu instid0(VALU_DEP_2) | instskip(SKIP_1) | instid1(VALU_DEP_2)
	v_pk_add_f32 v[24:25], v[24:25], v[218:219]
	s_set_vgpr_msb 1                        ;  msbs: dst=0 src0=1 src1=0 src2=0
	v_mad_i32_i24 v6, v3 /*v259*/, v227, v6
	s_delay_alu instid0(VALU_DEP_1) | instskip(SKIP_1) | instid1(VALU_DEP_1)
	v_dot4_i32_iu8 v2, v4 /*v260*/, v2, v6 neg_lo:[1,1,0]
	s_set_vgpr_msb 0                        ;  msbs: dst=0 src0=0 src1=0 src2=0
	v_mad_i32_i24 v2, v245, v234, v2
	s_delay_alu instid0(VALU_DEP_1) | instskip(SKIP_3) | instid1(VALU_DEP_2)
	v_dot4_i32_iu8 v2, v238, v3, v2 neg_lo:[1,1,0]
	s_set_vgpr_msb 1                        ;  msbs: dst=0 src0=1 src1=0 src2=0
	v_mul_i32_i24_e32 v3, v20 /*v276*/, v251
	s_set_vgpr_msb 4                        ;  msbs: dst=0 src0=0 src1=1 src2=0
	v_mad_i32_i24 v2, v250, v13 /*v269*/, v2
	s_set_vgpr_msb 1                        ;  msbs: dst=0 src0=1 src1=0 src2=0
	s_delay_alu instid0(VALU_DEP_2) | instskip(SKIP_1) | instid1(VALU_DEP_2)
	v_mad_i32_i24 v3, v17 /*v273*/, v252, v3
	s_set_vgpr_msb 0                        ;  msbs: dst=0 src0=0 src1=0 src2=0
	v_dot4_i32_iu8 v2, v4, v215, v2 neg_lo:[1,1,0]
	s_delay_alu instid0(VALU_DEP_2) | instskip(NEXT) | instid1(VALU_DEP_2)
	v_dot4_i32_iu8 v3, v220, v222, v3 neg_lo:[1,1,0]
	v_dot4_i32_iu8 v2, v232, v5, v2 neg_lo:[1,1,0]
	s_delay_alu instid0(VALU_DEP_2) | instskip(NEXT) | instid1(VALU_DEP_2)
	v_mad_i32_i24 v3, v246, v253, v3
	v_mul_lo_u32 v2, v2, v248
	s_delay_alu instid0(VALU_DEP_2) | instskip(SKIP_1) | instid1(VALU_DEP_1)
	v_dot4_i32_iu8 v3, v230, v223, v3 neg_lo:[1,1,0]
	s_set_vgpr_msb 4                        ;  msbs: dst=0 src0=0 src1=1 src2=0
	v_mad_i32_i24 v3, v254, v32 /*v288*/, v3
	s_set_vgpr_msb 0                        ;  msbs: dst=0 src0=0 src1=0 src2=0
	s_delay_alu instid0(VALU_DEP_1) | instskip(NEXT) | instid1(VALU_DEP_1)
	v_dot4_i32_iu8 v3, v224, v249, v3 neg_lo:[1,1,0]
	v_mad_i32_i24 v3, v231, v255, v3
	s_delay_alu instid0(VALU_DEP_1) | instskip(NEXT) | instid1(VALU_DEP_1)
	v_dot4_i32_iu8 v3, v199, v225, v3 neg_lo:[1,1,0]
	v_mad_u32 v2, v3, v239, v2
	s_delay_alu instid0(VALU_DEP_1) | instskip(NEXT) | instid1(VALU_DEP_1)
	v_cvt_f32_i32_e32 v2, v2
	v_dual_mul_f32 v227, v1, v2 :: v_dual_bitop2_b32 v1, s18, v143 bitop3:0x54
	s_delay_alu instid0(VALU_DEP_1) | instskip(NEXT) | instid1(VALU_DEP_2)
	v_pk_add_f32 v[20:21], v[20:21], v[226:227]
	v_dual_lshlrev_b32 v6, 2, v1 :: v_dual_lshrrev_b32 v1, 1, v1
	ds_load_b32 v1, v1 offset:38816
	ds_load_b128 v[2:5], v6 offset:25344
	ds_load_b128 v[222:225], v6 offset:25360
	s_wait_dscnt 0x1
	v_bfe_i32 v7, v2, 0, 8
	v_bfe_i32 v115, v2, 8, 8
	v_perm_b32 v2, v2, v2, 0xc0c0302
	v_bfe_i32 v218, v3, 0, 8
	v_perm_b32 v3, v3, v3, 0xc030201
	;; [unrolled: 2-line block ×4, first 2 shown]
	s_wait_dscnt 0x0
	v_bfe_i32 v226, v222, 0, 8
	v_bfe_i32 v227, v222, 8, 8
	v_perm_b32 v222, v222, v222, 0xc0c0302
	v_bfe_i32 v234, v223, 0, 8
	v_perm_b32 v223, v223, v223, 0xc030201
	;; [unrolled: 2-line block ×4, first 2 shown]
	v_mul_i32_i24_e32 v6, v7, v166
	v_mul_i32_i24_e32 v114, v226, v174
	;; [unrolled: 1-line block ×3, first 2 shown]
	s_delay_alu instid0(VALU_DEP_3) | instskip(NEXT) | instid1(VALU_DEP_3)
	v_mad_i32_i24 v6, v115, v167, v6
	v_mad_i32_i24 v114, v227, v175, v114
	s_delay_alu instid0(VALU_DEP_3) | instskip(NEXT) | instid1(VALU_DEP_3)
	v_mad_i32_i24 v253, v227, v192, v253
	v_dot4_i32_iu8 v6, v2, v168, v6 neg_lo:[1,1,0]
	s_delay_alu instid0(VALU_DEP_3) | instskip(NEXT) | instid1(VALU_DEP_3)
	v_dot4_i32_iu8 v114, v222, v176, v114 neg_lo:[1,1,0]
	v_dot4_i32_iu8 v253, v222, v193, v253 neg_lo:[1,1,0]
	s_delay_alu instid0(VALU_DEP_3) | instskip(NEXT) | instid1(VALU_DEP_3)
	v_mad_i32_i24 v6, v218, v170, v6
	v_mad_i32_i24 v114, v234, v178, v114
	s_delay_alu instid0(VALU_DEP_3) | instskip(NEXT) | instid1(VALU_DEP_3)
	v_mad_i32_i24 v253, v234, v194, v253
	v_dot4_i32_iu8 v6, v3, v172, v6 neg_lo:[1,1,0]
	s_delay_alu instid0(VALU_DEP_3) | instskip(NEXT) | instid1(VALU_DEP_3)
	v_dot4_i32_iu8 v114, v223, v180, v114 neg_lo:[1,1,0]
	v_dot4_i32_iu8 v253, v223, v197, v253 neg_lo:[1,1,0]
	;; [unrolled: 9-line block ×4, first 2 shown]
	s_delay_alu instid0(VALU_DEP_3) | instskip(NEXT) | instid1(VALU_DEP_1)
	v_mul_lo_u32 v6, v6, v173
	v_mad_u32 v6, v114, v181, v6
	v_mul_f32_e32 v114, v165, v1
	s_delay_alu instid0(VALU_DEP_2) | instskip(NEXT) | instid1(VALU_DEP_1)
	v_cvt_f32_i32_e32 v6, v6
	v_mul_f32_e32 v6, v114, v6
	v_mul_i32_i24_e32 v114, v7, v183
	s_delay_alu instid0(VALU_DEP_1) | instskip(NEXT) | instid1(VALU_DEP_1)
	v_mad_i32_i24 v114, v115, v184, v114
	v_dot4_i32_iu8 v114, v2, v185, v114 neg_lo:[1,1,0]
	s_delay_alu instid0(VALU_DEP_1) | instskip(NEXT) | instid1(VALU_DEP_1)
	v_mad_i32_i24 v114, v218, v186, v114
	v_dot4_i32_iu8 v114, v3, v189, v114 neg_lo:[1,1,0]
	;; [unrolled: 3-line block ×4, first 2 shown]
	s_delay_alu instid0(VALU_DEP_1) | instskip(NEXT) | instid1(VALU_DEP_1)
	v_mul_lo_u32 v114, v114, v190
	v_mad_u32 v114, v253, v198, v114
	v_mul_f32_e32 v253, v182, v1
	s_delay_alu instid0(VALU_DEP_2) | instskip(NEXT) | instid1(VALU_DEP_1)
	v_cvt_f32_i32_e32 v114, v114
	v_mul_f32_e32 v114, v253, v114
	v_mul_i32_i24_e32 v253, v7, v201
	s_set_vgpr_msb 1                        ;  msbs: dst=0 src0=1 src1=0 src2=0
	v_mul_i32_i24_e32 v7, v14 /*v270*/, v7
	s_set_vgpr_msb 0                        ;  msbs: dst=0 src0=0 src1=0 src2=0
	s_delay_alu instid0(VALU_DEP_2) | instskip(SKIP_1) | instid1(VALU_DEP_2)
	v_mad_i32_i24 v253, v115, v202, v253
	s_set_vgpr_msb 1                        ;  msbs: dst=0 src0=1 src1=0 src2=0
	v_mad_i32_i24 v7, v3 /*v259*/, v115, v7
	s_set_vgpr_msb 0                        ;  msbs: dst=0 src0=0 src1=0 src2=0
	s_delay_alu instid0(VALU_DEP_2) | instskip(SKIP_1) | instid1(VALU_DEP_2)
	v_dot4_i32_iu8 v253, v2, v203, v253 neg_lo:[1,1,0]
	s_set_vgpr_msb 1                        ;  msbs: dst=0 src0=1 src1=0 src2=0
	v_dot4_i32_iu8 v2, v4 /*v260*/, v2, v7 neg_lo:[1,1,0]
	s_set_vgpr_msb 0                        ;  msbs: dst=0 src0=0 src1=0 src2=0
	s_delay_alu instid0(VALU_DEP_2) | instskip(NEXT) | instid1(VALU_DEP_2)
	v_mad_i32_i24 v253, v218, v204, v253
	v_mad_i32_i24 v2, v245, v218, v2
	s_delay_alu instid0(VALU_DEP_2) | instskip(NEXT) | instid1(VALU_DEP_2)
	v_dot4_i32_iu8 v253, v3, v207, v253 neg_lo:[1,1,0]
	v_dot4_i32_iu8 v2, v238, v3, v2 neg_lo:[1,1,0]
	s_set_vgpr_msb 1                        ;  msbs: dst=0 src0=1 src1=0 src2=0
	v_mul_i32_i24_e32 v3, v20 /*v276*/, v226
	s_set_vgpr_msb 0                        ;  msbs: dst=0 src0=0 src1=0 src2=0
	v_mad_i32_i24 v253, v205, v219, v253
	s_set_vgpr_msb 4                        ;  msbs: dst=0 src0=0 src1=1 src2=0
	v_mad_i32_i24 v2, v219, v13 /*v269*/, v2
	s_set_vgpr_msb 1                        ;  msbs: dst=0 src0=1 src1=0 src2=0
	v_mad_i32_i24 v3, v17 /*v273*/, v227, v3
	s_set_vgpr_msb 0                        ;  msbs: dst=0 src0=0 src1=0 src2=0
	v_dot4_i32_iu8 v253, v236, v4, v253 neg_lo:[1,1,0]
	v_dot4_i32_iu8 v2, v4, v215, v2 neg_lo:[1,1,0]
	s_delay_alu instid0(VALU_DEP_3) | instskip(NEXT) | instid1(VALU_DEP_3)
	v_dot4_i32_iu8 v3, v220, v222, v3 neg_lo:[1,1,0]
	v_mad_i32_i24 v216, v206, v216, v253
	s_delay_alu instid0(VALU_DEP_3) | instskip(NEXT) | instid1(VALU_DEP_3)
	v_dot4_i32_iu8 v2, v232, v5, v2 neg_lo:[1,1,0]
	v_mad_i32_i24 v3, v246, v234, v3
	s_delay_alu instid0(VALU_DEP_3) | instskip(SKIP_1) | instid1(VALU_DEP_3)
	v_dot4_i32_iu8 v216, v237, v252, v216 neg_lo:[1,1,0]
	v_mul_i32_i24_e32 v252, v226, v209
	v_dot4_i32_iu8 v3, v230, v223, v3 neg_lo:[1,1,0]
	v_mul_lo_u32 v2, v2, v248
	s_delay_alu instid0(VALU_DEP_4) | instskip(NEXT) | instid1(VALU_DEP_4)
	v_mul_lo_u32 v216, v216, v208
	v_mad_i32_i24 v252, v227, v210, v252
	s_set_vgpr_msb 4                        ;  msbs: dst=0 src0=0 src1=1 src2=0
	v_mad_i32_i24 v3, v250, v32 /*v288*/, v3
	s_set_vgpr_msb 0                        ;  msbs: dst=0 src0=0 src1=0 src2=0
	s_delay_alu instid0(VALU_DEP_2) | instskip(NEXT) | instid1(VALU_DEP_2)
	v_dot4_i32_iu8 v252, v222, v211, v252 neg_lo:[1,1,0]
	v_dot4_i32_iu8 v3, v224, v249, v3 neg_lo:[1,1,0]
	s_delay_alu instid0(VALU_DEP_2) | instskip(NEXT) | instid1(VALU_DEP_2)
	v_mad_i32_i24 v252, v234, v212, v252
	v_mad_i32_i24 v3, v231, v251, v3
	s_delay_alu instid0(VALU_DEP_2) | instskip(NEXT) | instid1(VALU_DEP_2)
	v_dot4_i32_iu8 v252, v223, v217, v252 neg_lo:[1,1,0]
	v_dot4_i32_iu8 v3, v199, v225, v3 neg_lo:[1,1,0]
	s_delay_alu instid0(VALU_DEP_2) | instskip(NEXT) | instid1(VALU_DEP_2)
	v_mad_i32_i24 v252, v213, v250, v252
	v_mad_u32 v2, v3, v239, v2
	s_delay_alu instid0(VALU_DEP_2) | instskip(NEXT) | instid1(VALU_DEP_1)
	v_dot4_i32_iu8 v252, v244, v224, v252 neg_lo:[1,1,0]
	v_mad_i32_i24 v252, v214, v251, v252
	s_delay_alu instid0(VALU_DEP_3) | instskip(NEXT) | instid1(VALU_DEP_2)
	v_cvt_f32_i32_e32 v2, v2
	v_dot4_i32_iu8 v252, v247, v225, v252 neg_lo:[1,1,0]
	s_delay_alu instid0(VALU_DEP_1) | instskip(SKIP_2) | instid1(VALU_DEP_1)
	v_mad_u32 v216, v252, v221, v216
	v_mul_f32_e32 v252, v200, v1
	v_mul_f32_e32 v1, v0, v1
	v_dual_mul_f32 v218, v1, v2 :: v_dual_bitop2_b32 v1, s18, v144 bitop3:0x54
	s_delay_alu instid0(VALU_DEP_4) | instskip(NEXT) | instid1(VALU_DEP_2)
	v_cvt_f32_i32_e32 v216, v216
	v_dual_lshlrev_b32 v7, 2, v1 :: v_dual_lshrrev_b32 v1, 1, v1
	ds_load_b32 v1, v1 offset:38816
	ds_load_b128 v[2:5], v7 offset:25344
	ds_load_b128 v[222:225], v7 offset:25360
	v_mul_f32_e32 v216, v252, v216
	s_wait_dscnt 0x2
	v_mul_f32_e32 v0, v0, v1
	s_wait_dscnt 0x1
	v_bfe_i32 v219, v2, 0, 8
	v_bfe_i32 v226, v2, 8, 8
	v_perm_b32 v2, v2, v2, 0xc0c0302
	v_bfe_i32 v227, v3, 0, 8
	v_perm_b32 v3, v3, v3, 0xc030201
	;; [unrolled: 2-line block ×3, first 2 shown]
	v_bfe_i32 v250, v5, 0, 8
	s_wait_dscnt 0x0
	v_bfe_i32 v251, v222, 0, 8
	v_bfe_i32 v252, v222, 8, 8
	;; [unrolled: 1-line block ×5, first 2 shown]
	v_mul_i32_i24_e32 v7, v219, v166
	v_perm_b32 v166, v5, v5, 0xc030201
	v_mul_i32_i24_e32 v115, v251, v174
	s_delay_alu instid0(VALU_DEP_3) | instskip(SKIP_1) | instid1(VALU_DEP_3)
	v_mad_i32_i24 v7, v226, v167, v7
	v_perm_b32 v167, v222, v222, 0xc0c0302
	v_mad_i32_i24 v115, v252, v175, v115
	s_delay_alu instid0(VALU_DEP_3) | instskip(SKIP_1) | instid1(VALU_DEP_3)
	v_dot4_i32_iu8 v7, v2, v168, v7 neg_lo:[1,1,0]
	v_perm_b32 v168, v223, v223, 0xc030201
	v_dot4_i32_iu8 v115, v167, v176, v115 neg_lo:[1,1,0]
	s_delay_alu instid0(VALU_DEP_3) | instskip(SKIP_1) | instid1(VALU_DEP_3)
	v_mad_i32_i24 v7, v227, v170, v7
	v_perm_b32 v170, v225, v225, 0xc030201
	v_mad_i32_i24 v115, v253, v178, v115
	s_delay_alu instid0(VALU_DEP_3) | instskip(NEXT) | instid1(VALU_DEP_2)
	v_dot4_i32_iu8 v7, v3, v172, v7 neg_lo:[1,1,0]
	v_dot4_i32_iu8 v115, v168, v180, v115 neg_lo:[1,1,0]
	s_delay_alu instid0(VALU_DEP_2) | instskip(SKIP_1) | instid1(VALU_DEP_3)
	v_mad_i32_i24 v7, v169, v234, v7
	v_perm_b32 v169, v224, v224, 0xc030201
	v_mad_i32_i24 v115, v177, v254, v115
	s_delay_alu instid0(VALU_DEP_3) | instskip(NEXT) | instid1(VALU_DEP_2)
	v_dot4_i32_iu8 v7, v228, v4, v7 neg_lo:[1,1,0]
	v_dot4_i32_iu8 v115, v233, v169, v115 neg_lo:[1,1,0]
	s_delay_alu instid0(VALU_DEP_2) | instskip(NEXT) | instid1(VALU_DEP_2)
	v_mad_i32_i24 v7, v171, v250, v7
	v_mad_i32_i24 v115, v179, v255, v115
	s_delay_alu instid0(VALU_DEP_2) | instskip(NEXT) | instid1(VALU_DEP_2)
	v_dot4_i32_iu8 v7, v229, v166, v7 neg_lo:[1,1,0]
	v_dot4_i32_iu8 v115, v235, v170, v115 neg_lo:[1,1,0]
	s_delay_alu instid0(VALU_DEP_2) | instskip(NEXT) | instid1(VALU_DEP_1)
	v_mul_lo_u32 v7, v7, v173
	v_mad_u32 v7, v115, v181, v7
	v_mul_f32_e32 v115, v165, v1
	s_delay_alu instid0(VALU_DEP_2) | instskip(NEXT) | instid1(VALU_DEP_1)
	v_cvt_f32_i32_e32 v7, v7
	v_mul_f32_e32 v7, v115, v7
	s_delay_alu instid0(VALU_DEP_1) | instskip(SKIP_2) | instid1(VALU_DEP_2)
	v_pk_add_f32 v[18:19], v[18:19], v[6:7]
	v_mul_i32_i24_e32 v6, v219, v183
	v_mul_i32_i24_e32 v7, v251, v191
	v_mad_i32_i24 v6, v226, v184, v6
	s_delay_alu instid0(VALU_DEP_2) | instskip(NEXT) | instid1(VALU_DEP_2)
	v_mad_i32_i24 v7, v252, v192, v7
	v_dot4_i32_iu8 v6, v2, v185, v6 neg_lo:[1,1,0]
	s_delay_alu instid0(VALU_DEP_2) | instskip(NEXT) | instid1(VALU_DEP_2)
	v_dot4_i32_iu8 v7, v167, v193, v7 neg_lo:[1,1,0]
	v_mad_i32_i24 v6, v227, v186, v6
	s_delay_alu instid0(VALU_DEP_2) | instskip(NEXT) | instid1(VALU_DEP_2)
	v_mad_i32_i24 v7, v253, v194, v7
	v_dot4_i32_iu8 v6, v3, v189, v6 neg_lo:[1,1,0]
	s_delay_alu instid0(VALU_DEP_2) | instskip(NEXT) | instid1(VALU_DEP_2)
	v_dot4_i32_iu8 v7, v168, v197, v7 neg_lo:[1,1,0]
	;; [unrolled: 6-line block ×4, first 2 shown]
	v_mul_lo_u32 v6, v6, v190
	s_delay_alu instid0(VALU_DEP_1) | instskip(SKIP_1) | instid1(VALU_DEP_2)
	v_mad_u32 v6, v7, v198, v6
	v_mul_f32_e32 v7, v182, v1
	v_cvt_f32_i32_e32 v6, v6
	s_delay_alu instid0(VALU_DEP_1) | instskip(SKIP_2) | instid1(VALU_DEP_3)
	v_mul_f32_e32 v115, v7, v6
	v_mul_i32_i24_e32 v6, v219, v201
	v_mul_i32_i24_e32 v7, v251, v209
	v_pk_add_f32 v[16:17], v[16:17], v[114:115]
	s_delay_alu instid0(VALU_DEP_3) | instskip(NEXT) | instid1(VALU_DEP_3)
	v_mad_i32_i24 v6, v226, v202, v6
	v_mad_i32_i24 v7, v252, v210, v7
	s_delay_alu instid0(VALU_DEP_2) | instskip(NEXT) | instid1(VALU_DEP_2)
	v_dot4_i32_iu8 v6, v2, v203, v6 neg_lo:[1,1,0]
	v_dot4_i32_iu8 v7, v167, v211, v7 neg_lo:[1,1,0]
	s_delay_alu instid0(VALU_DEP_2) | instskip(NEXT) | instid1(VALU_DEP_2)
	v_mad_i32_i24 v6, v227, v204, v6
	v_mad_i32_i24 v7, v253, v212, v7
	s_delay_alu instid0(VALU_DEP_2) | instskip(NEXT) | instid1(VALU_DEP_2)
	v_dot4_i32_iu8 v6, v3, v207, v6 neg_lo:[1,1,0]
	v_dot4_i32_iu8 v7, v168, v217, v7 neg_lo:[1,1,0]
	s_delay_alu instid0(VALU_DEP_2) | instskip(NEXT) | instid1(VALU_DEP_2)
	;; [unrolled: 6-line block ×3, first 2 shown]
	v_mad_i32_i24 v6, v206, v250, v6
	v_mad_i32_i24 v7, v214, v255, v7
	s_delay_alu instid0(VALU_DEP_2) | instskip(NEXT) | instid1(VALU_DEP_2)
	v_dot4_i32_iu8 v6, v237, v166, v6 neg_lo:[1,1,0]
	v_dot4_i32_iu8 v7, v247, v170, v7 neg_lo:[1,1,0]
	s_delay_alu instid0(VALU_DEP_2) | instskip(NEXT) | instid1(VALU_DEP_1)
	v_mul_lo_u32 v6, v6, v208
	v_mad_u32 v6, v7, v221, v6
	v_mul_f32_e32 v7, v200, v1
	s_delay_alu instid0(VALU_DEP_2) | instskip(NEXT) | instid1(VALU_DEP_1)
	v_cvt_f32_i32_e32 v6, v6
	v_mul_f32_e32 v217, v7, v6
	s_set_vgpr_msb 1                        ;  msbs: dst=0 src0=1 src1=0 src2=0
	v_mul_i32_i24_e32 v6, v14 /*v270*/, v219
	s_set_vgpr_msb 0                        ;  msbs: dst=0 src0=0 src1=0 src2=0
	s_delay_alu instid0(VALU_DEP_2) | instskip(SKIP_1) | instid1(VALU_DEP_2)
	v_pk_add_f32 v[14:15], v[14:15], v[216:217]
	s_set_vgpr_msb 1                        ;  msbs: dst=0 src0=1 src1=0 src2=0
	v_mad_i32_i24 v6, v3 /*v259*/, v226, v6
	s_delay_alu instid0(VALU_DEP_1) | instskip(SKIP_1) | instid1(VALU_DEP_1)
	v_dot4_i32_iu8 v2, v4 /*v260*/, v2, v6 neg_lo:[1,1,0]
	s_set_vgpr_msb 0                        ;  msbs: dst=0 src0=0 src1=0 src2=0
	v_mad_i32_i24 v2, v245, v227, v2
	s_delay_alu instid0(VALU_DEP_1) | instskip(SKIP_3) | instid1(VALU_DEP_2)
	v_dot4_i32_iu8 v2, v238, v3, v2 neg_lo:[1,1,0]
	s_set_vgpr_msb 1                        ;  msbs: dst=0 src0=1 src1=0 src2=0
	v_mul_i32_i24_e32 v3, v20 /*v276*/, v251
	s_set_vgpr_msb 4                        ;  msbs: dst=0 src0=0 src1=1 src2=0
	v_mad_i32_i24 v2, v234, v13 /*v269*/, v2
	s_set_vgpr_msb 1                        ;  msbs: dst=0 src0=1 src1=0 src2=0
	s_delay_alu instid0(VALU_DEP_2) | instskip(SKIP_1) | instid1(VALU_DEP_2)
	v_mad_i32_i24 v3, v17 /*v273*/, v252, v3
	s_set_vgpr_msb 0                        ;  msbs: dst=0 src0=0 src1=0 src2=0
	v_dot4_i32_iu8 v2, v4, v215, v2 neg_lo:[1,1,0]
	s_delay_alu instid0(VALU_DEP_2) | instskip(NEXT) | instid1(VALU_DEP_2)
	v_dot4_i32_iu8 v3, v220, v167, v3 neg_lo:[1,1,0]
	v_dot4_i32_iu8 v2, v232, v5, v2 neg_lo:[1,1,0]
	s_delay_alu instid0(VALU_DEP_2) | instskip(NEXT) | instid1(VALU_DEP_2)
	v_mad_i32_i24 v3, v246, v253, v3
	v_mul_lo_u32 v2, v2, v248
	s_delay_alu instid0(VALU_DEP_2) | instskip(SKIP_1) | instid1(VALU_DEP_1)
	v_dot4_i32_iu8 v3, v230, v168, v3 neg_lo:[1,1,0]
	s_set_vgpr_msb 4                        ;  msbs: dst=0 src0=0 src1=1 src2=0
	v_mad_i32_i24 v3, v254, v32 /*v288*/, v3
	s_set_vgpr_msb 0                        ;  msbs: dst=0 src0=0 src1=0 src2=0
	s_delay_alu instid0(VALU_DEP_1) | instskip(NEXT) | instid1(VALU_DEP_1)
	v_dot4_i32_iu8 v3, v169, v249, v3 neg_lo:[1,1,0]
	v_mad_i32_i24 v3, v231, v255, v3
	s_delay_alu instid0(VALU_DEP_1) | instskip(NEXT) | instid1(VALU_DEP_1)
	v_dot4_i32_iu8 v3, v199, v170, v3 neg_lo:[1,1,0]
	v_mad_u32 v2, v3, v239, v2
	s_delay_alu instid0(VALU_DEP_1) | instskip(NEXT) | instid1(VALU_DEP_1)
	v_cvt_f32_i32_e32 v1, v2
	v_mul_f32_e32 v219, v0, v1
	s_delay_alu instid0(VALU_DEP_1)
	v_pk_add_f32 v[12:13], v[12:13], v[218:219]
	s_cbranch_scc1 .LBB130_10
; %bb.11:                               ;   in Loop: Header=BB130_8 Depth=2
	v_lshl_add_u32 v0, s16, 5, v11
	v_lshl_add_u32 v1, s16, 2, v164
	s_barrier_signal -1
	s_barrier_wait -1
	s_delay_alu instid0(VALU_DEP_2) | instskip(SKIP_1) | instid1(SALU_CYCLE_1)
	v_lshrrev_b32_e32 v0, 3, v0
	s_add_co_i32 s10, s10, 2
	s_lshl_b32 s16, s10, 3
	s_delay_alu instid0(VALU_DEP_1) | instskip(SKIP_1) | instid1(VALU_DEP_2)
	v_add_nc_u32_e32 v2, s7, v0
	v_mad_nc_u64_u32 v[0:1], v1, 36, s[2:3]
	v_dual_add_nc_u32 v3, v2, v137 :: v_dual_add_nc_u32 v168, v2, v134
	v_dual_add_nc_u32 v4, v2, v130 :: v_dual_add_nc_u32 v6, v2, v131
	;; [unrolled: 1-line block ×4, first 2 shown]
	s_delay_alu instid0(VALU_DEP_4) | instskip(NEXT) | instid1(VALU_DEP_4)
	v_mad_nc_i64_i32 v[2:3], v3, 36, v[50:51]
	v_mad_nc_i64_i32 v[4:5], v4, 36, v[50:51]
	;; [unrolled: 1-line block ×8, first 2 shown]
	s_clause 0x8
	global_load_b32 v165, v[0:1], off
	global_load_b32 v174, v[2:3], off offset:4
	global_load_b32 v175, v[4:5], off offset:4
	;; [unrolled: 1-line block ×8, first 2 shown]
	s_wait_loadcnt 0x8
	s_wait_xcnt 0x8
	v_cvt_f32_f16_e64 v0, v165
	s_wait_loadcnt 0x7
	ds_store_b32 v103, v174
	s_wait_loadcnt 0x6
	ds_store_b32 v89, v175
	;; [unrolled: 2-line block ×8, first 2 shown]
	ds_store_b32 v129, v0
	s_wait_dscnt 0x0
	s_barrier_signal -1
	s_barrier_wait -1
.LBB130_12:                             ;   Parent Loop BB130_6 Depth=1
                                        ;     Parent Loop BB130_8 Depth=2
                                        ; =>    This Inner Loop Header: Depth=3
	s_lshl_b32 s17, s11, 2
	s_and_b32 s19, s11, 6
	s_and_b32 s17, s17, 24
	;; [unrolled: 1-line block ×3, first 2 shown]
	v_or_b32_e32 v0, s17, v160
	v_lshl_add_u32 v215, s21, 2, v161
	s_lshr_b32 s20, s11, 4
	s_bfe_u32 s18, s11, 0x30001
	s_lshl_b32 s22, s20, 2
	v_dual_lshlrev_b32 v4, 2, v0 :: v_dual_lshrrev_b32 v0, 1, v0
	s_lshl_b32 s20, s20, 5
	s_and_b32 s21, s11, -2
	s_addk_co_i32 s20, 0x4200
	ds_load_b32 v115, v0 offset:38816
	ds_load_b128 v[0:3], v4 offset:25344
	ds_load_b128 v[4:7], v4 offset:25360
	ds_load_2addr_b32 v[166:167], v215 offset1:1
	v_add3_u32 v172, s20, v151, v162
	s_add_co_i32 s22, s22, 0x9380
	s_add_co_i32 s11, s11, 2
	s_delay_alu instid0(SALU_CYCLE_1)
	s_cmp_lt_u32 s11, s16
	ds_load_2addr_b32 v[168:169], v172 offset1:1
	s_wait_dscnt 0x3
	v_bfe_i32 v207, v0, 0, 8
	v_bfe_i32 v208, v0, 8, 8
	s_wait_dscnt 0x1
	v_ashrrev_i32_e32 v165, s19, v166
	v_bfe_i32 v230, v3, 8, 8
	v_perm_b32 v239, v0, v0, 0xc0c0302
	v_bfe_i32 v205, v1, 0, 8
	v_bfe_i32 v202, v2, 0, 8
	v_and_b32_e32 v166, 0x3030303, v165
	v_bfe_u32 v165, v165, 24, 2
	v_bfe_i32 v228, v2, 8, 8
	s_wait_dscnt 0x0
	v_ashrrev_i32_e32 v168, s18, v168
	v_perm_b32 v231, v1, v1, 0xc030201
	v_lshrrev_b32_e32 v171, 16, v166
	v_lshrrev_b16 v170, 8, v166
	v_bfe_i32 v229, v3, 0, 8
	v_lshlrev_b32_e32 v168, 2, v168
	v_perm_b32 v232, v2, v2, 0xc0c0302
	v_bfe_i32 v203, v4, 0, 8
	v_bfe_i32 v204, v4, 8, 8
	v_perm_b32 v233, v3, v3, 0xc0c0302
	v_and_b32_e32 v168, 0x4040404, v168
	v_bfe_i32 v237, v7, 8, 8
	v_perm_b32 v241, v4, v4, 0xc0c0302
	v_bfe_i32 v200, v5, 0, 8
	v_bfe_i32 v114, v6, 0, 8
	v_dual_lshrrev_b32 v174, 24, v168 :: v_dual_lshrrev_b32 v175, 16, v168
	v_lshrrev_b16 v173, 8, v168
	v_bfe_i32 v236, v6, 8, 8
	v_perm_b32 v238, v5, v5, 0xc030201
	s_delay_alu instid0(VALU_DEP_4)
	v_sub_nc_u16 v165, v165, v174
	v_sub_nc_u16 v171, v171, v175
	v_bfe_i32 v182, v7, 0, 8
	v_perm_b32 v242, v6, v6, 0xc0c0302
	v_perm_b32 v243, v7, v7, 0xc0c0302
	v_lshlrev_b16 v165, 8, v165
	v_bfe_i32 v206, v1, 8, 8
	v_perm_b32 v1, v1, v1, 0xc0c0302
	v_bfe_i32 v201, v5, 8, 8
	v_perm_b32 v5, v5, v5, 0xc0c0302
	v_bitop3_b16 v174, v171, v165, 0xff bitop3:0xec
	v_sub_nc_u16 v165, v170, v173
	v_sub_nc_u16 v173, v166, v168
	v_perm_b32 v6, v6, v6, 0xc030201
	v_perm_b32 v7, v7, v7, 0xc030201
	;; [unrolled: 1-line block ×3, first 2 shown]
	v_lshlrev_b16 v170, 8, v165
	v_dual_ashrrev_i32 v165, s19, v167 :: v_dual_ashrrev_i32 v169, s18, v169
	s_delay_alu instid0(VALU_DEP_1) | instskip(SKIP_1) | instid1(VALU_DEP_2)
	v_and_b32_e32 v166, 0x3030303, v165
	v_bfe_u32 v165, v165, 24, 2
	v_dual_lshlrev_b32 v169, 2, v169 :: v_dual_lshrrev_b32 v168, 16, v166
	v_lshrrev_b16 v167, 8, v166
	s_delay_alu instid0(VALU_DEP_2) | instskip(NEXT) | instid1(VALU_DEP_1)
	v_and_b32_e32 v169, 0x4040404, v169
	v_dual_lshrrev_b32 v176, 24, v169 :: v_dual_lshrrev_b32 v177, 16, v169
	v_lshrrev_b16 v175, 8, v169
	v_sub_nc_u16 v178, v166, v169
	s_delay_alu instid0(VALU_DEP_3) | instskip(NEXT) | instid1(VALU_DEP_4)
	v_sub_nc_u16 v165, v165, v176
	v_sub_nc_u16 v177, v168, v177
	ds_load_2addr_b32 v[168:169], v172 offset0:2 offset1:3
	v_lshlrev_b16 v165, 8, v165
	s_delay_alu instid0(VALU_DEP_1) | instskip(SKIP_3) | instid1(VALU_DEP_1)
	v_bitop3_b16 v176, v177, v165, 0xff bitop3:0xec
	v_sub_nc_u16 v165, v167, v175
	ds_load_2addr_b32 v[166:167], v215 offset0:2 offset1:3
	v_lshlrev_b16 v175, 8, v165
	v_perm_b32 v175, v175, v175, 0xc0c0c01
	s_wait_dscnt 0x1
	v_dual_ashrrev_i32 v168, s18, v168 :: v_dual_ashrrev_i32 v169, s18, v169
	s_delay_alu instid0(VALU_DEP_1) | instskip(SKIP_2) | instid1(VALU_DEP_2)
	v_dual_lshlrev_b32 v168, 2, v168 :: v_dual_lshlrev_b32 v169, 2, v169
	s_wait_dscnt 0x0
	v_ashrrev_i32_e32 v165, s19, v166
	v_and_b32_e32 v168, 0x4040404, v168
	s_delay_alu instid0(VALU_DEP_3) | instskip(NEXT) | instid1(VALU_DEP_3)
	v_and_b32_e32 v169, 0x4040404, v169
	v_and_b32_e32 v166, 0x3030303, v165
	v_bfe_u32 v165, v165, 24, 2
	s_delay_alu instid0(VALU_DEP_4) | instskip(SKIP_1) | instid1(VALU_DEP_4)
	v_dual_lshrrev_b32 v183, 24, v168 :: v_dual_lshrrev_b32 v184, 16, v168
	v_lshrrev_b16 v181, 8, v168
	v_lshrrev_b32_e32 v180, 16, v166
	v_lshrrev_b16 v179, 8, v166
	s_delay_alu instid0(VALU_DEP_4) | instskip(SKIP_1) | instid1(VALU_DEP_4)
	v_sub_nc_u16 v165, v165, v183
	v_lshrrev_b32_e32 v183, 16, v169
	v_sub_nc_u16 v209, v180, v184
	v_sub_nc_u16 v180, v166, v168
	s_delay_alu instid0(VALU_DEP_4) | instskip(NEXT) | instid1(VALU_DEP_1)
	v_lshlrev_b16 v165, 8, v165
	v_bitop3_b16 v210, v209, v165, 0xff bitop3:0xec
	v_sub_nc_u16 v165, v179, v181
	v_lshrrev_b32_e32 v181, 24, v169
	v_lshrrev_b16 v179, 8, v169
	s_delay_alu instid0(VALU_DEP_3) | instskip(SKIP_1) | instid1(VALU_DEP_1)
	v_lshlrev_b16 v211, 8, v165
	v_ashrrev_i32_e32 v165, s19, v167
	v_and_b32_e32 v166, 0x3030303, v165
	v_bfe_u32 v165, v165, 24, 2
	s_delay_alu instid0(VALU_DEP_2) | instskip(SKIP_1) | instid1(VALU_DEP_3)
	v_lshrrev_b32_e32 v168, 16, v166
	v_lshrrev_b16 v167, 8, v166
	v_sub_nc_u16 v165, v165, v181
	v_sub_nc_u16 v181, v166, v169
	s_delay_alu instid0(VALU_DEP_4) | instskip(SKIP_2) | instid1(VALU_DEP_1)
	v_sub_nc_u16 v212, v168, v183
	ds_load_2addr_b32 v[168:169], v172 offset0:4 offset1:5
	v_lshlrev_b16 v165, 8, v165
	v_bitop3_b16 v213, v212, v165, 0xff bitop3:0xec
	v_sub_nc_u16 v165, v167, v179
	ds_load_2addr_b32 v[166:167], v215 offset0:4 offset1:5
	v_lshlrev_b16 v214, 8, v165
	s_wait_dscnt 0x1
	v_dual_ashrrev_i32 v168, s18, v168 :: v_dual_ashrrev_i32 v169, s18, v169
	s_delay_alu instid0(VALU_DEP_1) | instskip(SKIP_2) | instid1(VALU_DEP_2)
	v_dual_lshlrev_b32 v168, 2, v168 :: v_dual_lshlrev_b32 v169, 2, v169
	s_wait_dscnt 0x0
	v_ashrrev_i32_e32 v165, s19, v166
	v_and_b32_e32 v168, 0x4040404, v168
	s_delay_alu instid0(VALU_DEP_3) | instskip(NEXT) | instid1(VALU_DEP_3)
	v_and_b32_e32 v169, 0x4040404, v169
	v_and_b32_e32 v166, 0x3030303, v165
	v_bfe_u32 v165, v165, 24, 2
	s_delay_alu instid0(VALU_DEP_4) | instskip(SKIP_1) | instid1(VALU_DEP_4)
	v_dual_lshrrev_b32 v185, 24, v168 :: v_dual_lshrrev_b32 v186, 16, v168
	v_lshrrev_b16 v184, 8, v168
	v_lshrrev_b32_e32 v183, 16, v166
	v_lshrrev_b16 v179, 8, v166
	s_delay_alu instid0(VALU_DEP_4) | instskip(SKIP_1) | instid1(VALU_DEP_4)
	v_sub_nc_u16 v165, v165, v185
	v_dual_lshrrev_b32 v187, 24, v169 :: v_dual_lshrrev_b32 v188, 16, v169
	v_sub_nc_u16 v183, v183, v186
	v_lshrrev_b16 v186, 8, v169
	s_delay_alu instid0(VALU_DEP_4) | instskip(NEXT) | instid1(VALU_DEP_1)
	v_lshlrev_b16 v165, 8, v165
	v_bitop3_b16 v185, v183, v165, 0xff bitop3:0xec
	v_sub_nc_u16 v165, v179, v184
	v_sub_nc_u16 v184, v166, v168
	s_delay_alu instid0(VALU_DEP_2) | instskip(SKIP_1) | instid1(VALU_DEP_1)
	v_lshlrev_b16 v179, 8, v165
	v_ashrrev_i32_e32 v165, s19, v167
	v_and_b32_e32 v166, 0x3030303, v165
	v_bfe_u32 v165, v165, 24, 2
	s_delay_alu instid0(VALU_DEP_2) | instskip(SKIP_2) | instid1(VALU_DEP_4)
	v_lshrrev_b32_e32 v168, 16, v166
	v_lshrrev_b16 v167, 8, v166
	v_sub_nc_u16 v189, v166, v169
	v_sub_nc_u16 v165, v165, v187
	s_delay_alu instid0(VALU_DEP_4) | instskip(SKIP_2) | instid1(VALU_DEP_1)
	v_sub_nc_u16 v188, v168, v188
	ds_load_2addr_b32 v[168:169], v172 offset0:6 offset1:7
	v_lshlrev_b16 v165, 8, v165
	v_bitop3_b16 v187, v188, v165, 0xff bitop3:0xec
	v_sub_nc_u16 v165, v167, v186
	ds_load_2addr_b32 v[166:167], v215 offset0:6 offset1:7
	v_lshlrev_b16 v186, 8, v165
	s_delay_alu instid0(VALU_DEP_1) | instskip(SKIP_2) | instid1(VALU_DEP_1)
	v_perm_b32 v186, v186, v186, 0xc0c0c01
	s_wait_dscnt 0x1
	v_dual_ashrrev_i32 v168, s18, v168 :: v_dual_ashrrev_i32 v169, s18, v169
	v_dual_lshlrev_b32 v168, 2, v168 :: v_dual_lshlrev_b32 v169, 2, v169
	s_wait_dscnt 0x0
	v_ashrrev_i32_e32 v165, s19, v166
	s_delay_alu instid0(VALU_DEP_2) | instskip(NEXT) | instid1(VALU_DEP_3)
	v_and_b32_e32 v168, 0x4040404, v168
	v_and_b32_e32 v169, 0x4040404, v169
	s_delay_alu instid0(VALU_DEP_3) | instskip(SKIP_1) | instid1(VALU_DEP_4)
	v_and_b32_e32 v166, 0x3030303, v165
	v_bfe_u32 v165, v165, 24, 2
	v_dual_lshrrev_b32 v192, 24, v168 :: v_dual_lshrrev_b32 v193, 16, v168
	v_lshrrev_b16 v172, 8, v168
	s_delay_alu instid0(VALU_DEP_4) | instskip(SKIP_1) | instid1(VALU_DEP_4)
	v_lshrrev_b32_e32 v191, 16, v166
	v_lshrrev_b16 v190, 8, v166
	v_sub_nc_u16 v165, v165, v192
	v_lshrrev_b32_e32 v192, 16, v169
	s_delay_alu instid0(VALU_DEP_4) | instskip(SKIP_1) | instid1(VALU_DEP_4)
	v_sub_nc_u16 v216, v191, v193
	v_sub_nc_u16 v191, v166, v168
	v_lshlrev_b16 v165, 8, v165
	s_delay_alu instid0(VALU_DEP_1) | instskip(SKIP_3) | instid1(VALU_DEP_3)
	v_bitop3_b16 v217, v216, v165, 0xff bitop3:0xec
	v_sub_nc_u16 v165, v190, v172
	v_lshrrev_b32_e32 v190, 24, v169
	v_lshrrev_b16 v172, 8, v169
	v_lshlrev_b16 v218, 8, v165
	v_ashrrev_i32_e32 v165, s19, v167
	s_delay_alu instid0(VALU_DEP_1) | instskip(SKIP_1) | instid1(VALU_DEP_2)
	v_and_b32_e32 v166, 0x3030303, v165
	v_bfe_u32 v165, v165, 24, 2
	v_lshrrev_b32_e32 v168, 16, v166
	v_lshrrev_b16 v167, 8, v166
	s_delay_alu instid0(VALU_DEP_3)
	v_sub_nc_u16 v165, v165, v190
	v_sub_nc_u16 v190, v166, v169
	v_bfe_i32 v166, v173, 0, 8
	v_sub_nc_u16 v220, v168, v192
	v_add_nc_u32_e32 v192, s21, v55
	v_lshlrev_b16 v165, 8, v165
	s_delay_alu instid0(VALU_DEP_4) | instskip(NEXT) | instid1(VALU_DEP_2)
	v_mul_i32_i24_e32 v168, v166, v207
	v_bitop3_b16 v221, v220, v165, 0xff bitop3:0xec
	v_sub_nc_u16 v165, v167, v172
	v_bfe_i32 v167, v170, 8, 8
	v_bfe_i32 v172, v214, 8, 8
	;; [unrolled: 1-line block ×3, first 2 shown]
	s_delay_alu instid0(VALU_DEP_4) | instskip(NEXT) | instid1(VALU_DEP_4)
	v_lshlrev_b16 v222, 8, v165
	v_mad_i32_i24 v169, v167, v208, v168
	v_perm_b32 v168, v174, v171, 0xc0c0500
	v_add3_u32 v165, s22, v163, v153
	v_bfe_i32 v171, v211, 8, 8
	s_delay_alu instid0(VALU_DEP_3)
	v_dot4_i32_iu8 v0, v168, v239, v169 neg_lo:[1,1,0]
	v_bfe_i32 v169, v180, 0, 8
	v_mul_i32_i24_e32 v180, v230, v172
	v_perm_b32 v172, v176, v177, 0xc05000c
	ds_load_b32 v165, v165
	v_mul_i32_i24_e32 v174, v228, v171
	v_bfe_i32 v171, v181, 0, 8
	v_mad_i32_i24 v0, v170, v205, v0
	v_or_b32_e32 v172, v172, v175
	v_mul_i32_i24_e32 v173, v202, v169
	v_bfe_i32 v175, v179, 8, 8
	v_mul_i32_i24_e32 v178, v229, v171
	v_bfe_i32 v179, v218, 8, 8
	v_dot4_i32_iu8 v0, v172, v231, v0 neg_lo:[1,1,0]
	s_delay_alu instid0(VALU_DEP_1)
	v_add3_u32 v0, v0, v173, v174
	v_perm_b32 v173, v210, v209, 0xc0c0500
	v_bfe_i32 v174, v184, 0, 8
	v_mul_i32_i24_e32 v184, v236, v179
	v_bfe_i32 v179, v190, 0, 8
	v_perm_b32 v209, v210, v209, 0xc05000c
	v_perm_b32 v210, v211, v211, 0xc0c0c01
	;; [unrolled: 1-line block ×3, first 2 shown]
	v_dot4_i32_iu8 v0, v232, v173, v0 neg_lo:[1,1,0]
	v_mul_i32_i24_e32 v176, v174, v203
	v_perm_b32 v173, v213, v212, 0xc0c0500
	v_perm_b32 v212, v214, v214, 0xc0c0c01
	;; [unrolled: 1-line block ×4, first 2 shown]
	v_add3_u32 v0, v0, v178, v180
	v_mad_i32_i24 v177, v175, v204, v176
	v_perm_b32 v176, v185, v183, 0xc0c0500
	v_bfe_i32 v180, v222, 8, 8
	v_bfe_i32 v178, v189, 0, 8
	v_mul_i32_i24_e32 v185, v182, v179
	v_or_b32_e32 v211, v211, v212
	v_or_b32_e32 v213, v213, v214
	v_perm_b32 v214, v221, v220, 0xc05000c
	v_dot4_i32_iu8 v0, v233, v173, v0 neg_lo:[1,1,0]
	ds_load_u16 v173, v192
	v_dot4_i32_iu8 v4, v176, v241, v177 neg_lo:[1,1,0]
	v_mul_i32_i24_e32 v189, v237, v180
	v_perm_b32 v180, v187, v188, 0xc05000c
	v_bfe_i32 v177, v191, 0, 8
	v_or_b32_e32 v209, v209, v210
	v_mad_i32_i24 v4, v178, v200, v4
	s_delay_alu instid0(VALU_DEP_4) | instskip(NEXT) | instid1(VALU_DEP_4)
	v_or_b32_e32 v180, v180, v186
	v_mul_i32_i24_e32 v183, v114, v177
	s_delay_alu instid0(VALU_DEP_2) | instskip(NEXT) | instid1(VALU_DEP_1)
	v_dot4_i32_iu8 v4, v180, v238, v4 neg_lo:[1,1,0]
	v_add3_u32 v4, v4, v183, v184
	v_perm_b32 v183, v217, v216, 0xc0c0500
	s_wait_dscnt 0x0
	v_lshrrev_b16 v181, 8, v173
	v_bfe_i32 v173, v173, 0, 8
	v_perm_b32 v216, v222, v222, 0xc0c0c01
	v_dot4_i32_iu8 v4, v242, v183, v4 neg_lo:[1,1,0]
	v_perm_b32 v183, v221, v220, 0xc0c0500
	s_delay_alu instid0(VALU_DEP_4) | instskip(SKIP_1) | instid1(VALU_DEP_4)
	v_mul_lo_u32 v0, v0, v173
	v_bfe_i32 v181, v181, 0, 8
	v_add3_u32 v4, v4, v185, v189
	v_add3_u32 v189, s20, v154, v145
	s_delay_alu instid0(VALU_DEP_2) | instskip(SKIP_3) | instid1(VALU_DEP_2)
	v_dot4_i32_iu8 v4, v243, v183, v4 neg_lo:[1,1,0]
	ds_load_2addr_b32 v[186:187], v189 offset1:1
	v_mad_u32 v0, v4, v181, v0
	v_mul_f32_e32 v4, v115, v165
	v_cvt_f32_i32_e32 v0, v0
	s_delay_alu instid0(VALU_DEP_1)
	v_mul_f32_e32 v4, v4, v0
	v_add_nc_u32_e32 v0, 0x1080, v215
	s_wait_dscnt 0x0
	v_ashrrev_i32_e32 v187, s18, v187
	ds_load_2addr_b32 v[184:185], v0 offset1:1
	v_dual_ashrrev_i32 v186, s18, v186 :: v_dual_lshlrev_b32 v187, 2, v187
	s_delay_alu instid0(VALU_DEP_1) | instskip(NEXT) | instid1(VALU_DEP_2)
	v_lshlrev_b32_e32 v186, 2, v186
	v_and_b32_e32 v187, 0x4040404, v187
	s_delay_alu instid0(VALU_DEP_2) | instskip(NEXT) | instid1(VALU_DEP_2)
	v_and_b32_e32 v186, 0x4040404, v186
	v_dual_lshrrev_b32 v193, 24, v187 :: v_dual_lshrrev_b32 v194, 16, v187
	s_delay_alu instid0(VALU_DEP_2) | instskip(SKIP_3) | instid1(VALU_DEP_1)
	v_lshrrev_b16 v190, 8, v186
	v_dual_lshrrev_b32 v191, 24, v186 :: v_dual_lshrrev_b32 v192, 16, v186
	s_wait_dscnt 0x0
	v_ashrrev_i32_e32 v0, s19, v184
	v_and_b32_e32 v183, 0x3030303, v0
	v_bfe_u32 v0, v0, 24, 2
	s_delay_alu instid0(VALU_DEP_2) | instskip(SKIP_1) | instid1(VALU_DEP_3)
	v_lshrrev_b16 v184, 8, v183
	v_lshrrev_b32_e32 v188, 16, v183
	v_sub_nc_u16 v0, v0, v191
	v_sub_nc_u16 v191, v183, v186
	v_ashrrev_i32_e32 v183, s19, v185
	v_sub_nc_u16 v184, v184, v190
	v_sub_nc_u16 v188, v188, v192
	v_lshrrev_b16 v192, 8, v187
	v_lshlrev_b16 v0, 8, v0
	s_delay_alu instid0(VALU_DEP_4) | instskip(SKIP_2) | instid1(VALU_DEP_4)
	v_lshlrev_b16 v190, 8, v184
	v_and_b32_e32 v184, 0x3030303, v183
	v_bfe_u32 v183, v183, 24, 2
	v_bitop3_b16 v0, v188, v0, 0xff bitop3:0xec
	s_delay_alu instid0(VALU_DEP_3) | instskip(NEXT) | instid1(VALU_DEP_3)
	v_lshrrev_b32_e32 v186, 16, v184
	v_sub_nc_u16 v183, v183, v193
	v_lshrrev_b16 v185, 8, v184
	v_sub_nc_u16 v195, v184, v187
	s_delay_alu instid0(VALU_DEP_4) | instskip(NEXT) | instid1(VALU_DEP_4)
	v_sub_nc_u16 v194, v186, v194
	v_lshlrev_b16 v183, 8, v183
	ds_load_2addr_b32 v[186:187], v189 offset0:2 offset1:3
	v_bitop3_b16 v193, v194, v183, 0xff bitop3:0xec
	v_sub_nc_u16 v183, v185, v192
	s_delay_alu instid0(VALU_DEP_1) | instskip(SKIP_1) | instid1(VALU_DEP_2)
	v_lshlrev_b16 v192, 8, v183
	v_add_nc_u32_e32 v183, 0x1088, v215
	v_perm_b32 v192, v192, v192, 0xc0c0c01
	ds_load_2addr_b32 v[184:185], v183 offset1:1
	s_wait_dscnt 0x1
	v_dual_ashrrev_i32 v186, s18, v186 :: v_dual_ashrrev_i32 v187, s18, v187
	s_delay_alu instid0(VALU_DEP_1) | instskip(NEXT) | instid1(VALU_DEP_1)
	v_dual_lshlrev_b32 v186, 2, v186 :: v_dual_lshlrev_b32 v187, 2, v187
	v_and_b32_e32 v186, 0x4040404, v186
	s_delay_alu instid0(VALU_DEP_2) | instskip(NEXT) | instid1(VALU_DEP_2)
	v_and_b32_e32 v187, 0x4040404, v187
	v_dual_lshrrev_b32 v199, 24, v186 :: v_dual_lshrrev_b32 v219, 16, v186
	s_wait_dscnt 0x0
	v_ashrrev_i32_e32 v183, s19, v184
	v_lshrrev_b16 v198, 8, v186
	s_delay_alu instid0(VALU_DEP_2) | instskip(NEXT) | instid1(VALU_DEP_1)
	v_and_b32_e32 v184, 0x3030303, v183
	v_lshrrev_b32_e32 v197, 16, v184
	v_bfe_u32 v183, v183, 24, 2
	v_lshrrev_b16 v196, 8, v184
	s_delay_alu instid0(VALU_DEP_3) | instskip(NEXT) | instid1(VALU_DEP_3)
	v_sub_nc_u16 v248, v197, v219
	v_sub_nc_u16 v183, v183, v199
	;; [unrolled: 1-line block ×3, first 2 shown]
	v_lshrrev_b32_e32 v199, 16, v187
	s_delay_alu instid0(VALU_DEP_3) | instskip(NEXT) | instid1(VALU_DEP_1)
	v_lshlrev_b16 v183, 8, v183
	v_bitop3_b16 v249, v248, v183, 0xff bitop3:0xec
	v_sub_nc_u16 v183, v196, v198
	v_lshrrev_b32_e32 v198, 24, v187
	v_lshrrev_b16 v196, 8, v187
	s_delay_alu instid0(VALU_DEP_3) | instskip(SKIP_1) | instid1(VALU_DEP_1)
	v_lshlrev_b16 v250, 8, v183
	v_ashrrev_i32_e32 v183, s19, v185
	v_and_b32_e32 v184, 0x3030303, v183
	v_bfe_u32 v183, v183, 24, 2
	s_delay_alu instid0(VALU_DEP_2) | instskip(NEXT) | instid1(VALU_DEP_2)
	v_lshrrev_b32_e32 v186, 16, v184
	v_sub_nc_u16 v183, v183, v198
	v_lshrrev_b16 v185, 8, v184
	v_sub_nc_u16 v198, v184, v187
	s_delay_alu instid0(VALU_DEP_4) | instskip(NEXT) | instid1(VALU_DEP_4)
	v_sub_nc_u16 v251, v186, v199
	v_lshlrev_b16 v183, 8, v183
	ds_load_2addr_b32 v[186:187], v189 offset0:4 offset1:5
	v_bitop3_b16 v252, v251, v183, 0xff bitop3:0xec
	v_sub_nc_u16 v183, v185, v196
	s_delay_alu instid0(VALU_DEP_1) | instskip(SKIP_4) | instid1(VALU_DEP_1)
	v_lshlrev_b16 v253, 8, v183
	v_add_nc_u32_e32 v183, 0x1090, v215
	ds_load_2addr_b32 v[184:185], v183 offset1:1
	s_wait_dscnt 0x1
	v_dual_ashrrev_i32 v186, s18, v186 :: v_dual_ashrrev_i32 v187, s18, v187
	v_dual_lshlrev_b32 v186, 2, v186 :: v_dual_lshlrev_b32 v187, 2, v187
	s_delay_alu instid0(VALU_DEP_1) | instskip(NEXT) | instid1(VALU_DEP_2)
	v_and_b32_e32 v186, 0x4040404, v186
	v_and_b32_e32 v187, 0x4040404, v187
	s_delay_alu instid0(VALU_DEP_2) | instskip(SKIP_4) | instid1(VALU_DEP_3)
	v_dual_lshrrev_b32 v223, 24, v186 :: v_dual_lshrrev_b32 v224, 16, v186
	s_wait_dscnt 0x0
	v_ashrrev_i32_e32 v183, s19, v184
	v_lshrrev_b16 v219, 8, v186
	v_dual_lshrrev_b32 v225, 24, v187 :: v_dual_lshrrev_b32 v226, 16, v187
	v_and_b32_e32 v184, 0x3030303, v183
	s_delay_alu instid0(VALU_DEP_1) | instskip(SKIP_2) | instid1(VALU_DEP_3)
	v_lshrrev_b32_e32 v199, 16, v184
	v_bfe_u32 v183, v183, 24, 2
	v_lshrrev_b16 v196, 8, v184
	v_sub_nc_u16 v199, v199, v224
	s_delay_alu instid0(VALU_DEP_3) | instskip(SKIP_1) | instid1(VALU_DEP_2)
	v_sub_nc_u16 v183, v183, v223
	v_lshrrev_b16 v224, 8, v187
	v_lshlrev_b16 v183, 8, v183
	s_delay_alu instid0(VALU_DEP_1) | instskip(SKIP_2) | instid1(VALU_DEP_2)
	v_bitop3_b16 v223, v199, v183, 0xff bitop3:0xec
	v_sub_nc_u16 v183, v196, v219
	v_sub_nc_u16 v219, v184, v186
	v_lshlrev_b16 v196, 8, v183
	v_ashrrev_i32_e32 v183, s19, v185
	s_delay_alu instid0(VALU_DEP_1) | instskip(SKIP_1) | instid1(VALU_DEP_2)
	v_and_b32_e32 v184, 0x3030303, v183
	v_bfe_u32 v183, v183, 24, 2
	v_lshrrev_b32_e32 v186, 16, v184
	s_delay_alu instid0(VALU_DEP_2) | instskip(SKIP_2) | instid1(VALU_DEP_4)
	v_sub_nc_u16 v183, v183, v225
	v_lshrrev_b16 v185, 8, v184
	v_sub_nc_u16 v227, v184, v187
	v_sub_nc_u16 v226, v186, v226
	s_delay_alu instid0(VALU_DEP_4) | instskip(SKIP_3) | instid1(VALU_DEP_1)
	v_lshlrev_b16 v183, 8, v183
	ds_load_2addr_b32 v[186:187], v189 offset0:6 offset1:7
	v_bitop3_b16 v225, v226, v183, 0xff bitop3:0xec
	v_sub_nc_u16 v183, v185, v224
	v_lshlrev_b16 v224, 8, v183
	v_add_nc_u32_e32 v183, 0x1098, v215
	s_delay_alu instid0(VALU_DEP_2) | instskip(SKIP_3) | instid1(VALU_DEP_1)
	v_perm_b32 v224, v224, v224, 0xc0c0c01
	ds_load_2addr_b32 v[184:185], v183 offset1:1
	s_wait_dscnt 0x1
	v_dual_ashrrev_i32 v186, s18, v186 :: v_dual_ashrrev_i32 v187, s18, v187
	v_dual_lshlrev_b32 v186, 2, v186 :: v_dual_lshlrev_b32 v187, 2, v187
	s_delay_alu instid0(VALU_DEP_1) | instskip(NEXT) | instid1(VALU_DEP_2)
	v_and_b32_e32 v186, 0x4040404, v186
	v_and_b32_e32 v187, 0x4040404, v187
	s_delay_alu instid0(VALU_DEP_2) | instskip(SKIP_3) | instid1(VALU_DEP_2)
	v_dual_lshrrev_b32 v240, 24, v186 :: v_dual_lshrrev_b32 v244, 16, v186
	s_wait_dscnt 0x0
	v_ashrrev_i32_e32 v183, s19, v184
	v_lshrrev_b16 v189, 8, v186
	v_and_b32_e32 v184, 0x3030303, v183
	s_delay_alu instid0(VALU_DEP_1) | instskip(SKIP_2) | instid1(VALU_DEP_3)
	v_lshrrev_b32_e32 v235, 16, v184
	v_bfe_u32 v183, v183, 24, 2
	v_lshrrev_b16 v234, 8, v184
	v_sub_nc_u16 v254, v235, v244
	s_delay_alu instid0(VALU_DEP_3) | instskip(SKIP_2) | instid1(VALU_DEP_3)
	v_sub_nc_u16 v183, v183, v240
	v_sub_nc_u16 v235, v184, v186
	v_lshrrev_b32_e32 v240, 16, v187
	v_lshlrev_b16 v183, 8, v183
	s_delay_alu instid0(VALU_DEP_1) | instskip(SKIP_3) | instid1(VALU_DEP_4)
	v_bitop3_b16 v255, v254, v183, 0xff bitop3:0xec
	v_sub_nc_u16 v183, v234, v189
	v_lshrrev_b32_e32 v234, 24, v187
	v_lshrrev_b16 v189, 8, v187
	v_perm_b32 v217, v255, v254, 0xc05000c
	s_set_vgpr_msb 64                       ;  msbs: dst=1 src0=0 src1=0 src2=0
	v_lshlrev_b16 v0 /*v256*/, 8, v183
	s_set_vgpr_msb 0                        ;  msbs: dst=0 src0=0 src1=0 src2=0
	v_ashrrev_i32_e32 v183, s19, v185
	s_set_vgpr_msb 5                        ;  msbs: dst=0 src0=1 src1=1 src2=0
	s_delay_alu instid0(VALU_DEP_2) | instskip(SKIP_1) | instid1(VALU_DEP_2)
	v_perm_b32 v218, v0 /*v256*/, v0 /*v256*/, 0xc0c0c01
	s_set_vgpr_msb 0                        ;  msbs: dst=0 src0=0 src1=0 src2=0
	v_and_b32_e32 v184, 0x3030303, v183
	v_bfe_u32 v183, v183, 24, 2
	s_delay_alu instid0(VALU_DEP_2) | instskip(NEXT) | instid1(VALU_DEP_2)
	v_dual_lshrrev_b32 v186, 16, v184 :: v_dual_bitop2_b32 v217, v217, v218 bitop3:0x54
	v_sub_nc_u16 v183, v183, v234
	v_lshrrev_b16 v185, 8, v184
	v_sub_nc_u16 v234, v184, v187
	v_bfe_i32 v184, v191, 0, 8
	s_set_vgpr_msb 64                       ;  msbs: dst=1 src0=0 src1=0 src2=0
	v_sub_nc_u16 v1 /*v257*/, v186, v240
	s_set_vgpr_msb 0                        ;  msbs: dst=0 src0=0 src1=0 src2=0
	v_lshlrev_b16 v183, 8, v183
	v_mul_i32_i24_e32 v186, v184, v207
	s_set_vgpr_msb 0x41                     ;  msbs: dst=1 src0=1 src1=0 src2=0
	s_delay_alu instid0(VALU_DEP_2)
	v_bitop3_b16 v2 /*v258*/, v1 /*v257*/, v183, 0xff bitop3:0xec
	s_set_vgpr_msb 0                        ;  msbs: dst=0 src0=0 src1=0 src2=0
	v_sub_nc_u16 v183, v185, v189
	v_bfe_i32 v185, v190, 8, 8
	v_bfe_i32 v189, v250, 8, 8
	;; [unrolled: 1-line block ×3, first 2 shown]
	s_set_vgpr_msb 5                        ;  msbs: dst=0 src0=1 src1=1 src2=0
	v_perm_b32 v218, v2 /*v258*/, v1 /*v257*/, 0xc05000c
	s_set_vgpr_msb 64                       ;  msbs: dst=1 src0=0 src1=0 src2=0
	v_lshlrev_b16 v3 /*v259*/, 8, v183
	s_set_vgpr_msb 0                        ;  msbs: dst=0 src0=0 src1=0 src2=0
	v_mad_i32_i24 v187, v185, v208, v186
	v_perm_b32 v186, v0, v188, 0xc0c0500
	v_bfe_i32 v188, v197, 0, 8
	v_add3_u32 v183, s22, v155, v146
	s_set_vgpr_msb 5                        ;  msbs: dst=0 src0=1 src1=1 src2=0
	v_perm_b32 v220, v3 /*v259*/, v3 /*v259*/, 0xc0c0c01
	s_set_vgpr_msb 0                        ;  msbs: dst=0 src0=0 src1=0 src2=0
	v_dot4_i32_iu8 v0, v186, v239, v187 neg_lo:[1,1,0]
	v_bfe_i32 v187, v195, 0, 8
	v_mul_i32_i24_e32 v195, v228, v189
	v_bfe_i32 v189, v198, 0, 8
	v_mul_i32_i24_e32 v198, v230, v190
	v_perm_b32 v190, v193, v194, 0xc05000c
	v_add_nc_u32_e32 v240, s21, v57
	v_mad_i32_i24 v0, v187, v205, v0
	v_mul_i32_i24_e32 v191, v202, v188
	v_bfe_i32 v193, v196, 8, 8
	v_or_b32_e32 v190, v190, v192
	v_bfe_i32 v192, v219, 0, 8
	v_mul_i32_i24_e32 v197, v229, v189
	ds_load_b32 v183, v183
	v_bfe_i32 v196, v235, 0, 8
	v_dot4_i32_iu8 v0, v190, v231, v0 neg_lo:[1,1,0]
	v_mul_i32_i24_e32 v194, v192, v203
	v_or_b32_e32 v218, v218, v220
	s_delay_alu instid0(VALU_DEP_3) | instskip(SKIP_1) | instid1(VALU_DEP_4)
	v_add3_u32 v0, v0, v191, v195
	v_perm_b32 v191, v249, v248, 0xc0c0500
	v_mad_i32_i24 v195, v193, v204, v194
	v_perm_b32 v194, v223, v199, 0xc0c0500
	v_mul_i32_i24_e32 v199, v114, v196
	s_set_vgpr_msb 1                        ;  msbs: dst=0 src0=1 src1=0 src2=0
	v_bfe_i32 v223, v3 /*v259*/, 8, 8
	s_set_vgpr_msb 0                        ;  msbs: dst=0 src0=0 src1=0 src2=0
	v_dot4_i32_iu8 v0, v232, v191, v0 neg_lo:[1,1,0]
	v_perm_b32 v191, v252, v251, 0xc0c0500
	s_delay_alu instid0(VALU_DEP_3) | instskip(NEXT) | instid1(VALU_DEP_3)
	v_mul_i32_i24_e32 v223, v237, v223
	v_add3_u32 v0, v0, v197, v198
	v_dot4_i32_iu8 v198, v194, v241, v195 neg_lo:[1,1,0]
	v_bfe_i32 v195, v227, 0, 8
	s_set_vgpr_msb 1                        ;  msbs: dst=0 src0=1 src1=0 src2=0
	v_bfe_i32 v197, v0 /*v256*/, 8, 8
	s_set_vgpr_msb 0                        ;  msbs: dst=0 src0=0 src1=0 src2=0
	v_dot4_i32_iu8 v0, v233, v191, v0 neg_lo:[1,1,0]
	ds_load_u16 v191, v240
	v_mul_i32_i24_e32 v219, v236, v197
	v_bfe_i32 v197, v234, 0, 8
	v_mad_i32_i24 v234, v195, v200, v198
	v_perm_b32 v198, v225, v226, 0xc05000c
	s_delay_alu instid0(VALU_DEP_3) | instskip(NEXT) | instid1(VALU_DEP_2)
	v_mul_i32_i24_e32 v227, v182, v197
	v_or_b32_e32 v198, v198, v224
	s_delay_alu instid0(VALU_DEP_1) | instskip(SKIP_1) | instid1(VALU_DEP_2)
	v_dot4_i32_iu8 v224, v198, v238, v234 neg_lo:[1,1,0]
	v_add3_u32 v234, s20, v156, v147
	v_add3_u32 v199, v224, v199, v219
	v_perm_b32 v219, v255, v254, 0xc0c0500
	s_wait_dscnt 0x0
	v_lshrrev_b16 v240, 8, v191
	v_bfe_i32 v191, v191, 0, 8
	s_delay_alu instid0(VALU_DEP_3)
	v_dot4_i32_iu8 v199, v242, v219, v199 neg_lo:[1,1,0]
	s_set_vgpr_msb 5                        ;  msbs: dst=0 src0=1 src1=1 src2=0
	v_perm_b32 v219, v2 /*v258*/, v1 /*v257*/, 0xc0c0500
	s_set_vgpr_msb 0                        ;  msbs: dst=0 src0=0 src1=0 src2=0
	v_mul_lo_u32 v0, v0, v191
	v_add3_u32 v199, v199, v227, v223
	ds_load_2addr_b32 v[226:227], v234 offset1:1
	v_dot4_i32_iu8 v219, v243, v219, v199 neg_lo:[1,1,0]
	v_bfe_i32 v199, v240, 0, 8
	s_delay_alu instid0(VALU_DEP_1) | instskip(SKIP_3) | instid1(VALU_DEP_3)
	v_mad_u32 v0, v219, v199, v0
	v_mul_f32_e32 v219, v115, v183
	s_wait_dscnt 0x0
	v_ashrrev_i32_e32 v227, s18, v227
	v_cvt_f32_i32_e32 v0, v0
	s_delay_alu instid0(VALU_DEP_1) | instskip(SKIP_1) | instid1(VALU_DEP_2)
	v_dual_mul_f32 v240, v219, v0 :: v_dual_lshlrev_b32 v227, 2, v227
	v_add_nc_u32_e32 v0, 0x2100, v215
	v_and_b32_e32 v227, 0x4040404, v227
	ds_load_2addr_b32 v[224:225], v0 offset1:1
	v_dual_ashrrev_i32 v226, s18, v226 :: v_dual_lshrrev_b32 v246, 24, v227
	s_delay_alu instid0(VALU_DEP_1) | instskip(NEXT) | instid1(VALU_DEP_1)
	v_dual_lshrrev_b32 v247, 16, v227 :: v_dual_lshlrev_b32 v226, 2, v226
	v_and_b32_e32 v226, 0x4040404, v226
	s_delay_alu instid0(VALU_DEP_1) | instskip(SKIP_3) | instid1(VALU_DEP_1)
	v_lshrrev_b16 v235, 8, v226
	v_dual_lshrrev_b32 v244, 24, v226 :: v_dual_lshrrev_b32 v245, 16, v226
	s_wait_dscnt 0x0
	v_ashrrev_i32_e32 v0, s19, v224
	v_and_b32_e32 v219, 0x3030303, v0
	s_delay_alu instid0(VALU_DEP_1) | instskip(SKIP_2) | instid1(VALU_DEP_3)
	v_lshrrev_b16 v223, 8, v219
	v_lshrrev_b32_e32 v224, 16, v219
	v_bfe_u32 v0, v0, 24, 2
	v_sub_nc_u16 v223, v223, v235
	s_delay_alu instid0(VALU_DEP_3) | instskip(NEXT) | instid1(VALU_DEP_3)
	v_sub_nc_u16 v245, v224, v245
	v_sub_nc_u16 v0, v0, v244
	v_lshrrev_b16 v244, 8, v227
	s_delay_alu instid0(VALU_DEP_4) | instskip(SKIP_3) | instid1(VALU_DEP_3)
	v_lshlrev_b16 v235, 8, v223
	v_sub_nc_u16 v223, v219, v226
	v_ashrrev_i32_e32 v219, s19, v225
	v_lshlrev_b16 v0, 8, v0
	v_bfe_i32 v223, v223, 0, 8
	s_delay_alu instid0(VALU_DEP_3) | instskip(SKIP_1) | instid1(VALU_DEP_4)
	v_and_b32_e32 v224, 0x3030303, v219
	v_bfe_u32 v219, v219, 24, 2
	v_bitop3_b16 v0, v245, v0, 0xff bitop3:0xec
	s_delay_alu instid0(VALU_DEP_3) | instskip(NEXT) | instid1(VALU_DEP_3)
	v_lshrrev_b32_e32 v226, 16, v224
	v_sub_nc_u16 v219, v219, v246
	v_lshrrev_b16 v225, 8, v224
	s_set_vgpr_msb 64                       ;  msbs: dst=1 src0=0 src1=0 src2=0
	v_sub_nc_u16 v4 /*v260*/, v224, v227
	s_set_vgpr_msb 0                        ;  msbs: dst=0 src0=0 src1=0 src2=0
	v_sub_nc_u16 v247, v226, v247
	v_lshlrev_b16 v219, 8, v219
	ds_load_2addr_b32 v[226:227], v234 offset0:2 offset1:3
	v_bitop3_b16 v246, v247, v219, 0xff bitop3:0xec
	v_sub_nc_u16 v219, v225, v244
	s_delay_alu instid0(VALU_DEP_1) | instskip(SKIP_1) | instid1(VALU_DEP_2)
	v_lshlrev_b16 v244, 8, v219
	v_add_nc_u32_e32 v219, 0x2108, v215
	v_perm_b32 v244, v244, v244, 0xc0c0c01
	ds_load_2addr_b32 v[224:225], v219 offset1:1
	s_wait_dscnt 0x1
	v_dual_ashrrev_i32 v226, s18, v226 :: v_dual_ashrrev_i32 v227, s18, v227
	s_delay_alu instid0(VALU_DEP_1) | instskip(NEXT) | instid1(VALU_DEP_1)
	v_dual_lshlrev_b32 v226, 2, v226 :: v_dual_lshlrev_b32 v227, 2, v227
	v_and_b32_e32 v226, 0x4040404, v226
	s_delay_alu instid0(VALU_DEP_2) | instskip(SKIP_1) | instid1(VALU_DEP_2)
	v_and_b32_e32 v227, 0x4040404, v227
	s_set_vgpr_msb 64                       ;  msbs: dst=1 src0=0 src1=0 src2=0
	v_lshrrev_b32_e32 v8 /*v264*/, 24, v226
	s_wait_dscnt 0x0
	s_set_vgpr_msb 0                        ;  msbs: dst=0 src0=0 src1=0 src2=0
	v_ashrrev_i32_e32 v219, s19, v224
	s_set_vgpr_msb 64                       ;  msbs: dst=1 src0=0 src1=0 src2=0
	v_dual_lshrrev_b32 v9 /*v265*/, 16, v226 :: v_dual_lshrrev_b32 v10 /*v266*/, 24, v227
	v_lshrrev_b16 v7 /*v263*/, 8, v226
	v_lshrrev_b32_e32 v11 /*v267*/, 16, v227
	s_set_vgpr_msb 0                        ;  msbs: dst=0 src0=0 src1=0 src2=0
	v_and_b32_e32 v224, 0x3030303, v219
	v_bfe_u32 v219, v219, 24, 2
	s_set_vgpr_msb 64                       ;  msbs: dst=1 src0=0 src1=0 src2=0
	s_delay_alu instid0(VALU_DEP_2) | instskip(SKIP_1) | instid1(VALU_DEP_2)
	v_lshrrev_b32_e32 v6 /*v262*/, 16, v224
	s_set_vgpr_msb 4                        ;  msbs: dst=0 src0=0 src1=1 src2=0
	v_sub_nc_u16 v219, v219, v8 /*v264*/
	s_set_vgpr_msb 64                       ;  msbs: dst=1 src0=0 src1=0 src2=0
	v_lshrrev_b16 v5 /*v261*/, 8, v224
	s_set_vgpr_msb 0x45                     ;  msbs: dst=1 src0=1 src1=1 src2=0
	v_sub_nc_u16 v6 /*v262*/, v6 /*v262*/, v9 /*v265*/
	s_set_vgpr_msb 0                        ;  msbs: dst=0 src0=0 src1=0 src2=0
	v_lshlrev_b16 v219, 8, v219
	s_set_vgpr_msb 64                       ;  msbs: dst=1 src0=0 src1=0 src2=0
	v_sub_nc_u16 v9 /*v265*/, v224, v226
	s_set_vgpr_msb 0x41                     ;  msbs: dst=1 src0=1 src1=0 src2=0
	s_delay_alu instid0(VALU_DEP_2) | instskip(SKIP_4) | instid1(VALU_DEP_2)
	v_bitop3_b16 v8 /*v264*/, v6 /*v262*/, v219, 0xff bitop3:0xec
	s_set_vgpr_msb 5                        ;  msbs: dst=0 src0=1 src1=1 src2=0
	v_sub_nc_u16 v219, v5 /*v261*/, v7 /*v263*/
	s_set_vgpr_msb 64                       ;  msbs: dst=1 src0=0 src1=0 src2=0
	v_lshrrev_b16 v7 /*v263*/, 8, v227
	v_lshlrev_b16 v5 /*v261*/, 8, v219
	s_set_vgpr_msb 0                        ;  msbs: dst=0 src0=0 src1=0 src2=0
	v_ashrrev_i32_e32 v219, s19, v225
	s_set_vgpr_msb 5                        ;  msbs: dst=0 src0=1 src1=1 src2=0
	s_delay_alu instid0(VALU_DEP_2) | instskip(SKIP_1) | instid1(VALU_DEP_2)
	v_perm_b32 v220, v5 /*v261*/, v5 /*v261*/, 0xc0c0c01
	s_set_vgpr_msb 0                        ;  msbs: dst=0 src0=0 src1=0 src2=0
	v_and_b32_e32 v224, 0x3030303, v219
	v_bfe_u32 v219, v219, 24, 2
	s_delay_alu instid0(VALU_DEP_2) | instskip(SKIP_1) | instid1(VALU_DEP_2)
	v_lshrrev_b32_e32 v226, 16, v224
	s_set_vgpr_msb 4                        ;  msbs: dst=0 src0=0 src1=1 src2=0
	v_sub_nc_u16 v219, v219, v10 /*v266*/
	s_set_vgpr_msb 0                        ;  msbs: dst=0 src0=0 src1=0 src2=0
	v_lshrrev_b16 v225, 8, v224
	s_set_vgpr_msb 64                       ;  msbs: dst=1 src0=0 src1=0 src2=0
	v_sub_nc_u16 v12 /*v268*/, v224, v227
	s_set_vgpr_msb 0x44                     ;  msbs: dst=1 src0=0 src1=1 src2=0
	v_sub_nc_u16 v11 /*v267*/, v226, v11 /*v267*/
	s_set_vgpr_msb 0                        ;  msbs: dst=0 src0=0 src1=0 src2=0
	v_lshlrev_b16 v219, 8, v219
	ds_load_2addr_b32 v[226:227], v234 offset0:4 offset1:5
	s_set_vgpr_msb 0x41                     ;  msbs: dst=1 src0=1 src1=0 src2=0
	v_bitop3_b16 v10 /*v266*/, v11 /*v267*/, v219, 0xff bitop3:0xec
	s_set_vgpr_msb 4                        ;  msbs: dst=0 src0=0 src1=1 src2=0
	v_sub_nc_u16 v219, v225, v7 /*v263*/
	s_set_vgpr_msb 64                       ;  msbs: dst=1 src0=0 src1=0 src2=0
	s_delay_alu instid0(VALU_DEP_1) | instskip(SKIP_3) | instid1(VALU_DEP_2)
	v_lshlrev_b16 v7 /*v263*/, 8, v219
	s_set_vgpr_msb 0                        ;  msbs: dst=0 src0=0 src1=0 src2=0
	v_add_nc_u32_e32 v219, 0x2110, v215
	s_set_vgpr_msb 5                        ;  msbs: dst=0 src0=1 src1=1 src2=0
	v_perm_b32 v221, v7 /*v263*/, v7 /*v263*/, 0xc0c0c01
	s_set_vgpr_msb 0                        ;  msbs: dst=0 src0=0 src1=0 src2=0
	ds_load_2addr_b32 v[224:225], v219 offset1:1
	s_wait_dscnt 0x1
	v_dual_ashrrev_i32 v226, s18, v226 :: v_dual_ashrrev_i32 v227, s18, v227
	s_delay_alu instid0(VALU_DEP_1) | instskip(NEXT) | instid1(VALU_DEP_1)
	v_dual_lshlrev_b32 v226, 2, v226 :: v_dual_lshlrev_b32 v227, 2, v227
	v_and_b32_e32 v226, 0x4040404, v226
	s_delay_alu instid0(VALU_DEP_2) | instskip(SKIP_1) | instid1(VALU_DEP_2)
	v_and_b32_e32 v227, 0x4040404, v227
	s_set_vgpr_msb 64                       ;  msbs: dst=1 src0=0 src1=0 src2=0
	v_dual_lshrrev_b32 v16 /*v272*/, 24, v226 :: v_dual_lshrrev_b32 v17 /*v273*/, 16, v226
	s_wait_dscnt 0x0
	s_set_vgpr_msb 0                        ;  msbs: dst=0 src0=0 src1=0 src2=0
	v_ashrrev_i32_e32 v219, s19, v224
	s_set_vgpr_msb 64                       ;  msbs: dst=1 src0=0 src1=0 src2=0
	v_lshrrev_b16 v15 /*v271*/, 8, v226
	v_dual_lshrrev_b32 v18 /*v274*/, 24, v227 :: v_dual_lshrrev_b32 v19 /*v275*/, 16, v227
	s_set_vgpr_msb 0                        ;  msbs: dst=0 src0=0 src1=0 src2=0
	v_and_b32_e32 v224, 0x3030303, v219
	v_bfe_u32 v219, v219, 24, 2
	s_set_vgpr_msb 64                       ;  msbs: dst=1 src0=0 src1=0 src2=0
	s_delay_alu instid0(VALU_DEP_2) | instskip(SKIP_1) | instid1(VALU_DEP_2)
	v_lshrrev_b32_e32 v14 /*v270*/, 16, v224
	s_set_vgpr_msb 4                        ;  msbs: dst=0 src0=0 src1=1 src2=0
	v_sub_nc_u16 v219, v219, v16 /*v272*/
	s_set_vgpr_msb 64                       ;  msbs: dst=1 src0=0 src1=0 src2=0
	v_lshrrev_b16 v13 /*v269*/, 8, v224
	s_set_vgpr_msb 0x45                     ;  msbs: dst=1 src0=1 src1=1 src2=0
	v_sub_nc_u16 v14 /*v270*/, v14 /*v270*/, v17 /*v273*/
	s_set_vgpr_msb 0                        ;  msbs: dst=0 src0=0 src1=0 src2=0
	v_lshlrev_b16 v219, 8, v219
	s_set_vgpr_msb 0x41                     ;  msbs: dst=1 src0=1 src1=0 src2=0
	v_lshrrev_b16 v17 /*v273*/, 8, v227
	s_delay_alu instid0(VALU_DEP_2) | instskip(SKIP_4) | instid1(VALU_DEP_2)
	v_bitop3_b16 v16 /*v272*/, v14 /*v270*/, v219, 0xff bitop3:0xec
	s_set_vgpr_msb 5                        ;  msbs: dst=0 src0=1 src1=1 src2=0
	v_sub_nc_u16 v219, v13 /*v269*/, v15 /*v271*/
	s_set_vgpr_msb 64                       ;  msbs: dst=1 src0=0 src1=0 src2=0
	v_sub_nc_u16 v15 /*v271*/, v224, v226
	v_lshlrev_b16 v13 /*v269*/, 8, v219
	s_set_vgpr_msb 0                        ;  msbs: dst=0 src0=0 src1=0 src2=0
	v_ashrrev_i32_e32 v219, s19, v225
	s_delay_alu instid0(VALU_DEP_1) | instskip(NEXT) | instid1(VALU_DEP_1)
	v_and_b32_e32 v224, 0x3030303, v219
	v_lshrrev_b32_e32 v226, 16, v224
	v_bfe_u32 v219, v219, 24, 2
	v_lshrrev_b16 v225, 8, v224
	s_set_vgpr_msb 64                       ;  msbs: dst=1 src0=0 src1=0 src2=0
	v_sub_nc_u16 v20 /*v276*/, v224, v227
	s_set_vgpr_msb 0x44                     ;  msbs: dst=1 src0=0 src1=1 src2=0
	v_sub_nc_u16 v19 /*v275*/, v226, v19 /*v275*/
	s_set_vgpr_msb 4                        ;  msbs: dst=0 src0=0 src1=1 src2=0
	v_sub_nc_u16 v219, v219, v18 /*v274*/
	ds_load_2addr_b32 v[226:227], v234 offset0:6 offset1:7
	s_set_vgpr_msb 0                        ;  msbs: dst=0 src0=0 src1=0 src2=0
	v_lshlrev_b16 v219, 8, v219
	s_set_vgpr_msb 0x41                     ;  msbs: dst=1 src0=1 src1=0 src2=0
	s_delay_alu instid0(VALU_DEP_1) | instskip(SKIP_3) | instid1(VALU_DEP_1)
	v_bitop3_b16 v18 /*v274*/, v19 /*v275*/, v219, 0xff bitop3:0xec
	s_set_vgpr_msb 4                        ;  msbs: dst=0 src0=0 src1=1 src2=0
	v_sub_nc_u16 v219, v225, v17 /*v273*/
	s_set_vgpr_msb 64                       ;  msbs: dst=1 src0=0 src1=0 src2=0
	v_lshlrev_b16 v17 /*v273*/, 8, v219
	s_set_vgpr_msb 0                        ;  msbs: dst=0 src0=0 src1=0 src2=0
	v_add_nc_u32_e32 v219, 0x2118, v215
	s_wait_dscnt 0x0
	v_ashrrev_i32_e32 v226, s18, v226
	ds_load_2addr_b32 v[224:225], v219 offset1:1
	v_dual_ashrrev_i32 v227, s18, v227 :: v_dual_lshlrev_b32 v226, 2, v226
	s_delay_alu instid0(VALU_DEP_1) | instskip(NEXT) | instid1(VALU_DEP_2)
	v_lshlrev_b32_e32 v227, 2, v227
	v_and_b32_e32 v226, 0x4040404, v226
	s_delay_alu instid0(VALU_DEP_2) | instskip(SKIP_1) | instid1(VALU_DEP_2)
	v_and_b32_e32 v227, 0x4040404, v227
	s_set_vgpr_msb 64                       ;  msbs: dst=1 src0=0 src1=0 src2=0
	v_dual_lshrrev_b32 v23 /*v279*/, 24, v226 :: v_dual_lshrrev_b32 v24 /*v280*/, 16, v226
	s_delay_alu instid0(VALU_DEP_2)
	v_lshrrev_b32_e32 v25 /*v281*/, 24, v227
	s_set_vgpr_msb 0                        ;  msbs: dst=0 src0=0 src1=0 src2=0
	v_lshrrev_b16 v234, 8, v226
	s_set_vgpr_msb 64                       ;  msbs: dst=1 src0=0 src1=0 src2=0
	v_lshrrev_b32_e32 v26 /*v282*/, 16, v227
	s_wait_dscnt 0x0
	s_set_vgpr_msb 0                        ;  msbs: dst=0 src0=0 src1=0 src2=0
	v_ashrrev_i32_e32 v219, s19, v224
	s_delay_alu instid0(VALU_DEP_1) | instskip(SKIP_2) | instid1(VALU_DEP_2)
	v_and_b32_e32 v224, 0x3030303, v219
	v_bfe_u32 v219, v219, 24, 2
	s_set_vgpr_msb 64                       ;  msbs: dst=1 src0=0 src1=0 src2=0
	v_lshrrev_b32_e32 v22 /*v278*/, 16, v224
	s_set_vgpr_msb 4                        ;  msbs: dst=0 src0=0 src1=1 src2=0
	s_delay_alu instid0(VALU_DEP_2)
	v_sub_nc_u16 v219, v219, v23 /*v279*/
	s_set_vgpr_msb 64                       ;  msbs: dst=1 src0=0 src1=0 src2=0
	v_lshrrev_b16 v21 /*v277*/, 8, v224
	s_set_vgpr_msb 0x45                     ;  msbs: dst=1 src0=1 src1=1 src2=0
	v_sub_nc_u16 v22 /*v278*/, v22 /*v278*/, v24 /*v280*/
	s_set_vgpr_msb 0                        ;  msbs: dst=0 src0=0 src1=0 src2=0
	v_lshlrev_b16 v219, 8, v219
	s_set_vgpr_msb 64                       ;  msbs: dst=1 src0=0 src1=0 src2=0
	v_sub_nc_u16 v24 /*v280*/, v224, v226
	s_set_vgpr_msb 0x41                     ;  msbs: dst=1 src0=1 src1=0 src2=0
	s_delay_alu instid0(VALU_DEP_2)
	v_bitop3_b16 v23 /*v279*/, v22 /*v278*/, v219, 0xff bitop3:0xec
	s_set_vgpr_msb 1                        ;  msbs: dst=0 src0=1 src1=0 src2=0
	v_sub_nc_u16 v219, v21 /*v277*/, v234
	v_lshrrev_b16 v234, 8, v227
	s_set_vgpr_msb 5                        ;  msbs: dst=0 src0=1 src1=1 src2=0
	v_perm_b32 v222, v23 /*v279*/, v22 /*v278*/, 0xc05000c
	s_set_vgpr_msb 64                       ;  msbs: dst=1 src0=0 src1=0 src2=0
	v_lshlrev_b16 v21 /*v277*/, 8, v219
	s_set_vgpr_msb 0                        ;  msbs: dst=0 src0=0 src1=0 src2=0
	v_ashrrev_i32_e32 v219, s19, v225
	s_delay_alu instid0(VALU_DEP_1) | instskip(SKIP_1) | instid1(VALU_DEP_2)
	v_and_b32_e32 v224, 0x3030303, v219
	v_bfe_u32 v219, v219, 24, 2
	v_lshrrev_b32_e32 v226, 16, v224
	s_set_vgpr_msb 4                        ;  msbs: dst=0 src0=0 src1=1 src2=0
	s_delay_alu instid0(VALU_DEP_2)
	v_sub_nc_u16 v219, v219, v25 /*v281*/
	s_set_vgpr_msb 0                        ;  msbs: dst=0 src0=0 src1=0 src2=0
	v_lshrrev_b16 v225, 8, v224
	s_set_vgpr_msb 64                       ;  msbs: dst=1 src0=0 src1=0 src2=0
	v_sub_nc_u16 v27 /*v283*/, v224, v227
	s_set_vgpr_msb 0                        ;  msbs: dst=0 src0=0 src1=0 src2=0
	v_bfe_i32 v224, v235, 8, 8
	s_set_vgpr_msb 0x44                     ;  msbs: dst=1 src0=0 src1=1 src2=0
	v_sub_nc_u16 v26 /*v282*/, v226, v26 /*v282*/
	s_set_vgpr_msb 1                        ;  msbs: dst=0 src0=1 src1=0 src2=0
	v_lshlrev_b16 v219, 8, v219
	v_bfe_i32 v235, v5 /*v261*/, 8, 8
	v_bfe_i32 v227, v9 /*v265*/, 0, 8
	s_set_vgpr_msb 0x41                     ;  msbs: dst=1 src0=1 src1=0 src2=0
	s_delay_alu instid0(VALU_DEP_3)
	v_bitop3_b16 v25 /*v281*/, v26 /*v282*/, v219, 0xff bitop3:0xec
	s_set_vgpr_msb 0                        ;  msbs: dst=0 src0=0 src1=0 src2=0
	v_sub_nc_u16 v219, v225, v234
	v_mul_i32_i24_e32 v225, v223, v207
	v_mul_i32_i24_e32 v235, v228, v235
	s_set_vgpr_msb 1                        ;  msbs: dst=0 src0=1 src1=0 src2=0
	v_bfe_i32 v228, v12 /*v268*/, 0, 8
	v_add_nc_u32_e32 v234, s21, v59
	s_set_vgpr_msb 64                       ;  msbs: dst=1 src0=0 src1=0 src2=0
	v_lshlrev_b16 v28 /*v284*/, 8, v219
	s_set_vgpr_msb 0                        ;  msbs: dst=0 src0=0 src1=0 src2=0
	v_mad_i32_i24 v226, v224, v208, v225
	v_perm_b32 v225, v0, v245, 0xc0c0500
	s_set_vgpr_msb 64                       ;  msbs: dst=1 src0=0 src1=0 src2=0
	v_mul_i32_i24_e32 v9 /*v265*/, v229, v228
	s_set_vgpr_msb 0                        ;  msbs: dst=0 src0=0 src1=0 src2=0
	v_perm_b32 v229, v246, v247, 0xc05000c
	v_mul_i32_i24_e32 v245, v202, v227
	v_add3_u32 v219, s22, v157, v148
	v_dot4_i32_iu8 v0, v225, v239, v226 neg_lo:[1,1,0]
	s_set_vgpr_msb 1                        ;  msbs: dst=0 src0=1 src1=0 src2=0
	v_bfe_i32 v226, v4 /*v260*/, 0, 8
	s_set_vgpr_msb 0                        ;  msbs: dst=0 src0=0 src1=0 src2=0
	v_or_b32_e32 v229, v229, v244
	s_set_vgpr_msb 0x41                     ;  msbs: dst=1 src0=1 src1=0 src2=0
	v_bfe_i32 v4 /*v260*/, v7 /*v263*/, 8, 8
	s_set_vgpr_msb 0                        ;  msbs: dst=0 src0=0 src1=0 src2=0
	ds_load_b32 v219, v219
	s_set_vgpr_msb 0x45                     ;  msbs: dst=1 src0=1 src1=1 src2=0
	v_perm_b32 v12 /*v268*/, v17 /*v273*/, v17 /*v273*/, 0xc0c0c01
	s_set_vgpr_msb 0                        ;  msbs: dst=0 src0=0 src1=0 src2=0
	v_mad_i32_i24 v0, v226, v205, v0
	s_set_vgpr_msb 1                        ;  msbs: dst=0 src0=1 src1=0 src2=0
	v_bfe_i32 v246, v21 /*v277*/, 8, 8
	s_set_vgpr_msb 4                        ;  msbs: dst=0 src0=0 src1=1 src2=0
	v_mul_i32_i24_e32 v230, v230, v4 /*v260*/
	s_set_vgpr_msb 0x41                     ;  msbs: dst=1 src0=1 src1=0 src2=0
	v_bfe_i32 v4 /*v260*/, v28 /*v284*/, 8, 8
	s_set_vgpr_msb 0                        ;  msbs: dst=0 src0=0 src1=0 src2=0
	v_dot4_i32_iu8 v0, v229, v231, v0 neg_lo:[1,1,0]
	s_set_vgpr_msb 5                        ;  msbs: dst=0 src0=1 src1=1 src2=0
	v_perm_b32 v231, v8 /*v264*/, v6 /*v262*/, 0xc0c0500
	s_set_vgpr_msb 0                        ;  msbs: dst=0 src0=0 src1=0 src2=0
	v_mul_i32_i24_e32 v246, v236, v246
	s_set_vgpr_msb 0x44                     ;  msbs: dst=1 src0=0 src1=1 src2=0
	v_mul_i32_i24_e32 v4 /*v260*/, v237, v4 /*v260*/
	s_set_vgpr_msb 5                        ;  msbs: dst=0 src0=1 src1=1 src2=0
	v_perm_b32 v237, v18 /*v274*/, v19 /*v275*/, 0xc05000c
	s_set_vgpr_msb 0                        ;  msbs: dst=0 src0=0 src1=0 src2=0
	v_add3_u32 v0, v0, v245, v235
	s_set_vgpr_msb 1                        ;  msbs: dst=0 src0=1 src1=0 src2=0
	v_bfe_i32 v235, v24 /*v280*/, 0, 8
	v_bfe_i32 v236, v27 /*v283*/, 0, 8
	s_set_vgpr_msb 4                        ;  msbs: dst=0 src0=0 src1=1 src2=0
	v_or_b32_e32 v237, v237, v12 /*v268*/
	s_set_vgpr_msb 0                        ;  msbs: dst=0 src0=0 src1=0 src2=0
	v_dot4_i32_iu8 v0, v232, v231, v0 neg_lo:[1,1,0]
	s_set_vgpr_msb 1                        ;  msbs: dst=0 src0=1 src1=0 src2=0
	v_bfe_i32 v231, v15 /*v271*/, 0, 8
	v_bfe_i32 v232, v13 /*v269*/, 8, 8
	s_set_vgpr_msb 0                        ;  msbs: dst=0 src0=0 src1=0 src2=0
	v_mul_i32_i24_e32 v247, v114, v235
	s_set_vgpr_msb 4                        ;  msbs: dst=0 src0=0 src1=1 src2=0
	v_add3_u32 v0, v0, v9 /*v265*/, v230
	s_set_vgpr_msb 5                        ;  msbs: dst=0 src0=1 src1=1 src2=0
	v_perm_b32 v230, v10 /*v266*/, v11 /*v267*/, 0xc0c0500
	s_set_vgpr_msb 64                       ;  msbs: dst=1 src0=0 src1=0 src2=0
	v_mul_i32_i24_e32 v9 /*v265*/, v182, v236
	s_set_vgpr_msb 0                        ;  msbs: dst=0 src0=0 src1=0 src2=0
	s_delay_alu instid0(VALU_DEP_2)
	v_dot4_i32_iu8 v0, v233, v230, v0 neg_lo:[1,1,0]
	v_mul_i32_i24_e32 v233, v231, v203
	ds_load_u16 v230, v234
	v_or_b32_e32 v214, v214, v216
	v_perm_b32 v216, v253, v253, 0xc0c0c01
	v_mad_i32_i24 v234, v232, v204, v233
	s_set_vgpr_msb 5                        ;  msbs: dst=0 src0=1 src1=1 src2=0
	v_perm_b32 v233, v16 /*v272*/, v14 /*v270*/, 0xc0c0500
	s_set_vgpr_msb 0                        ;  msbs: dst=0 src0=0 src1=0 src2=0
	s_delay_alu instid0(VALU_DEP_1) | instskip(SKIP_3) | instid1(VALU_DEP_1)
	v_dot4_i32_iu8 v245, v233, v241, v234 neg_lo:[1,1,0]
	s_set_vgpr_msb 1                        ;  msbs: dst=0 src0=1 src1=0 src2=0
	v_bfe_i32 v234, v20 /*v276*/, 0, 8
	s_set_vgpr_msb 0                        ;  msbs: dst=0 src0=0 src1=0 src2=0
	v_mad_i32_i24 v245, v234, v200, v245
	s_wait_dscnt 0x0
	v_lshrrev_b16 v244, 8, v230
	s_delay_alu instid0(VALU_DEP_2)
	v_dot4_i32_iu8 v238, v237, v238, v245 neg_lo:[1,1,0]
	s_set_vgpr_msb 5                        ;  msbs: dst=0 src0=1 src1=1 src2=0
	v_perm_b32 v245, v23 /*v279*/, v22 /*v278*/, 0xc0c0500
	s_set_vgpr_msb 0                        ;  msbs: dst=0 src0=0 src1=0 src2=0
	v_bfe_i32 v230, v230, 0, 8
	v_add3_u32 v238, v238, v247, v246
	s_delay_alu instid0(VALU_DEP_2) | instskip(NEXT) | instid1(VALU_DEP_2)
	v_mul_lo_u32 v0, v0, v230
	v_dot4_i32_iu8 v238, v242, v245, v238 neg_lo:[1,1,0]
	s_set_vgpr_msb 5                        ;  msbs: dst=0 src0=1 src1=1 src2=0
	v_perm_b32 v242, v25 /*v281*/, v26 /*v282*/, 0xc0c0500
	s_set_vgpr_msb 20                       ;  msbs: dst=0 src0=0 src1=1 src2=1
	s_delay_alu instid0(VALU_DEP_2) | instskip(SKIP_3) | instid1(VALU_DEP_2)
	v_add3_u32 v238, v238, v9 /*v265*/, v4 /*v260*/
	s_set_vgpr_msb 64                       ;  msbs: dst=1 src0=0 src1=0 src2=0
	v_add3_u32 v9 /*v265*/, s20, v158, v149
	s_set_vgpr_msb 0                        ;  msbs: dst=0 src0=0 src1=0 src2=0
	v_dot4_i32_iu8 v242, v243, v242, v238 neg_lo:[1,1,0]
	v_bfe_i32 v238, v244, 0, 8
	s_set_vgpr_msb 1                        ;  msbs: dst=0 src0=1 src1=0 src2=0
	ds_load_2addr_b32 v[246:247], v9 /*v265*/ offset1:1
	s_set_vgpr_msb 0                        ;  msbs: dst=0 src0=0 src1=0 src2=0
	v_mad_u32 v0, v242, v238, v0
	v_mul_f32_e32 v242, v115, v219
	s_delay_alu instid0(VALU_DEP_2) | instskip(NEXT) | instid1(VALU_DEP_1)
	v_cvt_f32_i32_e32 v0, v0
	v_mul_f32_e32 v242, v242, v0
	v_add_nc_u32_e32 v0, 0x3180, v215
	s_wait_dscnt 0x0
	v_dual_ashrrev_i32 v246, s18, v246 :: v_dual_ashrrev_i32 v247, s18, v247
	ds_load_2addr_b32 v[244:245], v0 offset1:1
	v_dual_lshlrev_b32 v246, 2, v246 :: v_dual_lshlrev_b32 v247, 2, v247
	s_delay_alu instid0(VALU_DEP_1) | instskip(NEXT) | instid1(VALU_DEP_2)
	v_and_b32_e32 v246, 0x4040404, v246
	v_and_b32_e32 v247, 0x4040404, v247
	s_set_vgpr_msb 64                       ;  msbs: dst=1 src0=0 src1=0 src2=0
	s_delay_alu instid0(VALU_DEP_2) | instskip(SKIP_1) | instid1(VALU_DEP_3)
	v_dual_lshrrev_b32 v13 /*v269*/, 24, v246 :: v_dual_lshrrev_b32 v14 /*v270*/, 16, v246
	v_lshrrev_b16 v12 /*v268*/, 8, v246
	v_dual_lshrrev_b32 v15 /*v271*/, 24, v247 :: v_dual_lshrrev_b32 v16 /*v272*/, 16, v247
	s_wait_dscnt 0x0
	s_set_vgpr_msb 0                        ;  msbs: dst=0 src0=0 src1=0 src2=0
	v_ashrrev_i32_e32 v0, s19, v244
	s_delay_alu instid0(VALU_DEP_1) | instskip(SKIP_2) | instid1(VALU_DEP_2)
	v_and_b32_e32 v243, 0x3030303, v0
	v_bfe_u32 v0, v0, 24, 2
	s_set_vgpr_msb 64                       ;  msbs: dst=1 src0=0 src1=0 src2=0
	v_lshrrev_b32_e32 v4 /*v260*/, 16, v243
	s_set_vgpr_msb 4                        ;  msbs: dst=0 src0=0 src1=1 src2=0
	s_delay_alu instid0(VALU_DEP_2)
	v_sub_nc_u16 v0, v0, v13 /*v269*/
	s_set_vgpr_msb 0                        ;  msbs: dst=0 src0=0 src1=0 src2=0
	v_lshrrev_b16 v244, 8, v243
	v_sub_nc_u16 v243, v243, v246
	s_set_vgpr_msb 0x45                     ;  msbs: dst=1 src0=1 src1=1 src2=0
	v_sub_nc_u16 v4 /*v260*/, v4 /*v260*/, v14 /*v270*/
	s_set_vgpr_msb 0                        ;  msbs: dst=0 src0=0 src1=0 src2=0
	v_lshlrev_b16 v0, 8, v0
	s_set_vgpr_msb 0x41                     ;  msbs: dst=1 src0=1 src1=0 src2=0
	v_lshrrev_b16 v14 /*v270*/, 8, v247
	s_delay_alu instid0(VALU_DEP_2) | instskip(SKIP_3) | instid1(VALU_DEP_1)
	v_bitop3_b16 v13 /*v269*/, v4 /*v260*/, v0, 0xff bitop3:0xec
	s_set_vgpr_msb 4                        ;  msbs: dst=0 src0=0 src1=1 src2=0
	v_sub_nc_u16 v0, v244, v12 /*v268*/
	s_set_vgpr_msb 64                       ;  msbs: dst=1 src0=0 src1=0 src2=0
	v_lshlrev_b16 v12 /*v268*/, 8, v0
	s_set_vgpr_msb 0                        ;  msbs: dst=0 src0=0 src1=0 src2=0
	v_ashrrev_i32_e32 v0, s19, v245
	s_set_vgpr_msb 0x41                     ;  msbs: dst=1 src0=1 src1=0 src2=0
	s_delay_alu instid0(VALU_DEP_2) | instskip(SKIP_1) | instid1(VALU_DEP_2)
	v_bfe_i32 v12 /*v268*/, v12 /*v268*/, 8, 8
	s_set_vgpr_msb 0                        ;  msbs: dst=0 src0=0 src1=0 src2=0
	v_and_b32_e32 v244, 0x3030303, v0
	v_bfe_u32 v0, v0, 24, 2
	s_delay_alu instid0(VALU_DEP_2) | instskip(SKIP_1) | instid1(VALU_DEP_2)
	v_lshrrev_b32_e32 v246, 16, v244
	s_set_vgpr_msb 4                        ;  msbs: dst=0 src0=0 src1=1 src2=0
	v_sub_nc_u16 v0, v0, v15 /*v271*/
	s_set_vgpr_msb 0                        ;  msbs: dst=0 src0=0 src1=0 src2=0
	v_lshrrev_b16 v245, 8, v244
	s_set_vgpr_msb 64                       ;  msbs: dst=1 src0=0 src1=0 src2=0
	v_sub_nc_u16 v17 /*v273*/, v244, v247
	s_set_vgpr_msb 0x44                     ;  msbs: dst=1 src0=0 src1=1 src2=0
	v_sub_nc_u16 v16 /*v272*/, v246, v16 /*v272*/
	s_set_vgpr_msb 1                        ;  msbs: dst=0 src0=1 src1=0 src2=0
	v_lshlrev_b16 v0, 8, v0
	ds_load_2addr_b32 v[246:247], v9 /*v265*/ offset0:2 offset1:3
	s_set_vgpr_msb 0x41                     ;  msbs: dst=1 src0=1 src1=0 src2=0
	v_bitop3_b16 v15 /*v271*/, v16 /*v272*/, v0, 0xff bitop3:0xec
	s_set_vgpr_msb 4                        ;  msbs: dst=0 src0=0 src1=1 src2=0
	v_sub_nc_u16 v0, v245, v14 /*v270*/
	s_set_vgpr_msb 64                       ;  msbs: dst=1 src0=0 src1=0 src2=0
	s_delay_alu instid0(VALU_DEP_1)
	v_lshlrev_b16 v14 /*v270*/, 8, v0
	s_set_vgpr_msb 0                        ;  msbs: dst=0 src0=0 src1=0 src2=0
	v_add_nc_u32_e32 v0, 0x3188, v215
	ds_load_2addr_b32 v[244:245], v0 offset1:1
	s_wait_dscnt 0x1
	v_dual_ashrrev_i32 v246, s18, v246 :: v_dual_ashrrev_i32 v247, s18, v247
	s_delay_alu instid0(VALU_DEP_1) | instskip(NEXT) | instid1(VALU_DEP_1)
	v_dual_lshlrev_b32 v246, 2, v246 :: v_dual_lshlrev_b32 v247, 2, v247
	v_and_b32_e32 v246, 0x4040404, v246
	s_delay_alu instid0(VALU_DEP_2) | instskip(SKIP_1) | instid1(VALU_DEP_2)
	v_and_b32_e32 v247, 0x4040404, v247
	s_set_vgpr_msb 64                       ;  msbs: dst=1 src0=0 src1=0 src2=0
	v_lshrrev_b32_e32 v24 /*v280*/, 24, v246
	s_wait_dscnt 0x0
	s_set_vgpr_msb 0                        ;  msbs: dst=0 src0=0 src1=0 src2=0
	v_ashrrev_i32_e32 v0, s19, v244
	s_set_vgpr_msb 64                       ;  msbs: dst=1 src0=0 src1=0 src2=0
	v_dual_lshrrev_b32 v27 /*v283*/, 16, v246 :: v_dual_lshrrev_b32 v29 /*v285*/, 16, v247
	v_lshrrev_b16 v20 /*v276*/, 8, v246
	v_lshrrev_b16 v30 /*v286*/, 8, v247
	s_set_vgpr_msb 0                        ;  msbs: dst=0 src0=0 src1=0 src2=0
	v_and_b32_e32 v244, 0x3030303, v0
	v_bfe_u32 v0, v0, 24, 2
	s_set_vgpr_msb 64                       ;  msbs: dst=1 src0=0 src1=0 src2=0
	s_delay_alu instid0(VALU_DEP_2) | instskip(SKIP_1) | instid1(VALU_DEP_2)
	v_lshrrev_b32_e32 v19 /*v275*/, 16, v244
	s_set_vgpr_msb 4                        ;  msbs: dst=0 src0=0 src1=1 src2=0
	v_sub_nc_u16 v0, v0, v24 /*v280*/
	s_set_vgpr_msb 64                       ;  msbs: dst=1 src0=0 src1=0 src2=0
	v_lshrrev_b16 v18 /*v274*/, 8, v244
	s_set_vgpr_msb 0x45                     ;  msbs: dst=1 src0=1 src1=1 src2=0
	v_sub_nc_u16 v19 /*v275*/, v19 /*v275*/, v27 /*v283*/
	s_set_vgpr_msb 0                        ;  msbs: dst=0 src0=0 src1=0 src2=0
	v_lshlrev_b16 v0, 8, v0
	s_set_vgpr_msb 0x41                     ;  msbs: dst=1 src0=1 src1=0 src2=0
	v_lshrrev_b32_e32 v27 /*v283*/, 24, v247
	s_delay_alu instid0(VALU_DEP_2) | instskip(SKIP_4) | instid1(VALU_DEP_2)
	v_bitop3_b16 v24 /*v280*/, v19 /*v275*/, v0, 0xff bitop3:0xec
	s_set_vgpr_msb 5                        ;  msbs: dst=0 src0=1 src1=1 src2=0
	v_sub_nc_u16 v0, v18 /*v274*/, v20 /*v276*/
	s_set_vgpr_msb 64                       ;  msbs: dst=1 src0=0 src1=0 src2=0
	v_sub_nc_u16 v20 /*v276*/, v244, v246
	v_lshlrev_b16 v18 /*v274*/, 8, v0
	s_set_vgpr_msb 0                        ;  msbs: dst=0 src0=0 src1=0 src2=0
	v_ashrrev_i32_e32 v0, s19, v245
	s_delay_alu instid0(VALU_DEP_1) | instskip(SKIP_1) | instid1(VALU_DEP_1)
	v_bfe_u32 v244, v0, 24, 2
	v_and_b32_e32 v0, 0x3030303, v0
	v_lshrrev_b16 v246, 8, v0
	v_lshrrev_b32_e32 v245, 16, v0
	s_set_vgpr_msb 64                       ;  msbs: dst=1 src0=0 src1=0 src2=0
	v_sub_nc_u16 v31 /*v287*/, v0, v247
	s_set_vgpr_msb 4                        ;  msbs: dst=0 src0=0 src1=1 src2=0
	v_sub_nc_u16 v0, v246, v30 /*v286*/
	s_set_vgpr_msb 0x44                     ;  msbs: dst=1 src0=0 src1=1 src2=0
	v_sub_nc_u16 v29 /*v285*/, v245, v29 /*v285*/
	s_set_vgpr_msb 1                        ;  msbs: dst=0 src0=1 src1=0 src2=0
	ds_load_2addr_b32 v[246:247], v9 /*v265*/ offset0:4 offset1:5
	v_lshlrev_b16 v0, 8, v0
	s_set_vgpr_msb 0x41                     ;  msbs: dst=1 src0=1 src1=0 src2=0
	s_delay_alu instid0(VALU_DEP_1) | instskip(SKIP_3) | instid1(VALU_DEP_1)
	v_bitop3_b16 v30 /*v286*/, v31 /*v287*/, v0, 0xff bitop3:0xec
	s_set_vgpr_msb 4                        ;  msbs: dst=0 src0=0 src1=1 src2=0
	v_sub_nc_u16 v0, v244, v27 /*v283*/
	s_set_vgpr_msb 0                        ;  msbs: dst=0 src0=0 src1=0 src2=0
	v_lshlrev_b16 v0, 8, v0
	s_set_vgpr_msb 0x41                     ;  msbs: dst=1 src0=1 src1=0 src2=0
	s_delay_alu instid0(VALU_DEP_1)
	v_bitop3_b16 v27 /*v283*/, v29 /*v285*/, v0, 0xff bitop3:0xec
	s_set_vgpr_msb 0                        ;  msbs: dst=0 src0=0 src1=0 src2=0
	v_add_nc_u32_e32 v0, 0x3190, v215
	s_wait_dscnt 0x0
	v_dual_ashrrev_i32 v246, s18, v246 :: v_dual_ashrrev_i32 v247, s18, v247
	ds_load_2addr_b32 v[244:245], v0 offset1:1
	v_dual_lshlrev_b32 v246, 2, v246 :: v_dual_lshlrev_b32 v247, 2, v247
	s_delay_alu instid0(VALU_DEP_1) | instskip(NEXT) | instid1(VALU_DEP_2)
	v_and_b32_e32 v246, 0x4040404, v246
	v_and_b32_e32 v247, 0x4040404, v247
	s_set_vgpr_msb 64                       ;  msbs: dst=1 src0=0 src1=0 src2=0
	s_delay_alu instid0(VALU_DEP_2) | instskip(SKIP_1) | instid1(VALU_DEP_3)
	v_dual_lshrrev_b32 v35 /*v291*/, 24, v246 :: v_dual_lshrrev_b32 v36 /*v292*/, 16, v246
	v_lshrrev_b16 v34 /*v290*/, 8, v246
	v_dual_lshrrev_b32 v37 /*v293*/, 24, v247 :: v_dual_lshrrev_b32 v38 /*v294*/, 16, v247
	s_wait_dscnt 0x0
	s_set_vgpr_msb 0                        ;  msbs: dst=0 src0=0 src1=0 src2=0
	v_ashrrev_i32_e32 v0, s19, v244
	s_delay_alu instid0(VALU_DEP_1) | instskip(SKIP_2) | instid1(VALU_DEP_2)
	v_and_b32_e32 v244, 0x3030303, v0
	v_bfe_u32 v0, v0, 24, 2
	s_set_vgpr_msb 64                       ;  msbs: dst=1 src0=0 src1=0 src2=0
	v_lshrrev_b32_e32 v33 /*v289*/, 16, v244
	s_set_vgpr_msb 4                        ;  msbs: dst=0 src0=0 src1=1 src2=0
	s_delay_alu instid0(VALU_DEP_2)
	v_sub_nc_u16 v0, v0, v35 /*v291*/
	s_set_vgpr_msb 64                       ;  msbs: dst=1 src0=0 src1=0 src2=0
	v_lshrrev_b16 v32 /*v288*/, 8, v244
	s_set_vgpr_msb 0x45                     ;  msbs: dst=1 src0=1 src1=1 src2=0
	v_sub_nc_u16 v33 /*v289*/, v33 /*v289*/, v36 /*v292*/
	s_set_vgpr_msb 0                        ;  msbs: dst=0 src0=0 src1=0 src2=0
	v_lshlrev_b16 v0, 8, v0
	s_set_vgpr_msb 64                       ;  msbs: dst=1 src0=0 src1=0 src2=0
	v_sub_nc_u16 v36 /*v292*/, v244, v246
	s_set_vgpr_msb 0x41                     ;  msbs: dst=1 src0=1 src1=0 src2=0
	s_delay_alu instid0(VALU_DEP_2) | instskip(SKIP_4) | instid1(VALU_DEP_2)
	v_bitop3_b16 v35 /*v291*/, v33 /*v289*/, v0, 0xff bitop3:0xec
	s_set_vgpr_msb 5                        ;  msbs: dst=0 src0=1 src1=1 src2=0
	v_sub_nc_u16 v0, v32 /*v288*/, v34 /*v290*/
	s_set_vgpr_msb 64                       ;  msbs: dst=1 src0=0 src1=0 src2=0
	v_lshrrev_b16 v34 /*v290*/, 8, v247
	v_lshlrev_b16 v32 /*v288*/, 8, v0
	s_set_vgpr_msb 0                        ;  msbs: dst=0 src0=0 src1=0 src2=0
	v_ashrrev_i32_e32 v0, s19, v245
	s_delay_alu instid0(VALU_DEP_1) | instskip(SKIP_1) | instid1(VALU_DEP_2)
	v_and_b32_e32 v244, 0x3030303, v0
	v_bfe_u32 v0, v0, 24, 2
	v_lshrrev_b32_e32 v246, 16, v244
	s_set_vgpr_msb 4                        ;  msbs: dst=0 src0=0 src1=1 src2=0
	s_delay_alu instid0(VALU_DEP_2)
	v_sub_nc_u16 v0, v0, v37 /*v293*/
	s_set_vgpr_msb 0                        ;  msbs: dst=0 src0=0 src1=0 src2=0
	v_lshrrev_b16 v245, 8, v244
	s_set_vgpr_msb 64                       ;  msbs: dst=1 src0=0 src1=0 src2=0
	v_sub_nc_u16 v39 /*v295*/, v244, v247
	s_set_vgpr_msb 0x44                     ;  msbs: dst=1 src0=0 src1=1 src2=0
	v_sub_nc_u16 v38 /*v294*/, v246, v38 /*v294*/
	s_set_vgpr_msb 1                        ;  msbs: dst=0 src0=1 src1=0 src2=0
	v_lshlrev_b16 v0, 8, v0
	ds_load_2addr_b32 v[246:247], v9 /*v265*/ offset0:6 offset1:7
	s_set_vgpr_msb 0x41                     ;  msbs: dst=1 src0=1 src1=0 src2=0
	v_bitop3_b16 v37 /*v293*/, v38 /*v294*/, v0, 0xff bitop3:0xec
	s_set_vgpr_msb 4                        ;  msbs: dst=0 src0=0 src1=1 src2=0
	v_sub_nc_u16 v0, v245, v34 /*v290*/
	s_set_vgpr_msb 64                       ;  msbs: dst=1 src0=0 src1=0 src2=0
	s_delay_alu instid0(VALU_DEP_1)
	v_lshlrev_b16 v34 /*v290*/, 8, v0
	s_set_vgpr_msb 0                        ;  msbs: dst=0 src0=0 src1=0 src2=0
	v_add_nc_u32_e32 v0, 0x3198, v215
	ds_load_2addr_b32 v[244:245], v0 offset1:1
	s_wait_dscnt 0x1
	v_dual_ashrrev_i32 v246, s18, v246 :: v_dual_ashrrev_i32 v247, s18, v247
	s_delay_alu instid0(VALU_DEP_1) | instskip(NEXT) | instid1(VALU_DEP_1)
	v_dual_lshlrev_b32 v246, 2, v246 :: v_dual_lshlrev_b32 v247, 2, v247
	v_and_b32_e32 v246, 0x4040404, v246
	s_delay_alu instid0(VALU_DEP_2) | instskip(SKIP_1) | instid1(VALU_DEP_2)
	v_and_b32_e32 v247, 0x4040404, v247
	s_set_vgpr_msb 64                       ;  msbs: dst=1 src0=0 src1=0 src2=0
	v_lshrrev_b32_e32 v41 /*v297*/, 24, v246
	s_wait_dscnt 0x0
	s_set_vgpr_msb 0                        ;  msbs: dst=0 src0=0 src1=0 src2=0
	v_ashrrev_i32_e32 v0, s19, v244
	s_set_vgpr_msb 64                       ;  msbs: dst=1 src0=0 src1=0 src2=0
	v_lshrrev_b32_e32 v42 /*v298*/, 16, v246
	v_lshrrev_b16 v9 /*v265*/, 8, v246
	v_dual_lshrrev_b32 v43 /*v299*/, 24, v247 :: v_dual_lshrrev_b32 v44 /*v300*/, 16, v247
	s_set_vgpr_msb 0                        ;  msbs: dst=0 src0=0 src1=0 src2=0
	v_and_b32_e32 v215, 0x3030303, v0
	v_bfe_u32 v0, v0, 24, 2
	s_set_vgpr_msb 64                       ;  msbs: dst=1 src0=0 src1=0 src2=0
	s_delay_alu instid0(VALU_DEP_2) | instskip(SKIP_1) | instid1(VALU_DEP_2)
	v_lshrrev_b32_e32 v40 /*v296*/, 16, v215
	s_set_vgpr_msb 4                        ;  msbs: dst=0 src0=0 src1=1 src2=0
	v_sub_nc_u16 v0, v0, v41 /*v297*/
	s_set_vgpr_msb 0                        ;  msbs: dst=0 src0=0 src1=0 src2=0
	v_lshrrev_b16 v244, 8, v215
	v_sub_nc_u16 v215, v215, v246
	s_set_vgpr_msb 0x45                     ;  msbs: dst=1 src0=1 src1=1 src2=0
	v_sub_nc_u16 v40 /*v296*/, v40 /*v296*/, v42 /*v298*/
	s_set_vgpr_msb 0                        ;  msbs: dst=0 src0=0 src1=0 src2=0
	v_lshlrev_b16 v0, 8, v0
	s_set_vgpr_msb 64                       ;  msbs: dst=1 src0=0 src1=0 src2=0
	v_lshrrev_b16 v42 /*v298*/, 8, v247
	s_set_vgpr_msb 0                        ;  msbs: dst=0 src0=0 src1=0 src2=0
	v_bfe_i32 v215, v215, 0, 8
	s_set_vgpr_msb 0x41                     ;  msbs: dst=1 src0=1 src1=0 src2=0
	v_bitop3_b16 v41 /*v297*/, v40 /*v296*/, v0, 0xff bitop3:0xec
	s_set_vgpr_msb 4                        ;  msbs: dst=0 src0=0 src1=1 src2=0
	v_sub_nc_u16 v0, v244, v9 /*v265*/
	s_set_vgpr_msb 0                        ;  msbs: dst=0 src0=0 src1=0 src2=0
	s_delay_alu instid0(VALU_DEP_1) | instskip(SKIP_1) | instid1(VALU_DEP_1)
	v_lshlrev_b16 v244, 8, v0
	v_ashrrev_i32_e32 v0, s19, v245
	v_and_b32_e32 v245, 0x3030303, v0
	v_bfe_u32 v0, v0, 24, 2
	s_set_vgpr_msb 64                       ;  msbs: dst=1 src0=0 src1=0 src2=0
	s_delay_alu instid0(VALU_DEP_2) | instskip(SKIP_1) | instid1(VALU_DEP_2)
	v_lshrrev_b32_e32 v9 /*v265*/, 16, v245
	s_set_vgpr_msb 4                        ;  msbs: dst=0 src0=0 src1=1 src2=0
	v_sub_nc_u16 v0, v0, v43 /*v299*/
	s_set_vgpr_msb 0                        ;  msbs: dst=0 src0=0 src1=0 src2=0
	v_lshrrev_b16 v246, 8, v245
	v_sub_nc_u16 v245, v245, v247
	v_add_nc_u32_e32 v247, s21, v61
	s_set_vgpr_msb 0x45                     ;  msbs: dst=1 src0=1 src1=1 src2=0
	v_sub_nc_u16 v9 /*v265*/, v9 /*v265*/, v44 /*v300*/
	s_set_vgpr_msb 0                        ;  msbs: dst=0 src0=0 src1=0 src2=0
	v_lshlrev_b16 v0, 8, v0
	s_set_vgpr_msb 0x41                     ;  msbs: dst=1 src0=1 src1=0 src2=0
	s_delay_alu instid0(VALU_DEP_1)
	v_bitop3_b16 v43 /*v299*/, v9 /*v265*/, v0, 0xff bitop3:0xec
	s_set_vgpr_msb 4                        ;  msbs: dst=0 src0=0 src1=1 src2=0
	v_sub_nc_u16 v0, v246, v42 /*v298*/
	s_set_vgpr_msb 64                       ;  msbs: dst=1 src0=0 src1=0 src2=0
	v_bfe_i32 v42 /*v298*/, v243, 0, 8
	s_set_vgpr_msb 0                        ;  msbs: dst=0 src0=0 src1=0 src2=0
	s_delay_alu instid0(VALU_DEP_2) | instskip(SKIP_1) | instid1(VALU_DEP_2)
	v_lshlrev_b16 v246, 8, v0
	s_set_vgpr_msb 4                        ;  msbs: dst=0 src0=0 src1=1 src2=0
	v_mul_i32_i24_e32 v207, v207, v42 /*v298*/
	s_set_vgpr_msb 0                        ;  msbs: dst=0 src0=0 src1=0 src2=0
	v_add3_u32 v0, s22, v159, v150
	s_set_vgpr_msb 4                        ;  msbs: dst=0 src0=0 src1=1 src2=0
	s_delay_alu instid0(VALU_DEP_2)
	v_mad_i32_i24 v207, v208, v12 /*v268*/, v207
	s_set_vgpr_msb 5                        ;  msbs: dst=0 src0=1 src1=1 src2=0
	v_perm_b32 v208, v13 /*v269*/, v4 /*v260*/, 0xc0c0500
	s_set_vgpr_msb 0x41                     ;  msbs: dst=1 src0=1 src1=0 src2=0
	v_bfe_i32 v4 /*v260*/, v17 /*v273*/, 0, 8
	v_bfe_i32 v17 /*v273*/, v36 /*v292*/, 0, 8
	;; [unrolled: 1-line block ×4, first 2 shown]
	s_set_vgpr_msb 0                        ;  msbs: dst=0 src0=0 src1=0 src2=0
	ds_load_b32 v0, v0
	v_dot4_i32_iu8 v207, v239, v208, v207 neg_lo:[1,1,0]
	s_set_vgpr_msb 1                        ;  msbs: dst=0 src0=1 src1=0 src2=0
	v_bfe_i32 v239, v14 /*v270*/, 8, 8
	s_set_vgpr_msb 4                        ;  msbs: dst=0 src0=0 src1=1 src2=0
	v_mul_i32_i24_e32 v205, v205, v4 /*v260*/
	v_mul_i32_i24_e32 v200, v200, v32 /*v288*/
	s_set_vgpr_msb 0                        ;  msbs: dst=0 src0=0 src1=0 src2=0
	v_mul_i32_i24_e32 v206, v206, v239
	s_set_vgpr_msb 1                        ;  msbs: dst=0 src0=1 src1=0 src2=0
	v_bfe_i32 v239, v20 /*v276*/, 0, 8
	s_set_vgpr_msb 0x45                     ;  msbs: dst=1 src0=1 src1=1 src2=0
	v_perm_b32 v20 /*v276*/, v35 /*v291*/, v33 /*v289*/, 0xc0c0500
	s_set_vgpr_msb 0                        ;  msbs: dst=0 src0=0 src1=0 src2=0
	v_add3_u32 v205, v207, v205, v206
	s_set_vgpr_msb 5                        ;  msbs: dst=0 src0=1 src1=1 src2=0
	v_perm_b32 v206, v15 /*v271*/, v16 /*v272*/, 0xc0c0500
	s_set_vgpr_msb 0                        ;  msbs: dst=0 src0=0 src1=0 src2=0
	s_delay_alu instid0(VALU_DEP_1) | instskip(NEXT) | instid1(VALU_DEP_1)
	v_dot4_i32_iu8 v1, v1, v206, v205 neg_lo:[1,1,0]
	v_mad_i32_i24 v1, v239, v202, v1
	s_set_vgpr_msb 4                        ;  msbs: dst=0 src0=0 src1=1 src2=0
	v_mul_i32_i24_e32 v202, v203, v17 /*v273*/
	s_set_vgpr_msb 1                        ;  msbs: dst=0 src0=1 src1=0 src2=0
	v_bfe_i32 v203, v34 /*v290*/, 8, 8
	s_set_vgpr_msb 4                        ;  msbs: dst=0 src0=0 src1=1 src2=0
	s_delay_alu instid0(VALU_DEP_2) | instskip(SKIP_1) | instid1(VALU_DEP_2)
	v_mad_i32_i24 v202, v204, v13 /*v269*/, v202
	s_set_vgpr_msb 0                        ;  msbs: dst=0 src0=0 src1=0 src2=0
	v_mul_i32_i24_e32 v201, v201, v203
	s_set_vgpr_msb 4                        ;  msbs: dst=0 src0=0 src1=1 src2=0
	s_delay_alu instid0(VALU_DEP_2) | instskip(SKIP_1) | instid1(VALU_DEP_1)
	v_dot4_i32_iu8 v202, v241, v20 /*v276*/, v202 neg_lo:[1,1,0]
	s_set_vgpr_msb 0                        ;  msbs: dst=0 src0=0 src1=0 src2=0
	v_add3_u32 v200, v202, v200, v201
	s_set_vgpr_msb 5                        ;  msbs: dst=0 src0=1 src1=1 src2=0
	v_perm_b32 v201, v37 /*v293*/, v38 /*v294*/, 0xc0c0500
	s_set_vgpr_msb 0                        ;  msbs: dst=0 src0=0 src1=0 src2=0
	s_delay_alu instid0(VALU_DEP_1) | instskip(SKIP_1) | instid1(VALU_DEP_1)
	v_dot4_i32_iu8 v5, v5, v201, v200 neg_lo:[1,1,0]
	s_set_vgpr_msb 64                       ;  msbs: dst=1 src0=0 src1=0 src2=0
	v_mad_i32_i24 v33 /*v289*/, v215, v114, v5
	s_set_vgpr_msb 0                        ;  msbs: dst=0 src0=0 src1=0 src2=0
	v_or_b32_e32 v5, s17, v138
	s_delay_alu instid0(VALU_DEP_1)
	v_dual_lshlrev_b32 v204, 2, v5 :: v_dual_lshrrev_b32 v5, 1, v5
	ds_load_b32 v114, v5 offset:38816
	ds_load_b128 v[200:203], v204 offset:25344
	ds_load_b128 v[204:207], v204 offset:25360
	s_wait_dscnt 0x1
	s_set_vgpr_msb 64                       ;  msbs: dst=1 src0=0 src1=0 src2=0
	v_bfe_i32 v35 /*v291*/, v200, 0, 8
	v_bfe_i32 v36 /*v292*/, v200, 8, 8
	s_set_vgpr_msb 0                        ;  msbs: dst=0 src0=0 src1=0 src2=0
	v_perm_b32 v200, v200, v200, 0xc0c0302
	s_set_vgpr_msb 64                       ;  msbs: dst=1 src0=0 src1=0 src2=0
	v_bfe_i32 v39 /*v295*/, v201, 0, 8
	s_set_vgpr_msb 0                        ;  msbs: dst=0 src0=0 src1=0 src2=0
	v_perm_b32 v201, v201, v201, 0xc030201
	s_set_vgpr_msb 64                       ;  msbs: dst=1 src0=0 src1=0 src2=0
	v_bfe_i32 v44 /*v300*/, v202, 0, 8
	v_perm_b32 v50 /*v306*/, v202, v202, 0xc030201
	s_set_vgpr_msb 0                        ;  msbs: dst=0 src0=0 src1=0 src2=0
	v_bfe_i32 v243, v203, 0, 8
	v_perm_b32 v210, v203, v203, 0xc030201
	s_wait_dscnt 0x0
	s_set_vgpr_msb 64                       ;  msbs: dst=1 src0=0 src1=0 src2=0
	v_bfe_i32 v45 /*v301*/, v204, 0, 8
	v_bfe_i32 v46 /*v302*/, v204, 8, 8
	s_set_vgpr_msb 0                        ;  msbs: dst=0 src0=0 src1=0 src2=0
	v_perm_b32 v204, v204, v204, 0xc0c0302
	s_set_vgpr_msb 64                       ;  msbs: dst=1 src0=0 src1=0 src2=0
	v_bfe_i32 v47 /*v303*/, v205, 0, 8
	s_set_vgpr_msb 0                        ;  msbs: dst=0 src0=0 src1=0 src2=0
	v_perm_b32 v205, v205, v205, 0xc030201
	s_set_vgpr_msb 64                       ;  msbs: dst=1 src0=0 src1=0 src2=0
	;; [unrolled: 4-line block ×3, first 2 shown]
	v_bfe_i32 v49 /*v305*/, v207, 0, 8
	s_set_vgpr_msb 0                        ;  msbs: dst=0 src0=0 src1=0 src2=0
	v_perm_b32 v207, v207, v207, 0xc030201
	s_set_vgpr_msb 1                        ;  msbs: dst=0 src0=1 src1=0 src2=0
	v_mul_i32_i24_e32 v5, v35 /*v291*/, v166
	v_mul_i32_i24_e32 v212, v45 /*v301*/, v174
	s_delay_alu instid0(VALU_DEP_2) | instskip(NEXT) | instid1(VALU_DEP_2)
	v_mad_i32_i24 v5, v36 /*v292*/, v167, v5
	v_mad_i32_i24 v212, v46 /*v302*/, v175, v212
	s_set_vgpr_msb 0                        ;  msbs: dst=0 src0=0 src1=0 src2=0
	s_delay_alu instid0(VALU_DEP_2) | instskip(NEXT) | instid1(VALU_DEP_2)
	v_dot4_i32_iu8 v5, v200, v168, v5 neg_lo:[1,1,0]
	v_dot4_i32_iu8 v212, v204, v176, v212 neg_lo:[1,1,0]
	s_set_vgpr_msb 1                        ;  msbs: dst=0 src0=1 src1=0 src2=0
	s_delay_alu instid0(VALU_DEP_2) | instskip(NEXT) | instid1(VALU_DEP_2)
	v_mad_i32_i24 v5, v39 /*v295*/, v170, v5
	v_mad_i32_i24 v212, v47 /*v303*/, v178, v212
	s_set_vgpr_msb 0                        ;  msbs: dst=0 src0=0 src1=0 src2=0
	s_delay_alu instid0(VALU_DEP_2) | instskip(NEXT) | instid1(VALU_DEP_2)
	v_dot4_i32_iu8 v5, v201, v172, v5 neg_lo:[1,1,0]
	v_dot4_i32_iu8 v212, v205, v180, v212 neg_lo:[1,1,0]
	s_set_vgpr_msb 4                        ;  msbs: dst=0 src0=0 src1=1 src2=0
	s_delay_alu instid0(VALU_DEP_2) | instskip(NEXT) | instid1(VALU_DEP_2)
	v_mad_i32_i24 v5, v169, v44 /*v300*/, v5
	v_mad_i32_i24 v212, v177, v48 /*v304*/, v212
	s_delay_alu instid0(VALU_DEP_2) | instskip(SKIP_1) | instid1(VALU_DEP_2)
	v_dot4_i32_iu8 v5, v209, v50 /*v306*/, v5 neg_lo:[1,1,0]
	s_set_vgpr_msb 0                        ;  msbs: dst=0 src0=0 src1=0 src2=0
	v_dot4_i32_iu8 v212, v213, v206, v212 neg_lo:[1,1,0]
	s_delay_alu instid0(VALU_DEP_2) | instskip(SKIP_1) | instid1(VALU_DEP_2)
	v_mad_i32_i24 v5, v171, v243, v5
	s_set_vgpr_msb 4                        ;  msbs: dst=0 src0=0 src1=1 src2=0
	v_mad_i32_i24 v212, v179, v49 /*v305*/, v212
	s_set_vgpr_msb 0                        ;  msbs: dst=0 src0=0 src1=0 src2=0
	s_delay_alu instid0(VALU_DEP_2) | instskip(NEXT) | instid1(VALU_DEP_2)
	v_dot4_i32_iu8 v5, v211, v210, v5 neg_lo:[1,1,0]
	v_dot4_i32_iu8 v212, v214, v207, v212 neg_lo:[1,1,0]
	s_delay_alu instid0(VALU_DEP_2) | instskip(NEXT) | instid1(VALU_DEP_1)
	v_mul_lo_u32 v5, v5, v173
	v_mad_u32 v5, v212, v181, v5
	v_mul_f32_e32 v212, v165, v114
	s_delay_alu instid0(VALU_DEP_2) | instskip(NEXT) | instid1(VALU_DEP_1)
	v_cvt_f32_i32_e32 v5, v5
	v_mul_f32_e32 v5, v212, v5
	v_perm_b32 v212, v250, v250, 0xc0c0c01
	s_delay_alu instid0(VALU_DEP_2)
	v_pk_add_f32 v[46:47], v[46:47], v[4:5]
	s_set_vgpr_msb 1                        ;  msbs: dst=0 src0=1 src1=0 src2=0
	v_mul_i32_i24_e32 v4, v35 /*v291*/, v184
	s_set_vgpr_msb 0                        ;  msbs: dst=0 src0=0 src1=0 src2=0
	v_perm_b32 v5, v249, v248, 0xc05000c
	s_set_vgpr_msb 1                        ;  msbs: dst=0 src0=1 src1=0 src2=0
	s_delay_alu instid0(VALU_DEP_2) | instskip(SKIP_1) | instid1(VALU_DEP_2)
	v_mad_i32_i24 v4, v36 /*v292*/, v185, v4
	s_set_vgpr_msb 0                        ;  msbs: dst=0 src0=0 src1=0 src2=0
	v_or_b32_e32 v212, v5, v212
	v_perm_b32 v5, v252, v251, 0xc05000c
	s_delay_alu instid0(VALU_DEP_3) | instskip(NEXT) | instid1(VALU_DEP_2)
	v_dot4_i32_iu8 v4, v200, v186, v4 neg_lo:[1,1,0]
	v_or_b32_e32 v216, v5, v216
	s_set_vgpr_msb 1                        ;  msbs: dst=0 src0=1 src1=0 src2=0
	v_mul_i32_i24_e32 v5, v45 /*v301*/, v192
	s_delay_alu instid0(VALU_DEP_3) | instskip(NEXT) | instid1(VALU_DEP_2)
	v_mad_i32_i24 v4, v39 /*v295*/, v187, v4
	v_mad_i32_i24 v5, v46 /*v302*/, v193, v5
	s_set_vgpr_msb 0                        ;  msbs: dst=0 src0=0 src1=0 src2=0
	s_delay_alu instid0(VALU_DEP_2) | instskip(NEXT) | instid1(VALU_DEP_2)
	v_dot4_i32_iu8 v4, v201, v190, v4 neg_lo:[1,1,0]
	v_dot4_i32_iu8 v5, v204, v194, v5 neg_lo:[1,1,0]
	s_set_vgpr_msb 4                        ;  msbs: dst=0 src0=0 src1=1 src2=0
	s_delay_alu instid0(VALU_DEP_2) | instskip(SKIP_1) | instid1(VALU_DEP_2)
	v_mad_i32_i24 v4, v188, v44 /*v300*/, v4
	s_set_vgpr_msb 1                        ;  msbs: dst=0 src0=1 src1=0 src2=0
	v_mad_i32_i24 v5, v47 /*v303*/, v195, v5
	s_set_vgpr_msb 4                        ;  msbs: dst=0 src0=0 src1=1 src2=0
	s_delay_alu instid0(VALU_DEP_2) | instskip(SKIP_1) | instid1(VALU_DEP_2)
	v_dot4_i32_iu8 v4, v212, v50 /*v306*/, v4 neg_lo:[1,1,0]
	s_set_vgpr_msb 0                        ;  msbs: dst=0 src0=0 src1=0 src2=0
	v_dot4_i32_iu8 v5, v205, v198, v5 neg_lo:[1,1,0]
	s_delay_alu instid0(VALU_DEP_2) | instskip(SKIP_1) | instid1(VALU_DEP_2)
	v_mad_i32_i24 v4, v189, v243, v4
	s_set_vgpr_msb 4                        ;  msbs: dst=0 src0=0 src1=1 src2=0
	v_mad_i32_i24 v5, v196, v48 /*v304*/, v5
	s_set_vgpr_msb 0                        ;  msbs: dst=0 src0=0 src1=0 src2=0
	s_delay_alu instid0(VALU_DEP_2) | instskip(NEXT) | instid1(VALU_DEP_2)
	v_dot4_i32_iu8 v4, v216, v210, v4 neg_lo:[1,1,0]
	v_dot4_i32_iu8 v5, v217, v206, v5 neg_lo:[1,1,0]
	s_delay_alu instid0(VALU_DEP_2) | instskip(SKIP_1) | instid1(VALU_DEP_2)
	v_mul_lo_u32 v4, v4, v191
	s_set_vgpr_msb 4                        ;  msbs: dst=0 src0=0 src1=1 src2=0
	v_mad_i32_i24 v5, v197, v49 /*v305*/, v5
	s_set_vgpr_msb 0                        ;  msbs: dst=0 src0=0 src1=0 src2=0
	s_delay_alu instid0(VALU_DEP_1) | instskip(NEXT) | instid1(VALU_DEP_1)
	v_dot4_i32_iu8 v5, v218, v207, v5 neg_lo:[1,1,0]
	v_mad_u32 v4, v5, v199, v4
	v_mul_f32_e32 v5, v183, v114
	s_delay_alu instid0(VALU_DEP_2) | instskip(NEXT) | instid1(VALU_DEP_1)
	v_cvt_f32_i32_e32 v4, v4
	v_mul_f32_e32 v241, v5, v4
	s_set_vgpr_msb 1                        ;  msbs: dst=0 src0=1 src1=0 src2=0
	v_mul_i32_i24_e32 v4, v35 /*v291*/, v223
	s_set_vgpr_msb 5                        ;  msbs: dst=0 src0=1 src1=1 src2=0
	v_perm_b32 v5, v8 /*v264*/, v6 /*v262*/, 0xc05000c
	s_set_vgpr_msb 0                        ;  msbs: dst=0 src0=0 src1=0 src2=0
	v_pk_add_f32 v[44:45], v[44:45], v[240:241]
	s_set_vgpr_msb 1                        ;  msbs: dst=0 src0=1 src1=0 src2=0
	v_mad_i32_i24 v4, v36 /*v292*/, v224, v4
	s_set_vgpr_msb 0                        ;  msbs: dst=0 src0=0 src1=0 src2=0
	v_or_b32_e32 v220, v5, v220
	s_set_vgpr_msb 5                        ;  msbs: dst=0 src0=1 src1=1 src2=0
	v_perm_b32 v5, v10 /*v266*/, v11 /*v267*/, 0xc05000c
	v_perm_b32 v240, v21 /*v277*/, v21 /*v277*/, 0xc0c0c01
	;; [unrolled: 1-line block ×3, first 2 shown]
	s_set_vgpr_msb 0                        ;  msbs: dst=0 src0=0 src1=0 src2=0
	v_dot4_i32_iu8 v4, v200, v225, v4 neg_lo:[1,1,0]
	v_or_b32_e32 v221, v5, v221
	s_set_vgpr_msb 1                        ;  msbs: dst=0 src0=1 src1=0 src2=0
	v_mul_i32_i24_e32 v5, v45 /*v301*/, v231
	s_set_vgpr_msb 0                        ;  msbs: dst=0 src0=0 src1=0 src2=0
	v_or_b32_e32 v222, v222, v240
	s_set_vgpr_msb 5                        ;  msbs: dst=0 src0=1 src1=1 src2=0
	v_perm_b32 v240, v25 /*v281*/, v26 /*v282*/, 0xc05000c
	s_set_vgpr_msb 1                        ;  msbs: dst=0 src0=1 src1=0 src2=0
	v_mad_i32_i24 v4, v39 /*v295*/, v226, v4
	v_mad_i32_i24 v5, v46 /*v302*/, v232, v5
	s_set_vgpr_msb 0                        ;  msbs: dst=0 src0=0 src1=0 src2=0
	v_or_b32_e32 v240, v240, v241
	s_delay_alu instid0(VALU_DEP_3) | instskip(NEXT) | instid1(VALU_DEP_3)
	v_dot4_i32_iu8 v4, v201, v229, v4 neg_lo:[1,1,0]
	v_dot4_i32_iu8 v5, v204, v233, v5 neg_lo:[1,1,0]
	s_set_vgpr_msb 4                        ;  msbs: dst=0 src0=0 src1=1 src2=0
	s_delay_alu instid0(VALU_DEP_2) | instskip(SKIP_1) | instid1(VALU_DEP_2)
	v_mad_i32_i24 v4, v227, v44 /*v300*/, v4
	s_set_vgpr_msb 1                        ;  msbs: dst=0 src0=1 src1=0 src2=0
	v_mad_i32_i24 v5, v47 /*v303*/, v234, v5
	s_set_vgpr_msb 4                        ;  msbs: dst=0 src0=0 src1=1 src2=0
	s_delay_alu instid0(VALU_DEP_2) | instskip(SKIP_1) | instid1(VALU_DEP_2)
	v_dot4_i32_iu8 v4, v220, v50 /*v306*/, v4 neg_lo:[1,1,0]
	s_set_vgpr_msb 0                        ;  msbs: dst=0 src0=0 src1=0 src2=0
	v_dot4_i32_iu8 v5, v205, v237, v5 neg_lo:[1,1,0]
	s_delay_alu instid0(VALU_DEP_2) | instskip(SKIP_1) | instid1(VALU_DEP_2)
	v_mad_i32_i24 v4, v228, v243, v4
	s_set_vgpr_msb 4                        ;  msbs: dst=0 src0=0 src1=1 src2=0
	v_mad_i32_i24 v5, v235, v48 /*v304*/, v5
	s_set_vgpr_msb 0                        ;  msbs: dst=0 src0=0 src1=0 src2=0
	s_delay_alu instid0(VALU_DEP_2) | instskip(NEXT) | instid1(VALU_DEP_2)
	v_dot4_i32_iu8 v4, v221, v210, v4 neg_lo:[1,1,0]
	v_dot4_i32_iu8 v5, v222, v206, v5 neg_lo:[1,1,0]
	s_delay_alu instid0(VALU_DEP_2) | instskip(SKIP_1) | instid1(VALU_DEP_2)
	v_mul_lo_u32 v4, v4, v230
	s_set_vgpr_msb 4                        ;  msbs: dst=0 src0=0 src1=1 src2=0
	v_mad_i32_i24 v5, v236, v49 /*v305*/, v5
	s_set_vgpr_msb 0                        ;  msbs: dst=0 src0=0 src1=0 src2=0
	s_delay_alu instid0(VALU_DEP_1) | instskip(NEXT) | instid1(VALU_DEP_1)
	v_dot4_i32_iu8 v5, v240, v207, v5 neg_lo:[1,1,0]
	v_mad_u32 v4, v5, v238, v4
	v_mul_f32_e32 v5, v219, v114
	s_delay_alu instid0(VALU_DEP_2) | instskip(NEXT) | instid1(VALU_DEP_1)
	v_cvt_f32_i32_e32 v4, v4
	v_mul_f32_e32 v243, v5, v4
	s_set_vgpr_msb 5                        ;  msbs: dst=0 src0=1 src1=1 src2=0
	v_mul_i32_i24_e32 v4, v42 /*v298*/, v35 /*v291*/
	v_perm_b32 v5, v15 /*v271*/, v16 /*v272*/, 0xc05000c
	s_set_vgpr_msb 0                        ;  msbs: dst=0 src0=0 src1=0 src2=0
	v_pk_add_f32 v[42:43], v[42:43], v[242:243]
	s_set_vgpr_msb 5                        ;  msbs: dst=0 src0=1 src1=1 src2=0
	v_mad_i32_i24 v4, v12 /*v268*/, v36 /*v292*/, v4
	s_set_vgpr_msb 0                        ;  msbs: dst=0 src0=0 src1=0 src2=0
	v_bfe_i32 v243, v245, 0, 8
	s_delay_alu instid0(VALU_DEP_2) | instskip(SKIP_2) | instid1(VALU_DEP_2)
	v_dot4_i32_iu8 v4, v208, v200, v4 neg_lo:[1,1,0]
	s_set_vgpr_msb 5                        ;  msbs: dst=0 src0=1 src1=1 src2=0
	v_perm_b32 v200, v14 /*v270*/, v14 /*v270*/, 0xc0c0c01
	v_mad_i32_i24 v4, v4 /*v260*/, v39 /*v295*/, v4
	s_set_vgpr_msb 0                        ;  msbs: dst=0 src0=0 src1=0 src2=0
	s_delay_alu instid0(VALU_DEP_2)
	v_or_b32_e32 v241, v5, v200
	s_set_vgpr_msb 5                        ;  msbs: dst=0 src0=1 src1=1 src2=0
	v_perm_b32 v200, v37 /*v293*/, v38 /*v294*/, 0xc05000c
	v_mul_i32_i24_e32 v5, v17 /*v273*/, v45 /*v301*/
	s_set_vgpr_msb 0                        ;  msbs: dst=0 src0=0 src1=0 src2=0
	v_dot4_i32_iu8 v4, v241, v201, v4 neg_lo:[1,1,0]
	s_set_vgpr_msb 5                        ;  msbs: dst=0 src0=1 src1=1 src2=0
	v_perm_b32 v201, v34 /*v290*/, v34 /*v290*/, 0xc0c0c01
	v_mad_i32_i24 v5, v13 /*v269*/, v46 /*v302*/, v5
	s_set_vgpr_msb 1                        ;  msbs: dst=0 src0=1 src1=0 src2=0
	v_mad_i32_i24 v4, v44 /*v300*/, v239, v4
	s_set_vgpr_msb 0                        ;  msbs: dst=0 src0=0 src1=0 src2=0
	v_or_b32_e32 v242, v200, v201
	ds_load_u16 v200, v247
	s_set_vgpr_msb 1                        ;  msbs: dst=0 src0=1 src1=0 src2=0
	v_dot4_i32_iu8 v5, v20 /*v276*/, v204, v5 neg_lo:[1,1,0]
	s_set_vgpr_msb 5                        ;  msbs: dst=0 src0=1 src1=1 src2=0
	s_delay_alu instid0(VALU_DEP_1) | instskip(SKIP_1) | instid1(VALU_DEP_1)
	v_mad_i32_i24 v5, v32 /*v288*/, v47 /*v303*/, v5
	s_set_vgpr_msb 0                        ;  msbs: dst=0 src0=0 src1=0 src2=0
	v_dot4_i32_iu8 v5, v242, v205, v5 neg_lo:[1,1,0]
	s_set_vgpr_msb 1                        ;  msbs: dst=0 src0=1 src1=0 src2=0
	s_delay_alu instid0(VALU_DEP_1)
	v_mad_i32_i24 v5, v48 /*v304*/, v215, v5
	s_wait_dscnt 0x0
	v_lshrrev_b16 v201, 8, v200
	s_set_vgpr_msb 0                        ;  msbs: dst=0 src0=0 src1=0 src2=0
	v_bfe_i32 v247, v200, 0, 8
	s_set_vgpr_msb 5                        ;  msbs: dst=0 src0=1 src1=1 src2=0
	v_perm_b32 v200, v19 /*v275*/, v18 /*v274*/, 0xc0c0401
	s_set_vgpr_msb 0                        ;  msbs: dst=0 src0=0 src1=0 src2=0
	v_bfe_i32 v245, v201, 0, 8
	v_perm_b32 v201, v202, v202, 0xc0c0201
	s_delay_alu instid0(VALU_DEP_1) | instskip(SKIP_4) | instid1(VALU_DEP_1)
	v_dot4_i32_iu8 v4, v201, v200, v4 neg_lo:[1,1,0]
	s_set_vgpr_msb 5                        ;  msbs: dst=0 src0=1 src1=1 src2=0
	v_perm_b32 v200, v41 /*v297*/, v40 /*v296*/, 0xc05000c
	s_set_vgpr_msb 16                       ;  msbs: dst=0 src0=0 src1=0 src2=1
	v_perm_b32 v201, v244, v244, 0xc0c0c01
	v_or_b32_e32 v244, v200, v201
	v_perm_b32 v200, v203, v202, 0xc0c0403
	s_delay_alu instid0(VALU_DEP_2) | instskip(SKIP_1) | instid1(VALU_DEP_1)
	v_dot4_i32_iu8 v6, v6, v244, v33 /*v289*/ neg_lo:[1,1,0]
	s_set_vgpr_msb 0                        ;  msbs: dst=0 src0=0 src1=0 src2=0
	v_mad_i32_i24 v6, v182, v243, v6
	s_set_vgpr_msb 5                        ;  msbs: dst=0 src0=1 src1=1 src2=0
	v_perm_b32 v182, v31 /*v287*/, v24 /*v280*/, 0xc0c0401
	s_set_vgpr_msb 0                        ;  msbs: dst=0 src0=0 src1=0 src2=0
	s_delay_alu instid0(VALU_DEP_1) | instskip(SKIP_4) | instid1(VALU_DEP_1)
	v_dot4_i32_iu8 v4, v200, v182, v4 neg_lo:[1,1,0]
	s_set_vgpr_msb 5                        ;  msbs: dst=0 src0=1 src1=1 src2=0
	v_perm_b32 v182, v27 /*v283*/, v29 /*v285*/, 0xc05000c
	v_perm_b32 v200, v30 /*v286*/, v30 /*v286*/, 0xc0c0c01
	s_set_vgpr_msb 0                        ;  msbs: dst=0 src0=0 src1=0 src2=0
	v_or_b32_e32 v182, v182, v200
	v_perm_b32 v200, v246, v246, 0xc0c0c01
	s_delay_alu instid0(VALU_DEP_2) | instskip(SKIP_3) | instid1(VALU_DEP_2)
	v_dot4_i32_iu8 v4, v210, v182, v4 neg_lo:[1,1,0]
	s_set_vgpr_msb 5                        ;  msbs: dst=0 src0=1 src1=1 src2=0
	v_perm_b32 v182, v43 /*v299*/, v9 /*v265*/, 0xc05000c
	s_set_vgpr_msb 0                        ;  msbs: dst=0 src0=0 src1=0 src2=0
	v_mul_lo_u32 v4, v4, v247
	s_delay_alu instid0(VALU_DEP_2) | instskip(SKIP_3) | instid1(VALU_DEP_2)
	v_or_b32_e32 v210, v182, v200
	s_set_vgpr_msb 5                        ;  msbs: dst=0 src0=1 src1=1 src2=0
	v_perm_b32 v182, v18 /*v274*/, v18 /*v274*/, 0xc0c0c01
	s_set_vgpr_msb 0                        ;  msbs: dst=0 src0=0 src1=0 src2=0
	v_dot4_i32_iu8 v6, v7, v210, v6 neg_lo:[1,1,0]
	s_set_vgpr_msb 5                        ;  msbs: dst=0 src0=1 src1=1 src2=0
	v_perm_b32 v7, v24 /*v280*/, v19 /*v275*/, 0xc05000c
	s_set_vgpr_msb 0                        ;  msbs: dst=0 src0=0 src1=0 src2=0
	s_delay_alu instid0(VALU_DEP_2) | instskip(NEXT) | instid1(VALU_DEP_2)
	v_mul_lo_u32 v6, v6, v245
	v_or_b32_e32 v246, v7, v182
	s_set_vgpr_msb 5                        ;  msbs: dst=0 src0=1 src1=1 src2=0
	v_perm_b32 v7, v27 /*v283*/, v29 /*v285*/, 0x5000c0c
	s_set_vgpr_msb 0                        ;  msbs: dst=0 src0=0 src1=0 src2=0
	s_delay_alu instid0(VALU_DEP_2) | instskip(SKIP_4) | instid1(VALU_DEP_2)
	v_dot4_i32_iu8 v1, v2, v246, v1 neg_lo:[1,1,0]
	v_dot4_i32_iu8 v2, v206, v244, v5 neg_lo:[1,1,0]
	s_set_vgpr_msb 5                        ;  msbs: dst=0 src0=1 src1=1 src2=0
	v_perm_b32 v5, v30 /*v286*/, v31 /*v287*/, 0xc0c0500
	s_set_vgpr_msb 1                        ;  msbs: dst=0 src0=1 src1=0 src2=0
	v_mad_i32_i24 v2, v49 /*v305*/, v243, v2
	s_set_vgpr_msb 0                        ;  msbs: dst=0 src0=0 src1=0 src2=0
	s_delay_alu instid0(VALU_DEP_2) | instskip(NEXT) | instid1(VALU_DEP_2)
	v_or_b32_e32 v248, v7, v5
	v_dot4_i32_iu8 v2, v207, v210, v2 neg_lo:[1,1,0]
	s_delay_alu instid0(VALU_DEP_2) | instskip(NEXT) | instid1(VALU_DEP_2)
	v_dot4_i32_iu8 v1, v3, v248, v1 neg_lo:[1,1,0]
	v_mad_u32 v4, v2, v245, v4
	s_delay_alu instid0(VALU_DEP_2) | instskip(NEXT) | instid1(VALU_DEP_2)
	v_mad_u32 v1, v1, v247, v6
	v_cvt_f32_i32_e32 v4, v4
	s_delay_alu instid0(VALU_DEP_2) | instskip(SKIP_2) | instid1(VALU_DEP_2)
	v_pk_mul_f32 v[2:3], v[0:1], v[114:115] op_sel_hi:[0,1]
	v_cvt_f32_i32_e32 v5, v1
	v_or_b32_e32 v1, s17, v139
	v_pk_fma_f32 v[40:41], v[2:3], v[4:5], v[40:41]
	s_delay_alu instid0(VALU_DEP_2)
	v_dual_lshlrev_b32 v6, 2, v1 :: v_dual_lshrrev_b32 v1, 1, v1
	ds_load_b32 v1, v1 offset:38816
	ds_load_b128 v[2:5], v6 offset:25344
	ds_load_b128 v[200:203], v6 offset:25360
	s_wait_dscnt 0x1
	v_bfe_i32 v7, v2, 0, 8
	v_bfe_i32 v115, v2, 8, 8
	v_perm_b32 v2, v2, v2, 0xc0c0302
	v_bfe_i32 v182, v3, 0, 8
	v_perm_b32 v3, v3, v3, 0xc030201
	;; [unrolled: 2-line block ×4, first 2 shown]
	s_wait_dscnt 0x0
	v_bfe_i32 v206, v200, 0, 8
	v_bfe_i32 v207, v200, 8, 8
	v_perm_b32 v200, v200, v200, 0xc0c0302
	v_bfe_i32 v249, v201, 0, 8
	v_perm_b32 v201, v201, v201, 0xc030201
	;; [unrolled: 2-line block ×4, first 2 shown]
	v_mul_i32_i24_e32 v6, v7, v166
	v_mul_i32_i24_e32 v114, v206, v174
	;; [unrolled: 1-line block ×3, first 2 shown]
	s_delay_alu instid0(VALU_DEP_3) | instskip(NEXT) | instid1(VALU_DEP_3)
	v_mad_i32_i24 v6, v115, v167, v6
	v_mad_i32_i24 v114, v207, v175, v114
	s_delay_alu instid0(VALU_DEP_3) | instskip(NEXT) | instid1(VALU_DEP_3)
	v_mad_i32_i24 v253, v207, v193, v253
	v_dot4_i32_iu8 v6, v2, v168, v6 neg_lo:[1,1,0]
	s_delay_alu instid0(VALU_DEP_3) | instskip(NEXT) | instid1(VALU_DEP_3)
	v_dot4_i32_iu8 v114, v200, v176, v114 neg_lo:[1,1,0]
	v_dot4_i32_iu8 v253, v200, v194, v253 neg_lo:[1,1,0]
	s_delay_alu instid0(VALU_DEP_3) | instskip(NEXT) | instid1(VALU_DEP_3)
	v_mad_i32_i24 v6, v182, v170, v6
	v_mad_i32_i24 v114, v249, v178, v114
	s_delay_alu instid0(VALU_DEP_3) | instskip(NEXT) | instid1(VALU_DEP_3)
	v_mad_i32_i24 v253, v249, v195, v253
	v_dot4_i32_iu8 v6, v3, v172, v6 neg_lo:[1,1,0]
	s_delay_alu instid0(VALU_DEP_3) | instskip(NEXT) | instid1(VALU_DEP_3)
	v_dot4_i32_iu8 v114, v201, v180, v114 neg_lo:[1,1,0]
	v_dot4_i32_iu8 v253, v201, v198, v253 neg_lo:[1,1,0]
	;; [unrolled: 9-line block ×4, first 2 shown]
	s_delay_alu instid0(VALU_DEP_3) | instskip(NEXT) | instid1(VALU_DEP_1)
	v_mul_lo_u32 v6, v6, v173
	v_mad_u32 v6, v114, v181, v6
	v_mul_f32_e32 v114, v165, v1
	s_delay_alu instid0(VALU_DEP_2) | instskip(NEXT) | instid1(VALU_DEP_1)
	v_cvt_f32_i32_e32 v6, v6
	v_mul_f32_e32 v6, v114, v6
	v_mul_i32_i24_e32 v114, v7, v184
	s_delay_alu instid0(VALU_DEP_1) | instskip(NEXT) | instid1(VALU_DEP_1)
	v_mad_i32_i24 v114, v115, v185, v114
	v_dot4_i32_iu8 v114, v2, v186, v114 neg_lo:[1,1,0]
	s_delay_alu instid0(VALU_DEP_1) | instskip(NEXT) | instid1(VALU_DEP_1)
	v_mad_i32_i24 v114, v182, v187, v114
	v_dot4_i32_iu8 v114, v3, v190, v114 neg_lo:[1,1,0]
	;; [unrolled: 3-line block ×4, first 2 shown]
	s_delay_alu instid0(VALU_DEP_1) | instskip(NEXT) | instid1(VALU_DEP_1)
	v_mul_lo_u32 v114, v114, v191
	v_mad_u32 v114, v253, v199, v114
	v_mul_f32_e32 v253, v183, v1
	s_delay_alu instid0(VALU_DEP_2) | instskip(NEXT) | instid1(VALU_DEP_1)
	v_cvt_f32_i32_e32 v114, v114
	v_mul_f32_e32 v114, v253, v114
	v_mul_i32_i24_e32 v253, v7, v223
	s_set_vgpr_msb 1                        ;  msbs: dst=0 src0=1 src1=0 src2=0
	v_mul_i32_i24_e32 v7, v42 /*v298*/, v7
	s_set_vgpr_msb 0                        ;  msbs: dst=0 src0=0 src1=0 src2=0
	s_delay_alu instid0(VALU_DEP_2) | instskip(SKIP_1) | instid1(VALU_DEP_2)
	v_mad_i32_i24 v253, v115, v224, v253
	s_set_vgpr_msb 1                        ;  msbs: dst=0 src0=1 src1=0 src2=0
	v_mad_i32_i24 v7, v12 /*v268*/, v115, v7
	s_set_vgpr_msb 0                        ;  msbs: dst=0 src0=0 src1=0 src2=0
	s_delay_alu instid0(VALU_DEP_2) | instskip(NEXT) | instid1(VALU_DEP_2)
	v_dot4_i32_iu8 v253, v2, v225, v253 neg_lo:[1,1,0]
	v_dot4_i32_iu8 v2, v208, v2, v7 neg_lo:[1,1,0]
	s_delay_alu instid0(VALU_DEP_2) | instskip(SKIP_1) | instid1(VALU_DEP_2)
	v_mad_i32_i24 v253, v182, v226, v253
	s_set_vgpr_msb 1                        ;  msbs: dst=0 src0=1 src1=0 src2=0
	v_mad_i32_i24 v2, v4 /*v260*/, v182, v2
	s_set_vgpr_msb 0                        ;  msbs: dst=0 src0=0 src1=0 src2=0
	s_delay_alu instid0(VALU_DEP_2) | instskip(NEXT) | instid1(VALU_DEP_2)
	v_dot4_i32_iu8 v253, v3, v229, v253 neg_lo:[1,1,0]
	v_dot4_i32_iu8 v2, v241, v3, v2 neg_lo:[1,1,0]
	s_set_vgpr_msb 1                        ;  msbs: dst=0 src0=1 src1=0 src2=0
	v_mul_i32_i24_e32 v3, v17 /*v273*/, v206
	s_set_vgpr_msb 0                        ;  msbs: dst=0 src0=0 src1=0 src2=0
	v_mad_i32_i24 v253, v227, v205, v253
	v_mad_i32_i24 v2, v205, v239, v2
	s_set_vgpr_msb 1                        ;  msbs: dst=0 src0=1 src1=0 src2=0
	v_mad_i32_i24 v3, v13 /*v269*/, v207, v3
	s_set_vgpr_msb 0                        ;  msbs: dst=0 src0=0 src1=0 src2=0
	v_dot4_i32_iu8 v253, v220, v4, v253 neg_lo:[1,1,0]
	v_dot4_i32_iu8 v2, v4, v246, v2 neg_lo:[1,1,0]
	s_set_vgpr_msb 1                        ;  msbs: dst=0 src0=1 src1=0 src2=0
	v_dot4_i32_iu8 v3, v20 /*v276*/, v200, v3 neg_lo:[1,1,0]
	s_set_vgpr_msb 0                        ;  msbs: dst=0 src0=0 src1=0 src2=0
	v_mad_i32_i24 v204, v228, v204, v253
	v_dot4_i32_iu8 v2, v248, v5, v2 neg_lo:[1,1,0]
	s_set_vgpr_msb 1                        ;  msbs: dst=0 src0=1 src1=0 src2=0
	v_mad_i32_i24 v3, v32 /*v288*/, v249, v3
	s_set_vgpr_msb 0                        ;  msbs: dst=0 src0=0 src1=0 src2=0
	v_dot4_i32_iu8 v204, v221, v252, v204 neg_lo:[1,1,0]
	v_mul_i32_i24_e32 v252, v206, v231
	s_delay_alu instid0(VALU_DEP_3) | instskip(SKIP_1) | instid1(VALU_DEP_4)
	v_dot4_i32_iu8 v3, v242, v201, v3 neg_lo:[1,1,0]
	v_mul_lo_u32 v2, v2, v247
	v_mul_lo_u32 v204, v204, v230
	s_delay_alu instid0(VALU_DEP_4) | instskip(NEXT) | instid1(VALU_DEP_4)
	v_mad_i32_i24 v252, v207, v232, v252
	v_mad_i32_i24 v3, v250, v215, v3
	s_delay_alu instid0(VALU_DEP_2) | instskip(NEXT) | instid1(VALU_DEP_2)
	v_dot4_i32_iu8 v252, v200, v233, v252 neg_lo:[1,1,0]
	v_dot4_i32_iu8 v3, v202, v244, v3 neg_lo:[1,1,0]
	s_delay_alu instid0(VALU_DEP_2) | instskip(NEXT) | instid1(VALU_DEP_2)
	v_mad_i32_i24 v252, v249, v234, v252
	v_mad_i32_i24 v3, v243, v251, v3
	s_delay_alu instid0(VALU_DEP_2) | instskip(NEXT) | instid1(VALU_DEP_2)
	v_dot4_i32_iu8 v252, v201, v237, v252 neg_lo:[1,1,0]
	v_dot4_i32_iu8 v3, v210, v203, v3 neg_lo:[1,1,0]
	s_delay_alu instid0(VALU_DEP_2) | instskip(NEXT) | instid1(VALU_DEP_2)
	v_mad_i32_i24 v252, v235, v250, v252
	v_mad_u32 v2, v3, v245, v2
	s_delay_alu instid0(VALU_DEP_2) | instskip(NEXT) | instid1(VALU_DEP_1)
	v_dot4_i32_iu8 v252, v222, v202, v252 neg_lo:[1,1,0]
	v_mad_i32_i24 v252, v236, v251, v252
	s_delay_alu instid0(VALU_DEP_3) | instskip(NEXT) | instid1(VALU_DEP_2)
	v_cvt_f32_i32_e32 v2, v2
	v_dot4_i32_iu8 v252, v240, v203, v252 neg_lo:[1,1,0]
	s_delay_alu instid0(VALU_DEP_1) | instskip(SKIP_1) | instid1(VALU_DEP_1)
	v_mad_u32 v204, v252, v238, v204
	v_dual_mul_f32 v252, v219, v1 :: v_dual_mul_f32 v1, v0, v1
	v_dual_mul_f32 v206, v1, v2 :: v_dual_bitop2_b32 v1, s17, v140 bitop3:0x54
	s_delay_alu instid0(VALU_DEP_3) | instskip(NEXT) | instid1(VALU_DEP_2)
	v_cvt_f32_i32_e32 v204, v204
	v_dual_lshlrev_b32 v7, 2, v1 :: v_dual_lshrrev_b32 v1, 1, v1
	ds_load_b32 v1, v1 offset:38816
	ds_load_b128 v[2:5], v7 offset:25344
	ds_load_b128 v[200:203], v7 offset:25360
	v_mul_f32_e32 v204, v252, v204
	s_wait_dscnt 0x1
	v_bfe_i32 v182, v2, 0, 8
	v_bfe_i32 v207, v2, 8, 8
	v_perm_b32 v2, v2, v2, 0xc0c0302
	v_bfe_i32 v249, v3, 0, 8
	v_perm_b32 v3, v3, v3, 0xc030201
	v_bfe_i32 v250, v4, 0, 8
	v_perm_b32 v4, v4, v4, 0xc030201
	v_bfe_i32 v205, v5, 0, 8
	s_set_vgpr_msb 64                       ;  msbs: dst=1 src0=0 src1=0 src2=0
	v_perm_b32 v0 /*v256*/, v5, v5, 0xc030201
	s_wait_dscnt 0x0
	s_set_vgpr_msb 0                        ;  msbs: dst=0 src0=0 src1=0 src2=0
	v_bfe_i32 v251, v200, 0, 8
	v_bfe_i32 v252, v200, 8, 8
	v_perm_b32 v200, v200, v200, 0xc0c0302
	v_bfe_i32 v253, v201, 0, 8
	v_perm_b32 v201, v201, v201, 0xc030201
	;; [unrolled: 2-line block ×4, first 2 shown]
	v_mul_i32_i24_e32 v7, v182, v166
	v_mul_i32_i24_e32 v115, v251, v174
	s_delay_alu instid0(VALU_DEP_2) | instskip(NEXT) | instid1(VALU_DEP_2)
	v_mad_i32_i24 v7, v207, v167, v7
	v_mad_i32_i24 v115, v252, v175, v115
	s_delay_alu instid0(VALU_DEP_2) | instskip(NEXT) | instid1(VALU_DEP_2)
	v_dot4_i32_iu8 v7, v2, v168, v7 neg_lo:[1,1,0]
	v_dot4_i32_iu8 v115, v200, v176, v115 neg_lo:[1,1,0]
	s_delay_alu instid0(VALU_DEP_2) | instskip(NEXT) | instid1(VALU_DEP_2)
	v_mad_i32_i24 v7, v249, v170, v7
	v_mad_i32_i24 v115, v253, v178, v115
	s_delay_alu instid0(VALU_DEP_2) | instskip(NEXT) | instid1(VALU_DEP_2)
	v_dot4_i32_iu8 v7, v3, v172, v7 neg_lo:[1,1,0]
	v_dot4_i32_iu8 v115, v201, v180, v115 neg_lo:[1,1,0]
	;; [unrolled: 6-line block ×3, first 2 shown]
	s_delay_alu instid0(VALU_DEP_2) | instskip(NEXT) | instid1(VALU_DEP_2)
	v_mad_i32_i24 v7, v171, v205, v7
	v_mad_i32_i24 v115, v179, v255, v115
	s_set_vgpr_msb 4                        ;  msbs: dst=0 src0=0 src1=1 src2=0
	s_delay_alu instid0(VALU_DEP_2) | instskip(SKIP_1) | instid1(VALU_DEP_2)
	v_dot4_i32_iu8 v7, v211, v0 /*v256*/, v7 neg_lo:[1,1,0]
	s_set_vgpr_msb 0                        ;  msbs: dst=0 src0=0 src1=0 src2=0
	v_dot4_i32_iu8 v115, v214, v203, v115 neg_lo:[1,1,0]
	s_delay_alu instid0(VALU_DEP_2) | instskip(NEXT) | instid1(VALU_DEP_1)
	v_mul_lo_u32 v7, v7, v173
	v_mad_u32 v7, v115, v181, v7
	v_mul_f32_e32 v115, v165, v1
	s_delay_alu instid0(VALU_DEP_2) | instskip(NEXT) | instid1(VALU_DEP_1)
	v_cvt_f32_i32_e32 v7, v7
	v_mul_f32_e32 v7, v115, v7
	s_delay_alu instid0(VALU_DEP_1) | instskip(SKIP_2) | instid1(VALU_DEP_2)
	v_pk_add_f32 v[38:39], v[38:39], v[6:7]
	v_mul_i32_i24_e32 v6, v182, v184
	v_mul_i32_i24_e32 v7, v251, v192
	v_mad_i32_i24 v6, v207, v185, v6
	s_delay_alu instid0(VALU_DEP_2) | instskip(NEXT) | instid1(VALU_DEP_2)
	v_mad_i32_i24 v7, v252, v193, v7
	v_dot4_i32_iu8 v6, v2, v186, v6 neg_lo:[1,1,0]
	s_delay_alu instid0(VALU_DEP_2) | instskip(NEXT) | instid1(VALU_DEP_2)
	v_dot4_i32_iu8 v7, v200, v194, v7 neg_lo:[1,1,0]
	v_mad_i32_i24 v6, v249, v187, v6
	s_delay_alu instid0(VALU_DEP_2) | instskip(NEXT) | instid1(VALU_DEP_2)
	v_mad_i32_i24 v7, v253, v195, v7
	v_dot4_i32_iu8 v6, v3, v190, v6 neg_lo:[1,1,0]
	s_delay_alu instid0(VALU_DEP_2) | instskip(NEXT) | instid1(VALU_DEP_2)
	v_dot4_i32_iu8 v7, v201, v198, v7 neg_lo:[1,1,0]
	;; [unrolled: 6-line block ×3, first 2 shown]
	v_mad_i32_i24 v6, v189, v205, v6
	s_delay_alu instid0(VALU_DEP_2) | instskip(SKIP_1) | instid1(VALU_DEP_2)
	v_mad_i32_i24 v7, v197, v255, v7
	s_set_vgpr_msb 4                        ;  msbs: dst=0 src0=0 src1=1 src2=0
	v_dot4_i32_iu8 v6, v216, v0 /*v256*/, v6 neg_lo:[1,1,0]
	s_set_vgpr_msb 0                        ;  msbs: dst=0 src0=0 src1=0 src2=0
	s_delay_alu instid0(VALU_DEP_2) | instskip(NEXT) | instid1(VALU_DEP_2)
	v_dot4_i32_iu8 v7, v218, v203, v7 neg_lo:[1,1,0]
	v_mul_lo_u32 v6, v6, v191
	s_delay_alu instid0(VALU_DEP_1) | instskip(SKIP_1) | instid1(VALU_DEP_2)
	v_mad_u32 v6, v7, v199, v6
	v_mul_f32_e32 v7, v183, v1
	v_cvt_f32_i32_e32 v6, v6
	s_delay_alu instid0(VALU_DEP_1) | instskip(SKIP_2) | instid1(VALU_DEP_3)
	v_mul_f32_e32 v115, v7, v6
	v_mul_i32_i24_e32 v6, v182, v223
	v_mul_i32_i24_e32 v7, v251, v231
	v_pk_add_f32 v[36:37], v[36:37], v[114:115]
	s_delay_alu instid0(VALU_DEP_3) | instskip(NEXT) | instid1(VALU_DEP_3)
	v_mad_i32_i24 v6, v207, v224, v6
	v_mad_i32_i24 v7, v252, v232, v7
	s_delay_alu instid0(VALU_DEP_2) | instskip(NEXT) | instid1(VALU_DEP_2)
	v_dot4_i32_iu8 v6, v2, v225, v6 neg_lo:[1,1,0]
	v_dot4_i32_iu8 v7, v200, v233, v7 neg_lo:[1,1,0]
	s_delay_alu instid0(VALU_DEP_2) | instskip(NEXT) | instid1(VALU_DEP_2)
	v_mad_i32_i24 v6, v249, v226, v6
	v_mad_i32_i24 v7, v253, v234, v7
	s_delay_alu instid0(VALU_DEP_2) | instskip(NEXT) | instid1(VALU_DEP_2)
	v_dot4_i32_iu8 v6, v3, v229, v6 neg_lo:[1,1,0]
	v_dot4_i32_iu8 v7, v201, v237, v7 neg_lo:[1,1,0]
	s_delay_alu instid0(VALU_DEP_2) | instskip(NEXT) | instid1(VALU_DEP_2)
	;; [unrolled: 6-line block ×3, first 2 shown]
	v_mad_i32_i24 v6, v228, v205, v6
	v_mad_i32_i24 v7, v236, v255, v7
	s_set_vgpr_msb 4                        ;  msbs: dst=0 src0=0 src1=1 src2=0
	s_delay_alu instid0(VALU_DEP_2) | instskip(SKIP_1) | instid1(VALU_DEP_2)
	v_dot4_i32_iu8 v6, v221, v0 /*v256*/, v6 neg_lo:[1,1,0]
	s_set_vgpr_msb 0                        ;  msbs: dst=0 src0=0 src1=0 src2=0
	v_dot4_i32_iu8 v7, v240, v203, v7 neg_lo:[1,1,0]
	s_delay_alu instid0(VALU_DEP_2) | instskip(NEXT) | instid1(VALU_DEP_1)
	v_mul_lo_u32 v6, v6, v230
	v_mad_u32 v6, v7, v238, v6
	v_dual_mul_f32 v7, v219, v1 :: v_dual_mul_f32 v1, v0, v1
	s_delay_alu instid0(VALU_DEP_2) | instskip(NEXT) | instid1(VALU_DEP_1)
	v_cvt_f32_i32_e32 v6, v6
	v_mul_f32_e32 v205, v7, v6
	s_set_vgpr_msb 1                        ;  msbs: dst=0 src0=1 src1=0 src2=0
	v_mul_i32_i24_e32 v6, v42 /*v298*/, v182
	s_set_vgpr_msb 0                        ;  msbs: dst=0 src0=0 src1=0 src2=0
	s_delay_alu instid0(VALU_DEP_2) | instskip(SKIP_1) | instid1(VALU_DEP_2)
	v_pk_add_f32 v[34:35], v[34:35], v[204:205]
	s_set_vgpr_msb 1                        ;  msbs: dst=0 src0=1 src1=0 src2=0
	v_mad_i32_i24 v6, v12 /*v268*/, v207, v6
	s_set_vgpr_msb 0                        ;  msbs: dst=0 src0=0 src1=0 src2=0
	s_delay_alu instid0(VALU_DEP_1) | instskip(SKIP_1) | instid1(VALU_DEP_1)
	v_dot4_i32_iu8 v2, v208, v2, v6 neg_lo:[1,1,0]
	s_set_vgpr_msb 1                        ;  msbs: dst=0 src0=1 src1=0 src2=0
	v_mad_i32_i24 v2, v4 /*v260*/, v249, v2
	s_set_vgpr_msb 0                        ;  msbs: dst=0 src0=0 src1=0 src2=0
	s_delay_alu instid0(VALU_DEP_1) | instskip(SKIP_3) | instid1(VALU_DEP_2)
	v_dot4_i32_iu8 v2, v241, v3, v2 neg_lo:[1,1,0]
	s_set_vgpr_msb 1                        ;  msbs: dst=0 src0=1 src1=0 src2=0
	v_mul_i32_i24_e32 v3, v17 /*v273*/, v251
	s_set_vgpr_msb 0                        ;  msbs: dst=0 src0=0 src1=0 src2=0
	v_mad_i32_i24 v2, v250, v239, v2
	s_set_vgpr_msb 1                        ;  msbs: dst=0 src0=1 src1=0 src2=0
	s_delay_alu instid0(VALU_DEP_2) | instskip(SKIP_1) | instid1(VALU_DEP_2)
	v_mad_i32_i24 v3, v13 /*v269*/, v252, v3
	s_set_vgpr_msb 0                        ;  msbs: dst=0 src0=0 src1=0 src2=0
	v_dot4_i32_iu8 v2, v4, v246, v2 neg_lo:[1,1,0]
	s_set_vgpr_msb 1                        ;  msbs: dst=0 src0=1 src1=0 src2=0
	s_delay_alu instid0(VALU_DEP_2) | instskip(SKIP_1) | instid1(VALU_DEP_2)
	v_dot4_i32_iu8 v3, v20 /*v276*/, v200, v3 neg_lo:[1,1,0]
	s_set_vgpr_msb 0                        ;  msbs: dst=0 src0=0 src1=0 src2=0
	v_dot4_i32_iu8 v2, v248, v5, v2 neg_lo:[1,1,0]
	s_set_vgpr_msb 1                        ;  msbs: dst=0 src0=1 src1=0 src2=0
	s_delay_alu instid0(VALU_DEP_2) | instskip(SKIP_1) | instid1(VALU_DEP_2)
	v_mad_i32_i24 v3, v32 /*v288*/, v253, v3
	s_set_vgpr_msb 0                        ;  msbs: dst=0 src0=0 src1=0 src2=0
	v_mul_lo_u32 v2, v2, v247
	s_delay_alu instid0(VALU_DEP_2) | instskip(NEXT) | instid1(VALU_DEP_1)
	v_dot4_i32_iu8 v3, v242, v201, v3 neg_lo:[1,1,0]
	v_mad_i32_i24 v3, v254, v215, v3
	s_delay_alu instid0(VALU_DEP_1) | instskip(NEXT) | instid1(VALU_DEP_1)
	v_dot4_i32_iu8 v3, v202, v244, v3 neg_lo:[1,1,0]
	v_mad_i32_i24 v3, v243, v255, v3
	s_delay_alu instid0(VALU_DEP_1) | instskip(NEXT) | instid1(VALU_DEP_1)
	v_dot4_i32_iu8 v3, v210, v203, v3 neg_lo:[1,1,0]
	v_mad_u32 v2, v3, v245, v2
	s_delay_alu instid0(VALU_DEP_1) | instskip(NEXT) | instid1(VALU_DEP_1)
	v_cvt_f32_i32_e32 v2, v2
	v_dual_mul_f32 v207, v1, v2 :: v_dual_bitop2_b32 v1, s17, v141 bitop3:0x54
	s_delay_alu instid0(VALU_DEP_1) | instskip(NEXT) | instid1(VALU_DEP_2)
	v_pk_add_f32 v[32:33], v[32:33], v[206:207]
	v_dual_lshlrev_b32 v6, 2, v1 :: v_dual_lshrrev_b32 v1, 1, v1
	ds_load_b32 v1, v1 offset:38816
	ds_load_b128 v[2:5], v6 offset:25344
	ds_load_b128 v[200:203], v6 offset:25360
	s_wait_dscnt 0x1
	v_bfe_i32 v7, v2, 0, 8
	v_bfe_i32 v115, v2, 8, 8
	v_perm_b32 v2, v2, v2, 0xc0c0302
	v_bfe_i32 v182, v3, 0, 8
	v_perm_b32 v3, v3, v3, 0xc030201
	;; [unrolled: 2-line block ×4, first 2 shown]
	s_wait_dscnt 0x0
	v_bfe_i32 v206, v200, 0, 8
	v_bfe_i32 v207, v200, 8, 8
	v_perm_b32 v200, v200, v200, 0xc0c0302
	v_bfe_i32 v249, v201, 0, 8
	v_perm_b32 v201, v201, v201, 0xc030201
	;; [unrolled: 2-line block ×4, first 2 shown]
	v_mul_i32_i24_e32 v6, v7, v166
	v_mul_i32_i24_e32 v114, v206, v174
	;; [unrolled: 1-line block ×3, first 2 shown]
	s_delay_alu instid0(VALU_DEP_3) | instskip(NEXT) | instid1(VALU_DEP_3)
	v_mad_i32_i24 v6, v115, v167, v6
	v_mad_i32_i24 v114, v207, v175, v114
	s_delay_alu instid0(VALU_DEP_3) | instskip(NEXT) | instid1(VALU_DEP_3)
	v_mad_i32_i24 v253, v207, v193, v253
	v_dot4_i32_iu8 v6, v2, v168, v6 neg_lo:[1,1,0]
	s_delay_alu instid0(VALU_DEP_3) | instskip(NEXT) | instid1(VALU_DEP_3)
	v_dot4_i32_iu8 v114, v200, v176, v114 neg_lo:[1,1,0]
	v_dot4_i32_iu8 v253, v200, v194, v253 neg_lo:[1,1,0]
	s_delay_alu instid0(VALU_DEP_3) | instskip(NEXT) | instid1(VALU_DEP_3)
	v_mad_i32_i24 v6, v182, v170, v6
	v_mad_i32_i24 v114, v249, v178, v114
	s_delay_alu instid0(VALU_DEP_3) | instskip(NEXT) | instid1(VALU_DEP_3)
	v_mad_i32_i24 v253, v249, v195, v253
	v_dot4_i32_iu8 v6, v3, v172, v6 neg_lo:[1,1,0]
	s_delay_alu instid0(VALU_DEP_3) | instskip(NEXT) | instid1(VALU_DEP_3)
	v_dot4_i32_iu8 v114, v201, v180, v114 neg_lo:[1,1,0]
	v_dot4_i32_iu8 v253, v201, v198, v253 neg_lo:[1,1,0]
	;; [unrolled: 9-line block ×4, first 2 shown]
	s_delay_alu instid0(VALU_DEP_3) | instskip(NEXT) | instid1(VALU_DEP_1)
	v_mul_lo_u32 v6, v6, v173
	v_mad_u32 v6, v114, v181, v6
	v_mul_f32_e32 v114, v165, v1
	s_delay_alu instid0(VALU_DEP_2) | instskip(NEXT) | instid1(VALU_DEP_1)
	v_cvt_f32_i32_e32 v6, v6
	v_mul_f32_e32 v6, v114, v6
	v_mul_i32_i24_e32 v114, v7, v184
	s_delay_alu instid0(VALU_DEP_1) | instskip(NEXT) | instid1(VALU_DEP_1)
	v_mad_i32_i24 v114, v115, v185, v114
	v_dot4_i32_iu8 v114, v2, v186, v114 neg_lo:[1,1,0]
	s_delay_alu instid0(VALU_DEP_1) | instskip(NEXT) | instid1(VALU_DEP_1)
	v_mad_i32_i24 v114, v182, v187, v114
	v_dot4_i32_iu8 v114, v3, v190, v114 neg_lo:[1,1,0]
	s_delay_alu instid0(VALU_DEP_1) | instskip(NEXT) | instid1(VALU_DEP_1)
	v_mad_i32_i24 v114, v188, v205, v114
	v_dot4_i32_iu8 v114, v212, v4, v114 neg_lo:[1,1,0]
	s_delay_alu instid0(VALU_DEP_1) | instskip(NEXT) | instid1(VALU_DEP_1)
	v_mad_i32_i24 v114, v189, v204, v114
	v_dot4_i32_iu8 v114, v216, v252, v114 neg_lo:[1,1,0]
	s_delay_alu instid0(VALU_DEP_1) | instskip(NEXT) | instid1(VALU_DEP_1)
	v_mul_lo_u32 v114, v114, v191
	v_mad_u32 v114, v253, v199, v114
	v_mul_f32_e32 v253, v183, v1
	s_delay_alu instid0(VALU_DEP_2) | instskip(NEXT) | instid1(VALU_DEP_1)
	v_cvt_f32_i32_e32 v114, v114
	v_mul_f32_e32 v114, v253, v114
	v_mul_i32_i24_e32 v253, v7, v223
	s_set_vgpr_msb 1                        ;  msbs: dst=0 src0=1 src1=0 src2=0
	v_mul_i32_i24_e32 v7, v42 /*v298*/, v7
	s_set_vgpr_msb 0                        ;  msbs: dst=0 src0=0 src1=0 src2=0
	s_delay_alu instid0(VALU_DEP_2) | instskip(SKIP_1) | instid1(VALU_DEP_2)
	v_mad_i32_i24 v253, v115, v224, v253
	s_set_vgpr_msb 1                        ;  msbs: dst=0 src0=1 src1=0 src2=0
	v_mad_i32_i24 v7, v12 /*v268*/, v115, v7
	s_set_vgpr_msb 0                        ;  msbs: dst=0 src0=0 src1=0 src2=0
	s_delay_alu instid0(VALU_DEP_2) | instskip(NEXT) | instid1(VALU_DEP_2)
	v_dot4_i32_iu8 v253, v2, v225, v253 neg_lo:[1,1,0]
	v_dot4_i32_iu8 v2, v208, v2, v7 neg_lo:[1,1,0]
	s_delay_alu instid0(VALU_DEP_2) | instskip(SKIP_1) | instid1(VALU_DEP_2)
	v_mad_i32_i24 v253, v182, v226, v253
	s_set_vgpr_msb 1                        ;  msbs: dst=0 src0=1 src1=0 src2=0
	v_mad_i32_i24 v2, v4 /*v260*/, v182, v2
	s_set_vgpr_msb 0                        ;  msbs: dst=0 src0=0 src1=0 src2=0
	s_delay_alu instid0(VALU_DEP_2) | instskip(NEXT) | instid1(VALU_DEP_2)
	v_dot4_i32_iu8 v253, v3, v229, v253 neg_lo:[1,1,0]
	v_dot4_i32_iu8 v2, v241, v3, v2 neg_lo:[1,1,0]
	s_set_vgpr_msb 1                        ;  msbs: dst=0 src0=1 src1=0 src2=0
	v_mul_i32_i24_e32 v3, v17 /*v273*/, v206
	s_set_vgpr_msb 0                        ;  msbs: dst=0 src0=0 src1=0 src2=0
	v_mad_i32_i24 v253, v227, v205, v253
	v_mad_i32_i24 v2, v205, v239, v2
	s_set_vgpr_msb 1                        ;  msbs: dst=0 src0=1 src1=0 src2=0
	v_mad_i32_i24 v3, v13 /*v269*/, v207, v3
	s_set_vgpr_msb 0                        ;  msbs: dst=0 src0=0 src1=0 src2=0
	v_dot4_i32_iu8 v253, v220, v4, v253 neg_lo:[1,1,0]
	v_dot4_i32_iu8 v2, v4, v246, v2 neg_lo:[1,1,0]
	s_set_vgpr_msb 1                        ;  msbs: dst=0 src0=1 src1=0 src2=0
	v_dot4_i32_iu8 v3, v20 /*v276*/, v200, v3 neg_lo:[1,1,0]
	s_set_vgpr_msb 0                        ;  msbs: dst=0 src0=0 src1=0 src2=0
	v_mad_i32_i24 v204, v228, v204, v253
	v_dot4_i32_iu8 v2, v248, v5, v2 neg_lo:[1,1,0]
	s_set_vgpr_msb 1                        ;  msbs: dst=0 src0=1 src1=0 src2=0
	v_mad_i32_i24 v3, v32 /*v288*/, v249, v3
	s_set_vgpr_msb 0                        ;  msbs: dst=0 src0=0 src1=0 src2=0
	v_dot4_i32_iu8 v204, v221, v252, v204 neg_lo:[1,1,0]
	v_mul_i32_i24_e32 v252, v206, v231
	s_delay_alu instid0(VALU_DEP_3) | instskip(SKIP_1) | instid1(VALU_DEP_4)
	v_dot4_i32_iu8 v3, v242, v201, v3 neg_lo:[1,1,0]
	v_mul_lo_u32 v2, v2, v247
	v_mul_lo_u32 v204, v204, v230
	s_delay_alu instid0(VALU_DEP_4) | instskip(NEXT) | instid1(VALU_DEP_4)
	v_mad_i32_i24 v252, v207, v232, v252
	v_mad_i32_i24 v3, v250, v215, v3
	s_delay_alu instid0(VALU_DEP_2) | instskip(NEXT) | instid1(VALU_DEP_2)
	v_dot4_i32_iu8 v252, v200, v233, v252 neg_lo:[1,1,0]
	v_dot4_i32_iu8 v3, v202, v244, v3 neg_lo:[1,1,0]
	s_delay_alu instid0(VALU_DEP_2) | instskip(NEXT) | instid1(VALU_DEP_2)
	v_mad_i32_i24 v252, v249, v234, v252
	v_mad_i32_i24 v3, v243, v251, v3
	s_delay_alu instid0(VALU_DEP_2) | instskip(NEXT) | instid1(VALU_DEP_2)
	v_dot4_i32_iu8 v252, v201, v237, v252 neg_lo:[1,1,0]
	v_dot4_i32_iu8 v3, v210, v203, v3 neg_lo:[1,1,0]
	s_delay_alu instid0(VALU_DEP_2) | instskip(NEXT) | instid1(VALU_DEP_2)
	v_mad_i32_i24 v252, v235, v250, v252
	v_mad_u32 v2, v3, v245, v2
	s_delay_alu instid0(VALU_DEP_2) | instskip(NEXT) | instid1(VALU_DEP_1)
	v_dot4_i32_iu8 v252, v222, v202, v252 neg_lo:[1,1,0]
	v_mad_i32_i24 v252, v236, v251, v252
	s_delay_alu instid0(VALU_DEP_3) | instskip(NEXT) | instid1(VALU_DEP_2)
	v_cvt_f32_i32_e32 v2, v2
	v_dot4_i32_iu8 v252, v240, v203, v252 neg_lo:[1,1,0]
	s_delay_alu instid0(VALU_DEP_1) | instskip(SKIP_1) | instid1(VALU_DEP_1)
	v_mad_u32 v204, v252, v238, v204
	v_dual_mul_f32 v252, v219, v1 :: v_dual_mul_f32 v1, v0, v1
	v_mul_f32_e32 v206, v1, v2
	v_or_b32_e32 v1, s17, v142
	s_delay_alu instid0(VALU_DEP_4) | instskip(NEXT) | instid1(VALU_DEP_2)
	v_cvt_f32_i32_e32 v204, v204
	v_dual_lshlrev_b32 v7, 2, v1 :: v_dual_lshrrev_b32 v1, 1, v1
	ds_load_b32 v1, v1 offset:38816
	ds_load_b128 v[2:5], v7 offset:25344
	ds_load_b128 v[200:203], v7 offset:25360
	v_mul_f32_e32 v204, v252, v204
	s_wait_dscnt 0x1
	v_bfe_i32 v182, v2, 0, 8
	v_bfe_i32 v207, v2, 8, 8
	v_perm_b32 v2, v2, v2, 0xc0c0302
	v_bfe_i32 v249, v3, 0, 8
	v_perm_b32 v3, v3, v3, 0xc030201
	;; [unrolled: 2-line block ×3, first 2 shown]
	v_bfe_i32 v205, v5, 0, 8
	s_set_vgpr_msb 64                       ;  msbs: dst=1 src0=0 src1=0 src2=0
	v_perm_b32 v0 /*v256*/, v5, v5, 0xc030201
	s_wait_dscnt 0x0
	s_set_vgpr_msb 0                        ;  msbs: dst=0 src0=0 src1=0 src2=0
	v_bfe_i32 v251, v200, 0, 8
	v_bfe_i32 v252, v200, 8, 8
	v_perm_b32 v200, v200, v200, 0xc0c0302
	v_bfe_i32 v253, v201, 0, 8
	v_perm_b32 v201, v201, v201, 0xc030201
	;; [unrolled: 2-line block ×4, first 2 shown]
	v_mul_i32_i24_e32 v7, v182, v166
	v_mul_i32_i24_e32 v115, v251, v174
	s_delay_alu instid0(VALU_DEP_2) | instskip(NEXT) | instid1(VALU_DEP_2)
	v_mad_i32_i24 v7, v207, v167, v7
	v_mad_i32_i24 v115, v252, v175, v115
	s_delay_alu instid0(VALU_DEP_2) | instskip(NEXT) | instid1(VALU_DEP_2)
	v_dot4_i32_iu8 v7, v2, v168, v7 neg_lo:[1,1,0]
	v_dot4_i32_iu8 v115, v200, v176, v115 neg_lo:[1,1,0]
	s_delay_alu instid0(VALU_DEP_2) | instskip(NEXT) | instid1(VALU_DEP_2)
	v_mad_i32_i24 v7, v249, v170, v7
	v_mad_i32_i24 v115, v253, v178, v115
	s_delay_alu instid0(VALU_DEP_2) | instskip(NEXT) | instid1(VALU_DEP_2)
	v_dot4_i32_iu8 v7, v3, v172, v7 neg_lo:[1,1,0]
	v_dot4_i32_iu8 v115, v201, v180, v115 neg_lo:[1,1,0]
	;; [unrolled: 6-line block ×3, first 2 shown]
	s_delay_alu instid0(VALU_DEP_2) | instskip(NEXT) | instid1(VALU_DEP_2)
	v_mad_i32_i24 v7, v171, v205, v7
	v_mad_i32_i24 v115, v179, v255, v115
	s_set_vgpr_msb 4                        ;  msbs: dst=0 src0=0 src1=1 src2=0
	s_delay_alu instid0(VALU_DEP_2) | instskip(SKIP_1) | instid1(VALU_DEP_2)
	v_dot4_i32_iu8 v7, v211, v0 /*v256*/, v7 neg_lo:[1,1,0]
	s_set_vgpr_msb 0                        ;  msbs: dst=0 src0=0 src1=0 src2=0
	v_dot4_i32_iu8 v115, v214, v203, v115 neg_lo:[1,1,0]
	s_delay_alu instid0(VALU_DEP_2) | instskip(NEXT) | instid1(VALU_DEP_1)
	v_mul_lo_u32 v7, v7, v173
	v_mad_u32 v7, v115, v181, v7
	v_mul_f32_e32 v115, v165, v1
	s_delay_alu instid0(VALU_DEP_2) | instskip(NEXT) | instid1(VALU_DEP_1)
	v_cvt_f32_i32_e32 v7, v7
	v_mul_f32_e32 v7, v115, v7
	s_delay_alu instid0(VALU_DEP_1) | instskip(SKIP_2) | instid1(VALU_DEP_2)
	v_pk_add_f32 v[28:29], v[28:29], v[6:7]
	v_mul_i32_i24_e32 v6, v182, v184
	v_mul_i32_i24_e32 v7, v251, v192
	v_mad_i32_i24 v6, v207, v185, v6
	s_delay_alu instid0(VALU_DEP_2) | instskip(NEXT) | instid1(VALU_DEP_2)
	v_mad_i32_i24 v7, v252, v193, v7
	v_dot4_i32_iu8 v6, v2, v186, v6 neg_lo:[1,1,0]
	s_delay_alu instid0(VALU_DEP_2) | instskip(NEXT) | instid1(VALU_DEP_2)
	v_dot4_i32_iu8 v7, v200, v194, v7 neg_lo:[1,1,0]
	v_mad_i32_i24 v6, v249, v187, v6
	s_delay_alu instid0(VALU_DEP_2) | instskip(NEXT) | instid1(VALU_DEP_2)
	v_mad_i32_i24 v7, v253, v195, v7
	v_dot4_i32_iu8 v6, v3, v190, v6 neg_lo:[1,1,0]
	s_delay_alu instid0(VALU_DEP_2) | instskip(NEXT) | instid1(VALU_DEP_2)
	v_dot4_i32_iu8 v7, v201, v198, v7 neg_lo:[1,1,0]
	;; [unrolled: 6-line block ×3, first 2 shown]
	v_mad_i32_i24 v6, v189, v205, v6
	s_delay_alu instid0(VALU_DEP_2) | instskip(SKIP_1) | instid1(VALU_DEP_2)
	v_mad_i32_i24 v7, v197, v255, v7
	s_set_vgpr_msb 4                        ;  msbs: dst=0 src0=0 src1=1 src2=0
	v_dot4_i32_iu8 v6, v216, v0 /*v256*/, v6 neg_lo:[1,1,0]
	s_set_vgpr_msb 0                        ;  msbs: dst=0 src0=0 src1=0 src2=0
	s_delay_alu instid0(VALU_DEP_2) | instskip(NEXT) | instid1(VALU_DEP_2)
	v_dot4_i32_iu8 v7, v218, v203, v7 neg_lo:[1,1,0]
	v_mul_lo_u32 v6, v6, v191
	s_delay_alu instid0(VALU_DEP_1) | instskip(SKIP_1) | instid1(VALU_DEP_2)
	v_mad_u32 v6, v7, v199, v6
	v_mul_f32_e32 v7, v183, v1
	v_cvt_f32_i32_e32 v6, v6
	s_delay_alu instid0(VALU_DEP_1) | instskip(SKIP_2) | instid1(VALU_DEP_3)
	v_mul_f32_e32 v115, v7, v6
	v_mul_i32_i24_e32 v6, v182, v223
	v_mul_i32_i24_e32 v7, v251, v231
	v_pk_add_f32 v[26:27], v[26:27], v[114:115]
	s_delay_alu instid0(VALU_DEP_3) | instskip(NEXT) | instid1(VALU_DEP_3)
	v_mad_i32_i24 v6, v207, v224, v6
	v_mad_i32_i24 v7, v252, v232, v7
	s_delay_alu instid0(VALU_DEP_2) | instskip(NEXT) | instid1(VALU_DEP_2)
	v_dot4_i32_iu8 v6, v2, v225, v6 neg_lo:[1,1,0]
	v_dot4_i32_iu8 v7, v200, v233, v7 neg_lo:[1,1,0]
	s_delay_alu instid0(VALU_DEP_2) | instskip(NEXT) | instid1(VALU_DEP_2)
	v_mad_i32_i24 v6, v249, v226, v6
	v_mad_i32_i24 v7, v253, v234, v7
	s_delay_alu instid0(VALU_DEP_2) | instskip(NEXT) | instid1(VALU_DEP_2)
	v_dot4_i32_iu8 v6, v3, v229, v6 neg_lo:[1,1,0]
	v_dot4_i32_iu8 v7, v201, v237, v7 neg_lo:[1,1,0]
	s_delay_alu instid0(VALU_DEP_2) | instskip(NEXT) | instid1(VALU_DEP_2)
	;; [unrolled: 6-line block ×3, first 2 shown]
	v_mad_i32_i24 v6, v228, v205, v6
	v_mad_i32_i24 v7, v236, v255, v7
	s_set_vgpr_msb 4                        ;  msbs: dst=0 src0=0 src1=1 src2=0
	s_delay_alu instid0(VALU_DEP_2) | instskip(SKIP_1) | instid1(VALU_DEP_2)
	v_dot4_i32_iu8 v6, v221, v0 /*v256*/, v6 neg_lo:[1,1,0]
	s_set_vgpr_msb 0                        ;  msbs: dst=0 src0=0 src1=0 src2=0
	v_dot4_i32_iu8 v7, v240, v203, v7 neg_lo:[1,1,0]
	s_delay_alu instid0(VALU_DEP_2) | instskip(NEXT) | instid1(VALU_DEP_1)
	v_mul_lo_u32 v6, v6, v230
	v_mad_u32 v6, v7, v238, v6
	v_dual_mul_f32 v7, v219, v1 :: v_dual_mul_f32 v1, v0, v1
	s_delay_alu instid0(VALU_DEP_2) | instskip(NEXT) | instid1(VALU_DEP_1)
	v_cvt_f32_i32_e32 v6, v6
	v_mul_f32_e32 v205, v7, v6
	s_set_vgpr_msb 1                        ;  msbs: dst=0 src0=1 src1=0 src2=0
	v_mul_i32_i24_e32 v6, v42 /*v298*/, v182
	s_set_vgpr_msb 0                        ;  msbs: dst=0 src0=0 src1=0 src2=0
	s_delay_alu instid0(VALU_DEP_2) | instskip(SKIP_1) | instid1(VALU_DEP_2)
	v_pk_add_f32 v[24:25], v[24:25], v[204:205]
	s_set_vgpr_msb 1                        ;  msbs: dst=0 src0=1 src1=0 src2=0
	v_mad_i32_i24 v6, v12 /*v268*/, v207, v6
	s_set_vgpr_msb 0                        ;  msbs: dst=0 src0=0 src1=0 src2=0
	s_delay_alu instid0(VALU_DEP_1) | instskip(SKIP_1) | instid1(VALU_DEP_1)
	v_dot4_i32_iu8 v2, v208, v2, v6 neg_lo:[1,1,0]
	s_set_vgpr_msb 1                        ;  msbs: dst=0 src0=1 src1=0 src2=0
	v_mad_i32_i24 v2, v4 /*v260*/, v249, v2
	s_set_vgpr_msb 0                        ;  msbs: dst=0 src0=0 src1=0 src2=0
	s_delay_alu instid0(VALU_DEP_1) | instskip(SKIP_3) | instid1(VALU_DEP_2)
	v_dot4_i32_iu8 v2, v241, v3, v2 neg_lo:[1,1,0]
	s_set_vgpr_msb 1                        ;  msbs: dst=0 src0=1 src1=0 src2=0
	v_mul_i32_i24_e32 v3, v17 /*v273*/, v251
	s_set_vgpr_msb 0                        ;  msbs: dst=0 src0=0 src1=0 src2=0
	v_mad_i32_i24 v2, v250, v239, v2
	s_set_vgpr_msb 1                        ;  msbs: dst=0 src0=1 src1=0 src2=0
	s_delay_alu instid0(VALU_DEP_2) | instskip(SKIP_1) | instid1(VALU_DEP_2)
	v_mad_i32_i24 v3, v13 /*v269*/, v252, v3
	s_set_vgpr_msb 0                        ;  msbs: dst=0 src0=0 src1=0 src2=0
	v_dot4_i32_iu8 v2, v4, v246, v2 neg_lo:[1,1,0]
	s_set_vgpr_msb 1                        ;  msbs: dst=0 src0=1 src1=0 src2=0
	s_delay_alu instid0(VALU_DEP_2) | instskip(SKIP_1) | instid1(VALU_DEP_2)
	v_dot4_i32_iu8 v3, v20 /*v276*/, v200, v3 neg_lo:[1,1,0]
	s_set_vgpr_msb 0                        ;  msbs: dst=0 src0=0 src1=0 src2=0
	v_dot4_i32_iu8 v2, v248, v5, v2 neg_lo:[1,1,0]
	s_set_vgpr_msb 1                        ;  msbs: dst=0 src0=1 src1=0 src2=0
	s_delay_alu instid0(VALU_DEP_2) | instskip(SKIP_1) | instid1(VALU_DEP_2)
	v_mad_i32_i24 v3, v32 /*v288*/, v253, v3
	s_set_vgpr_msb 0                        ;  msbs: dst=0 src0=0 src1=0 src2=0
	v_mul_lo_u32 v2, v2, v247
	s_delay_alu instid0(VALU_DEP_2) | instskip(NEXT) | instid1(VALU_DEP_1)
	v_dot4_i32_iu8 v3, v242, v201, v3 neg_lo:[1,1,0]
	v_mad_i32_i24 v3, v254, v215, v3
	s_delay_alu instid0(VALU_DEP_1) | instskip(NEXT) | instid1(VALU_DEP_1)
	v_dot4_i32_iu8 v3, v202, v244, v3 neg_lo:[1,1,0]
	v_mad_i32_i24 v3, v243, v255, v3
	s_delay_alu instid0(VALU_DEP_1) | instskip(NEXT) | instid1(VALU_DEP_1)
	v_dot4_i32_iu8 v3, v210, v203, v3 neg_lo:[1,1,0]
	v_mad_u32 v2, v3, v245, v2
	s_delay_alu instid0(VALU_DEP_1) | instskip(NEXT) | instid1(VALU_DEP_1)
	v_cvt_f32_i32_e32 v2, v2
	v_dual_mul_f32 v207, v1, v2 :: v_dual_bitop2_b32 v1, s17, v143 bitop3:0x54
	s_delay_alu instid0(VALU_DEP_1) | instskip(NEXT) | instid1(VALU_DEP_2)
	v_pk_add_f32 v[20:21], v[20:21], v[206:207]
	v_dual_lshlrev_b32 v6, 2, v1 :: v_dual_lshrrev_b32 v1, 1, v1
	ds_load_b32 v1, v1 offset:38816
	ds_load_b128 v[2:5], v6 offset:25344
	ds_load_b128 v[200:203], v6 offset:25360
	s_wait_dscnt 0x1
	v_bfe_i32 v7, v2, 0, 8
	v_bfe_i32 v115, v2, 8, 8
	v_perm_b32 v2, v2, v2, 0xc0c0302
	v_bfe_i32 v204, v3, 0, 8
	v_perm_b32 v3, v3, v3, 0xc030201
	;; [unrolled: 2-line block ×4, first 2 shown]
	s_wait_dscnt 0x0
	v_bfe_i32 v206, v200, 0, 8
	v_bfe_i32 v207, v200, 8, 8
	v_perm_b32 v200, v200, v200, 0xc0c0302
	v_bfe_i32 v249, v201, 0, 8
	v_perm_b32 v201, v201, v201, 0xc030201
	;; [unrolled: 2-line block ×4, first 2 shown]
	v_mul_i32_i24_e32 v6, v7, v166
	v_mul_i32_i24_e32 v114, v206, v174
	;; [unrolled: 1-line block ×3, first 2 shown]
	s_delay_alu instid0(VALU_DEP_3) | instskip(NEXT) | instid1(VALU_DEP_3)
	v_mad_i32_i24 v6, v115, v167, v6
	v_mad_i32_i24 v114, v207, v175, v114
	s_delay_alu instid0(VALU_DEP_3) | instskip(NEXT) | instid1(VALU_DEP_3)
	v_mad_i32_i24 v253, v207, v193, v253
	v_dot4_i32_iu8 v6, v2, v168, v6 neg_lo:[1,1,0]
	s_delay_alu instid0(VALU_DEP_3) | instskip(NEXT) | instid1(VALU_DEP_3)
	v_dot4_i32_iu8 v114, v200, v176, v114 neg_lo:[1,1,0]
	v_dot4_i32_iu8 v253, v200, v194, v253 neg_lo:[1,1,0]
	s_delay_alu instid0(VALU_DEP_3) | instskip(NEXT) | instid1(VALU_DEP_3)
	v_mad_i32_i24 v6, v204, v170, v6
	v_mad_i32_i24 v114, v249, v178, v114
	s_delay_alu instid0(VALU_DEP_3) | instskip(NEXT) | instid1(VALU_DEP_3)
	v_mad_i32_i24 v253, v249, v195, v253
	v_dot4_i32_iu8 v6, v3, v172, v6 neg_lo:[1,1,0]
	s_delay_alu instid0(VALU_DEP_3) | instskip(NEXT) | instid1(VALU_DEP_3)
	v_dot4_i32_iu8 v114, v201, v180, v114 neg_lo:[1,1,0]
	v_dot4_i32_iu8 v253, v201, v198, v253 neg_lo:[1,1,0]
	;; [unrolled: 9-line block ×4, first 2 shown]
	s_delay_alu instid0(VALU_DEP_3) | instskip(NEXT) | instid1(VALU_DEP_1)
	v_mul_lo_u32 v6, v6, v173
	v_mad_u32 v6, v114, v181, v6
	v_mul_f32_e32 v114, v165, v1
	s_delay_alu instid0(VALU_DEP_2) | instskip(NEXT) | instid1(VALU_DEP_1)
	v_cvt_f32_i32_e32 v6, v6
	v_mul_f32_e32 v6, v114, v6
	v_mul_i32_i24_e32 v114, v7, v184
	s_delay_alu instid0(VALU_DEP_1) | instskip(NEXT) | instid1(VALU_DEP_1)
	v_mad_i32_i24 v114, v115, v185, v114
	v_dot4_i32_iu8 v114, v2, v186, v114 neg_lo:[1,1,0]
	s_delay_alu instid0(VALU_DEP_1) | instskip(NEXT) | instid1(VALU_DEP_1)
	v_mad_i32_i24 v114, v204, v187, v114
	v_dot4_i32_iu8 v114, v3, v190, v114 neg_lo:[1,1,0]
	s_delay_alu instid0(VALU_DEP_1) | instskip(NEXT) | instid1(VALU_DEP_1)
	v_mad_i32_i24 v114, v188, v205, v114
	v_dot4_i32_iu8 v114, v212, v4, v114 neg_lo:[1,1,0]
	s_delay_alu instid0(VALU_DEP_1) | instskip(NEXT) | instid1(VALU_DEP_1)
	v_mad_i32_i24 v114, v189, v182, v114
	v_dot4_i32_iu8 v114, v216, v252, v114 neg_lo:[1,1,0]
	s_delay_alu instid0(VALU_DEP_1) | instskip(NEXT) | instid1(VALU_DEP_1)
	v_mul_lo_u32 v114, v114, v191
	v_mad_u32 v114, v253, v199, v114
	v_mul_f32_e32 v253, v183, v1
	s_delay_alu instid0(VALU_DEP_2) | instskip(NEXT) | instid1(VALU_DEP_1)
	v_cvt_f32_i32_e32 v114, v114
	v_mul_f32_e32 v114, v253, v114
	v_mul_i32_i24_e32 v253, v7, v223
	s_set_vgpr_msb 1                        ;  msbs: dst=0 src0=1 src1=0 src2=0
	v_mul_i32_i24_e32 v7, v42 /*v298*/, v7
	s_set_vgpr_msb 0                        ;  msbs: dst=0 src0=0 src1=0 src2=0
	s_delay_alu instid0(VALU_DEP_2) | instskip(SKIP_1) | instid1(VALU_DEP_2)
	v_mad_i32_i24 v253, v115, v224, v253
	s_set_vgpr_msb 1                        ;  msbs: dst=0 src0=1 src1=0 src2=0
	v_mad_i32_i24 v7, v12 /*v268*/, v115, v7
	s_set_vgpr_msb 0                        ;  msbs: dst=0 src0=0 src1=0 src2=0
	s_delay_alu instid0(VALU_DEP_2) | instskip(NEXT) | instid1(VALU_DEP_2)
	v_dot4_i32_iu8 v253, v2, v225, v253 neg_lo:[1,1,0]
	v_dot4_i32_iu8 v2, v208, v2, v7 neg_lo:[1,1,0]
	s_delay_alu instid0(VALU_DEP_2) | instskip(SKIP_1) | instid1(VALU_DEP_2)
	v_mad_i32_i24 v253, v204, v226, v253
	s_set_vgpr_msb 1                        ;  msbs: dst=0 src0=1 src1=0 src2=0
	v_mad_i32_i24 v2, v4 /*v260*/, v204, v2
	s_set_vgpr_msb 0                        ;  msbs: dst=0 src0=0 src1=0 src2=0
	s_delay_alu instid0(VALU_DEP_2) | instskip(NEXT) | instid1(VALU_DEP_2)
	v_dot4_i32_iu8 v253, v3, v229, v253 neg_lo:[1,1,0]
	v_dot4_i32_iu8 v2, v241, v3, v2 neg_lo:[1,1,0]
	s_set_vgpr_msb 1                        ;  msbs: dst=0 src0=1 src1=0 src2=0
	v_mul_i32_i24_e32 v3, v17 /*v273*/, v206
	s_set_vgpr_msb 0                        ;  msbs: dst=0 src0=0 src1=0 src2=0
	v_mad_i32_i24 v253, v227, v205, v253
	v_mad_i32_i24 v2, v205, v239, v2
	s_set_vgpr_msb 1                        ;  msbs: dst=0 src0=1 src1=0 src2=0
	v_mad_i32_i24 v3, v13 /*v269*/, v207, v3
	s_set_vgpr_msb 0                        ;  msbs: dst=0 src0=0 src1=0 src2=0
	v_dot4_i32_iu8 v253, v220, v4, v253 neg_lo:[1,1,0]
	v_dot4_i32_iu8 v2, v4, v246, v2 neg_lo:[1,1,0]
	s_set_vgpr_msb 1                        ;  msbs: dst=0 src0=1 src1=0 src2=0
	v_dot4_i32_iu8 v3, v20 /*v276*/, v200, v3 neg_lo:[1,1,0]
	s_set_vgpr_msb 0                        ;  msbs: dst=0 src0=0 src1=0 src2=0
	v_mad_i32_i24 v182, v228, v182, v253
	v_dot4_i32_iu8 v2, v248, v5, v2 neg_lo:[1,1,0]
	s_set_vgpr_msb 1                        ;  msbs: dst=0 src0=1 src1=0 src2=0
	v_mad_i32_i24 v3, v32 /*v288*/, v249, v3
	s_set_vgpr_msb 0                        ;  msbs: dst=0 src0=0 src1=0 src2=0
	v_dot4_i32_iu8 v182, v221, v252, v182 neg_lo:[1,1,0]
	v_mul_i32_i24_e32 v252, v206, v231
	s_delay_alu instid0(VALU_DEP_3) | instskip(SKIP_1) | instid1(VALU_DEP_4)
	v_dot4_i32_iu8 v3, v242, v201, v3 neg_lo:[1,1,0]
	v_mul_lo_u32 v2, v2, v247
	v_mul_lo_u32 v182, v182, v230
	s_delay_alu instid0(VALU_DEP_4) | instskip(NEXT) | instid1(VALU_DEP_4)
	v_mad_i32_i24 v252, v207, v232, v252
	v_mad_i32_i24 v3, v250, v215, v3
	s_delay_alu instid0(VALU_DEP_2) | instskip(NEXT) | instid1(VALU_DEP_2)
	v_dot4_i32_iu8 v252, v200, v233, v252 neg_lo:[1,1,0]
	v_dot4_i32_iu8 v3, v202, v244, v3 neg_lo:[1,1,0]
	s_delay_alu instid0(VALU_DEP_2) | instskip(NEXT) | instid1(VALU_DEP_2)
	v_mad_i32_i24 v252, v249, v234, v252
	v_mad_i32_i24 v3, v243, v251, v3
	s_delay_alu instid0(VALU_DEP_2) | instskip(NEXT) | instid1(VALU_DEP_2)
	v_dot4_i32_iu8 v252, v201, v237, v252 neg_lo:[1,1,0]
	v_dot4_i32_iu8 v3, v210, v203, v3 neg_lo:[1,1,0]
	s_delay_alu instid0(VALU_DEP_2) | instskip(NEXT) | instid1(VALU_DEP_2)
	v_mad_i32_i24 v252, v235, v250, v252
	v_mad_u32 v2, v3, v245, v2
	s_delay_alu instid0(VALU_DEP_2) | instskip(NEXT) | instid1(VALU_DEP_1)
	v_dot4_i32_iu8 v252, v222, v202, v252 neg_lo:[1,1,0]
	v_mad_i32_i24 v252, v236, v251, v252
	s_delay_alu instid0(VALU_DEP_3) | instskip(NEXT) | instid1(VALU_DEP_2)
	v_cvt_f32_i32_e32 v2, v2
	v_dot4_i32_iu8 v252, v240, v203, v252 neg_lo:[1,1,0]
	s_delay_alu instid0(VALU_DEP_1) | instskip(SKIP_1) | instid1(VALU_DEP_1)
	v_mad_u32 v182, v252, v238, v182
	v_dual_mul_f32 v252, v219, v1 :: v_dual_mul_f32 v1, v0, v1
	v_dual_mul_f32 v204, v1, v2 :: v_dual_bitop2_b32 v1, s17, v144 bitop3:0x54
	s_delay_alu instid0(VALU_DEP_3) | instskip(NEXT) | instid1(VALU_DEP_2)
	v_cvt_f32_i32_e32 v182, v182
	v_dual_lshlrev_b32 v7, 2, v1 :: v_dual_lshrrev_b32 v1, 1, v1
	ds_load_b32 v1, v1 offset:38816
	ds_load_b128 v[2:5], v7 offset:25344
	ds_load_b128 v[200:203], v7 offset:25360
	v_mul_f32_e32 v182, v252, v182
	s_wait_dscnt 0x2
	v_mul_f32_e32 v0, v0, v1
	s_wait_dscnt 0x1
	v_bfe_i32 v205, v2, 0, 8
	v_bfe_i32 v206, v2, 8, 8
	v_perm_b32 v2, v2, v2, 0xc0c0302
	s_wait_dscnt 0x0
	v_bfe_i32 v251, v200, 0, 8
	v_bfe_i32 v207, v3, 0, 8
	v_mul_i32_i24_e32 v7, v205, v166
	v_bfe_i32 v252, v200, 8, 8
	v_perm_b32 v3, v3, v3, 0xc030201
	v_mul_i32_i24_e32 v115, v251, v174
	v_bfe_i32 v249, v4, 0, 8
	v_mad_i32_i24 v7, v206, v167, v7
	v_perm_b32 v167, v200, v200, 0xc0c0302
	v_bfe_i32 v253, v201, 0, 8
	v_mad_i32_i24 v115, v252, v175, v115
	v_perm_b32 v4, v4, v4, 0xc030201
	v_dot4_i32_iu8 v7, v2, v168, v7 neg_lo:[1,1,0]
	v_perm_b32 v168, v201, v201, 0xc030201
	v_bfe_i32 v250, v5, 0, 8
	v_dot4_i32_iu8 v115, v167, v176, v115 neg_lo:[1,1,0]
	v_bfe_i32 v254, v202, 0, 8
	v_mad_i32_i24 v7, v207, v170, v7
	v_perm_b32 v166, v5, v5, 0xc030201
	v_bfe_i32 v255, v203, 0, 8
	v_mad_i32_i24 v115, v253, v178, v115
	v_perm_b32 v170, v203, v203, 0xc030201
	v_dot4_i32_iu8 v7, v3, v172, v7 neg_lo:[1,1,0]
	s_delay_alu instid0(VALU_DEP_3) | instskip(NEXT) | instid1(VALU_DEP_2)
	v_dot4_i32_iu8 v115, v168, v180, v115 neg_lo:[1,1,0]
	v_mad_i32_i24 v7, v169, v249, v7
	v_perm_b32 v169, v202, v202, 0xc030201
	s_delay_alu instid0(VALU_DEP_3) | instskip(NEXT) | instid1(VALU_DEP_3)
	v_mad_i32_i24 v115, v177, v254, v115
	v_dot4_i32_iu8 v7, v209, v4, v7 neg_lo:[1,1,0]
	s_delay_alu instid0(VALU_DEP_2) | instskip(NEXT) | instid1(VALU_DEP_2)
	v_dot4_i32_iu8 v115, v213, v169, v115 neg_lo:[1,1,0]
	v_mad_i32_i24 v7, v171, v250, v7
	s_delay_alu instid0(VALU_DEP_2) | instskip(NEXT) | instid1(VALU_DEP_2)
	v_mad_i32_i24 v115, v179, v255, v115
	v_dot4_i32_iu8 v7, v211, v166, v7 neg_lo:[1,1,0]
	s_delay_alu instid0(VALU_DEP_2) | instskip(NEXT) | instid1(VALU_DEP_2)
	v_dot4_i32_iu8 v115, v214, v170, v115 neg_lo:[1,1,0]
	v_mul_lo_u32 v7, v7, v173
	s_delay_alu instid0(VALU_DEP_1) | instskip(SKIP_1) | instid1(VALU_DEP_2)
	v_mad_u32 v7, v115, v181, v7
	v_mul_f32_e32 v115, v165, v1
	v_cvt_f32_i32_e32 v7, v7
	s_delay_alu instid0(VALU_DEP_1) | instskip(NEXT) | instid1(VALU_DEP_1)
	v_mul_f32_e32 v7, v115, v7
	v_pk_add_f32 v[18:19], v[18:19], v[6:7]
	v_mul_i32_i24_e32 v6, v205, v184
	v_mul_i32_i24_e32 v7, v251, v192
	s_delay_alu instid0(VALU_DEP_2) | instskip(NEXT) | instid1(VALU_DEP_2)
	v_mad_i32_i24 v6, v206, v185, v6
	v_mad_i32_i24 v7, v252, v193, v7
	s_delay_alu instid0(VALU_DEP_2) | instskip(NEXT) | instid1(VALU_DEP_2)
	v_dot4_i32_iu8 v6, v2, v186, v6 neg_lo:[1,1,0]
	v_dot4_i32_iu8 v7, v167, v194, v7 neg_lo:[1,1,0]
	s_delay_alu instid0(VALU_DEP_2) | instskip(NEXT) | instid1(VALU_DEP_2)
	v_mad_i32_i24 v6, v207, v187, v6
	v_mad_i32_i24 v7, v253, v195, v7
	s_delay_alu instid0(VALU_DEP_2) | instskip(NEXT) | instid1(VALU_DEP_2)
	v_dot4_i32_iu8 v6, v3, v190, v6 neg_lo:[1,1,0]
	v_dot4_i32_iu8 v7, v168, v198, v7 neg_lo:[1,1,0]
	;; [unrolled: 6-line block ×4, first 2 shown]
	s_delay_alu instid0(VALU_DEP_2) | instskip(NEXT) | instid1(VALU_DEP_1)
	v_mul_lo_u32 v6, v6, v191
	v_mad_u32 v6, v7, v199, v6
	v_mul_f32_e32 v7, v183, v1
	s_delay_alu instid0(VALU_DEP_2) | instskip(NEXT) | instid1(VALU_DEP_1)
	v_cvt_f32_i32_e32 v6, v6
	v_mul_f32_e32 v115, v7, v6
	v_mul_i32_i24_e32 v6, v205, v223
	v_mul_i32_i24_e32 v7, v251, v231
	s_delay_alu instid0(VALU_DEP_3) | instskip(NEXT) | instid1(VALU_DEP_3)
	v_pk_add_f32 v[16:17], v[16:17], v[114:115]
	v_mad_i32_i24 v6, v206, v224, v6
	s_delay_alu instid0(VALU_DEP_3) | instskip(NEXT) | instid1(VALU_DEP_2)
	v_mad_i32_i24 v7, v252, v232, v7
	v_dot4_i32_iu8 v6, v2, v225, v6 neg_lo:[1,1,0]
	s_delay_alu instid0(VALU_DEP_2) | instskip(NEXT) | instid1(VALU_DEP_2)
	v_dot4_i32_iu8 v7, v167, v233, v7 neg_lo:[1,1,0]
	v_mad_i32_i24 v6, v207, v226, v6
	s_delay_alu instid0(VALU_DEP_2) | instskip(NEXT) | instid1(VALU_DEP_2)
	v_mad_i32_i24 v7, v253, v234, v7
	v_dot4_i32_iu8 v6, v3, v229, v6 neg_lo:[1,1,0]
	s_delay_alu instid0(VALU_DEP_2) | instskip(NEXT) | instid1(VALU_DEP_2)
	v_dot4_i32_iu8 v7, v168, v237, v7 neg_lo:[1,1,0]
	v_mad_i32_i24 v6, v227, v249, v6
	s_delay_alu instid0(VALU_DEP_2) | instskip(NEXT) | instid1(VALU_DEP_2)
	;; [unrolled: 6-line block ×3, first 2 shown]
	v_mad_i32_i24 v7, v236, v255, v7
	v_dot4_i32_iu8 v6, v221, v166, v6 neg_lo:[1,1,0]
	s_delay_alu instid0(VALU_DEP_2) | instskip(NEXT) | instid1(VALU_DEP_2)
	v_dot4_i32_iu8 v7, v240, v170, v7 neg_lo:[1,1,0]
	v_mul_lo_u32 v6, v6, v230
	s_delay_alu instid0(VALU_DEP_1) | instskip(SKIP_1) | instid1(VALU_DEP_2)
	v_mad_u32 v6, v7, v238, v6
	v_mul_f32_e32 v7, v219, v1
	v_cvt_f32_i32_e32 v6, v6
	s_delay_alu instid0(VALU_DEP_1) | instskip(SKIP_2) | instid1(VALU_DEP_1)
	v_mul_f32_e32 v183, v7, v6
	s_set_vgpr_msb 1                        ;  msbs: dst=0 src0=1 src1=0 src2=0
	v_mul_i32_i24_e32 v6, v42 /*v298*/, v205
	v_mad_i32_i24 v6, v12 /*v268*/, v206, v6
	s_set_vgpr_msb 0                        ;  msbs: dst=0 src0=0 src1=0 src2=0
	s_delay_alu instid0(VALU_DEP_1) | instskip(SKIP_1) | instid1(VALU_DEP_1)
	v_dot4_i32_iu8 v2, v208, v2, v6 neg_lo:[1,1,0]
	s_set_vgpr_msb 1                        ;  msbs: dst=0 src0=1 src1=0 src2=0
	v_mad_i32_i24 v2, v4 /*v260*/, v207, v2
	s_set_vgpr_msb 0                        ;  msbs: dst=0 src0=0 src1=0 src2=0
	s_delay_alu instid0(VALU_DEP_1) | instskip(SKIP_3) | instid1(VALU_DEP_2)
	v_dot4_i32_iu8 v2, v241, v3, v2 neg_lo:[1,1,0]
	s_set_vgpr_msb 1                        ;  msbs: dst=0 src0=1 src1=0 src2=0
	v_mul_i32_i24_e32 v3, v17 /*v273*/, v251
	s_set_vgpr_msb 0                        ;  msbs: dst=0 src0=0 src1=0 src2=0
	v_mad_i32_i24 v2, v249, v239, v2
	s_set_vgpr_msb 1                        ;  msbs: dst=0 src0=1 src1=0 src2=0
	s_delay_alu instid0(VALU_DEP_2) | instskip(SKIP_1) | instid1(VALU_DEP_2)
	v_mad_i32_i24 v3, v13 /*v269*/, v252, v3
	s_set_vgpr_msb 0                        ;  msbs: dst=0 src0=0 src1=0 src2=0
	v_dot4_i32_iu8 v2, v4, v246, v2 neg_lo:[1,1,0]
	s_set_vgpr_msb 1                        ;  msbs: dst=0 src0=1 src1=0 src2=0
	s_delay_alu instid0(VALU_DEP_2) | instskip(SKIP_1) | instid1(VALU_DEP_2)
	v_dot4_i32_iu8 v3, v20 /*v276*/, v167, v3 neg_lo:[1,1,0]
	s_set_vgpr_msb 0                        ;  msbs: dst=0 src0=0 src1=0 src2=0
	v_dot4_i32_iu8 v2, v248, v5, v2 neg_lo:[1,1,0]
	s_set_vgpr_msb 1                        ;  msbs: dst=0 src0=1 src1=0 src2=0
	s_delay_alu instid0(VALU_DEP_2) | instskip(SKIP_1) | instid1(VALU_DEP_2)
	v_mad_i32_i24 v3, v32 /*v288*/, v253, v3
	s_set_vgpr_msb 0                        ;  msbs: dst=0 src0=0 src1=0 src2=0
	v_mul_lo_u32 v2, v2, v247
	s_delay_alu instid0(VALU_DEP_2) | instskip(NEXT) | instid1(VALU_DEP_1)
	v_dot4_i32_iu8 v3, v242, v168, v3 neg_lo:[1,1,0]
	v_mad_i32_i24 v3, v254, v215, v3
	s_delay_alu instid0(VALU_DEP_1) | instskip(NEXT) | instid1(VALU_DEP_1)
	v_dot4_i32_iu8 v3, v169, v244, v3 neg_lo:[1,1,0]
	v_mad_i32_i24 v3, v243, v255, v3
	s_delay_alu instid0(VALU_DEP_1) | instskip(NEXT) | instid1(VALU_DEP_1)
	v_dot4_i32_iu8 v3, v210, v170, v3 neg_lo:[1,1,0]
	v_mad_u32 v2, v3, v245, v2
	s_delay_alu instid0(VALU_DEP_1) | instskip(NEXT) | instid1(VALU_DEP_1)
	v_cvt_f32_i32_e32 v1, v2
	v_mul_f32_e32 v205, v0, v1
	v_pk_add_f32 v[14:15], v[14:15], v[182:183]
	s_delay_alu instid0(VALU_DEP_2)
	v_pk_add_f32 v[12:13], v[12:13], v[204:205]
	s_cbranch_scc1 .LBB130_12
; %bb.13:                               ;   in Loop: Header=BB130_8 Depth=2
	s_cmp_eq_u32 s10, 4
	s_barrier_signal -1
	s_barrier_wait -1
	s_cselect_b32 s11, -1, 0
	s_delay_alu instid0(SALU_CYCLE_1)
	s_and_b32 vcc_lo, exec_lo, s11
	s_cbranch_vccz .LBB130_8
	s_branch .LBB130_5
.LBB130_14:
	v_dual_mov_b32 v1, v9 :: v_dual_mov_b32 v2, v11
.LBB130_15:
	s_wait_xcnt 0x0
	s_mov_b32 s0, exec_lo
	v_cmpx_gt_u32_e64 s6, v53
	s_cbranch_execz .LBB130_66
; %bb.16:
	v_mul_lo_u32 v5, v53, s12
	v_add_nc_u32_e32 v0, s14, v2
	s_delay_alu instid0(VALU_DEP_1)
	v_cmp_gt_u32_e32 vcc_lo, s12, v0
	s_and_saveexec_b32 s0, vcc_lo
	s_cbranch_execz .LBB130_18
; %bb.17:
	s_delay_alu instid0(VALU_DEP_3)
	v_add_nc_u32_e32 v2, v0, v5
	s_wait_kmcnt 0x0
	global_store_b32 v2, v46, s[8:9] scale_offset
.LBB130_18:
	s_wait_xcnt 0x0
	s_or_b32 exec_lo, exec_lo, s0
	v_add_nc_u32_e32 v2, 32, v0
	s_delay_alu instid0(VALU_DEP_1)
	v_cmp_gt_u32_e64 s0, s12, v2
	s_and_saveexec_b32 s1, s0
	s_cbranch_execz .LBB130_20
; %bb.19:
	v_add_nc_u32_e32 v3, v2, v5
	s_wait_kmcnt 0x0
	global_store_b32 v3, v44, s[8:9] scale_offset
.LBB130_20:
	s_wait_xcnt 0x0
	s_or_b32 exec_lo, exec_lo, s1
	v_add_nc_u32_e32 v3, 64, v0
	s_delay_alu instid0(VALU_DEP_1)
	v_cmp_gt_u32_e64 s1, s12, v3
	s_and_saveexec_b32 s2, s1
	s_cbranch_execz .LBB130_22
; %bb.21:
	v_add_nc_u32_e32 v4, v3, v5
	s_wait_kmcnt 0x0
	global_store_b32 v4, v42, s[8:9] scale_offset
.LBB130_22:
	;; [unrolled: 12-line block ×3, first 2 shown]
	s_wait_xcnt 0x0
	s_or_b32 exec_lo, exec_lo, s3
	v_add3_u32 v5, v1, s13, 8
	s_delay_alu instid0(VALU_DEP_1)
	v_cmp_gt_u32_e64 s3, s6, v5
	s_and_b32 exec_lo, exec_lo, s3
	s_cbranch_execz .LBB130_66
; %bb.25:
	v_mul_lo_u32 v5, v5, s12
	s_and_saveexec_b32 s3, vcc_lo
	s_cbranch_execnz .LBB130_67
; %bb.26:
	s_or_b32 exec_lo, exec_lo, s3
	s_and_saveexec_b32 s3, s0
	s_cbranch_execnz .LBB130_68
.LBB130_27:
	s_or_b32 exec_lo, exec_lo, s3
	s_and_saveexec_b32 s3, s1
	s_cbranch_execnz .LBB130_69
.LBB130_28:
	s_or_b32 exec_lo, exec_lo, s3
	s_and_saveexec_b32 s3, s2
	s_cbranch_execz .LBB130_30
.LBB130_29:
	v_add_nc_u32_e32 v5, v5, v4
	s_wait_kmcnt 0x0
	global_store_b32 v5, v40, s[8:9] scale_offset
.LBB130_30:
	s_wait_xcnt 0x0
	s_or_b32 exec_lo, exec_lo, s3
	v_add3_u32 v5, v1, s13, 16
	s_delay_alu instid0(VALU_DEP_1)
	v_cmp_gt_u32_e64 s3, s6, v5
	s_and_b32 exec_lo, exec_lo, s3
	s_cbranch_execz .LBB130_66
; %bb.31:
	v_mul_lo_u32 v5, v5, s12
	s_and_saveexec_b32 s3, vcc_lo
	s_cbranch_execnz .LBB130_70
; %bb.32:
	s_or_b32 exec_lo, exec_lo, s3
	s_and_saveexec_b32 s3, s0
	s_cbranch_execnz .LBB130_71
.LBB130_33:
	s_or_b32 exec_lo, exec_lo, s3
	s_and_saveexec_b32 s3, s1
	s_cbranch_execnz .LBB130_72
.LBB130_34:
	s_or_b32 exec_lo, exec_lo, s3
	s_and_saveexec_b32 s3, s2
	s_cbranch_execz .LBB130_36
.LBB130_35:
	v_add_nc_u32_e32 v5, v5, v4
	s_wait_kmcnt 0x0
	global_store_b32 v5, v32, s[8:9] scale_offset
.LBB130_36:
	s_wait_xcnt 0x0
	s_or_b32 exec_lo, exec_lo, s3
	v_add3_u32 v5, v1, s13, 24
	s_delay_alu instid0(VALU_DEP_1)
	v_cmp_gt_u32_e64 s3, s6, v5
	s_and_b32 exec_lo, exec_lo, s3
	s_cbranch_execz .LBB130_66
; %bb.37:
	v_mul_lo_u32 v5, v5, s12
	s_and_saveexec_b32 s3, vcc_lo
	s_cbranch_execnz .LBB130_73
; %bb.38:
	s_or_b32 exec_lo, exec_lo, s3
	s_and_saveexec_b32 s3, s0
	s_cbranch_execnz .LBB130_74
.LBB130_39:
	s_or_b32 exec_lo, exec_lo, s3
	s_and_saveexec_b32 s3, s1
	s_cbranch_execnz .LBB130_75
.LBB130_40:
	s_or_b32 exec_lo, exec_lo, s3
	s_and_saveexec_b32 s3, s2
	s_cbranch_execz .LBB130_42
.LBB130_41:
	v_add_nc_u32_e32 v5, v5, v4
	s_wait_kmcnt 0x0
	global_store_b32 v5, v33, s[8:9] scale_offset
.LBB130_42:
	s_wait_xcnt 0x0
	s_or_b32 exec_lo, exec_lo, s3
	v_add3_u32 v5, v1, s13, 32
	s_delay_alu instid0(VALU_DEP_1)
	v_cmp_gt_u32_e64 s3, s6, v5
	s_and_b32 exec_lo, exec_lo, s3
	s_cbranch_execz .LBB130_66
; %bb.43:
	v_mul_lo_u32 v5, v5, s12
	s_and_saveexec_b32 s3, vcc_lo
	s_cbranch_execnz .LBB130_76
; %bb.44:
	s_or_b32 exec_lo, exec_lo, s3
	s_and_saveexec_b32 s3, s0
	s_cbranch_execnz .LBB130_77
.LBB130_45:
	s_or_b32 exec_lo, exec_lo, s3
	s_and_saveexec_b32 s3, s1
	s_cbranch_execnz .LBB130_78
.LBB130_46:
	s_or_b32 exec_lo, exec_lo, s3
	s_and_saveexec_b32 s3, s2
	s_cbranch_execz .LBB130_48
.LBB130_47:
	v_add_nc_u32_e32 v5, v5, v4
	s_wait_kmcnt 0x0
	global_store_b32 v5, v20, s[8:9] scale_offset
.LBB130_48:
	s_wait_xcnt 0x0
	s_or_b32 exec_lo, exec_lo, s3
	v_add3_u32 v5, v1, s13, 40
	s_delay_alu instid0(VALU_DEP_1)
	v_cmp_gt_u32_e64 s3, s6, v5
	s_and_b32 exec_lo, exec_lo, s3
	s_cbranch_execz .LBB130_66
; %bb.49:
	v_mul_lo_u32 v5, v5, s12
	s_and_saveexec_b32 s3, vcc_lo
	s_cbranch_execnz .LBB130_79
; %bb.50:
	s_or_b32 exec_lo, exec_lo, s3
	s_and_saveexec_b32 s3, s0
	s_cbranch_execnz .LBB130_80
.LBB130_51:
	s_or_b32 exec_lo, exec_lo, s3
	s_and_saveexec_b32 s3, s1
	s_cbranch_execnz .LBB130_81
.LBB130_52:
	s_or_b32 exec_lo, exec_lo, s3
	s_and_saveexec_b32 s3, s2
	s_cbranch_execz .LBB130_54
.LBB130_53:
	v_add_nc_u32_e32 v5, v5, v4
	s_wait_kmcnt 0x0
	global_store_b32 v5, v21, s[8:9] scale_offset
.LBB130_54:
	s_wait_xcnt 0x0
	s_or_b32 exec_lo, exec_lo, s3
	v_add3_u32 v5, v1, s13, 48
	s_delay_alu instid0(VALU_DEP_1)
	v_cmp_gt_u32_e64 s3, s6, v5
	s_and_b32 exec_lo, exec_lo, s3
	s_cbranch_execz .LBB130_66
; %bb.55:
	v_mul_lo_u32 v5, v5, s12
	s_and_saveexec_b32 s3, vcc_lo
	s_cbranch_execnz .LBB130_82
; %bb.56:
	s_or_b32 exec_lo, exec_lo, s3
	s_and_saveexec_b32 s3, s0
	s_cbranch_execnz .LBB130_83
.LBB130_57:
	s_or_b32 exec_lo, exec_lo, s3
	s_and_saveexec_b32 s3, s1
	s_cbranch_execnz .LBB130_84
.LBB130_58:
	s_or_b32 exec_lo, exec_lo, s3
	s_and_saveexec_b32 s3, s2
	s_cbranch_execz .LBB130_60
.LBB130_59:
	v_add_nc_u32_e32 v5, v5, v4
	s_wait_kmcnt 0x0
	global_store_b32 v5, v12, s[8:9] scale_offset
.LBB130_60:
	s_wait_xcnt 0x0
	s_or_b32 exec_lo, exec_lo, s3
	v_add3_u32 v1, v1, s13, 56
	s_delay_alu instid0(VALU_DEP_1)
	v_cmp_gt_u32_e64 s3, s6, v1
	s_and_b32 exec_lo, exec_lo, s3
	s_cbranch_execz .LBB130_66
; %bb.61:
	v_mul_lo_u32 v1, v1, s12
	s_and_saveexec_b32 s3, vcc_lo
	s_cbranch_execnz .LBB130_85
; %bb.62:
	s_or_b32 exec_lo, exec_lo, s3
	s_and_saveexec_b32 s3, s0
	s_cbranch_execnz .LBB130_86
.LBB130_63:
	s_or_b32 exec_lo, exec_lo, s3
	s_and_saveexec_b32 s0, s1
	s_cbranch_execnz .LBB130_87
.LBB130_64:
	s_or_b32 exec_lo, exec_lo, s0
	s_delay_alu instid0(SALU_CYCLE_1)
	s_and_b32 exec_lo, exec_lo, s2
	s_cbranch_execz .LBB130_66
.LBB130_65:
	v_add_nc_u32_e32 v0, v1, v4
	s_wait_kmcnt 0x0
	global_store_b32 v0, v13, s[8:9] scale_offset
.LBB130_66:
	s_sendmsg sendmsg(MSG_DEALLOC_VGPRS)
	s_endpgm
.LBB130_67:
	s_delay_alu instid0(VALU_DEP_1)
	v_add_nc_u32_e32 v6, v5, v0
	s_wait_kmcnt 0x0
	global_store_b32 v6, v47, s[8:9] scale_offset
	s_wait_xcnt 0x0
	s_or_b32 exec_lo, exec_lo, s3
	s_and_saveexec_b32 s3, s0
	s_cbranch_execz .LBB130_27
.LBB130_68:
	s_delay_alu instid0(VALU_DEP_1)
	v_add_nc_u32_e32 v6, v5, v2
	s_wait_kmcnt 0x0
	global_store_b32 v6, v45, s[8:9] scale_offset
	s_wait_xcnt 0x0
	s_or_b32 exec_lo, exec_lo, s3
	s_and_saveexec_b32 s3, s1
	s_cbranch_execz .LBB130_28
.LBB130_69:
	s_delay_alu instid0(VALU_DEP_1)
	v_add_nc_u32_e32 v6, v5, v3
	s_wait_kmcnt 0x0
	global_store_b32 v6, v43, s[8:9] scale_offset
	s_wait_xcnt 0x0
	s_or_b32 exec_lo, exec_lo, s3
	s_and_saveexec_b32 s3, s2
	s_cbranch_execnz .LBB130_29
	s_branch .LBB130_30
.LBB130_70:
	s_delay_alu instid0(VALU_DEP_1)
	v_add_nc_u32_e32 v6, v5, v0
	s_wait_kmcnt 0x0
	global_store_b32 v6, v38, s[8:9] scale_offset
	s_wait_xcnt 0x0
	s_or_b32 exec_lo, exec_lo, s3
	s_and_saveexec_b32 s3, s0
	s_cbranch_execz .LBB130_33
.LBB130_71:
	s_delay_alu instid0(VALU_DEP_1)
	v_add_nc_u32_e32 v6, v5, v2
	s_wait_kmcnt 0x0
	global_store_b32 v6, v36, s[8:9] scale_offset
	s_wait_xcnt 0x0
	s_or_b32 exec_lo, exec_lo, s3
	s_and_saveexec_b32 s3, s1
	s_cbranch_execz .LBB130_34
.LBB130_72:
	s_delay_alu instid0(VALU_DEP_1)
	v_add_nc_u32_e32 v6, v5, v3
	s_wait_kmcnt 0x0
	global_store_b32 v6, v34, s[8:9] scale_offset
	s_wait_xcnt 0x0
	s_or_b32 exec_lo, exec_lo, s3
	s_and_saveexec_b32 s3, s2
	s_cbranch_execnz .LBB130_35
	s_branch .LBB130_36
.LBB130_73:
	s_delay_alu instid0(VALU_DEP_1)
	v_add_nc_u32_e32 v6, v5, v0
	s_wait_kmcnt 0x0
	global_store_b32 v6, v39, s[8:9] scale_offset
	s_wait_xcnt 0x0
	s_or_b32 exec_lo, exec_lo, s3
	s_and_saveexec_b32 s3, s0
	s_cbranch_execz .LBB130_39
.LBB130_74:
	s_delay_alu instid0(VALU_DEP_1)
	v_add_nc_u32_e32 v6, v5, v2
	s_wait_kmcnt 0x0
	global_store_b32 v6, v37, s[8:9] scale_offset
	s_wait_xcnt 0x0
	s_or_b32 exec_lo, exec_lo, s3
	s_and_saveexec_b32 s3, s1
	s_cbranch_execz .LBB130_40
.LBB130_75:
	s_delay_alu instid0(VALU_DEP_1)
	v_add_nc_u32_e32 v6, v5, v3
	s_wait_kmcnt 0x0
	global_store_b32 v6, v35, s[8:9] scale_offset
	s_wait_xcnt 0x0
	s_or_b32 exec_lo, exec_lo, s3
	s_and_saveexec_b32 s3, s2
	s_cbranch_execnz .LBB130_41
	s_branch .LBB130_42
.LBB130_76:
	s_delay_alu instid0(VALU_DEP_1)
	v_add_nc_u32_e32 v6, v5, v0
	s_wait_kmcnt 0x0
	global_store_b32 v6, v28, s[8:9] scale_offset
	s_wait_xcnt 0x0
	s_or_b32 exec_lo, exec_lo, s3
	s_and_saveexec_b32 s3, s0
	s_cbranch_execz .LBB130_45
.LBB130_77:
	s_delay_alu instid0(VALU_DEP_1)
	v_add_nc_u32_e32 v6, v5, v2
	s_wait_kmcnt 0x0
	global_store_b32 v6, v26, s[8:9] scale_offset
	s_wait_xcnt 0x0
	s_or_b32 exec_lo, exec_lo, s3
	s_and_saveexec_b32 s3, s1
	s_cbranch_execz .LBB130_46
.LBB130_78:
	s_delay_alu instid0(VALU_DEP_1)
	v_add_nc_u32_e32 v6, v5, v3
	s_wait_kmcnt 0x0
	global_store_b32 v6, v24, s[8:9] scale_offset
	s_wait_xcnt 0x0
	s_or_b32 exec_lo, exec_lo, s3
	s_and_saveexec_b32 s3, s2
	s_cbranch_execnz .LBB130_47
	s_branch .LBB130_48
.LBB130_79:
	s_delay_alu instid0(VALU_DEP_1)
	v_add_nc_u32_e32 v6, v5, v0
	s_wait_kmcnt 0x0
	global_store_b32 v6, v29, s[8:9] scale_offset
	s_wait_xcnt 0x0
	s_or_b32 exec_lo, exec_lo, s3
	s_and_saveexec_b32 s3, s0
	s_cbranch_execz .LBB130_51
.LBB130_80:
	s_delay_alu instid0(VALU_DEP_1)
	v_add_nc_u32_e32 v6, v5, v2
	s_wait_kmcnt 0x0
	global_store_b32 v6, v27, s[8:9] scale_offset
	s_wait_xcnt 0x0
	s_or_b32 exec_lo, exec_lo, s3
	s_and_saveexec_b32 s3, s1
	s_cbranch_execz .LBB130_52
.LBB130_81:
	s_delay_alu instid0(VALU_DEP_1)
	v_add_nc_u32_e32 v6, v5, v3
	s_wait_kmcnt 0x0
	global_store_b32 v6, v25, s[8:9] scale_offset
	s_wait_xcnt 0x0
	s_or_b32 exec_lo, exec_lo, s3
	s_and_saveexec_b32 s3, s2
	s_cbranch_execnz .LBB130_53
	s_branch .LBB130_54
.LBB130_82:
	s_delay_alu instid0(VALU_DEP_1)
	v_add_nc_u32_e32 v6, v5, v0
	s_wait_kmcnt 0x0
	global_store_b32 v6, v18, s[8:9] scale_offset
	s_wait_xcnt 0x0
	s_or_b32 exec_lo, exec_lo, s3
	s_and_saveexec_b32 s3, s0
	s_cbranch_execz .LBB130_57
.LBB130_83:
	s_delay_alu instid0(VALU_DEP_1)
	v_add_nc_u32_e32 v6, v5, v2
	s_wait_kmcnt 0x0
	global_store_b32 v6, v16, s[8:9] scale_offset
	s_wait_xcnt 0x0
	s_or_b32 exec_lo, exec_lo, s3
	s_and_saveexec_b32 s3, s1
	s_cbranch_execz .LBB130_58
.LBB130_84:
	s_delay_alu instid0(VALU_DEP_1)
	v_add_nc_u32_e32 v6, v5, v3
	s_wait_kmcnt 0x0
	global_store_b32 v6, v14, s[8:9] scale_offset
	s_wait_xcnt 0x0
	s_or_b32 exec_lo, exec_lo, s3
	s_and_saveexec_b32 s3, s2
	s_cbranch_execnz .LBB130_59
	s_branch .LBB130_60
.LBB130_85:
	s_delay_alu instid0(VALU_DEP_1)
	v_add_nc_u32_e32 v0, v1, v0
	s_wait_kmcnt 0x0
	global_store_b32 v0, v19, s[8:9] scale_offset
	s_wait_xcnt 0x0
	s_or_b32 exec_lo, exec_lo, s3
	s_and_saveexec_b32 s3, s0
	s_cbranch_execz .LBB130_63
.LBB130_86:
	s_delay_alu instid0(VALU_DEP_1)
	v_add_nc_u32_e32 v0, v1, v2
	s_wait_kmcnt 0x0
	global_store_b32 v0, v17, s[8:9] scale_offset
	s_wait_xcnt 0x0
	s_or_b32 exec_lo, exec_lo, s3
	s_and_saveexec_b32 s0, s1
	s_cbranch_execz .LBB130_64
.LBB130_87:
	s_delay_alu instid0(VALU_DEP_1) | instskip(SKIP_4) | instid1(SALU_CYCLE_1)
	v_add_nc_u32_e32 v0, v1, v3
	s_wait_kmcnt 0x0
	global_store_b32 v0, v15, s[8:9] scale_offset
	s_wait_xcnt 0x0
	s_or_b32 exec_lo, exec_lo, s0
	s_and_b32 exec_lo, exec_lo, s2
	s_cbranch_execnz .LBB130_65
	s_branch .LBB130_66
	.section	.rodata,"a",@progbits
	.p2align	6, 0x0
	.amdhsa_kernel _ZL12mul_mat_q3_KIfLb1EEvPKvS1_PT_iiiii
		.amdhsa_group_segment_fixed_size 39840
		.amdhsa_private_segment_fixed_size 0
		.amdhsa_kernarg_size 44
		.amdhsa_user_sgpr_count 2
		.amdhsa_user_sgpr_dispatch_ptr 0
		.amdhsa_user_sgpr_queue_ptr 0
		.amdhsa_user_sgpr_kernarg_segment_ptr 1
		.amdhsa_user_sgpr_dispatch_id 0
		.amdhsa_user_sgpr_kernarg_preload_length 0
		.amdhsa_user_sgpr_kernarg_preload_offset 0
		.amdhsa_user_sgpr_private_segment_size 0
		.amdhsa_wavefront_size32 1
		.amdhsa_uses_dynamic_stack 0
		.amdhsa_enable_private_segment 0
		.amdhsa_system_sgpr_workgroup_id_x 1
		.amdhsa_system_sgpr_workgroup_id_y 1
		.amdhsa_system_sgpr_workgroup_id_z 0
		.amdhsa_system_sgpr_workgroup_info 0
		.amdhsa_system_vgpr_workitem_id 1
		.amdhsa_next_free_vgpr 307
		.amdhsa_next_free_sgpr 24
		.amdhsa_named_barrier_count 0
		.amdhsa_reserve_vcc 1
		.amdhsa_float_round_mode_32 0
		.amdhsa_float_round_mode_16_64 0
		.amdhsa_float_denorm_mode_32 3
		.amdhsa_float_denorm_mode_16_64 3
		.amdhsa_fp16_overflow 0
		.amdhsa_memory_ordered 1
		.amdhsa_forward_progress 1
		.amdhsa_inst_pref_size 255
		.amdhsa_round_robin_scheduling 0
		.amdhsa_exception_fp_ieee_invalid_op 0
		.amdhsa_exception_fp_denorm_src 0
		.amdhsa_exception_fp_ieee_div_zero 0
		.amdhsa_exception_fp_ieee_overflow 0
		.amdhsa_exception_fp_ieee_underflow 0
		.amdhsa_exception_fp_ieee_inexact 0
		.amdhsa_exception_int_div_zero 0
	.end_amdhsa_kernel
	.section	.text._ZL12mul_mat_q3_KIfLb1EEvPKvS1_PT_iiiii,"axG",@progbits,_ZL12mul_mat_q3_KIfLb1EEvPKvS1_PT_iiiii,comdat
.Lfunc_end130:
	.size	_ZL12mul_mat_q3_KIfLb1EEvPKvS1_PT_iiiii, .Lfunc_end130-_ZL12mul_mat_q3_KIfLb1EEvPKvS1_PT_iiiii
                                        ; -- End function
	.set _ZL12mul_mat_q3_KIfLb1EEvPKvS1_PT_iiiii.num_vgpr, 307
	.set _ZL12mul_mat_q3_KIfLb1EEvPKvS1_PT_iiiii.num_agpr, 0
	.set _ZL12mul_mat_q3_KIfLb1EEvPKvS1_PT_iiiii.numbered_sgpr, 24
	.set _ZL12mul_mat_q3_KIfLb1EEvPKvS1_PT_iiiii.num_named_barrier, 0
	.set _ZL12mul_mat_q3_KIfLb1EEvPKvS1_PT_iiiii.private_seg_size, 0
	.set _ZL12mul_mat_q3_KIfLb1EEvPKvS1_PT_iiiii.uses_vcc, 1
	.set _ZL12mul_mat_q3_KIfLb1EEvPKvS1_PT_iiiii.uses_flat_scratch, 0
	.set _ZL12mul_mat_q3_KIfLb1EEvPKvS1_PT_iiiii.has_dyn_sized_stack, 0
	.set _ZL12mul_mat_q3_KIfLb1EEvPKvS1_PT_iiiii.has_recursion, 0
	.set _ZL12mul_mat_q3_KIfLb1EEvPKvS1_PT_iiiii.has_indirect_call, 0
	.section	.AMDGPU.csdata,"",@progbits
; Kernel info:
; codeLenInByte = 42148
; TotalNumSgprs: 26
; NumVgprs: 307
; ScratchSize: 0
; MemoryBound: 0
; FloatMode: 240
; IeeeMode: 1
; LDSByteSize: 39840 bytes/workgroup (compile time only)
; SGPRBlocks: 0
; VGPRBlocks: 19
; NumSGPRsForWavesPerEU: 26
; NumVGPRsForWavesPerEU: 307
; NamedBarCnt: 0
; Occupancy: 3
; WaveLimiterHint : 0
; COMPUTE_PGM_RSRC2:SCRATCH_EN: 0
; COMPUTE_PGM_RSRC2:USER_SGPR: 2
; COMPUTE_PGM_RSRC2:TRAP_HANDLER: 0
; COMPUTE_PGM_RSRC2:TGID_X_EN: 1
; COMPUTE_PGM_RSRC2:TGID_Y_EN: 1
; COMPUTE_PGM_RSRC2:TGID_Z_EN: 0
; COMPUTE_PGM_RSRC2:TIDIG_COMP_CNT: 1
	.section	.text._ZL12mul_mat_q4_KIfLb0EEvPKvS1_PT_iiiii,"axG",@progbits,_ZL12mul_mat_q4_KIfLb0EEvPKvS1_PT_iiiii,comdat
	.globl	_ZL12mul_mat_q4_KIfLb0EEvPKvS1_PT_iiiii ; -- Begin function _ZL12mul_mat_q4_KIfLb0EEvPKvS1_PT_iiiii
	.p2align	8
	.type	_ZL12mul_mat_q4_KIfLb0EEvPKvS1_PT_iiiii,@function
_ZL12mul_mat_q4_KIfLb0EEvPKvS1_PT_iiiii: ; @_ZL12mul_mat_q4_KIfLb0EEvPKvS1_PT_iiiii
; %bb.0:
	s_clause 0x1
	s_load_b32 s10, s[0:1], 0x18
	s_load_b96 s[4:6], s[0:1], 0x20
	s_bfe_u32 s2, ttmp6, 0x4000c
	s_bfe_u32 s7, ttmp6, 0x40010
	s_add_co_i32 s2, s2, 1
	s_and_b32 s3, ttmp6, 15
	s_mul_i32 s2, ttmp9, s2
	s_add_co_i32 s7, s7, 1
	s_add_co_i32 s3, s3, s2
	s_mul_i32 s2, ttmp7, s7
	s_bfe_u32 s7, ttmp6, 0x40004
	s_getreg_b32 s8, hwreg(HW_REG_IB_STS2, 6, 4)
	s_add_co_i32 s7, s7, s2
	s_cmp_eq_u32 s8, 0
	v_bfe_u32 v37, v0, 10, 10
	s_cselect_b32 s7, ttmp7, s7
	v_and_b32_e32 v36, 0x3ff, v0
	s_cselect_b32 s2, ttmp9, s3
	s_lshl_b32 s7, s7, 6
	s_mov_b32 s3, 0
	s_wait_kmcnt 0x0
	s_cmp_gt_i32 s10, 0xff
	s_cbranch_scc1 .LBB131_2
; %bb.1:
	v_bfe_u32 v1, v0, 10, 10
	v_and_b32_e32 v2, 0x3ff, v0
	s_delay_alu instid0(VALU_DEP_2)
	v_add_nc_u32_e32 v3, s7, v1
	s_branch .LBB131_3
.LBB131_2:
	s_mov_b32 s3, -1
                                        ; implicit-def: $vgpr1
                                        ; implicit-def: $vgpr2
                                        ; implicit-def: $vgpr3
.LBB131_3:
	s_load_b64 s[8:9], s[0:1], 0x10
	v_dual_mov_b32 v17, 0 :: v_dual_mov_b32 v16, 0
	v_dual_mov_b32 v25, 0 :: v_dual_mov_b32 v24, 0
	;; [unrolled: 1-line block ×16, first 2 shown]
	s_and_not1_b32 vcc_lo, exec_lo, s3
	s_lshl_b32 s14, s2, 7
	s_cbranch_vccnz .LBB131_11
; %bb.4:
	v_add_nc_u32_e32 v16, s7, v37
	s_add_co_i32 s17, s4, -1
	v_dual_lshlrev_b32 v59, 5, v37 :: v_dual_add_nc_u32 v24, 40, v37
	v_cvt_f64_i32_e32 v[2:3], s17
	s_delay_alu instid0(VALU_DEP_3)
	v_dual_add_nc_u32 v1, 8, v16 :: v_dual_add_nc_u32 v8, 16, v16
	v_add_nc_u32_e32 v14, 40, v16
	v_cvt_f64_u32_e32 v[4:5], v16
	scratch_store_b32 off, v16, off offset:128 ; 4-byte Folded Spill
	v_cvt_f64_u32_e32 v[6:7], v1
	v_dual_add_nc_u32 v1, 24, v16 :: v_dual_add_nc_u32 v12, 32, v16
	v_cvt_f64_u32_e32 v[8:9], v8
	v_dual_mov_b32 v41, 0 :: v_dual_add_nc_u32 v18, 56, v16
	s_delay_alu instid0(VALU_DEP_3)
	v_cvt_f64_u32_e32 v[10:11], v1
	v_add_nc_u32_e32 v1, 48, v16
	v_cvt_f64_u32_e32 v[14:15], v14
	v_cvt_f64_u32_e32 v[12:13], v12
	;; [unrolled: 1-line block ×3, first 2 shown]
	v_add_nc_u32_e32 v26, v59, v36
	s_wait_xcnt 0x0
	v_cvt_f64_u32_e32 v[16:17], v1
	v_lshlrev_b32_e32 v1, 2, v36
	v_bfe_u32 v31, v0, 2, 8
	s_ashr_i32 s2, s10, 31
	v_dual_add_nc_u32 v20, 8, v37 :: v_dual_add_nc_u32 v21, 16, v37
	s_lshr_b32 s11, s2, 24
	v_bfe_u32 v34, v0, 5, 5
	s_add_co_i32 s10, s10, s11
	s_ashr_i32 s11, s5, 31
	s_ashr_i32 s15, s10, 8
	s_lshr_b32 s10, s11, 27
	v_dual_add_nc_u32 v22, 24, v37 :: v_dual_add_nc_u32 v23, 32, v37
	s_add_co_i32 s5, s5, s10
	v_add_nc_u32_e32 v25, 48, v37
	s_ashr_i32 s18, s5, 5
	s_lshl_b32 s5, s15, 3
	v_min_num_f64_e32 v[4:5], v[4:5], v[2:3]
	s_load_b128 s[0:3], s[0:1], 0x0
	v_dual_min_num_f64 v[6:7], v[6:7], v[2:3] :: v_dual_add_nc_u32 v27, 56, v37
	s_mul_i32 s10, s15, s14
	v_min_num_f64_e32 v[8:9], v[8:9], v[2:3]
	v_dual_lshrrev_b32 v29, 3, v26 :: v_dual_bitop2_b32 v28, 3, v0 bitop3:0x40
	v_min_num_f64_e32 v[10:11], v[10:11], v[2:3]
	v_and_b32_e32 v26, 0x7f, v26
	v_min_num_f64_e32 v[14:15], v[14:15], v[2:3]
	v_min_num_f64_e32 v[12:13], v[12:13], v[2:3]
	v_cmp_gt_u32_e32 vcc_lo, 2, v28
	v_add_nc_u32_e32 v30, 0xfe, v28
	v_dual_min_num_f64 v[16:17], v[16:17], v[2:3] :: v_dual_bitop2_b32 v32, 4, v1 bitop3:0x40
	v_min_num_f64_e32 v[2:3], v[18:19], v[2:3]
	v_dual_lshlrev_b32 v18, 2, v26 :: v_dual_bitop2_b32 v29, 12, v29 bitop3:0x40
	s_delay_alu instid0(VALU_DEP_4)
	v_and_b32_e32 v19, 0xff, v30
	v_lshlrev_b32_e32 v30, 3, v37
	s_ashr_i32 s11, s10, 31
	s_movk_i32 s16, 0x3180
	v_add3_u32 v18, v18, v29, 0x6e40
	v_cndmask_b32_e32 v19, v19, v28, vcc_lo
	v_add_nc_u32_e32 v29, v31, v30
	v_add_nc_u16 v30, v31, v30
	v_cmp_ne_u32_e32 vcc_lo, 0, v28
	s_mul_u64 s[12:13], s[10:11], 0x90
	s_movk_i32 s10, 0x1080
	v_and_b32_e32 v31, 0x7f, v29
	s_movk_i32 s11, 0x2100
	v_cvt_i32_f64_e32 v33, v[4:5]
	v_lshlrev_b32_e32 v4, 2, v28
	v_lshrrev_b16 v5, 1, v30
	v_cvt_i32_f64_e32 v6, v[6:7]
	v_mad_i32_i24 v30, s15, v37, s5
	v_cvt_i32_f64_e32 v7, v[8:9]
	v_dual_lshlrev_b32 v138, 5, v20 :: v_dual_lshlrev_b32 v139, 5, v21
	v_cvt_i32_f64_e32 v9, v[10:11]
	v_and_b32_e32 v5, 60, v5
	v_cvt_i32_f64_e32 v11, v[14:15]
	v_cvt_i32_f64_e32 v10, v[12:13]
	v_lshl_or_b32 v12, v31, 4, v4
	v_dual_lshlrev_b32 v140, 5, v22 :: v_dual_lshlrev_b32 v141, 5, v23
	v_cvt_i32_f64_e32 v14, v[16:17]
	v_cvt_i32_f64_e32 v3, v[2:3]
	s_delay_alu instid0(VALU_DEP_4)
	v_add3_u32 v5, v12, v5, 0x6200
	s_clause 0x1
	scratch_store_b32 off, v18, off offset:8
	scratch_store_b32 off, v36, off offset:124
	s_wait_xcnt 0x1
	v_add_co_ci_u32_e64 v18, null, 0, v19, vcc_lo
	v_cmp_lt_u32_e32 vcc_lo, 1, v28
	v_lshlrev_b32_e32 v65, 1, v19
	scratch_store_b32 off, v5, off offset:12 ; 4-byte Folded Spill
	v_and_b32_e32 v12, 31, v0
	v_dual_lshlrev_b32 v142, 5, v24 :: v_dual_lshlrev_b32 v143, 5, v25
	v_cndmask_b32_e32 v63, 0, v32, vcc_lo
	v_bitop3_b32 v8, v29, 64, 0x7f bitop3:0x6c
	v_and_b32_e32 v15, 63, v29
	v_cndmask_b32_e64 v2, 0, 1, vcc_lo
	v_mul_lo_u32 v81, s18, v33
	v_mov_b64_e32 v[50:51], 0
	v_lshrrev_b32_e32 v13, 1, v8
	v_lshl_or_b32 v16, v8, 4, v4
	v_or_b32_e32 v17, s7, v15
	v_lshl_or_b32 v15, v15, 4, v4
	v_mul_lo_u32 v83, s18, v6
	v_dual_lshlrev_b32 v6, 7, v20 :: v_dual_bitop2_b32 v13, 60, v13 bitop3:0x40
	v_and_b32_e32 v4, 28, v1
	s_delay_alu instid0(VALU_DEP_4)
	v_add_nc_u32_e32 v79, 0x6a40, v15
	v_add_nc_u32_e32 v15, 32, v36
	s_wait_xcnt 0x0
	v_add3_u32 v5, v16, v13, 0x6200
	v_dual_add_nc_u32 v16, 64, v36 :: v_dual_min_i32 v13, s17, v17
	v_mul_lo_u32 v93, s18, v14
	v_lshlrev_b32_e32 v14, 7, v25
	v_mul_lo_u32 v121, s18, v3
	s_delay_alu instid0(VALU_DEP_4)
	v_mad_u32 v13, v13, s18, v28
	v_dual_mov_b32 v28, v30 :: v_dual_add_nc_u32 v30, s5, v30
	v_add_nc_u32_e32 v17, 0x60, v36
	v_dual_lshrrev_b32 v123, 3, v15 :: v_dual_lshrrev_b32 v3, 3, v16
	scratch_store_b64 off, v[28:29], off offset:24 ; 8-byte Folded Spill
	s_wait_xcnt 0x0
	v_dual_mov_b32 v28, v30 :: v_dual_lshlrev_b32 v19, 7, v27
	v_dual_add_nc_u32 v38, s5, v30 :: v_dual_lshrrev_b32 v32, 3, v17
	v_mul_lo_u32 v85, s18, v7
	scratch_store_b64 off, v[28:29], off offset:32 ; 8-byte Folded Spill
	s_wait_xcnt 0x0
	v_mov_b32_e32 v28, v34
	scratch_store_b32 off, v5, off offset:16 ; 4-byte Folded Spill
	v_lshlrev_b32_e32 v7, 7, v21
	v_lshl_or_b32 v12, v12, 2, 0x4200
	v_mul_lo_u32 v87, s18, v9
	scratch_store_b64 off, v[28:29], off    ; 8-byte Folded Spill
	s_wait_xcnt 0x0
	v_dual_lshlrev_b32 v28, 2, v34 :: v_dual_bitop2_b32 v30, 60, v3 bitop3:0x40
	v_mov_b32_e32 v34, v38
	scratch_store_b32 off, v13, off offset:20 ; 4-byte Folded Spill
	s_wait_xcnt 0x0
	v_dual_lshlrev_b32 v13, 7, v37 :: v_dual_lshlrev_b32 v9, 7, v22
	v_mul_lo_u32 v89, s18, v10
	scratch_store_b64 off, v[34:35], off offset:40 ; 8-byte Folded Spill
	s_wait_xcnt 0x0
	v_dual_add_nc_u32 v34, s5, v38 :: v_dual_add_nc_u32 v125, v12, v13
	v_lshlrev_b32_e32 v10, 7, v23
	v_mul_lo_u32 v91, s18, v11
	v_dual_lshlrev_b32 v11, 7, v24 :: v_dual_add_nc_u32 v126, v12, v6
	v_dual_add_nc_u32 v127, v12, v7 :: v_dual_add_nc_u32 v128, v12, v9
	v_dual_mov_b32 v6, v34 :: v_dual_add_nc_u32 v34, s5, v34
	s_delay_alu instid0(VALU_DEP_3)
	v_dual_add_nc_u32 v130, v12, v11 :: v_dual_add_nc_u32 v129, v12, v10
	v_add_nc_u32_e32 v132, v12, v19
	scratch_store_b64 off, v[6:7], off offset:48 ; 8-byte Folded Spill
	s_wait_xcnt 0x0
	v_dual_mov_b32 v6, v34 :: v_dual_add_nc_u32 v131, v12, v14
	v_add_nc_u32_e32 v10, s5, v34
	v_dual_mov_b32 v5, v41 :: v_dual_lshlrev_b32 v74, 2, v18
	v_and_b32_e32 v29, 60, v123
	scratch_store_b64 off, v[6:7], off offset:56 ; 8-byte Folded Spill
	s_wait_xcnt 0x0
	v_and_b32_e32 v6, 60, v32
	v_bfe_u32 v7, v0, 3, 7
	v_dual_mov_b32 v0, v10 :: v_dual_add_nc_u32 v10, s5, v10
	v_mov_b32_e32 v77, v41
	s_delay_alu instid0(VALU_DEP_4)
	v_add3_u32 v137, v1, v6, 0x6e40
	v_add3_u32 v134, v28, v1, 0x6e40
	s_clause 0x1
	scratch_store_b64 off, v[0:1], off offset:64
	scratch_store_b32 off, v7, off offset:72
	s_wait_xcnt 0x1
	v_dual_mov_b32 v0, v10 :: v_dual_add_nc_u32 v6, s5, v10
	v_lshlrev_b32_e32 v155, 2, v7
	v_add3_u32 v135, v1, v29, 0x6e40
	v_add3_u32 v136, v1, v30, 0x6e40
	scratch_store_b64 off, v[0:1], off offset:76 ; 8-byte Folded Spill
	s_wait_xcnt 0x0
	v_dual_mov_b32 v0, v6 :: v_dual_add_nc_u32 v68, s5, v6
	v_dual_lshlrev_b32 v144, 5, v27 :: v_dual_lshlrev_b32 v146, 4, v16
	v_dual_lshlrev_b32 v145, 4, v15 :: v_dual_lshlrev_b32 v147, 4, v17
	s_delay_alu instid0(VALU_DEP_3)
	v_add_nc_u32_e32 v70, s5, v68
	scratch_store_b64 off, v[0:1], off offset:84 ; 8-byte Folded Spill
	s_wait_xcnt 0x0
	v_mul_i32_i24_e32 v0, s15, v26
	s_wait_kmcnt 0x0
	v_add_nc_u64_e32 v[72:73], s[2:3], v[4:5]
	v_mov_b64_e32 v[42:43], 0
	v_dual_add_nc_u32 v78, s5, v70 :: v_dual_lshlrev_b32 v150, 2, v32
	scratch_store_b64 off, v[0:1], off offset:92 ; 8-byte Folded Spill
	s_wait_xcnt 0x0
	v_mul_i32_i24_e32 v0, s15, v31
	v_mov_b64_e32 v[30:31], 0
	v_add_nc_u32_e32 v80, s5, v78
	v_mov_b64_e32 v[22:23], 0
	v_mov_b64_e32 v[48:49], 0
	scratch_store_b64 off, v[0:1], off offset:100 ; 8-byte Folded Spill
	s_wait_xcnt 0x0
	v_mul_i32_i24_e32 v0, s15, v8
	v_add_nc_u32_e32 v88, s5, v80
	v_mov_b64_e32 v[38:39], 0
	v_mov_b64_e32 v[28:29], 0
	;; [unrolled: 1-line block ×4, first 2 shown]
	v_dual_add_nc_u32 v90, s5, v88 :: v_dual_lshlrev_b32 v156, 2, v123
	v_mov_b64_e32 v[34:35], 0
	v_mov_b64_e32 v[26:27], 0
	;; [unrolled: 1-line block ×7, first 2 shown]
	v_and_b32_e32 v40, 0x7c, v1
	v_mad_u32_u24 v57, 0x84, v37, v1
	v_dual_mov_b32 v75, v41 :: v_dual_lshlrev_b32 v76, 2, v2
	v_dual_lshlrev_b32 v148, 2, v1 :: v_dual_lshlrev_b32 v149, 2, v3
	scratch_store_b64 off, v[0:1], off offset:108 ; 8-byte Folded Spill
	v_mul_u32_u24_e32 v151, 0x84, v36
	v_mad_u32_u24 v152, 0x84, v36, s10
	v_mad_u32_u24 v153, 0x84, v36, s11
	v_mad_u32_u24 v154, 0x84, v36, s16
	s_wait_xcnt 0x0
	v_add_nc_u32_e32 v0, s5, v90
	s_mov_b32 s11, 0
	s_add_nc_u64 s[0:1], s[0:1], s[12:13]
	s_mov_b32 s10, s11
	scratch_store_b64 off, v[0:1], off offset:116 ; 8-byte Folded Spill
.LBB131_5:                              ; =>This Loop Header: Depth=1
                                        ;     Child Loop BB131_6 Depth 2
                                        ;     Child Loop BB131_8 Depth 2
	s_clause 0x7
	scratch_load_b64 v[0:1], off, off
	scratch_load_b64 v[6:7], off, off offset:24
	scratch_load_b64 v[8:9], off, off offset:32
	;; [unrolled: 1-line block ×7, first 2 shown]
	s_mul_u64 s[12:13], s[10:11], 0x90
	v_mul_i32_i24_e32 v4, s15, v37
	s_add_nc_u64 s[12:13], s[0:1], s[12:13]
	s_lshl_b32 s5, s10, 3
	s_mov_b32 s16, 0
	s_wait_loadcnt 0x7
	v_mad_nc_u64_u32 v[0:1], 0x90, v0, s[12:13]
	s_wait_loadcnt 0x3
	v_mad_nc_u64_u32 v[2:3], 0x90, v2, s[12:13]
	s_wait_loadcnt 0x0
	s_delay_alu instid0(VALU_DEP_2)
	v_mad_nc_u64_u32 v[94:95], 0x90, v52, v[0:1]
	scratch_load_b64 v[52:53], off, off offset:76 ; 8-byte Folded Reload
	v_mad_nc_u64_u32 v[4:5], 0x90, v4, v[0:1]
	v_mad_nc_u64_u32 v[6:7], 0x90, v6, v[0:1]
	;; [unrolled: 1-line block ×9, first 2 shown]
	v_add_nc_u64_e32 v[94:95], v[94:95], v[40:41]
	v_mad_nc_u64_u32 v[106:107], 0x90, v80, v[0:1]
	v_add_nc_u64_e32 v[4:5], v[4:5], v[40:41]
	v_add_nc_u64_e32 v[6:7], v[6:7], v[40:41]
	;; [unrolled: 1-line block ×6, first 2 shown]
	v_mad_nc_u64_u32 v[108:109], 0x90, v88, v[0:1]
	s_wait_loadcnt 0x0
	v_mad_nc_u64_u32 v[96:97], 0x90, v52, v[0:1]
	scratch_load_b64 v[52:53], off, off offset:84 ; 8-byte Folded Reload
	v_add_nc_u64_e32 v[96:97], v[96:97], v[40:41]
	s_clause 0x7
	global_load_b32 v110, v[4:5], off offset:16
	global_load_b32 v111, v[6:7], off offset:16
	;; [unrolled: 1-line block ×8, first 2 shown]
                                        ; kill: killed $vgpr8_vgpr9
                                        ; kill: killed $vgpr14_vgpr15
                                        ; kill: killed $vgpr6_vgpr7
                                        ; kill: killed $vgpr12_vgpr13
                                        ; kill: killed $vgpr96_vgpr97
                                        ; kill: killed $vgpr4_vgpr5
                                        ; kill: killed $vgpr10_vgpr11
                                        ; kill: killed $vgpr94_vgpr95
	s_clause 0x1
	scratch_load_b64 v[4:5], off, off offset:108
	scratch_load_b64 v[10:11], off, off offset:116
	v_mad_nc_u64_u32 v[8:9], 0x90, v90, v[0:1]
	s_wait_xcnt 0x5
	v_add_nc_u64_e32 v[12:13], v[102:103], v[40:41]
	s_wait_xcnt 0x4
	v_add_nc_u64_e32 v[14:15], v[104:105], v[40:41]
	;; [unrolled: 2-line block ×4, first 2 shown]
	v_add_nc_u64_e32 v[8:9], v[8:9], v[40:41]
	s_wait_loadcnt 0xa
	v_mad_nc_u64_u32 v[98:99], 0x90, v52, v[0:1]
	s_wait_loadcnt 0x1
	v_mad_nc_u64_u32 v[4:5], 0x90, v4, s[12:13]
	s_delay_alu instid0(VALU_DEP_2)
	v_add_nc_u64_e32 v[6:7], v[98:99], v[40:41]
	s_wait_loadcnt 0x0
	v_mad_nc_u64_u32 v[0:1], 0x90, v10, v[0:1]
	v_add_nc_u64_e32 v[98:99], v[2:3], v[74:75]
	v_add_nc_u64_e32 v[2:3], v[2:3], v[76:77]
	;; [unrolled: 1-line block ×6, first 2 shown]
	s_clause 0x3
	global_load_b32 v102, v[98:99], off offset:4
	global_load_b32 v103, v[2:3], off offset:4
	;; [unrolled: 1-line block ×4, first 2 shown]
                                        ; kill: killed $vgpr100_vgpr101
                                        ; kill: killed $vgpr2_vgpr3
                                        ; kill: killed $vgpr98_vgpr99
                                        ; kill: killed $vgpr4_vgpr5
	scratch_load_b32 v2, off, off offset:72 ; 4-byte Folded Reload
	s_clause 0x7
	global_load_b32 v100, v[6:7], off offset:16
	global_load_b32 v101, v[10:11], off offset:16
	;; [unrolled: 1-line block ×8, first 2 shown]
	s_clause 0x1
	scratch_load_b64 v[0:1], off, off offset:92
	scratch_load_b32 v3, off, off offset:20
	s_wait_loadcnt 0xa
	v_add_nc_u32_e32 v98, s5, v2
	s_wait_loadcnt 0x1
	v_mad_nc_u64_u32 v[0:1], 0x90, v0, s[12:13]
	s_wait_loadcnt 0x0
	v_add_nc_u32_e32 v95, s5, v3
	s_mov_b32 s12, -1
	v_dual_add_nc_u32 v4, v98, v85 :: v_dual_add_nc_u32 v10, v98, v87
	v_dual_add_nc_u32 v2, v98, v81 :: v_dual_add_nc_u32 v6, v98, v91
	;; [unrolled: 1-line block ×3, first 2 shown]
	s_delay_alu instid0(VALU_DEP_3) | instskip(SKIP_1) | instid1(VALU_DEP_4)
	v_mad_nc_i64_i32 v[4:5], v4, 36, v[72:73]
	v_mad_nc_u64_u32 v[8:9], v95, 36, s[2:3]
	v_mad_nc_i64_i32 v[6:7], v6, 36, v[72:73]
	v_add_nc_u32_e32 v94, v98, v89
	v_mad_nc_i64_i32 v[2:3], v2, 36, v[72:73]
	v_add_nc_u32_e32 v98, v98, v121
	v_mad_nc_i64_i32 v[10:11], v10, 36, v[72:73]
	v_mad_nc_i64_i32 v[12:13], v12, 36, v[72:73]
	v_mad_nc_i64_i32 v[14:15], v14, 36, v[72:73]
	v_mad_nc_i64_i32 v[96:97], v94, 36, v[72:73]
	v_mad_nc_i64_i32 v[98:99], v98, 36, v[72:73]
	s_clause 0x2
	global_load_b32 v94, v[4:5], off offset:4
	global_load_b32 v120, v[6:7], off offset:4
	global_load_b32 v122, v[8:9], off
	global_load_b32 v124, v[0:1], off
	s_clause 0x5
	global_load_b32 v157, v[2:3], off offset:4
	global_load_b32 v158, v[10:11], off offset:4
	global_load_b32 v159, v[12:13], off offset:4
	global_load_b32 v160, v[14:15], off offset:4
	global_load_b32 v161, v[96:97], off offset:4
	global_load_b32 v162, v[98:99], off offset:4
	s_wait_xcnt 0x5
	v_dual_ashrrev_i32 v0, v63, v102 :: v_dual_ashrrev_i32 v2, v65, v103
	v_dual_ashrrev_i32 v3, v65, v105 :: v_dual_ashrrev_i32 v1, v63, v104
	s_delay_alu instid0(VALU_DEP_2) | instskip(NEXT) | instid1(VALU_DEP_2)
	v_and_b32_e32 v0, 0xf0f0f0f, v0
	v_and_b32_e32 v1, 0xf0f0f0f, v1
	s_delay_alu instid0(VALU_DEP_2)
	v_and_or_b32 v0, 0x30303030, v2, v0
	v_add_nc_u32_e32 v2, 0x420, v57
	ds_store_b32 v57, v110
	v_and_or_b32 v1, 0x30303030, v3, v1
	ds_store_b32 v2, v111
	v_add_nc_u32_e32 v2, 0x840, v57
	ds_store_b32 v2, v112
	v_add_nc_u32_e32 v2, 0xc60, v57
	ds_store_b32 v2, v113
	v_add_nc_u32_e32 v2, 0x1080, v57
	ds_store_b32 v2, v114
	v_add_nc_u32_e32 v2, 0x14a0, v57
	ds_store_b32 v2, v115
	v_add_nc_u32_e32 v2, 0x18c0, v57
	ds_store_b32 v2, v116
	v_add_nc_u32_e32 v2, 0x1ce0, v57
	ds_store_b32 v2, v117
	v_add_nc_u32_e32 v2, 0x2100, v57
	ds_store_b32 v2, v100
	v_add_nc_u32_e32 v2, 0x2520, v57
	ds_store_b32 v2, v101
	v_add_nc_u32_e32 v2, 0x2940, v57
	ds_store_b32 v2, v106
	v_add_nc_u32_e32 v2, 0x2d60, v57
	ds_store_b32 v2, v107
	v_add_nc_u32_e32 v2, 0x3180, v57
	ds_store_b32 v2, v108
	v_add_nc_u32_e32 v2, 0x35a0, v57
	ds_store_b32 v2, v109
	v_add_nc_u32_e32 v2, 0x39c0, v57
	ds_store_b32 v2, v118
	v_add_nc_u32_e32 v2, 0x3de0, v57
	ds_store_b32 v2, v119
	s_wait_loadcnt 0x9
	ds_store_b32 v127, v94
	s_wait_loadcnt 0x8
	;; [unrolled: 2-line block ×3, first 2 shown]
	ds_store_b32 v79, v122
	scratch_load_b32 v2, off, off offset:8  ; 4-byte Folded Reload
	s_wait_loadcnt 0x0
	ds_store_b32 v2, v124
	scratch_load_b32 v2, off, off offset:12 ; 4-byte Folded Reload
	s_wait_loadcnt 0x0
	ds_store_b32 v2, v0
	ds_store_b32 v125, v157
	;; [unrolled: 1-line block ×4, first 2 shown]
	scratch_load_b32 v0, off, off offset:16 ; 4-byte Folded Reload
	s_wait_loadcnt 0x0
	ds_store_b32 v0, v1
	ds_store_b32 v126, v160
	;; [unrolled: 1-line block ×4, first 2 shown]
	s_wait_storecnt_dscnt 0x0
	s_barrier_signal -1
	s_barrier_wait -1
	ds_load_b32 v1, v134
	ds_load_b32 v3, v135 offset:128
	ds_load_b32 v5, v136 offset:256
	;; [unrolled: 1-line block ×3, first 2 shown]
	s_wait_dscnt 0x3
	v_cvt_f32_f16_e32 v0, v1
	v_lshrrev_b32_e32 v1, 16, v1
	s_wait_dscnt 0x2
	v_cvt_f32_f16_e32 v2, v3
	v_lshrrev_b32_e32 v3, 16, v3
	s_wait_dscnt 0x1
	v_cvt_f32_f16_e32 v4, v5
	s_wait_dscnt 0x0
	v_dual_lshrrev_b32 v5, 16, v5 :: v_dual_lshrrev_b32 v7, 16, v6
	v_cvt_f32_f16_e32 v6, v6
	v_cvt_f32_f16_e32 v8, v1
	s_wait_xcnt 0x7
	v_cvt_f32_f16_e32 v10, v3
	s_wait_xcnt 0x6
	;; [unrolled: 2-line block ×3, first 2 shown]
	v_cvt_f32_f16_e32 v14, v7
	v_dual_mov_b32 v1, v0 :: v_dual_mov_b32 v3, v2
	v_dual_mov_b32 v5, v4 :: v_dual_mov_b32 v7, v6
	;; [unrolled: 1-line block ×3, first 2 shown]
	s_delay_alu instid0(VALU_DEP_4)
	v_dual_mov_b32 v13, v12 :: v_dual_mov_b32 v15, v14
.LBB131_6:                              ;   Parent Loop BB131_5 Depth=1
                                        ; =>  This Inner Loop Header: Depth=2
	s_lshl_b32 s13, s16, 1
	s_lshr_b32 s17, s16, 2
	v_or_b32_e32 v94, s13, v59
	s_lshl_b32 s16, s16, 2
	s_addk_co_i32 s17, 0x6200
	s_and_b32 vcc_lo, exec_lo, s12
	s_mov_b32 s12, 0
	v_lshlrev_b32_e32 v108, 2, v94
	s_wait_xcnt 0x3
	ds_load_b128 v[96:99], v108 offset:16896
	ds_load_b128 v[100:103], v108 offset:16912
	;; [unrolled: 1-line block ×4, first 2 shown]
	s_set_vgpr_msb 64                       ;  msbs: dst=1 src0=0 src1=0 src2=0
	v_lshrrev_b32_e32 v139 /*v395*/, 1, v94
	s_set_vgpr_msb 0                        ;  msbs: dst=0 src0=0 src1=0 src2=0
	v_add3_u32 v94, s17, v155, v148
	s_wait_dscnt 0x3
	s_set_vgpr_msb 64                       ;  msbs: dst=1 src0=0 src1=0 src2=0
	v_bfe_i32 v29 /*v285*/, v96, 0, 8
	v_bfe_i32 v33 /*v289*/, v96, 8, 8
	;; [unrolled: 1-line block ×3, first 2 shown]
	v_ashrrev_i32_e32 v50 /*v306*/, 24, v96
	s_set_vgpr_msb 0                        ;  msbs: dst=0 src0=0 src1=0 src2=0
	v_add_nc_u32_e32 v96, s16, v151
	s_wait_dscnt 0x1
	s_set_vgpr_msb 64                       ;  msbs: dst=1 src0=0 src1=0 src2=0
	v_bfe_i32 v137 /*v393*/, v106, 0, 8
	v_bfe_i32 v138 /*v394*/, v106, 8, 8
	;; [unrolled: 1-line block ×3, first 2 shown]
	v_dual_ashrrev_i32 v158 /*v414*/, 24, v106 :: v_dual_ashrrev_i32 v156 /*v412*/, 24, v107
	s_set_vgpr_msb 0                        ;  msbs: dst=0 src0=0 src1=0 src2=0
	ds_load_2addr_b32 v[116:117], v96 offset1:1
	ds_load_2addr_b32 v[114:115], v96 offset0:2 offset1:3
	s_wait_dscnt 0x2
	s_set_vgpr_msb 64                       ;  msbs: dst=1 src0=0 src1=0 src2=0
	v_bfe_i32 v141 /*v397*/, v110, 0, 8
	v_bfe_i32 v142 /*v398*/, v110, 8, 8
	;; [unrolled: 1-line block ×3, first 2 shown]
	v_dual_ashrrev_i32 v153 /*v409*/, 24, v110 :: v_dual_ashrrev_i32 v151 /*v407*/, 24, v111
	v_bfe_i32 v143 /*v399*/, v111, 0, 8
	v_bfe_i32 v144 /*v400*/, v111, 8, 8
	;; [unrolled: 1-line block ×6, first 2 shown]
	v_dual_ashrrev_i32 v149 /*v405*/, 24, v112 :: v_dual_ashrrev_i32 v145 /*v401*/, 24, v113
	v_bfe_i32 v27 /*v283*/, v113, 0, 8
	v_bfe_i32 v26 /*v282*/, v113, 8, 8
	s_set_vgpr_msb 0                        ;  msbs: dst=0 src0=0 src1=0 src2=0
	v_bfe_i32 v106, v113, 16, 8
	ds_load_2addr_b32 v[110:111], v96 offset0:4 offset1:5
	ds_load_2addr_b32 v[112:113], v96 offset0:6 offset1:7
	s_wait_dscnt 0x3
	v_dual_ashrrev_i32 v108, 24, v103 :: v_dual_bitop2_b32 v119, 15, v116 bitop3:0x40
	s_set_vgpr_msb 64                       ;  msbs: dst=1 src0=0 src1=0 src2=0
	v_bfe_i32 v34 /*v290*/, v97, 0, 8
	v_bfe_i32 v35 /*v291*/, v97, 8, 8
	;; [unrolled: 1-line block ×3, first 2 shown]
	v_dual_ashrrev_i32 v37 /*v293*/, 24, v97 :: v_dual_ashrrev_i32 v41 /*v297*/, 24, v98
	s_set_vgpr_msb 4                        ;  msbs: dst=0 src0=0 src1=1 src2=0
	v_mul_i32_i24_e32 v97, v119, v29 /*v285*/
	v_bfe_u32 v118, v116, 8, 4
	s_set_vgpr_msb 64                       ;  msbs: dst=1 src0=0 src1=0 src2=0
	v_bfe_u32 v92 /*v348*/, v116, 16, 4
	v_bfe_u32 v93 /*v349*/, v116, 24, 4
	v_bfe_i32 v38 /*v294*/, v98, 0, 8
	v_bfe_i32 v39 /*v295*/, v98, 8, 8
	;; [unrolled: 1-line block ×6, first 2 shown]
	v_dual_ashrrev_i32 v45 /*v301*/, 24, v99 :: v_dual_ashrrev_i32 v49 /*v305*/, 24, v100
	s_set_vgpr_msb 5                        ;  msbs: dst=0 src0=1 src1=1 src2=0
	v_mul_i32_i24_e32 v98, v92 /*v348*/, v32 /*v288*/
	v_mul_i32_i24_e32 v99, v93 /*v349*/, v50 /*v306*/
	s_set_vgpr_msb 4                        ;  msbs: dst=0 src0=0 src1=1 src2=0
	v_mad_i32_i24 v97, v118, v33 /*v289*/, v97
	s_set_vgpr_msb 64                       ;  msbs: dst=1 src0=0 src1=0 src2=0
	v_dual_lshrrev_b32 v123 /*v379*/, 28, v116 :: v_dual_bitop2_b32 v94 /*v350*/, 15, v117 bitop3:0x40
	v_bfe_u32 v95 /*v351*/, v117, 8, 4
	v_bfe_u32 v96 /*v352*/, v117, 16, 4
	s_set_vgpr_msb 0                        ;  msbs: dst=0 src0=0 src1=0 src2=0
	v_add3_u32 v97, v97, v98, v99
	s_set_vgpr_msb 5                        ;  msbs: dst=0 src0=1 src1=1 src2=0
	v_mul_i32_i24_e32 v98, v94 /*v350*/, v34 /*v290*/
	s_set_vgpr_msb 64                       ;  msbs: dst=1 src0=0 src1=0 src2=0
	v_bfe_u32 v97 /*v353*/, v117, 24, 4
	s_set_vgpr_msb 5                        ;  msbs: dst=0 src0=1 src1=1 src2=0
	v_mul_i32_i24_e32 v99, v95 /*v351*/, v35 /*v291*/
	s_set_vgpr_msb 64                       ;  msbs: dst=1 src0=0 src1=0 src2=0
	v_bfe_i32 v46 /*v302*/, v100, 0, 8
	v_bfe_i32 v47 /*v303*/, v100, 8, 8
	;; [unrolled: 1-line block ×6, first 2 shown]
	v_dual_ashrrev_i32 v54 /*v310*/, 24, v101 :: v_dual_ashrrev_i32 v60 /*v316*/, 24, v102
	s_set_vgpr_msb 5                        ;  msbs: dst=0 src0=1 src1=1 src2=0
	v_mul_i32_i24_e32 v100, v96 /*v352*/, v36 /*v292*/
	v_mul_i32_i24_e32 v101, v97 /*v353*/, v37 /*v293*/
	s_set_vgpr_msb 0                        ;  msbs: dst=0 src0=0 src1=0 src2=0
	v_add3_u32 v97, v97, v99, v98
	s_wait_dscnt 0x2
	s_set_vgpr_msb 64                       ;  msbs: dst=1 src0=0 src1=0 src2=0
	v_dual_lshrrev_b32 v115 /*v371*/, 28, v117 :: v_dual_bitop2_b32 v98 /*v354*/, 15, v114 bitop3:0x40
	v_bfe_u32 v99 /*v355*/, v114, 8, 4
	v_bfe_u32 v100 /*v356*/, v114, 16, 4
	s_set_vgpr_msb 0                        ;  msbs: dst=0 src0=0 src1=0 src2=0
	v_add3_u32 v97, v97, v100, v101
	s_set_vgpr_msb 5                        ;  msbs: dst=0 src0=1 src1=1 src2=0
	v_mul_i32_i24_e32 v98, v98 /*v354*/, v38 /*v294*/
	s_set_vgpr_msb 64                       ;  msbs: dst=1 src0=0 src1=0 src2=0
	v_bfe_u32 v101 /*v357*/, v114, 24, 4
	s_set_vgpr_msb 5                        ;  msbs: dst=0 src0=1 src1=1 src2=0
	v_mul_i32_i24_e32 v99, v99 /*v355*/, v39 /*v295*/
	v_mul_i32_i24_e32 v100, v100 /*v356*/, v40 /*v296*/
	s_set_vgpr_msb 64                       ;  msbs: dst=1 src0=0 src1=0 src2=0
	v_dual_lshrrev_b32 v116 /*v372*/, 28, v114 :: v_dual_bitop2_b32 v102 /*v358*/, 15, v115 bitop3:0x40
	s_set_vgpr_msb 5                        ;  msbs: dst=0 src0=1 src1=1 src2=0
	v_mul_i32_i24_e32 v101, v101 /*v357*/, v41 /*v297*/
	s_set_vgpr_msb 0                        ;  msbs: dst=0 src0=0 src1=0 src2=0
	v_add3_u32 v97, v97, v99, v98
	s_set_vgpr_msb 64                       ;  msbs: dst=1 src0=0 src1=0 src2=0
	v_bfe_u32 v103 /*v359*/, v115, 8, 4
	s_set_vgpr_msb 5                        ;  msbs: dst=0 src0=1 src1=1 src2=0
	v_mul_i32_i24_e32 v98, v102 /*v358*/, v42 /*v298*/
	s_set_vgpr_msb 64                       ;  msbs: dst=1 src0=0 src1=0 src2=0
	v_bfe_u32 v104 /*v360*/, v115, 16, 4
	v_bfe_u32 v105 /*v361*/, v115, 24, 4
	s_set_vgpr_msb 0                        ;  msbs: dst=0 src0=0 src1=0 src2=0
	v_add3_u32 v97, v97, v100, v101
	s_set_vgpr_msb 5                        ;  msbs: dst=0 src0=1 src1=1 src2=0
	v_mul_i32_i24_e32 v99, v103 /*v359*/, v43 /*v299*/
	s_wait_dscnt 0x1
	s_set_vgpr_msb 64                       ;  msbs: dst=1 src0=0 src1=0 src2=0
	v_dual_lshrrev_b32 v117 /*v373*/, 28, v115 :: v_dual_bitop2_b32 v106 /*v362*/, 15, v110 bitop3:0x40
	s_set_vgpr_msb 5                        ;  msbs: dst=0 src0=1 src1=1 src2=0
	v_mul_i32_i24_e32 v100, v104 /*v360*/, v44 /*v300*/
	v_mul_i32_i24_e32 v101, v105 /*v361*/, v45 /*v301*/
	s_set_vgpr_msb 0                        ;  msbs: dst=0 src0=0 src1=0 src2=0
	v_add3_u32 v97, v97, v99, v98
	s_set_vgpr_msb 64                       ;  msbs: dst=1 src0=0 src1=0 src2=0
	v_bfe_u32 v107 /*v363*/, v110, 8, 4
	s_set_vgpr_msb 5                        ;  msbs: dst=0 src0=1 src1=1 src2=0
	v_mul_i32_i24_e32 v98, v106 /*v362*/, v46 /*v302*/
	s_set_vgpr_msb 64                       ;  msbs: dst=1 src0=0 src1=0 src2=0
	v_bfe_u32 v108 /*v364*/, v110, 16, 4
	v_bfe_u32 v109 /*v365*/, v110, 24, 4
	s_set_vgpr_msb 0                        ;  msbs: dst=0 src0=0 src1=0 src2=0
	v_add3_u32 v97, v97, v100, v101
	s_set_vgpr_msb 5                        ;  msbs: dst=0 src0=1 src1=1 src2=0
	v_mul_i32_i24_e32 v99, v107 /*v363*/, v47 /*v303*/
	s_set_vgpr_msb 64                       ;  msbs: dst=1 src0=0 src1=0 src2=0
	v_bfe_u32 v110 /*v366*/, v111, 8, 4
	s_set_vgpr_msb 5                        ;  msbs: dst=0 src0=1 src1=1 src2=0
	v_mul_i32_i24_e32 v100, v108 /*v364*/, v48 /*v304*/
	v_mul_i32_i24_e32 v101, v109 /*v365*/, v49 /*v305*/
	s_set_vgpr_msb 64                       ;  msbs: dst=1 src0=0 src1=0 src2=0
	v_dual_lshrrev_b32 v118 /*v374*/, 28, v110 :: v_dual_bitop2_b32 v111 /*v367*/, 15, v111 bitop3:0x40
	s_set_vgpr_msb 0                        ;  msbs: dst=0 src0=0 src1=0 src2=0
	v_add3_u32 v97, v97, v99, v98
	s_set_vgpr_msb 5                        ;  msbs: dst=0 src0=1 src1=1 src2=0
	v_mul_i32_i24_e32 v99, v52 /*v308*/, v110 /*v366*/
	s_set_vgpr_msb 64                       ;  msbs: dst=1 src0=0 src1=0 src2=0
	v_bfe_u32 v112 /*v368*/, v111, 24, 4
	s_set_vgpr_msb 5                        ;  msbs: dst=0 src0=1 src1=1 src2=0
	v_mul_i32_i24_e32 v98, v51 /*v307*/, v111 /*v367*/
	s_set_vgpr_msb 64                       ;  msbs: dst=1 src0=0 src1=0 src2=0
	v_bfe_u32 v113 /*v369*/, v111, 16, 4
	s_set_vgpr_msb 0                        ;  msbs: dst=0 src0=0 src1=0 src2=0
	v_add3_u32 v97, v97, v100, v101
	s_set_vgpr_msb 64                       ;  msbs: dst=1 src0=0 src1=0 src2=0
	v_bfe_i32 v55 /*v311*/, v102, 0, 8
	v_bfe_i32 v57 /*v313*/, v102, 8, 8
	s_set_vgpr_msb 5                        ;  msbs: dst=0 src0=1 src1=1 src2=0
	v_mul_i32_i24_e32 v100, v54 /*v310*/, v112 /*v368*/
	v_mul_i32_i24_e32 v101, v53 /*v309*/, v113 /*v369*/
	s_set_vgpr_msb 0                        ;  msbs: dst=0 src0=0 src1=0 src2=0
	v_add3_u32 v97, v97, v99, v98
	s_wait_dscnt 0x0
	s_set_vgpr_msb 64                       ;  msbs: dst=1 src0=0 src1=0 src2=0
	v_bfe_u32 v114 /*v370*/, v112, 8, 4
	v_dual_lshrrev_b32 v119 /*v375*/, 28, v111 :: v_dual_bitop2_b32 v121 /*v377*/, 15, v112 bitop3:0x40
	v_bfe_i32 v59 /*v315*/, v102, 16, 8
	s_set_vgpr_msb 0                        ;  msbs: dst=0 src0=0 src1=0 src2=0
	v_add3_u32 v97, v97, v101, v100
	s_set_vgpr_msb 5                        ;  msbs: dst=0 src0=1 src1=1 src2=0
	v_mul_i32_i24_e32 v98, v57 /*v313*/, v114 /*v370*/
	v_mul_i32_i24_e32 v96, v55 /*v311*/, v121 /*v377*/
	s_set_vgpr_msb 64                       ;  msbs: dst=1 src0=0 src1=0 src2=0
	v_bfe_u32 v122 /*v378*/, v112, 24, 4
	v_bfe_u32 v125 /*v381*/, v112, 16, 4
	v_bfe_i32 v58 /*v314*/, v103, 0, 8
	v_bfe_i32 v56 /*v312*/, v103, 8, 8
	s_set_vgpr_msb 0                        ;  msbs: dst=0 src0=0 src1=0 src2=0
	v_add3_u32 v96, v97, v98, v96
	s_set_vgpr_msb 5                        ;  msbs: dst=0 src0=1 src1=1 src2=0
	v_mul_i32_i24_e32 v99, v60 /*v316*/, v122 /*v378*/
	v_mul_i32_i24_e32 v100, v59 /*v315*/, v125 /*v381*/
	s_set_vgpr_msb 64                       ;  msbs: dst=1 src0=0 src1=0 src2=0
	v_dual_lshrrev_b32 v120 /*v376*/, 28, v112 :: v_dual_bitop2_b32 v128 /*v384*/, 15, v113 bitop3:0x40
	v_bfe_u32 v129 /*v385*/, v113, 8, 4
	v_dual_ashrrev_i32 v162 /*v418*/, 24, v104 :: v_dual_ashrrev_i32 v160 /*v416*/, 24, v105
	s_set_vgpr_msb 0                        ;  msbs: dst=0 src0=0 src1=0 src2=0
	v_add3_u32 v96, v96, v100, v99
	s_set_vgpr_msb 5                        ;  msbs: dst=0 src0=1 src1=1 src2=0
	v_mul_i32_i24_e32 v97, v128 /*v384*/, v58 /*v314*/
	v_mul_i32_i24_e32 v98, v129 /*v385*/, v56 /*v312*/
	s_set_vgpr_msb 64                       ;  msbs: dst=1 src0=0 src1=0 src2=0
	v_bfe_i32 v135 /*v391*/, v105, 0, 8
	v_bfe_i32 v136 /*v392*/, v105, 8, 8
	;; [unrolled: 1-line block ×3, first 2 shown]
	s_set_vgpr_msb 0                        ;  msbs: dst=0 src0=0 src1=0 src2=0
	v_add_nc_u32_e32 v99, s16, v152
	s_set_vgpr_msb 64                       ;  msbs: dst=1 src0=0 src1=0 src2=0
	v_add3_u32 v169 /*v425*/, v96, v98, v97
	s_set_vgpr_msb 0                        ;  msbs: dst=0 src0=0 src1=0 src2=0
	ds_load_u16 v96, v94
	ds_load_u16 v94, v94 offset:8
	s_set_vgpr_msb 64                       ;  msbs: dst=1 src0=0 src1=0 src2=0
	v_bfe_i32 v28 /*v284*/, v103, 16, 8
	s_set_vgpr_msb 0                        ;  msbs: dst=0 src0=0 src1=0 src2=0
	v_lshrrev_b32_e32 v103, 28, v113
	s_set_vgpr_msb 64                       ;  msbs: dst=1 src0=0 src1=0 src2=0
	v_bfe_i32 v134 /*v390*/, v104, 0, 8
	v_bfe_i32 v133 /*v389*/, v104, 8, 8
	;; [unrolled: 1-line block ×6, first 2 shown]
	v_bfe_u32 v130 /*v386*/, v113, 16, 4
	v_bfe_u32 v131 /*v387*/, v113, 24, 4
	;; [unrolled: 1-line block ×5, first 2 shown]
	s_set_vgpr_msb 0x45                     ;  msbs: dst=1 src0=1 src1=1 src2=0
	v_mul_i32_i24_e32 v167 /*v423*/, v130 /*v386*/, v28 /*v284*/
	s_set_vgpr_msb 0x41                     ;  msbs: dst=1 src0=1 src1=0 src2=0
	v_mul_i32_i24_e32 v168 /*v424*/, v131 /*v387*/, v108
	s_set_vgpr_msb 0x45                     ;  msbs: dst=1 src0=1 src1=1 src2=0
	v_mul_i32_i24_e32 v164 /*v420*/, v124 /*v380*/, v27 /*v283*/
	v_mul_i32_i24_e32 v165 /*v421*/, v126 /*v382*/, v26 /*v282*/
	s_set_vgpr_msb 0x41                     ;  msbs: dst=1 src0=1 src1=0 src2=0
	v_mul_i32_i24_e32 v163 /*v419*/, v127 /*v383*/, v106
	s_wait_dscnt 0x1
	s_set_vgpr_msb 0                        ;  msbs: dst=0 src0=0 src1=0 src2=0
	v_lshrrev_b16 v97, 8, v96
	v_and_b32_e32 v105, 0xff, v96
	v_lshrrev_b32_e32 v96, 4, v116
	s_wait_dscnt 0x0
	v_cvt_f32_ubyte0_e32 v98, v94
	v_cvt_f32_ubyte1_e32 v100, v94
	v_and_b32_e32 v101, 0xffff, v97
	v_add3_u32 v94, s17, v156, v145
	v_lshrrev_b16 v96, 8, v96
	s_set_vgpr_msb 1                        ;  msbs: dst=0 src0=1 src1=0 src2=0
	v_mul_i32_i24_e32 v56, v145 /*v401*/, v103
	s_set_vgpr_msb 0                        ;  msbs: dst=0 src0=0 src1=0 src2=0
	ds_load_2addr_b32 v[158:159], v99 offset0:2 offset1:3
	ds_load_2addr_b32 v[160:161], v99 offset0:4 offset1:5
	ds_load_2addr_b32 v[162:163], v99 offset0:6 offset1:7
	s_set_vgpr_msb 64                       ;  msbs: dst=1 src0=0 src1=0 src2=0
	v_and_b32_e32 v132 /*v388*/, 15, v96
	s_set_vgpr_msb 0                        ;  msbs: dst=0 src0=0 src1=0 src2=0
	v_lshrrev_b32_e32 v96, 4, v117
	s_delay_alu instid0(VALU_DEP_1) | instskip(SKIP_1) | instid1(VALU_DEP_1)
	v_lshrrev_b16 v96, 8, v96
	s_set_vgpr_msb 64                       ;  msbs: dst=1 src0=0 src1=0 src2=0
	v_and_b32_e32 v174 /*v430*/, 15, v96
	s_set_vgpr_msb 0                        ;  msbs: dst=0 src0=0 src1=0 src2=0
	v_lshrrev_b32_e32 v96, 4, v114
	s_delay_alu instid0(VALU_DEP_1)
	v_lshrrev_b16 v96, 8, v96
	s_wait_dscnt 0x2
	v_and_b32_e32 v227, 15, v158
	v_bfe_u32 v228, v158, 8, 4
	v_bfe_u32 v229, v158, 16, 4
	;; [unrolled: 1-line block ×3, first 2 shown]
	s_set_vgpr_msb 64                       ;  msbs: dst=1 src0=0 src1=0 src2=0
	v_dual_lshrrev_b32 v10 /*v266*/, 28, v159 :: v_dual_bitop2_b32 v173 /*v429*/, 15, v96 bitop3:0x40
	s_set_vgpr_msb 0                        ;  msbs: dst=0 src0=0 src1=0 src2=0
	v_lshrrev_b32_e32 v96, 4, v115
	v_and_b32_e32 v231, 15, v159
	v_bfe_u32 v232, v159, 8, 4
	v_bfe_u32 v233, v159, 16, 4
	;; [unrolled: 1-line block ×3, first 2 shown]
	v_lshrrev_b16 v96, 8, v96
	s_wait_dscnt 0x1
	v_and_b32_e32 v235, 15, v160
	v_bfe_u32 v236, v160, 8, 4
	v_bfe_u32 v237, v160, 16, 4
	;; [unrolled: 1-line block ×3, first 2 shown]
	s_set_vgpr_msb 64                       ;  msbs: dst=1 src0=0 src1=0 src2=0
	v_dual_lshrrev_b32 v17 /*v273*/, 28, v161 :: v_dual_bitop2_b32 v172 /*v428*/, 15, v96 bitop3:0x40
	s_set_vgpr_msb 0                        ;  msbs: dst=0 src0=0 src1=0 src2=0
	v_lshrrev_b32_e32 v96, 4, v110
	v_bfe_u32 v239, v161, 8, 4
	v_and_b32_e32 v240, 15, v161
	v_bfe_u32 v241, v161, 24, 4
	v_bfe_u32 v242, v161, 16, 4
	v_lshrrev_b16 v96, 8, v96
	s_wait_dscnt 0x0
	v_bfe_u32 v243, v162, 8, 4
	v_and_b32_e32 v244, 15, v162
	v_bfe_u32 v245, v162, 24, 4
	v_bfe_u32 v247, v162, 16, 4
	s_set_vgpr_msb 64                       ;  msbs: dst=1 src0=0 src1=0 src2=0
	v_dual_lshrrev_b32 v21 /*v277*/, 28, v162 :: v_dual_bitop2_b32 v171 /*v427*/, 15, v96 bitop3:0x40
	s_set_vgpr_msb 0                        ;  msbs: dst=0 src0=0 src1=0 src2=0
	v_lshrrev_b32_e32 v96, 4, v111
	v_and_b32_e32 v251, 15, v163
	v_bfe_u32 v253, v163, 8, 4
	s_set_vgpr_msb 64                       ;  msbs: dst=1 src0=0 src1=0 src2=0
	v_bfe_u32 v4 /*v260*/, v158, 4, 4
	v_bfe_u32 v5 /*v261*/, v158, 12, 4
	s_set_vgpr_msb 0                        ;  msbs: dst=0 src0=0 src1=0 src2=0
	v_lshrrev_b16 v96, 8, v96
	s_set_vgpr_msb 64                       ;  msbs: dst=1 src0=0 src1=0 src2=0
	v_bfe_u32 v2 /*v258*/, v158, 20, 4
	v_lshrrev_b32_e32 v7 /*v263*/, 28, v158
	s_set_vgpr_msb 5                        ;  msbs: dst=0 src0=1 src1=1 src2=0
	v_mul_i32_i24_e32 v120, v4 /*v260*/, v137 /*v393*/
	v_mul_i32_i24_e32 v122, v5 /*v261*/, v138 /*v394*/
	s_set_vgpr_msb 64                       ;  msbs: dst=1 src0=0 src1=0 src2=0
	v_and_b32_e32 v170 /*v426*/, 15, v96
	s_set_vgpr_msb 0                        ;  msbs: dst=0 src0=0 src1=0 src2=0
	v_lshrrev_b32_e32 v96, 4, v112
	s_set_vgpr_msb 5                        ;  msbs: dst=0 src0=1 src1=1 src2=0
	v_mul_i32_i24_e32 v124, v2 /*v258*/, v157 /*v413*/
	v_mul_i32_i24_e32 v157, v7 /*v263*/, v158 /*v414*/
	s_set_vgpr_msb 64                       ;  msbs: dst=1 src0=0 src1=0 src2=0
	v_bfe_u32 v8 /*v264*/, v159, 4, 4
	v_bfe_u32 v9 /*v265*/, v159, 12, 4
	s_set_vgpr_msb 0                        ;  msbs: dst=0 src0=0 src1=0 src2=0
	v_lshrrev_b16 v96, 8, v96
	s_set_vgpr_msb 64                       ;  msbs: dst=1 src0=0 src1=0 src2=0
	v_bfe_u32 v6 /*v262*/, v159, 20, 4
	s_set_vgpr_msb 5                        ;  msbs: dst=0 src0=1 src1=1 src2=0
	v_mul_i32_i24_e32 v159, v10 /*v266*/, v156 /*v412*/
	v_mul_i32_i24_e32 v158, v8 /*v264*/, v140 /*v396*/
	;; [unrolled: 1-line block ×3, first 2 shown]
	s_set_vgpr_msb 64                       ;  msbs: dst=1 src0=0 src1=0 src2=0
	v_and_b32_e32 v166 /*v422*/, 15, v96
	s_set_vgpr_msb 0                        ;  msbs: dst=0 src0=0 src1=0 src2=0
	ds_load_2addr_b32 v[96:97], v99 offset1:1
	s_set_vgpr_msb 1                        ;  msbs: dst=0 src0=1 src1=0 src2=0
	v_mul_i32_i24_e32 v99, v55 /*v311*/, v244
	s_set_vgpr_msb 5                        ;  msbs: dst=0 src0=1 src1=1 src2=0
	v_mul_i32_i24_e32 v165, v6 /*v262*/, v155 /*v411*/
	s_set_vgpr_msb 64                       ;  msbs: dst=1 src0=0 src1=0 src2=0
	v_bfe_u32 v11 /*v267*/, v160, 4, 4
	v_bfe_u32 v12 /*v268*/, v160, 12, 4
	v_lshrrev_b32_e32 v13 /*v269*/, 28, v160
	v_bfe_u32 v14 /*v270*/, v160, 20, 4
	v_bfe_u32 v15 /*v271*/, v161, 4, 4
	s_set_vgpr_msb 5                        ;  msbs: dst=0 src0=1 src1=1 src2=0
	v_mul_i32_i24_e32 v166, v11 /*v267*/, v141 /*v397*/
	v_mul_i32_i24_e32 v167, v12 /*v268*/, v142 /*v398*/
	;; [unrolled: 1-line block ×4, first 2 shown]
	s_set_vgpr_msb 64                       ;  msbs: dst=1 src0=0 src1=0 src2=0
	v_bfe_u32 v16 /*v272*/, v161, 12, 4
	s_set_vgpr_msb 5                        ;  msbs: dst=0 src0=1 src1=1 src2=0
	v_mul_i32_i24_e32 v170, v143 /*v399*/, v15 /*v271*/
	s_set_vgpr_msb 64                       ;  msbs: dst=1 src0=0 src1=0 src2=0
	v_bfe_u32 v18 /*v274*/, v161, 20, 4
	s_set_vgpr_msb 5                        ;  msbs: dst=0 src0=1 src1=1 src2=0
	v_mul_i32_i24_e32 v161, v151 /*v407*/, v17 /*v273*/
	;; [unrolled: 4-line block ×4, first 2 shown]
	s_wait_dscnt 0x0
	s_set_vgpr_msb 0                        ;  msbs: dst=0 src0=0 src1=0 src2=0
	v_dual_lshrrev_b32 v252, 28, v96 :: v_dual_bitop2_b32 v220, 15, v96 bitop3:0x40
	v_bfe_u32 v219, v96, 8, 4
	v_bfe_u32 v221, v96, 16, 4
	;; [unrolled: 1-line block ×3, first 2 shown]
	s_set_vgpr_msb 4                        ;  msbs: dst=0 src0=0 src1=1 src2=0
	v_mul_i32_i24_e32 v102, v220, v29 /*v285*/
	s_set_vgpr_msb 0                        ;  msbs: dst=0 src0=0 src1=0 src2=0
	v_and_b32_e32 v223, 15, v97
	v_bfe_u32 v224, v97, 8, 4
	s_set_vgpr_msb 4                        ;  msbs: dst=0 src0=0 src1=1 src2=0
	v_mul_i32_i24_e32 v104, v221, v32 /*v288*/
	v_mul_i32_i24_e32 v107, v222, v50 /*v306*/
	v_mad_i32_i24 v102, v219, v33 /*v289*/, v102
	v_bfe_u32 v225, v97, 16, 4
	v_bfe_u32 v226, v97, 24, 4
	;; [unrolled: 1-line block ×4, first 2 shown]
	s_set_vgpr_msb 0                        ;  msbs: dst=0 src0=0 src1=0 src2=0
	v_add3_u32 v102, v102, v104, v107
	s_set_vgpr_msb 4                        ;  msbs: dst=0 src0=0 src1=1 src2=0
	v_mul_i32_i24_e32 v104, v223, v34 /*v290*/
	v_mul_i32_i24_e32 v107, v224, v35 /*v291*/
	;; [unrolled: 1-line block ×4, first 2 shown]
	v_bfe_u32 v248, v96, 12, 4
	v_mul_i32_i24_e32 v96, v252, v162 /*v418*/
	s_set_vgpr_msb 0                        ;  msbs: dst=0 src0=0 src1=0 src2=0
	v_add3_u32 v102, v102, v107, v104
	s_set_vgpr_msb 4                        ;  msbs: dst=0 src0=0 src1=1 src2=0
	v_mul_i32_i24_e32 v104, v227, v38 /*v294*/
	v_mul_i32_i24_e32 v107, v228, v39 /*v295*/
	v_bfe_u32 v255, v97, 4, 4
	s_set_vgpr_msb 64                       ;  msbs: dst=1 src0=0 src1=0 src2=0
	v_bfe_u32 v1 /*v257*/, v97, 12, 4
	s_set_vgpr_msb 0                        ;  msbs: dst=0 src0=0 src1=0 src2=0
	v_add3_u32 v102, v102, v109, v113
	s_set_vgpr_msb 4                        ;  msbs: dst=0 src0=0 src1=1 src2=0
	v_mul_i32_i24_e32 v109, v229, v40 /*v296*/
	v_mul_i32_i24_e32 v113, v230, v41 /*v297*/
	v_bfe_u32 v250, v97, 20, 4
	s_set_vgpr_msb 64                       ;  msbs: dst=1 src0=0 src1=0 src2=0
	v_lshrrev_b32_e32 v3 /*v259*/, 28, v97
	s_set_vgpr_msb 0                        ;  msbs: dst=0 src0=0 src1=0 src2=0
	v_add3_u32 v102, v102, v107, v104
	s_set_vgpr_msb 4                        ;  msbs: dst=0 src0=0 src1=1 src2=0
	v_mul_i32_i24_e32 v104, v231, v42 /*v298*/
	v_mul_i32_i24_e32 v107, v232, v43 /*v299*/
	s_set_vgpr_msb 5                        ;  msbs: dst=0 src0=1 src1=1 src2=0
	v_mul_i32_i24_e32 v172, v147 /*v403*/, v20 /*v276*/
	v_mul_i32_i24_e32 v97, v3 /*v259*/, v160 /*v416*/
	s_set_vgpr_msb 0                        ;  msbs: dst=0 src0=0 src1=0 src2=0
	v_add3_u32 v102, v102, v109, v113
	s_set_vgpr_msb 4                        ;  msbs: dst=0 src0=0 src1=1 src2=0
	v_mul_i32_i24_e32 v109, v233, v44 /*v300*/
	v_mul_i32_i24_e32 v113, v234, v45 /*v301*/
	s_set_vgpr_msb 5                        ;  msbs: dst=0 src0=1 src1=1 src2=0
	v_mul_i32_i24_e32 v173, v146 /*v402*/, v19 /*v275*/
	s_set_vgpr_msb 64                       ;  msbs: dst=1 src0=0 src1=0 src2=0
	v_bfe_u32 v22 /*v278*/, v162, 20, 4
	s_set_vgpr_msb 0                        ;  msbs: dst=0 src0=0 src1=0 src2=0
	v_add3_u32 v102, v102, v107, v104
	s_set_vgpr_msb 4                        ;  msbs: dst=0 src0=0 src1=1 src2=0
	v_mul_i32_i24_e32 v104, v235, v46 /*v302*/
	v_mul_i32_i24_e32 v107, v236, v47 /*v303*/
	s_set_vgpr_msb 5                        ;  msbs: dst=0 src0=1 src1=1 src2=0
	v_mul_i32_i24_e32 v162, v149 /*v405*/, v21 /*v277*/
	v_mul_i32_i24_e32 v174, v148 /*v404*/, v22 /*v278*/
	s_set_vgpr_msb 0                        ;  msbs: dst=0 src0=0 src1=0 src2=0
	v_add3_u32 v102, v102, v109, v113
	s_set_vgpr_msb 4                        ;  msbs: dst=0 src0=0 src1=1 src2=0
	v_mul_i32_i24_e32 v109, v237, v48 /*v304*/
	v_mul_i32_i24_e32 v113, v238, v49 /*v305*/
	s_set_vgpr_msb 64                       ;  msbs: dst=1 src0=0 src1=0 src2=0
	v_bfe_u32 v23 /*v279*/, v163, 4, 4
	v_bfe_u32 v24 /*v280*/, v163, 12, 4
	s_set_vgpr_msb 0                        ;  msbs: dst=0 src0=0 src1=0 src2=0
	v_add3_u32 v102, v102, v107, v104
	s_set_vgpr_msb 1                        ;  msbs: dst=0 src0=1 src1=0 src2=0
	v_mul_i32_i24_e32 v104, v51 /*v307*/, v240
	v_mul_i32_i24_e32 v107, v52 /*v308*/, v239
	s_set_vgpr_msb 5                        ;  msbs: dst=0 src0=1 src1=1 src2=0
	v_mul_i32_i24_e32 v175, v23 /*v279*/, v27 /*v283*/
	v_mul_i32_i24_e32 v176, v24 /*v280*/, v26 /*v282*/
	s_set_vgpr_msb 0                        ;  msbs: dst=0 src0=0 src1=0 src2=0
	v_add3_u32 v102, v102, v109, v113
	s_set_vgpr_msb 1                        ;  msbs: dst=0 src0=1 src1=0 src2=0
	v_mul_i32_i24_e32 v109, v54 /*v310*/, v241
	v_mul_i32_i24_e32 v113, v53 /*v309*/, v242
	s_set_vgpr_msb 0                        ;  msbs: dst=0 src0=0 src1=0 src2=0
	v_bfe_u32 v254, v163, 16, 4
	s_set_vgpr_msb 64                       ;  msbs: dst=1 src0=0 src1=0 src2=0
	v_bfe_u32 v0 /*v256*/, v163, 24, 4
	s_set_vgpr_msb 0                        ;  msbs: dst=0 src0=0 src1=0 src2=0
	v_add3_u32 v102, v102, v107, v104
	s_set_vgpr_msb 1                        ;  msbs: dst=0 src0=1 src1=0 src2=0
	v_mul_i32_i24_e32 v104, v57 /*v313*/, v243
	v_mul_i32_i24_e32 v107, v60 /*v316*/, v245
	s_set_vgpr_msb 64                       ;  msbs: dst=1 src0=0 src1=0 src2=0
	v_bfe_u32 v25 /*v281*/, v163, 20, 4
	s_set_vgpr_msb 0x41                     ;  msbs: dst=1 src0=1 src1=0 src2=0
	v_mul_i32_i24_e32 v176 /*v432*/, v0 /*v256*/, v108
	s_set_vgpr_msb 0                        ;  msbs: dst=0 src0=0 src1=0 src2=0
	v_add3_u32 v102, v102, v113, v109
	s_set_vgpr_msb 1                        ;  msbs: dst=0 src0=1 src1=0 src2=0
	v_mul_i32_i24_e32 v109, v59 /*v315*/, v247
	s_set_vgpr_msb 4                        ;  msbs: dst=0 src0=0 src1=1 src2=0
	v_mul_i32_i24_e32 v113, v250, v159 /*v415*/
	s_set_vgpr_msb 0x41                     ;  msbs: dst=1 src0=1 src1=0 src2=0
	v_mul_i32_i24_e32 v181 /*v437*/, v25 /*v281*/, v106
	s_set_vgpr_msb 0x44                     ;  msbs: dst=1 src0=0 src1=1 src2=0
	v_mul_i32_i24_e32 v175 /*v431*/, v254, v28 /*v284*/
	s_set_vgpr_msb 0                        ;  msbs: dst=0 src0=0 src1=0 src2=0
	v_add3_u32 v99, v102, v104, v99
	s_set_vgpr_msb 4                        ;  msbs: dst=0 src0=0 src1=1 src2=0
	v_mul_i32_i24_e32 v102, v251, v58 /*v314*/
	v_mul_i32_i24_e32 v104, v253, v56 /*v312*/
	s_set_vgpr_msb 0                        ;  msbs: dst=0 src0=0 src1=0 src2=0
	v_add3_u32 v99, v99, v109, v107
	s_set_vgpr_msb 4                        ;  msbs: dst=0 src0=0 src1=1 src2=0
	v_mul_i32_i24_e32 v107, v246, v161 /*v417*/
	s_set_vgpr_msb 0                        ;  msbs: dst=0 src0=0 src1=0 src2=0
	v_lshrrev_b32_e32 v109, 28, v163
	s_set_vgpr_msb 64                       ;  msbs: dst=1 src0=0 src1=0 src2=0
	v_add3_u32 v177 /*v433*/, v99, v104, v102
	s_set_vgpr_msb 0                        ;  msbs: dst=0 src0=0 src1=0 src2=0
	ds_load_u16 v99, v94
	ds_load_u16 v94, v94 offset:8
	s_wait_dscnt 0x1
	v_lshrrev_b16 v104, 8, v99
	v_and_b32_e32 v218, 0xff, v99
	s_set_vgpr_msb 4                        ;  msbs: dst=0 src0=0 src1=1 src2=0
	v_mul_i32_i24_e32 v99, v249, v134 /*v390*/
	s_wait_dscnt 0x0
	v_cvt_f32_ubyte0_e32 v102, v94
	s_delay_alu instid0(VALU_DEP_2) | instskip(SKIP_1) | instid1(VALU_DEP_1)
	v_mad_i32_i24 v99, v248, v133 /*v389*/, v99
	s_set_vgpr_msb 0                        ;  msbs: dst=0 src0=0 src1=0 src2=0
	v_add3_u32 v96, v99, v107, v96
	s_set_vgpr_msb 4                        ;  msbs: dst=0 src0=0 src1=1 src2=0
	v_mul_i32_i24_e32 v99, v255, v135 /*v391*/
	s_set_vgpr_msb 5                        ;  msbs: dst=0 src0=1 src1=1 src2=0
	v_mul_i32_i24_e32 v107, v1 /*v257*/, v136 /*v392*/
	s_set_vgpr_msb 0                        ;  msbs: dst=0 src0=0 src1=0 src2=0
	s_delay_alu instid0(VALU_DEP_1) | instskip(SKIP_1) | instid1(VALU_DEP_2)
	v_add3_u32 v96, v96, v99, v107
	v_add_nc_u32_e32 v99, s16, v153
	v_add3_u32 v96, v96, v113, v97
	ds_load_2addr_b32 v[202:203], v99 offset0:2 offset1:3
	ds_load_2addr_b32 v[210:211], v99 offset0:4 offset1:5
	s_set_vgpr_msb 64                       ;  msbs: dst=1 src0=0 src1=0 src2=0
	ds_load_2addr_b32 v[30:31] /*v[286:287]*/, v99 offset0:6 offset1:7
	s_set_vgpr_msb 0                        ;  msbs: dst=0 src0=0 src1=0 src2=0
	v_add3_u32 v96, v96, v120, v122
	s_delay_alu instid0(VALU_DEP_1) | instskip(SKIP_3) | instid1(VALU_DEP_4)
	v_add3_u32 v96, v96, v124, v157
	v_and_b32_e32 v157, 0xffff, v104
	v_cvt_f32_ubyte1_e32 v104, v94
	v_add3_u32 v94, s17, v149, v146
	v_add3_u32 v96, v96, v158, v164
	s_delay_alu instid0(VALU_DEP_1)
	v_add3_u32 v96, v96, v165, v159
	s_wait_dscnt 0x2
	v_bfe_u32 v194, v202, 20, 4
	v_bfe_u32 v196, v202, 4, 4
	;; [unrolled: 1-line block ×3, first 2 shown]
	s_wait_dscnt 0x1
	v_bfe_u32 v178, v211, 16, 4
	v_add3_u32 v96, v96, v166, v167
	v_bfe_u32 v166, v202, 24, 4
	s_wait_dscnt 0x0
	s_set_vgpr_msb 1                        ;  msbs: dst=0 src0=1 src1=0 src2=0
	v_bfe_u32 v183, v30 /*v286*/, 16, 4
	s_set_vgpr_msb 4                        ;  msbs: dst=0 src0=0 src1=1 src2=0
	v_and_b32_e32 v187, 15, v31 /*v287*/
	s_set_vgpr_msb 1                        ;  msbs: dst=0 src0=1 src1=0 src2=0
	v_mul_i32_i24_e32 v181, v53 /*v309*/, v178
	s_set_vgpr_msb 0                        ;  msbs: dst=0 src0=0 src1=0 src2=0
	v_add3_u32 v96, v96, v168, v160
	s_set_vgpr_msb 1                        ;  msbs: dst=0 src0=1 src1=0 src2=0
	v_bfe_u32 v189, v31 /*v287*/, 8, 4
	v_lshrrev_b32_e32 v199, 28, v202
	v_mul_i32_i24_e32 v184, v59 /*v315*/, v183
	s_set_vgpr_msb 0x44                     ;  msbs: dst=1 src0=0 src1=1 src2=0
	v_mul_i32_i24_e32 v65 /*v321*/, v196, v137 /*v393*/
	s_set_vgpr_msb 0                        ;  msbs: dst=0 src0=0 src1=0 src2=0
	v_add3_u32 v96, v96, v170, v169
	s_set_vgpr_msb 4                        ;  msbs: dst=0 src0=0 src1=1 src2=0
	v_mul_i32_i24_e32 v169, v166, v41 /*v297*/
	v_bfe_u32 v170, v203, 24, 4
	s_set_vgpr_msb 0x44                     ;  msbs: dst=1 src0=0 src1=1 src2=0
	v_mul_i32_i24_e32 v66 /*v322*/, v197, v138 /*v394*/
	v_mul_i32_i24_e32 v67 /*v323*/, v194, v157 /*v413*/
	s_set_vgpr_msb 0                        ;  msbs: dst=0 src0=0 src1=0 src2=0
	v_add3_u32 v96, v96, v171, v161
	s_set_vgpr_msb 0x44                     ;  msbs: dst=1 src0=0 src1=1 src2=0
	v_mul_i32_i24_e32 v68 /*v324*/, v199, v158 /*v414*/
	s_set_vgpr_msb 0                        ;  msbs: dst=0 src0=0 src1=0 src2=0
	v_bfe_u32 v200, v203, 4, 4
	v_bfe_u32 v201, v203, 12, 4
	;; [unrolled: 1-line block ×3, first 2 shown]
	v_add3_u32 v96, v96, v173, v172
	s_set_vgpr_msb 4                        ;  msbs: dst=0 src0=0 src1=1 src2=0
	v_mul_i32_i24_e32 v173, v170, v45 /*v301*/
	s_set_vgpr_msb 0x44                     ;  msbs: dst=1 src0=0 src1=1 src2=0
	v_mul_i32_i24_e32 v69 /*v325*/, v200, v140 /*v396*/
	v_mul_i32_i24_e32 v70 /*v326*/, v201, v154 /*v410*/
	;; [unrolled: 1-line block ×3, first 2 shown]
	s_set_vgpr_msb 0                        ;  msbs: dst=0 src0=0 src1=0 src2=0
	v_add3_u32 v96, v96, v174, v162
	v_bfe_u32 v174, v210, 24, 4
	v_bfe_u32 v204, v210, 12, 4
	;; [unrolled: 1-line block ×4, first 2 shown]
	s_set_vgpr_msb 64                       ;  msbs: dst=1 src0=0 src1=0 src2=0
	v_add3_u32 v182 /*v438*/, v96, v175, v176
	s_set_vgpr_msb 0                        ;  msbs: dst=0 src0=0 src1=0 src2=0
	ds_load_2addr_b32 v[96:97], v99 offset1:1
	v_lshrrev_b32_e32 v205, 28, v210
	s_set_vgpr_msb 4                        ;  msbs: dst=0 src0=0 src1=1 src2=0
	v_mul_i32_i24_e32 v177, v174, v49 /*v305*/
	s_set_vgpr_msb 0x44                     ;  msbs: dst=1 src0=0 src1=1 src2=0
	v_mul_i32_i24_e32 v74 /*v330*/, v204, v142 /*v398*/
	s_set_vgpr_msb 0x41                     ;  msbs: dst=1 src0=1 src1=0 src2=0
	v_mul_i32_i24_e32 v76 /*v332*/, v152 /*v408*/, v206
	s_set_vgpr_msb 0                        ;  msbs: dst=0 src0=0 src1=0 src2=0
	v_bfe_u32 v208, v211, 12, 4
	s_set_vgpr_msb 0x41                     ;  msbs: dst=1 src0=1 src1=0 src2=0
	v_mul_i32_i24_e32 v75 /*v331*/, v153 /*v409*/, v205
	v_mul_i32_i24_e32 v78 /*v334*/, v143 /*v399*/, v207
	s_set_vgpr_msb 1                        ;  msbs: dst=0 src0=1 src1=0 src2=0
	v_bfe_u32 v212, v30 /*v286*/, 12, 4
	v_bfe_u32 v214, v30 /*v286*/, 20, 4
	s_set_vgpr_msb 0x41                     ;  msbs: dst=1 src0=1 src1=0 src2=0
	v_mul_i32_i24_e32 v77 /*v333*/, v144 /*v400*/, v208
	s_set_vgpr_msb 1                        ;  msbs: dst=0 src0=1 src1=0 src2=0
	v_bfe_u32 v215, v31 /*v287*/, 4, 4
	v_bfe_u32 v216, v31 /*v287*/, 12, 4
	s_set_vgpr_msb 0x41                     ;  msbs: dst=1 src0=1 src1=0 src2=0
	v_mul_i32_i24_e32 v81 /*v337*/, v147 /*v403*/, v212
	v_mul_i32_i24_e32 v83 /*v339*/, v148 /*v404*/, v214
	s_set_vgpr_msb 1                        ;  msbs: dst=0 src0=1 src1=0 src2=0
	v_bfe_u32 v190, v31 /*v287*/, 16, 4
	v_lshrrev_b32_e32 v209, 28, v211
	s_set_vgpr_msb 0x44                     ;  msbs: dst=1 src0=0 src1=1 src2=0
	v_mul_i32_i24_e32 v84 /*v340*/, v215, v27 /*v283*/
	v_mul_i32_i24_e32 v85 /*v341*/, v216, v26 /*v282*/
	s_set_vgpr_msb 1                        ;  msbs: dst=0 src0=1 src1=0 src2=0
	v_bfe_u32 v192, v31 /*v287*/, 24, 4
	s_wait_dscnt 0x0
	v_dual_lshrrev_b32 v195, 28, v97 :: v_dual_bitop2_b32 v122, 15, v96 bitop3:0x40
	s_set_vgpr_msb 4                        ;  msbs: dst=0 src0=0 src1=1 src2=0
	v_bfe_u32 v120, v96, 8, 4
	v_bfe_u32 v124, v96, 16, 4
	;; [unrolled: 1-line block ×3, first 2 shown]
	v_mul_i32_i24_e32 v107, v122, v29 /*v285*/
	v_bfe_u32 v160, v97, 8, 4
	v_bfe_u32 v161, v97, 16, 4
	v_mul_i32_i24_e32 v113, v124, v32 /*v288*/
	v_mul_i32_i24_e32 v159, v158, v50 /*v306*/
	v_mad_i32_i24 v107, v120, v33 /*v289*/, v107
	v_mul_i32_i24_e32 v163, v160, v35 /*v291*/
	v_bfe_u32 v162, v97, 24, 4
	v_mul_i32_i24_e32 v164, v161, v36 /*v292*/
	v_bfe_u32 v185, v96, 4, 4
	s_set_vgpr_msb 0                        ;  msbs: dst=0 src0=0 src1=0 src2=0
	v_add3_u32 v107, v107, v113, v159
	v_and_b32_e32 v159, 15, v97
	s_set_vgpr_msb 4                        ;  msbs: dst=0 src0=0 src1=1 src2=0
	v_mul_i32_i24_e32 v165, v162, v37 /*v293*/
	s_set_vgpr_msb 0                        ;  msbs: dst=0 src0=0 src1=0 src2=0
	v_lshrrev_b32_e32 v188, 28, v96
	v_bfe_u32 v191, v97, 4, 4
	v_bfe_u32 v193, v97, 12, 4
	s_set_vgpr_msb 4                        ;  msbs: dst=0 src0=0 src1=1 src2=0
	v_mul_i32_i24_e32 v113, v159, v34 /*v290*/
	s_set_vgpr_msb 0x44                     ;  msbs: dst=1 src0=0 src1=1 src2=0
	v_mul_i32_i24_e32 v64 /*v320*/, v195, v160 /*v416*/
	s_set_vgpr_msb 0x41                     ;  msbs: dst=1 src0=1 src1=0 src2=0
	v_mul_i32_i24_e32 v79 /*v335*/, v151 /*v407*/, v209
	s_set_vgpr_msb 1                        ;  msbs: dst=0 src0=1 src1=0 src2=0
	v_bfe_u32 v217, v31 /*v287*/, 20, 4
	s_set_vgpr_msb 0x44                     ;  msbs: dst=1 src0=0 src1=1 src2=0
	v_mul_i32_i24_e32 v62 /*v318*/, v193, v136 /*v392*/
	s_set_vgpr_msb 0                        ;  msbs: dst=0 src0=0 src1=0 src2=0
	v_add3_u32 v107, v107, v163, v113
	v_and_b32_e32 v163, 15, v202
	s_set_vgpr_msb 64                       ;  msbs: dst=1 src0=0 src1=0 src2=0
	v_mul_i32_i24_e32 v179 /*v435*/, v192, v108
	v_mul_i32_i24_e32 v183 /*v439*/, v217, v106
	s_set_vgpr_msb 0x44                     ;  msbs: dst=1 src0=0 src1=1 src2=0
	v_mul_i32_i24_e32 v178 /*v434*/, v190, v28 /*v284*/
	s_set_vgpr_msb 0                        ;  msbs: dst=0 src0=0 src1=0 src2=0
	v_add3_u32 v107, v107, v164, v165
	v_bfe_u32 v164, v202, 8, 4
	v_bfe_u32 v165, v202, 16, 4
	v_lshrrev_b32_e32 v202, 28, v203
	s_set_vgpr_msb 4                        ;  msbs: dst=0 src0=0 src1=1 src2=0
	v_mul_i32_i24_e32 v113, v163, v38 /*v294*/
	v_lshrrev_b32_e32 v213, 28, v30 /*v286*/
	v_mul_i32_i24_e32 v167, v164, v39 /*v295*/
	v_mul_i32_i24_e32 v168, v165, v40 /*v296*/
	s_set_vgpr_msb 0x44                     ;  msbs: dst=1 src0=0 src1=1 src2=0
	v_mul_i32_i24_e32 v72 /*v328*/, v202, v156 /*v412*/
	s_set_vgpr_msb 0                        ;  msbs: dst=0 src0=0 src1=0 src2=0
	v_add3_u32 v107, v107, v167, v113
	v_and_b32_e32 v167, 15, v203
	s_delay_alu instid0(VALU_DEP_2) | instskip(SKIP_2) | instid1(VALU_DEP_3)
	v_add3_u32 v107, v107, v168, v169
	v_bfe_u32 v168, v203, 8, 4
	s_set_vgpr_msb 4                        ;  msbs: dst=0 src0=0 src1=1 src2=0
	v_mul_i32_i24_e32 v113, v167, v42 /*v298*/
	v_bfe_u32 v169, v203, 16, 4
	v_bfe_u32 v203, v210, 4, 4
	v_mul_i32_i24_e32 v171, v168, v43 /*v299*/
	s_delay_alu instid0(VALU_DEP_3) | instskip(SKIP_1) | instid1(VALU_DEP_3)
	v_mul_i32_i24_e32 v172, v169, v44 /*v300*/
	s_set_vgpr_msb 0x44                     ;  msbs: dst=1 src0=0 src1=1 src2=0
	v_mul_i32_i24_e32 v73 /*v329*/, v203, v141 /*v397*/
	s_set_vgpr_msb 0                        ;  msbs: dst=0 src0=0 src1=0 src2=0
	v_add3_u32 v107, v107, v171, v113
	v_and_b32_e32 v171, 15, v210
	s_delay_alu instid0(VALU_DEP_2) | instskip(SKIP_2) | instid1(VALU_DEP_3)
	v_add3_u32 v107, v107, v172, v173
	v_bfe_u32 v172, v210, 8, 4
	s_set_vgpr_msb 4                        ;  msbs: dst=0 src0=0 src1=1 src2=0
	v_mul_i32_i24_e32 v113, v171, v46 /*v302*/
	v_bfe_u32 v173, v210, 16, 4
	v_bfe_u32 v210, v211, 20, 4
	v_mul_i32_i24_e32 v175, v172, v47 /*v303*/
	s_delay_alu instid0(VALU_DEP_3) | instskip(SKIP_1) | instid1(VALU_DEP_3)
	v_mul_i32_i24_e32 v176, v173, v48 /*v304*/
	s_set_vgpr_msb 0x41                     ;  msbs: dst=1 src0=1 src1=0 src2=0
	v_mul_i32_i24_e32 v80 /*v336*/, v150 /*v406*/, v210
	s_set_vgpr_msb 0                        ;  msbs: dst=0 src0=0 src1=0 src2=0
	v_add3_u32 v107, v107, v175, v113
	v_bfe_u32 v175, v211, 8, 4
	s_delay_alu instid0(VALU_DEP_2) | instskip(SKIP_2) | instid1(VALU_DEP_3)
	v_add3_u32 v107, v107, v176, v177
	v_and_b32_e32 v176, 15, v211
	s_set_vgpr_msb 1                        ;  msbs: dst=0 src0=1 src1=0 src2=0
	v_mul_i32_i24_e32 v179, v52 /*v308*/, v175
	s_set_vgpr_msb 0                        ;  msbs: dst=0 src0=0 src1=0 src2=0
	v_bfe_u32 v177, v211, 24, 4
	s_set_vgpr_msb 1                        ;  msbs: dst=0 src0=1 src1=0 src2=0
	v_bfe_u32 v211, v30 /*v286*/, 4, 4
	v_mul_i32_i24_e32 v113, v51 /*v307*/, v176
	s_delay_alu instid0(VALU_DEP_3) | instskip(SKIP_1) | instid1(VALU_DEP_3)
	v_mul_i32_i24_e32 v180, v54 /*v310*/, v177
	s_set_vgpr_msb 0x41                     ;  msbs: dst=1 src0=1 src1=0 src2=0
	v_mul_i32_i24_e32 v82 /*v338*/, v146 /*v402*/, v211
	s_set_vgpr_msb 0                        ;  msbs: dst=0 src0=0 src1=0 src2=0
	v_add3_u32 v107, v107, v179, v113
	s_set_vgpr_msb 1                        ;  msbs: dst=0 src0=1 src1=0 src2=0
	v_bfe_u32 v179, v30 /*v286*/, 8, 4
	s_set_vgpr_msb 0                        ;  msbs: dst=0 src0=0 src1=0 src2=0
	s_delay_alu instid0(VALU_DEP_2)
	v_add3_u32 v107, v107, v181, v180
	s_set_vgpr_msb 4                        ;  msbs: dst=0 src0=0 src1=1 src2=0
	v_and_b32_e32 v180, 15, v30 /*v286*/
	s_set_vgpr_msb 1                        ;  msbs: dst=0 src0=1 src1=0 src2=0
	v_mul_i32_i24_e32 v113, v57 /*v313*/, v179
	v_bfe_u32 v181, v30 /*v286*/, 24, 4
	s_set_vgpr_msb 0x41                     ;  msbs: dst=1 src0=1 src1=0 src2=0
	v_mul_i32_i24_e32 v30 /*v286*/, v149 /*v405*/, v213
	s_set_vgpr_msb 1                        ;  msbs: dst=0 src0=1 src1=0 src2=0
	v_mul_i32_i24_e32 v99, v55 /*v311*/, v180
	v_mul_i32_i24_e32 v182, v60 /*v316*/, v181
	s_set_vgpr_msb 0                        ;  msbs: dst=0 src0=0 src1=0 src2=0
	s_delay_alu instid0(VALU_DEP_2)
	v_add3_u32 v99, v107, v113, v99
	s_set_vgpr_msb 4                        ;  msbs: dst=0 src0=0 src1=1 src2=0
	v_mul_i32_i24_e32 v107, v187, v58 /*v314*/
	v_mul_i32_i24_e32 v113, v189, v56 /*v312*/
	s_set_vgpr_msb 0                        ;  msbs: dst=0 src0=0 src1=0 src2=0
	v_add3_u32 v99, v99, v184, v182
	v_bfe_u32 v182, v96, 20, 4
	v_bfe_u32 v184, v96, 12, 4
	s_set_vgpr_msb 4                        ;  msbs: dst=0 src0=0 src1=1 src2=0
	v_mul_i32_i24_e32 v96, v188, v162 /*v418*/
	s_set_vgpr_msb 64                       ;  msbs: dst=1 src0=0 src1=0 src2=0
	v_add3_u32 v180 /*v436*/, v99, v113, v107
	s_set_vgpr_msb 4                        ;  msbs: dst=0 src0=0 src1=1 src2=0
	ds_load_u16 v99, v94
	ds_load_u16 v113, v94 offset:8
	v_mul_i32_i24_e32 v186, v182, v161 /*v417*/
	s_wait_dscnt 0x1
	s_set_vgpr_msb 64                       ;  msbs: dst=1 src0=0 src1=0 src2=0
	v_lshrrev_b16 v61 /*v317*/, 8, v99
	s_set_vgpr_msb 0                        ;  msbs: dst=0 src0=0 src1=0 src2=0
	v_and_b32_e32 v107, 0xff, v99
	s_set_vgpr_msb 4                        ;  msbs: dst=0 src0=0 src1=1 src2=0
	v_mul_i32_i24_e32 v99, v185, v134 /*v390*/
	s_wait_dscnt 0x0
	v_cvt_f32_ubyte0_e32 v94, v113
	s_delay_alu instid0(VALU_DEP_2) | instskip(SKIP_1) | instid1(VALU_DEP_1)
	v_mad_i32_i24 v99, v184, v133 /*v389*/, v99
	s_set_vgpr_msb 0                        ;  msbs: dst=0 src0=0 src1=0 src2=0
	v_add3_u32 v96, v99, v186, v96
	v_bfe_u32 v186, v97, 20, 4
	s_set_vgpr_msb 4                        ;  msbs: dst=0 src0=0 src1=1 src2=0
	v_mul_i32_i24_e32 v99, v191, v135 /*v391*/
	v_lshrrev_b32_e32 v97, 28, v31 /*v287*/
	s_set_vgpr_msb 0x44                     ;  msbs: dst=1 src0=0 src1=1 src2=0
	v_mul_i32_i24_e32 v63 /*v319*/, v186, v159 /*v415*/
	s_set_vgpr_msb 16                       ;  msbs: dst=0 src0=0 src1=0 src2=1
	v_add3_u32 v96, v96, v99, v62 /*v318*/
	s_set_vgpr_msb 4                        ;  msbs: dst=0 src0=0 src1=1 src2=0
	v_and_b32_e32 v99, 0xffff, v61 /*v317*/
	s_set_vgpr_msb 64                       ;  msbs: dst=1 src0=0 src1=0 src2=0
	v_add_nc_u32_e32 v61 /*v317*/, s16, v154
	s_mov_b32 s16, 8
	s_set_vgpr_msb 20                       ;  msbs: dst=0 src0=0 src1=1 src2=1
	v_add3_u32 v96, v96, v63 /*v319*/, v64 /*v320*/
	s_set_vgpr_msb 0x41                     ;  msbs: dst=1 src0=1 src1=0 src2=0
	ds_load_2addr_b32 v[188:189] /*v[444:445]*/, v61 /*v317*/ offset0:6 offset1:7
	s_set_vgpr_msb 20                       ;  msbs: dst=0 src0=0 src1=1 src2=1
	v_add3_u32 v96, v96, v65 /*v321*/, v66 /*v322*/
	s_delay_alu instid0(VALU_DEP_1) | instskip(NEXT) | instid1(VALU_DEP_1)
	v_add3_u32 v96, v96, v67 /*v323*/, v68 /*v324*/
	v_add3_u32 v96, v96, v69 /*v325*/, v70 /*v326*/
	s_set_vgpr_msb 0x41                     ;  msbs: dst=1 src0=1 src1=0 src2=0
	ds_load_2addr_b32 v[68:69] /*v[324:325]*/, v61 /*v317*/ offset1:1
	s_set_vgpr_msb 20                       ;  msbs: dst=0 src0=0 src1=1 src2=1
	v_add3_u32 v96, v96, v71 /*v327*/, v72 /*v328*/
	s_wait_dscnt 0x1
	s_set_vgpr_msb 0x41                     ;  msbs: dst=1 src0=1 src1=0 src2=0
	v_bfe_u32 v90 /*v346*/, v189 /*v445*/, 12, 4
	v_bfe_u32 v91 /*v347*/, v189 /*v445*/, 20, 4
	;; [unrolled: 1-line block ×3, first 2 shown]
	s_set_vgpr_msb 20                       ;  msbs: dst=0 src0=0 src1=1 src2=1
	v_add3_u32 v96, v96, v73 /*v329*/, v74 /*v330*/
	s_set_vgpr_msb 0x45                     ;  msbs: dst=1 src0=1 src1=1 src2=0
	v_bfe_u32 v88 /*v344*/, v188 /*v444*/, 20, 4
	v_mul_i32_i24_e32 v216 /*v472*/, v90 /*v346*/, v26 /*v282*/
	v_bfe_u32 v66 /*v322*/, v189 /*v445*/, 24, 4
	v_mul_i32_i24_e32 v212 /*v468*/, v147 /*v403*/, v86 /*v342*/
	s_set_vgpr_msb 20                       ;  msbs: dst=0 src0=0 src1=1 src2=1
	v_add3_u32 v96, v96, v76 /*v332*/, v75 /*v331*/
	s_set_vgpr_msb 0x45                     ;  msbs: dst=1 src0=1 src1=1 src2=0
	v_mul_i32_i24_e32 v215 /*v471*/, v148 /*v404*/, v88 /*v344*/
	v_bfe_u32 v89 /*v345*/, v189 /*v445*/, 4, 4
	s_set_vgpr_msb 0x41                     ;  msbs: dst=1 src0=1 src1=0 src2=0
	v_mul_i32_i24_e32 v186 /*v442*/, v66 /*v322*/, v108
	s_set_vgpr_msb 0x44                     ;  msbs: dst=1 src0=0 src1=1 src2=0
	v_lshrrev_b32_e32 v87 /*v343*/, 28, v188 /*v444*/
	s_set_vgpr_msb 20                       ;  msbs: dst=0 src0=0 src1=1 src2=1
	v_add3_u32 v96, v96, v78 /*v334*/, v77 /*v333*/
	s_set_vgpr_msb 0x45                     ;  msbs: dst=1 src0=1 src1=1 src2=0
	ds_load_2addr_b32 v[76:77] /*v[332:333]*/, v61 /*v317*/ offset0:2 offset1:3
	v_mul_i32_i24_e32 v27 /*v283*/, v89 /*v345*/, v27 /*v283*/
	v_lshrrev_b32_e32 v26 /*v282*/, 28, v189 /*v445*/
	v_mul_i32_i24_e32 v214 /*v470*/, v149 /*v405*/, v87 /*v343*/
	s_set_vgpr_msb 20                       ;  msbs: dst=0 src0=0 src1=1 src2=1
	v_add3_u32 v96, v96, v80 /*v336*/, v79 /*v335*/
	s_set_vgpr_msb 0x45                     ;  msbs: dst=1 src0=1 src1=1 src2=0
	v_mul_i32_i24_e32 v149 /*v405*/, v120 /*v376*/, v149 /*v405*/
	s_set_vgpr_msb 20                       ;  msbs: dst=0 src0=0 src1=1 src2=1
	s_delay_alu instid0(VALU_DEP_2) | instskip(NEXT) | instid1(VALU_DEP_1)
	v_add3_u32 v96, v96, v82 /*v338*/, v81 /*v337*/
	v_add3_u32 v96, v96, v83 /*v339*/, v30 /*v286*/
	s_set_vgpr_msb 0x54                     ;  msbs: dst=1 src0=0 src1=1 src2=1
	s_delay_alu instid0(VALU_DEP_1)
	v_add3_u32 v184 /*v440*/, v96, v84 /*v340*/, v85 /*v341*/
	s_set_vgpr_msb 0x41                     ;  msbs: dst=1 src0=1 src1=0 src2=0
	ds_load_2addr_b32 v[84:85] /*v[340:341]*/, v61 /*v317*/ offset0:4 offset1:5
	s_wait_dscnt 0x2
	s_set_vgpr_msb 0x44                     ;  msbs: dst=1 src0=0 src1=1 src2=0
	v_and_b32_e32 v30 /*v286*/, 15, v68 /*v324*/
	s_set_vgpr_msb 0x41                     ;  msbs: dst=1 src0=1 src1=0 src2=0
	v_bfe_u32 v31 /*v287*/, v68 /*v324*/, 16, 4
	s_wait_dscnt 0x1
	s_set_vgpr_msb 0x44                     ;  msbs: dst=1 src0=0 src1=1 src2=0
	v_lshrrev_b32_e32 v73 /*v329*/, 28, v76 /*v332*/
	s_set_vgpr_msb 0x55                     ;  msbs: dst=1 src0=1 src1=1 src2=1
	v_bfe_u32 v70 /*v326*/, v76 /*v332*/, 4, 4
	v_bfe_u32 v71 /*v327*/, v76 /*v332*/, 12, 4
	v_mul_i32_i24_e32 v62 /*v318*/, v30 /*v286*/, v29 /*v285*/
	v_bfe_u32 v29 /*v285*/, v68 /*v324*/, 8, 4
	v_mul_i32_i24_e32 v63 /*v319*/, v31 /*v287*/, v32 /*v288*/
	v_bfe_u32 v32 /*v288*/, v68 /*v324*/, 24, 4
	v_bfe_u32 v72 /*v328*/, v77 /*v333*/, 20, 4
	;; [unrolled: 1-line block ×3, first 2 shown]
	v_mad_i32_i24 v33 /*v289*/, v29 /*v285*/, v33 /*v289*/, v62 /*v318*/
	v_bfe_u32 v75 /*v331*/, v77 /*v333*/, 12, 4
	v_mul_i32_i24_e32 v50 /*v306*/, v32 /*v288*/, v50 /*v306*/
	v_mul_i32_i24_e32 v196 /*v452*/, v70 /*v326*/, v137 /*v393*/
	;; [unrolled: 1-line block ×5, first 2 shown]
	v_add3_u32 v50 /*v306*/, v33 /*v289*/, v63 /*v319*/, v50 /*v306*/
	s_wait_dscnt 0x0
	v_dual_lshrrev_b32 v79 /*v335*/, 28, v84 /*v340*/ :: v_dual_bitop2_b32 v33 /*v289*/, 15, v69 /*v325*/ bitop3:0x40
	v_lshrrev_b32_e32 v83 /*v339*/, 28, v85 /*v341*/
	v_bfe_u32 v78 /*v334*/, v84 /*v340*/, 12, 4
	v_bfe_u32 v80 /*v336*/, v84 /*v340*/, 20, 4
	s_delay_alu instid0(VALU_DEP_4)
	v_mul_i32_i24_e32 v62 /*v318*/, v33 /*v289*/, v34 /*v290*/
	v_bfe_u32 v34 /*v290*/, v69 /*v325*/, 8, 4
	v_bfe_u32 v81 /*v337*/, v85 /*v341*/, 4, 4
	v_bfe_u32 v82 /*v338*/, v85 /*v341*/, 12, 4
	v_mul_i32_i24_e32 v201 /*v457*/, v75 /*v331*/, v154 /*v410*/
	v_mul_i32_i24_e32 v202 /*v458*/, v72 /*v328*/, v155 /*v411*/
	;; [unrolled: 1-line block ×3, first 2 shown]
	v_bfe_u32 v35 /*v291*/, v69 /*v325*/, 16, 4
	v_mul_i32_i24_e32 v205 /*v461*/, v78 /*v334*/, v142 /*v398*/
	v_mul_i32_i24_e32 v206 /*v462*/, v153 /*v409*/, v79 /*v335*/
	;; [unrolled: 1-line block ×3, first 2 shown]
	v_add3_u32 v50 /*v306*/, v50 /*v306*/, v63 /*v319*/, v62 /*v318*/
	v_mul_i32_i24_e32 v64 /*v320*/, v35 /*v291*/, v36 /*v292*/
	v_bfe_u32 v36 /*v292*/, v69 /*v325*/, 24, 4
	s_set_vgpr_msb 0                        ;  msbs: dst=0 src0=0 src1=0 src2=0
	v_cvt_f32_ubyte1_e32 v96, v113
	v_add3_u32 v113, s17, v150, v147
	s_set_vgpr_msb 0x45                     ;  msbs: dst=1 src0=1 src1=1 src2=0
	v_mul_i32_i24_e32 v208 /*v464*/, v144 /*v400*/, v82 /*v338*/
	v_mul_i32_i24_e32 v209 /*v465*/, v143 /*v399*/, v81 /*v337*/
	;; [unrolled: 1-line block ×3, first 2 shown]
	s_set_vgpr_msb 0                        ;  msbs: dst=0 src0=0 src1=0 src2=0
	ds_load_u16 v108, v113
	ds_load_u16 v113, v113 offset:8
	s_set_vgpr_msb 0x55                     ;  msbs: dst=1 src0=1 src1=1 src2=1
	v_mul_i32_i24_e32 v210 /*v466*/, v151 /*v407*/, v83 /*v339*/
	v_mul_i32_i24_e32 v158 /*v414*/, v116 /*v372*/, v158 /*v414*/
	v_add3_u32 v50 /*v306*/, v50 /*v306*/, v64 /*v320*/, v37 /*v293*/
	v_and_b32_e32 v37 /*v293*/, 15, v76 /*v332*/
	v_mul_i32_i24_e32 v151 /*v407*/, v119 /*v375*/, v151 /*v407*/
	s_delay_alu instid0(VALU_DEP_2) | instskip(SKIP_1) | instid1(VALU_DEP_1)
	v_mul_i32_i24_e32 v62 /*v318*/, v37 /*v293*/, v38 /*v294*/
	v_bfe_u32 v38 /*v294*/, v76 /*v332*/, 8, 4
	v_mul_i32_i24_e32 v63 /*v319*/, v38 /*v294*/, v39 /*v295*/
	v_bfe_u32 v39 /*v295*/, v76 /*v332*/, 16, 4
	s_wait_dscnt 0x1
	s_set_vgpr_msb 64                       ;  msbs: dst=1 src0=0 src1=0 src2=0
	v_lshrrev_b16 v190 /*v446*/, 8, v108
	s_set_vgpr_msb 0x55                     ;  msbs: dst=1 src0=1 src1=1 src2=1
	v_add3_u32 v50 /*v306*/, v50 /*v306*/, v63 /*v319*/, v62 /*v318*/
	v_mul_i32_i24_e32 v64 /*v320*/, v39 /*v295*/, v40 /*v296*/
	v_bfe_u32 v40 /*v296*/, v76 /*v332*/, 24, 4
	s_delay_alu instid0(VALU_DEP_1) | instskip(NEXT) | instid1(VALU_DEP_1)
	v_mul_i32_i24_e32 v41 /*v297*/, v40 /*v296*/, v41 /*v297*/
	v_add3_u32 v50 /*v306*/, v50 /*v306*/, v64 /*v320*/, v41 /*v297*/
	v_and_b32_e32 v41 /*v297*/, 15, v77 /*v333*/
	s_delay_alu instid0(VALU_DEP_1) | instskip(SKIP_1) | instid1(VALU_DEP_1)
	v_mul_i32_i24_e32 v62 /*v318*/, v41 /*v297*/, v42 /*v298*/
	v_bfe_u32 v42 /*v298*/, v77 /*v333*/, 8, 4
	v_mul_i32_i24_e32 v63 /*v319*/, v42 /*v298*/, v43 /*v299*/
	v_bfe_u32 v43 /*v299*/, v77 /*v333*/, 16, 4
	s_delay_alu instid0(VALU_DEP_2) | instskip(NEXT) | instid1(VALU_DEP_2)
	v_add3_u32 v50 /*v306*/, v50 /*v306*/, v63 /*v319*/, v62 /*v318*/
	v_mul_i32_i24_e32 v64 /*v320*/, v43 /*v299*/, v44 /*v300*/
	v_bfe_u32 v44 /*v300*/, v77 /*v333*/, 24, 4
	s_delay_alu instid0(VALU_DEP_1) | instskip(NEXT) | instid1(VALU_DEP_1)
	v_mul_i32_i24_e32 v45 /*v301*/, v44 /*v300*/, v45 /*v301*/
	v_add3_u32 v50 /*v306*/, v50 /*v306*/, v64 /*v320*/, v45 /*v301*/
	v_and_b32_e32 v45 /*v301*/, 15, v84 /*v340*/
	s_delay_alu instid0(VALU_DEP_1) | instskip(SKIP_1) | instid1(VALU_DEP_1)
	v_mul_i32_i24_e32 v62 /*v318*/, v45 /*v301*/, v46 /*v302*/
	v_bfe_u32 v46 /*v302*/, v84 /*v340*/, 8, 4
	v_mul_i32_i24_e32 v63 /*v319*/, v46 /*v302*/, v47 /*v303*/
	v_bfe_u32 v47 /*v303*/, v84 /*v340*/, 16, 4
	s_delay_alu instid0(VALU_DEP_2) | instskip(NEXT) | instid1(VALU_DEP_2)
	v_add3_u32 v50 /*v306*/, v50 /*v306*/, v63 /*v319*/, v62 /*v318*/
	v_mul_i32_i24_e32 v64 /*v320*/, v47 /*v303*/, v48 /*v304*/
	v_bfe_u32 v48 /*v304*/, v84 /*v340*/, 24, 4
	s_delay_alu instid0(VALU_DEP_1) | instskip(NEXT) | instid1(VALU_DEP_1)
	v_mul_i32_i24_e32 v49 /*v305*/, v48 /*v304*/, v49 /*v305*/
	v_add3_u32 v62 /*v318*/, v50 /*v306*/, v64 /*v320*/, v49 /*v305*/
	v_bfe_u32 v49 /*v305*/, v85 /*v341*/, 8, 4
	v_and_b32_e32 v50 /*v306*/, 15, v85 /*v341*/
	s_delay_alu instid0(VALU_DEP_2) | instskip(NEXT) | instid1(VALU_DEP_2)
	v_mul_i32_i24_e32 v64 /*v320*/, v52 /*v308*/, v49 /*v305*/
	v_mul_i32_i24_e32 v63 /*v319*/, v51 /*v307*/, v50 /*v306*/
	v_bfe_u32 v51 /*v307*/, v85 /*v341*/, 24, 4
	v_bfe_u32 v52 /*v308*/, v85 /*v341*/, 16, 4
	s_delay_alu instid0(VALU_DEP_3) | instskip(NEXT) | instid1(VALU_DEP_3)
	v_add3_u32 v62 /*v318*/, v62 /*v318*/, v64 /*v320*/, v63 /*v319*/
	v_mul_i32_i24_e32 v54 /*v310*/, v54 /*v310*/, v51 /*v307*/
	s_delay_alu instid0(VALU_DEP_3) | instskip(SKIP_1) | instid1(VALU_DEP_2)
	v_mul_i32_i24_e32 v53 /*v309*/, v53 /*v309*/, v52 /*v308*/
	v_bfe_u32 v64 /*v320*/, v189 /*v445*/, 16, 4
	v_add3_u32 v62 /*v318*/, v62 /*v318*/, v53 /*v309*/, v54 /*v310*/
	v_bfe_u32 v53 /*v309*/, v188 /*v444*/, 8, 4
	v_and_b32_e32 v54 /*v310*/, 15, v188 /*v444*/
	s_delay_alu instid0(VALU_DEP_4)
	v_mul_i32_i24_e32 v185 /*v441*/, v64 /*v320*/, v28 /*v284*/
	s_set_vgpr_msb 64                       ;  msbs: dst=1 src0=0 src1=0 src2=0
	v_and_b32_e32 v28 /*v284*/, 0xff, v108
	s_wait_dscnt 0x0
	s_set_vgpr_msb 0                        ;  msbs: dst=0 src0=0 src1=0 src2=0
	v_cvt_f32_ubyte0_e32 v108, v113
	s_set_vgpr_msb 0x55                     ;  msbs: dst=1 src0=1 src1=1 src2=1
	v_mul_i32_i24_e32 v63 /*v319*/, v57 /*v313*/, v53 /*v309*/
	v_mul_i32_i24_e32 v61 /*v317*/, v55 /*v311*/, v54 /*v310*/
	v_bfe_u32 v55 /*v311*/, v188 /*v444*/, 24, 4
	v_bfe_u32 v57 /*v313*/, v188 /*v444*/, 16, 4
	s_delay_alu instid0(VALU_DEP_3) | instskip(NEXT) | instid1(VALU_DEP_3)
	v_add3_u32 v61 /*v317*/, v62 /*v318*/, v63 /*v319*/, v61 /*v317*/
	v_mul_i32_i24_e32 v60 /*v316*/, v60 /*v316*/, v55 /*v311*/
	s_delay_alu instid0(VALU_DEP_3) | instskip(SKIP_2) | instid1(VALU_DEP_3)
	v_mul_i32_i24_e32 v59 /*v315*/, v59 /*v315*/, v57 /*v313*/
	v_bfe_u32 v63 /*v319*/, v189 /*v445*/, 8, 4
	v_lshrrev_b32_e32 v62 /*v318*/, 28, v68 /*v324*/
	v_add3_u32 v59 /*v315*/, v61 /*v317*/, v59 /*v315*/, v60 /*v316*/
	v_and_b32_e32 v61 /*v317*/, 15, v189 /*v445*/
	s_delay_alu instid0(VALU_DEP_4) | instskip(NEXT) | instid1(VALU_DEP_4)
	v_mul_i32_i24_e32 v56 /*v312*/, v63 /*v319*/, v56 /*v312*/
	v_mul_i32_i24_e32 v67 /*v323*/, v62 /*v318*/, v162 /*v418*/
	;; [unrolled: 1-line block ×3, first 2 shown]
	s_delay_alu instid0(VALU_DEP_4) | instskip(NEXT) | instid1(VALU_DEP_1)
	v_mul_i32_i24_e32 v58 /*v314*/, v61 /*v317*/, v58 /*v314*/
	v_add3_u32 v187 /*v443*/, v59 /*v315*/, v56 /*v312*/, v58 /*v314*/
	v_bfe_u32 v59 /*v315*/, v68 /*v324*/, 4, 4
	v_bfe_u32 v56 /*v312*/, v68 /*v324*/, 20, 4
	;; [unrolled: 1-line block ×4, first 2 shown]
	v_lshrrev_b32_e32 v76 /*v332*/, 28, v77 /*v333*/
	v_mul_i32_i24_e32 v60 /*v316*/, v59 /*v315*/, v134 /*v390*/
	v_mul_i32_i24_e32 v65 /*v321*/, v56 /*v312*/, v161 /*v417*/
	v_bfe_u32 v77 /*v333*/, v84 /*v340*/, 4, 4
	v_bfe_u32 v84 /*v340*/, v85 /*v341*/, 20, 4
	;; [unrolled: 1-line block ×3, first 2 shown]
	v_mad_i32_i24 v60 /*v316*/, v58 /*v314*/, v133 /*v389*/, v60 /*v316*/
	s_set_vgpr_msb 0x41                     ;  msbs: dst=1 src0=1 src1=0 src2=0
	v_mul_i32_i24_e32 v188 /*v444*/, v91 /*v347*/, v106
	s_set_vgpr_msb 0x55                     ;  msbs: dst=1 src0=1 src1=1 src2=1
	v_mul_i32_i24_e32 v198 /*v454*/, v68 /*v324*/, v157 /*v413*/
	v_mul_i32_i24_e32 v203 /*v459*/, v76 /*v332*/, v156 /*v412*/
	;; [unrolled: 1-line block ×3, first 2 shown]
	v_add3_u32 v191 /*v447*/, v60 /*v316*/, v65 /*v321*/, v67 /*v323*/
	v_bfe_u32 v65 /*v321*/, v69 /*v325*/, 4, 4
	v_bfe_u32 v67 /*v323*/, v69 /*v325*/, 12, 4
	;; [unrolled: 1-line block ×3, first 2 shown]
	v_lshrrev_b32_e32 v69 /*v325*/, 28, v69 /*v325*/
	v_mul_i32_i24_e32 v211 /*v467*/, v150 /*v406*/, v84 /*v340*/
	v_mul_i32_i24_e32 v192 /*v448*/, v65 /*v321*/, v135 /*v391*/
	;; [unrolled: 1-line block ×7, first 2 shown]
	s_set_vgpr_msb 21                       ;  msbs: dst=0 src0=1 src1=1 src2=1
	v_add3_u32 v106, v191 /*v447*/, v192 /*v448*/, v193 /*v449*/
	s_set_vgpr_msb 0x45                     ;  msbs: dst=1 src0=1 src1=1 src2=0
	v_mul_i32_i24_e32 v156 /*v412*/, v117 /*v373*/, v156 /*v412*/
	s_set_vgpr_msb 20                       ;  msbs: dst=0 src0=0 src1=1 src2=1
	s_delay_alu instid0(VALU_DEP_2) | instskip(NEXT) | instid1(VALU_DEP_1)
	v_add3_u32 v106, v106, v194 /*v450*/, v195 /*v451*/
	v_add3_u32 v106, v106, v196 /*v452*/, v197 /*v453*/
	s_delay_alu instid0(VALU_DEP_1) | instskip(NEXT) | instid1(VALU_DEP_1)
	v_add3_u32 v106, v106, v198 /*v454*/, v199 /*v455*/
	v_add3_u32 v106, v106, v200 /*v456*/, v201 /*v457*/
	s_delay_alu instid0(VALU_DEP_1) | instskip(NEXT) | instid1(VALU_DEP_1)
	;; [unrolled: 3-line block ×4, first 2 shown]
	v_add3_u32 v106, v106, v211 /*v467*/, v210 /*v466*/
	v_add3_u32 v106, v106, v213 /*v469*/, v212 /*v468*/
	s_delay_alu instid0(VALU_DEP_1) | instskip(SKIP_1) | instid1(VALU_DEP_1)
	v_add3_u32 v106, v106, v215 /*v471*/, v214 /*v470*/
	s_set_vgpr_msb 0x54                     ;  msbs: dst=1 src0=0 src1=1 src2=1
	v_add3_u32 v189 /*v445*/, v106, v27 /*v283*/, v216 /*v472*/
	s_set_vgpr_msb 0                        ;  msbs: dst=0 src0=0 src1=0 src2=0
	v_cvt_f32_ubyte1_e32 v106, v113
	v_or_b32_e32 v113, s13, v138
	s_set_vgpr_msb 0x44                     ;  msbs: dst=1 src0=0 src1=1 src2=0
	v_and_b32_e32 v27 /*v283*/, 0xffff, v190 /*v446*/
	s_set_vgpr_msb 0x41                     ;  msbs: dst=1 src0=1 src1=0 src2=0
	s_delay_alu instid0(VALU_DEP_2)
	v_lshlrev_b32_e32 v202 /*v458*/, 2, v113
	ds_load_b128 v[190:193] /*v[446:449]*/, v202 /*v458*/ offset:16896
	ds_load_b128 v[194:197] /*v[450:453]*/, v202 /*v458*/ offset:16912
	;; [unrolled: 1-line block ×4, first 2 shown]
	v_lshrrev_b32_e32 v206 /*v462*/, 1, v113
	s_wait_dscnt 0x3
	v_bfe_i32 v207 /*v463*/, v190 /*v446*/, 0, 8
	v_bfe_i32 v208 /*v464*/, v190 /*v446*/, 8, 8
	;; [unrolled: 1-line block ×3, first 2 shown]
	s_set_vgpr_msb 0x44                     ;  msbs: dst=1 src0=0 src1=1 src2=0
	v_ashrrev_i32_e32 v190 /*v446*/, 24, v190 /*v446*/
	s_set_vgpr_msb 0x41                     ;  msbs: dst=1 src0=1 src1=0 src2=0
	v_bfe_i32 v210 /*v466*/, v191 /*v447*/, 0, 8
	s_set_vgpr_msb 1                        ;  msbs: dst=0 src0=1 src1=0 src2=0
	v_mul_i32_i24_e32 v113, v207 /*v463*/, v119
	s_set_vgpr_msb 0x41                     ;  msbs: dst=1 src0=1 src1=0 src2=0
	v_bfe_i32 v211 /*v467*/, v191 /*v447*/, 8, 8
	v_bfe_i32 v212 /*v468*/, v191 /*v447*/, 16, 8
	s_set_vgpr_msb 0x45                     ;  msbs: dst=1 src0=1 src1=1 src2=0
	v_ashrrev_i32_e32 v191 /*v447*/, 24, v191 /*v447*/
	v_mul_i32_i24_e32 v231 /*v487*/, v209 /*v465*/, v92 /*v348*/
	v_mul_i32_i24_e32 v232 /*v488*/, v190 /*v446*/, v93 /*v349*/
	s_set_vgpr_msb 1                        ;  msbs: dst=0 src0=1 src1=0 src2=0
	v_mad_i32_i24 v113, v208 /*v464*/, v118, v113
	s_set_vgpr_msb 0x45                     ;  msbs: dst=1 src0=1 src1=1 src2=0
	v_bfe_i32 v213 /*v469*/, v192 /*v448*/, 0, 8
	v_bfe_i32 v214 /*v470*/, v192 /*v448*/, 8, 8
	v_mul_i32_i24_e32 v233 /*v489*/, v212 /*v468*/, v96 /*v352*/
	v_mul_i32_i24_e32 v234 /*v490*/, v191 /*v447*/, v97 /*v353*/
	s_set_vgpr_msb 20                       ;  msbs: dst=0 src0=0 src1=1 src2=1
	v_add3_u32 v113, v113, v231 /*v487*/, v232 /*v488*/
	s_set_vgpr_msb 0x45                     ;  msbs: dst=1 src0=1 src1=1 src2=0
	v_mul_i32_i24_e32 v231 /*v487*/, v210 /*v466*/, v94 /*v350*/
	v_mul_i32_i24_e32 v232 /*v488*/, v211 /*v467*/, v95 /*v351*/
	v_bfe_i32 v215 /*v471*/, v192 /*v448*/, 16, 8
	v_ashrrev_i32_e32 v192 /*v448*/, 24, v192 /*v448*/
	v_mul_i32_i24_e32 v235 /*v491*/, v213 /*v469*/, v98 /*v354*/
	v_mul_i32_i24_e32 v236 /*v492*/, v214 /*v470*/, v99 /*v355*/
	s_set_vgpr_msb 20                       ;  msbs: dst=0 src0=0 src1=1 src2=1
	v_add3_u32 v113, v113, v231 /*v487*/, v232 /*v488*/
	s_set_vgpr_msb 0x41                     ;  msbs: dst=1 src0=1 src1=0 src2=0
	v_bfe_i32 v216 /*v472*/, v193 /*v449*/, 0, 8
	v_bfe_i32 v217 /*v473*/, v193 /*v449*/, 8, 8
	;; [unrolled: 1-line block ×3, first 2 shown]
	s_set_vgpr_msb 0x44                     ;  msbs: dst=1 src0=0 src1=1 src2=0
	v_ashrrev_i32_e32 v193 /*v449*/, 24, v193 /*v449*/
	s_set_vgpr_msb 20                       ;  msbs: dst=0 src0=0 src1=1 src2=1
	v_add3_u32 v113, v113, v233 /*v489*/, v234 /*v490*/
	s_set_vgpr_msb 0x45                     ;  msbs: dst=1 src0=1 src1=1 src2=0
	v_mul_i32_i24_e32 v237 /*v493*/, v215 /*v471*/, v100 /*v356*/
	v_mul_i32_i24_e32 v238 /*v494*/, v192 /*v448*/, v101 /*v357*/
	;; [unrolled: 1-line block ×4, first 2 shown]
	s_set_vgpr_msb 20                       ;  msbs: dst=0 src0=0 src1=1 src2=1
	v_add3_u32 v113, v113, v235 /*v491*/, v236 /*v492*/
	s_wait_dscnt 0x2
	s_set_vgpr_msb 0x45                     ;  msbs: dst=1 src0=1 src1=1 src2=0
	v_bfe_i32 v219 /*v475*/, v194 /*v450*/, 0, 8
	v_bfe_i32 v220 /*v476*/, v194 /*v450*/, 8, 8
	v_mul_i32_i24_e32 v241 /*v497*/, v218 /*v474*/, v104 /*v360*/
	v_mul_i32_i24_e32 v242 /*v498*/, v193 /*v449*/, v105 /*v361*/
	s_set_vgpr_msb 20                       ;  msbs: dst=0 src0=0 src1=1 src2=1
	v_add3_u32 v113, v113, v237 /*v493*/, v238 /*v494*/
	s_set_vgpr_msb 0x41                     ;  msbs: dst=1 src0=1 src1=0 src2=0
	v_bfe_i32 v221 /*v477*/, v194 /*v450*/, 16, 8
	s_set_vgpr_msb 0x45                     ;  msbs: dst=1 src0=1 src1=1 src2=0
	v_ashrrev_i32_e32 v194 /*v450*/, 24, v194 /*v450*/
	v_mul_i32_i24_e32 v243 /*v499*/, v219 /*v475*/, v106 /*v362*/
	v_mul_i32_i24_e32 v244 /*v500*/, v220 /*v476*/, v107 /*v363*/
	s_set_vgpr_msb 20                       ;  msbs: dst=0 src0=0 src1=1 src2=1
	v_add3_u32 v113, v113, v239 /*v495*/, v240 /*v496*/
	s_set_vgpr_msb 0x41                     ;  msbs: dst=1 src0=1 src1=0 src2=0
	v_bfe_i32 v222 /*v478*/, v195 /*v451*/, 0, 8
	v_bfe_i32 v223 /*v479*/, v195 /*v451*/, 8, 8
	;; [unrolled: 1-line block ×3, first 2 shown]
	s_set_vgpr_msb 0x44                     ;  msbs: dst=1 src0=0 src1=1 src2=0
	v_ashrrev_i32_e32 v195 /*v451*/, 24, v195 /*v451*/
	s_set_vgpr_msb 20                       ;  msbs: dst=0 src0=0 src1=1 src2=1
	v_add3_u32 v113, v113, v241 /*v497*/, v242 /*v498*/
	s_set_vgpr_msb 0x45                     ;  msbs: dst=1 src0=1 src1=1 src2=0
	v_mul_i32_i24_e32 v245 /*v501*/, v221 /*v477*/, v108 /*v364*/
	v_mul_i32_i24_e32 v246 /*v502*/, v194 /*v450*/, v109 /*v365*/
	;; [unrolled: 1-line block ×4, first 2 shown]
	s_set_vgpr_msb 20                       ;  msbs: dst=0 src0=0 src1=1 src2=1
	v_add3_u32 v113, v113, v243 /*v499*/, v244 /*v500*/
	s_set_vgpr_msb 0x45                     ;  msbs: dst=1 src0=1 src1=1 src2=0
	v_bfe_i32 v225 /*v481*/, v196 /*v452*/, 0, 8
	v_bfe_i32 v226 /*v482*/, v196 /*v452*/, 8, 8
	v_mul_i32_i24_e32 v249 /*v505*/, v113 /*v369*/, v224 /*v480*/
	v_mul_i32_i24_e32 v250 /*v506*/, v112 /*v368*/, v195 /*v451*/
	s_set_vgpr_msb 20                       ;  msbs: dst=0 src0=0 src1=1 src2=1
	v_add3_u32 v113, v113, v245 /*v501*/, v246 /*v502*/
	s_set_vgpr_msb 0x41                     ;  msbs: dst=1 src0=1 src1=0 src2=0
	v_bfe_i32 v227 /*v483*/, v196 /*v452*/, 16, 8
	s_set_vgpr_msb 0x45                     ;  msbs: dst=1 src0=1 src1=1 src2=0
	v_ashrrev_i32_e32 v196 /*v452*/, 24, v196 /*v452*/
	v_mul_i32_i24_e32 v251 /*v507*/, v121 /*v377*/, v225 /*v481*/
	v_mul_i32_i24_e32 v252 /*v508*/, v114 /*v370*/, v226 /*v482*/
	s_set_vgpr_msb 20                       ;  msbs: dst=0 src0=0 src1=1 src2=1
	v_add3_u32 v113, v113, v247 /*v503*/, v248 /*v504*/
	s_set_vgpr_msb 0x41                     ;  msbs: dst=1 src0=1 src1=0 src2=0
	v_bfe_i32 v228 /*v484*/, v197 /*v453*/, 0, 8
	v_bfe_i32 v229 /*v485*/, v197 /*v453*/, 8, 8
	;; [unrolled: 1-line block ×3, first 2 shown]
	s_set_vgpr_msb 0x44                     ;  msbs: dst=1 src0=0 src1=1 src2=0
	v_ashrrev_i32_e32 v197 /*v453*/, 24, v197 /*v453*/
	s_set_vgpr_msb 20                       ;  msbs: dst=0 src0=0 src1=1 src2=1
	v_add3_u32 v113, v113, v249 /*v505*/, v250 /*v506*/
	s_set_vgpr_msb 0x45                     ;  msbs: dst=1 src0=1 src1=1 src2=0
	v_mul_i32_i24_e32 v253 /*v509*/, v125 /*v381*/, v227 /*v483*/
	v_mul_i32_i24_e32 v254 /*v510*/, v122 /*v378*/, v196 /*v452*/
	;; [unrolled: 1-line block ×3, first 2 shown]
	s_set_vgpr_msb 5                        ;  msbs: dst=0 src0=1 src1=1 src2=0
	v_mul_i32_i24_e32 v53, v229 /*v485*/, v129 /*v385*/
	s_set_vgpr_msb 20                       ;  msbs: dst=0 src0=0 src1=1 src2=1
	v_add3_u32 v113, v113, v251 /*v507*/, v252 /*v508*/
	s_set_vgpr_msb 5                        ;  msbs: dst=0 src0=1 src1=1 src2=0
	v_mul_i32_i24_e32 v55, v230 /*v486*/, v130 /*v386*/
	v_mul_i32_i24_e32 v61, v197 /*v453*/, v131 /*v387*/
	s_wait_dscnt 0x0
	v_bfe_i32 v82, v205 /*v461*/, 0, 8
	v_bfe_i32 v84, v205 /*v461*/, 8, 8
	s_set_vgpr_msb 20                       ;  msbs: dst=0 src0=0 src1=1 src2=1
	v_add3_u32 v113, v113, v253 /*v509*/, v254 /*v510*/
	s_set_vgpr_msb 1                        ;  msbs: dst=0 src0=1 src1=0 src2=0
	v_bfe_i32 v86, v205 /*v461*/, 16, 8
	s_set_vgpr_msb 0x44                     ;  msbs: dst=1 src0=0 src1=1 src2=0
	v_lshrrev_b16 v231 /*v487*/, 8, v200 /*v456*/
	v_lshrrev_b16 v232 /*v488*/, 8, v201 /*v457*/
	v_ashrrev_i32_e32 v234 /*v490*/, 24, v198 /*v454*/
	s_set_vgpr_msb 4                        ;  msbs: dst=0 src0=0 src1=1 src2=0
	v_add3_u32 v53, v113, v255 /*v511*/, v53
	v_and_b32_e32 v113, 0xffff, v132 /*v388*/
	s_set_vgpr_msb 64                       ;  msbs: dst=1 src0=0 src1=0 src2=0
	v_bfe_u32 v132 /*v388*/, v116, 20, 4
	s_set_vgpr_msb 0                        ;  msbs: dst=0 src0=0 src1=0 src2=0
	v_bfe_u32 v116, v116, 4, 4
	s_set_vgpr_msb 0x44                     ;  msbs: dst=1 src0=0 src1=1 src2=0
	v_dual_ashrrev_i32 v244 /*v500*/, 24, v200 /*v456*/ :: v_dual_ashrrev_i32 v250 /*v506*/, 24, v201 /*v457*/
	s_set_vgpr_msb 0                        ;  msbs: dst=0 src0=0 src1=0 src2=0
	v_add3_u32 v53, v53, v55, v61
	s_set_vgpr_msb 0x45                     ;  msbs: dst=1 src0=1 src1=1 src2=0
	v_mul_i32_i24_e32 v161 /*v417*/, v132 /*v388*/, v161 /*v417*/
	s_set_vgpr_msb 0x44                     ;  msbs: dst=1 src0=0 src1=1 src2=0
	v_mul_i32_i24_e32 v134 /*v390*/, v116, v134 /*v390*/
	s_set_vgpr_msb 21                       ;  msbs: dst=0 src0=1 src1=1 src2=1
	v_add3_u32 v55, v169 /*v425*/, v167 /*v423*/, v168 /*v424*/
	s_set_vgpr_msb 0x41                     ;  msbs: dst=1 src0=1 src1=0 src2=0
	v_bfe_i32 v235 /*v491*/, v198 /*v454*/, 16, 8
	s_set_vgpr_msb 0                        ;  msbs: dst=0 src0=0 src1=0 src2=0
	v_mul_lo_u32 v53, v53, v105
	s_set_vgpr_msb 0x41                     ;  msbs: dst=1 src0=1 src1=0 src2=0
	v_bfe_i32 v239 /*v495*/, v199 /*v455*/, 16, 8
	s_set_vgpr_msb 0x54                     ;  msbs: dst=1 src0=0 src1=1 src2=1
	v_mad_i32_i24 v133 /*v389*/, v113, v133 /*v389*/, v134 /*v390*/
	v_and_b32_e32 v134 /*v390*/, 0xffff, v174 /*v430*/
	s_set_vgpr_msb 0                        ;  msbs: dst=0 src0=0 src1=0 src2=0
	v_mul_lo_u32 v55, v55, v105
	s_set_vgpr_msb 0x55                     ;  msbs: dst=1 src0=1 src1=1 src2=1
	v_ashrrev_i32_e32 v174 /*v430*/, 24, v199 /*v455*/
	v_mul_i32_i24_e32 v238 /*v494*/, v234 /*v490*/, v123 /*v379*/
	v_add3_u32 v161 /*v417*/, v133 /*v389*/, v161 /*v417*/, v162 /*v418*/
	v_lshrrev_b16 v133 /*v389*/, 8, v198 /*v454*/
	v_mul_i32_i24_e32 v136 /*v392*/, v134 /*v390*/, v136 /*v392*/
	v_lshrrev_b16 v162 /*v418*/, 8, v199 /*v455*/
	v_bfe_i32 v198 /*v454*/, v198 /*v454*/, 0, 8
	v_bfe_i32 v199 /*v455*/, v199 /*v455*/, 0, 8
	;; [unrolled: 1-line block ×3, first 2 shown]
	s_set_vgpr_msb 64                       ;  msbs: dst=1 src0=0 src1=0 src2=0
	v_bfe_u32 v133 /*v389*/, v117, 20, 4
	s_set_vgpr_msb 0                        ;  msbs: dst=0 src0=0 src1=0 src2=0
	v_bfe_u32 v117, v117, 4, 4
	s_set_vgpr_msb 0x45                     ;  msbs: dst=1 src0=1 src1=1 src2=0
	v_bfe_i32 v162 /*v418*/, v162 /*v418*/, 0, 8
	v_mul_i32_i24_e32 v243 /*v499*/, v174 /*v430*/, v115 /*v371*/
	v_bfe_i32 v245 /*v501*/, v200 /*v456*/, 16, 8
	v_mul_i32_i24_e32 v159 /*v415*/, v133 /*v389*/, v159 /*v415*/
	s_set_vgpr_msb 0x44                     ;  msbs: dst=1 src0=0 src1=1 src2=0
	v_mul_i32_i24_e32 v135 /*v391*/, v117, v135 /*v391*/
	s_set_vgpr_msb 0x55                     ;  msbs: dst=1 src0=1 src1=1 src2=1
	v_mul_i32_i24_e32 v241 /*v497*/, v162 /*v418*/, v134 /*v390*/
	v_bfe_i32 v231 /*v487*/, v231 /*v487*/, 0, 8
	v_bfe_i32 v200 /*v456*/, v200 /*v456*/, 0, 8
	v_mul_i32_i24_e32 v249 /*v505*/, v244 /*v500*/, v116 /*v372*/
	v_add3_u32 v135 /*v391*/, v161 /*v417*/, v135 /*v391*/, v136 /*v392*/
	v_and_b32_e32 v136 /*v392*/, 0xffff, v173 /*v429*/
	v_bfe_i32 v232 /*v488*/, v232 /*v488*/, 0, 8
	s_set_vgpr_msb 4                        ;  msbs: dst=0 src0=0 src1=1 src2=0
	v_lshrrev_b16 v69, 8, v203 /*v459*/
	s_set_vgpr_msb 0x41                     ;  msbs: dst=1 src0=1 src1=0 src2=0
	v_mul_i32_i24_e32 v236 /*v492*/, v198 /*v454*/, v116
	s_set_vgpr_msb 0x55                     ;  msbs: dst=1 src0=1 src1=1 src2=1
	v_add3_u32 v159 /*v415*/, v135 /*v391*/, v159 /*v415*/, v160 /*v416*/
	s_set_vgpr_msb 64                       ;  msbs: dst=1 src0=0 src1=0 src2=0
	v_bfe_u32 v135 /*v391*/, v114, 20, 4
	s_set_vgpr_msb 0                        ;  msbs: dst=0 src0=0 src1=0 src2=0
	v_bfe_u32 v114, v114, 4, 4
	s_set_vgpr_msb 0x45                     ;  msbs: dst=1 src0=1 src1=1 src2=0
	v_mul_i32_i24_e32 v138 /*v394*/, v136 /*v392*/, v138 /*v394*/
	v_mul_i32_i24_e32 v237 /*v493*/, v235 /*v491*/, v132 /*v388*/
	s_set_vgpr_msb 0x41                     ;  msbs: dst=1 src0=1 src1=0 src2=0
	v_mul_i32_i24_e32 v240 /*v496*/, v199 /*v455*/, v117
	s_set_vgpr_msb 0x45                     ;  msbs: dst=1 src0=1 src1=1 src2=0
	v_mul_i32_i24_e32 v157 /*v413*/, v135 /*v391*/, v157 /*v413*/
	s_set_vgpr_msb 0x44                     ;  msbs: dst=1 src0=0 src1=1 src2=0
	v_mul_i32_i24_e32 v137 /*v393*/, v114, v137 /*v393*/
	s_set_vgpr_msb 0x45                     ;  msbs: dst=1 src0=1 src1=1 src2=0
	v_mul_i32_i24_e32 v242 /*v498*/, v239 /*v495*/, v133 /*v389*/
	s_set_vgpr_msb 0x41                     ;  msbs: dst=1 src0=1 src1=0 src2=0
	v_mul_i32_i24_e32 v246 /*v502*/, v200 /*v456*/, v114
	s_set_vgpr_msb 0x55                     ;  msbs: dst=1 src0=1 src1=1 src2=1
	v_mul_i32_i24_e32 v247 /*v503*/, v231 /*v487*/, v136 /*v392*/
	v_mul_i32_i24_e32 v248 /*v504*/, v245 /*v501*/, v135 /*v391*/
	v_add3_u32 v137 /*v393*/, v159 /*v415*/, v137 /*v393*/, v138 /*v394*/
	v_and_b32_e32 v138 /*v394*/, 0xffff, v172 /*v428*/
	v_bfe_i32 v251 /*v507*/, v201 /*v457*/, 16, 8
	v_bfe_i32 v201 /*v457*/, v201 /*v457*/, 0, 8
	s_set_vgpr_msb 5                        ;  msbs: dst=0 src0=1 src1=1 src2=0
	v_mul_i32_i24_e32 v67, v250 /*v506*/, v117 /*v373*/
	s_set_vgpr_msb 0x55                     ;  msbs: dst=1 src0=1 src1=1 src2=1
	v_add3_u32 v157 /*v413*/, v137 /*v393*/, v157 /*v413*/, v158 /*v414*/
	s_set_vgpr_msb 64                       ;  msbs: dst=1 src0=0 src1=0 src2=0
	v_bfe_u32 v137 /*v393*/, v115, 20, 4
	s_set_vgpr_msb 0                        ;  msbs: dst=0 src0=0 src1=0 src2=0
	v_bfe_u32 v115, v115, 4, 4
	s_set_vgpr_msb 0x45                     ;  msbs: dst=1 src0=1 src1=1 src2=0
	v_mul_i32_i24_e32 v154 /*v410*/, v138 /*v394*/, v154 /*v410*/
	v_mul_i32_i24_e32 v254 /*v510*/, v232 /*v488*/, v138 /*v394*/
	s_set_vgpr_msb 4                        ;  msbs: dst=0 src0=0 src1=1 src2=0
	v_lshrrev_b16 v71, 8, v204 /*v460*/
	s_set_vgpr_msb 0x45                     ;  msbs: dst=1 src0=1 src1=1 src2=0
	v_mul_i32_i24_e32 v155 /*v411*/, v137 /*v393*/, v155 /*v411*/
	s_set_vgpr_msb 0x44                     ;  msbs: dst=1 src0=0 src1=1 src2=0
	v_mul_i32_i24_e32 v140 /*v396*/, v115, v140 /*v396*/
	s_set_vgpr_msb 0                        ;  msbs: dst=0 src0=0 src1=0 src2=0
	v_bfe_i32 v69, v69, 0, 8
	s_set_vgpr_msb 0x51                     ;  msbs: dst=1 src0=1 src1=0 src2=1
	v_mad_i32_i24 v241 /*v497*/, v233 /*v489*/, v113, v241 /*v497*/
	s_set_vgpr_msb 0x55                     ;  msbs: dst=1 src0=1 src1=1 src2=1
	v_add3_u32 v238 /*v494*/, v238 /*v494*/, v243 /*v499*/, v249 /*v505*/
	s_set_vgpr_msb 0x41                     ;  msbs: dst=1 src0=1 src1=0 src2=0
	v_mul_i32_i24_e32 v253 /*v509*/, v201 /*v457*/, v115
	s_set_vgpr_msb 0x55                     ;  msbs: dst=1 src0=1 src1=1 src2=1
	v_add3_u32 v140 /*v396*/, v157 /*v413*/, v140 /*v396*/, v154 /*v410*/
	v_mul_i32_i24_e32 v255 /*v511*/, v251 /*v507*/, v137 /*v393*/
	s_set_vgpr_msb 1                        ;  msbs: dst=0 src0=1 src1=0 src2=0
	v_bfe_i32 v52, v204 /*v460*/, 16, 8
	s_set_vgpr_msb 0                        ;  msbs: dst=0 src0=0 src1=0 src2=0
	v_bfe_i32 v71, v71, 0, 8
	s_set_vgpr_msb 0x55                     ;  msbs: dst=1 src0=1 src1=1 src2=1
	v_add3_u32 v237 /*v493*/, v237 /*v493*/, v242 /*v498*/, v248 /*v504*/
	v_add3_u32 v252 /*v508*/, v140 /*v396*/, v155 /*v411*/, v156 /*v412*/
	ds_load_b64 v[154:155] /*v[410:411]*/, v139 /*v395*/ offset:27200
	ds_load_b64 v[156:157] /*v[412:413]*/, v206 /*v462*/ offset:27200
	v_ashrrev_i32_e32 v205 /*v461*/, 24, v205 /*v461*/
	v_lshrrev_b16 v206 /*v462*/, 8, v202 /*v458*/
	v_add3_u32 v236 /*v492*/, v236 /*v492*/, v240 /*v496*/, v246 /*v502*/
	v_add3_u32 v240 /*v496*/, v241 /*v497*/, v247 /*v503*/, v254 /*v510*/
	s_set_vgpr_msb 4                        ;  msbs: dst=0 src0=0 src1=1 src2=0
	v_mul_i32_i24_e32 v54, v86, v127 /*v383*/
	s_set_vgpr_msb 0x45                     ;  msbs: dst=1 src0=1 src1=1 src2=0
	v_mul_i32_i24_e32 v241 /*v497*/, v197 /*v453*/, v0 /*v256*/
	s_set_vgpr_msb 0x44                     ;  msbs: dst=1 src0=0 src1=1 src2=0
	v_mul_i32_i24_e32 v242 /*v498*/, v84, v24 /*v280*/
	v_mul_i32_i24_e32 v243 /*v499*/, v86, v25 /*v281*/
	s_wait_dscnt 0x0
	v_dual_lshrrev_b32 v139 /*v395*/, 16, v154 /*v410*/ :: v_dual_lshrrev_b32 v140 /*v396*/, 16, v156 /*v412*/
	s_set_vgpr_msb 0x41                     ;  msbs: dst=1 src0=1 src1=0 src2=0
	v_cvt_f32_f16_e64 v158 /*v414*/, v154 /*v410*/
	v_cvt_f32_f16_e64 v172 /*v428*/, v155 /*v411*/
	;; [unrolled: 1-line block ×5, first 2 shown]
	s_set_vgpr_msb 0x44                     ;  msbs: dst=1 src0=0 src1=1 src2=0
	v_dual_lshrrev_b32 v139 /*v395*/, 16, v155 /*v411*/ :: v_dual_lshrrev_b32 v140 /*v396*/, 16, v157 /*v413*/
	s_set_vgpr_msb 0x41                     ;  msbs: dst=1 src0=1 src1=0 src2=0
	v_cvt_f32_f16_e64 v173 /*v429*/, v157 /*v413*/
	s_set_vgpr_msb 64                       ;  msbs: dst=1 src0=0 src1=0 src2=0
	v_cvt_f32_i32_e32 v157 /*v413*/, v53
	v_cvt_f32_i32_e32 v156 /*v412*/, v55
	s_set_vgpr_msb 0x41                     ;  msbs: dst=1 src0=1 src1=0 src2=0
	v_cvt_f32_f16_e64 v154 /*v410*/, v139 /*v395*/
	v_cvt_f32_f16_e64 v155 /*v411*/, v140 /*v396*/
	s_set_vgpr_msb 0x44                     ;  msbs: dst=1 src0=0 src1=1 src2=0
	v_bfe_u32 v139 /*v395*/, v110, 20, 4
	v_and_b32_e32 v140 /*v396*/, 0xffff, v171 /*v427*/
	s_set_vgpr_msb 0                        ;  msbs: dst=0 src0=0 src1=0 src2=0
	v_bfe_u32 v110, v110, 4, 4
	s_set_vgpr_msb 1                        ;  msbs: dst=0 src0=1 src1=0 src2=0
	v_mul_i32_i24_e32 v58, v205 /*v461*/, v103
	s_set_vgpr_msb 0x44                     ;  msbs: dst=1 src0=0 src1=1 src2=0
	v_pk_fma_f32 v[168:169] /*v[424:425]*/, v[98:99], v[160:161] /*v[416:417]*/, 0 op_sel_hi:[0,1,0]
	s_set_vgpr_msb 5                        ;  msbs: dst=0 src0=1 src1=1 src2=0
	v_mul_i32_i24_e32 v61, v139 /*v395*/, v152 /*v408*/
	v_mul_i32_i24_e32 v55, v140 /*v396*/, v142 /*v398*/
	s_set_vgpr_msb 4                        ;  msbs: dst=0 src0=0 src1=1 src2=0
	v_mul_i32_i24_e32 v53, v110, v141 /*v397*/
	s_set_vgpr_msb 0x45                     ;  msbs: dst=1 src0=1 src1=1 src2=0
	v_mul_i32_i24_e32 v141 /*v397*/, v118 /*v374*/, v153 /*v409*/
	v_and_b32_e32 v142 /*v398*/, 0xffff, v170 /*v426*/
	v_bfe_i32 v152 /*v408*/, v206 /*v462*/, 0, 8
	v_bfe_i32 v153 /*v409*/, v202 /*v458*/, 0, 8
	s_set_vgpr_msb 1                        ;  msbs: dst=0 src0=1 src1=0 src2=0
	v_add3_u32 v53, v252 /*v508*/, v53, v55
	s_set_vgpr_msb 4                        ;  msbs: dst=0 src0=0 src1=1 src2=0
	v_ashrrev_i32_e32 v55, 24, v202 /*v458*/
	s_set_vgpr_msb 0x45                     ;  msbs: dst=1 src0=1 src1=1 src2=0
	v_mul_i32_i24_e32 v144 /*v400*/, v142 /*v398*/, v144 /*v400*/
	v_ashrrev_i32_e32 v170 /*v426*/, 24, v203 /*v459*/
	s_set_vgpr_msb 0x41                     ;  msbs: dst=1 src0=1 src1=0 src2=0
	v_mul_i32_i24_e32 v167 /*v423*/, v153 /*v409*/, v110
	s_set_vgpr_msb 16                       ;  msbs: dst=0 src0=0 src1=0 src2=1
	v_add3_u32 v53, v53, v61, v141 /*v397*/
	s_set_vgpr_msb 64                       ;  msbs: dst=1 src0=0 src1=0 src2=0
	v_bfe_u32 v141 /*v397*/, v111, 20, 4
	s_set_vgpr_msb 0                        ;  msbs: dst=0 src0=0 src1=0 src2=0
	v_bfe_u32 v111, v111, 4, 4
	s_set_vgpr_msb 1                        ;  msbs: dst=0 src0=1 src1=0 src2=0
	v_bfe_i32 v61, v202 /*v458*/, 16, 8
	s_set_vgpr_msb 0x44                     ;  msbs: dst=1 src0=0 src1=1 src2=0
	v_mul_i32_i24_e32 v206 /*v462*/, v55, v118 /*v374*/
	s_set_vgpr_msb 0x45                     ;  msbs: dst=1 src0=1 src1=1 src2=0
	v_mul_i32_i24_e32 v171 /*v427*/, v152 /*v408*/, v140 /*v396*/
	v_mul_i32_i24_e32 v150 /*v406*/, v141 /*v397*/, v150 /*v406*/
	s_set_vgpr_msb 0x44                     ;  msbs: dst=1 src0=0 src1=1 src2=0
	v_mul_i32_i24_e32 v143 /*v399*/, v111, v143 /*v399*/
	v_mul_i32_i24_e32 v202 /*v458*/, v61, v139 /*v395*/
	s_set_vgpr_msb 0x41                     ;  msbs: dst=1 src0=1 src1=0 src2=0
	v_bfe_i32 v252 /*v508*/, v203 /*v459*/, 16, 8
	v_bfe_i32 v203 /*v459*/, v203 /*v459*/, 0, 8
	s_set_vgpr_msb 5                        ;  msbs: dst=0 src0=1 src1=1 src2=0
	v_mul_i32_i24_e32 v36, v170 /*v426*/, v119 /*v375*/
	s_set_vgpr_msb 20                       ;  msbs: dst=0 src0=0 src1=1 src2=1
	v_add3_u32 v53, v53, v143 /*v399*/, v144 /*v400*/
	s_set_vgpr_msb 0x44                     ;  msbs: dst=1 src0=0 src1=1 src2=0
	v_bfe_u32 v143 /*v399*/, v112, 20, 4
	v_and_b32_e32 v144 /*v400*/, 0xffff, v166 /*v422*/
	s_set_vgpr_msb 0                        ;  msbs: dst=0 src0=0 src1=0 src2=0
	v_bfe_u32 v112, v112, 4, 4
	s_set_vgpr_msb 0x44                     ;  msbs: dst=1 src0=0 src1=1 src2=0
	v_ashrrev_i32_e32 v166 /*v422*/, 24, v204 /*v460*/
	s_set_vgpr_msb 20                       ;  msbs: dst=0 src0=0 src1=1 src2=1
	v_add3_u32 v53, v53, v150 /*v406*/, v151 /*v407*/
	s_set_vgpr_msb 0x45                     ;  msbs: dst=1 src0=1 src1=1 src2=0
	v_mul_i32_i24_e32 v148 /*v404*/, v143 /*v399*/, v148 /*v404*/
	v_mul_i32_i24_e32 v147 /*v403*/, v144 /*v400*/, v147 /*v403*/
	s_set_vgpr_msb 0x44                     ;  msbs: dst=1 src0=0 src1=1 src2=0
	v_mul_i32_i24_e32 v146 /*v402*/, v112, v146 /*v402*/
	v_mul_i32_i24_e32 v151 /*v407*/, v69, v142 /*v398*/
	s_set_vgpr_msb 0x41                     ;  msbs: dst=1 src0=1 src1=0 src2=0
	v_bfe_i32 v204 /*v460*/, v204 /*v460*/, 0, 8
	s_set_vgpr_msb 17                       ;  msbs: dst=0 src0=1 src1=0 src2=1
	v_add3_u32 v67, v238 /*v494*/, v67, v206 /*v462*/
	s_set_vgpr_msb 0x41                     ;  msbs: dst=1 src0=1 src1=0 src2=0
	v_mul_i32_i24_e32 v150 /*v406*/, v203 /*v459*/, v111
	s_set_vgpr_msb 20                       ;  msbs: dst=0 src0=0 src1=1 src2=1
	v_add3_u32 v53, v53, v146 /*v402*/, v147 /*v403*/
	s_set_vgpr_msb 5                        ;  msbs: dst=0 src0=1 src1=1 src2=0
	v_mul_i32_i24_e32 v92, v252 /*v508*/, v141 /*v397*/
	s_set_vgpr_msb 0x41                     ;  msbs: dst=1 src0=1 src1=0 src2=0
	v_mul_i32_i24_e32 v146 /*v402*/, v204 /*v460*/, v112
	s_set_vgpr_msb 0x44                     ;  msbs: dst=1 src0=0 src1=1 src2=0
	v_mul_i32_i24_e32 v147 /*v403*/, v71, v144 /*v400*/
	s_set_vgpr_msb 0x55                     ;  msbs: dst=1 src0=1 src1=1 src2=1
	v_add3_u32 v167 /*v423*/, v236 /*v492*/, v253 /*v509*/, v167 /*v423*/
	s_set_vgpr_msb 20                       ;  msbs: dst=0 src0=0 src1=1 src2=1
	v_add3_u32 v53, v53, v148 /*v404*/, v149 /*v405*/
	s_set_vgpr_msb 0x45                     ;  msbs: dst=1 src0=1 src1=1 src2=0
	v_mul_i32_i24_e32 v149 /*v405*/, v166 /*v422*/, v120 /*v376*/
	s_set_vgpr_msb 0x44                     ;  msbs: dst=1 src0=0 src1=1 src2=0
	v_mul_i32_i24_e32 v148 /*v404*/, v52, v143 /*v399*/
	s_set_vgpr_msb 0x55                     ;  msbs: dst=1 src0=1 src1=1 src2=1
	v_add3_u32 v202 /*v458*/, v237 /*v493*/, v255 /*v511*/, v202 /*v458*/
	v_add3_u32 v151 /*v407*/, v240 /*v496*/, v171 /*v427*/, v151 /*v407*/
	;; [unrolled: 1-line block ×3, first 2 shown]
	s_set_vgpr_msb 16                       ;  msbs: dst=0 src0=0 src1=0 src2=1
	v_add3_u32 v36, v67, v36, v149 /*v405*/
	s_set_vgpr_msb 20                       ;  msbs: dst=0 src0=0 src1=1 src2=1
	v_add3_u32 v53, v53, v164 /*v420*/, v165 /*v421*/
	s_set_vgpr_msb 17                       ;  msbs: dst=0 src0=1 src1=0 src2=1
	v_add3_u32 v92, v202 /*v458*/, v92, v148 /*v404*/
	s_set_vgpr_msb 0x44                     ;  msbs: dst=1 src0=0 src1=1 src2=0
	v_mul_i32_i24_e32 v164 /*v420*/, v82, v124 /*v380*/
	v_mul_i32_i24_e32 v165 /*v421*/, v84, v126 /*v382*/
	s_set_vgpr_msb 5                        ;  msbs: dst=0 src0=1 src1=1 src2=0
	v_add3_u32 v36, v151 /*v407*/, v147 /*v403*/, v36
	s_set_vgpr_msb 4                        ;  msbs: dst=0 src0=0 src1=1 src2=0
	v_add3_u32 v53, v53, v163 /*v419*/, v56
	s_set_vgpr_msb 0x45                     ;  msbs: dst=1 src0=1 src1=1 src2=0
	v_pk_fma_f32 v[156:157] /*v[412:413]*/, v[158:159] /*v[414:415]*/, v[156:157] /*v[412:413]*/, 0 op_sel_hi:[1,1,0]
	s_set_vgpr_msb 0x54                     ;  msbs: dst=1 src0=0 src1=1 src2=1
	v_pk_fma_f32 v[148:149] /*v[404:405]*/, v[100:101], v[154:155] /*v[410:411]*/, v[168:169] /*v[424:425]*/ op_sel_hi:[0,1,1]
	s_set_vgpr_msb 1                        ;  msbs: dst=0 src0=1 src1=0 src2=0
	v_mul_i32_i24_e32 v56, v212 /*v468*/, v225
	v_add3_u32 v36, v146 /*v402*/, v92, v36
	s_set_vgpr_msb 0                        ;  msbs: dst=0 src0=0 src1=0 src2=0
	v_mul_lo_u32 v53, v53, v101
	s_set_vgpr_msb 1                        ;  msbs: dst=0 src0=1 src1=0 src2=0
	v_mul_i32_i24_e32 v67, v213 /*v469*/, v227
	s_set_vgpr_msb 0x41                     ;  msbs: dst=1 src0=1 src1=0 src2=0
	v_pk_mul_f32 v[148:149] /*v[404:405]*/, v[148:149] /*v[404:405]*/, v[8:9]
	s_set_vgpr_msb 1                        ;  msbs: dst=0 src0=1 src1=0 src2=0
	v_mul_i32_i24_e32 v92, v214 /*v470*/, v228
	s_set_vgpr_msb 20                       ;  msbs: dst=0 src0=0 src1=1 src2=1
	v_add3_u32 v36, v36, v164 /*v420*/, v165 /*v421*/
	s_set_vgpr_msb 0x41                     ;  msbs: dst=1 src0=1 src1=0 src2=0
	v_mul_i32_i24_e32 v150 /*v406*/, v218 /*v474*/, v233
	v_mul_i32_i24_e32 v151 /*v407*/, v193 /*v449*/, v234
	;; [unrolled: 1-line block ×4, first 2 shown]
	s_set_vgpr_msb 0                        ;  msbs: dst=0 src0=0 src1=0 src2=0
	v_add3_u32 v36, v36, v54, v58
	s_set_vgpr_msb 1                        ;  msbs: dst=0 src0=1 src1=0 src2=0
	v_mul_i32_i24_e32 v54, v190 /*v446*/, v222
	s_set_vgpr_msb 64                       ;  msbs: dst=1 src0=0 src1=0 src2=0
	v_cvt_f32_i32_e32 v146 /*v402*/, v53
	s_set_vgpr_msb 1                        ;  msbs: dst=0 src0=1 src1=0 src2=0
	v_mul_i32_i24_e32 v53, v209 /*v465*/, v221
	v_mul_i32_i24_e32 v58, v191 /*v447*/, v226
	s_set_vgpr_msb 0                        ;  msbs: dst=0 src0=0 src1=0 src2=0
	v_mul_lo_u32 v36, v36, v101
	s_set_vgpr_msb 0x44                     ;  msbs: dst=1 src0=0 src1=1 src2=0
	v_mul_i32_i24_e32 v165 /*v421*/, v240, v222 /*v478*/
	v_mul_i32_i24_e32 v167 /*v423*/, v239, v223 /*v479*/
	;; [unrolled: 1-line block ×8, first 2 shown]
	s_set_vgpr_msb 0x41                     ;  msbs: dst=1 src0=1 src1=0 src2=0
	v_mul_i32_i24_e32 v237 /*v493*/, v228 /*v484*/, v251
	v_mul_i32_i24_e32 v238 /*v494*/, v229 /*v485*/, v253
	s_set_vgpr_msb 64                       ;  msbs: dst=1 src0=0 src1=0 src2=0
	v_cvt_f32_i32_e32 v147 /*v403*/, v36
	s_set_vgpr_msb 1                        ;  msbs: dst=0 src0=1 src1=0 src2=0
	v_mul_i32_i24_e32 v36, v207 /*v463*/, v220
	s_set_vgpr_msb 0x41                     ;  msbs: dst=1 src0=1 src1=0 src2=0
	v_mul_i32_i24_e32 v240 /*v496*/, v230 /*v486*/, v254
	s_set_vgpr_msb 0x55                     ;  msbs: dst=1 src0=1 src1=1 src2=1
	v_pk_fma_f32 v[146:147] /*v[402:403]*/, v[172:173] /*v[428:429]*/, v[146:147] /*v[402:403]*/, v[156:157] /*v[412:413]*/
	s_set_vgpr_msb 1                        ;  msbs: dst=0 src0=1 src1=0 src2=0
	v_mad_i32_i24 v36, v208 /*v464*/, v219, v36
	s_set_vgpr_msb 0x51                     ;  msbs: dst=1 src0=1 src1=0 src2=1
	v_mul_i32_i24_e32 v156 /*v412*/, v219 /*v475*/, v235
	v_mul_i32_i24_e32 v157 /*v413*/, v220 /*v476*/, v236
	v_pk_fma_f32 v[146:147] /*v[402:403]*/, v[146:147] /*v[402:403]*/, v[0:1], v[148:149] /*v[404:405]*/ neg_lo:[0,0,1] neg_hi:[0,0,1]
	s_set_vgpr_msb 0                        ;  msbs: dst=0 src0=0 src1=0 src2=0
	v_add3_u32 v36, v36, v53, v54
	s_set_vgpr_msb 1                        ;  msbs: dst=0 src0=1 src1=0 src2=0
	v_mul_i32_i24_e32 v53, v210 /*v466*/, v223
	v_mul_i32_i24_e32 v54, v211 /*v467*/, v224
	s_set_vgpr_msb 0x41                     ;  msbs: dst=1 src0=1 src1=0 src2=0
	v_mul_i32_i24_e32 v148 /*v404*/, v216 /*v472*/, v231
	s_set_vgpr_msb 4                        ;  msbs: dst=0 src0=0 src1=1 src2=0
	v_pk_add_f32 v[50:51], v[50:51], v[146:147] /*v[402:403]*/
	s_set_vgpr_msb 0x41                     ;  msbs: dst=1 src0=1 src1=0 src2=0
	v_mul_i32_i24_e32 v146 /*v402*/, v215 /*v471*/, v229
	v_mul_i32_i24_e32 v147 /*v403*/, v192 /*v448*/, v230
	s_set_vgpr_msb 0                        ;  msbs: dst=0 src0=0 src1=0 src2=0
	v_add3_u32 v36, v36, v53, v54
	s_set_vgpr_msb 1                        ;  msbs: dst=0 src0=1 src1=0 src2=0
	v_mul_i32_i24_e32 v53, v198 /*v454*/, v249
	v_mul_i32_i24_e32 v54, v235 /*v491*/, v246
	s_set_vgpr_msb 0x41                     ;  msbs: dst=1 src0=1 src1=0 src2=0
	v_mul_i32_i24_e32 v149 /*v405*/, v217 /*v473*/, v232
	s_set_vgpr_msb 0                        ;  msbs: dst=0 src0=0 src1=0 src2=0
	v_add3_u32 v36, v36, v56, v58
	s_set_vgpr_msb 1                        ;  msbs: dst=0 src0=1 src1=0 src2=0
	v_mul_i32_i24_e32 v56, v234 /*v490*/, v252
	v_mad_i32_i24 v53, v233 /*v489*/, v248, v53
	v_mul_i32_i24_e32 v58, v239 /*v495*/, v250
	s_set_vgpr_msb 0                        ;  msbs: dst=0 src0=0 src1=0 src2=0
	v_add3_u32 v36, v36, v67, v92
	s_set_vgpr_msb 5                        ;  msbs: dst=0 src0=1 src1=1 src2=0
	v_mul_i32_i24_e32 v67, v174 /*v430*/, v3 /*v259*/
	s_set_vgpr_msb 0                        ;  msbs: dst=0 src0=0 src1=0 src2=0
	v_add3_u32 v53, v53, v54, v56
	s_set_vgpr_msb 1                        ;  msbs: dst=0 src0=1 src1=0 src2=0
	v_mul_i32_i24_e32 v54, v199 /*v455*/, v255
	s_set_vgpr_msb 5                        ;  msbs: dst=0 src0=1 src1=1 src2=0
	v_mul_i32_i24_e32 v56, v162 /*v418*/, v1 /*v257*/
	s_set_vgpr_msb 20                       ;  msbs: dst=0 src0=0 src1=1 src2=1
	v_add3_u32 v36, v36, v146 /*v402*/, v147 /*v403*/
	s_set_vgpr_msb 5                        ;  msbs: dst=0 src0=1 src1=1 src2=0
	v_mul_i32_i24_e32 v92, v200 /*v456*/, v4 /*v260*/
	s_set_vgpr_msb 0x45                     ;  msbs: dst=1 src0=1 src1=1 src2=0
	v_mul_i32_i24_e32 v146 /*v402*/, v231 /*v487*/, v5 /*v261*/
	v_mul_i32_i24_e32 v147 /*v403*/, v245 /*v501*/, v2 /*v258*/
	s_set_vgpr_msb 0                        ;  msbs: dst=0 src0=0 src1=0 src2=0
	v_add3_u32 v53, v53, v54, v56
	s_set_vgpr_msb 20                       ;  msbs: dst=0 src0=0 src1=1 src2=1
	v_add3_u32 v36, v36, v148 /*v404*/, v149 /*v405*/
	s_set_vgpr_msb 0x45                     ;  msbs: dst=1 src0=1 src1=1 src2=0
	v_mul_i32_i24_e32 v148 /*v404*/, v244 /*v500*/, v7 /*v263*/
	v_mul_i32_i24_e32 v149 /*v405*/, v201 /*v457*/, v8 /*v264*/
	s_set_vgpr_msb 21                       ;  msbs: dst=0 src0=1 src1=1 src2=1
	v_add3_u32 v54, v177 /*v433*/, v175 /*v431*/, v176 /*v432*/
	s_set_vgpr_msb 0                        ;  msbs: dst=0 src0=0 src1=0 src2=0
	v_add3_u32 v53, v53, v58, v67
	s_set_vgpr_msb 20                       ;  msbs: dst=0 src0=0 src1=1 src2=1
	v_add3_u32 v36, v36, v150 /*v406*/, v151 /*v407*/
	s_set_vgpr_msb 0x45                     ;  msbs: dst=1 src0=1 src1=1 src2=0
	v_mul_i32_i24_e32 v150 /*v406*/, v232 /*v488*/, v9 /*v265*/
	v_mul_i32_i24_e32 v151 /*v407*/, v251 /*v507*/, v6 /*v262*/
	s_set_vgpr_msb 16                       ;  msbs: dst=0 src0=0 src1=0 src2=1
	v_mul_lo_u32 v54, v54, v218
	v_add3_u32 v53, v53, v92, v146 /*v402*/
	s_set_vgpr_msb 20                       ;  msbs: dst=0 src0=0 src1=1 src2=1
	v_add3_u32 v36, v36, v156 /*v412*/, v157 /*v413*/
	s_set_vgpr_msb 0x45                     ;  msbs: dst=1 src0=1 src1=1 src2=0
	v_mul_i32_i24_e32 v156 /*v412*/, v250 /*v506*/, v10 /*v266*/
	v_mul_i32_i24_e32 v157 /*v413*/, v153 /*v409*/, v11 /*v267*/
	s_set_vgpr_msb 1                        ;  msbs: dst=0 src0=1 src1=0 src2=0
	v_mul_i32_i24_e32 v56, v212 /*v468*/, v161
	s_set_vgpr_msb 20                       ;  msbs: dst=0 src0=0 src1=1 src2=1
	v_add3_u32 v53, v53, v147 /*v403*/, v148 /*v404*/
	v_add3_u32 v36, v36, v163 /*v419*/, v164 /*v420*/
	s_set_vgpr_msb 0x45                     ;  msbs: dst=1 src0=1 src1=1 src2=0
	v_mul_i32_i24_e32 v163 /*v419*/, v152 /*v408*/, v12 /*v268*/
	s_set_vgpr_msb 0x44                     ;  msbs: dst=1 src0=0 src1=1 src2=0
	v_mul_i32_i24_e32 v164 /*v420*/, v61, v14 /*v270*/
	s_set_vgpr_msb 1                        ;  msbs: dst=0 src0=1 src1=0 src2=0
	v_mul_i32_i24_e32 v58, v191 /*v447*/, v162
	s_set_vgpr_msb 20                       ;  msbs: dst=0 src0=0 src1=1 src2=1
	v_add3_u32 v53, v53, v149 /*v405*/, v150 /*v406*/
	v_add3_u32 v36, v36, v165 /*v421*/, v167 /*v423*/
	s_set_vgpr_msb 0x44                     ;  msbs: dst=1 src0=0 src1=1 src2=0
	v_mul_i32_i24_e32 v165 /*v421*/, v55, v13 /*v269*/
	s_set_vgpr_msb 0x45                     ;  msbs: dst=1 src0=1 src1=1 src2=0
	v_mul_i32_i24_e32 v167 /*v423*/, v203 /*v459*/, v15 /*v271*/
	s_set_vgpr_msb 64                       ;  msbs: dst=1 src0=0 src1=0 src2=0
	v_cvt_f32_i32_e32 v146 /*v402*/, v54
	s_set_vgpr_msb 20                       ;  msbs: dst=0 src0=0 src1=1 src2=1
	v_add3_u32 v53, v53, v151 /*v407*/, v156 /*v412*/
	v_add3_u32 v36, v36, v168 /*v424*/, v169 /*v425*/
	s_set_vgpr_msb 0x44                     ;  msbs: dst=1 src0=0 src1=1 src2=0
	v_mul_i32_i24_e32 v168 /*v424*/, v69, v16 /*v272*/
	s_set_vgpr_msb 0x45                     ;  msbs: dst=1 src0=1 src1=1 src2=0
	v_mul_i32_i24_e32 v169 /*v425*/, v252 /*v508*/, v18 /*v274*/
	s_set_vgpr_msb 1                        ;  msbs: dst=0 src0=1 src1=0 src2=0
	v_mul_i32_i24_e32 v54, v145 /*v401*/, v109
	s_set_vgpr_msb 20                       ;  msbs: dst=0 src0=0 src1=1 src2=1
	v_add3_u32 v53, v53, v157 /*v413*/, v163 /*v419*/
	v_add3_u32 v36, v36, v171 /*v427*/, v202 /*v458*/
	s_set_vgpr_msb 0x45                     ;  msbs: dst=1 src0=1 src1=1 src2=0
	v_mul_i32_i24_e32 v171 /*v427*/, v170 /*v426*/, v17 /*v273*/
	v_mul_i32_i24_e32 v202 /*v458*/, v204 /*v460*/, v19 /*v275*/
	s_set_vgpr_msb 5                        ;  msbs: dst=0 src0=1 src1=1 src2=0
	v_add3_u32 v54, v182 /*v438*/, v181 /*v437*/, v54
	s_set_vgpr_msb 20                       ;  msbs: dst=0 src0=0 src1=1 src2=1
	v_add3_u32 v53, v53, v164 /*v420*/, v165 /*v421*/
	v_add3_u32 v36, v36, v206 /*v462*/, v236 /*v492*/
	s_set_vgpr_msb 0x44                     ;  msbs: dst=1 src0=0 src1=1 src2=0
	v_mul_i32_i24_e32 v206 /*v462*/, v71, v20 /*v276*/
	v_mul_i32_i24_e32 v236 /*v492*/, v52, v22 /*v278*/
	v_pk_fma_f32 v[148:149] /*v[404:405]*/, v[102:103], v[160:161] /*v[416:417]*/, 0 op_sel_hi:[0,1,0]
	s_set_vgpr_msb 20                       ;  msbs: dst=0 src0=0 src1=1 src2=1
	v_add3_u32 v53, v53, v167 /*v423*/, v168 /*v424*/
	v_add3_u32 v36, v36, v237 /*v493*/, v238 /*v494*/
	s_set_vgpr_msb 0x45                     ;  msbs: dst=1 src0=1 src1=1 src2=0
	v_mul_i32_i24_e32 v237 /*v493*/, v166 /*v422*/, v21 /*v277*/
	s_set_vgpr_msb 0x54                     ;  msbs: dst=1 src0=0 src1=1 src2=1
	v_mul_i32_i24_e32 v238 /*v494*/, v82, v23 /*v279*/
	v_pk_fma_f32 v[148:149] /*v[404:405]*/, v[104:105], v[154:155] /*v[410:411]*/, v[148:149] /*v[404:405]*/ op_sel_hi:[0,1,1]
	s_set_vgpr_msb 20                       ;  msbs: dst=0 src0=0 src1=1 src2=1
	v_add3_u32 v53, v53, v169 /*v425*/, v171 /*v427*/
	v_add3_u32 v36, v36, v240 /*v496*/, v241 /*v497*/
	s_set_vgpr_msb 1                        ;  msbs: dst=0 src0=1 src1=0 src2=0
	v_mul_i32_i24_e32 v67, v213 /*v469*/, v163
	v_mul_i32_i24_e32 v92, v214 /*v470*/, v164
	s_set_vgpr_msb 0x41                     ;  msbs: dst=1 src0=1 src1=0 src2=0
	v_pk_mul_f32 v[148:149] /*v[404:405]*/, v[148:149] /*v[404:405]*/, v[10:11]
	s_set_vgpr_msb 20                       ;  msbs: dst=0 src0=0 src1=1 src2=1
	v_add3_u32 v53, v53, v202 /*v458*/, v206 /*v462*/
	s_set_vgpr_msb 0                        ;  msbs: dst=0 src0=0 src1=0 src2=0
	v_mul_lo_u32 v36, v36, v218
	s_set_vgpr_msb 0x41                     ;  msbs: dst=1 src0=1 src1=0 src2=0
	v_mul_i32_i24_e32 v156 /*v412*/, v219 /*v475*/, v171
	v_mul_i32_i24_e32 v157 /*v413*/, v220 /*v476*/, v172
	;; [unrolled: 1-line block ×3, first 2 shown]
	s_set_vgpr_msb 20                       ;  msbs: dst=0 src0=0 src1=1 src2=1
	v_add3_u32 v53, v53, v236 /*v492*/, v237 /*v493*/
	s_set_vgpr_msb 0x41                     ;  msbs: dst=1 src0=1 src1=0 src2=0
	v_mul_i32_i24_e32 v164 /*v420*/, v194 /*v450*/, v174
	s_set_vgpr_msb 0x44                     ;  msbs: dst=1 src0=0 src1=1 src2=0
	v_mul_i32_i24_e32 v165 /*v421*/, v176, v222 /*v478*/
	v_mul_i32_i24_e32 v167 /*v423*/, v175, v223 /*v479*/
	;; [unrolled: 1-line block ×3, first 2 shown]
	s_set_vgpr_msb 20                       ;  msbs: dst=0 src0=0 src1=1 src2=1
	v_add3_u32 v53, v53, v238 /*v494*/, v242 /*v498*/
	s_set_vgpr_msb 0x44                     ;  msbs: dst=1 src0=0 src1=1 src2=0
	v_mul_i32_i24_e32 v169 /*v425*/, v177, v195 /*v451*/
	v_cvt_f32_i32_e32 v147 /*v403*/, v36
	s_set_vgpr_msb 1                        ;  msbs: dst=0 src0=1 src1=0 src2=0
	v_mul_i32_i24_e32 v36, v205 /*v461*/, v109
	s_set_vgpr_msb 0x44                     ;  msbs: dst=1 src0=0 src1=1 src2=0
	v_mul_i32_i24_e32 v171 /*v427*/, v180, v225 /*v481*/
	v_mul_i32_i24_e32 v175 /*v431*/, v179, v226 /*v482*/
	;; [unrolled: 1-line block ×3, first 2 shown]
	s_set_vgpr_msb 0x45                     ;  msbs: dst=1 src0=1 src1=1 src2=0
	v_pk_fma_f32 v[146:147] /*v[402:403]*/, v[158:159] /*v[414:415]*/, v[146:147] /*v[402:403]*/, 0 op_sel_hi:[1,1,0]
	s_set_vgpr_msb 4                        ;  msbs: dst=0 src0=0 src1=1 src2=0
	v_add3_u32 v36, v53, v243 /*v499*/, v36
	s_set_vgpr_msb 0                        ;  msbs: dst=0 src0=0 src1=0 src2=0
	v_mul_lo_u32 v53, v54, v157
	s_set_vgpr_msb 1                        ;  msbs: dst=0 src0=1 src1=0 src2=0
	v_mul_i32_i24_e32 v54, v190 /*v446*/, v158
	s_set_vgpr_msb 0x44                     ;  msbs: dst=1 src0=0 src1=1 src2=0
	v_mul_i32_i24_e32 v177 /*v433*/, v181, v196 /*v452*/
	s_set_vgpr_msb 0x41                     ;  msbs: dst=1 src0=1 src1=0 src2=0
	v_mul_i32_i24_e32 v181 /*v437*/, v228 /*v484*/, v187
	s_set_vgpr_msb 0                        ;  msbs: dst=0 src0=0 src1=0 src2=0
	v_mul_lo_u32 v36, v36, v157
	s_set_vgpr_msb 0x41                     ;  msbs: dst=1 src0=1 src1=0 src2=0
	v_mul_i32_i24_e32 v182 /*v438*/, v229 /*v485*/, v189
	v_mul_i32_i24_e32 v202 /*v458*/, v230 /*v486*/, v190
	;; [unrolled: 1-line block ×3, first 2 shown]
	s_set_vgpr_msb 64                       ;  msbs: dst=1 src0=0 src1=0 src2=0
	v_mul_i32_i24_e32 v236 /*v492*/, v84, v216
	v_mul_i32_i24_e32 v237 /*v493*/, v86, v217
	s_set_vgpr_msb 4                        ;  msbs: dst=0 src0=0 src1=1 src2=0
	v_mul_i32_i24_e32 v84, v84, v90 /*v346*/
	s_set_vgpr_msb 64                       ;  msbs: dst=1 src0=0 src1=0 src2=0
	v_cvt_f32_i32_e32 v150 /*v406*/, v53
	s_set_vgpr_msb 1                        ;  msbs: dst=0 src0=1 src1=0 src2=0
	v_mul_i32_i24_e32 v53, v209 /*v465*/, v124
	s_set_vgpr_msb 4                        ;  msbs: dst=0 src0=0 src1=1 src2=0
	v_mul_i32_i24_e32 v86, v86, v91 /*v347*/
	s_set_vgpr_msb 64                       ;  msbs: dst=1 src0=0 src1=0 src2=0
	v_cvt_f32_i32_e32 v151 /*v407*/, v36
	s_set_vgpr_msb 1                        ;  msbs: dst=0 src0=1 src1=0 src2=0
	v_mul_i32_i24_e32 v36, v207 /*v463*/, v122
	s_set_vgpr_msb 0x55                     ;  msbs: dst=1 src0=1 src1=1 src2=1
	s_delay_alu instid0(VALU_DEP_2) | instskip(SKIP_1) | instid1(VALU_DEP_2)
	v_pk_fma_f32 v[146:147] /*v[402:403]*/, v[172:173] /*v[428:429]*/, v[150:151] /*v[406:407]*/, v[146:147] /*v[402:403]*/
	s_set_vgpr_msb 1                        ;  msbs: dst=0 src0=1 src1=0 src2=0
	v_mad_i32_i24 v36, v208 /*v464*/, v120, v36
	s_set_vgpr_msb 0x51                     ;  msbs: dst=1 src0=1 src1=0 src2=1
	v_mul_i32_i24_e32 v150 /*v406*/, v218 /*v474*/, v169
	v_mul_i32_i24_e32 v151 /*v407*/, v193 /*v449*/, v170
	v_pk_fma_f32 v[146:147] /*v[402:403]*/, v[146:147] /*v[402:403]*/, v[2:3], v[148:149] /*v[404:405]*/ neg_lo:[0,0,1] neg_hi:[0,0,1]
	s_set_vgpr_msb 0                        ;  msbs: dst=0 src0=0 src1=0 src2=0
	v_add3_u32 v36, v36, v53, v54
	s_set_vgpr_msb 1                        ;  msbs: dst=0 src0=1 src1=0 src2=0
	v_mul_i32_i24_e32 v53, v210 /*v466*/, v159
	v_mul_i32_i24_e32 v54, v211 /*v467*/, v160
	s_set_vgpr_msb 0x41                     ;  msbs: dst=1 src0=1 src1=0 src2=0
	v_mul_i32_i24_e32 v148 /*v404*/, v216 /*v472*/, v167
	s_set_vgpr_msb 4                        ;  msbs: dst=0 src0=0 src1=1 src2=0
	v_pk_add_f32 v[48:49], v[48:49], v[146:147] /*v[402:403]*/
	s_set_vgpr_msb 0x41                     ;  msbs: dst=1 src0=1 src1=0 src2=0
	v_mul_i32_i24_e32 v146 /*v402*/, v215 /*v471*/, v165
	v_mul_i32_i24_e32 v147 /*v403*/, v192 /*v448*/, v166
	s_set_vgpr_msb 0                        ;  msbs: dst=0 src0=0 src1=0 src2=0
	v_add3_u32 v36, v36, v53, v54
	s_set_vgpr_msb 1                        ;  msbs: dst=0 src0=1 src1=0 src2=0
	v_mul_i32_i24_e32 v53, v198 /*v454*/, v185
	v_mul_i32_i24_e32 v54, v235 /*v491*/, v182
	s_set_vgpr_msb 0x41                     ;  msbs: dst=1 src0=1 src1=0 src2=0
	v_mul_i32_i24_e32 v149 /*v405*/, v217 /*v473*/, v168
	s_set_vgpr_msb 0                        ;  msbs: dst=0 src0=0 src1=0 src2=0
	v_add3_u32 v36, v36, v56, v58
	s_set_vgpr_msb 1                        ;  msbs: dst=0 src0=1 src1=0 src2=0
	v_mul_i32_i24_e32 v56, v234 /*v490*/, v188
	v_mad_i32_i24 v53, v233 /*v489*/, v184, v53
	v_mul_i32_i24_e32 v58, v239 /*v495*/, v186
	s_set_vgpr_msb 0                        ;  msbs: dst=0 src0=0 src1=0 src2=0
	v_add3_u32 v36, v36, v67, v92
	s_set_vgpr_msb 1                        ;  msbs: dst=0 src0=1 src1=0 src2=0
	v_mul_i32_i24_e32 v67, v174 /*v430*/, v195
	s_set_vgpr_msb 0                        ;  msbs: dst=0 src0=0 src1=0 src2=0
	v_add3_u32 v53, v53, v54, v56
	s_set_vgpr_msb 1                        ;  msbs: dst=0 src0=1 src1=0 src2=0
	v_mul_i32_i24_e32 v54, v199 /*v455*/, v191
	v_mul_i32_i24_e32 v56, v162 /*v418*/, v193
	s_set_vgpr_msb 20                       ;  msbs: dst=0 src0=0 src1=1 src2=1
	v_add3_u32 v36, v36, v146 /*v402*/, v147 /*v403*/
	s_set_vgpr_msb 1                        ;  msbs: dst=0 src0=1 src1=0 src2=0
	v_mul_i32_i24_e32 v92, v200 /*v456*/, v196
	s_set_vgpr_msb 0x41                     ;  msbs: dst=1 src0=1 src1=0 src2=0
	v_mul_i32_i24_e32 v146 /*v402*/, v231 /*v487*/, v197
	v_mul_i32_i24_e32 v147 /*v403*/, v245 /*v501*/, v194
	s_set_vgpr_msb 0                        ;  msbs: dst=0 src0=0 src1=0 src2=0
	v_add3_u32 v53, v53, v54, v56
	s_set_vgpr_msb 20                       ;  msbs: dst=0 src0=0 src1=1 src2=1
	v_add3_u32 v36, v36, v148 /*v404*/, v149 /*v405*/
	s_set_vgpr_msb 0x41                     ;  msbs: dst=1 src0=1 src1=0 src2=0
	v_mul_i32_i24_e32 v148 /*v404*/, v244 /*v500*/, v199
	v_mul_i32_i24_e32 v149 /*v405*/, v201 /*v457*/, v200
	s_set_vgpr_msb 21                       ;  msbs: dst=0 src0=1 src1=1 src2=1
	v_add3_u32 v54, v180 /*v436*/, v178 /*v434*/, v179 /*v435*/
	s_set_vgpr_msb 0                        ;  msbs: dst=0 src0=0 src1=0 src2=0
	v_add3_u32 v53, v53, v58, v67
	s_set_vgpr_msb 20                       ;  msbs: dst=0 src0=0 src1=1 src2=1
	v_add3_u32 v36, v36, v150 /*v406*/, v151 /*v407*/
	s_set_vgpr_msb 0x41                     ;  msbs: dst=1 src0=1 src1=0 src2=0
	v_mul_i32_i24_e32 v150 /*v406*/, v232 /*v488*/, v201
	v_mul_i32_i24_e32 v151 /*v407*/, v251 /*v507*/, v198
	s_set_vgpr_msb 16                       ;  msbs: dst=0 src0=0 src1=0 src2=1
	v_mul_lo_u32 v54, v54, v107
	v_add3_u32 v53, v53, v92, v146 /*v402*/
	s_set_vgpr_msb 20                       ;  msbs: dst=0 src0=0 src1=1 src2=1
	v_add3_u32 v36, v36, v156 /*v412*/, v157 /*v413*/
	s_set_vgpr_msb 0x41                     ;  msbs: dst=1 src0=1 src1=0 src2=0
	v_mul_i32_i24_e32 v156 /*v412*/, v250 /*v506*/, v202
	v_mul_i32_i24_e32 v157 /*v413*/, v153 /*v409*/, v203
	s_set_vgpr_msb 5                        ;  msbs: dst=0 src0=1 src1=1 src2=0
	v_mul_i32_i24_e32 v56, v212 /*v468*/, v35 /*v291*/
	s_set_vgpr_msb 20                       ;  msbs: dst=0 src0=0 src1=1 src2=1
	v_add3_u32 v53, v53, v147 /*v403*/, v148 /*v404*/
	v_add3_u32 v36, v36, v163 /*v419*/, v164 /*v420*/
	s_set_vgpr_msb 0x41                     ;  msbs: dst=1 src0=1 src1=0 src2=0
	v_mul_i32_i24_e32 v163 /*v419*/, v152 /*v408*/, v204
	s_set_vgpr_msb 64                       ;  msbs: dst=1 src0=0 src1=0 src2=0
	v_mul_i32_i24_e32 v164 /*v420*/, v61, v206
	s_set_vgpr_msb 5                        ;  msbs: dst=0 src0=1 src1=1 src2=0
	v_mul_i32_i24_e32 v58, v191 /*v447*/, v36 /*v292*/
	s_set_vgpr_msb 20                       ;  msbs: dst=0 src0=0 src1=1 src2=1
	v_add3_u32 v53, v53, v149 /*v405*/, v150 /*v406*/
	v_add3_u32 v36, v36, v165 /*v421*/, v167 /*v423*/
	s_set_vgpr_msb 64                       ;  msbs: dst=1 src0=0 src1=0 src2=0
	v_mul_i32_i24_e32 v165 /*v421*/, v55, v205
	s_set_vgpr_msb 0x41                     ;  msbs: dst=1 src0=1 src1=0 src2=0
	v_mul_i32_i24_e32 v167 /*v423*/, v203 /*v459*/, v207
	s_set_vgpr_msb 64                       ;  msbs: dst=1 src0=0 src1=0 src2=0
	v_cvt_f32_i32_e32 v146 /*v402*/, v54
	s_set_vgpr_msb 20                       ;  msbs: dst=0 src0=0 src1=1 src2=1
	v_add3_u32 v53, v53, v151 /*v407*/, v156 /*v412*/
	v_add3_u32 v36, v36, v168 /*v424*/, v169 /*v425*/
	s_set_vgpr_msb 64                       ;  msbs: dst=1 src0=0 src1=0 src2=0
	v_mul_i32_i24_e32 v168 /*v424*/, v69, v208
	s_set_vgpr_msb 0x41                     ;  msbs: dst=1 src0=1 src1=0 src2=0
	v_mul_i32_i24_e32 v169 /*v425*/, v252 /*v508*/, v210
	s_set_vgpr_msb 1                        ;  msbs: dst=0 src0=1 src1=0 src2=0
	v_mul_i32_i24_e32 v54, v145 /*v401*/, v97
	s_set_vgpr_msb 20                       ;  msbs: dst=0 src0=0 src1=1 src2=1
	v_add3_u32 v53, v53, v157 /*v413*/, v163 /*v419*/
	v_add3_u32 v36, v36, v171 /*v427*/, v175 /*v431*/
	s_set_vgpr_msb 0x41                     ;  msbs: dst=1 src0=1 src1=0 src2=0
	v_mul_i32_i24_e32 v171 /*v427*/, v170 /*v426*/, v209
	v_mul_i32_i24_e32 v175 /*v431*/, v204 /*v460*/, v211
	s_set_vgpr_msb 5                        ;  msbs: dst=0 src0=1 src1=1 src2=0
	v_add3_u32 v54, v184 /*v440*/, v183 /*v439*/, v54
	s_set_vgpr_msb 20                       ;  msbs: dst=0 src0=0 src1=1 src2=1
	v_add3_u32 v53, v53, v164 /*v420*/, v165 /*v421*/
	v_add3_u32 v36, v36, v176 /*v432*/, v177 /*v433*/
	s_set_vgpr_msb 64                       ;  msbs: dst=1 src0=0 src1=0 src2=0
	v_mul_i32_i24_e32 v176 /*v432*/, v71, v212
	v_mul_i32_i24_e32 v177 /*v433*/, v52, v214
	s_set_vgpr_msb 0x44                     ;  msbs: dst=1 src0=0 src1=1 src2=0
	v_pk_fma_f32 v[148:149] /*v[404:405]*/, v[94:95], v[160:161] /*v[416:417]*/, 0 op_sel_hi:[0,1,0]
	s_set_vgpr_msb 20                       ;  msbs: dst=0 src0=0 src1=1 src2=1
	v_add3_u32 v53, v53, v167 /*v423*/, v168 /*v424*/
	v_add3_u32 v36, v36, v181 /*v437*/, v182 /*v438*/
	s_set_vgpr_msb 0x41                     ;  msbs: dst=1 src0=1 src1=0 src2=0
	v_mul_i32_i24_e32 v181 /*v437*/, v166 /*v422*/, v213
	s_set_vgpr_msb 64                       ;  msbs: dst=1 src0=0 src1=0 src2=0
	v_mul_i32_i24_e32 v182 /*v438*/, v82, v215
	s_set_vgpr_msb 0x54                     ;  msbs: dst=1 src0=0 src1=1 src2=1
	v_pk_fma_f32 v[148:149] /*v[404:405]*/, v[96:97], v[154:155] /*v[410:411]*/, v[148:149] /*v[404:405]*/ op_sel_hi:[0,1,1]
	s_set_vgpr_msb 20                       ;  msbs: dst=0 src0=0 src1=1 src2=1
	v_add3_u32 v53, v53, v169 /*v425*/, v171 /*v427*/
	v_add3_u32 v36, v36, v202 /*v458*/, v206 /*v462*/
	s_set_vgpr_msb 5                        ;  msbs: dst=0 src0=1 src1=1 src2=0
	v_mul_i32_i24_e32 v67, v213 /*v469*/, v37 /*v293*/
	v_mul_i32_i24_e32 v92, v214 /*v470*/, v38 /*v294*/
	s_set_vgpr_msb 0x41                     ;  msbs: dst=1 src0=1 src1=0 src2=0
	v_pk_mul_f32 v[148:149] /*v[404:405]*/, v[148:149] /*v[404:405]*/, v[12:13]
	s_set_vgpr_msb 20                       ;  msbs: dst=0 src0=0 src1=1 src2=1
	v_add3_u32 v53, v53, v175 /*v431*/, v176 /*v432*/
	s_set_vgpr_msb 0                        ;  msbs: dst=0 src0=0 src1=0 src2=0
	v_mul_lo_u32 v36, v36, v107
	s_set_vgpr_msb 0x45                     ;  msbs: dst=1 src0=1 src1=1 src2=0
	v_mul_i32_i24_e32 v156 /*v412*/, v219 /*v475*/, v45 /*v301*/
	v_mul_i32_i24_e32 v157 /*v413*/, v220 /*v476*/, v46 /*v302*/
	;; [unrolled: 1-line block ×3, first 2 shown]
	s_set_vgpr_msb 20                       ;  msbs: dst=0 src0=0 src1=1 src2=1
	v_add3_u32 v53, v53, v177 /*v433*/, v181 /*v437*/
	s_set_vgpr_msb 0x45                     ;  msbs: dst=1 src0=1 src1=1 src2=0
	v_mul_i32_i24_e32 v164 /*v420*/, v194 /*v450*/, v48 /*v304*/
	v_mul_i32_i24_e32 v165 /*v421*/, v50 /*v306*/, v222 /*v478*/
	;; [unrolled: 1-line block ×4, first 2 shown]
	s_set_vgpr_msb 20                       ;  msbs: dst=0 src0=0 src1=1 src2=1
	v_add3_u32 v53, v53, v182 /*v438*/, v236 /*v492*/
	s_set_vgpr_msb 0x45                     ;  msbs: dst=1 src0=1 src1=1 src2=0
	v_mul_i32_i24_e32 v152 /*v408*/, v152 /*v408*/, v78 /*v334*/
	s_set_vgpr_msb 64                       ;  msbs: dst=1 src0=0 src1=0 src2=0
	v_cvt_f32_i32_e32 v147 /*v403*/, v36
	s_set_vgpr_msb 1                        ;  msbs: dst=0 src0=1 src1=0 src2=0
	v_mul_i32_i24_e32 v36, v205 /*v461*/, v97
	s_set_vgpr_msb 0x45                     ;  msbs: dst=1 src0=1 src1=1 src2=0
	v_mul_i32_i24_e32 v168 /*v424*/, v52 /*v308*/, v224 /*v480*/
	v_mul_i32_i24_e32 v169 /*v425*/, v51 /*v307*/, v195 /*v451*/
	s_set_vgpr_msb 4                        ;  msbs: dst=0 src0=0 src1=1 src2=0
	v_mul_i32_i24_e32 v61, v61, v80 /*v336*/
	s_set_vgpr_msb 0x45                     ;  msbs: dst=1 src0=1 src1=1 src2=0
	v_pk_fma_f32 v[146:147] /*v[402:403]*/, v[158:159] /*v[414:415]*/, v[146:147] /*v[402:403]*/, 0 op_sel_hi:[1,1,0]
	s_set_vgpr_msb 4                        ;  msbs: dst=0 src0=0 src1=1 src2=0
	v_add3_u32 v36, v53, v237 /*v493*/, v36
	s_set_vgpr_msb 0                        ;  msbs: dst=0 src0=0 src1=0 src2=0
	v_mul_lo_u32 v53, v54, v99
	s_set_vgpr_msb 5                        ;  msbs: dst=0 src0=1 src1=1 src2=0
	v_mul_i32_i24_e32 v54, v190 /*v446*/, v32 /*v288*/
	s_set_vgpr_msb 4                        ;  msbs: dst=0 src0=0 src1=1 src2=0
	v_mul_i32_i24_e32 v55, v55, v79 /*v335*/
	s_set_vgpr_msb 0x45                     ;  msbs: dst=1 src0=1 src1=1 src2=0
	v_mul_i32_i24_e32 v171 /*v427*/, v54 /*v310*/, v225 /*v481*/
	s_set_vgpr_msb 0                        ;  msbs: dst=0 src0=0 src1=0 src2=0
	v_mul_lo_u32 v36, v36, v99
	s_set_vgpr_msb 0x45                     ;  msbs: dst=1 src0=1 src1=1 src2=0
	v_mul_i32_i24_e32 v175 /*v431*/, v53 /*v309*/, v226 /*v482*/
	s_set_vgpr_msb 4                        ;  msbs: dst=0 src0=0 src1=1 src2=0
	v_mul_i32_i24_e32 v69, v69, v82 /*v338*/
	s_set_vgpr_msb 0x45                     ;  msbs: dst=1 src0=1 src1=1 src2=0
	v_mul_i32_i24_e32 v176 /*v432*/, v57 /*v313*/, v227 /*v483*/
	v_mul_i32_i24_e32 v177 /*v433*/, v55 /*v311*/, v196 /*v452*/
	;; [unrolled: 1-line block ×4, first 2 shown]
	s_set_vgpr_msb 64                       ;  msbs: dst=1 src0=0 src1=0 src2=0
	v_cvt_f32_i32_e32 v150 /*v406*/, v53
	s_set_vgpr_msb 5                        ;  msbs: dst=0 src0=1 src1=1 src2=0
	v_mul_i32_i24_e32 v53, v209 /*v465*/, v31 /*v287*/
	s_set_vgpr_msb 4                        ;  msbs: dst=0 src0=0 src1=1 src2=0
	v_mul_i32_i24_e32 v71, v71, v86 /*v342*/
	s_set_vgpr_msb 0x45                     ;  msbs: dst=1 src0=1 src1=1 src2=0
	v_mul_i32_i24_e32 v180 /*v436*/, v230 /*v486*/, v64 /*v320*/
	s_set_vgpr_msb 64                       ;  msbs: dst=1 src0=0 src1=0 src2=0
	v_cvt_f32_i32_e32 v151 /*v407*/, v36
	s_set_vgpr_msb 5                        ;  msbs: dst=0 src0=1 src1=1 src2=0
	v_mul_i32_i24_e32 v36, v207 /*v463*/, v30 /*v286*/
	s_set_vgpr_msb 0x45                     ;  msbs: dst=1 src0=1 src1=1 src2=0
	v_mul_i32_i24_e32 v181 /*v437*/, v197 /*v453*/, v66 /*v322*/
	s_set_vgpr_msb 4                        ;  msbs: dst=0 src0=0 src1=1 src2=0
	v_mul_i32_i24_e32 v52, v52, v88 /*v344*/
	v_mul_i32_i24_e32 v82, v82, v89 /*v345*/
	s_set_vgpr_msb 0x55                     ;  msbs: dst=1 src0=1 src1=1 src2=1
	v_pk_fma_f32 v[146:147] /*v[402:403]*/, v[172:173] /*v[428:429]*/, v[150:151] /*v[406:407]*/, v[146:147] /*v[402:403]*/
	s_set_vgpr_msb 5                        ;  msbs: dst=0 src0=1 src1=1 src2=0
	v_mad_i32_i24 v36, v208 /*v464*/, v29 /*v285*/, v36
	s_set_vgpr_msb 0x45                     ;  msbs: dst=1 src0=1 src1=1 src2=0
	v_mul_i32_i24_e32 v150 /*v406*/, v218 /*v474*/, v43 /*v299*/
	v_mul_i32_i24_e32 v151 /*v407*/, v193 /*v449*/, v44 /*v300*/
	s_set_vgpr_msb 0x51                     ;  msbs: dst=1 src0=1 src1=0 src2=1
	v_pk_fma_f32 v[146:147] /*v[402:403]*/, v[146:147] /*v[402:403]*/, v[4:5], v[148:149] /*v[404:405]*/ neg_lo:[0,0,1] neg_hi:[0,0,1]
	s_set_vgpr_msb 0                        ;  msbs: dst=0 src0=0 src1=0 src2=0
	v_add3_u32 v36, v36, v53, v54
	s_set_vgpr_msb 5                        ;  msbs: dst=0 src0=1 src1=1 src2=0
	v_mul_i32_i24_e32 v53, v210 /*v466*/, v33 /*v289*/
	v_mul_i32_i24_e32 v54, v211 /*v467*/, v34 /*v290*/
	s_set_vgpr_msb 0x45                     ;  msbs: dst=1 src0=1 src1=1 src2=0
	v_mul_i32_i24_e32 v148 /*v404*/, v216 /*v472*/, v41 /*v297*/
	s_set_vgpr_msb 4                        ;  msbs: dst=0 src0=0 src1=1 src2=0
	v_pk_add_f32 v[46:47], v[46:47], v[146:147] /*v[402:403]*/
	s_set_vgpr_msb 0x45                     ;  msbs: dst=1 src0=1 src1=1 src2=0
	v_mul_i32_i24_e32 v146 /*v402*/, v215 /*v471*/, v39 /*v295*/
	v_mul_i32_i24_e32 v147 /*v403*/, v192 /*v448*/, v40 /*v296*/
	s_set_vgpr_msb 0                        ;  msbs: dst=0 src0=0 src1=0 src2=0
	v_add3_u32 v36, v36, v53, v54
	s_set_vgpr_msb 5                        ;  msbs: dst=0 src0=1 src1=1 src2=0
	v_mul_i32_i24_e32 v53, v198 /*v454*/, v59 /*v315*/
	v_mul_i32_i24_e32 v54, v235 /*v491*/, v56 /*v312*/
	s_set_vgpr_msb 0x45                     ;  msbs: dst=1 src0=1 src1=1 src2=0
	v_mul_i32_i24_e32 v149 /*v405*/, v217 /*v473*/, v42 /*v298*/
	s_set_vgpr_msb 0                        ;  msbs: dst=0 src0=0 src1=0 src2=0
	v_add3_u32 v36, v36, v56, v58
	s_set_vgpr_msb 5                        ;  msbs: dst=0 src0=1 src1=1 src2=0
	v_mul_i32_i24_e32 v56, v234 /*v490*/, v62 /*v318*/
	v_mad_i32_i24 v53, v233 /*v489*/, v58 /*v314*/, v53
	v_mul_i32_i24_e32 v58, v239 /*v495*/, v60 /*v316*/
	s_set_vgpr_msb 0                        ;  msbs: dst=0 src0=0 src1=0 src2=0
	v_add3_u32 v36, v36, v67, v92
	s_set_vgpr_msb 5                        ;  msbs: dst=0 src0=1 src1=1 src2=0
	v_mul_i32_i24_e32 v67, v174 /*v430*/, v69 /*v325*/
	s_set_vgpr_msb 0                        ;  msbs: dst=0 src0=0 src1=0 src2=0
	v_add3_u32 v53, v53, v54, v56
	s_set_vgpr_msb 5                        ;  msbs: dst=0 src0=1 src1=1 src2=0
	v_mul_i32_i24_e32 v54, v199 /*v455*/, v65 /*v321*/
	v_mul_i32_i24_e32 v56, v162 /*v418*/, v67 /*v323*/
	s_set_vgpr_msb 20                       ;  msbs: dst=0 src0=0 src1=1 src2=1
	v_add3_u32 v36, v36, v146 /*v402*/, v147 /*v403*/
	s_set_vgpr_msb 5                        ;  msbs: dst=0 src0=1 src1=1 src2=0
	v_mul_i32_i24_e32 v92, v200 /*v456*/, v70 /*v326*/
	s_set_vgpr_msb 0x45                     ;  msbs: dst=1 src0=1 src1=1 src2=0
	v_mul_i32_i24_e32 v146 /*v402*/, v231 /*v487*/, v71 /*v327*/
	v_mul_i32_i24_e32 v147 /*v403*/, v245 /*v501*/, v68 /*v324*/
	s_set_vgpr_msb 0                        ;  msbs: dst=0 src0=0 src1=0 src2=0
	v_add3_u32 v53, v53, v54, v56
	s_set_vgpr_msb 20                       ;  msbs: dst=0 src0=0 src1=1 src2=1
	v_add3_u32 v36, v36, v148 /*v404*/, v149 /*v405*/
	s_set_vgpr_msb 0x45                     ;  msbs: dst=1 src0=1 src1=1 src2=0
	v_mul_i32_i24_e32 v148 /*v404*/, v244 /*v500*/, v73 /*v329*/
	v_mul_i32_i24_e32 v149 /*v405*/, v201 /*v457*/, v74 /*v330*/
	;; [unrolled: 1-line block ×3, first 2 shown]
	s_set_vgpr_msb 0                        ;  msbs: dst=0 src0=0 src1=0 src2=0
	v_add3_u32 v53, v53, v58, v67
	s_set_vgpr_msb 20                       ;  msbs: dst=0 src0=0 src1=1 src2=1
	v_add3_u32 v36, v36, v150 /*v406*/, v151 /*v407*/
	s_set_vgpr_msb 0x45                     ;  msbs: dst=1 src0=1 src1=1 src2=0
	v_mul_i32_i24_e32 v150 /*v406*/, v232 /*v488*/, v75 /*v331*/
	v_mul_i32_i24_e32 v151 /*v407*/, v251 /*v507*/, v72 /*v328*/
	s_set_vgpr_msb 16                       ;  msbs: dst=0 src0=0 src1=0 src2=1
	v_add3_u32 v53, v53, v92, v146 /*v402*/
	s_set_vgpr_msb 20                       ;  msbs: dst=0 src0=0 src1=1 src2=1
	v_add3_u32 v36, v36, v156 /*v412*/, v157 /*v413*/
	s_set_vgpr_msb 0x45                     ;  msbs: dst=1 src0=1 src1=1 src2=0
	v_mul_i32_i24_e32 v156 /*v412*/, v250 /*v506*/, v76 /*v332*/
	v_mul_i32_i24_e32 v157 /*v413*/, v203 /*v459*/, v81 /*v337*/
	s_set_vgpr_msb 20                       ;  msbs: dst=0 src0=0 src1=1 src2=1
	v_add3_u32 v53, v53, v147 /*v403*/, v148 /*v404*/
	v_add3_u32 v36, v36, v163 /*v419*/, v164 /*v420*/
	s_set_vgpr_msb 0x45                     ;  msbs: dst=1 src0=1 src1=1 src2=0
	v_mul_i32_i24_e32 v163 /*v419*/, v170 /*v426*/, v83 /*v339*/
	v_mul_i32_i24_e32 v164 /*v420*/, v204 /*v460*/, v85 /*v341*/
	s_set_vgpr_msb 20                       ;  msbs: dst=0 src0=0 src1=1 src2=1
	v_add3_u32 v53, v53, v149 /*v405*/, v150 /*v406*/
	v_add3_u32 v36, v36, v165 /*v421*/, v167 /*v423*/
	s_set_vgpr_msb 0x45                     ;  msbs: dst=1 src0=1 src1=1 src2=0
	v_mul_i32_i24_e32 v165 /*v421*/, v166 /*v422*/, v87 /*v343*/
	s_set_vgpr_msb 0x44                     ;  msbs: dst=1 src0=0 src1=1 src2=0
	v_pk_fma_f32 v[148:149] /*v[404:405]*/, v[108:109], v[160:161] /*v[416:417]*/, 0 op_sel_hi:[0,1,0]
	s_set_vgpr_msb 20                       ;  msbs: dst=0 src0=0 src1=1 src2=1
	v_add3_u32 v53, v53, v151 /*v407*/, v156 /*v412*/
	v_add3_u32 v36, v36, v168 /*v424*/, v169 /*v425*/
	s_set_vgpr_msb 0x54                     ;  msbs: dst=1 src0=0 src1=1 src2=1
	v_pk_fma_f32 v[148:149] /*v[404:405]*/, v[106:107], v[154:155] /*v[410:411]*/, v[148:149] /*v[404:405]*/ op_sel_hi:[0,1,1]
	s_set_vgpr_msb 20                       ;  msbs: dst=0 src0=0 src1=1 src2=1
	v_add3_u32 v53, v53, v153 /*v409*/, v152 /*v408*/
	v_add3_u32 v36, v36, v171 /*v427*/, v175 /*v431*/
	s_set_vgpr_msb 0x41                     ;  msbs: dst=1 src0=1 src1=0 src2=0
	v_pk_mul_f32 v[148:149] /*v[404:405]*/, v[148:149] /*v[404:405]*/, v[14:15]
	s_set_vgpr_msb 0                        ;  msbs: dst=0 src0=0 src1=0 src2=0
	v_add3_u32 v53, v53, v61, v55
	s_set_vgpr_msb 20                       ;  msbs: dst=0 src0=0 src1=1 src2=1
	v_add3_u32 v36, v36, v176 /*v432*/, v177 /*v433*/
	s_set_vgpr_msb 4                        ;  msbs: dst=0 src0=0 src1=1 src2=0
	s_delay_alu instid0(VALU_DEP_2) | instskip(SKIP_1) | instid1(VALU_DEP_2)
	v_add3_u32 v53, v53, v157 /*v413*/, v69
	s_set_vgpr_msb 20                       ;  msbs: dst=0 src0=0 src1=1 src2=1
	v_add3_u32 v36, v36, v178 /*v434*/, v179 /*v435*/
	s_delay_alu instid0(VALU_DEP_2) | instskip(NEXT) | instid1(VALU_DEP_2)
	v_add3_u32 v53, v53, v162 /*v418*/, v163 /*v419*/
	v_add3_u32 v36, v36, v180 /*v436*/, v181 /*v437*/
	s_set_vgpr_msb 4                        ;  msbs: dst=0 src0=0 src1=1 src2=0
	s_delay_alu instid0(VALU_DEP_2) | instskip(NEXT) | instid1(VALU_DEP_2)
	v_add3_u32 v53, v53, v164 /*v420*/, v71
	v_mul_lo_u32 v36, v36, v28 /*v284*/
	s_set_vgpr_msb 16                       ;  msbs: dst=0 src0=0 src1=0 src2=1
	s_delay_alu instid0(VALU_DEP_2) | instskip(SKIP_3) | instid1(VALU_DEP_2)
	v_add3_u32 v52, v53, v52, v165 /*v421*/
	s_set_vgpr_msb 21                       ;  msbs: dst=0 src0=1 src1=1 src2=1
	v_add3_u32 v53, v187 /*v443*/, v185 /*v441*/, v186 /*v442*/
	s_set_vgpr_msb 0                        ;  msbs: dst=0 src0=0 src1=0 src2=0
	v_add3_u32 v52, v52, v82, v84
	s_set_vgpr_msb 4                        ;  msbs: dst=0 src0=0 src1=1 src2=0
	s_delay_alu instid0(VALU_DEP_2)
	v_mul_lo_u32 v53, v53, v28 /*v284*/
	s_set_vgpr_msb 64                       ;  msbs: dst=1 src0=0 src1=0 src2=0
	v_cvt_f32_i32_e32 v147 /*v403*/, v36
	s_set_vgpr_msb 5                        ;  msbs: dst=0 src0=1 src1=1 src2=0
	v_mul_i32_i24_e32 v36, v205 /*v461*/, v26 /*v282*/
	s_set_vgpr_msb 0                        ;  msbs: dst=0 src0=0 src1=0 src2=0
	s_delay_alu instid0(VALU_DEP_1) | instskip(SKIP_1) | instid1(VALU_DEP_4)
	v_add3_u32 v36, v52, v86, v36
	s_set_vgpr_msb 64                       ;  msbs: dst=1 src0=0 src1=0 src2=0
	v_cvt_f32_i32_e32 v146 /*v402*/, v53
	s_set_vgpr_msb 5                        ;  msbs: dst=0 src0=1 src1=1 src2=0
	v_mul_i32_i24_e32 v53, v145 /*v401*/, v26 /*v282*/
	s_set_vgpr_msb 4                        ;  msbs: dst=0 src0=0 src1=1 src2=0
	v_mul_lo_u32 v36, v36, v27 /*v283*/
	s_set_vgpr_msb 0x45                     ;  msbs: dst=1 src0=1 src1=1 src2=0
	v_pk_fma_f32 v[146:147] /*v[402:403]*/, v[158:159] /*v[414:415]*/, v[146:147] /*v[402:403]*/, 0 op_sel_hi:[1,1,0]
	s_set_vgpr_msb 5                        ;  msbs: dst=0 src0=1 src1=1 src2=0
	v_add3_u32 v53, v189 /*v445*/, v188 /*v444*/, v53
	s_set_vgpr_msb 4                        ;  msbs: dst=0 src0=0 src1=1 src2=0
	s_delay_alu instid0(VALU_DEP_1) | instskip(SKIP_1) | instid1(VALU_DEP_4)
	v_mul_lo_u32 v52, v53, v27 /*v283*/
	s_set_vgpr_msb 64                       ;  msbs: dst=1 src0=0 src1=0 src2=0
	v_cvt_f32_i32_e32 v151 /*v407*/, v36
	s_set_vgpr_msb 0                        ;  msbs: dst=0 src0=0 src1=0 src2=0
	v_or_b32_e32 v36, s13, v139
	s_set_vgpr_msb 64                       ;  msbs: dst=1 src0=0 src1=0 src2=0
	s_delay_alu instid0(VALU_DEP_3) | instskip(SKIP_1) | instid1(VALU_DEP_2)
	v_cvt_f32_i32_e32 v150 /*v406*/, v52
	s_set_vgpr_msb 0                        ;  msbs: dst=0 src0=0 src1=0 src2=0
	v_lshlrev_b32_e32 v52, 2, v36
	s_set_vgpr_msb 0x55                     ;  msbs: dst=1 src0=1 src1=1 src2=1
	s_delay_alu instid0(VALU_DEP_2) | instskip(SKIP_1) | instid1(VALU_DEP_1)
	v_pk_fma_f32 v[146:147] /*v[402:403]*/, v[172:173] /*v[428:429]*/, v[150:151] /*v[406:407]*/, v[146:147] /*v[402:403]*/
	s_set_vgpr_msb 0x51                     ;  msbs: dst=1 src0=1 src1=0 src2=1
	v_pk_fma_f32 v[146:147] /*v[402:403]*/, v[146:147] /*v[402:403]*/, v[6:7], v[148:149] /*v[404:405]*/ neg_lo:[0,0,1] neg_hi:[0,0,1]
	s_set_vgpr_msb 64                       ;  msbs: dst=1 src0=0 src1=0 src2=0
	ds_load_b128 v[148:151] /*v[404:407]*/, v52 offset:16896
	ds_load_b128 v[152:155] /*v[408:411]*/, v52 offset:16912
	ds_load_b128 v[156:159] /*v[412:415]*/, v52 offset:16928
	ds_load_b128 v[160:163] /*v[416:419]*/, v52 offset:16944
	s_set_vgpr_msb 4                        ;  msbs: dst=0 src0=0 src1=1 src2=0
	v_pk_add_f32 v[44:45], v[44:45], v[146:147] /*v[402:403]*/
	s_set_vgpr_msb 64                       ;  msbs: dst=1 src0=0 src1=0 src2=0
	v_lshrrev_b32_e32 v146 /*v402*/, 1, v36
	s_wait_dscnt 0x3
	s_set_vgpr_msb 1                        ;  msbs: dst=0 src0=1 src1=0 src2=0
	v_bfe_i32 v36, v148 /*v404*/, 0, 8
	v_bfe_i32 v52, v148 /*v404*/, 8, 8
	;; [unrolled: 1-line block ×3, first 2 shown]
	s_set_vgpr_msb 4                        ;  msbs: dst=0 src0=0 src1=1 src2=0
	v_dual_ashrrev_i32 v54, 24, v148 /*v404*/ :: v_dual_ashrrev_i32 v61, 24, v149 /*v405*/
	v_ashrrev_i32_e32 v82, 24, v150 /*v406*/
	s_set_vgpr_msb 1                        ;  msbs: dst=0 src0=1 src1=0 src2=0
	v_bfe_i32 v67, v150 /*v406*/, 0, 8
	v_bfe_i32 v69, v150 /*v406*/, 8, 8
	;; [unrolled: 1-line block ×3, first 2 shown]
	s_set_vgpr_msb 64                       ;  msbs: dst=1 src0=0 src1=0 src2=0
	v_mul_i32_i24_e32 v150 /*v406*/, v36, v119
	s_set_vgpr_msb 1                        ;  msbs: dst=0 src0=1 src1=0 src2=0
	v_bfe_i32 v55, v149 /*v405*/, 0, 8
	v_bfe_i32 v56, v149 /*v405*/, 8, 8
	;; [unrolled: 1-line block ×6, first 2 shown]
	s_set_vgpr_msb 0x44                     ;  msbs: dst=1 src0=0 src1=1 src2=0
	v_ashrrev_i32_e32 v147 /*v403*/, 24, v151 /*v407*/
	s_wait_dscnt 0x2
	s_set_vgpr_msb 0x41                     ;  msbs: dst=1 src0=1 src1=0 src2=0
	v_bfe_i32 v148 /*v404*/, v152 /*v408*/, 0, 8
	v_bfe_i32 v149 /*v405*/, v152 /*v408*/, 8, 8
	;; [unrolled: 1-line block ×3, first 2 shown]
	s_set_vgpr_msb 0x44                     ;  msbs: dst=1 src0=0 src1=1 src2=0
	v_ashrrev_i32_e32 v168 /*v424*/, 24, v152 /*v408*/
	v_mul_i32_i24_e32 v151 /*v407*/, v53, v92 /*v348*/
	v_mul_i32_i24_e32 v152 /*v408*/, v54, v93 /*v349*/
	s_set_vgpr_msb 0x50                     ;  msbs: dst=1 src0=0 src1=0 src2=1
	v_mad_i32_i24 v150 /*v406*/, v52, v118, v150 /*v406*/
	s_set_vgpr_msb 0x41                     ;  msbs: dst=1 src0=1 src1=0 src2=0
	v_bfe_i32 v172 /*v428*/, v154 /*v410*/, 0, 8
	v_bfe_i32 v173 /*v429*/, v154 /*v410*/, 8, 8
	v_bfe_i32 v174 /*v430*/, v154 /*v410*/, 16, 8
	s_set_vgpr_msb 0x55                     ;  msbs: dst=1 src0=1 src1=1 src2=1
	v_dual_ashrrev_i32 v175 /*v431*/, 24, v154 /*v410*/ :: v_dual_ashrrev_i32 v179 /*v435*/, 24, v155 /*v411*/
	v_add3_u32 v150 /*v406*/, v150 /*v406*/, v151 /*v407*/, v152 /*v408*/
	s_set_vgpr_msb 0x44                     ;  msbs: dst=1 src0=0 src1=1 src2=0
	v_mul_i32_i24_e32 v151 /*v407*/, v55, v94 /*v350*/
	v_mul_i32_i24_e32 v152 /*v408*/, v56, v95 /*v351*/
	s_set_vgpr_msb 0x41                     ;  msbs: dst=1 src0=1 src1=0 src2=0
	v_bfe_i32 v176 /*v432*/, v155 /*v411*/, 0, 8
	v_bfe_i32 v177 /*v433*/, v155 /*v411*/, 8, 8
	;; [unrolled: 1-line block ×3, first 2 shown]
	s_set_vgpr_msb 0x44                     ;  msbs: dst=1 src0=0 src1=1 src2=0
	v_mul_i32_i24_e32 v154 /*v410*/, v58, v96 /*v352*/
	v_mul_i32_i24_e32 v155 /*v411*/, v61, v97 /*v353*/
	s_set_vgpr_msb 0x55                     ;  msbs: dst=1 src0=1 src1=1 src2=1
	v_add3_u32 v150 /*v406*/, v150 /*v406*/, v151 /*v407*/, v152 /*v408*/
	s_wait_dscnt 0x1
	v_bfe_i32 v180 /*v436*/, v156 /*v412*/, 0, 8
	v_bfe_i32 v181 /*v437*/, v156 /*v412*/, 8, 8
	;; [unrolled: 1-line block ×3, first 2 shown]
	v_dual_ashrrev_i32 v156 /*v412*/, 24, v156 /*v412*/ :: v_dual_ashrrev_i32 v186 /*v442*/, 24, v157 /*v413*/
	v_bfe_i32 v183 /*v439*/, v157 /*v413*/, 0, 8
	v_bfe_i32 v184 /*v440*/, v157 /*v413*/, 8, 8
	;; [unrolled: 1-line block ×6, first 2 shown]
	v_dual_ashrrev_i32 v190 /*v446*/, 24, v158 /*v414*/ :: v_dual_ashrrev_i32 v194 /*v450*/, 24, v159 /*v415*/
	s_set_vgpr_msb 0x44                     ;  msbs: dst=1 src0=0 src1=1 src2=0
	v_mul_i32_i24_e32 v157 /*v413*/, v67, v98 /*v354*/
	v_mul_i32_i24_e32 v158 /*v414*/, v69, v99 /*v355*/
	s_set_vgpr_msb 0x55                     ;  msbs: dst=1 src0=1 src1=1 src2=1
	v_add3_u32 v150 /*v406*/, v150 /*v406*/, v154 /*v410*/, v155 /*v411*/
	s_wait_dscnt 0x0
	v_dual_ashrrev_i32 v198 /*v454*/, 24, v160 /*v416*/ :: v_dual_ashrrev_i32 v202 /*v458*/, 24, v161 /*v417*/
	v_bfe_i32 v199 /*v455*/, v161 /*v417*/, 0, 8
	v_bfe_i32 v200 /*v456*/, v161 /*v417*/, 8, 8
	;; [unrolled: 1-line block ×6, first 2 shown]
	v_dual_ashrrev_i32 v206 /*v462*/, 24, v162 /*v418*/ :: v_dual_ashrrev_i32 v145 /*v401*/, 24, v163 /*v419*/
	s_set_vgpr_msb 0x44                     ;  msbs: dst=1 src0=0 src1=1 src2=0
	v_mul_i32_i24_e32 v161 /*v417*/, v71, v100 /*v356*/
	v_mul_i32_i24_e32 v162 /*v418*/, v82, v101 /*v357*/
	s_set_vgpr_msb 0x55                     ;  msbs: dst=1 src0=1 src1=1 src2=1
	v_add3_u32 v150 /*v406*/, v150 /*v406*/, v157 /*v413*/, v158 /*v414*/
	v_bfe_i32 v207 /*v463*/, v163 /*v419*/, 0, 8
	v_bfe_i32 v208 /*v464*/, v163 /*v419*/, 8, 8
	;; [unrolled: 1-line block ×3, first 2 shown]
	s_set_vgpr_msb 0x44                     ;  msbs: dst=1 src0=0 src1=1 src2=0
	v_mul_i32_i24_e32 v163 /*v419*/, v84, v102 /*v358*/
	v_mul_i32_i24_e32 v164 /*v420*/, v86, v103 /*v359*/
	s_set_vgpr_msb 0x55                     ;  msbs: dst=1 src0=1 src1=1 src2=1
	v_add3_u32 v150 /*v406*/, v150 /*v406*/, v161 /*v417*/, v162 /*v418*/
	s_set_vgpr_msb 0x44                     ;  msbs: dst=1 src0=0 src1=1 src2=0
	v_mul_i32_i24_e32 v165 /*v421*/, v92, v104 /*v360*/
	s_set_vgpr_msb 0x55                     ;  msbs: dst=1 src0=1 src1=1 src2=1
	v_mul_i32_i24_e32 v166 /*v422*/, v147 /*v403*/, v105 /*v361*/
	v_mul_i32_i24_e32 v210 /*v466*/, v148 /*v404*/, v106 /*v362*/
	;; [unrolled: 1-line block ×3, first 2 shown]
	v_add3_u32 v150 /*v406*/, v150 /*v406*/, v163 /*v419*/, v164 /*v420*/
	v_bfe_i32 v169 /*v425*/, v153 /*v409*/, 0, 8
	v_bfe_i32 v170 /*v426*/, v153 /*v409*/, 8, 8
	;; [unrolled: 1-line block ×3, first 2 shown]
	v_ashrrev_i32_e32 v153 /*v409*/, 24, v153 /*v409*/
	v_add3_u32 v150 /*v406*/, v150 /*v406*/, v165 /*v421*/, v166 /*v422*/
	v_mul_i32_i24_e32 v212 /*v468*/, v167 /*v423*/, v108 /*v364*/
	v_mul_i32_i24_e32 v213 /*v469*/, v168 /*v424*/, v109 /*v365*/
	v_mul_i32_i24_e32 v214 /*v470*/, v111 /*v367*/, v169 /*v425*/
	v_mul_i32_i24_e32 v215 /*v471*/, v110 /*v366*/, v170 /*v426*/
	v_add3_u32 v150 /*v406*/, v150 /*v406*/, v210 /*v466*/, v211 /*v467*/
	v_mul_i32_i24_e32 v216 /*v472*/, v113 /*v369*/, v171 /*v427*/
	v_mul_i32_i24_e32 v217 /*v473*/, v112 /*v368*/, v153 /*v409*/
	v_mul_i32_i24_e32 v218 /*v474*/, v121 /*v377*/, v172 /*v428*/
	v_mul_i32_i24_e32 v219 /*v475*/, v114 /*v370*/, v173 /*v429*/
	v_add3_u32 v150 /*v406*/, v150 /*v406*/, v212 /*v468*/, v213 /*v469*/
	v_mul_i32_i24_e32 v220 /*v476*/, v125 /*v381*/, v174 /*v430*/
	v_mul_i32_i24_e32 v221 /*v477*/, v122 /*v378*/, v175 /*v431*/
	v_mul_i32_i24_e32 v222 /*v478*/, v176 /*v432*/, v128 /*v384*/
	v_mul_i32_i24_e32 v223 /*v479*/, v177 /*v433*/, v129 /*v385*/
	v_add3_u32 v150 /*v406*/, v150 /*v406*/, v214 /*v470*/, v215 /*v471*/
	v_mul_i32_i24_e32 v151 /*v407*/, v132 /*v388*/, v182 /*v438*/
	v_mul_i32_i24_e32 v152 /*v408*/, v123 /*v379*/, v156 /*v412*/
	v_mul_i32_i24_e32 v154 /*v410*/, v133 /*v389*/, v185 /*v441*/
	v_mul_i32_i24_e32 v155 /*v411*/, v115 /*v371*/, v186 /*v442*/
	v_add3_u32 v150 /*v406*/, v150 /*v406*/, v216 /*v472*/, v217 /*v473*/
	s_set_vgpr_msb 0x44                     ;  msbs: dst=1 src0=0 src1=1 src2=0
	v_mul_i32_i24_e32 v157 /*v413*/, v114, v187 /*v443*/
	s_set_vgpr_msb 0x55                     ;  msbs: dst=1 src0=1 src1=1 src2=1
	v_mul_i32_i24_e32 v158 /*v414*/, v136 /*v392*/, v188 /*v444*/
	v_bfe_i32 v191 /*v447*/, v159 /*v415*/, 0, 8
	v_bfe_i32 v192 /*v448*/, v159 /*v415*/, 8, 8
	v_add3_u32 v150 /*v406*/, v150 /*v406*/, v218 /*v474*/, v219 /*v475*/
	v_mul_i32_i24_e32 v161 /*v417*/, v135 /*v391*/, v189 /*v445*/
	v_mul_i32_i24_e32 v163 /*v419*/, v116 /*v372*/, v190 /*v446*/
	v_bfe_i32 v193 /*v449*/, v159 /*v415*/, 16, 8
	s_set_vgpr_msb 0x44                     ;  msbs: dst=1 src0=0 src1=1 src2=0
	v_mul_i32_i24_e32 v164 /*v420*/, v115, v191 /*v447*/
	s_set_vgpr_msb 0x55                     ;  msbs: dst=1 src0=1 src1=1 src2=1
	v_add3_u32 v150 /*v406*/, v150 /*v406*/, v220 /*v476*/, v221 /*v477*/
	v_mul_i32_i24_e32 v166 /*v422*/, v138 /*v394*/, v192 /*v448*/
	v_bfe_i32 v195 /*v451*/, v160 /*v416*/, 0, 8
	v_bfe_i32 v196 /*v452*/, v160 /*v416*/, 8, 8
	v_mul_i32_i24_e32 v210 /*v466*/, v137 /*v393*/, v193 /*v449*/
	v_add3_u32 v162 /*v418*/, v150 /*v406*/, v222 /*v478*/, v223 /*v479*/
	s_set_vgpr_msb 0x44                     ;  msbs: dst=1 src0=0 src1=1 src2=0
	v_mul_i32_i24_e32 v150 /*v406*/, v116, v180 /*v436*/
	s_set_vgpr_msb 0x45                     ;  msbs: dst=1 src0=1 src1=1 src2=0
	v_mul_i32_i24_e32 v211 /*v467*/, v117 /*v373*/, v194 /*v450*/
	v_bfe_i32 v197 /*v453*/, v160 /*v416*/, 16, 8
	s_set_vgpr_msb 0x44                     ;  msbs: dst=1 src0=0 src1=1 src2=0
	v_mul_i32_i24_e32 v212 /*v468*/, v110, v195 /*v451*/
	s_set_vgpr_msb 0x45                     ;  msbs: dst=1 src0=1 src1=1 src2=0
	v_mul_i32_i24_e32 v213 /*v469*/, v140 /*v396*/, v196 /*v452*/
	s_set_vgpr_msb 0x54                     ;  msbs: dst=1 src0=0 src1=1 src2=1
	v_mad_i32_i24 v150 /*v406*/, v113, v181 /*v437*/, v150 /*v406*/
	s_set_vgpr_msb 0x45                     ;  msbs: dst=1 src0=1 src1=1 src2=0
	v_mul_i32_i24_e32 v215 /*v471*/, v118 /*v374*/, v198 /*v454*/
	v_mul_i32_i24_e32 v214 /*v470*/, v139 /*v395*/, v197 /*v453*/
	s_set_vgpr_msb 0x44                     ;  msbs: dst=1 src0=0 src1=1 src2=0
	v_mul_i32_i24_e32 v216 /*v472*/, v111, v199 /*v455*/
	s_set_vgpr_msb 0x55                     ;  msbs: dst=1 src0=1 src1=1 src2=1
	v_mul_i32_i24_e32 v217 /*v473*/, v142 /*v398*/, v200 /*v456*/
	v_add3_u32 v150 /*v406*/, v150 /*v406*/, v151 /*v407*/, v152 /*v408*/
	s_set_vgpr_msb 0x44                     ;  msbs: dst=1 src0=0 src1=1 src2=0
	v_mul_i32_i24_e32 v151 /*v407*/, v117, v183 /*v439*/
	s_set_vgpr_msb 0x45                     ;  msbs: dst=1 src0=1 src1=1 src2=0
	v_mul_i32_i24_e32 v152 /*v408*/, v134 /*v390*/, v184 /*v440*/
	v_mul_i32_i24_e32 v218 /*v474*/, v141 /*v397*/, v201 /*v457*/
	;; [unrolled: 1-line block ×3, first 2 shown]
	s_set_vgpr_msb 0x44                     ;  msbs: dst=1 src0=0 src1=1 src2=0
	v_mul_i32_i24_e32 v220 /*v476*/, v112, v203 /*v459*/
	s_set_vgpr_msb 0x55                     ;  msbs: dst=1 src0=1 src1=1 src2=1
	v_mul_i32_i24_e32 v221 /*v477*/, v144 /*v400*/, v204 /*v460*/
	v_add3_u32 v150 /*v406*/, v150 /*v406*/, v151 /*v407*/, v152 /*v408*/
	v_mul_i32_i24_e32 v222 /*v478*/, v143 /*v399*/, v205 /*v461*/
	v_mul_i32_i24_e32 v223 /*v479*/, v120 /*v376*/, v206 /*v462*/
	;; [unrolled: 1-line block ×4, first 2 shown]
	v_add3_u32 v150 /*v406*/, v150 /*v406*/, v154 /*v410*/, v155 /*v411*/
	s_set_vgpr_msb 64                       ;  msbs: dst=1 src0=0 src1=0 src2=0
	v_mul_i32_i24_e32 v151 /*v407*/, v53, v221
	v_mul_i32_i24_e32 v152 /*v408*/, v54, v222
	s_set_vgpr_msb 0x44                     ;  msbs: dst=1 src0=0 src1=1 src2=0
	v_mul_i32_i24_e32 v226 /*v482*/, v245, v175 /*v431*/
	s_set_vgpr_msb 0x41                     ;  msbs: dst=1 src0=1 src1=0 src2=0
	v_mul_i32_i24_e32 v227 /*v483*/, v176 /*v432*/, v251
	s_set_vgpr_msb 0x55                     ;  msbs: dst=1 src0=1 src1=1 src2=1
	v_add3_u32 v150 /*v406*/, v150 /*v406*/, v157 /*v413*/, v158 /*v414*/
	s_set_vgpr_msb 64                       ;  msbs: dst=1 src0=0 src1=0 src2=0
	v_mul_i32_i24_e32 v157 /*v413*/, v58, v225
	v_mul_i32_i24_e32 v158 /*v414*/, v61, v226
	s_set_vgpr_msb 0x41                     ;  msbs: dst=1 src0=1 src1=0 src2=0
	v_mul_i32_i24_e32 v228 /*v484*/, v177 /*v433*/, v253
	s_set_vgpr_msb 0x55                     ;  msbs: dst=1 src0=1 src1=1 src2=1
	v_mul_i32_i24_e32 v229 /*v485*/, v207 /*v463*/, v23 /*v279*/
	v_add3_u32 v150 /*v406*/, v150 /*v406*/, v161 /*v417*/, v163 /*v419*/
	s_set_vgpr_msb 64                       ;  msbs: dst=1 src0=0 src1=0 src2=0
	v_mul_i32_i24_e32 v161 /*v417*/, v67, v227
	v_mul_i32_i24_e32 v163 /*v419*/, v69, v228
	s_set_vgpr_msb 0x45                     ;  msbs: dst=1 src0=1 src1=1 src2=0
	v_mul_i32_i24_e32 v230 /*v486*/, v208 /*v464*/, v24 /*v280*/
	s_set_vgpr_msb 0x44                     ;  msbs: dst=1 src0=0 src1=1 src2=0
	v_mul_i32_i24_e32 v231 /*v487*/, v181, v175 /*v431*/
	s_set_vgpr_msb 0x55                     ;  msbs: dst=1 src0=1 src1=1 src2=1
	v_add3_u32 v150 /*v406*/, v150 /*v406*/, v164 /*v420*/, v166 /*v422*/
	s_set_vgpr_msb 64                       ;  msbs: dst=1 src0=0 src1=0 src2=0
	v_mul_i32_i24_e32 v164 /*v420*/, v71, v229
	s_set_vgpr_msb 0x41                     ;  msbs: dst=1 src0=1 src1=0 src2=0
	v_mul_i32_i24_e32 v232 /*v488*/, v176 /*v432*/, v187
	v_mul_i32_i24_e32 v233 /*v489*/, v177 /*v433*/, v189
	s_set_vgpr_msb 0x55                     ;  msbs: dst=1 src0=1 src1=1 src2=1
	v_mul_i32_i24_e32 v159 /*v415*/, v178 /*v434*/, v130 /*v386*/
	v_add3_u32 v150 /*v406*/, v150 /*v406*/, v210 /*v466*/, v211 /*v467*/
	s_set_vgpr_msb 64                       ;  msbs: dst=1 src0=0 src1=0 src2=0
	v_mul_i32_i24_e32 v210 /*v466*/, v82, v230
	v_mul_i32_i24_e32 v211 /*v467*/, v84, v231
	s_set_vgpr_msb 0x45                     ;  msbs: dst=1 src0=1 src1=1 src2=0
	v_mul_i32_i24_e32 v160 /*v416*/, v179 /*v435*/, v131 /*v387*/
	s_set_vgpr_msb 0x41                     ;  msbs: dst=1 src0=1 src1=0 src2=0
	v_mul_i32_i24_e32 v154 /*v410*/, v178 /*v434*/, v254
	s_set_vgpr_msb 0x55                     ;  msbs: dst=1 src0=1 src1=1 src2=1
	v_add3_u32 v150 /*v406*/, v150 /*v406*/, v212 /*v468*/, v213 /*v469*/
	s_set_vgpr_msb 64                       ;  msbs: dst=1 src0=0 src1=0 src2=0
	v_mul_i32_i24_e32 v212 /*v468*/, v86, v232
	v_mul_i32_i24_e32 v213 /*v469*/, v92, v233
	s_set_vgpr_msb 0x45                     ;  msbs: dst=1 src0=1 src1=1 src2=0
	v_mul_i32_i24_e32 v155 /*v411*/, v179 /*v435*/, v0 /*v256*/
	s_set_vgpr_msb 0x41                     ;  msbs: dst=1 src0=1 src1=0 src2=0
	v_mul_i32_i24_e32 v234 /*v490*/, v207 /*v463*/, v215
	s_set_vgpr_msb 0x55                     ;  msbs: dst=1 src0=1 src1=1 src2=1
	v_add3_u32 v150 /*v406*/, v150 /*v406*/, v214 /*v470*/, v215 /*v471*/
	s_set_vgpr_msb 0x41                     ;  msbs: dst=1 src0=1 src1=0 src2=0
	v_mul_i32_i24_e32 v214 /*v470*/, v147 /*v403*/, v234
	v_mul_i32_i24_e32 v215 /*v471*/, v148 /*v404*/, v235
	s_set_vgpr_msb 0x45                     ;  msbs: dst=1 src0=1 src1=1 src2=0
	v_mul_i32_i24_e32 v165 /*v421*/, v209 /*v465*/, v127 /*v383*/
	s_set_vgpr_msb 0x41                     ;  msbs: dst=1 src0=1 src1=0 src2=0
	v_mul_i32_i24_e32 v235 /*v491*/, v208 /*v464*/, v216
	s_set_vgpr_msb 0x55                     ;  msbs: dst=1 src0=1 src1=1 src2=1
	v_add3_u32 v150 /*v406*/, v150 /*v406*/, v216 /*v472*/, v217 /*v473*/
	s_set_vgpr_msb 0x41                     ;  msbs: dst=1 src0=1 src1=0 src2=0
	v_mul_i32_i24_e32 v216 /*v472*/, v149 /*v405*/, v236
	v_mul_i32_i24_e32 v217 /*v473*/, v167 /*v423*/, v237
	s_set_vgpr_msb 0x55                     ;  msbs: dst=1 src0=1 src1=1 src2=1
	v_add3_u32 v150 /*v406*/, v150 /*v406*/, v218 /*v474*/, v219 /*v475*/
	s_set_vgpr_msb 0x41                     ;  msbs: dst=1 src0=1 src1=0 src2=0
	v_mul_i32_i24_e32 v218 /*v474*/, v168 /*v424*/, v238
	s_set_vgpr_msb 0x44                     ;  msbs: dst=1 src0=0 src1=1 src2=0
	v_mul_i32_i24_e32 v219 /*v475*/, v240, v169 /*v425*/
	s_set_vgpr_msb 0x55                     ;  msbs: dst=1 src0=1 src1=1 src2=1
	v_add3_u32 v150 /*v406*/, v150 /*v406*/, v220 /*v476*/, v221 /*v477*/
	s_set_vgpr_msb 0x44                     ;  msbs: dst=1 src0=0 src1=1 src2=0
	v_mul_i32_i24_e32 v220 /*v476*/, v239, v170 /*v426*/
	v_mul_i32_i24_e32 v221 /*v477*/, v242, v171 /*v427*/
	s_set_vgpr_msb 0x55                     ;  msbs: dst=1 src0=1 src1=1 src2=1
	v_add3_u32 v150 /*v406*/, v150 /*v406*/, v222 /*v478*/, v223 /*v479*/
	s_set_vgpr_msb 0x44                     ;  msbs: dst=1 src0=0 src1=1 src2=0
	v_mul_i32_i24_e32 v222 /*v478*/, v241, v153 /*v409*/
	v_mul_i32_i24_e32 v223 /*v479*/, v244, v172 /*v428*/
	s_set_vgpr_msb 0x55                     ;  msbs: dst=1 src0=1 src1=1 src2=1
	v_add3_u32 v166 /*v422*/, v150 /*v406*/, v224 /*v480*/, v225 /*v481*/
	s_set_vgpr_msb 64                       ;  msbs: dst=1 src0=0 src1=0 src2=0
	v_mul_i32_i24_e32 v150 /*v406*/, v36, v220
	s_set_vgpr_msb 0x44                     ;  msbs: dst=1 src0=0 src1=1 src2=0
	v_mul_i32_i24_e32 v224 /*v480*/, v243, v173 /*v429*/
	v_mul_i32_i24_e32 v225 /*v481*/, v247, v174 /*v430*/
	s_set_vgpr_msb 0x50                     ;  msbs: dst=1 src0=0 src1=0 src2=1
	v_mad_i32_i24 v150 /*v406*/, v52, v219, v150 /*v406*/
	s_set_vgpr_msb 0x55                     ;  msbs: dst=1 src0=1 src1=1 src2=1
	s_delay_alu instid0(VALU_DEP_1) | instskip(SKIP_4) | instid1(VALU_DEP_1)
	v_add3_u32 v150 /*v406*/, v150 /*v406*/, v151 /*v407*/, v152 /*v408*/
	s_set_vgpr_msb 64                       ;  msbs: dst=1 src0=0 src1=0 src2=0
	v_mul_i32_i24_e32 v151 /*v407*/, v55, v223
	v_mul_i32_i24_e32 v152 /*v408*/, v56, v224
	s_set_vgpr_msb 0x55                     ;  msbs: dst=1 src0=1 src1=1 src2=1
	v_add3_u32 v150 /*v406*/, v150 /*v406*/, v151 /*v407*/, v152 /*v408*/
	s_set_vgpr_msb 0x41                     ;  msbs: dst=1 src0=1 src1=0 src2=0
	v_mul_i32_i24_e32 v151 /*v407*/, v182 /*v438*/, v246
	v_mul_i32_i24_e32 v152 /*v408*/, v156 /*v412*/, v252
	s_set_vgpr_msb 0x55                     ;  msbs: dst=1 src0=1 src1=1 src2=1
	v_add3_u32 v150 /*v406*/, v150 /*v406*/, v157 /*v413*/, v158 /*v414*/
	s_set_vgpr_msb 0x41                     ;  msbs: dst=1 src0=1 src1=0 src2=0
	v_mul_i32_i24_e32 v158 /*v414*/, v185 /*v441*/, v250
	s_set_vgpr_msb 0x55                     ;  msbs: dst=1 src0=1 src1=1 src2=1
	s_delay_alu instid0(VALU_DEP_2) | instskip(SKIP_2) | instid1(VALU_DEP_3)
	v_add3_u32 v150 /*v406*/, v150 /*v406*/, v161 /*v417*/, v163 /*v419*/
	v_mul_i32_i24_e32 v161 /*v417*/, v186 /*v442*/, v3 /*v259*/
	v_mul_i32_i24_e32 v163 /*v419*/, v209 /*v465*/, v25 /*v281*/
	v_add3_u32 v150 /*v406*/, v150 /*v406*/, v164 /*v420*/, v210 /*v466*/
	v_mul_i32_i24_e32 v164 /*v420*/, v187 /*v443*/, v4 /*v260*/
	v_mul_i32_i24_e32 v210 /*v466*/, v188 /*v444*/, v5 /*v261*/
	s_delay_alu instid0(VALU_DEP_3) | instskip(SKIP_2) | instid1(VALU_DEP_3)
	v_add3_u32 v150 /*v406*/, v150 /*v406*/, v211 /*v467*/, v212 /*v468*/
	v_mul_i32_i24_e32 v211 /*v467*/, v189 /*v445*/, v2 /*v258*/
	v_mul_i32_i24_e32 v212 /*v468*/, v190 /*v446*/, v7 /*v263*/
	v_add3_u32 v150 /*v406*/, v150 /*v406*/, v213 /*v469*/, v214 /*v470*/
	v_mul_i32_i24_e32 v213 /*v469*/, v191 /*v447*/, v8 /*v264*/
	v_mul_i32_i24_e32 v214 /*v470*/, v192 /*v448*/, v9 /*v265*/
	s_delay_alu instid0(VALU_DEP_3) | instskip(SKIP_2) | instid1(VALU_DEP_3)
	v_add3_u32 v150 /*v406*/, v150 /*v406*/, v215 /*v471*/, v216 /*v472*/
	v_mul_i32_i24_e32 v215 /*v471*/, v193 /*v449*/, v6 /*v262*/
	v_mul_i32_i24_e32 v216 /*v472*/, v194 /*v450*/, v10 /*v266*/
	v_add3_u32 v150 /*v406*/, v150 /*v406*/, v217 /*v473*/, v218 /*v474*/
	v_mul_i32_i24_e32 v217 /*v473*/, v195 /*v451*/, v11 /*v267*/
	v_mul_i32_i24_e32 v218 /*v474*/, v196 /*v452*/, v12 /*v268*/
	s_delay_alu instid0(VALU_DEP_3) | instskip(SKIP_2) | instid1(VALU_DEP_3)
	v_add3_u32 v150 /*v406*/, v150 /*v406*/, v219 /*v475*/, v220 /*v476*/
	v_mul_i32_i24_e32 v219 /*v475*/, v14 /*v270*/, v197 /*v453*/
	v_mul_i32_i24_e32 v220 /*v476*/, v13 /*v269*/, v198 /*v454*/
	v_add3_u32 v150 /*v406*/, v150 /*v406*/, v221 /*v477*/, v222 /*v478*/
	v_mul_i32_i24_e32 v221 /*v477*/, v15 /*v271*/, v199 /*v455*/
	v_mul_i32_i24_e32 v222 /*v478*/, v16 /*v272*/, v200 /*v456*/
	s_delay_alu instid0(VALU_DEP_3) | instskip(SKIP_2) | instid1(VALU_DEP_3)
	v_add3_u32 v150 /*v406*/, v150 /*v406*/, v223 /*v479*/, v224 /*v480*/
	v_mul_i32_i24_e32 v223 /*v479*/, v18 /*v274*/, v201 /*v457*/
	v_mul_i32_i24_e32 v224 /*v480*/, v17 /*v273*/, v202 /*v458*/
	v_add3_u32 v150 /*v406*/, v150 /*v406*/, v225 /*v481*/, v226 /*v482*/
	v_mul_i32_i24_e32 v225 /*v481*/, v19 /*v275*/, v203 /*v459*/
	v_mul_i32_i24_e32 v226 /*v482*/, v20 /*v276*/, v204 /*v460*/
	s_delay_alu instid0(VALU_DEP_3)
	v_add3_u32 v157 /*v413*/, v150 /*v406*/, v227 /*v483*/, v228 /*v484*/
	s_set_vgpr_msb 0x41                     ;  msbs: dst=1 src0=1 src1=0 src2=0
	v_mul_i32_i24_e32 v150 /*v406*/, v180 /*v436*/, v249
	s_set_vgpr_msb 0x55                     ;  msbs: dst=1 src0=1 src1=1 src2=1
	v_mul_i32_i24_e32 v227 /*v483*/, v22 /*v278*/, v205 /*v461*/
	v_mul_i32_i24_e32 v228 /*v484*/, v21 /*v277*/, v206 /*v462*/
	v_add3_u32 v154 /*v410*/, v157 /*v413*/, v154 /*v410*/, v155 /*v411*/
	s_set_vgpr_msb 0x51                     ;  msbs: dst=1 src0=1 src1=0 src2=1
	v_mad_i32_i24 v150 /*v406*/, v181 /*v437*/, v248, v150 /*v406*/
	s_delay_alu instid0(VALU_DEP_2) | instskip(SKIP_1) | instid1(VALU_DEP_2)
	v_mul_lo_u32 v154 /*v410*/, v154 /*v410*/, v218
	s_set_vgpr_msb 0x55                     ;  msbs: dst=1 src0=1 src1=1 src2=1
	v_add3_u32 v150 /*v406*/, v150 /*v406*/, v151 /*v407*/, v152 /*v408*/
	s_set_vgpr_msb 0x41                     ;  msbs: dst=1 src0=1 src1=0 src2=0
	v_mul_i32_i24_e32 v151 /*v407*/, v183 /*v439*/, v255
	s_set_vgpr_msb 0x55                     ;  msbs: dst=1 src0=1 src1=1 src2=1
	v_mul_i32_i24_e32 v152 /*v408*/, v184 /*v440*/, v1 /*v257*/
	s_delay_alu instid0(VALU_DEP_1)
	v_add3_u32 v150 /*v406*/, v150 /*v406*/, v151 /*v407*/, v152 /*v408*/
	s_set_vgpr_msb 64                       ;  msbs: dst=1 src0=0 src1=0 src2=0
	v_mul_i32_i24_e32 v151 /*v407*/, v53, v124
	v_mul_i32_i24_e32 v152 /*v408*/, v54, v158
	s_set_vgpr_msb 4                        ;  msbs: dst=0 src0=0 src1=1 src2=0
	v_mul_i32_i24_e32 v53, v53, v31 /*v287*/
	v_mul_i32_i24_e32 v54, v54, v32 /*v288*/
	s_set_vgpr_msb 0x55                     ;  msbs: dst=1 src0=1 src1=1 src2=1
	v_add3_u32 v150 /*v406*/, v150 /*v406*/, v158 /*v414*/, v161 /*v417*/
	s_set_vgpr_msb 64                       ;  msbs: dst=1 src0=0 src1=0 src2=0
	v_mul_i32_i24_e32 v158 /*v414*/, v55, v159
	v_mul_i32_i24_e32 v161 /*v417*/, v56, v160
	s_set_vgpr_msb 0x55                     ;  msbs: dst=1 src0=1 src1=1 src2=1
	v_cvt_f32_i32_e32 v154 /*v410*/, v154 /*v410*/
	v_add3_u32 v150 /*v406*/, v150 /*v406*/, v164 /*v420*/, v210 /*v466*/
	s_set_vgpr_msb 64                       ;  msbs: dst=1 src0=0 src1=0 src2=0
	v_mul_i32_i24_e32 v210 /*v466*/, v58, v161
	s_set_vgpr_msb 0x55                     ;  msbs: dst=1 src0=1 src1=1 src2=1
	s_delay_alu instid0(VALU_DEP_2)
	v_add3_u32 v150 /*v406*/, v150 /*v406*/, v211 /*v467*/, v212 /*v468*/
	s_set_vgpr_msb 64                       ;  msbs: dst=1 src0=0 src1=0 src2=0
	v_mul_i32_i24_e32 v211 /*v467*/, v61, v162
	v_mul_i32_i24_e32 v212 /*v468*/, v67, v163
	s_set_vgpr_msb 0x55                     ;  msbs: dst=1 src0=1 src1=1 src2=1
	v_add3_u32 v150 /*v406*/, v150 /*v406*/, v213 /*v469*/, v214 /*v470*/
	s_set_vgpr_msb 64                       ;  msbs: dst=1 src0=0 src1=0 src2=0
	v_mul_i32_i24_e32 v213 /*v469*/, v69, v164
	v_mul_i32_i24_e32 v214 /*v470*/, v71, v165
	s_set_vgpr_msb 0x55                     ;  msbs: dst=1 src0=1 src1=1 src2=1
	;; [unrolled: 5-line block ×4, first 2 shown]
	v_add3_u32 v150 /*v406*/, v150 /*v406*/, v219 /*v475*/, v220 /*v476*/
	s_set_vgpr_msb 0x41                     ;  msbs: dst=1 src0=1 src1=0 src2=0
	v_mul_i32_i24_e32 v219 /*v475*/, v147 /*v403*/, v170
	v_mul_i32_i24_e32 v220 /*v476*/, v148 /*v404*/, v171
	s_set_vgpr_msb 0x55                     ;  msbs: dst=1 src0=1 src1=1 src2=1
	v_add3_u32 v150 /*v406*/, v150 /*v406*/, v221 /*v477*/, v222 /*v478*/
	s_set_vgpr_msb 0x41                     ;  msbs: dst=1 src0=1 src1=0 src2=0
	v_mul_i32_i24_e32 v221 /*v477*/, v149 /*v405*/, v172
	v_mul_i32_i24_e32 v222 /*v478*/, v167 /*v423*/, v173
	s_set_vgpr_msb 0x55                     ;  msbs: dst=1 src0=1 src1=1 src2=1
	v_add3_u32 v150 /*v406*/, v150 /*v406*/, v223 /*v479*/, v224 /*v480*/
	s_set_vgpr_msb 0x41                     ;  msbs: dst=1 src0=1 src1=0 src2=0
	v_mul_i32_i24_e32 v223 /*v479*/, v168 /*v424*/, v174
	s_set_vgpr_msb 0x44                     ;  msbs: dst=1 src0=0 src1=1 src2=0
	v_mul_i32_i24_e32 v224 /*v480*/, v176, v169 /*v425*/
	s_set_vgpr_msb 0x55                     ;  msbs: dst=1 src0=1 src1=1 src2=1
	v_add3_u32 v150 /*v406*/, v150 /*v406*/, v225 /*v481*/, v226 /*v482*/
	s_set_vgpr_msb 0x44                     ;  msbs: dst=1 src0=0 src1=1 src2=0
	v_mul_i32_i24_e32 v225 /*v481*/, v175, v170 /*v426*/
	v_mul_i32_i24_e32 v226 /*v482*/, v178, v171 /*v427*/
	s_set_vgpr_msb 0x55                     ;  msbs: dst=1 src0=1 src1=1 src2=1
	v_add3_u32 v150 /*v406*/, v150 /*v406*/, v227 /*v483*/, v228 /*v484*/
	s_set_vgpr_msb 0x44                     ;  msbs: dst=1 src0=0 src1=1 src2=0
	v_mul_i32_i24_e32 v227 /*v483*/, v177, v153 /*v409*/
	s_set_vgpr_msb 0x45                     ;  msbs: dst=1 src0=1 src1=1 src2=0
	v_mul_i32_i24_e32 v153 /*v409*/, v51 /*v307*/, v153 /*v409*/
	s_set_vgpr_msb 0x44                     ;  msbs: dst=1 src0=0 src1=1 src2=0
	v_mul_i32_i24_e32 v228 /*v484*/, v180, v172 /*v428*/
	s_set_vgpr_msb 0x55                     ;  msbs: dst=1 src0=1 src1=1 src2=1
	v_add3_u32 v164 /*v420*/, v150 /*v406*/, v229 /*v485*/, v230 /*v486*/
	s_set_vgpr_msb 64                       ;  msbs: dst=1 src0=0 src1=0 src2=0
	v_mul_i32_i24_e32 v150 /*v406*/, v36, v122
	s_set_vgpr_msb 4                        ;  msbs: dst=0 src0=0 src1=1 src2=0
	v_mul_i32_i24_e32 v36, v36, v30 /*v286*/
	s_set_vgpr_msb 0x44                     ;  msbs: dst=1 src0=0 src1=1 src2=0
	v_mul_i32_i24_e32 v229 /*v485*/, v179, v173 /*v429*/
	v_mul_i32_i24_e32 v230 /*v486*/, v183, v174 /*v430*/
	s_set_vgpr_msb 0x50                     ;  msbs: dst=1 src0=0 src1=0 src2=1
	v_mad_i32_i24 v150 /*v406*/, v52, v120, v150 /*v406*/
	s_set_vgpr_msb 4                        ;  msbs: dst=0 src0=0 src1=1 src2=0
	v_mad_i32_i24 v36, v52, v29 /*v285*/, v36
	v_mul_i32_i24_e32 v52, v55, v33 /*v289*/
	v_mul_i32_i24_e32 v55, v61, v36 /*v292*/
	;; [unrolled: 1-line block ×4, first 2 shown]
	s_set_vgpr_msb 0                        ;  msbs: dst=0 src0=0 src1=0 src2=0
	v_add3_u32 v36, v36, v53, v54
	s_set_vgpr_msb 4                        ;  msbs: dst=0 src0=0 src1=1 src2=0
	v_mul_i32_i24_e32 v53, v56, v34 /*v290*/
	v_mul_i32_i24_e32 v54, v58, v35 /*v291*/
	;; [unrolled: 1-line block ×5, first 2 shown]
	s_set_vgpr_msb 0                        ;  msbs: dst=0 src0=0 src1=0 src2=0
	v_add3_u32 v36, v36, v52, v53
	s_set_vgpr_msb 4                        ;  msbs: dst=0 src0=0 src1=1 src2=0
	v_mul_i32_i24_e32 v69, v84, v41 /*v297*/
	v_mul_i32_i24_e32 v82, v92, v43 /*v299*/
	s_set_vgpr_msb 5                        ;  msbs: dst=0 src0=1 src1=1 src2=0
	v_mul_i32_i24_e32 v84, v147 /*v403*/, v44 /*v300*/
	v_mul_i32_i24_e32 v86, v148 /*v404*/, v45 /*v301*/
	s_set_vgpr_msb 0                        ;  msbs: dst=0 src0=0 src1=0 src2=0
	v_add3_u32 v36, v36, v54, v55
	s_set_vgpr_msb 5                        ;  msbs: dst=0 src0=1 src1=1 src2=0
	v_mul_i32_i24_e32 v92, v149 /*v405*/, v46 /*v302*/
	s_set_vgpr_msb 0x45                     ;  msbs: dst=1 src0=1 src1=1 src2=0
	v_mul_i32_i24_e32 v149 /*v405*/, v167 /*v423*/, v47 /*v303*/
	v_mul_i32_i24_e32 v167 /*v423*/, v168 /*v424*/, v48 /*v304*/
	;; [unrolled: 1-line block ×3, first 2 shown]
	s_set_vgpr_msb 0                        ;  msbs: dst=0 src0=0 src1=0 src2=0
	v_add3_u32 v36, v36, v56, v58
	s_set_vgpr_msb 0x45                     ;  msbs: dst=1 src0=1 src1=1 src2=0
	v_mul_i32_i24_e32 v169 /*v425*/, v49 /*v305*/, v170 /*v426*/
	v_mul_i32_i24_e32 v170 /*v426*/, v52 /*v308*/, v171 /*v427*/
	;; [unrolled: 1-line block ×4, first 2 shown]
	s_set_vgpr_msb 0                        ;  msbs: dst=0 src0=0 src1=0 src2=0
	v_add3_u32 v36, v36, v61, v67
	s_set_vgpr_msb 0x45                     ;  msbs: dst=1 src0=1 src1=1 src2=0
	v_mul_i32_i24_e32 v173 /*v429*/, v57 /*v313*/, v174 /*v430*/
	v_mul_i32_i24_e32 v174 /*v430*/, v55 /*v311*/, v175 /*v431*/
	;; [unrolled: 1-line block ×4, first 2 shown]
	s_set_vgpr_msb 0                        ;  msbs: dst=0 src0=0 src1=0 src2=0
	v_add3_u32 v36, v36, v69, v71
	s_set_vgpr_msb 5                        ;  msbs: dst=0 src0=1 src1=1 src2=0
	v_mul_i32_i24_e32 v52, v182 /*v438*/, v56 /*v312*/
	v_mul_i32_i24_e32 v53, v156 /*v412*/, v62 /*v318*/
	;; [unrolled: 1-line block ×4, first 2 shown]
	s_set_vgpr_msb 0                        ;  msbs: dst=0 src0=0 src1=0 src2=0
	v_add3_u32 v36, v36, v82, v84
	s_set_vgpr_msb 5                        ;  msbs: dst=0 src0=1 src1=1 src2=0
	v_mul_i32_i24_e32 v56, v187 /*v443*/, v70 /*v326*/
	v_mul_i32_i24_e32 v58, v188 /*v444*/, v71 /*v327*/
	;; [unrolled: 1-line block ×4, first 2 shown]
	s_set_vgpr_msb 0                        ;  msbs: dst=0 src0=0 src1=0 src2=0
	v_add3_u32 v36, v36, v86, v92
	s_set_vgpr_msb 5                        ;  msbs: dst=0 src0=1 src1=1 src2=0
	v_mul_i32_i24_e32 v69, v191 /*v447*/, v74 /*v330*/
	v_mul_i32_i24_e32 v71, v192 /*v448*/, v75 /*v331*/
	s_set_vgpr_msb 0x55                     ;  msbs: dst=1 src0=1 src1=1 src2=1
	v_add3_u32 v152 /*v408*/, v150 /*v406*/, v151 /*v407*/, v152 /*v408*/
	s_set_vgpr_msb 5                        ;  msbs: dst=0 src0=1 src1=1 src2=0
	v_mul_i32_i24_e32 v82, v193 /*v449*/, v72 /*v328*/
	s_set_vgpr_msb 20                       ;  msbs: dst=0 src0=0 src1=1 src2=1
	v_add3_u32 v36, v36, v149 /*v405*/, v167 /*v423*/
	s_set_vgpr_msb 5                        ;  msbs: dst=0 src0=1 src1=1 src2=0
	v_mul_i32_i24_e32 v84, v194 /*v450*/, v76 /*v332*/
	v_mul_i32_i24_e32 v86, v195 /*v451*/, v77 /*v333*/
	s_set_vgpr_msb 0x55                     ;  msbs: dst=1 src0=1 src1=1 src2=1
	v_add3_u32 v152 /*v408*/, v152 /*v408*/, v158 /*v414*/, v161 /*v417*/
	s_set_vgpr_msb 5                        ;  msbs: dst=0 src0=1 src1=1 src2=0
	v_mul_i32_i24_e32 v92, v196 /*v452*/, v78 /*v334*/
	s_set_vgpr_msb 20                       ;  msbs: dst=0 src0=0 src1=1 src2=1
	v_add3_u32 v36, v36, v168 /*v424*/, v169 /*v425*/
	s_set_vgpr_msb 0x55                     ;  msbs: dst=1 src0=1 src1=1 src2=1
	v_mul_i32_i24_e32 v167 /*v423*/, v79 /*v335*/, v198 /*v454*/
	v_mul_i32_i24_e32 v168 /*v424*/, v81 /*v337*/, v199 /*v455*/
	v_add3_u32 v152 /*v408*/, v152 /*v408*/, v210 /*v466*/, v211 /*v467*/
	s_set_vgpr_msb 0x41                     ;  msbs: dst=1 src0=1 src1=0 src2=0
	v_mul_i32_i24_e32 v210 /*v466*/, v156 /*v412*/, v188
	s_set_vgpr_msb 20                       ;  msbs: dst=0 src0=0 src1=1 src2=1
	v_add3_u32 v36, v36, v170 /*v426*/, v153 /*v409*/
	s_set_vgpr_msb 0x45                     ;  msbs: dst=1 src0=1 src1=1 src2=0
	v_mul_i32_i24_e32 v156 /*v412*/, v80 /*v336*/, v197 /*v453*/
	v_mul_i32_i24_e32 v169 /*v425*/, v82 /*v338*/, v200 /*v456*/
	;; [unrolled: 1-line block ×4, first 2 shown]
	s_set_vgpr_msb 20                       ;  msbs: dst=0 src0=0 src1=1 src2=1
	v_add3_u32 v36, v36, v171 /*v427*/, v172 /*v428*/
	s_set_vgpr_msb 0x55                     ;  msbs: dst=1 src0=1 src1=1 src2=1
	v_mul_i32_i24_e32 v171 /*v427*/, v83 /*v339*/, v202 /*v458*/
	v_mul_i32_i24_e32 v172 /*v428*/, v85 /*v341*/, v203 /*v459*/
	v_add3_u32 v152 /*v408*/, v152 /*v408*/, v212 /*v468*/, v213 /*v469*/
	s_set_vgpr_msb 0x41                     ;  msbs: dst=1 src0=1 src1=0 src2=0
	v_mul_i32_i24_e32 v158 /*v414*/, v180 /*v436*/, v185
	s_set_vgpr_msb 20                       ;  msbs: dst=0 src0=0 src1=1 src2=1
	v_add3_u32 v36, v36, v173 /*v429*/, v174 /*v430*/
	s_set_vgpr_msb 0x55                     ;  msbs: dst=1 src0=1 src1=1 src2=1
	v_mul_i32_i24_e32 v173 /*v429*/, v86 /*v342*/, v204 /*v460*/
	v_mul_i32_i24_e32 v174 /*v430*/, v88 /*v344*/, v205 /*v461*/
	v_add3_u32 v152 /*v408*/, v152 /*v408*/, v214 /*v470*/, v215 /*v471*/
	s_set_vgpr_msb 0x41                     ;  msbs: dst=1 src0=1 src1=0 src2=0
	v_mul_i32_i24_e32 v161 /*v417*/, v182 /*v438*/, v182
	s_set_vgpr_msb 0x54                     ;  msbs: dst=1 src0=0 src1=1 src2=1
	v_add3_u32 v149 /*v405*/, v36, v175 /*v431*/, v176 /*v432*/
	s_set_vgpr_msb 5                        ;  msbs: dst=0 src0=1 src1=1 src2=0
	v_mul_i32_i24_e32 v36, v180 /*v436*/, v59 /*v315*/
	s_set_vgpr_msb 0x45                     ;  msbs: dst=1 src0=1 src1=1 src2=0
	v_mul_i32_i24_e32 v175 /*v431*/, v87 /*v343*/, v206 /*v462*/
	v_mul_i32_i24_e32 v176 /*v432*/, v207 /*v463*/, v89 /*v345*/
	s_set_vgpr_msb 0x51                     ;  msbs: dst=1 src0=1 src1=0 src2=1
	v_mad_i32_i24 v158 /*v414*/, v181 /*v437*/, v184, v158 /*v414*/
	s_set_vgpr_msb 0x55                     ;  msbs: dst=1 src0=1 src1=1 src2=1
	v_add3_u32 v152 /*v408*/, v152 /*v408*/, v216 /*v472*/, v217 /*v473*/
	s_set_vgpr_msb 5                        ;  msbs: dst=0 src0=1 src1=1 src2=0
	v_mad_i32_i24 v36, v181 /*v437*/, v58 /*v314*/, v36
	s_set_vgpr_msb 0x41                     ;  msbs: dst=1 src0=1 src1=0 src2=0
	v_mul_i32_i24_e32 v150 /*v406*/, v178 /*v434*/, v190
	v_mul_i32_i24_e32 v151 /*v407*/, v179 /*v435*/, v192
	s_set_vgpr_msb 0x55                     ;  msbs: dst=1 src0=1 src1=1 src2=1
	v_add3_u32 v161 /*v417*/, v158 /*v414*/, v161 /*v417*/, v210 /*v466*/
	s_set_vgpr_msb 0x41                     ;  msbs: dst=1 src0=1 src1=0 src2=0
	v_mul_i32_i24_e32 v210 /*v466*/, v183 /*v439*/, v191
	s_set_vgpr_msb 0                        ;  msbs: dst=0 src0=0 src1=0 src2=0
	v_add3_u32 v36, v36, v52, v53
	s_set_vgpr_msb 5                        ;  msbs: dst=0 src0=1 src1=1 src2=0
	v_mul_i32_i24_e32 v52, v183 /*v439*/, v65 /*v321*/
	v_mul_i32_i24_e32 v53, v184 /*v440*/, v67 /*v323*/
	s_set_vgpr_msb 0x55                     ;  msbs: dst=1 src0=1 src1=1 src2=1
	v_mul_i32_i24_e32 v147 /*v403*/, v178 /*v434*/, v64 /*v320*/
	v_mul_i32_i24_e32 v148 /*v404*/, v179 /*v435*/, v66 /*v322*/
	v_add3_u32 v152 /*v408*/, v152 /*v408*/, v218 /*v474*/, v219 /*v475*/
	s_set_vgpr_msb 0x41                     ;  msbs: dst=1 src0=1 src1=0 src2=0
	v_mul_i32_i24_e32 v211 /*v467*/, v184 /*v440*/, v193
	s_set_vgpr_msb 0                        ;  msbs: dst=0 src0=0 src1=0 src2=0
	v_add3_u32 v36, v36, v52, v53
	s_set_vgpr_msb 0x41                     ;  msbs: dst=1 src0=1 src1=0 src2=0
	v_mul_i32_i24_e32 v212 /*v468*/, v185 /*v441*/, v186
	v_mul_i32_i24_e32 v213 /*v469*/, v186 /*v442*/, v195
	s_set_vgpr_msb 0x55                     ;  msbs: dst=1 src0=1 src1=1 src2=1
	v_add3_u32 v152 /*v408*/, v152 /*v408*/, v220 /*v476*/, v221 /*v477*/
	v_add3_u32 v161 /*v417*/, v161 /*v417*/, v210 /*v466*/, v211 /*v467*/
	s_set_vgpr_msb 0                        ;  msbs: dst=0 src0=0 src1=0 src2=0
	v_add3_u32 v36, v36, v54, v55
	s_set_vgpr_msb 0x41                     ;  msbs: dst=1 src0=1 src1=0 src2=0
	v_mul_i32_i24_e32 v214 /*v470*/, v187 /*v443*/, v196
	v_mul_i32_i24_e32 v215 /*v471*/, v188 /*v444*/, v197
	s_set_vgpr_msb 0x55                     ;  msbs: dst=1 src0=1 src1=1 src2=1
	v_add3_u32 v152 /*v408*/, v152 /*v408*/, v222 /*v478*/, v223 /*v479*/
	v_add3_u32 v161 /*v417*/, v161 /*v417*/, v212 /*v468*/, v213 /*v469*/
	;; [unrolled: 8-line block ×4, first 2 shown]
	s_set_vgpr_msb 0                        ;  msbs: dst=0 src0=0 src1=0 src2=0
	v_add3_u32 v36, v36, v69, v71
	s_set_vgpr_msb 0x41                     ;  msbs: dst=1 src0=1 src1=0 src2=0
	v_mul_i32_i24_e32 v220 /*v476*/, v193 /*v449*/, v198
	v_mul_i32_i24_e32 v221 /*v477*/, v194 /*v450*/, v202
	s_set_vgpr_msb 0x55                     ;  msbs: dst=1 src0=1 src1=1 src2=1
	v_add3_u32 v152 /*v408*/, v152 /*v408*/, v228 /*v484*/, v229 /*v485*/
	s_set_vgpr_msb 0x44                     ;  msbs: dst=1 src0=0 src1=1 src2=0
	v_mul_i32_i24_e32 v229 /*v485*/, v209, v202 /*v458*/
	s_set_vgpr_msb 0                        ;  msbs: dst=0 src0=0 src1=0 src2=0
	v_add3_u32 v36, v36, v82, v84
	s_set_vgpr_msb 0x44                     ;  msbs: dst=1 src0=0 src1=1 src2=0
	v_mul_i32_i24_e32 v228 /*v484*/, v210, v201 /*v457*/
	s_set_vgpr_msb 0x55                     ;  msbs: dst=1 src0=1 src1=1 src2=1
	v_add3_u32 v161 /*v417*/, v161 /*v417*/, v218 /*v474*/, v219 /*v475*/
	v_add3_u32 v152 /*v408*/, v152 /*v408*/, v230 /*v486*/, v231 /*v487*/
	s_set_vgpr_msb 0x44                     ;  msbs: dst=1 src0=0 src1=1 src2=0
	v_mul_i32_i24_e32 v230 /*v486*/, v211, v203 /*v459*/
	s_set_vgpr_msb 0                        ;  msbs: dst=0 src0=0 src1=0 src2=0
	v_add3_u32 v36, v36, v86, v92
	s_set_vgpr_msb 0x44                     ;  msbs: dst=1 src0=0 src1=1 src2=0
	v_mul_i32_i24_e32 v231 /*v487*/, v212, v204 /*v460*/
	s_set_vgpr_msb 0x41                     ;  msbs: dst=1 src0=1 src1=0 src2=0
	v_mul_i32_i24_e32 v222 /*v478*/, v195 /*v451*/, v203
	s_set_vgpr_msb 0x55                     ;  msbs: dst=1 src0=1 src1=1 src2=1
	v_add3_u32 v152 /*v408*/, v152 /*v408*/, v232 /*v488*/, v233 /*v489*/
	s_set_vgpr_msb 0x44                     ;  msbs: dst=1 src0=0 src1=1 src2=0
	v_mul_i32_i24_e32 v232 /*v488*/, v214, v205 /*v461*/
	s_set_vgpr_msb 20                       ;  msbs: dst=0 src0=0 src1=1 src2=1
	v_add3_u32 v36, v36, v156 /*v412*/, v167 /*v423*/
	s_set_vgpr_msb 0x41                     ;  msbs: dst=1 src0=1 src1=0 src2=0
	v_mul_i32_i24_e32 v223 /*v479*/, v196 /*v452*/, v204
	s_set_vgpr_msb 0x44                     ;  msbs: dst=1 src0=0 src1=1 src2=0
	v_mul_i32_i24_e32 v233 /*v489*/, v213, v206 /*v462*/
	s_set_vgpr_msb 0x55                     ;  msbs: dst=1 src0=1 src1=1 src2=1
	v_add3_u32 v161 /*v417*/, v161 /*v417*/, v220 /*v476*/, v221 /*v477*/
	s_set_vgpr_msb 0x44                     ;  msbs: dst=1 src0=0 src1=1 src2=0
	v_mul_i32_i24_e32 v224 /*v480*/, v206, v197 /*v453*/
	s_set_vgpr_msb 20                       ;  msbs: dst=0 src0=0 src1=1 src2=1
	v_add3_u32 v36, v36, v168 /*v424*/, v169 /*v425*/
	s_set_vgpr_msb 0x44                     ;  msbs: dst=1 src0=0 src1=1 src2=0
	v_mul_i32_i24_e32 v225 /*v481*/, v205, v198 /*v454*/
	s_set_vgpr_msb 0x41                     ;  msbs: dst=1 src0=1 src1=0 src2=0
	v_mul_i32_i24_e32 v158 /*v414*/, v209 /*v465*/, v217
	s_set_vgpr_msb 0x55                     ;  msbs: dst=1 src0=1 src1=1 src2=1
	v_add3_u32 v161 /*v417*/, v161 /*v417*/, v222 /*v478*/, v223 /*v479*/
	v_mul_i32_i24_e32 v153 /*v409*/, v209 /*v465*/, v91 /*v347*/
	s_set_vgpr_msb 20                       ;  msbs: dst=0 src0=0 src1=1 src2=1
	v_add3_u32 v36, v36, v170 /*v426*/, v171 /*v427*/
	s_set_vgpr_msb 0x44                     ;  msbs: dst=1 src0=0 src1=1 src2=0
	v_mul_i32_i24_e32 v226 /*v482*/, v207, v199 /*v455*/
	v_mul_i32_i24_e32 v227 /*v483*/, v208, v200 /*v456*/
	s_set_vgpr_msb 0x55                     ;  msbs: dst=1 src0=1 src1=1 src2=1
	v_add3_u32 v161 /*v417*/, v161 /*v417*/, v224 /*v480*/, v225 /*v481*/
	v_add3_u32 v150 /*v406*/, v152 /*v408*/, v150 /*v406*/, v151 /*v407*/
	s_set_vgpr_msb 20                       ;  msbs: dst=0 src0=0 src1=1 src2=1
	v_add3_u32 v36, v36, v172 /*v428*/, v173 /*v429*/
	s_set_vgpr_msb 0x55                     ;  msbs: dst=1 src0=1 src1=1 src2=1
	v_add3_u32 v161 /*v417*/, v161 /*v417*/, v226 /*v482*/, v227 /*v483*/
	s_set_vgpr_msb 0x41                     ;  msbs: dst=1 src0=1 src1=0 src2=0
	v_mul_lo_u32 v150 /*v406*/, v150 /*v406*/, v107
	s_set_vgpr_msb 20                       ;  msbs: dst=0 src0=0 src1=1 src2=1
	v_add3_u32 v36, v36, v174 /*v430*/, v175 /*v431*/
	s_set_vgpr_msb 0x55                     ;  msbs: dst=1 src0=1 src1=1 src2=1
	v_add3_u32 v161 /*v417*/, v161 /*v417*/, v228 /*v484*/, v229 /*v485*/
	s_set_vgpr_msb 0x54                     ;  msbs: dst=1 src0=0 src1=1 src2=1
	s_delay_alu instid0(VALU_DEP_2)
	v_add3_u32 v156 /*v412*/, v36, v176 /*v432*/, v177 /*v433*/
	s_set_vgpr_msb 0                        ;  msbs: dst=0 src0=0 src1=0 src2=0
	v_or_b32_e32 v36, s13, v140
	s_set_vgpr_msb 0x55                     ;  msbs: dst=1 src0=1 src1=1 src2=1
	v_add3_u32 v161 /*v417*/, v161 /*v417*/, v230 /*v486*/, v231 /*v487*/
	v_cvt_f32_i32_e32 v150 /*v406*/, v150 /*v406*/
	s_set_vgpr_msb 0                        ;  msbs: dst=0 src0=0 src1=0 src2=0
	v_lshlrev_b32_e32 v52, 2, v36
	s_set_vgpr_msb 64                       ;  msbs: dst=1 src0=0 src1=0 src2=0
	ds_load_b128 v[168:171] /*v[424:427]*/, v52 offset:16896
	ds_load_b128 v[172:175] /*v[428:431]*/, v52 offset:16912
	;; [unrolled: 1-line block ×4, first 2 shown]
	s_set_vgpr_msb 0x55                     ;  msbs: dst=1 src0=1 src1=1 src2=1
	v_add3_u32 v161 /*v417*/, v161 /*v417*/, v232 /*v488*/, v233 /*v489*/
	s_set_vgpr_msb 0                        ;  msbs: dst=0 src0=0 src1=0 src2=0
	v_lshrrev_b32_e32 v36, 1, v36
	s_set_vgpr_msb 0x55                     ;  msbs: dst=1 src0=1 src1=1 src2=1
	s_delay_alu instid0(VALU_DEP_2)
	v_add3_u32 v161 /*v417*/, v161 /*v417*/, v234 /*v490*/, v235 /*v491*/
	s_wait_dscnt 0x3
	s_set_vgpr_msb 1                        ;  msbs: dst=0 src0=1 src1=0 src2=0
	v_bfe_i32 v52, v168 /*v424*/, 0, 8
	v_bfe_i32 v53, v168 /*v424*/, 8, 8
	;; [unrolled: 1-line block ×3, first 2 shown]
	s_set_vgpr_msb 4                        ;  msbs: dst=0 src0=0 src1=1 src2=0
	v_dual_ashrrev_i32 v55, 24, v168 /*v424*/ :: v_dual_ashrrev_i32 v67, 24, v169 /*v425*/
	s_set_vgpr_msb 64                       ;  msbs: dst=1 src0=0 src1=0 src2=0
	v_mul_i32_i24_e32 v167 /*v423*/, v52, v119
	s_set_vgpr_msb 1                        ;  msbs: dst=0 src0=1 src1=0 src2=0
	v_bfe_i32 v56, v169 /*v425*/, 0, 8
	v_bfe_i32 v58, v169 /*v425*/, 8, 8
	;; [unrolled: 1-line block ×3, first 2 shown]
	s_set_vgpr_msb 0x44                     ;  msbs: dst=1 src0=0 src1=1 src2=0
	v_mul_i32_i24_e32 v168 /*v424*/, v54, v92 /*v348*/
	v_mul_i32_i24_e32 v169 /*v425*/, v55, v93 /*v349*/
	s_set_vgpr_msb 0x50                     ;  msbs: dst=1 src0=0 src1=0 src2=1
	v_mad_i32_i24 v167 /*v423*/, v53, v118, v167 /*v423*/
	s_wait_dscnt 0x1
	s_set_vgpr_msb 0x41                     ;  msbs: dst=1 src0=1 src1=0 src2=0
	v_bfe_i32 v202 /*v458*/, v176 /*v432*/, 0, 8
	s_set_vgpr_msb 1                        ;  msbs: dst=0 src0=1 src1=0 src2=0
	v_bfe_i32 v69, v170 /*v426*/, 0, 8
	v_bfe_i32 v71, v170 /*v426*/, 8, 8
	;; [unrolled: 1-line block ×3, first 2 shown]
	s_set_vgpr_msb 0x55                     ;  msbs: dst=1 src0=1 src1=1 src2=1
	v_add3_u32 v167 /*v423*/, v167 /*v423*/, v168 /*v424*/, v169 /*v425*/
	s_set_vgpr_msb 0x44                     ;  msbs: dst=1 src0=0 src1=1 src2=0
	v_mul_i32_i24_e32 v168 /*v424*/, v56, v94 /*v350*/
	v_mul_i32_i24_e32 v169 /*v425*/, v58, v95 /*v351*/
	s_set_vgpr_msb 4                        ;  msbs: dst=0 src0=0 src1=1 src2=0
	v_ashrrev_i32_e32 v84, 24, v170 /*v426*/
	s_set_vgpr_msb 1                        ;  msbs: dst=0 src0=1 src1=0 src2=0
	v_bfe_i32 v86, v171 /*v427*/, 0, 8
	v_bfe_i32 v92, v171 /*v427*/, 8, 8
	s_set_vgpr_msb 0x41                     ;  msbs: dst=1 src0=1 src1=0 src2=0
	v_bfe_i32 v184 /*v440*/, v171 /*v427*/, 16, 8
	s_set_vgpr_msb 0x44                     ;  msbs: dst=1 src0=0 src1=1 src2=0
	v_dual_ashrrev_i32 v185 /*v441*/, 24, v171 /*v427*/ :: v_dual_ashrrev_i32 v189 /*v445*/, 24, v172 /*v428*/
	v_dual_ashrrev_i32 v201 /*v457*/, 24, v175 /*v431*/ :: v_dual_ashrrev_i32 v205 /*v461*/, 24, v176 /*v432*/
	s_set_vgpr_msb 0x41                     ;  msbs: dst=1 src0=1 src1=0 src2=0
	v_bfe_i32 v203 /*v459*/, v176 /*v432*/, 8, 8
	v_bfe_i32 v204 /*v460*/, v176 /*v432*/, 16, 8
	s_set_vgpr_msb 0x44                     ;  msbs: dst=1 src0=0 src1=1 src2=0
	v_mul_i32_i24_e32 v170 /*v426*/, v61, v96 /*v352*/
	v_mul_i32_i24_e32 v171 /*v427*/, v67, v97 /*v353*/
	s_set_vgpr_msb 0x55                     ;  msbs: dst=1 src0=1 src1=1 src2=1
	v_add3_u32 v167 /*v423*/, v167 /*v423*/, v168 /*v424*/, v169 /*v425*/
	s_set_vgpr_msb 0x44                     ;  msbs: dst=1 src0=0 src1=1 src2=0
	v_mul_i32_i24_e32 v168 /*v424*/, v116, v202 /*v458*/
	s_set_vgpr_msb 0x55                     ;  msbs: dst=1 src0=1 src1=1 src2=1
	v_bfe_i32 v206 /*v462*/, v177 /*v433*/, 0, 8
	v_bfe_i32 v207 /*v463*/, v177 /*v433*/, 8, 8
	v_mul_i32_i24_e32 v169 /*v425*/, v132 /*v388*/, v204 /*v460*/
	v_add3_u32 v167 /*v423*/, v167 /*v423*/, v170 /*v426*/, v171 /*v427*/
	v_mul_i32_i24_e32 v170 /*v426*/, v123 /*v379*/, v205 /*v461*/
	s_set_vgpr_msb 0x54                     ;  msbs: dst=1 src0=0 src1=1 src2=1
	v_mad_i32_i24 v168 /*v424*/, v113, v203 /*v459*/, v168 /*v424*/
	s_set_vgpr_msb 0x41                     ;  msbs: dst=1 src0=1 src1=0 src2=0
	v_bfe_i32 v186 /*v442*/, v172 /*v428*/, 0, 8
	v_bfe_i32 v187 /*v443*/, v172 /*v428*/, 8, 8
	;; [unrolled: 1-line block ×6, first 2 shown]
	s_set_vgpr_msb 0x44                     ;  msbs: dst=1 src0=0 src1=1 src2=0
	v_dual_ashrrev_i32 v193 /*v449*/, 24, v173 /*v429*/ :: v_dual_ashrrev_i32 v197 /*v453*/, 24, v174 /*v430*/
	s_set_vgpr_msb 0x41                     ;  msbs: dst=1 src0=1 src1=0 src2=0
	v_bfe_i32 v208 /*v464*/, v177 /*v433*/, 16, 8
	s_set_vgpr_msb 0x44                     ;  msbs: dst=1 src0=0 src1=1 src2=0
	v_dual_ashrrev_i32 v209 /*v465*/, 24, v177 /*v433*/ :: v_dual_ashrrev_i32 v213 /*v469*/, 24, v178 /*v434*/
	v_mul_i32_i24_e32 v172 /*v428*/, v69, v98 /*v354*/
	v_mul_i32_i24_e32 v173 /*v429*/, v71, v99 /*v355*/
	s_set_vgpr_msb 0x55                     ;  msbs: dst=1 src0=1 src1=1 src2=1
	v_add3_u32 v168 /*v424*/, v168 /*v424*/, v169 /*v425*/, v170 /*v426*/
	s_set_vgpr_msb 0x44                     ;  msbs: dst=1 src0=0 src1=1 src2=0
	v_mul_i32_i24_e32 v169 /*v425*/, v117, v206 /*v462*/
	s_set_vgpr_msb 0x45                     ;  msbs: dst=1 src0=1 src1=1 src2=0
	v_mul_i32_i24_e32 v170 /*v426*/, v134 /*v390*/, v207 /*v463*/
	v_bfe_i32 v194 /*v450*/, v174 /*v430*/, 0, 8
	v_bfe_i32 v195 /*v451*/, v174 /*v430*/, 8, 8
	;; [unrolled: 1-line block ×8, first 2 shown]
	s_set_vgpr_msb 0x44                     ;  msbs: dst=1 src0=0 src1=1 src2=0
	v_mul_i32_i24_e32 v174 /*v430*/, v82, v100 /*v356*/
	v_mul_i32_i24_e32 v175 /*v431*/, v84, v101 /*v357*/
	s_set_vgpr_msb 0x55                     ;  msbs: dst=1 src0=1 src1=1 src2=1
	v_add3_u32 v167 /*v423*/, v167 /*v423*/, v172 /*v428*/, v173 /*v429*/
	v_mul_i32_i24_e32 v171 /*v427*/, v133 /*v389*/, v208 /*v464*/
	v_mul_i32_i24_e32 v172 /*v428*/, v115 /*v371*/, v209 /*v465*/
	v_add3_u32 v168 /*v424*/, v168 /*v424*/, v169 /*v425*/, v170 /*v426*/
	v_bfe_i32 v212 /*v468*/, v178 /*v434*/, 16, 8
	s_set_vgpr_msb 0x44                     ;  msbs: dst=1 src0=0 src1=1 src2=0
	v_mul_i32_i24_e32 v176 /*v432*/, v86, v102 /*v358*/
	v_mul_i32_i24_e32 v177 /*v433*/, v92, v103 /*v359*/
	s_set_vgpr_msb 0x55                     ;  msbs: dst=1 src0=1 src1=1 src2=1
	v_add3_u32 v167 /*v423*/, v167 /*v423*/, v174 /*v430*/, v175 /*v431*/
	s_set_vgpr_msb 0x44                     ;  msbs: dst=1 src0=0 src1=1 src2=0
	v_mul_i32_i24_e32 v173 /*v429*/, v114, v210 /*v466*/
	s_set_vgpr_msb 0x55                     ;  msbs: dst=1 src0=1 src1=1 src2=1
	v_mul_i32_i24_e32 v174 /*v430*/, v136 /*v392*/, v211 /*v467*/
	v_add3_u32 v168 /*v424*/, v168 /*v424*/, v171 /*v427*/, v172 /*v428*/
	v_bfe_i32 v214 /*v470*/, v179 /*v435*/, 0, 8
	v_bfe_i32 v215 /*v471*/, v179 /*v435*/, 8, 8
	;; [unrolled: 1-line block ×3, first 2 shown]
	v_ashrrev_i32_e32 v217 /*v473*/, 24, v179 /*v435*/
	v_mul_i32_i24_e32 v178 /*v434*/, v184 /*v440*/, v104 /*v360*/
	v_mul_i32_i24_e32 v179 /*v435*/, v185 /*v441*/, v105 /*v361*/
	v_add3_u32 v167 /*v423*/, v167 /*v423*/, v176 /*v432*/, v177 /*v433*/
	v_mul_i32_i24_e32 v175 /*v431*/, v135 /*v391*/, v212 /*v468*/
	v_mul_i32_i24_e32 v176 /*v432*/, v116 /*v372*/, v213 /*v469*/
	v_add3_u32 v168 /*v424*/, v168 /*v424*/, v173 /*v429*/, v174 /*v430*/
	;; [unrolled: 3-line block ×3, first 2 shown]
	s_set_vgpr_msb 0x44                     ;  msbs: dst=1 src0=0 src1=1 src2=0
	v_mul_i32_i24_e32 v177 /*v433*/, v115, v214 /*v470*/
	s_set_vgpr_msb 0x55                     ;  msbs: dst=1 src0=1 src1=1 src2=1
	v_mul_i32_i24_e32 v178 /*v434*/, v138 /*v394*/, v215 /*v471*/
	v_add3_u32 v168 /*v424*/, v168 /*v424*/, v175 /*v431*/, v176 /*v432*/
	s_wait_dscnt 0x0
	v_bfe_i32 v218 /*v474*/, v180 /*v436*/, 0, 8
	v_bfe_i32 v219 /*v475*/, v180 /*v436*/, 8, 8
	;; [unrolled: 1-line block ×3, first 2 shown]
	v_ashrrev_i32_e32 v180 /*v436*/, 24, v180 /*v436*/
	v_mul_i32_i24_e32 v232 /*v488*/, v188 /*v444*/, v108 /*v364*/
	v_mul_i32_i24_e32 v233 /*v489*/, v189 /*v445*/, v109 /*v365*/
	v_add3_u32 v167 /*v423*/, v167 /*v423*/, v230 /*v486*/, v231 /*v487*/
	v_mul_i32_i24_e32 v179 /*v435*/, v137 /*v393*/, v216 /*v472*/
	v_mul_i32_i24_e32 v230 /*v486*/, v117 /*v373*/, v217 /*v473*/
	v_add3_u32 v168 /*v424*/, v168 /*v424*/, v177 /*v433*/, v178 /*v434*/
	v_mul_i32_i24_e32 v234 /*v490*/, v111 /*v367*/, v190 /*v446*/
	v_mul_i32_i24_e32 v235 /*v491*/, v110 /*v366*/, v191 /*v447*/
	v_add3_u32 v167 /*v423*/, v167 /*v423*/, v232 /*v488*/, v233 /*v489*/
	s_set_vgpr_msb 0x44                     ;  msbs: dst=1 src0=0 src1=1 src2=0
	v_mul_i32_i24_e32 v231 /*v487*/, v110, v218 /*v474*/
	s_set_vgpr_msb 0x55                     ;  msbs: dst=1 src0=1 src1=1 src2=1
	v_mul_i32_i24_e32 v232 /*v488*/, v140 /*v396*/, v219 /*v475*/
	v_add3_u32 v168 /*v424*/, v168 /*v424*/, v179 /*v435*/, v230 /*v486*/
	v_bfe_i32 v221 /*v477*/, v181 /*v437*/, 0, 8
	v_bfe_i32 v222 /*v478*/, v181 /*v437*/, 8, 8
	v_mul_i32_i24_e32 v236 /*v492*/, v113 /*v369*/, v192 /*v448*/
	v_mul_i32_i24_e32 v237 /*v493*/, v112 /*v368*/, v193 /*v449*/
	v_add3_u32 v167 /*v423*/, v167 /*v423*/, v234 /*v490*/, v235 /*v491*/
	v_mul_i32_i24_e32 v233 /*v489*/, v139 /*v395*/, v220 /*v476*/
	v_mul_i32_i24_e32 v234 /*v490*/, v118 /*v374*/, v180 /*v436*/
	v_add3_u32 v168 /*v424*/, v168 /*v424*/, v231 /*v487*/, v232 /*v488*/
	v_bfe_i32 v223 /*v479*/, v181 /*v437*/, 16, 8
	v_ashrrev_i32_e32 v181 /*v437*/, 24, v181 /*v437*/
	v_mul_i32_i24_e32 v238 /*v494*/, v121 /*v377*/, v194 /*v450*/
	v_mul_i32_i24_e32 v239 /*v495*/, v114 /*v370*/, v195 /*v451*/
	v_add3_u32 v167 /*v423*/, v167 /*v423*/, v236 /*v492*/, v237 /*v493*/
	s_set_vgpr_msb 0x44                     ;  msbs: dst=1 src0=0 src1=1 src2=0
	v_mul_i32_i24_e32 v235 /*v491*/, v111, v221 /*v477*/
	s_set_vgpr_msb 0x55                     ;  msbs: dst=1 src0=1 src1=1 src2=1
	v_mul_i32_i24_e32 v236 /*v492*/, v142 /*v398*/, v222 /*v478*/
	v_add3_u32 v168 /*v424*/, v168 /*v424*/, v233 /*v489*/, v234 /*v490*/
	v_bfe_i32 v224 /*v480*/, v182 /*v438*/, 0, 8
	v_bfe_i32 v225 /*v481*/, v182 /*v438*/, 8, 8
	;; [unrolled: 1-line block ×3, first 2 shown]
	v_ashrrev_i32_e32 v182 /*v438*/, 24, v182 /*v438*/
	v_mul_i32_i24_e32 v240 /*v496*/, v125 /*v381*/, v196 /*v452*/
	v_mul_i32_i24_e32 v241 /*v497*/, v122 /*v378*/, v197 /*v453*/
	v_add3_u32 v167 /*v423*/, v167 /*v423*/, v238 /*v494*/, v239 /*v495*/
	v_mul_i32_i24_e32 v237 /*v493*/, v141 /*v397*/, v223 /*v479*/
	v_mul_i32_i24_e32 v238 /*v494*/, v119 /*v375*/, v181 /*v437*/
	v_add3_u32 v168 /*v424*/, v168 /*v424*/, v235 /*v491*/, v236 /*v492*/
	;; [unrolled: 3-line block ×3, first 2 shown]
	s_set_vgpr_msb 0x44                     ;  msbs: dst=1 src0=0 src1=1 src2=0
	v_mul_i32_i24_e32 v239 /*v495*/, v112, v224 /*v480*/
	s_set_vgpr_msb 0x55                     ;  msbs: dst=1 src0=1 src1=1 src2=1
	v_mul_i32_i24_e32 v240 /*v496*/, v144 /*v400*/, v225 /*v481*/
	v_add3_u32 v168 /*v424*/, v168 /*v424*/, v237 /*v493*/, v238 /*v494*/
	v_bfe_i32 v227 /*v483*/, v183 /*v439*/, 0, 8
	v_bfe_i32 v228 /*v484*/, v183 /*v439*/, 8, 8
	v_add3_u32 v167 /*v423*/, v167 /*v423*/, v242 /*v498*/, v243 /*v499*/
	v_mul_i32_i24_e32 v241 /*v497*/, v143 /*v399*/, v226 /*v482*/
	v_mul_i32_i24_e32 v242 /*v498*/, v120 /*v376*/, v182 /*v438*/
	v_add3_u32 v168 /*v424*/, v168 /*v424*/, v239 /*v495*/, v240 /*v496*/
	v_mul_i32_i24_e32 v243 /*v499*/, v227 /*v483*/, v124 /*v380*/
	v_mul_i32_i24_e32 v246 /*v502*/, v228 /*v484*/, v126 /*v382*/
	s_set_vgpr_msb 64                       ;  msbs: dst=1 src0=0 src1=0 src2=0
	ds_load_b64 v[170:171] /*v[426:427]*/, v36 offset:27200
	s_set_vgpr_msb 0x55                     ;  msbs: dst=1 src0=1 src1=1 src2=1
	v_bfe_i32 v229 /*v485*/, v183 /*v439*/, 16, 8
	v_add3_u32 v168 /*v424*/, v168 /*v424*/, v241 /*v497*/, v242 /*v498*/
	v_mul_i32_i24_e32 v244 /*v500*/, v200 /*v456*/, v130 /*v386*/
	v_mul_i32_i24_e32 v245 /*v501*/, v201 /*v457*/, v131 /*v387*/
	s_set_vgpr_msb 0x41                     ;  msbs: dst=1 src0=1 src1=0 src2=0
	v_mul_i32_i24_e32 v231 /*v487*/, v186 /*v442*/, v235
	s_set_vgpr_msb 0x55                     ;  msbs: dst=1 src0=1 src1=1 src2=1
	v_mul_i32_i24_e32 v247 /*v503*/, v229 /*v485*/, v127 /*v383*/
	v_add3_u32 v230 /*v486*/, v168 /*v424*/, v243 /*v499*/, v246 /*v502*/
	ds_load_b64 v[168:169] /*v[424:425]*/, v146 /*v402*/ offset:27200
	v_ashrrev_i32_e32 v183 /*v439*/, 24, v183 /*v439*/
	s_set_vgpr_msb 0x41                     ;  msbs: dst=1 src0=1 src1=0 src2=0
	v_mul_i32_i24_e32 v232 /*v488*/, v187 /*v443*/, v236
	v_mul_i32_i24_e32 v233 /*v489*/, v188 /*v444*/, v237
	;; [unrolled: 1-line block ×3, first 2 shown]
	s_set_vgpr_msb 0x44                     ;  msbs: dst=1 src0=0 src1=1 src2=0
	v_mul_i32_i24_e32 v235 /*v491*/, v240, v190 /*v446*/
	v_mul_i32_i24_e32 v236 /*v492*/, v239, v191 /*v447*/
	v_mul_i32_i24_e32 v237 /*v493*/, v242, v192 /*v448*/
	v_mul_i32_i24_e32 v238 /*v494*/, v241, v193 /*v449*/
	v_mul_i32_i24_e32 v239 /*v495*/, v244, v194 /*v450*/
	v_mul_i32_i24_e32 v240 /*v496*/, v243, v195 /*v451*/
	v_mul_i32_i24_e32 v241 /*v497*/, v247, v196 /*v452*/
	s_wait_dscnt 0x1
	s_set_vgpr_msb 4                        ;  msbs: dst=0 src0=0 src1=1 src2=0
	v_lshrrev_b32_e32 v36, 16, v170 /*v426*/
	s_set_vgpr_msb 0x41                     ;  msbs: dst=1 src0=1 src1=0 src2=0
	v_cvt_f32_f16_e64 v173 /*v429*/, v170 /*v426*/
	v_cvt_f32_f16_e64 v177 /*v433*/, v171 /*v427*/
	s_set_vgpr_msb 0x44                     ;  msbs: dst=1 src0=0 src1=1 src2=0
	v_mul_i32_i24_e32 v242 /*v498*/, v245, v197 /*v453*/
	s_set_vgpr_msb 0x41                     ;  msbs: dst=1 src0=1 src1=0 src2=0
	v_mul_i32_i24_e32 v243 /*v499*/, v198 /*v454*/, v251
	s_set_vgpr_msb 64                       ;  msbs: dst=1 src0=0 src1=0 src2=0
	v_cvt_f32_f16_e64 v175 /*v431*/, v36
	s_set_vgpr_msb 0x45                     ;  msbs: dst=1 src0=1 src1=1 src2=0
	v_mul_i32_i24_e32 v246 /*v502*/, v201 /*v457*/, v0 /*v256*/
	v_mul_i32_i24_e32 v248 /*v504*/, v229 /*v485*/, v25 /*v281*/
	s_wait_dscnt 0x0
	v_lshrrev_b32_e32 v146 /*v402*/, 16, v168 /*v424*/
	s_set_vgpr_msb 4                        ;  msbs: dst=0 src0=0 src1=1 src2=0
	v_lshrrev_b32_e32 v36, 16, v169 /*v425*/
	s_set_vgpr_msb 0x41                     ;  msbs: dst=1 src0=1 src1=0 src2=0
	v_cvt_f32_f16_e64 v172 /*v428*/, v168 /*v424*/
	v_cvt_f32_f16_e64 v176 /*v432*/, v169 /*v425*/
	v_mul_i32_i24_e32 v157 /*v413*/, v183 /*v439*/, v109
	v_cvt_f32_f16_e64 v174 /*v430*/, v146 /*v402*/
	s_set_vgpr_msb 0x44                     ;  msbs: dst=1 src0=0 src1=1 src2=0
	v_lshrrev_b32_e32 v146 /*v402*/, 16, v171 /*v427*/
	v_cvt_f32_f16_e64 v168 /*v424*/, v36
	s_set_vgpr_msb 21                       ;  msbs: dst=0 src0=1 src1=1 src2=1
	v_add3_u32 v36, v167 /*v423*/, v244 /*v500*/, v245 /*v501*/
	s_set_vgpr_msb 0x41                     ;  msbs: dst=1 src0=1 src1=0 src2=0
	v_mul_i32_i24_e32 v244 /*v500*/, v199 /*v455*/, v253
	s_set_vgpr_msb 0x44                     ;  msbs: dst=1 src0=0 src1=1 src2=0
	v_pk_fma_f32 v[178:179] /*v[434:435]*/, v[98:99], v[174:175] /*v[430:431]*/, 0 op_sel_hi:[0,1,0]
	s_set_vgpr_msb 0x55                     ;  msbs: dst=1 src0=1 src1=1 src2=1
	v_cvt_f32_f16_e64 v169 /*v425*/, v146 /*v402*/
	v_add3_u32 v146 /*v402*/, v162 /*v418*/, v159 /*v415*/, v160 /*v416*/
	s_set_vgpr_msb 0                        ;  msbs: dst=0 src0=0 src1=0 src2=0
	v_mul_lo_u32 v36, v36, v105
	s_set_vgpr_msb 64                       ;  msbs: dst=1 src0=0 src1=0 src2=0
	v_mul_i32_i24_e32 v159 /*v415*/, v55, v222
	v_mul_i32_i24_e32 v160 /*v416*/, v61, v225
	v_mul_i32_i24_e32 v162 /*v418*/, v67, v226
	s_set_vgpr_msb 0x41                     ;  msbs: dst=1 src0=1 src1=0 src2=0
	v_mul_lo_u32 v146 /*v402*/, v146 /*v402*/, v105
	v_mul_i32_i24_e32 v245 /*v501*/, v200 /*v456*/, v254
	v_mul_i32_i24_e32 v152 /*v408*/, v183 /*v439*/, v97
	s_set_vgpr_msb 64                       ;  msbs: dst=1 src0=0 src1=0 src2=0
	v_cvt_f32_i32_e32 v171 /*v427*/, v36
	s_set_vgpr_msb 1                        ;  msbs: dst=0 src0=1 src1=0 src2=0
	v_mul_i32_i24_e32 v36, v145 /*v401*/, v103
	s_set_vgpr_msb 0x41                     ;  msbs: dst=1 src0=1 src1=0 src2=0
	v_cvt_f32_i32_e32 v170 /*v426*/, v146 /*v402*/
	v_mul_i32_i24_e32 v146 /*v402*/, v183 /*v439*/, v103
	s_set_vgpr_msb 5                        ;  msbs: dst=0 src0=1 src1=1 src2=0
	v_add3_u32 v36, v166 /*v422*/, v165 /*v421*/, v36
	s_set_vgpr_msb 64                       ;  msbs: dst=1 src0=0 src1=0 src2=0
	v_mul_i32_i24_e32 v165 /*v421*/, v69, v227
	s_set_vgpr_msb 0x55                     ;  msbs: dst=1 src0=1 src1=1 src2=1
	v_pk_fma_f32 v[170:171] /*v[426:427]*/, v[172:173] /*v[428:429]*/, v[170:171] /*v[426:427]*/, 0 op_sel_hi:[1,1,0]
	v_add3_u32 v146 /*v402*/, v230 /*v486*/, v247 /*v503*/, v146 /*v402*/
	s_set_vgpr_msb 0                        ;  msbs: dst=0 src0=0 src1=0 src2=0
	v_mul_lo_u32 v36, v36, v101
	s_set_vgpr_msb 0x41                     ;  msbs: dst=1 src0=1 src1=0 src2=0
	v_mul_i32_i24_e32 v230 /*v486*/, v185 /*v441*/, v234
	s_set_vgpr_msb 0x45                     ;  msbs: dst=1 src0=1 src1=1 src2=0
	v_mul_i32_i24_e32 v247 /*v503*/, v228 /*v484*/, v24 /*v280*/
	s_set_vgpr_msb 0x41                     ;  msbs: dst=1 src0=1 src1=0 src2=0
	v_mul_lo_u32 v146 /*v402*/, v146 /*v402*/, v101
	s_set_vgpr_msb 64                       ;  msbs: dst=1 src0=0 src1=0 src2=0
	s_delay_alu instid0(VALU_DEP_4) | instskip(SKIP_3) | instid1(VALU_DEP_3)
	v_cvt_f32_i32_e32 v166 /*v422*/, v36
	s_set_vgpr_msb 0                        ;  msbs: dst=0 src0=0 src1=0 src2=0
	v_mul_i32_i24_e32 v36, v52, v220
	s_set_vgpr_msb 0x41                     ;  msbs: dst=1 src0=1 src1=0 src2=0
	v_cvt_f32_i32_e32 v167 /*v423*/, v146 /*v402*/
	s_set_vgpr_msb 64                       ;  msbs: dst=1 src0=0 src1=0 src2=0
	v_mul_i32_i24_e32 v146 /*v402*/, v54, v221
	s_set_vgpr_msb 0                        ;  msbs: dst=0 src0=0 src1=0 src2=0
	v_mad_i32_i24 v36, v53, v219, v36
	s_set_vgpr_msb 0x55                     ;  msbs: dst=1 src0=1 src1=1 src2=1
	v_pk_fma_f32 v[166:167] /*v[422:423]*/, v[176:177] /*v[432:433]*/, v[166:167] /*v[422:423]*/, v[170:171] /*v[426:427]*/
	s_set_vgpr_msb 0x54                     ;  msbs: dst=1 src0=0 src1=1 src2=1
	v_pk_fma_f32 v[170:171] /*v[426:427]*/, v[100:101], v[168:169] /*v[424:425]*/, v[178:179] /*v[434:435]*/ op_sel_hi:[0,1,1]
	s_set_vgpr_msb 20                       ;  msbs: dst=0 src0=0 src1=1 src2=1
	v_add3_u32 v36, v36, v146 /*v402*/, v159 /*v415*/
	s_set_vgpr_msb 64                       ;  msbs: dst=1 src0=0 src1=0 src2=0
	v_mul_i32_i24_e32 v146 /*v402*/, v56, v223
	v_mul_i32_i24_e32 v159 /*v415*/, v58, v224
	;; [unrolled: 1-line block ×3, first 2 shown]
	s_set_vgpr_msb 0x41                     ;  msbs: dst=1 src0=1 src1=0 src2=0
	v_pk_mul_f32 v[170:171] /*v[426:427]*/, v[170:171] /*v[426:427]*/, v[8:9]
	v_mul_i32_i24_e32 v179 /*v435*/, v184 /*v440*/, v233
	s_set_vgpr_msb 20                       ;  msbs: dst=0 src0=0 src1=1 src2=1
	v_add3_u32 v36, v36, v146 /*v402*/, v159 /*v415*/
	s_set_vgpr_msb 0x51                     ;  msbs: dst=1 src0=1 src1=0 src2=1
	v_mul_i32_i24_e32 v146 /*v402*/, v202 /*v458*/, v249
	v_pk_fma_f32 v[166:167] /*v[422:423]*/, v[166:167] /*v[422:423]*/, v[0:1], v[170:171] /*v[426:427]*/ neg_lo:[0,0,1] neg_hi:[0,0,1]
	s_set_vgpr_msb 64                       ;  msbs: dst=1 src0=0 src1=0 src2=0
	v_mul_i32_i24_e32 v170 /*v426*/, v84, v230
	s_set_vgpr_msb 0x41                     ;  msbs: dst=1 src0=1 src1=0 src2=0
	v_mul_i32_i24_e32 v159 /*v415*/, v204 /*v460*/, v246
	s_set_vgpr_msb 20                       ;  msbs: dst=0 src0=0 src1=1 src2=1
	v_add3_u32 v36, v36, v160 /*v416*/, v162 /*v418*/
	s_set_vgpr_msb 0x41                     ;  msbs: dst=1 src0=1 src1=0 src2=0
	v_mul_i32_i24_e32 v160 /*v416*/, v205 /*v461*/, v252
	s_set_vgpr_msb 4                        ;  msbs: dst=0 src0=0 src1=1 src2=0
	v_pk_add_f32 v[42:43], v[42:43], v[166:167] /*v[422:423]*/
	s_set_vgpr_msb 64                       ;  msbs: dst=1 src0=0 src1=0 src2=0
	v_mul_i32_i24_e32 v166 /*v422*/, v71, v228
	v_mul_i32_i24_e32 v167 /*v423*/, v82, v229
	s_set_vgpr_msb 0x51                     ;  msbs: dst=1 src0=1 src1=0 src2=1
	v_mad_i32_i24 v146 /*v402*/, v203 /*v459*/, v248, v146 /*v402*/
	s_set_vgpr_msb 64                       ;  msbs: dst=1 src0=0 src1=0 src2=0
	v_mul_i32_i24_e32 v171 /*v427*/, v86, v231
	s_set_vgpr_msb 0x41                     ;  msbs: dst=1 src0=1 src1=0 src2=0
	v_mul_i32_i24_e32 v162 /*v418*/, v208 /*v464*/, v250
	s_set_vgpr_msb 20                       ;  msbs: dst=0 src0=0 src1=1 src2=1
	v_add3_u32 v36, v36, v165 /*v421*/, v166 /*v422*/
	s_set_vgpr_msb 0x55                     ;  msbs: dst=1 src0=1 src1=1 src2=1
	v_mul_i32_i24_e32 v165 /*v421*/, v209 /*v465*/, v3 /*v259*/
	v_add3_u32 v146 /*v402*/, v146 /*v402*/, v159 /*v415*/, v160 /*v416*/
	s_set_vgpr_msb 0x41                     ;  msbs: dst=1 src0=1 src1=0 src2=0
	v_mul_i32_i24_e32 v159 /*v415*/, v206 /*v462*/, v255
	s_set_vgpr_msb 0x45                     ;  msbs: dst=1 src0=1 src1=1 src2=0
	v_mul_i32_i24_e32 v160 /*v416*/, v207 /*v463*/, v1 /*v257*/
	s_set_vgpr_msb 20                       ;  msbs: dst=0 src0=0 src1=1 src2=1
	v_add3_u32 v36, v36, v167 /*v423*/, v170 /*v426*/
	s_set_vgpr_msb 0x55                     ;  msbs: dst=1 src0=1 src1=1 src2=1
	v_mul_i32_i24_e32 v166 /*v422*/, v210 /*v466*/, v4 /*v260*/
	v_mul_i32_i24_e32 v167 /*v423*/, v211 /*v467*/, v5 /*v261*/
	;; [unrolled: 1-line block ×3, first 2 shown]
	v_add3_u32 v146 /*v402*/, v146 /*v402*/, v159 /*v415*/, v160 /*v416*/
	s_set_vgpr_msb 20                       ;  msbs: dst=0 src0=0 src1=1 src2=1
	v_add3_u32 v36, v36, v171 /*v427*/, v178 /*v434*/
	s_set_vgpr_msb 0x45                     ;  msbs: dst=1 src0=1 src1=1 src2=0
	v_mul_i32_i24_e32 v171 /*v427*/, v213 /*v469*/, v7 /*v263*/
	v_mul_i32_i24_e32 v178 /*v434*/, v214 /*v470*/, v8 /*v264*/
	s_set_vgpr_msb 64                       ;  msbs: dst=1 src0=0 src1=0 src2=0
	v_mul_i32_i24_e32 v159 /*v415*/, v69, v163
	s_set_vgpr_msb 0x55                     ;  msbs: dst=1 src0=1 src1=1 src2=1
	v_add3_u32 v146 /*v402*/, v146 /*v402*/, v162 /*v418*/, v165 /*v421*/
	s_set_vgpr_msb 20                       ;  msbs: dst=0 src0=0 src1=1 src2=1
	v_add3_u32 v36, v36, v179 /*v435*/, v230 /*v486*/
	s_set_vgpr_msb 0x45                     ;  msbs: dst=1 src0=1 src1=1 src2=0
	v_mul_i32_i24_e32 v179 /*v435*/, v215 /*v471*/, v9 /*v265*/
	v_mul_i32_i24_e32 v230 /*v486*/, v216 /*v472*/, v6 /*v262*/
	s_set_vgpr_msb 64                       ;  msbs: dst=1 src0=0 src1=0 src2=0
	v_mul_i32_i24_e32 v160 /*v416*/, v71, v164
	s_set_vgpr_msb 0x55                     ;  msbs: dst=1 src0=1 src1=1 src2=1
	v_add3_u32 v146 /*v402*/, v146 /*v402*/, v166 /*v422*/, v167 /*v423*/
	s_set_vgpr_msb 20                       ;  msbs: dst=0 src0=0 src1=1 src2=1
	v_add3_u32 v36, v36, v231 /*v487*/, v232 /*v488*/
	s_set_vgpr_msb 0x45                     ;  msbs: dst=1 src0=1 src1=1 src2=0
	v_mul_i32_i24_e32 v231 /*v487*/, v217 /*v473*/, v10 /*v266*/
	v_mul_i32_i24_e32 v232 /*v488*/, v218 /*v474*/, v11 /*v267*/
	s_set_vgpr_msb 0x44                     ;  msbs: dst=1 src0=0 src1=1 src2=0
	v_pk_fma_f32 v[166:167] /*v[422:423]*/, v[102:103], v[174:175] /*v[430:431]*/, 0 op_sel_hi:[0,1,0]
	s_set_vgpr_msb 0x55                     ;  msbs: dst=1 src0=1 src1=1 src2=1
	v_add3_u32 v146 /*v402*/, v146 /*v402*/, v170 /*v426*/, v171 /*v427*/
	s_set_vgpr_msb 20                       ;  msbs: dst=0 src0=0 src1=1 src2=1
	v_add3_u32 v36, v36, v233 /*v489*/, v234 /*v490*/
	s_set_vgpr_msb 0x45                     ;  msbs: dst=1 src0=1 src1=1 src2=0
	v_mul_i32_i24_e32 v233 /*v489*/, v219 /*v475*/, v12 /*v268*/
	v_mul_i32_i24_e32 v234 /*v490*/, v14 /*v270*/, v220 /*v476*/
	s_set_vgpr_msb 64                       ;  msbs: dst=1 src0=0 src1=0 src2=0
	v_mul_i32_i24_e32 v165 /*v421*/, v92, v168
	s_set_vgpr_msb 0x55                     ;  msbs: dst=1 src0=1 src1=1 src2=1
	v_add3_u32 v146 /*v402*/, v146 /*v402*/, v178 /*v434*/, v179 /*v435*/
	s_set_vgpr_msb 20                       ;  msbs: dst=0 src0=0 src1=1 src2=1
	v_add3_u32 v36, v36, v235 /*v491*/, v236 /*v492*/
	s_set_vgpr_msb 0x45                     ;  msbs: dst=1 src0=1 src1=1 src2=0
	v_mul_i32_i24_e32 v235 /*v491*/, v13 /*v269*/, v180 /*v436*/
	v_mul_i32_i24_e32 v236 /*v492*/, v15 /*v271*/, v221 /*v477*/
	s_set_vgpr_msb 0x41                     ;  msbs: dst=1 src0=1 src1=0 src2=0
	v_mul_i32_i24_e32 v170 /*v426*/, v186 /*v442*/, v171
	s_set_vgpr_msb 0x55                     ;  msbs: dst=1 src0=1 src1=1 src2=1
	v_add3_u32 v146 /*v402*/, v146 /*v402*/, v230 /*v486*/, v231 /*v487*/
	s_set_vgpr_msb 20                       ;  msbs: dst=0 src0=0 src1=1 src2=1
	v_add3_u32 v36, v36, v237 /*v493*/, v238 /*v494*/
	s_set_vgpr_msb 0x45                     ;  msbs: dst=1 src0=1 src1=1 src2=0
	v_mul_i32_i24_e32 v237 /*v493*/, v16 /*v272*/, v222 /*v478*/
	v_mul_i32_i24_e32 v238 /*v494*/, v18 /*v274*/, v223 /*v479*/
	s_set_vgpr_msb 0x41                     ;  msbs: dst=1 src0=1 src1=0 src2=0
	v_mul_i32_i24_e32 v171 /*v427*/, v187 /*v443*/, v172
	;; [unrolled: 9-line block ×4, first 2 shown]
	s_set_vgpr_msb 0x55                     ;  msbs: dst=1 src0=1 src1=1 src2=1
	v_add3_u32 v146 /*v402*/, v146 /*v402*/, v236 /*v492*/, v237 /*v493*/
	s_set_vgpr_msb 20                       ;  msbs: dst=0 src0=0 src1=1 src2=1
	v_add3_u32 v36, v36, v243 /*v499*/, v244 /*v500*/
	s_set_vgpr_msb 0x45                     ;  msbs: dst=1 src0=1 src1=1 src2=0
	v_mul_i32_i24_e32 v243 /*v499*/, v21 /*v277*/, v182 /*v438*/
	v_mul_i32_i24_e32 v244 /*v500*/, v227 /*v483*/, v23 /*v279*/
	s_set_vgpr_msb 0x44                     ;  msbs: dst=1 src0=0 src1=1 src2=0
	v_mul_i32_i24_e32 v230 /*v486*/, v176, v190 /*v446*/
	s_set_vgpr_msb 0x55                     ;  msbs: dst=1 src0=1 src1=1 src2=1
	v_add3_u32 v146 /*v402*/, v146 /*v402*/, v238 /*v494*/, v239 /*v495*/
	s_set_vgpr_msb 20                       ;  msbs: dst=0 src0=0 src1=1 src2=1
	v_add3_u32 v36, v36, v245 /*v501*/, v246 /*v502*/
	s_set_vgpr_msb 0x44                     ;  msbs: dst=1 src0=0 src1=1 src2=0
	v_mul_i32_i24_e32 v231 /*v487*/, v175, v191 /*v447*/
	v_mul_i32_i24_e32 v232 /*v488*/, v178, v192 /*v448*/
	v_mul_i32_i24_e32 v233 /*v489*/, v177, v193 /*v449*/
	s_set_vgpr_msb 0x55                     ;  msbs: dst=1 src0=1 src1=1 src2=1
	v_add3_u32 v146 /*v402*/, v146 /*v402*/, v240 /*v496*/, v241 /*v497*/
	s_set_vgpr_msb 0                        ;  msbs: dst=0 src0=0 src1=0 src2=0
	v_mul_lo_u32 v36, v36, v218
	s_set_vgpr_msb 0x44                     ;  msbs: dst=1 src0=0 src1=1 src2=0
	v_mul_i32_i24_e32 v234 /*v490*/, v180, v194 /*v450*/
	v_mul_i32_i24_e32 v235 /*v491*/, v179, v195 /*v451*/
	;; [unrolled: 1-line block ×3, first 2 shown]
	s_set_vgpr_msb 0x55                     ;  msbs: dst=1 src0=1 src1=1 src2=1
	v_add3_u32 v146 /*v402*/, v146 /*v402*/, v242 /*v498*/, v243 /*v499*/
	s_set_vgpr_msb 0x44                     ;  msbs: dst=1 src0=0 src1=1 src2=0
	v_mul_i32_i24_e32 v237 /*v493*/, v181, v197 /*v453*/
	s_set_vgpr_msb 0x41                     ;  msbs: dst=1 src0=1 src1=0 src2=0
	v_mul_i32_i24_e32 v238 /*v494*/, v198 /*v454*/, v187
	v_mul_i32_i24_e32 v239 /*v495*/, v199 /*v455*/, v189
	;; [unrolled: 1-line block ×3, first 2 shown]
	s_set_vgpr_msb 0x55                     ;  msbs: dst=1 src0=1 src1=1 src2=1
	v_add3_u32 v146 /*v402*/, v146 /*v402*/, v244 /*v500*/, v247 /*v503*/
	s_set_vgpr_msb 0x41                     ;  msbs: dst=1 src0=1 src1=0 src2=0
	v_mul_i32_i24_e32 v241 /*v497*/, v201 /*v457*/, v192
	s_set_vgpr_msb 64                       ;  msbs: dst=1 src0=0 src1=0 src2=0
	v_cvt_f32_i32_e32 v155 /*v411*/, v36
	s_set_vgpr_msb 1                        ;  msbs: dst=0 src0=1 src1=0 src2=0
	v_mul_i32_i24_e32 v36, v145 /*v401*/, v109
	s_set_vgpr_msb 0x41                     ;  msbs: dst=1 src0=1 src1=0 src2=0
	v_mul_i32_i24_e32 v242 /*v498*/, v228 /*v484*/, v216
	s_set_vgpr_msb 0x55                     ;  msbs: dst=1 src0=1 src1=1 src2=1
	v_add3_u32 v146 /*v402*/, v146 /*v402*/, v248 /*v504*/, v157 /*v413*/
	s_set_vgpr_msb 64                       ;  msbs: dst=1 src0=0 src1=0 src2=0
	v_mul_i32_i24_e32 v157 /*v413*/, v67, v162
	s_set_vgpr_msb 0x45                     ;  msbs: dst=1 src0=1 src1=1 src2=0
	v_pk_fma_f32 v[154:155] /*v[410:411]*/, v[172:173] /*v[428:429]*/, v[154:155] /*v[410:411]*/, 0 op_sel_hi:[1,1,0]
	s_set_vgpr_msb 5                        ;  msbs: dst=0 src0=1 src1=1 src2=0
	v_add3_u32 v36, v164 /*v420*/, v163 /*v419*/, v36
	s_set_vgpr_msb 64                       ;  msbs: dst=1 src0=0 src1=0 src2=0
	v_mul_i32_i24_e32 v164 /*v420*/, v86, v167
	s_set_vgpr_msb 0x41                     ;  msbs: dst=1 src0=1 src1=0 src2=0
	v_mul_lo_u32 v146 /*v402*/, v146 /*v402*/, v157
	v_mul_i32_i24_e32 v243 /*v499*/, v229 /*v485*/, v217
	s_set_vgpr_msb 0                        ;  msbs: dst=0 src0=0 src1=0 src2=0
	v_mul_lo_u32 v36, v36, v157
	s_set_vgpr_msb 0x41                     ;  msbs: dst=1 src0=1 src1=0 src2=0
	s_delay_alu instid0(VALU_DEP_3) | instskip(SKIP_2) | instid1(VALU_DEP_3)
	v_cvt_f32_i32_e32 v163 /*v419*/, v146 /*v402*/
	s_set_vgpr_msb 64                       ;  msbs: dst=1 src0=0 src1=0 src2=0
	v_mul_i32_i24_e32 v146 /*v402*/, v54, v124
	v_cvt_f32_i32_e32 v162 /*v418*/, v36
	s_set_vgpr_msb 0                        ;  msbs: dst=0 src0=0 src1=0 src2=0
	v_mul_i32_i24_e32 v36, v52, v122
	s_set_vgpr_msb 0x55                     ;  msbs: dst=1 src0=1 src1=1 src2=1
	s_delay_alu instid0(VALU_DEP_2)
	v_pk_fma_f32 v[154:155] /*v[410:411]*/, v[176:177] /*v[432:433]*/, v[162:163] /*v[418:419]*/, v[154:155] /*v[410:411]*/
	s_set_vgpr_msb 0x54                     ;  msbs: dst=1 src0=0 src1=1 src2=1
	v_pk_fma_f32 v[162:163] /*v[418:419]*/, v[104:105], v[168:169] /*v[424:425]*/, v[166:167] /*v[422:423]*/ op_sel_hi:[0,1,1]
	s_set_vgpr_msb 0                        ;  msbs: dst=0 src0=0 src1=0 src2=0
	v_mad_i32_i24 v36, v53, v120, v36
	s_set_vgpr_msb 0x51                     ;  msbs: dst=1 src0=1 src1=0 src2=1
	v_mul_i32_i24_e32 v166 /*v422*/, v184 /*v440*/, v169
	v_mul_i32_i24_e32 v167 /*v423*/, v185 /*v441*/, v170
	v_pk_mul_f32 v[162:163] /*v[418:419]*/, v[162:163] /*v[418:419]*/, v[10:11]
	s_delay_alu instid0(VALU_DEP_1)
	v_pk_fma_f32 v[154:155] /*v[410:411]*/, v[154:155] /*v[410:411]*/, v[2:3], v[162:163] /*v[418:419]*/ neg_lo:[0,0,1] neg_hi:[0,0,1]
	s_set_vgpr_msb 64                       ;  msbs: dst=1 src0=0 src1=0 src2=0
	v_mul_i32_i24_e32 v162 /*v418*/, v82, v165
	v_mul_i32_i24_e32 v163 /*v419*/, v84, v166
	s_set_vgpr_msb 4                        ;  msbs: dst=0 src0=0 src1=1 src2=0
	v_pk_add_f32 v[38:39], v[38:39], v[154:155] /*v[410:411]*/
	s_set_vgpr_msb 64                       ;  msbs: dst=1 src0=0 src1=0 src2=0
	v_mul_i32_i24_e32 v154 /*v410*/, v55, v158
	v_mul_i32_i24_e32 v155 /*v411*/, v61, v161
	s_set_vgpr_msb 20                       ;  msbs: dst=0 src0=0 src1=1 src2=1
	s_delay_alu instid0(VALU_DEP_2) | instskip(SKIP_4) | instid1(VALU_DEP_1)
	v_add3_u32 v36, v36, v146 /*v402*/, v154 /*v410*/
	s_set_vgpr_msb 64                       ;  msbs: dst=1 src0=0 src1=0 src2=0
	v_mul_i32_i24_e32 v146 /*v402*/, v56, v159
	v_mul_i32_i24_e32 v154 /*v410*/, v58, v160
	s_set_vgpr_msb 20                       ;  msbs: dst=0 src0=0 src1=1 src2=1
	v_add3_u32 v36, v36, v146 /*v402*/, v154 /*v410*/
	s_set_vgpr_msb 0x41                     ;  msbs: dst=1 src0=1 src1=0 src2=0
	v_mul_i32_i24_e32 v146 /*v402*/, v202 /*v458*/, v185
	v_mul_i32_i24_e32 v154 /*v410*/, v204 /*v460*/, v182
	s_set_vgpr_msb 20                       ;  msbs: dst=0 src0=0 src1=1 src2=1
	v_add3_u32 v36, v36, v155 /*v411*/, v157 /*v413*/
	s_set_vgpr_msb 0x51                     ;  msbs: dst=1 src0=1 src1=0 src2=1
	v_mul_i32_i24_e32 v155 /*v411*/, v205 /*v461*/, v188
	v_mad_i32_i24 v146 /*v402*/, v203 /*v459*/, v184, v146 /*v402*/
	v_mul_i32_i24_e32 v157 /*v413*/, v208 /*v464*/, v186
	s_set_vgpr_msb 20                       ;  msbs: dst=0 src0=0 src1=1 src2=1
	v_add3_u32 v36, v36, v159 /*v415*/, v160 /*v416*/
	s_set_vgpr_msb 0x41                     ;  msbs: dst=1 src0=1 src1=0 src2=0
	v_mul_i32_i24_e32 v159 /*v415*/, v209 /*v465*/, v195
	s_set_vgpr_msb 0x55                     ;  msbs: dst=1 src0=1 src1=1 src2=1
	v_add3_u32 v146 /*v402*/, v146 /*v402*/, v154 /*v410*/, v155 /*v411*/
	s_set_vgpr_msb 0x41                     ;  msbs: dst=1 src0=1 src1=0 src2=0
	v_mul_i32_i24_e32 v154 /*v410*/, v206 /*v462*/, v191
	v_mul_i32_i24_e32 v155 /*v411*/, v207 /*v463*/, v193
	s_set_vgpr_msb 20                       ;  msbs: dst=0 src0=0 src1=1 src2=1
	v_add3_u32 v36, v36, v162 /*v418*/, v163 /*v419*/
	s_set_vgpr_msb 0x41                     ;  msbs: dst=1 src0=1 src1=0 src2=0
	v_mul_i32_i24_e32 v160 /*v416*/, v210 /*v466*/, v196
	v_mul_i32_i24_e32 v162 /*v418*/, v211 /*v467*/, v197
	;; [unrolled: 1-line block ×3, first 2 shown]
	s_set_vgpr_msb 0x55                     ;  msbs: dst=1 src0=1 src1=1 src2=1
	v_add3_u32 v146 /*v402*/, v146 /*v402*/, v154 /*v410*/, v155 /*v411*/
	s_set_vgpr_msb 20                       ;  msbs: dst=0 src0=0 src1=1 src2=1
	v_add3_u32 v36, v36, v164 /*v420*/, v165 /*v421*/
	s_set_vgpr_msb 0x41                     ;  msbs: dst=1 src0=1 src1=0 src2=0
	v_mul_i32_i24_e32 v164 /*v420*/, v213 /*v469*/, v199
	v_mul_i32_i24_e32 v165 /*v421*/, v214 /*v470*/, v200
	s_set_vgpr_msb 0x44                     ;  msbs: dst=1 src0=0 src1=1 src2=0
	v_pk_fma_f32 v[154:155] /*v[410:411]*/, v[94:95], v[174:175] /*v[430:431]*/, 0 op_sel_hi:[0,1,0]
	s_set_vgpr_msb 0x55                     ;  msbs: dst=1 src0=1 src1=1 src2=1
	v_add3_u32 v146 /*v402*/, v146 /*v402*/, v157 /*v413*/, v159 /*v415*/
	s_set_vgpr_msb 20                       ;  msbs: dst=0 src0=0 src1=1 src2=1
	v_add3_u32 v36, v36, v166 /*v422*/, v167 /*v423*/
	s_set_vgpr_msb 0x41                     ;  msbs: dst=1 src0=1 src1=0 src2=0
	v_mul_i32_i24_e32 v166 /*v422*/, v215 /*v471*/, v201
	v_mul_i32_i24_e32 v167 /*v423*/, v216 /*v472*/, v198
	s_set_vgpr_msb 0x54                     ;  msbs: dst=1 src0=0 src1=1 src2=1
	v_pk_fma_f32 v[154:155] /*v[410:411]*/, v[96:97], v[168:169] /*v[424:425]*/, v[154:155] /*v[410:411]*/ op_sel_hi:[0,1,1]
	s_set_vgpr_msb 0x55                     ;  msbs: dst=1 src0=1 src1=1 src2=1
	v_add3_u32 v146 /*v402*/, v146 /*v402*/, v160 /*v416*/, v162 /*v418*/
	s_set_vgpr_msb 20                       ;  msbs: dst=0 src0=0 src1=1 src2=1
	v_add3_u32 v36, v36, v170 /*v426*/, v171 /*v427*/
	s_set_vgpr_msb 0x41                     ;  msbs: dst=1 src0=1 src1=0 src2=0
	v_mul_i32_i24_e32 v170 /*v426*/, v217 /*v473*/, v202
	v_mul_i32_i24_e32 v171 /*v427*/, v218 /*v474*/, v203
	v_pk_mul_f32 v[154:155] /*v[410:411]*/, v[154:155] /*v[410:411]*/, v[12:13]
	s_set_vgpr_msb 0x55                     ;  msbs: dst=1 src0=1 src1=1 src2=1
	v_add3_u32 v146 /*v402*/, v146 /*v402*/, v163 /*v419*/, v164 /*v420*/
	s_set_vgpr_msb 20                       ;  msbs: dst=0 src0=0 src1=1 src2=1
	v_add3_u32 v36, v36, v178 /*v434*/, v179 /*v435*/
	s_set_vgpr_msb 0x41                     ;  msbs: dst=1 src0=1 src1=0 src2=0
	v_mul_i32_i24_e32 v178 /*v434*/, v219 /*v475*/, v204
	s_set_vgpr_msb 0x44                     ;  msbs: dst=1 src0=0 src1=1 src2=0
	v_mul_i32_i24_e32 v179 /*v435*/, v206, v220 /*v476*/
	s_set_vgpr_msb 0x55                     ;  msbs: dst=1 src0=1 src1=1 src2=1
	v_mul_i32_i24_e32 v157 /*v413*/, v54 /*v310*/, v194 /*v450*/
	v_add3_u32 v146 /*v402*/, v146 /*v402*/, v165 /*v421*/, v166 /*v422*/
	s_set_vgpr_msb 20                       ;  msbs: dst=0 src0=0 src1=1 src2=1
	v_add3_u32 v36, v36, v230 /*v486*/, v231 /*v487*/
	s_set_vgpr_msb 0x44                     ;  msbs: dst=1 src0=0 src1=1 src2=0
	v_mul_i32_i24_e32 v230 /*v486*/, v205, v180 /*v436*/
	v_mul_i32_i24_e32 v231 /*v487*/, v207, v221 /*v477*/
	s_set_vgpr_msb 0x55                     ;  msbs: dst=1 src0=1 src1=1 src2=1
	v_mul_i32_i24_e32 v160 /*v416*/, v55 /*v311*/, v197 /*v453*/
	v_add3_u32 v146 /*v402*/, v146 /*v402*/, v167 /*v423*/, v170 /*v426*/
	s_set_vgpr_msb 20                       ;  msbs: dst=0 src0=0 src1=1 src2=1
	v_add3_u32 v36, v36, v232 /*v488*/, v233 /*v489*/
	s_set_vgpr_msb 0x44                     ;  msbs: dst=1 src0=0 src1=1 src2=0
	v_mul_i32_i24_e32 v232 /*v488*/, v208, v222 /*v478*/
	v_mul_i32_i24_e32 v233 /*v489*/, v210, v223 /*v479*/
	s_set_vgpr_msb 0x55                     ;  msbs: dst=1 src0=1 src1=1 src2=1
	v_mul_i32_i24_e32 v162 /*v418*/, v199 /*v455*/, v63 /*v319*/
	v_add3_u32 v146 /*v402*/, v146 /*v402*/, v171 /*v427*/, v178 /*v434*/
	s_set_vgpr_msb 20                       ;  msbs: dst=0 src0=0 src1=1 src2=1
	v_add3_u32 v36, v36, v234 /*v490*/, v235 /*v491*/
	s_set_vgpr_msb 0x44                     ;  msbs: dst=1 src0=0 src1=1 src2=0
	v_mul_i32_i24_e32 v234 /*v490*/, v209, v181 /*v437*/
	v_mul_i32_i24_e32 v235 /*v491*/, v211, v224 /*v480*/
	s_set_vgpr_msb 0x55                     ;  msbs: dst=1 src0=1 src1=1 src2=1
	v_mul_i32_i24_e32 v163 /*v419*/, v200 /*v456*/, v64 /*v320*/
	v_add3_u32 v146 /*v402*/, v146 /*v402*/, v179 /*v435*/, v230 /*v486*/
	s_set_vgpr_msb 20                       ;  msbs: dst=0 src0=0 src1=1 src2=1
	v_add3_u32 v36, v36, v236 /*v492*/, v237 /*v493*/
	s_set_vgpr_msb 0x44                     ;  msbs: dst=1 src0=0 src1=1 src2=0
	v_mul_i32_i24_e32 v236 /*v492*/, v212, v225 /*v481*/
	v_mul_i32_i24_e32 v237 /*v493*/, v214, v226 /*v482*/
	s_set_vgpr_msb 0x55                     ;  msbs: dst=1 src0=1 src1=1 src2=1
	v_mul_i32_i24_e32 v164 /*v420*/, v201 /*v457*/, v66 /*v322*/
	v_add3_u32 v146 /*v402*/, v146 /*v402*/, v231 /*v487*/, v232 /*v488*/
	s_set_vgpr_msb 20                       ;  msbs: dst=0 src0=0 src1=1 src2=1
	v_add3_u32 v36, v36, v238 /*v494*/, v239 /*v495*/
	s_set_vgpr_msb 0x44                     ;  msbs: dst=1 src0=0 src1=1 src2=0
	v_mul_i32_i24_e32 v238 /*v494*/, v213, v182 /*v438*/
	s_set_vgpr_msb 0x41                     ;  msbs: dst=1 src0=1 src1=0 src2=0
	v_mul_i32_i24_e32 v239 /*v495*/, v227 /*v483*/, v215
	s_set_vgpr_msb 0x55                     ;  msbs: dst=1 src0=1 src1=1 src2=1
	v_mul_i32_i24_e32 v165 /*v421*/, v228 /*v484*/, v90 /*v346*/
	v_add3_u32 v146 /*v402*/, v146 /*v402*/, v233 /*v489*/, v234 /*v490*/
	s_set_vgpr_msb 20                       ;  msbs: dst=0 src0=0 src1=1 src2=1
	v_add3_u32 v36, v36, v240 /*v496*/, v241 /*v497*/
	s_set_vgpr_msb 0x55                     ;  msbs: dst=1 src0=1 src1=1 src2=1
	v_mul_i32_i24_e32 v166 /*v422*/, v229 /*v485*/, v91 /*v347*/
	v_add3_u32 v146 /*v402*/, v146 /*v402*/, v235 /*v491*/, v236 /*v492*/
	s_set_vgpr_msb 0                        ;  msbs: dst=0 src0=0 src1=0 src2=0
	v_mul_lo_u32 v36, v36, v107
	s_set_vgpr_msb 0x55                     ;  msbs: dst=1 src0=1 src1=1 src2=1
	s_delay_alu instid0(VALU_DEP_2) | instskip(NEXT) | instid1(VALU_DEP_1)
	v_add3_u32 v146 /*v402*/, v146 /*v402*/, v237 /*v493*/, v238 /*v494*/
	v_add3_u32 v146 /*v402*/, v146 /*v402*/, v239 /*v495*/, v242 /*v498*/
	s_set_vgpr_msb 64                       ;  msbs: dst=1 src0=0 src1=0 src2=0
	s_delay_alu instid0(VALU_DEP_3)
	v_cvt_f32_i32_e32 v151 /*v407*/, v36
	s_set_vgpr_msb 1                        ;  msbs: dst=0 src0=1 src1=0 src2=0
	v_mul_i32_i24_e32 v36, v145 /*v401*/, v97
	s_set_vgpr_msb 0x55                     ;  msbs: dst=1 src0=1 src1=1 src2=1
	v_add3_u32 v146 /*v402*/, v146 /*v402*/, v243 /*v499*/, v152 /*v408*/
	v_mul_i32_i24_e32 v152 /*v408*/, v49 /*v305*/, v191 /*v447*/
	v_pk_fma_f32 v[150:151] /*v[406:407]*/, v[172:173] /*v[428:429]*/, v[150:151] /*v[406:407]*/, 0 op_sel_hi:[1,1,0]
	s_set_vgpr_msb 5                        ;  msbs: dst=0 src0=1 src1=1 src2=0
	v_add3_u32 v36, v161 /*v417*/, v158 /*v414*/, v36
	s_set_vgpr_msb 0x45                     ;  msbs: dst=1 src0=1 src1=1 src2=0
	v_mul_i32_i24_e32 v161 /*v417*/, v198 /*v454*/, v61 /*v317*/
	s_set_vgpr_msb 0x41                     ;  msbs: dst=1 src0=1 src1=0 src2=0
	v_mul_lo_u32 v146 /*v402*/, v146 /*v402*/, v99
	s_set_vgpr_msb 0                        ;  msbs: dst=0 src0=0 src1=0 src2=0
	v_mul_lo_u32 v36, v36, v99
	s_set_vgpr_msb 0x45                     ;  msbs: dst=1 src0=1 src1=1 src2=0
	s_delay_alu instid0(VALU_DEP_2) | instskip(SKIP_2) | instid1(VALU_DEP_3)
	v_cvt_f32_i32_e32 v159 /*v415*/, v146 /*v402*/
	v_mul_i32_i24_e32 v146 /*v402*/, v188 /*v444*/, v47 /*v303*/
	s_set_vgpr_msb 64                       ;  msbs: dst=1 src0=0 src1=0 src2=0
	v_cvt_f32_i32_e32 v158 /*v414*/, v36
	s_set_vgpr_msb 4                        ;  msbs: dst=0 src0=0 src1=1 src2=0
	v_mul_i32_i24_e32 v36, v52, v30 /*v286*/
	v_mul_i32_i24_e32 v52, v54, v31 /*v287*/
	v_mul_i32_i24_e32 v54, v55, v32 /*v288*/
	v_mul_i32_i24_e32 v55, v67, v36 /*v292*/
	v_mul_i32_i24_e32 v67, v84, v40 /*v296*/
	v_mad_i32_i24 v36, v53, v29 /*v285*/, v36
	v_mul_i32_i24_e32 v53, v58, v34 /*v290*/
	v_mul_i32_i24_e32 v58, v71, v38 /*v294*/
	;; [unrolled: 1-line block ×3, first 2 shown]
	s_set_vgpr_msb 0x55                     ;  msbs: dst=1 src0=1 src1=1 src2=1
	v_pk_fma_f32 v[150:151] /*v[406:407]*/, v[176:177] /*v[432:433]*/, v[158:159] /*v[414:415]*/, v[150:151] /*v[406:407]*/
	s_set_vgpr_msb 0                        ;  msbs: dst=0 src0=0 src1=0 src2=0
	v_add3_u32 v36, v36, v52, v54
	s_set_vgpr_msb 4                        ;  msbs: dst=0 src0=0 src1=1 src2=0
	v_mul_i32_i24_e32 v52, v56, v33 /*v289*/
	v_mul_i32_i24_e32 v54, v61, v35 /*v291*/
	v_mul_i32_i24_e32 v56, v69, v37 /*v293*/
	v_mul_i32_i24_e32 v61, v82, v39 /*v295*/
	v_mul_i32_i24_e32 v69, v86, v41 /*v297*/
	s_set_vgpr_msb 0                        ;  msbs: dst=0 src0=0 src1=0 src2=0
	v_add3_u32 v36, v36, v52, v53
	s_set_vgpr_msb 5                        ;  msbs: dst=0 src0=1 src1=1 src2=0
	v_mul_i32_i24_e32 v52, v202 /*v458*/, v59 /*v315*/
	v_mul_i32_i24_e32 v53, v204 /*v460*/, v56 /*v312*/
	v_mul_i32_i24_e32 v82, v184 /*v440*/, v43 /*v299*/
	v_mul_i32_i24_e32 v84, v185 /*v441*/, v44 /*v300*/
	s_set_vgpr_msb 0                        ;  msbs: dst=0 src0=0 src1=0 src2=0
	v_add3_u32 v36, v36, v54, v55
	s_set_vgpr_msb 5                        ;  msbs: dst=0 src0=1 src1=1 src2=0
	v_mul_i32_i24_e32 v54, v205 /*v461*/, v62 /*v318*/
	v_mad_i32_i24 v52, v203 /*v459*/, v58 /*v314*/, v52
	v_mul_i32_i24_e32 v55, v208 /*v464*/, v60 /*v316*/
	s_set_vgpr_msb 0x51                     ;  msbs: dst=1 src0=1 src1=0 src2=1
	v_pk_fma_f32 v[150:151] /*v[406:407]*/, v[150:151] /*v[406:407]*/, v[4:5], v[154:155] /*v[410:411]*/ neg_lo:[0,0,1] neg_hi:[0,0,1]
	s_set_vgpr_msb 0                        ;  msbs: dst=0 src0=0 src1=0 src2=0
	v_add3_u32 v36, v36, v56, v58
	s_set_vgpr_msb 5                        ;  msbs: dst=0 src0=1 src1=1 src2=0
	v_mul_i32_i24_e32 v56, v209 /*v465*/, v69 /*v325*/
	s_set_vgpr_msb 0                        ;  msbs: dst=0 src0=0 src1=0 src2=0
	v_add3_u32 v52, v52, v53, v54
	s_set_vgpr_msb 5                        ;  msbs: dst=0 src0=1 src1=1 src2=0
	v_mul_i32_i24_e32 v53, v206 /*v462*/, v65 /*v321*/
	v_mul_i32_i24_e32 v54, v207 /*v463*/, v67 /*v323*/
	s_set_vgpr_msb 0                        ;  msbs: dst=0 src0=0 src1=0 src2=0
	v_add3_u32 v36, v36, v61, v67
	s_set_vgpr_msb 5                        ;  msbs: dst=0 src0=1 src1=1 src2=0
	v_mul_i32_i24_e32 v86, v186 /*v442*/, v45 /*v301*/
	v_mul_i32_i24_e32 v92, v187 /*v443*/, v46 /*v302*/
	;; [unrolled: 1-line block ×3, first 2 shown]
	s_set_vgpr_msb 0                        ;  msbs: dst=0 src0=0 src1=0 src2=0
	v_add3_u32 v52, v52, v53, v54
	v_add3_u32 v36, v36, v69, v71
	s_set_vgpr_msb 5                        ;  msbs: dst=0 src0=1 src1=1 src2=0
	v_mul_i32_i24_e32 v61, v211 /*v467*/, v71 /*v327*/
	s_set_vgpr_msb 4                        ;  msbs: dst=0 src0=0 src1=1 src2=0
	v_pk_add_f32 v[34:35], v[34:35], v[150:151] /*v[406:407]*/
	s_set_vgpr_msb 0x45                     ;  msbs: dst=1 src0=1 src1=1 src2=0
	v_mul_i32_i24_e32 v150 /*v406*/, v189 /*v445*/, v48 /*v304*/
	s_set_vgpr_msb 0                        ;  msbs: dst=0 src0=0 src1=0 src2=0
	v_add3_u32 v52, v52, v55, v56
	v_add3_u32 v36, v36, v82, v84
	s_set_vgpr_msb 5                        ;  msbs: dst=0 src0=1 src1=1 src2=0
	v_mul_i32_i24_e32 v67, v212 /*v468*/, v68 /*v324*/
	v_mul_i32_i24_e32 v69, v213 /*v469*/, v73 /*v329*/
	s_set_vgpr_msb 0x45                     ;  msbs: dst=1 src0=1 src1=1 src2=0
	v_mul_i32_i24_e32 v151 /*v407*/, v50 /*v306*/, v190 /*v446*/
	s_set_vgpr_msb 0                        ;  msbs: dst=0 src0=0 src1=0 src2=0
	v_add3_u32 v52, v52, v58, v61
	v_add3_u32 v36, v36, v86, v92
	s_set_vgpr_msb 5                        ;  msbs: dst=0 src0=1 src1=1 src2=0
	v_mul_i32_i24_e32 v71, v214 /*v470*/, v74 /*v330*/
	v_mul_i32_i24_e32 v82, v215 /*v471*/, v75 /*v331*/
	s_set_vgpr_msb 0x45                     ;  msbs: dst=1 src0=1 src1=1 src2=0
	v_mul_i32_i24_e32 v154 /*v410*/, v52 /*v308*/, v192 /*v448*/
	s_set_vgpr_msb 0                        ;  msbs: dst=0 src0=0 src1=0 src2=0
	v_add3_u32 v52, v52, v67, v69
	s_set_vgpr_msb 20                       ;  msbs: dst=0 src0=0 src1=1 src2=1
	v_add3_u32 v36, v36, v146 /*v402*/, v150 /*v406*/
	s_set_vgpr_msb 0x45                     ;  msbs: dst=1 src0=1 src1=1 src2=0
	v_mul_i32_i24_e32 v155 /*v411*/, v51 /*v307*/, v193 /*v449*/
	s_set_vgpr_msb 5                        ;  msbs: dst=0 src0=1 src1=1 src2=0
	v_mul_i32_i24_e32 v84, v216 /*v472*/, v72 /*v328*/
	v_mul_i32_i24_e32 v86, v217 /*v473*/, v76 /*v332*/
	s_set_vgpr_msb 0                        ;  msbs: dst=0 src0=0 src1=0 src2=0
	v_add3_u32 v52, v52, v71, v82
	s_set_vgpr_msb 20                       ;  msbs: dst=0 src0=0 src1=1 src2=1
	v_add3_u32 v36, v36, v151 /*v407*/, v152 /*v408*/
	s_set_vgpr_msb 0x45                     ;  msbs: dst=1 src0=1 src1=1 src2=0
	v_mul_i32_i24_e32 v158 /*v414*/, v53 /*v309*/, v195 /*v451*/
	s_set_vgpr_msb 5                        ;  msbs: dst=0 src0=1 src1=1 src2=0
	v_mul_i32_i24_e32 v92, v218 /*v474*/, v77 /*v333*/
	s_set_vgpr_msb 0x45                     ;  msbs: dst=1 src0=1 src1=1 src2=0
	v_mul_i32_i24_e32 v146 /*v402*/, v219 /*v475*/, v78 /*v334*/
	s_set_vgpr_msb 0                        ;  msbs: dst=0 src0=0 src1=0 src2=0
	v_add3_u32 v52, v52, v84, v86
	s_set_vgpr_msb 20                       ;  msbs: dst=0 src0=0 src1=1 src2=1
	v_add3_u32 v36, v36, v154 /*v410*/, v155 /*v411*/
	s_set_vgpr_msb 0x45                     ;  msbs: dst=1 src0=1 src1=1 src2=0
	v_mul_i32_i24_e32 v159 /*v415*/, v57 /*v313*/, v196 /*v452*/
	v_mul_i32_i24_e32 v150 /*v406*/, v80 /*v336*/, v220 /*v476*/
	;; [unrolled: 1-line block ×3, first 2 shown]
	s_set_vgpr_msb 16                       ;  msbs: dst=0 src0=0 src1=0 src2=1
	v_add3_u32 v52, v52, v92, v146 /*v402*/
	s_set_vgpr_msb 20                       ;  msbs: dst=0 src0=0 src1=1 src2=1
	v_add3_u32 v36, v36, v157 /*v413*/, v158 /*v414*/
	s_set_vgpr_msb 0x45                     ;  msbs: dst=1 src0=1 src1=1 src2=0
	v_mul_i32_i24_e32 v152 /*v408*/, v81 /*v337*/, v221 /*v477*/
	v_mul_i32_i24_e32 v154 /*v410*/, v82 /*v338*/, v222 /*v478*/
	;; [unrolled: 1-line block ×3, first 2 shown]
	s_set_vgpr_msb 20                       ;  msbs: dst=0 src0=0 src1=1 src2=1
	v_add3_u32 v52, v52, v150 /*v406*/, v151 /*v407*/
	v_add3_u32 v36, v36, v159 /*v415*/, v160 /*v416*/
	s_set_vgpr_msb 0x45                     ;  msbs: dst=1 src0=1 src1=1 src2=0
	v_mul_i32_i24_e32 v157 /*v413*/, v83 /*v339*/, v181 /*v437*/
	s_set_vgpr_msb 21                       ;  msbs: dst=0 src0=1 src1=1 src2=1
	v_add3_u32 v53, v149 /*v405*/, v147 /*v403*/, v148 /*v404*/
	s_set_vgpr_msb 0x45                     ;  msbs: dst=1 src0=1 src1=1 src2=0
	v_mul_i32_i24_e32 v158 /*v414*/, v85 /*v341*/, v224 /*v480*/
	s_set_vgpr_msb 20                       ;  msbs: dst=0 src0=0 src1=1 src2=1
	v_add3_u32 v52, v52, v152 /*v408*/, v154 /*v410*/
	v_add3_u32 v36, v36, v161 /*v417*/, v162 /*v418*/
	s_set_vgpr_msb 0x45                     ;  msbs: dst=1 src0=1 src1=1 src2=0
	v_mul_i32_i24_e32 v159 /*v415*/, v86 /*v342*/, v225 /*v481*/
	s_set_vgpr_msb 4                        ;  msbs: dst=0 src0=0 src1=1 src2=0
	v_mul_lo_u32 v53, v53, v28 /*v284*/
	s_set_vgpr_msb 0x45                     ;  msbs: dst=1 src0=1 src1=1 src2=0
	v_mul_i32_i24_e32 v160 /*v416*/, v88 /*v344*/, v226 /*v482*/
	s_set_vgpr_msb 20                       ;  msbs: dst=0 src0=0 src1=1 src2=1
	v_add3_u32 v52, v52, v155 /*v411*/, v157 /*v413*/
	v_add3_u32 v36, v36, v163 /*v419*/, v164 /*v420*/
	s_set_vgpr_msb 0x45                     ;  msbs: dst=1 src0=1 src1=1 src2=0
	v_mul_i32_i24_e32 v161 /*v417*/, v87 /*v343*/, v182 /*v438*/
	v_mul_i32_i24_e32 v162 /*v418*/, v227 /*v483*/, v89 /*v345*/
	s_set_vgpr_msb 0x44                     ;  msbs: dst=1 src0=0 src1=1 src2=0
	v_pk_fma_f32 v[148:149] /*v[404:405]*/, v[108:109], v[174:175] /*v[430:431]*/, 0 op_sel_hi:[0,1,0]
	s_set_vgpr_msb 20                       ;  msbs: dst=0 src0=0 src1=1 src2=1
	v_add3_u32 v52, v52, v158 /*v414*/, v159 /*v415*/
	v_mul_lo_u32 v36, v36, v28 /*v284*/
	s_set_vgpr_msb 64                       ;  msbs: dst=1 src0=0 src1=0 src2=0
	v_cvt_f32_i32_e32 v146 /*v402*/, v53
	s_set_vgpr_msb 20                       ;  msbs: dst=0 src0=0 src1=1 src2=1
	v_add3_u32 v52, v52, v160 /*v416*/, v161 /*v417*/
	s_set_vgpr_msb 5                        ;  msbs: dst=0 src0=1 src1=1 src2=0
	v_mul_i32_i24_e32 v53, v183 /*v439*/, v26 /*v282*/
	s_set_vgpr_msb 0x54                     ;  msbs: dst=1 src0=0 src1=1 src2=1
	v_pk_fma_f32 v[148:149] /*v[404:405]*/, v[106:107], v[168:169] /*v[424:425]*/, v[148:149] /*v[404:405]*/ op_sel_hi:[0,1,1]
	s_set_vgpr_msb 20                       ;  msbs: dst=0 src0=0 src1=1 src2=1
	v_add3_u32 v52, v52, v162 /*v418*/, v165 /*v421*/
	s_set_vgpr_msb 64                       ;  msbs: dst=1 src0=0 src1=0 src2=0
	v_cvt_f32_i32_e32 v147 /*v403*/, v36
	s_set_vgpr_msb 5                        ;  msbs: dst=0 src0=1 src1=1 src2=0
	v_mul_i32_i24_e32 v36, v145 /*v401*/, v26 /*v282*/
	s_set_vgpr_msb 0x41                     ;  msbs: dst=1 src0=1 src1=0 src2=0
	v_pk_mul_f32 v[148:149] /*v[404:405]*/, v[148:149] /*v[404:405]*/, v[14:15]
	s_set_vgpr_msb 4                        ;  msbs: dst=0 src0=0 src1=1 src2=0
	v_add3_u32 v52, v52, v166 /*v422*/, v53
	s_set_vgpr_msb 0x45                     ;  msbs: dst=1 src0=1 src1=1 src2=0
	v_pk_fma_f32 v[146:147] /*v[402:403]*/, v[172:173] /*v[428:429]*/, v[146:147] /*v[402:403]*/, 0 op_sel_hi:[1,1,0]
	s_set_vgpr_msb 5                        ;  msbs: dst=0 src0=1 src1=1 src2=0
	v_add3_u32 v36, v156 /*v412*/, v153 /*v409*/, v36
	s_set_vgpr_msb 4                        ;  msbs: dst=0 src0=0 src1=1 src2=0
	v_mul_lo_u32 v52, v52, v27 /*v283*/
	s_delay_alu instid0(VALU_DEP_2) | instskip(SKIP_1) | instid1(VALU_DEP_2)
	v_mul_lo_u32 v36, v36, v27 /*v283*/
	s_set_vgpr_msb 64                       ;  msbs: dst=1 src0=0 src1=0 src2=0
	v_cvt_f32_i32_e32 v151 /*v407*/, v52
	s_delay_alu instid0(VALU_DEP_2) | instskip(SKIP_3) | instid1(VALU_DEP_2)
	v_cvt_f32_i32_e32 v150 /*v406*/, v36
	s_set_vgpr_msb 0                        ;  msbs: dst=0 src0=0 src1=0 src2=0
	v_or_b32_e32 v36, s13, v141
	s_set_vgpr_msb 0x55                     ;  msbs: dst=1 src0=1 src1=1 src2=1
	v_pk_fma_f32 v[146:147] /*v[402:403]*/, v[176:177] /*v[432:433]*/, v[150:151] /*v[406:407]*/, v[146:147] /*v[402:403]*/
	s_set_vgpr_msb 0                        ;  msbs: dst=0 src0=0 src1=0 src2=0
	s_delay_alu instid0(VALU_DEP_2) | instskip(SKIP_1) | instid1(VALU_DEP_2)
	v_lshlrev_b32_e32 v52, 2, v36
	s_set_vgpr_msb 0x51                     ;  msbs: dst=1 src0=1 src1=0 src2=1
	v_pk_fma_f32 v[146:147] /*v[402:403]*/, v[146:147] /*v[402:403]*/, v[6:7], v[148:149] /*v[404:405]*/ neg_lo:[0,0,1] neg_hi:[0,0,1]
	s_set_vgpr_msb 64                       ;  msbs: dst=1 src0=0 src1=0 src2=0
	ds_load_b128 v[148:151] /*v[404:407]*/, v52 offset:16896
	ds_load_b128 v[152:155] /*v[408:411]*/, v52 offset:16912
	;; [unrolled: 1-line block ×4, first 2 shown]
	s_set_vgpr_msb 4                        ;  msbs: dst=0 src0=0 src1=1 src2=0
	v_pk_add_f32 v[32:33], v[32:33], v[146:147] /*v[402:403]*/
	s_set_vgpr_msb 64                       ;  msbs: dst=1 src0=0 src1=0 src2=0
	v_lshrrev_b32_e32 v146 /*v402*/, 1, v36
	s_wait_dscnt 0x3
	s_set_vgpr_msb 1                        ;  msbs: dst=0 src0=1 src1=0 src2=0
	v_bfe_i32 v36, v148 /*v404*/, 0, 8
	v_bfe_i32 v52, v148 /*v404*/, 8, 8
	;; [unrolled: 1-line block ×3, first 2 shown]
	s_set_vgpr_msb 4                        ;  msbs: dst=0 src0=0 src1=1 src2=0
	v_dual_ashrrev_i32 v54, 24, v148 /*v404*/ :: v_dual_ashrrev_i32 v61, 24, v149 /*v405*/
	v_ashrrev_i32_e32 v82, 24, v150 /*v406*/
	s_set_vgpr_msb 1                        ;  msbs: dst=0 src0=1 src1=0 src2=0
	v_bfe_i32 v67, v150 /*v406*/, 0, 8
	v_bfe_i32 v69, v150 /*v406*/, 8, 8
	;; [unrolled: 1-line block ×3, first 2 shown]
	s_set_vgpr_msb 64                       ;  msbs: dst=1 src0=0 src1=0 src2=0
	v_mul_i32_i24_e32 v150 /*v406*/, v36, v119
	s_set_vgpr_msb 1                        ;  msbs: dst=0 src0=1 src1=0 src2=0
	v_bfe_i32 v55, v149 /*v405*/, 0, 8
	v_bfe_i32 v56, v149 /*v405*/, 8, 8
	;; [unrolled: 1-line block ×6, first 2 shown]
	s_set_vgpr_msb 0x44                     ;  msbs: dst=1 src0=0 src1=1 src2=0
	v_ashrrev_i32_e32 v147 /*v403*/, 24, v151 /*v407*/
	s_wait_dscnt 0x2
	s_set_vgpr_msb 0x41                     ;  msbs: dst=1 src0=1 src1=0 src2=0
	v_bfe_i32 v148 /*v404*/, v152 /*v408*/, 0, 8
	v_bfe_i32 v149 /*v405*/, v152 /*v408*/, 8, 8
	v_bfe_i32 v167 /*v423*/, v152 /*v408*/, 16, 8
	s_set_vgpr_msb 0x44                     ;  msbs: dst=1 src0=0 src1=1 src2=0
	v_ashrrev_i32_e32 v168 /*v424*/, 24, v152 /*v408*/
	v_mul_i32_i24_e32 v151 /*v407*/, v53, v92 /*v348*/
	v_mul_i32_i24_e32 v152 /*v408*/, v54, v93 /*v349*/
	s_set_vgpr_msb 0x50                     ;  msbs: dst=1 src0=0 src1=0 src2=1
	v_mad_i32_i24 v150 /*v406*/, v52, v118, v150 /*v406*/
	s_set_vgpr_msb 0x41                     ;  msbs: dst=1 src0=1 src1=0 src2=0
	v_bfe_i32 v172 /*v428*/, v154 /*v410*/, 0, 8
	v_bfe_i32 v173 /*v429*/, v154 /*v410*/, 8, 8
	;; [unrolled: 1-line block ×3, first 2 shown]
	s_set_vgpr_msb 0x55                     ;  msbs: dst=1 src0=1 src1=1 src2=1
	v_dual_ashrrev_i32 v175 /*v431*/, 24, v154 /*v410*/ :: v_dual_ashrrev_i32 v179 /*v435*/, 24, v155 /*v411*/
	v_add3_u32 v150 /*v406*/, v150 /*v406*/, v151 /*v407*/, v152 /*v408*/
	s_set_vgpr_msb 0x44                     ;  msbs: dst=1 src0=0 src1=1 src2=0
	v_mul_i32_i24_e32 v151 /*v407*/, v55, v94 /*v350*/
	v_mul_i32_i24_e32 v152 /*v408*/, v56, v95 /*v351*/
	s_set_vgpr_msb 0x41                     ;  msbs: dst=1 src0=1 src1=0 src2=0
	v_bfe_i32 v176 /*v432*/, v155 /*v411*/, 0, 8
	v_bfe_i32 v177 /*v433*/, v155 /*v411*/, 8, 8
	v_bfe_i32 v178 /*v434*/, v155 /*v411*/, 16, 8
	s_set_vgpr_msb 0x44                     ;  msbs: dst=1 src0=0 src1=1 src2=0
	v_mul_i32_i24_e32 v154 /*v410*/, v58, v96 /*v352*/
	v_mul_i32_i24_e32 v155 /*v411*/, v61, v97 /*v353*/
	s_set_vgpr_msb 0x55                     ;  msbs: dst=1 src0=1 src1=1 src2=1
	v_add3_u32 v150 /*v406*/, v150 /*v406*/, v151 /*v407*/, v152 /*v408*/
	s_wait_dscnt 0x1
	v_bfe_i32 v180 /*v436*/, v156 /*v412*/, 0, 8
	v_bfe_i32 v181 /*v437*/, v156 /*v412*/, 8, 8
	;; [unrolled: 1-line block ×3, first 2 shown]
	v_dual_ashrrev_i32 v156 /*v412*/, 24, v156 /*v412*/ :: v_dual_ashrrev_i32 v186 /*v442*/, 24, v157 /*v413*/
	v_bfe_i32 v183 /*v439*/, v157 /*v413*/, 0, 8
	v_bfe_i32 v184 /*v440*/, v157 /*v413*/, 8, 8
	;; [unrolled: 1-line block ×6, first 2 shown]
	v_dual_ashrrev_i32 v190 /*v446*/, 24, v158 /*v414*/ :: v_dual_ashrrev_i32 v194 /*v450*/, 24, v159 /*v415*/
	s_set_vgpr_msb 0x44                     ;  msbs: dst=1 src0=0 src1=1 src2=0
	v_mul_i32_i24_e32 v157 /*v413*/, v67, v98 /*v354*/
	v_mul_i32_i24_e32 v158 /*v414*/, v69, v99 /*v355*/
	s_set_vgpr_msb 0x55                     ;  msbs: dst=1 src0=1 src1=1 src2=1
	v_add3_u32 v150 /*v406*/, v150 /*v406*/, v154 /*v410*/, v155 /*v411*/
	s_wait_dscnt 0x0
	v_dual_ashrrev_i32 v198 /*v454*/, 24, v160 /*v416*/ :: v_dual_ashrrev_i32 v202 /*v458*/, 24, v161 /*v417*/
	v_bfe_i32 v199 /*v455*/, v161 /*v417*/, 0, 8
	v_bfe_i32 v200 /*v456*/, v161 /*v417*/, 8, 8
	;; [unrolled: 1-line block ×6, first 2 shown]
	v_dual_ashrrev_i32 v206 /*v462*/, 24, v162 /*v418*/ :: v_dual_ashrrev_i32 v145 /*v401*/, 24, v163 /*v419*/
	s_set_vgpr_msb 0x44                     ;  msbs: dst=1 src0=0 src1=1 src2=0
	v_mul_i32_i24_e32 v161 /*v417*/, v71, v100 /*v356*/
	v_mul_i32_i24_e32 v162 /*v418*/, v82, v101 /*v357*/
	s_set_vgpr_msb 0x55                     ;  msbs: dst=1 src0=1 src1=1 src2=1
	v_add3_u32 v150 /*v406*/, v150 /*v406*/, v157 /*v413*/, v158 /*v414*/
	v_bfe_i32 v207 /*v463*/, v163 /*v419*/, 0, 8
	v_bfe_i32 v208 /*v464*/, v163 /*v419*/, 8, 8
	;; [unrolled: 1-line block ×3, first 2 shown]
	s_set_vgpr_msb 0x44                     ;  msbs: dst=1 src0=0 src1=1 src2=0
	v_mul_i32_i24_e32 v163 /*v419*/, v84, v102 /*v358*/
	v_mul_i32_i24_e32 v164 /*v420*/, v86, v103 /*v359*/
	s_set_vgpr_msb 0x55                     ;  msbs: dst=1 src0=1 src1=1 src2=1
	v_add3_u32 v150 /*v406*/, v150 /*v406*/, v161 /*v417*/, v162 /*v418*/
	v_bfe_i32 v169 /*v425*/, v153 /*v409*/, 0, 8
	v_bfe_i32 v170 /*v426*/, v153 /*v409*/, 8, 8
	;; [unrolled: 1-line block ×3, first 2 shown]
	v_ashrrev_i32_e32 v153 /*v409*/, 24, v153 /*v409*/
	s_set_vgpr_msb 0x44                     ;  msbs: dst=1 src0=0 src1=1 src2=0
	v_mul_i32_i24_e32 v165 /*v421*/, v92, v104 /*v360*/
	s_set_vgpr_msb 0x55                     ;  msbs: dst=1 src0=1 src1=1 src2=1
	v_mul_i32_i24_e32 v166 /*v422*/, v147 /*v403*/, v105 /*v361*/
	v_add3_u32 v150 /*v406*/, v150 /*v406*/, v163 /*v419*/, v164 /*v420*/
	v_mul_i32_i24_e32 v210 /*v466*/, v148 /*v404*/, v106 /*v362*/
	v_mul_i32_i24_e32 v211 /*v467*/, v149 /*v405*/, v107 /*v363*/
	v_mul_i32_i24_e32 v212 /*v468*/, v167 /*v423*/, v108 /*v364*/
	v_mul_i32_i24_e32 v213 /*v469*/, v168 /*v424*/, v109 /*v365*/
	v_add3_u32 v150 /*v406*/, v150 /*v406*/, v165 /*v421*/, v166 /*v422*/
	v_mul_i32_i24_e32 v214 /*v470*/, v111 /*v367*/, v169 /*v425*/
	v_mul_i32_i24_e32 v215 /*v471*/, v110 /*v366*/, v170 /*v426*/
	v_mul_i32_i24_e32 v216 /*v472*/, v113 /*v369*/, v171 /*v427*/
	;; [unrolled: 5-line block ×4, first 2 shown]
	v_mul_i32_i24_e32 v152 /*v408*/, v123 /*v379*/, v156 /*v412*/
	v_add3_u32 v150 /*v406*/, v150 /*v406*/, v214 /*v470*/, v215 /*v471*/
	v_mul_i32_i24_e32 v154 /*v410*/, v133 /*v389*/, v185 /*v441*/
	v_mul_i32_i24_e32 v155 /*v411*/, v115 /*v371*/, v186 /*v442*/
	s_set_vgpr_msb 0x44                     ;  msbs: dst=1 src0=0 src1=1 src2=0
	v_mul_i32_i24_e32 v157 /*v413*/, v114, v187 /*v443*/
	s_set_vgpr_msb 0x55                     ;  msbs: dst=1 src0=1 src1=1 src2=1
	v_mul_i32_i24_e32 v158 /*v414*/, v136 /*v392*/, v188 /*v444*/
	v_add3_u32 v150 /*v406*/, v150 /*v406*/, v216 /*v472*/, v217 /*v473*/
	v_bfe_i32 v191 /*v447*/, v159 /*v415*/, 0, 8
	v_bfe_i32 v192 /*v448*/, v159 /*v415*/, 8, 8
	v_mul_i32_i24_e32 v161 /*v417*/, v135 /*v391*/, v189 /*v445*/
	v_mul_i32_i24_e32 v163 /*v419*/, v116 /*v372*/, v190 /*v446*/
	v_add3_u32 v150 /*v406*/, v150 /*v406*/, v218 /*v474*/, v219 /*v475*/
	v_bfe_i32 v193 /*v449*/, v159 /*v415*/, 16, 8
	s_set_vgpr_msb 0x44                     ;  msbs: dst=1 src0=0 src1=1 src2=0
	v_mul_i32_i24_e32 v164 /*v420*/, v115, v191 /*v447*/
	s_set_vgpr_msb 0x55                     ;  msbs: dst=1 src0=1 src1=1 src2=1
	v_mul_i32_i24_e32 v166 /*v422*/, v138 /*v394*/, v192 /*v448*/
	v_bfe_i32 v195 /*v451*/, v160 /*v416*/, 0, 8
	v_add3_u32 v150 /*v406*/, v150 /*v406*/, v220 /*v476*/, v221 /*v477*/
	v_bfe_i32 v196 /*v452*/, v160 /*v416*/, 8, 8
	v_mul_i32_i24_e32 v210 /*v466*/, v137 /*v393*/, v193 /*v449*/
	v_mul_i32_i24_e32 v211 /*v467*/, v117 /*v373*/, v194 /*v450*/
	v_bfe_i32 v197 /*v453*/, v160 /*v416*/, 16, 8
	v_add3_u32 v162 /*v418*/, v150 /*v406*/, v222 /*v478*/, v223 /*v479*/
	s_set_vgpr_msb 0x44                     ;  msbs: dst=1 src0=0 src1=1 src2=0
	v_mul_i32_i24_e32 v150 /*v406*/, v116, v180 /*v436*/
	v_mul_i32_i24_e32 v212 /*v468*/, v110, v195 /*v451*/
	s_set_vgpr_msb 0x45                     ;  msbs: dst=1 src0=1 src1=1 src2=0
	v_mul_i32_i24_e32 v213 /*v469*/, v140 /*v396*/, v196 /*v452*/
	v_mul_i32_i24_e32 v214 /*v470*/, v139 /*v395*/, v197 /*v453*/
	;; [unrolled: 1-line block ×3, first 2 shown]
	s_set_vgpr_msb 0x54                     ;  msbs: dst=1 src0=0 src1=1 src2=1
	v_mad_i32_i24 v150 /*v406*/, v113, v181 /*v437*/, v150 /*v406*/
	v_mul_i32_i24_e32 v216 /*v472*/, v111, v199 /*v455*/
	s_set_vgpr_msb 0x55                     ;  msbs: dst=1 src0=1 src1=1 src2=1
	v_mul_i32_i24_e32 v217 /*v473*/, v142 /*v398*/, v200 /*v456*/
	v_mul_i32_i24_e32 v218 /*v474*/, v141 /*v397*/, v201 /*v457*/
	;; [unrolled: 1-line block ×3, first 2 shown]
	v_add3_u32 v150 /*v406*/, v150 /*v406*/, v151 /*v407*/, v152 /*v408*/
	s_set_vgpr_msb 0x44                     ;  msbs: dst=1 src0=0 src1=1 src2=0
	v_mul_i32_i24_e32 v151 /*v407*/, v117, v183 /*v439*/
	s_set_vgpr_msb 0x45                     ;  msbs: dst=1 src0=1 src1=1 src2=0
	v_mul_i32_i24_e32 v152 /*v408*/, v134 /*v390*/, v184 /*v440*/
	s_set_vgpr_msb 0x44                     ;  msbs: dst=1 src0=0 src1=1 src2=0
	v_mul_i32_i24_e32 v220 /*v476*/, v112, v203 /*v459*/
	s_set_vgpr_msb 0x55                     ;  msbs: dst=1 src0=1 src1=1 src2=1
	v_mul_i32_i24_e32 v221 /*v477*/, v144 /*v400*/, v204 /*v460*/
	v_mul_i32_i24_e32 v222 /*v478*/, v143 /*v399*/, v205 /*v461*/
	;; [unrolled: 1-line block ×3, first 2 shown]
	v_add3_u32 v150 /*v406*/, v150 /*v406*/, v151 /*v407*/, v152 /*v408*/
	v_mul_i32_i24_e32 v224 /*v480*/, v207 /*v463*/, v124 /*v380*/
	v_mul_i32_i24_e32 v225 /*v481*/, v208 /*v464*/, v126 /*v382*/
	s_set_vgpr_msb 64                       ;  msbs: dst=1 src0=0 src1=0 src2=0
	v_mul_i32_i24_e32 v151 /*v407*/, v53, v221
	v_mul_i32_i24_e32 v152 /*v408*/, v54, v222
	s_set_vgpr_msb 0x55                     ;  msbs: dst=1 src0=1 src1=1 src2=1
	v_add3_u32 v150 /*v406*/, v150 /*v406*/, v154 /*v410*/, v155 /*v411*/
	s_set_vgpr_msb 0x44                     ;  msbs: dst=1 src0=0 src1=1 src2=0
	v_mul_i32_i24_e32 v226 /*v482*/, v245, v175 /*v431*/
	s_set_vgpr_msb 0x41                     ;  msbs: dst=1 src0=1 src1=0 src2=0
	v_mul_i32_i24_e32 v227 /*v483*/, v176 /*v432*/, v251
	v_mul_i32_i24_e32 v228 /*v484*/, v177 /*v433*/, v253
	s_set_vgpr_msb 0x55                     ;  msbs: dst=1 src0=1 src1=1 src2=1
	v_mul_i32_i24_e32 v229 /*v485*/, v207 /*v463*/, v23 /*v279*/
	v_add3_u32 v150 /*v406*/, v150 /*v406*/, v157 /*v413*/, v158 /*v414*/
	s_set_vgpr_msb 64                       ;  msbs: dst=1 src0=0 src1=0 src2=0
	v_mul_i32_i24_e32 v157 /*v413*/, v58, v225
	v_mul_i32_i24_e32 v158 /*v414*/, v61, v226
	s_set_vgpr_msb 0x45                     ;  msbs: dst=1 src0=1 src1=1 src2=0
	v_mul_i32_i24_e32 v230 /*v486*/, v208 /*v464*/, v24 /*v280*/
	s_set_vgpr_msb 0x44                     ;  msbs: dst=1 src0=0 src1=1 src2=0
	v_mul_i32_i24_e32 v231 /*v487*/, v181, v175 /*v431*/
	s_set_vgpr_msb 0x55                     ;  msbs: dst=1 src0=1 src1=1 src2=1
	v_add3_u32 v150 /*v406*/, v150 /*v406*/, v161 /*v417*/, v163 /*v419*/
	s_set_vgpr_msb 64                       ;  msbs: dst=1 src0=0 src1=0 src2=0
	v_mul_i32_i24_e32 v161 /*v417*/, v67, v227
	v_mul_i32_i24_e32 v163 /*v419*/, v69, v228
	s_set_vgpr_msb 0x41                     ;  msbs: dst=1 src0=1 src1=0 src2=0
	v_mul_i32_i24_e32 v232 /*v488*/, v176 /*v432*/, v187
	v_mul_i32_i24_e32 v233 /*v489*/, v177 /*v433*/, v189
	s_set_vgpr_msb 0x55                     ;  msbs: dst=1 src0=1 src1=1 src2=1
	v_add3_u32 v150 /*v406*/, v150 /*v406*/, v164 /*v420*/, v166 /*v422*/
	s_set_vgpr_msb 64                       ;  msbs: dst=1 src0=0 src1=0 src2=0
	v_mul_i32_i24_e32 v164 /*v420*/, v71, v229
	s_set_vgpr_msb 0x45                     ;  msbs: dst=1 src0=1 src1=1 src2=0
	v_mul_i32_i24_e32 v159 /*v415*/, v178 /*v434*/, v130 /*v386*/
	v_mul_i32_i24_e32 v160 /*v416*/, v179 /*v435*/, v131 /*v387*/
	s_set_vgpr_msb 0x41                     ;  msbs: dst=1 src0=1 src1=0 src2=0
	v_mul_i32_i24_e32 v154 /*v410*/, v178 /*v434*/, v254
	s_set_vgpr_msb 0x55                     ;  msbs: dst=1 src0=1 src1=1 src2=1
	v_add3_u32 v150 /*v406*/, v150 /*v406*/, v210 /*v466*/, v211 /*v467*/
	s_set_vgpr_msb 64                       ;  msbs: dst=1 src0=0 src1=0 src2=0
	v_mul_i32_i24_e32 v210 /*v466*/, v82, v230
	v_mul_i32_i24_e32 v211 /*v467*/, v84, v231
	s_set_vgpr_msb 0x45                     ;  msbs: dst=1 src0=1 src1=1 src2=0
	v_mul_i32_i24_e32 v155 /*v411*/, v179 /*v435*/, v0 /*v256*/
	s_set_vgpr_msb 0x41                     ;  msbs: dst=1 src0=1 src1=0 src2=0
	v_mul_i32_i24_e32 v234 /*v490*/, v207 /*v463*/, v215
	s_set_vgpr_msb 0x55                     ;  msbs: dst=1 src0=1 src1=1 src2=1
	v_add3_u32 v150 /*v406*/, v150 /*v406*/, v212 /*v468*/, v213 /*v469*/
	s_set_vgpr_msb 64                       ;  msbs: dst=1 src0=0 src1=0 src2=0
	v_mul_i32_i24_e32 v212 /*v468*/, v86, v232
	v_mul_i32_i24_e32 v213 /*v469*/, v92, v233
	s_set_vgpr_msb 0x45                     ;  msbs: dst=1 src0=1 src1=1 src2=0
	v_mul_i32_i24_e32 v165 /*v421*/, v209 /*v465*/, v127 /*v383*/
	s_set_vgpr_msb 0x41                     ;  msbs: dst=1 src0=1 src1=0 src2=0
	v_mul_i32_i24_e32 v235 /*v491*/, v208 /*v464*/, v216
	s_set_vgpr_msb 0x55                     ;  msbs: dst=1 src0=1 src1=1 src2=1
	v_add3_u32 v150 /*v406*/, v150 /*v406*/, v214 /*v470*/, v215 /*v471*/
	s_set_vgpr_msb 0x41                     ;  msbs: dst=1 src0=1 src1=0 src2=0
	v_mul_i32_i24_e32 v214 /*v470*/, v147 /*v403*/, v234
	v_mul_i32_i24_e32 v215 /*v471*/, v148 /*v404*/, v235
	s_set_vgpr_msb 0x55                     ;  msbs: dst=1 src0=1 src1=1 src2=1
	v_add3_u32 v150 /*v406*/, v150 /*v406*/, v216 /*v472*/, v217 /*v473*/
	s_set_vgpr_msb 0x41                     ;  msbs: dst=1 src0=1 src1=0 src2=0
	v_mul_i32_i24_e32 v216 /*v472*/, v149 /*v405*/, v236
	;; [unrolled: 5-line block ×3, first 2 shown]
	s_set_vgpr_msb 0x44                     ;  msbs: dst=1 src0=0 src1=1 src2=0
	v_mul_i32_i24_e32 v219 /*v475*/, v240, v169 /*v425*/
	s_set_vgpr_msb 0x55                     ;  msbs: dst=1 src0=1 src1=1 src2=1
	v_add3_u32 v150 /*v406*/, v150 /*v406*/, v220 /*v476*/, v221 /*v477*/
	s_set_vgpr_msb 0x44                     ;  msbs: dst=1 src0=0 src1=1 src2=0
	v_mul_i32_i24_e32 v220 /*v476*/, v239, v170 /*v426*/
	v_mul_i32_i24_e32 v221 /*v477*/, v242, v171 /*v427*/
	s_set_vgpr_msb 0x55                     ;  msbs: dst=1 src0=1 src1=1 src2=1
	v_add3_u32 v150 /*v406*/, v150 /*v406*/, v222 /*v478*/, v223 /*v479*/
	s_set_vgpr_msb 0x44                     ;  msbs: dst=1 src0=0 src1=1 src2=0
	v_mul_i32_i24_e32 v222 /*v478*/, v241, v153 /*v409*/
	v_mul_i32_i24_e32 v223 /*v479*/, v244, v172 /*v428*/
	s_set_vgpr_msb 0x55                     ;  msbs: dst=1 src0=1 src1=1 src2=1
	v_add3_u32 v166 /*v422*/, v150 /*v406*/, v224 /*v480*/, v225 /*v481*/
	s_set_vgpr_msb 64                       ;  msbs: dst=1 src0=0 src1=0 src2=0
	v_mul_i32_i24_e32 v150 /*v406*/, v36, v220
	s_set_vgpr_msb 0x44                     ;  msbs: dst=1 src0=0 src1=1 src2=0
	v_mul_i32_i24_e32 v224 /*v480*/, v243, v173 /*v429*/
	v_mul_i32_i24_e32 v225 /*v481*/, v247, v174 /*v430*/
	s_set_vgpr_msb 0x50                     ;  msbs: dst=1 src0=0 src1=0 src2=1
	v_mad_i32_i24 v150 /*v406*/, v52, v219, v150 /*v406*/
	s_set_vgpr_msb 0x55                     ;  msbs: dst=1 src0=1 src1=1 src2=1
	s_delay_alu instid0(VALU_DEP_1) | instskip(SKIP_4) | instid1(VALU_DEP_1)
	v_add3_u32 v150 /*v406*/, v150 /*v406*/, v151 /*v407*/, v152 /*v408*/
	s_set_vgpr_msb 64                       ;  msbs: dst=1 src0=0 src1=0 src2=0
	v_mul_i32_i24_e32 v151 /*v407*/, v55, v223
	v_mul_i32_i24_e32 v152 /*v408*/, v56, v224
	s_set_vgpr_msb 0x55                     ;  msbs: dst=1 src0=1 src1=1 src2=1
	v_add3_u32 v150 /*v406*/, v150 /*v406*/, v151 /*v407*/, v152 /*v408*/
	s_set_vgpr_msb 0x41                     ;  msbs: dst=1 src0=1 src1=0 src2=0
	v_mul_i32_i24_e32 v151 /*v407*/, v182 /*v438*/, v246
	v_mul_i32_i24_e32 v152 /*v408*/, v156 /*v412*/, v252
	s_set_vgpr_msb 0x55                     ;  msbs: dst=1 src0=1 src1=1 src2=1
	v_add3_u32 v150 /*v406*/, v150 /*v406*/, v157 /*v413*/, v158 /*v414*/
	s_set_vgpr_msb 0x41                     ;  msbs: dst=1 src0=1 src1=0 src2=0
	v_mul_i32_i24_e32 v158 /*v414*/, v185 /*v441*/, v250
	s_set_vgpr_msb 0x55                     ;  msbs: dst=1 src0=1 src1=1 src2=1
	s_delay_alu instid0(VALU_DEP_2) | instskip(SKIP_2) | instid1(VALU_DEP_3)
	v_add3_u32 v150 /*v406*/, v150 /*v406*/, v161 /*v417*/, v163 /*v419*/
	v_mul_i32_i24_e32 v161 /*v417*/, v186 /*v442*/, v3 /*v259*/
	v_mul_i32_i24_e32 v163 /*v419*/, v209 /*v465*/, v25 /*v281*/
	v_add3_u32 v150 /*v406*/, v150 /*v406*/, v164 /*v420*/, v210 /*v466*/
	v_mul_i32_i24_e32 v164 /*v420*/, v187 /*v443*/, v4 /*v260*/
	v_mul_i32_i24_e32 v210 /*v466*/, v188 /*v444*/, v5 /*v261*/
	s_delay_alu instid0(VALU_DEP_3) | instskip(SKIP_2) | instid1(VALU_DEP_3)
	v_add3_u32 v150 /*v406*/, v150 /*v406*/, v211 /*v467*/, v212 /*v468*/
	v_mul_i32_i24_e32 v211 /*v467*/, v189 /*v445*/, v2 /*v258*/
	v_mul_i32_i24_e32 v212 /*v468*/, v190 /*v446*/, v7 /*v263*/
	v_add3_u32 v150 /*v406*/, v150 /*v406*/, v213 /*v469*/, v214 /*v470*/
	v_mul_i32_i24_e32 v213 /*v469*/, v191 /*v447*/, v8 /*v264*/
	v_mul_i32_i24_e32 v214 /*v470*/, v192 /*v448*/, v9 /*v265*/
	s_delay_alu instid0(VALU_DEP_3) | instskip(SKIP_2) | instid1(VALU_DEP_3)
	;; [unrolled: 7-line block ×4, first 2 shown]
	v_add3_u32 v150 /*v406*/, v150 /*v406*/, v223 /*v479*/, v224 /*v480*/
	v_mul_i32_i24_e32 v223 /*v479*/, v18 /*v274*/, v201 /*v457*/
	v_mul_i32_i24_e32 v224 /*v480*/, v17 /*v273*/, v202 /*v458*/
	v_add3_u32 v150 /*v406*/, v150 /*v406*/, v225 /*v481*/, v226 /*v482*/
	v_mul_i32_i24_e32 v225 /*v481*/, v19 /*v275*/, v203 /*v459*/
	v_mul_i32_i24_e32 v226 /*v482*/, v20 /*v276*/, v204 /*v460*/
	s_delay_alu instid0(VALU_DEP_3)
	v_add3_u32 v157 /*v413*/, v150 /*v406*/, v227 /*v483*/, v228 /*v484*/
	s_set_vgpr_msb 0x41                     ;  msbs: dst=1 src0=1 src1=0 src2=0
	v_mul_i32_i24_e32 v150 /*v406*/, v180 /*v436*/, v249
	s_set_vgpr_msb 0x55                     ;  msbs: dst=1 src0=1 src1=1 src2=1
	v_mul_i32_i24_e32 v227 /*v483*/, v22 /*v278*/, v205 /*v461*/
	v_mul_i32_i24_e32 v228 /*v484*/, v21 /*v277*/, v206 /*v462*/
	v_add3_u32 v154 /*v410*/, v157 /*v413*/, v154 /*v410*/, v155 /*v411*/
	s_set_vgpr_msb 0x51                     ;  msbs: dst=1 src0=1 src1=0 src2=1
	v_mad_i32_i24 v150 /*v406*/, v181 /*v437*/, v248, v150 /*v406*/
	s_delay_alu instid0(VALU_DEP_2) | instskip(SKIP_1) | instid1(VALU_DEP_2)
	v_mul_lo_u32 v154 /*v410*/, v154 /*v410*/, v218
	s_set_vgpr_msb 0x55                     ;  msbs: dst=1 src0=1 src1=1 src2=1
	v_add3_u32 v150 /*v406*/, v150 /*v406*/, v151 /*v407*/, v152 /*v408*/
	s_set_vgpr_msb 0x41                     ;  msbs: dst=1 src0=1 src1=0 src2=0
	v_mul_i32_i24_e32 v151 /*v407*/, v183 /*v439*/, v255
	s_set_vgpr_msb 0x55                     ;  msbs: dst=1 src0=1 src1=1 src2=1
	v_mul_i32_i24_e32 v152 /*v408*/, v184 /*v440*/, v1 /*v257*/
	s_delay_alu instid0(VALU_DEP_1)
	v_add3_u32 v150 /*v406*/, v150 /*v406*/, v151 /*v407*/, v152 /*v408*/
	s_set_vgpr_msb 64                       ;  msbs: dst=1 src0=0 src1=0 src2=0
	v_mul_i32_i24_e32 v151 /*v407*/, v53, v124
	v_mul_i32_i24_e32 v152 /*v408*/, v54, v158
	s_set_vgpr_msb 4                        ;  msbs: dst=0 src0=0 src1=1 src2=0
	v_mul_i32_i24_e32 v53, v53, v31 /*v287*/
	v_mul_i32_i24_e32 v54, v54, v32 /*v288*/
	s_set_vgpr_msb 0x55                     ;  msbs: dst=1 src0=1 src1=1 src2=1
	v_add3_u32 v150 /*v406*/, v150 /*v406*/, v158 /*v414*/, v161 /*v417*/
	s_set_vgpr_msb 64                       ;  msbs: dst=1 src0=0 src1=0 src2=0
	v_mul_i32_i24_e32 v158 /*v414*/, v55, v159
	v_mul_i32_i24_e32 v161 /*v417*/, v56, v160
	s_set_vgpr_msb 0x55                     ;  msbs: dst=1 src0=1 src1=1 src2=1
	v_cvt_f32_i32_e32 v154 /*v410*/, v154 /*v410*/
	v_add3_u32 v150 /*v406*/, v150 /*v406*/, v164 /*v420*/, v210 /*v466*/
	s_set_vgpr_msb 64                       ;  msbs: dst=1 src0=0 src1=0 src2=0
	v_mul_i32_i24_e32 v210 /*v466*/, v58, v161
	s_set_vgpr_msb 0x55                     ;  msbs: dst=1 src0=1 src1=1 src2=1
	s_delay_alu instid0(VALU_DEP_2)
	v_add3_u32 v150 /*v406*/, v150 /*v406*/, v211 /*v467*/, v212 /*v468*/
	s_set_vgpr_msb 64                       ;  msbs: dst=1 src0=0 src1=0 src2=0
	v_mul_i32_i24_e32 v211 /*v467*/, v61, v162
	v_mul_i32_i24_e32 v212 /*v468*/, v67, v163
	s_set_vgpr_msb 0x55                     ;  msbs: dst=1 src0=1 src1=1 src2=1
	v_add3_u32 v150 /*v406*/, v150 /*v406*/, v213 /*v469*/, v214 /*v470*/
	s_set_vgpr_msb 64                       ;  msbs: dst=1 src0=0 src1=0 src2=0
	v_mul_i32_i24_e32 v213 /*v469*/, v69, v164
	v_mul_i32_i24_e32 v214 /*v470*/, v71, v165
	s_set_vgpr_msb 0x55                     ;  msbs: dst=1 src0=1 src1=1 src2=1
	;; [unrolled: 5-line block ×4, first 2 shown]
	v_add3_u32 v150 /*v406*/, v150 /*v406*/, v219 /*v475*/, v220 /*v476*/
	s_set_vgpr_msb 0x41                     ;  msbs: dst=1 src0=1 src1=0 src2=0
	v_mul_i32_i24_e32 v219 /*v475*/, v147 /*v403*/, v170
	v_mul_i32_i24_e32 v220 /*v476*/, v148 /*v404*/, v171
	s_set_vgpr_msb 0x55                     ;  msbs: dst=1 src0=1 src1=1 src2=1
	v_add3_u32 v150 /*v406*/, v150 /*v406*/, v221 /*v477*/, v222 /*v478*/
	s_set_vgpr_msb 0x41                     ;  msbs: dst=1 src0=1 src1=0 src2=0
	v_mul_i32_i24_e32 v221 /*v477*/, v149 /*v405*/, v172
	v_mul_i32_i24_e32 v222 /*v478*/, v167 /*v423*/, v173
	s_set_vgpr_msb 0x55                     ;  msbs: dst=1 src0=1 src1=1 src2=1
	v_add3_u32 v150 /*v406*/, v150 /*v406*/, v223 /*v479*/, v224 /*v480*/
	s_set_vgpr_msb 0x41                     ;  msbs: dst=1 src0=1 src1=0 src2=0
	v_mul_i32_i24_e32 v223 /*v479*/, v168 /*v424*/, v174
	s_set_vgpr_msb 0x44                     ;  msbs: dst=1 src0=0 src1=1 src2=0
	v_mul_i32_i24_e32 v224 /*v480*/, v176, v169 /*v425*/
	s_set_vgpr_msb 0x55                     ;  msbs: dst=1 src0=1 src1=1 src2=1
	v_add3_u32 v150 /*v406*/, v150 /*v406*/, v225 /*v481*/, v226 /*v482*/
	s_set_vgpr_msb 0x44                     ;  msbs: dst=1 src0=0 src1=1 src2=0
	v_mul_i32_i24_e32 v225 /*v481*/, v175, v170 /*v426*/
	v_mul_i32_i24_e32 v226 /*v482*/, v178, v171 /*v427*/
	s_set_vgpr_msb 0x55                     ;  msbs: dst=1 src0=1 src1=1 src2=1
	v_add3_u32 v150 /*v406*/, v150 /*v406*/, v227 /*v483*/, v228 /*v484*/
	s_set_vgpr_msb 0x44                     ;  msbs: dst=1 src0=0 src1=1 src2=0
	v_mul_i32_i24_e32 v227 /*v483*/, v177, v153 /*v409*/
	s_set_vgpr_msb 0x45                     ;  msbs: dst=1 src0=1 src1=1 src2=0
	v_mul_i32_i24_e32 v153 /*v409*/, v51 /*v307*/, v153 /*v409*/
	s_set_vgpr_msb 0x44                     ;  msbs: dst=1 src0=0 src1=1 src2=0
	v_mul_i32_i24_e32 v228 /*v484*/, v180, v172 /*v428*/
	s_set_vgpr_msb 0x55                     ;  msbs: dst=1 src0=1 src1=1 src2=1
	v_add3_u32 v164 /*v420*/, v150 /*v406*/, v229 /*v485*/, v230 /*v486*/
	s_set_vgpr_msb 64                       ;  msbs: dst=1 src0=0 src1=0 src2=0
	v_mul_i32_i24_e32 v150 /*v406*/, v36, v122
	s_set_vgpr_msb 4                        ;  msbs: dst=0 src0=0 src1=1 src2=0
	v_mul_i32_i24_e32 v36, v36, v30 /*v286*/
	s_set_vgpr_msb 0x44                     ;  msbs: dst=1 src0=0 src1=1 src2=0
	v_mul_i32_i24_e32 v229 /*v485*/, v179, v173 /*v429*/
	v_mul_i32_i24_e32 v230 /*v486*/, v183, v174 /*v430*/
	s_set_vgpr_msb 0x50                     ;  msbs: dst=1 src0=0 src1=0 src2=1
	v_mad_i32_i24 v150 /*v406*/, v52, v120, v150 /*v406*/
	s_set_vgpr_msb 4                        ;  msbs: dst=0 src0=0 src1=1 src2=0
	v_mad_i32_i24 v36, v52, v29 /*v285*/, v36
	v_mul_i32_i24_e32 v52, v55, v33 /*v289*/
	v_mul_i32_i24_e32 v55, v61, v36 /*v292*/
	;; [unrolled: 1-line block ×4, first 2 shown]
	s_set_vgpr_msb 0                        ;  msbs: dst=0 src0=0 src1=0 src2=0
	v_add3_u32 v36, v36, v53, v54
	s_set_vgpr_msb 4                        ;  msbs: dst=0 src0=0 src1=1 src2=0
	v_mul_i32_i24_e32 v53, v56, v34 /*v290*/
	v_mul_i32_i24_e32 v54, v58, v35 /*v291*/
	;; [unrolled: 1-line block ×5, first 2 shown]
	s_set_vgpr_msb 0                        ;  msbs: dst=0 src0=0 src1=0 src2=0
	v_add3_u32 v36, v36, v52, v53
	s_set_vgpr_msb 4                        ;  msbs: dst=0 src0=0 src1=1 src2=0
	v_mul_i32_i24_e32 v69, v84, v41 /*v297*/
	v_mul_i32_i24_e32 v82, v92, v43 /*v299*/
	s_set_vgpr_msb 5                        ;  msbs: dst=0 src0=1 src1=1 src2=0
	v_mul_i32_i24_e32 v84, v147 /*v403*/, v44 /*v300*/
	v_mul_i32_i24_e32 v86, v148 /*v404*/, v45 /*v301*/
	s_set_vgpr_msb 0                        ;  msbs: dst=0 src0=0 src1=0 src2=0
	v_add3_u32 v36, v36, v54, v55
	s_set_vgpr_msb 5                        ;  msbs: dst=0 src0=1 src1=1 src2=0
	v_mul_i32_i24_e32 v92, v149 /*v405*/, v46 /*v302*/
	s_set_vgpr_msb 0x45                     ;  msbs: dst=1 src0=1 src1=1 src2=0
	v_mul_i32_i24_e32 v149 /*v405*/, v167 /*v423*/, v47 /*v303*/
	v_mul_i32_i24_e32 v167 /*v423*/, v168 /*v424*/, v48 /*v304*/
	;; [unrolled: 1-line block ×3, first 2 shown]
	s_set_vgpr_msb 0                        ;  msbs: dst=0 src0=0 src1=0 src2=0
	v_add3_u32 v36, v36, v56, v58
	s_set_vgpr_msb 0x45                     ;  msbs: dst=1 src0=1 src1=1 src2=0
	v_mul_i32_i24_e32 v169 /*v425*/, v49 /*v305*/, v170 /*v426*/
	v_mul_i32_i24_e32 v170 /*v426*/, v52 /*v308*/, v171 /*v427*/
	;; [unrolled: 1-line block ×4, first 2 shown]
	s_set_vgpr_msb 0                        ;  msbs: dst=0 src0=0 src1=0 src2=0
	v_add3_u32 v36, v36, v61, v67
	s_set_vgpr_msb 0x45                     ;  msbs: dst=1 src0=1 src1=1 src2=0
	v_mul_i32_i24_e32 v173 /*v429*/, v57 /*v313*/, v174 /*v430*/
	v_mul_i32_i24_e32 v174 /*v430*/, v55 /*v311*/, v175 /*v431*/
	;; [unrolled: 1-line block ×4, first 2 shown]
	s_set_vgpr_msb 0                        ;  msbs: dst=0 src0=0 src1=0 src2=0
	v_add3_u32 v36, v36, v69, v71
	s_set_vgpr_msb 5                        ;  msbs: dst=0 src0=1 src1=1 src2=0
	v_mul_i32_i24_e32 v52, v182 /*v438*/, v56 /*v312*/
	v_mul_i32_i24_e32 v53, v156 /*v412*/, v62 /*v318*/
	;; [unrolled: 1-line block ×4, first 2 shown]
	s_set_vgpr_msb 0                        ;  msbs: dst=0 src0=0 src1=0 src2=0
	v_add3_u32 v36, v36, v82, v84
	s_set_vgpr_msb 5                        ;  msbs: dst=0 src0=1 src1=1 src2=0
	v_mul_i32_i24_e32 v56, v187 /*v443*/, v70 /*v326*/
	v_mul_i32_i24_e32 v58, v188 /*v444*/, v71 /*v327*/
	;; [unrolled: 1-line block ×4, first 2 shown]
	s_set_vgpr_msb 0                        ;  msbs: dst=0 src0=0 src1=0 src2=0
	v_add3_u32 v36, v36, v86, v92
	s_set_vgpr_msb 5                        ;  msbs: dst=0 src0=1 src1=1 src2=0
	v_mul_i32_i24_e32 v69, v191 /*v447*/, v74 /*v330*/
	v_mul_i32_i24_e32 v71, v192 /*v448*/, v75 /*v331*/
	s_set_vgpr_msb 0x55                     ;  msbs: dst=1 src0=1 src1=1 src2=1
	v_add3_u32 v152 /*v408*/, v150 /*v406*/, v151 /*v407*/, v152 /*v408*/
	s_set_vgpr_msb 5                        ;  msbs: dst=0 src0=1 src1=1 src2=0
	v_mul_i32_i24_e32 v82, v193 /*v449*/, v72 /*v328*/
	s_set_vgpr_msb 20                       ;  msbs: dst=0 src0=0 src1=1 src2=1
	v_add3_u32 v36, v36, v149 /*v405*/, v167 /*v423*/
	s_set_vgpr_msb 5                        ;  msbs: dst=0 src0=1 src1=1 src2=0
	v_mul_i32_i24_e32 v84, v194 /*v450*/, v76 /*v332*/
	v_mul_i32_i24_e32 v86, v195 /*v451*/, v77 /*v333*/
	s_set_vgpr_msb 0x55                     ;  msbs: dst=1 src0=1 src1=1 src2=1
	v_add3_u32 v152 /*v408*/, v152 /*v408*/, v158 /*v414*/, v161 /*v417*/
	s_set_vgpr_msb 5                        ;  msbs: dst=0 src0=1 src1=1 src2=0
	v_mul_i32_i24_e32 v92, v196 /*v452*/, v78 /*v334*/
	s_set_vgpr_msb 20                       ;  msbs: dst=0 src0=0 src1=1 src2=1
	v_add3_u32 v36, v36, v168 /*v424*/, v169 /*v425*/
	s_set_vgpr_msb 0x55                     ;  msbs: dst=1 src0=1 src1=1 src2=1
	v_mul_i32_i24_e32 v167 /*v423*/, v79 /*v335*/, v198 /*v454*/
	v_mul_i32_i24_e32 v168 /*v424*/, v81 /*v337*/, v199 /*v455*/
	v_add3_u32 v152 /*v408*/, v152 /*v408*/, v210 /*v466*/, v211 /*v467*/
	s_set_vgpr_msb 0x41                     ;  msbs: dst=1 src0=1 src1=0 src2=0
	v_mul_i32_i24_e32 v210 /*v466*/, v156 /*v412*/, v188
	s_set_vgpr_msb 20                       ;  msbs: dst=0 src0=0 src1=1 src2=1
	v_add3_u32 v36, v36, v170 /*v426*/, v153 /*v409*/
	s_set_vgpr_msb 0x45                     ;  msbs: dst=1 src0=1 src1=1 src2=0
	v_mul_i32_i24_e32 v156 /*v412*/, v80 /*v336*/, v197 /*v453*/
	v_mul_i32_i24_e32 v169 /*v425*/, v82 /*v338*/, v200 /*v456*/
	;; [unrolled: 1-line block ×4, first 2 shown]
	s_set_vgpr_msb 20                       ;  msbs: dst=0 src0=0 src1=1 src2=1
	v_add3_u32 v36, v36, v171 /*v427*/, v172 /*v428*/
	s_set_vgpr_msb 0x55                     ;  msbs: dst=1 src0=1 src1=1 src2=1
	v_mul_i32_i24_e32 v171 /*v427*/, v83 /*v339*/, v202 /*v458*/
	v_mul_i32_i24_e32 v172 /*v428*/, v85 /*v341*/, v203 /*v459*/
	v_add3_u32 v152 /*v408*/, v152 /*v408*/, v212 /*v468*/, v213 /*v469*/
	s_set_vgpr_msb 0x41                     ;  msbs: dst=1 src0=1 src1=0 src2=0
	v_mul_i32_i24_e32 v158 /*v414*/, v180 /*v436*/, v185
	s_set_vgpr_msb 20                       ;  msbs: dst=0 src0=0 src1=1 src2=1
	v_add3_u32 v36, v36, v173 /*v429*/, v174 /*v430*/
	s_set_vgpr_msb 0x55                     ;  msbs: dst=1 src0=1 src1=1 src2=1
	v_mul_i32_i24_e32 v173 /*v429*/, v86 /*v342*/, v204 /*v460*/
	v_mul_i32_i24_e32 v174 /*v430*/, v88 /*v344*/, v205 /*v461*/
	v_add3_u32 v152 /*v408*/, v152 /*v408*/, v214 /*v470*/, v215 /*v471*/
	s_set_vgpr_msb 0x41                     ;  msbs: dst=1 src0=1 src1=0 src2=0
	v_mul_i32_i24_e32 v161 /*v417*/, v182 /*v438*/, v182
	s_set_vgpr_msb 0x54                     ;  msbs: dst=1 src0=0 src1=1 src2=1
	v_add3_u32 v149 /*v405*/, v36, v175 /*v431*/, v176 /*v432*/
	s_set_vgpr_msb 5                        ;  msbs: dst=0 src0=1 src1=1 src2=0
	v_mul_i32_i24_e32 v36, v180 /*v436*/, v59 /*v315*/
	s_set_vgpr_msb 0x45                     ;  msbs: dst=1 src0=1 src1=1 src2=0
	v_mul_i32_i24_e32 v175 /*v431*/, v87 /*v343*/, v206 /*v462*/
	v_mul_i32_i24_e32 v176 /*v432*/, v207 /*v463*/, v89 /*v345*/
	s_set_vgpr_msb 0x51                     ;  msbs: dst=1 src0=1 src1=0 src2=1
	v_mad_i32_i24 v158 /*v414*/, v181 /*v437*/, v184, v158 /*v414*/
	s_set_vgpr_msb 0x55                     ;  msbs: dst=1 src0=1 src1=1 src2=1
	v_add3_u32 v152 /*v408*/, v152 /*v408*/, v216 /*v472*/, v217 /*v473*/
	s_set_vgpr_msb 5                        ;  msbs: dst=0 src0=1 src1=1 src2=0
	v_mad_i32_i24 v36, v181 /*v437*/, v58 /*v314*/, v36
	s_set_vgpr_msb 0x41                     ;  msbs: dst=1 src0=1 src1=0 src2=0
	v_mul_i32_i24_e32 v150 /*v406*/, v178 /*v434*/, v190
	v_mul_i32_i24_e32 v151 /*v407*/, v179 /*v435*/, v192
	s_set_vgpr_msb 0x55                     ;  msbs: dst=1 src0=1 src1=1 src2=1
	v_add3_u32 v161 /*v417*/, v158 /*v414*/, v161 /*v417*/, v210 /*v466*/
	s_set_vgpr_msb 0x41                     ;  msbs: dst=1 src0=1 src1=0 src2=0
	v_mul_i32_i24_e32 v210 /*v466*/, v183 /*v439*/, v191
	s_set_vgpr_msb 0                        ;  msbs: dst=0 src0=0 src1=0 src2=0
	v_add3_u32 v36, v36, v52, v53
	s_set_vgpr_msb 5                        ;  msbs: dst=0 src0=1 src1=1 src2=0
	v_mul_i32_i24_e32 v52, v183 /*v439*/, v65 /*v321*/
	v_mul_i32_i24_e32 v53, v184 /*v440*/, v67 /*v323*/
	s_set_vgpr_msb 0x55                     ;  msbs: dst=1 src0=1 src1=1 src2=1
	v_mul_i32_i24_e32 v147 /*v403*/, v178 /*v434*/, v64 /*v320*/
	v_mul_i32_i24_e32 v148 /*v404*/, v179 /*v435*/, v66 /*v322*/
	v_add3_u32 v152 /*v408*/, v152 /*v408*/, v218 /*v474*/, v219 /*v475*/
	s_set_vgpr_msb 0x41                     ;  msbs: dst=1 src0=1 src1=0 src2=0
	v_mul_i32_i24_e32 v211 /*v467*/, v184 /*v440*/, v193
	s_set_vgpr_msb 0                        ;  msbs: dst=0 src0=0 src1=0 src2=0
	v_add3_u32 v36, v36, v52, v53
	s_set_vgpr_msb 0x41                     ;  msbs: dst=1 src0=1 src1=0 src2=0
	v_mul_i32_i24_e32 v212 /*v468*/, v185 /*v441*/, v186
	v_mul_i32_i24_e32 v213 /*v469*/, v186 /*v442*/, v195
	s_set_vgpr_msb 0x55                     ;  msbs: dst=1 src0=1 src1=1 src2=1
	v_add3_u32 v152 /*v408*/, v152 /*v408*/, v220 /*v476*/, v221 /*v477*/
	v_add3_u32 v161 /*v417*/, v161 /*v417*/, v210 /*v466*/, v211 /*v467*/
	s_set_vgpr_msb 0                        ;  msbs: dst=0 src0=0 src1=0 src2=0
	v_add3_u32 v36, v36, v54, v55
	s_set_vgpr_msb 0x41                     ;  msbs: dst=1 src0=1 src1=0 src2=0
	v_mul_i32_i24_e32 v214 /*v470*/, v187 /*v443*/, v196
	v_mul_i32_i24_e32 v215 /*v471*/, v188 /*v444*/, v197
	s_set_vgpr_msb 0x55                     ;  msbs: dst=1 src0=1 src1=1 src2=1
	v_add3_u32 v152 /*v408*/, v152 /*v408*/, v222 /*v478*/, v223 /*v479*/
	v_add3_u32 v161 /*v417*/, v161 /*v417*/, v212 /*v468*/, v213 /*v469*/
	;; [unrolled: 8-line block ×4, first 2 shown]
	s_set_vgpr_msb 0                        ;  msbs: dst=0 src0=0 src1=0 src2=0
	v_add3_u32 v36, v36, v69, v71
	s_set_vgpr_msb 0x41                     ;  msbs: dst=1 src0=1 src1=0 src2=0
	v_mul_i32_i24_e32 v220 /*v476*/, v193 /*v449*/, v198
	v_mul_i32_i24_e32 v221 /*v477*/, v194 /*v450*/, v202
	s_set_vgpr_msb 0x55                     ;  msbs: dst=1 src0=1 src1=1 src2=1
	v_add3_u32 v152 /*v408*/, v152 /*v408*/, v228 /*v484*/, v229 /*v485*/
	s_set_vgpr_msb 0x44                     ;  msbs: dst=1 src0=0 src1=1 src2=0
	v_mul_i32_i24_e32 v229 /*v485*/, v209, v202 /*v458*/
	s_set_vgpr_msb 0                        ;  msbs: dst=0 src0=0 src1=0 src2=0
	v_add3_u32 v36, v36, v82, v84
	s_set_vgpr_msb 0x44                     ;  msbs: dst=1 src0=0 src1=1 src2=0
	v_mul_i32_i24_e32 v228 /*v484*/, v210, v201 /*v457*/
	s_set_vgpr_msb 0x55                     ;  msbs: dst=1 src0=1 src1=1 src2=1
	v_add3_u32 v161 /*v417*/, v161 /*v417*/, v218 /*v474*/, v219 /*v475*/
	v_add3_u32 v152 /*v408*/, v152 /*v408*/, v230 /*v486*/, v231 /*v487*/
	s_set_vgpr_msb 0x44                     ;  msbs: dst=1 src0=0 src1=1 src2=0
	v_mul_i32_i24_e32 v230 /*v486*/, v211, v203 /*v459*/
	s_set_vgpr_msb 0                        ;  msbs: dst=0 src0=0 src1=0 src2=0
	v_add3_u32 v36, v36, v86, v92
	s_set_vgpr_msb 0x44                     ;  msbs: dst=1 src0=0 src1=1 src2=0
	v_mul_i32_i24_e32 v231 /*v487*/, v212, v204 /*v460*/
	s_set_vgpr_msb 0x41                     ;  msbs: dst=1 src0=1 src1=0 src2=0
	v_mul_i32_i24_e32 v222 /*v478*/, v195 /*v451*/, v203
	s_set_vgpr_msb 0x55                     ;  msbs: dst=1 src0=1 src1=1 src2=1
	v_add3_u32 v152 /*v408*/, v152 /*v408*/, v232 /*v488*/, v233 /*v489*/
	s_set_vgpr_msb 0x44                     ;  msbs: dst=1 src0=0 src1=1 src2=0
	v_mul_i32_i24_e32 v232 /*v488*/, v214, v205 /*v461*/
	s_set_vgpr_msb 20                       ;  msbs: dst=0 src0=0 src1=1 src2=1
	v_add3_u32 v36, v36, v156 /*v412*/, v167 /*v423*/
	s_set_vgpr_msb 0x41                     ;  msbs: dst=1 src0=1 src1=0 src2=0
	v_mul_i32_i24_e32 v223 /*v479*/, v196 /*v452*/, v204
	s_set_vgpr_msb 0x44                     ;  msbs: dst=1 src0=0 src1=1 src2=0
	v_mul_i32_i24_e32 v233 /*v489*/, v213, v206 /*v462*/
	s_set_vgpr_msb 0x55                     ;  msbs: dst=1 src0=1 src1=1 src2=1
	v_add3_u32 v161 /*v417*/, v161 /*v417*/, v220 /*v476*/, v221 /*v477*/
	s_set_vgpr_msb 0x44                     ;  msbs: dst=1 src0=0 src1=1 src2=0
	v_mul_i32_i24_e32 v224 /*v480*/, v206, v197 /*v453*/
	s_set_vgpr_msb 20                       ;  msbs: dst=0 src0=0 src1=1 src2=1
	v_add3_u32 v36, v36, v168 /*v424*/, v169 /*v425*/
	s_set_vgpr_msb 0x44                     ;  msbs: dst=1 src0=0 src1=1 src2=0
	v_mul_i32_i24_e32 v225 /*v481*/, v205, v198 /*v454*/
	s_set_vgpr_msb 0x41                     ;  msbs: dst=1 src0=1 src1=0 src2=0
	v_mul_i32_i24_e32 v158 /*v414*/, v209 /*v465*/, v217
	s_set_vgpr_msb 0x55                     ;  msbs: dst=1 src0=1 src1=1 src2=1
	v_add3_u32 v161 /*v417*/, v161 /*v417*/, v222 /*v478*/, v223 /*v479*/
	v_mul_i32_i24_e32 v153 /*v409*/, v209 /*v465*/, v91 /*v347*/
	s_set_vgpr_msb 20                       ;  msbs: dst=0 src0=0 src1=1 src2=1
	v_add3_u32 v36, v36, v170 /*v426*/, v171 /*v427*/
	s_set_vgpr_msb 0x44                     ;  msbs: dst=1 src0=0 src1=1 src2=0
	v_mul_i32_i24_e32 v226 /*v482*/, v207, v199 /*v455*/
	v_mul_i32_i24_e32 v227 /*v483*/, v208, v200 /*v456*/
	s_set_vgpr_msb 0x55                     ;  msbs: dst=1 src0=1 src1=1 src2=1
	v_add3_u32 v161 /*v417*/, v161 /*v417*/, v224 /*v480*/, v225 /*v481*/
	v_add3_u32 v150 /*v406*/, v152 /*v408*/, v150 /*v406*/, v151 /*v407*/
	s_set_vgpr_msb 20                       ;  msbs: dst=0 src0=0 src1=1 src2=1
	v_add3_u32 v36, v36, v172 /*v428*/, v173 /*v429*/
	s_set_vgpr_msb 0x55                     ;  msbs: dst=1 src0=1 src1=1 src2=1
	v_add3_u32 v161 /*v417*/, v161 /*v417*/, v226 /*v482*/, v227 /*v483*/
	s_set_vgpr_msb 0x41                     ;  msbs: dst=1 src0=1 src1=0 src2=0
	v_mul_lo_u32 v150 /*v406*/, v150 /*v406*/, v107
	s_set_vgpr_msb 20                       ;  msbs: dst=0 src0=0 src1=1 src2=1
	v_add3_u32 v36, v36, v174 /*v430*/, v175 /*v431*/
	s_set_vgpr_msb 0x55                     ;  msbs: dst=1 src0=1 src1=1 src2=1
	v_add3_u32 v161 /*v417*/, v161 /*v417*/, v228 /*v484*/, v229 /*v485*/
	s_set_vgpr_msb 0x54                     ;  msbs: dst=1 src0=0 src1=1 src2=1
	s_delay_alu instid0(VALU_DEP_2)
	v_add3_u32 v156 /*v412*/, v36, v176 /*v432*/, v177 /*v433*/
	s_set_vgpr_msb 0                        ;  msbs: dst=0 src0=0 src1=0 src2=0
	v_or_b32_e32 v36, s13, v142
	s_set_vgpr_msb 0x55                     ;  msbs: dst=1 src0=1 src1=1 src2=1
	v_add3_u32 v161 /*v417*/, v161 /*v417*/, v230 /*v486*/, v231 /*v487*/
	v_cvt_f32_i32_e32 v150 /*v406*/, v150 /*v406*/
	s_set_vgpr_msb 0                        ;  msbs: dst=0 src0=0 src1=0 src2=0
	v_dual_lshlrev_b32 v52, 2, v36 :: v_dual_lshrrev_b32 v36, 1, v36
	s_set_vgpr_msb 64                       ;  msbs: dst=1 src0=0 src1=0 src2=0
	ds_load_b128 v[168:171] /*v[424:427]*/, v52 offset:16896
	ds_load_b128 v[172:175] /*v[428:431]*/, v52 offset:16912
	;; [unrolled: 1-line block ×4, first 2 shown]
	s_set_vgpr_msb 0x55                     ;  msbs: dst=1 src0=1 src1=1 src2=1
	v_add3_u32 v161 /*v417*/, v161 /*v417*/, v232 /*v488*/, v233 /*v489*/
	s_delay_alu instid0(VALU_DEP_1)
	v_add3_u32 v161 /*v417*/, v161 /*v417*/, v234 /*v490*/, v235 /*v491*/
	s_wait_dscnt 0x3
	s_set_vgpr_msb 1                        ;  msbs: dst=0 src0=1 src1=0 src2=0
	v_bfe_i32 v52, v168 /*v424*/, 0, 8
	v_bfe_i32 v53, v168 /*v424*/, 8, 8
	;; [unrolled: 1-line block ×3, first 2 shown]
	s_set_vgpr_msb 4                        ;  msbs: dst=0 src0=0 src1=1 src2=0
	v_dual_ashrrev_i32 v55, 24, v168 /*v424*/ :: v_dual_ashrrev_i32 v67, 24, v169 /*v425*/
	s_set_vgpr_msb 64                       ;  msbs: dst=1 src0=0 src1=0 src2=0
	v_mul_i32_i24_e32 v167 /*v423*/, v52, v119
	s_set_vgpr_msb 1                        ;  msbs: dst=0 src0=1 src1=0 src2=0
	v_bfe_i32 v56, v169 /*v425*/, 0, 8
	v_bfe_i32 v58, v169 /*v425*/, 8, 8
	;; [unrolled: 1-line block ×3, first 2 shown]
	s_set_vgpr_msb 0x44                     ;  msbs: dst=1 src0=0 src1=1 src2=0
	v_mul_i32_i24_e32 v168 /*v424*/, v54, v92 /*v348*/
	v_mul_i32_i24_e32 v169 /*v425*/, v55, v93 /*v349*/
	s_set_vgpr_msb 0x50                     ;  msbs: dst=1 src0=0 src1=0 src2=1
	v_mad_i32_i24 v167 /*v423*/, v53, v118, v167 /*v423*/
	s_wait_dscnt 0x1
	s_set_vgpr_msb 0x41                     ;  msbs: dst=1 src0=1 src1=0 src2=0
	v_bfe_i32 v202 /*v458*/, v176 /*v432*/, 0, 8
	s_set_vgpr_msb 1                        ;  msbs: dst=0 src0=1 src1=0 src2=0
	v_bfe_i32 v69, v170 /*v426*/, 0, 8
	v_bfe_i32 v71, v170 /*v426*/, 8, 8
	v_bfe_i32 v82, v170 /*v426*/, 16, 8
	s_set_vgpr_msb 0x55                     ;  msbs: dst=1 src0=1 src1=1 src2=1
	v_add3_u32 v167 /*v423*/, v167 /*v423*/, v168 /*v424*/, v169 /*v425*/
	s_set_vgpr_msb 0x44                     ;  msbs: dst=1 src0=0 src1=1 src2=0
	v_mul_i32_i24_e32 v168 /*v424*/, v56, v94 /*v350*/
	v_mul_i32_i24_e32 v169 /*v425*/, v58, v95 /*v351*/
	s_set_vgpr_msb 4                        ;  msbs: dst=0 src0=0 src1=1 src2=0
	v_ashrrev_i32_e32 v84, 24, v170 /*v426*/
	s_set_vgpr_msb 1                        ;  msbs: dst=0 src0=1 src1=0 src2=0
	v_bfe_i32 v86, v171 /*v427*/, 0, 8
	v_bfe_i32 v92, v171 /*v427*/, 8, 8
	s_set_vgpr_msb 0x41                     ;  msbs: dst=1 src0=1 src1=0 src2=0
	v_bfe_i32 v184 /*v440*/, v171 /*v427*/, 16, 8
	s_set_vgpr_msb 0x44                     ;  msbs: dst=1 src0=0 src1=1 src2=0
	v_dual_ashrrev_i32 v185 /*v441*/, 24, v171 /*v427*/ :: v_dual_ashrrev_i32 v189 /*v445*/, 24, v172 /*v428*/
	v_dual_ashrrev_i32 v201 /*v457*/, 24, v175 /*v431*/ :: v_dual_ashrrev_i32 v205 /*v461*/, 24, v176 /*v432*/
	s_set_vgpr_msb 0x41                     ;  msbs: dst=1 src0=1 src1=0 src2=0
	v_bfe_i32 v203 /*v459*/, v176 /*v432*/, 8, 8
	v_bfe_i32 v204 /*v460*/, v176 /*v432*/, 16, 8
	s_set_vgpr_msb 0x44                     ;  msbs: dst=1 src0=0 src1=1 src2=0
	v_mul_i32_i24_e32 v170 /*v426*/, v61, v96 /*v352*/
	v_mul_i32_i24_e32 v171 /*v427*/, v67, v97 /*v353*/
	s_set_vgpr_msb 0x55                     ;  msbs: dst=1 src0=1 src1=1 src2=1
	v_add3_u32 v167 /*v423*/, v167 /*v423*/, v168 /*v424*/, v169 /*v425*/
	s_set_vgpr_msb 0x44                     ;  msbs: dst=1 src0=0 src1=1 src2=0
	v_mul_i32_i24_e32 v168 /*v424*/, v116, v202 /*v458*/
	s_set_vgpr_msb 0x55                     ;  msbs: dst=1 src0=1 src1=1 src2=1
	v_bfe_i32 v206 /*v462*/, v177 /*v433*/, 0, 8
	v_bfe_i32 v207 /*v463*/, v177 /*v433*/, 8, 8
	v_mul_i32_i24_e32 v169 /*v425*/, v132 /*v388*/, v204 /*v460*/
	v_add3_u32 v167 /*v423*/, v167 /*v423*/, v170 /*v426*/, v171 /*v427*/
	v_mul_i32_i24_e32 v170 /*v426*/, v123 /*v379*/, v205 /*v461*/
	s_set_vgpr_msb 0x54                     ;  msbs: dst=1 src0=0 src1=1 src2=1
	v_mad_i32_i24 v168 /*v424*/, v113, v203 /*v459*/, v168 /*v424*/
	s_set_vgpr_msb 0x41                     ;  msbs: dst=1 src0=1 src1=0 src2=0
	v_bfe_i32 v186 /*v442*/, v172 /*v428*/, 0, 8
	v_bfe_i32 v187 /*v443*/, v172 /*v428*/, 8, 8
	;; [unrolled: 1-line block ×6, first 2 shown]
	s_set_vgpr_msb 0x44                     ;  msbs: dst=1 src0=0 src1=1 src2=0
	v_dual_ashrrev_i32 v193 /*v449*/, 24, v173 /*v429*/ :: v_dual_ashrrev_i32 v197 /*v453*/, 24, v174 /*v430*/
	s_set_vgpr_msb 0x41                     ;  msbs: dst=1 src0=1 src1=0 src2=0
	v_bfe_i32 v208 /*v464*/, v177 /*v433*/, 16, 8
	s_set_vgpr_msb 0x44                     ;  msbs: dst=1 src0=0 src1=1 src2=0
	v_dual_ashrrev_i32 v209 /*v465*/, 24, v177 /*v433*/ :: v_dual_ashrrev_i32 v213 /*v469*/, 24, v178 /*v434*/
	v_mul_i32_i24_e32 v172 /*v428*/, v69, v98 /*v354*/
	v_mul_i32_i24_e32 v173 /*v429*/, v71, v99 /*v355*/
	s_set_vgpr_msb 0x55                     ;  msbs: dst=1 src0=1 src1=1 src2=1
	v_add3_u32 v168 /*v424*/, v168 /*v424*/, v169 /*v425*/, v170 /*v426*/
	s_set_vgpr_msb 0x44                     ;  msbs: dst=1 src0=0 src1=1 src2=0
	v_mul_i32_i24_e32 v169 /*v425*/, v117, v206 /*v462*/
	s_set_vgpr_msb 0x45                     ;  msbs: dst=1 src0=1 src1=1 src2=0
	v_mul_i32_i24_e32 v170 /*v426*/, v134 /*v390*/, v207 /*v463*/
	v_bfe_i32 v194 /*v450*/, v174 /*v430*/, 0, 8
	v_bfe_i32 v195 /*v451*/, v174 /*v430*/, 8, 8
	;; [unrolled: 1-line block ×8, first 2 shown]
	s_set_vgpr_msb 0x44                     ;  msbs: dst=1 src0=0 src1=1 src2=0
	v_mul_i32_i24_e32 v174 /*v430*/, v82, v100 /*v356*/
	v_mul_i32_i24_e32 v175 /*v431*/, v84, v101 /*v357*/
	s_set_vgpr_msb 0x55                     ;  msbs: dst=1 src0=1 src1=1 src2=1
	v_add3_u32 v167 /*v423*/, v167 /*v423*/, v172 /*v428*/, v173 /*v429*/
	v_mul_i32_i24_e32 v171 /*v427*/, v133 /*v389*/, v208 /*v464*/
	v_mul_i32_i24_e32 v172 /*v428*/, v115 /*v371*/, v209 /*v465*/
	v_add3_u32 v168 /*v424*/, v168 /*v424*/, v169 /*v425*/, v170 /*v426*/
	v_bfe_i32 v212 /*v468*/, v178 /*v434*/, 16, 8
	s_set_vgpr_msb 0x44                     ;  msbs: dst=1 src0=0 src1=1 src2=0
	v_mul_i32_i24_e32 v176 /*v432*/, v86, v102 /*v358*/
	v_mul_i32_i24_e32 v177 /*v433*/, v92, v103 /*v359*/
	s_set_vgpr_msb 0x55                     ;  msbs: dst=1 src0=1 src1=1 src2=1
	v_add3_u32 v167 /*v423*/, v167 /*v423*/, v174 /*v430*/, v175 /*v431*/
	s_set_vgpr_msb 0x44                     ;  msbs: dst=1 src0=0 src1=1 src2=0
	v_mul_i32_i24_e32 v173 /*v429*/, v114, v210 /*v466*/
	s_set_vgpr_msb 0x55                     ;  msbs: dst=1 src0=1 src1=1 src2=1
	v_mul_i32_i24_e32 v174 /*v430*/, v136 /*v392*/, v211 /*v467*/
	v_add3_u32 v168 /*v424*/, v168 /*v424*/, v171 /*v427*/, v172 /*v428*/
	v_bfe_i32 v214 /*v470*/, v179 /*v435*/, 0, 8
	v_bfe_i32 v215 /*v471*/, v179 /*v435*/, 8, 8
	;; [unrolled: 1-line block ×3, first 2 shown]
	v_ashrrev_i32_e32 v217 /*v473*/, 24, v179 /*v435*/
	v_mul_i32_i24_e32 v178 /*v434*/, v184 /*v440*/, v104 /*v360*/
	v_mul_i32_i24_e32 v179 /*v435*/, v185 /*v441*/, v105 /*v361*/
	v_add3_u32 v167 /*v423*/, v167 /*v423*/, v176 /*v432*/, v177 /*v433*/
	v_mul_i32_i24_e32 v175 /*v431*/, v135 /*v391*/, v212 /*v468*/
	v_mul_i32_i24_e32 v176 /*v432*/, v116 /*v372*/, v213 /*v469*/
	v_add3_u32 v168 /*v424*/, v168 /*v424*/, v173 /*v429*/, v174 /*v430*/
	;; [unrolled: 3-line block ×3, first 2 shown]
	s_set_vgpr_msb 0x44                     ;  msbs: dst=1 src0=0 src1=1 src2=0
	v_mul_i32_i24_e32 v177 /*v433*/, v115, v214 /*v470*/
	s_set_vgpr_msb 0x55                     ;  msbs: dst=1 src0=1 src1=1 src2=1
	v_mul_i32_i24_e32 v178 /*v434*/, v138 /*v394*/, v215 /*v471*/
	v_add3_u32 v168 /*v424*/, v168 /*v424*/, v175 /*v431*/, v176 /*v432*/
	s_wait_dscnt 0x0
	v_bfe_i32 v218 /*v474*/, v180 /*v436*/, 0, 8
	v_bfe_i32 v219 /*v475*/, v180 /*v436*/, 8, 8
	;; [unrolled: 1-line block ×3, first 2 shown]
	v_ashrrev_i32_e32 v180 /*v436*/, 24, v180 /*v436*/
	v_mul_i32_i24_e32 v232 /*v488*/, v188 /*v444*/, v108 /*v364*/
	v_mul_i32_i24_e32 v233 /*v489*/, v189 /*v445*/, v109 /*v365*/
	v_add3_u32 v167 /*v423*/, v167 /*v423*/, v230 /*v486*/, v231 /*v487*/
	v_mul_i32_i24_e32 v179 /*v435*/, v137 /*v393*/, v216 /*v472*/
	v_mul_i32_i24_e32 v230 /*v486*/, v117 /*v373*/, v217 /*v473*/
	v_add3_u32 v168 /*v424*/, v168 /*v424*/, v177 /*v433*/, v178 /*v434*/
	;; [unrolled: 3-line block ×3, first 2 shown]
	s_set_vgpr_msb 0x44                     ;  msbs: dst=1 src0=0 src1=1 src2=0
	v_mul_i32_i24_e32 v231 /*v487*/, v110, v218 /*v474*/
	s_set_vgpr_msb 0x55                     ;  msbs: dst=1 src0=1 src1=1 src2=1
	v_mul_i32_i24_e32 v232 /*v488*/, v140 /*v396*/, v219 /*v475*/
	v_add3_u32 v168 /*v424*/, v168 /*v424*/, v179 /*v435*/, v230 /*v486*/
	v_bfe_i32 v221 /*v477*/, v181 /*v437*/, 0, 8
	v_bfe_i32 v222 /*v478*/, v181 /*v437*/, 8, 8
	v_mul_i32_i24_e32 v236 /*v492*/, v113 /*v369*/, v192 /*v448*/
	v_mul_i32_i24_e32 v237 /*v493*/, v112 /*v368*/, v193 /*v449*/
	v_add3_u32 v167 /*v423*/, v167 /*v423*/, v234 /*v490*/, v235 /*v491*/
	v_mul_i32_i24_e32 v233 /*v489*/, v139 /*v395*/, v220 /*v476*/
	v_mul_i32_i24_e32 v234 /*v490*/, v118 /*v374*/, v180 /*v436*/
	v_add3_u32 v168 /*v424*/, v168 /*v424*/, v231 /*v487*/, v232 /*v488*/
	v_bfe_i32 v223 /*v479*/, v181 /*v437*/, 16, 8
	v_ashrrev_i32_e32 v181 /*v437*/, 24, v181 /*v437*/
	v_mul_i32_i24_e32 v238 /*v494*/, v121 /*v377*/, v194 /*v450*/
	v_mul_i32_i24_e32 v239 /*v495*/, v114 /*v370*/, v195 /*v451*/
	v_add3_u32 v167 /*v423*/, v167 /*v423*/, v236 /*v492*/, v237 /*v493*/
	s_set_vgpr_msb 0x44                     ;  msbs: dst=1 src0=0 src1=1 src2=0
	v_mul_i32_i24_e32 v235 /*v491*/, v111, v221 /*v477*/
	s_set_vgpr_msb 0x55                     ;  msbs: dst=1 src0=1 src1=1 src2=1
	v_mul_i32_i24_e32 v236 /*v492*/, v142 /*v398*/, v222 /*v478*/
	v_add3_u32 v168 /*v424*/, v168 /*v424*/, v233 /*v489*/, v234 /*v490*/
	v_bfe_i32 v224 /*v480*/, v182 /*v438*/, 0, 8
	v_bfe_i32 v225 /*v481*/, v182 /*v438*/, 8, 8
	;; [unrolled: 1-line block ×3, first 2 shown]
	v_ashrrev_i32_e32 v182 /*v438*/, 24, v182 /*v438*/
	v_mul_i32_i24_e32 v240 /*v496*/, v125 /*v381*/, v196 /*v452*/
	v_mul_i32_i24_e32 v241 /*v497*/, v122 /*v378*/, v197 /*v453*/
	v_add3_u32 v167 /*v423*/, v167 /*v423*/, v238 /*v494*/, v239 /*v495*/
	v_mul_i32_i24_e32 v237 /*v493*/, v141 /*v397*/, v223 /*v479*/
	v_mul_i32_i24_e32 v238 /*v494*/, v119 /*v375*/, v181 /*v437*/
	v_add3_u32 v168 /*v424*/, v168 /*v424*/, v235 /*v491*/, v236 /*v492*/
	;; [unrolled: 3-line block ×3, first 2 shown]
	s_set_vgpr_msb 0x44                     ;  msbs: dst=1 src0=0 src1=1 src2=0
	v_mul_i32_i24_e32 v239 /*v495*/, v112, v224 /*v480*/
	s_set_vgpr_msb 0x55                     ;  msbs: dst=1 src0=1 src1=1 src2=1
	v_mul_i32_i24_e32 v240 /*v496*/, v144 /*v400*/, v225 /*v481*/
	v_add3_u32 v168 /*v424*/, v168 /*v424*/, v237 /*v493*/, v238 /*v494*/
	v_bfe_i32 v227 /*v483*/, v183 /*v439*/, 0, 8
	v_bfe_i32 v228 /*v484*/, v183 /*v439*/, 8, 8
	v_add3_u32 v167 /*v423*/, v167 /*v423*/, v242 /*v498*/, v243 /*v499*/
	v_mul_i32_i24_e32 v241 /*v497*/, v143 /*v399*/, v226 /*v482*/
	v_mul_i32_i24_e32 v242 /*v498*/, v120 /*v376*/, v182 /*v438*/
	v_add3_u32 v168 /*v424*/, v168 /*v424*/, v239 /*v495*/, v240 /*v496*/
	v_mul_i32_i24_e32 v243 /*v499*/, v227 /*v483*/, v124 /*v380*/
	v_mul_i32_i24_e32 v246 /*v502*/, v228 /*v484*/, v126 /*v382*/
	s_set_vgpr_msb 64                       ;  msbs: dst=1 src0=0 src1=0 src2=0
	ds_load_b64 v[170:171] /*v[426:427]*/, v36 offset:27200
	s_set_vgpr_msb 0x55                     ;  msbs: dst=1 src0=1 src1=1 src2=1
	v_bfe_i32 v229 /*v485*/, v183 /*v439*/, 16, 8
	v_add3_u32 v168 /*v424*/, v168 /*v424*/, v241 /*v497*/, v242 /*v498*/
	v_mul_i32_i24_e32 v244 /*v500*/, v200 /*v456*/, v130 /*v386*/
	v_mul_i32_i24_e32 v245 /*v501*/, v201 /*v457*/, v131 /*v387*/
	s_set_vgpr_msb 0x41                     ;  msbs: dst=1 src0=1 src1=0 src2=0
	v_mul_i32_i24_e32 v231 /*v487*/, v186 /*v442*/, v235
	s_set_vgpr_msb 0x55                     ;  msbs: dst=1 src0=1 src1=1 src2=1
	v_mul_i32_i24_e32 v247 /*v503*/, v229 /*v485*/, v127 /*v383*/
	v_add3_u32 v230 /*v486*/, v168 /*v424*/, v243 /*v499*/, v246 /*v502*/
	ds_load_b64 v[168:169] /*v[424:425]*/, v146 /*v402*/ offset:27200
	v_ashrrev_i32_e32 v183 /*v439*/, 24, v183 /*v439*/
	s_set_vgpr_msb 0x41                     ;  msbs: dst=1 src0=1 src1=0 src2=0
	v_mul_i32_i24_e32 v232 /*v488*/, v187 /*v443*/, v236
	v_mul_i32_i24_e32 v233 /*v489*/, v188 /*v444*/, v237
	;; [unrolled: 1-line block ×3, first 2 shown]
	s_set_vgpr_msb 0x44                     ;  msbs: dst=1 src0=0 src1=1 src2=0
	v_mul_i32_i24_e32 v235 /*v491*/, v240, v190 /*v446*/
	v_mul_i32_i24_e32 v236 /*v492*/, v239, v191 /*v447*/
	;; [unrolled: 1-line block ×7, first 2 shown]
	s_wait_dscnt 0x1
	s_set_vgpr_msb 4                        ;  msbs: dst=0 src0=0 src1=1 src2=0
	v_lshrrev_b32_e32 v36, 16, v170 /*v426*/
	s_set_vgpr_msb 0x41                     ;  msbs: dst=1 src0=1 src1=0 src2=0
	v_cvt_f32_f16_e64 v173 /*v429*/, v170 /*v426*/
	v_cvt_f32_f16_e64 v177 /*v433*/, v171 /*v427*/
	s_set_vgpr_msb 0x44                     ;  msbs: dst=1 src0=0 src1=1 src2=0
	v_mul_i32_i24_e32 v242 /*v498*/, v245, v197 /*v453*/
	s_set_vgpr_msb 0x41                     ;  msbs: dst=1 src0=1 src1=0 src2=0
	v_mul_i32_i24_e32 v243 /*v499*/, v198 /*v454*/, v251
	s_set_vgpr_msb 64                       ;  msbs: dst=1 src0=0 src1=0 src2=0
	v_cvt_f32_f16_e64 v175 /*v431*/, v36
	s_set_vgpr_msb 0x45                     ;  msbs: dst=1 src0=1 src1=1 src2=0
	v_mul_i32_i24_e32 v246 /*v502*/, v201 /*v457*/, v0 /*v256*/
	v_mul_i32_i24_e32 v248 /*v504*/, v229 /*v485*/, v25 /*v281*/
	s_wait_dscnt 0x0
	v_lshrrev_b32_e32 v146 /*v402*/, 16, v168 /*v424*/
	s_set_vgpr_msb 4                        ;  msbs: dst=0 src0=0 src1=1 src2=0
	v_lshrrev_b32_e32 v36, 16, v169 /*v425*/
	s_set_vgpr_msb 0x41                     ;  msbs: dst=1 src0=1 src1=0 src2=0
	v_cvt_f32_f16_e64 v172 /*v428*/, v168 /*v424*/
	v_cvt_f32_f16_e64 v176 /*v432*/, v169 /*v425*/
	v_mul_i32_i24_e32 v157 /*v413*/, v183 /*v439*/, v109
	v_cvt_f32_f16_e64 v174 /*v430*/, v146 /*v402*/
	s_set_vgpr_msb 0x44                     ;  msbs: dst=1 src0=0 src1=1 src2=0
	v_lshrrev_b32_e32 v146 /*v402*/, 16, v171 /*v427*/
	v_cvt_f32_f16_e64 v168 /*v424*/, v36
	s_set_vgpr_msb 21                       ;  msbs: dst=0 src0=1 src1=1 src2=1
	v_add3_u32 v36, v167 /*v423*/, v244 /*v500*/, v245 /*v501*/
	s_set_vgpr_msb 0x41                     ;  msbs: dst=1 src0=1 src1=0 src2=0
	v_mul_i32_i24_e32 v244 /*v500*/, v199 /*v455*/, v253
	s_set_vgpr_msb 0x44                     ;  msbs: dst=1 src0=0 src1=1 src2=0
	v_pk_fma_f32 v[178:179] /*v[434:435]*/, v[98:99], v[174:175] /*v[430:431]*/, 0 op_sel_hi:[0,1,0]
	s_set_vgpr_msb 0x55                     ;  msbs: dst=1 src0=1 src1=1 src2=1
	v_cvt_f32_f16_e64 v169 /*v425*/, v146 /*v402*/
	v_add3_u32 v146 /*v402*/, v162 /*v418*/, v159 /*v415*/, v160 /*v416*/
	s_set_vgpr_msb 0                        ;  msbs: dst=0 src0=0 src1=0 src2=0
	v_mul_lo_u32 v36, v36, v105
	s_set_vgpr_msb 64                       ;  msbs: dst=1 src0=0 src1=0 src2=0
	v_mul_i32_i24_e32 v159 /*v415*/, v55, v222
	v_mul_i32_i24_e32 v160 /*v416*/, v61, v225
	v_mul_i32_i24_e32 v162 /*v418*/, v67, v226
	s_set_vgpr_msb 0x41                     ;  msbs: dst=1 src0=1 src1=0 src2=0
	v_mul_lo_u32 v146 /*v402*/, v146 /*v402*/, v105
	v_mul_i32_i24_e32 v245 /*v501*/, v200 /*v456*/, v254
	v_mul_i32_i24_e32 v152 /*v408*/, v183 /*v439*/, v97
	s_set_vgpr_msb 64                       ;  msbs: dst=1 src0=0 src1=0 src2=0
	v_cvt_f32_i32_e32 v171 /*v427*/, v36
	s_set_vgpr_msb 1                        ;  msbs: dst=0 src0=1 src1=0 src2=0
	v_mul_i32_i24_e32 v36, v145 /*v401*/, v103
	s_set_vgpr_msb 0x41                     ;  msbs: dst=1 src0=1 src1=0 src2=0
	v_cvt_f32_i32_e32 v170 /*v426*/, v146 /*v402*/
	v_mul_i32_i24_e32 v146 /*v402*/, v183 /*v439*/, v103
	s_set_vgpr_msb 5                        ;  msbs: dst=0 src0=1 src1=1 src2=0
	v_add3_u32 v36, v166 /*v422*/, v165 /*v421*/, v36
	s_set_vgpr_msb 64                       ;  msbs: dst=1 src0=0 src1=0 src2=0
	v_mul_i32_i24_e32 v165 /*v421*/, v69, v227
	s_set_vgpr_msb 0x55                     ;  msbs: dst=1 src0=1 src1=1 src2=1
	v_pk_fma_f32 v[170:171] /*v[426:427]*/, v[172:173] /*v[428:429]*/, v[170:171] /*v[426:427]*/, 0 op_sel_hi:[1,1,0]
	v_add3_u32 v146 /*v402*/, v230 /*v486*/, v247 /*v503*/, v146 /*v402*/
	s_set_vgpr_msb 0                        ;  msbs: dst=0 src0=0 src1=0 src2=0
	v_mul_lo_u32 v36, v36, v101
	s_set_vgpr_msb 0x41                     ;  msbs: dst=1 src0=1 src1=0 src2=0
	v_mul_i32_i24_e32 v230 /*v486*/, v185 /*v441*/, v234
	s_set_vgpr_msb 0x45                     ;  msbs: dst=1 src0=1 src1=1 src2=0
	v_mul_i32_i24_e32 v247 /*v503*/, v228 /*v484*/, v24 /*v280*/
	s_set_vgpr_msb 0x41                     ;  msbs: dst=1 src0=1 src1=0 src2=0
	v_mul_lo_u32 v146 /*v402*/, v146 /*v402*/, v101
	s_set_vgpr_msb 64                       ;  msbs: dst=1 src0=0 src1=0 src2=0
	s_delay_alu instid0(VALU_DEP_4) | instskip(SKIP_3) | instid1(VALU_DEP_3)
	v_cvt_f32_i32_e32 v166 /*v422*/, v36
	s_set_vgpr_msb 0                        ;  msbs: dst=0 src0=0 src1=0 src2=0
	v_mul_i32_i24_e32 v36, v52, v220
	s_set_vgpr_msb 0x41                     ;  msbs: dst=1 src0=1 src1=0 src2=0
	v_cvt_f32_i32_e32 v167 /*v423*/, v146 /*v402*/
	s_set_vgpr_msb 64                       ;  msbs: dst=1 src0=0 src1=0 src2=0
	v_mul_i32_i24_e32 v146 /*v402*/, v54, v221
	s_set_vgpr_msb 0                        ;  msbs: dst=0 src0=0 src1=0 src2=0
	v_mad_i32_i24 v36, v53, v219, v36
	s_set_vgpr_msb 0x55                     ;  msbs: dst=1 src0=1 src1=1 src2=1
	v_pk_fma_f32 v[166:167] /*v[422:423]*/, v[176:177] /*v[432:433]*/, v[166:167] /*v[422:423]*/, v[170:171] /*v[426:427]*/
	s_set_vgpr_msb 0x54                     ;  msbs: dst=1 src0=0 src1=1 src2=1
	v_pk_fma_f32 v[170:171] /*v[426:427]*/, v[100:101], v[168:169] /*v[424:425]*/, v[178:179] /*v[434:435]*/ op_sel_hi:[0,1,1]
	s_set_vgpr_msb 20                       ;  msbs: dst=0 src0=0 src1=1 src2=1
	v_add3_u32 v36, v36, v146 /*v402*/, v159 /*v415*/
	s_set_vgpr_msb 64                       ;  msbs: dst=1 src0=0 src1=0 src2=0
	v_mul_i32_i24_e32 v146 /*v402*/, v56, v223
	v_mul_i32_i24_e32 v159 /*v415*/, v58, v224
	;; [unrolled: 1-line block ×3, first 2 shown]
	s_set_vgpr_msb 0x41                     ;  msbs: dst=1 src0=1 src1=0 src2=0
	v_pk_mul_f32 v[170:171] /*v[426:427]*/, v[170:171] /*v[426:427]*/, v[8:9]
	v_mul_i32_i24_e32 v179 /*v435*/, v184 /*v440*/, v233
	s_set_vgpr_msb 20                       ;  msbs: dst=0 src0=0 src1=1 src2=1
	v_add3_u32 v36, v36, v146 /*v402*/, v159 /*v415*/
	s_set_vgpr_msb 0x51                     ;  msbs: dst=1 src0=1 src1=0 src2=1
	v_mul_i32_i24_e32 v146 /*v402*/, v202 /*v458*/, v249
	v_pk_fma_f32 v[166:167] /*v[422:423]*/, v[166:167] /*v[422:423]*/, v[0:1], v[170:171] /*v[426:427]*/ neg_lo:[0,0,1] neg_hi:[0,0,1]
	s_set_vgpr_msb 64                       ;  msbs: dst=1 src0=0 src1=0 src2=0
	v_mul_i32_i24_e32 v170 /*v426*/, v84, v230
	s_set_vgpr_msb 0x41                     ;  msbs: dst=1 src0=1 src1=0 src2=0
	v_mul_i32_i24_e32 v159 /*v415*/, v204 /*v460*/, v246
	s_set_vgpr_msb 20                       ;  msbs: dst=0 src0=0 src1=1 src2=1
	v_add3_u32 v36, v36, v160 /*v416*/, v162 /*v418*/
	s_set_vgpr_msb 0x41                     ;  msbs: dst=1 src0=1 src1=0 src2=0
	v_mul_i32_i24_e32 v160 /*v416*/, v205 /*v461*/, v252
	s_set_vgpr_msb 4                        ;  msbs: dst=0 src0=0 src1=1 src2=0
	v_pk_add_f32 v[30:31], v[30:31], v[166:167] /*v[422:423]*/
	s_set_vgpr_msb 64                       ;  msbs: dst=1 src0=0 src1=0 src2=0
	v_mul_i32_i24_e32 v166 /*v422*/, v71, v228
	v_mul_i32_i24_e32 v167 /*v423*/, v82, v229
	s_set_vgpr_msb 0x51                     ;  msbs: dst=1 src0=1 src1=0 src2=1
	v_mad_i32_i24 v146 /*v402*/, v203 /*v459*/, v248, v146 /*v402*/
	s_set_vgpr_msb 64                       ;  msbs: dst=1 src0=0 src1=0 src2=0
	v_mul_i32_i24_e32 v171 /*v427*/, v86, v231
	s_set_vgpr_msb 0x41                     ;  msbs: dst=1 src0=1 src1=0 src2=0
	v_mul_i32_i24_e32 v162 /*v418*/, v208 /*v464*/, v250
	s_set_vgpr_msb 20                       ;  msbs: dst=0 src0=0 src1=1 src2=1
	v_add3_u32 v36, v36, v165 /*v421*/, v166 /*v422*/
	s_set_vgpr_msb 0x55                     ;  msbs: dst=1 src0=1 src1=1 src2=1
	v_mul_i32_i24_e32 v165 /*v421*/, v209 /*v465*/, v3 /*v259*/
	v_add3_u32 v146 /*v402*/, v146 /*v402*/, v159 /*v415*/, v160 /*v416*/
	s_set_vgpr_msb 0x41                     ;  msbs: dst=1 src0=1 src1=0 src2=0
	v_mul_i32_i24_e32 v159 /*v415*/, v206 /*v462*/, v255
	s_set_vgpr_msb 0x45                     ;  msbs: dst=1 src0=1 src1=1 src2=0
	v_mul_i32_i24_e32 v160 /*v416*/, v207 /*v463*/, v1 /*v257*/
	s_set_vgpr_msb 20                       ;  msbs: dst=0 src0=0 src1=1 src2=1
	v_add3_u32 v36, v36, v167 /*v423*/, v170 /*v426*/
	s_set_vgpr_msb 0x55                     ;  msbs: dst=1 src0=1 src1=1 src2=1
	v_mul_i32_i24_e32 v166 /*v422*/, v210 /*v466*/, v4 /*v260*/
	v_mul_i32_i24_e32 v167 /*v423*/, v211 /*v467*/, v5 /*v261*/
	;; [unrolled: 1-line block ×3, first 2 shown]
	v_add3_u32 v146 /*v402*/, v146 /*v402*/, v159 /*v415*/, v160 /*v416*/
	s_set_vgpr_msb 20                       ;  msbs: dst=0 src0=0 src1=1 src2=1
	v_add3_u32 v36, v36, v171 /*v427*/, v178 /*v434*/
	s_set_vgpr_msb 0x45                     ;  msbs: dst=1 src0=1 src1=1 src2=0
	v_mul_i32_i24_e32 v171 /*v427*/, v213 /*v469*/, v7 /*v263*/
	v_mul_i32_i24_e32 v178 /*v434*/, v214 /*v470*/, v8 /*v264*/
	s_set_vgpr_msb 64                       ;  msbs: dst=1 src0=0 src1=0 src2=0
	v_mul_i32_i24_e32 v159 /*v415*/, v69, v163
	s_set_vgpr_msb 0x55                     ;  msbs: dst=1 src0=1 src1=1 src2=1
	v_add3_u32 v146 /*v402*/, v146 /*v402*/, v162 /*v418*/, v165 /*v421*/
	s_set_vgpr_msb 20                       ;  msbs: dst=0 src0=0 src1=1 src2=1
	v_add3_u32 v36, v36, v179 /*v435*/, v230 /*v486*/
	s_set_vgpr_msb 0x45                     ;  msbs: dst=1 src0=1 src1=1 src2=0
	v_mul_i32_i24_e32 v179 /*v435*/, v215 /*v471*/, v9 /*v265*/
	v_mul_i32_i24_e32 v230 /*v486*/, v216 /*v472*/, v6 /*v262*/
	s_set_vgpr_msb 64                       ;  msbs: dst=1 src0=0 src1=0 src2=0
	v_mul_i32_i24_e32 v160 /*v416*/, v71, v164
	s_set_vgpr_msb 0x55                     ;  msbs: dst=1 src0=1 src1=1 src2=1
	v_add3_u32 v146 /*v402*/, v146 /*v402*/, v166 /*v422*/, v167 /*v423*/
	s_set_vgpr_msb 20                       ;  msbs: dst=0 src0=0 src1=1 src2=1
	v_add3_u32 v36, v36, v231 /*v487*/, v232 /*v488*/
	s_set_vgpr_msb 0x45                     ;  msbs: dst=1 src0=1 src1=1 src2=0
	v_mul_i32_i24_e32 v231 /*v487*/, v217 /*v473*/, v10 /*v266*/
	v_mul_i32_i24_e32 v232 /*v488*/, v218 /*v474*/, v11 /*v267*/
	s_set_vgpr_msb 0x44                     ;  msbs: dst=1 src0=0 src1=1 src2=0
	v_pk_fma_f32 v[166:167] /*v[422:423]*/, v[102:103], v[174:175] /*v[430:431]*/, 0 op_sel_hi:[0,1,0]
	s_set_vgpr_msb 0x55                     ;  msbs: dst=1 src0=1 src1=1 src2=1
	v_add3_u32 v146 /*v402*/, v146 /*v402*/, v170 /*v426*/, v171 /*v427*/
	s_set_vgpr_msb 20                       ;  msbs: dst=0 src0=0 src1=1 src2=1
	v_add3_u32 v36, v36, v233 /*v489*/, v234 /*v490*/
	s_set_vgpr_msb 0x45                     ;  msbs: dst=1 src0=1 src1=1 src2=0
	v_mul_i32_i24_e32 v233 /*v489*/, v219 /*v475*/, v12 /*v268*/
	v_mul_i32_i24_e32 v234 /*v490*/, v14 /*v270*/, v220 /*v476*/
	s_set_vgpr_msb 64                       ;  msbs: dst=1 src0=0 src1=0 src2=0
	v_mul_i32_i24_e32 v165 /*v421*/, v92, v168
	s_set_vgpr_msb 0x55                     ;  msbs: dst=1 src0=1 src1=1 src2=1
	v_add3_u32 v146 /*v402*/, v146 /*v402*/, v178 /*v434*/, v179 /*v435*/
	s_set_vgpr_msb 20                       ;  msbs: dst=0 src0=0 src1=1 src2=1
	v_add3_u32 v36, v36, v235 /*v491*/, v236 /*v492*/
	s_set_vgpr_msb 0x45                     ;  msbs: dst=1 src0=1 src1=1 src2=0
	v_mul_i32_i24_e32 v235 /*v491*/, v13 /*v269*/, v180 /*v436*/
	v_mul_i32_i24_e32 v236 /*v492*/, v15 /*v271*/, v221 /*v477*/
	s_set_vgpr_msb 0x41                     ;  msbs: dst=1 src0=1 src1=0 src2=0
	v_mul_i32_i24_e32 v170 /*v426*/, v186 /*v442*/, v171
	s_set_vgpr_msb 0x55                     ;  msbs: dst=1 src0=1 src1=1 src2=1
	v_add3_u32 v146 /*v402*/, v146 /*v402*/, v230 /*v486*/, v231 /*v487*/
	s_set_vgpr_msb 20                       ;  msbs: dst=0 src0=0 src1=1 src2=1
	v_add3_u32 v36, v36, v237 /*v493*/, v238 /*v494*/
	s_set_vgpr_msb 0x45                     ;  msbs: dst=1 src0=1 src1=1 src2=0
	v_mul_i32_i24_e32 v237 /*v493*/, v16 /*v272*/, v222 /*v478*/
	v_mul_i32_i24_e32 v238 /*v494*/, v18 /*v274*/, v223 /*v479*/
	s_set_vgpr_msb 0x41                     ;  msbs: dst=1 src0=1 src1=0 src2=0
	v_mul_i32_i24_e32 v171 /*v427*/, v187 /*v443*/, v172
	;; [unrolled: 9-line block ×4, first 2 shown]
	s_set_vgpr_msb 0x55                     ;  msbs: dst=1 src0=1 src1=1 src2=1
	v_add3_u32 v146 /*v402*/, v146 /*v402*/, v236 /*v492*/, v237 /*v493*/
	s_set_vgpr_msb 20                       ;  msbs: dst=0 src0=0 src1=1 src2=1
	v_add3_u32 v36, v36, v243 /*v499*/, v244 /*v500*/
	s_set_vgpr_msb 0x45                     ;  msbs: dst=1 src0=1 src1=1 src2=0
	v_mul_i32_i24_e32 v243 /*v499*/, v21 /*v277*/, v182 /*v438*/
	v_mul_i32_i24_e32 v244 /*v500*/, v227 /*v483*/, v23 /*v279*/
	s_set_vgpr_msb 0x44                     ;  msbs: dst=1 src0=0 src1=1 src2=0
	v_mul_i32_i24_e32 v230 /*v486*/, v176, v190 /*v446*/
	s_set_vgpr_msb 0x55                     ;  msbs: dst=1 src0=1 src1=1 src2=1
	v_add3_u32 v146 /*v402*/, v146 /*v402*/, v238 /*v494*/, v239 /*v495*/
	s_set_vgpr_msb 20                       ;  msbs: dst=0 src0=0 src1=1 src2=1
	v_add3_u32 v36, v36, v245 /*v501*/, v246 /*v502*/
	s_set_vgpr_msb 0x44                     ;  msbs: dst=1 src0=0 src1=1 src2=0
	v_mul_i32_i24_e32 v231 /*v487*/, v175, v191 /*v447*/
	v_mul_i32_i24_e32 v232 /*v488*/, v178, v192 /*v448*/
	;; [unrolled: 1-line block ×3, first 2 shown]
	s_set_vgpr_msb 0x55                     ;  msbs: dst=1 src0=1 src1=1 src2=1
	v_add3_u32 v146 /*v402*/, v146 /*v402*/, v240 /*v496*/, v241 /*v497*/
	s_set_vgpr_msb 0                        ;  msbs: dst=0 src0=0 src1=0 src2=0
	v_mul_lo_u32 v36, v36, v218
	s_set_vgpr_msb 0x44                     ;  msbs: dst=1 src0=0 src1=1 src2=0
	v_mul_i32_i24_e32 v234 /*v490*/, v180, v194 /*v450*/
	v_mul_i32_i24_e32 v235 /*v491*/, v179, v195 /*v451*/
	;; [unrolled: 1-line block ×3, first 2 shown]
	s_set_vgpr_msb 0x55                     ;  msbs: dst=1 src0=1 src1=1 src2=1
	v_add3_u32 v146 /*v402*/, v146 /*v402*/, v242 /*v498*/, v243 /*v499*/
	s_set_vgpr_msb 0x44                     ;  msbs: dst=1 src0=0 src1=1 src2=0
	v_mul_i32_i24_e32 v237 /*v493*/, v181, v197 /*v453*/
	s_set_vgpr_msb 0x41                     ;  msbs: dst=1 src0=1 src1=0 src2=0
	v_mul_i32_i24_e32 v238 /*v494*/, v198 /*v454*/, v187
	v_mul_i32_i24_e32 v239 /*v495*/, v199 /*v455*/, v189
	;; [unrolled: 1-line block ×3, first 2 shown]
	s_set_vgpr_msb 0x55                     ;  msbs: dst=1 src0=1 src1=1 src2=1
	v_add3_u32 v146 /*v402*/, v146 /*v402*/, v244 /*v500*/, v247 /*v503*/
	s_set_vgpr_msb 0x41                     ;  msbs: dst=1 src0=1 src1=0 src2=0
	v_mul_i32_i24_e32 v241 /*v497*/, v201 /*v457*/, v192
	s_set_vgpr_msb 64                       ;  msbs: dst=1 src0=0 src1=0 src2=0
	v_cvt_f32_i32_e32 v155 /*v411*/, v36
	s_set_vgpr_msb 1                        ;  msbs: dst=0 src0=1 src1=0 src2=0
	v_mul_i32_i24_e32 v36, v145 /*v401*/, v109
	s_set_vgpr_msb 0x41                     ;  msbs: dst=1 src0=1 src1=0 src2=0
	v_mul_i32_i24_e32 v242 /*v498*/, v228 /*v484*/, v216
	s_set_vgpr_msb 0x55                     ;  msbs: dst=1 src0=1 src1=1 src2=1
	v_add3_u32 v146 /*v402*/, v146 /*v402*/, v248 /*v504*/, v157 /*v413*/
	s_set_vgpr_msb 64                       ;  msbs: dst=1 src0=0 src1=0 src2=0
	v_mul_i32_i24_e32 v157 /*v413*/, v67, v162
	s_set_vgpr_msb 0x45                     ;  msbs: dst=1 src0=1 src1=1 src2=0
	v_pk_fma_f32 v[154:155] /*v[410:411]*/, v[172:173] /*v[428:429]*/, v[154:155] /*v[410:411]*/, 0 op_sel_hi:[1,1,0]
	s_set_vgpr_msb 5                        ;  msbs: dst=0 src0=1 src1=1 src2=0
	v_add3_u32 v36, v164 /*v420*/, v163 /*v419*/, v36
	s_set_vgpr_msb 64                       ;  msbs: dst=1 src0=0 src1=0 src2=0
	v_mul_i32_i24_e32 v164 /*v420*/, v86, v167
	s_set_vgpr_msb 0x41                     ;  msbs: dst=1 src0=1 src1=0 src2=0
	v_mul_lo_u32 v146 /*v402*/, v146 /*v402*/, v157
	v_mul_i32_i24_e32 v243 /*v499*/, v229 /*v485*/, v217
	s_set_vgpr_msb 0                        ;  msbs: dst=0 src0=0 src1=0 src2=0
	v_mul_lo_u32 v36, v36, v157
	s_set_vgpr_msb 0x41                     ;  msbs: dst=1 src0=1 src1=0 src2=0
	s_delay_alu instid0(VALU_DEP_3) | instskip(SKIP_2) | instid1(VALU_DEP_3)
	v_cvt_f32_i32_e32 v163 /*v419*/, v146 /*v402*/
	s_set_vgpr_msb 64                       ;  msbs: dst=1 src0=0 src1=0 src2=0
	v_mul_i32_i24_e32 v146 /*v402*/, v54, v124
	v_cvt_f32_i32_e32 v162 /*v418*/, v36
	s_set_vgpr_msb 0                        ;  msbs: dst=0 src0=0 src1=0 src2=0
	v_mul_i32_i24_e32 v36, v52, v122
	s_set_vgpr_msb 0x55                     ;  msbs: dst=1 src0=1 src1=1 src2=1
	s_delay_alu instid0(VALU_DEP_2)
	v_pk_fma_f32 v[154:155] /*v[410:411]*/, v[176:177] /*v[432:433]*/, v[162:163] /*v[418:419]*/, v[154:155] /*v[410:411]*/
	s_set_vgpr_msb 0x54                     ;  msbs: dst=1 src0=0 src1=1 src2=1
	v_pk_fma_f32 v[162:163] /*v[418:419]*/, v[104:105], v[168:169] /*v[424:425]*/, v[166:167] /*v[422:423]*/ op_sel_hi:[0,1,1]
	s_set_vgpr_msb 0                        ;  msbs: dst=0 src0=0 src1=0 src2=0
	v_mad_i32_i24 v36, v53, v120, v36
	s_set_vgpr_msb 0x51                     ;  msbs: dst=1 src0=1 src1=0 src2=1
	v_mul_i32_i24_e32 v166 /*v422*/, v184 /*v440*/, v169
	v_mul_i32_i24_e32 v167 /*v423*/, v185 /*v441*/, v170
	v_pk_mul_f32 v[162:163] /*v[418:419]*/, v[162:163] /*v[418:419]*/, v[10:11]
	s_delay_alu instid0(VALU_DEP_1)
	v_pk_fma_f32 v[154:155] /*v[410:411]*/, v[154:155] /*v[410:411]*/, v[2:3], v[162:163] /*v[418:419]*/ neg_lo:[0,0,1] neg_hi:[0,0,1]
	s_set_vgpr_msb 64                       ;  msbs: dst=1 src0=0 src1=0 src2=0
	v_mul_i32_i24_e32 v162 /*v418*/, v82, v165
	v_mul_i32_i24_e32 v163 /*v419*/, v84, v166
	s_set_vgpr_msb 4                        ;  msbs: dst=0 src0=0 src1=1 src2=0
	v_pk_add_f32 v[28:29], v[28:29], v[154:155] /*v[410:411]*/
	s_set_vgpr_msb 64                       ;  msbs: dst=1 src0=0 src1=0 src2=0
	v_mul_i32_i24_e32 v154 /*v410*/, v55, v158
	v_mul_i32_i24_e32 v155 /*v411*/, v61, v161
	s_set_vgpr_msb 20                       ;  msbs: dst=0 src0=0 src1=1 src2=1
	s_delay_alu instid0(VALU_DEP_2) | instskip(SKIP_4) | instid1(VALU_DEP_1)
	v_add3_u32 v36, v36, v146 /*v402*/, v154 /*v410*/
	s_set_vgpr_msb 64                       ;  msbs: dst=1 src0=0 src1=0 src2=0
	v_mul_i32_i24_e32 v146 /*v402*/, v56, v159
	v_mul_i32_i24_e32 v154 /*v410*/, v58, v160
	s_set_vgpr_msb 20                       ;  msbs: dst=0 src0=0 src1=1 src2=1
	v_add3_u32 v36, v36, v146 /*v402*/, v154 /*v410*/
	s_set_vgpr_msb 0x41                     ;  msbs: dst=1 src0=1 src1=0 src2=0
	v_mul_i32_i24_e32 v146 /*v402*/, v202 /*v458*/, v185
	v_mul_i32_i24_e32 v154 /*v410*/, v204 /*v460*/, v182
	s_set_vgpr_msb 20                       ;  msbs: dst=0 src0=0 src1=1 src2=1
	v_add3_u32 v36, v36, v155 /*v411*/, v157 /*v413*/
	s_set_vgpr_msb 0x51                     ;  msbs: dst=1 src0=1 src1=0 src2=1
	v_mul_i32_i24_e32 v155 /*v411*/, v205 /*v461*/, v188
	v_mad_i32_i24 v146 /*v402*/, v203 /*v459*/, v184, v146 /*v402*/
	v_mul_i32_i24_e32 v157 /*v413*/, v208 /*v464*/, v186
	s_set_vgpr_msb 20                       ;  msbs: dst=0 src0=0 src1=1 src2=1
	v_add3_u32 v36, v36, v159 /*v415*/, v160 /*v416*/
	s_set_vgpr_msb 0x41                     ;  msbs: dst=1 src0=1 src1=0 src2=0
	v_mul_i32_i24_e32 v159 /*v415*/, v209 /*v465*/, v195
	s_set_vgpr_msb 0x55                     ;  msbs: dst=1 src0=1 src1=1 src2=1
	v_add3_u32 v146 /*v402*/, v146 /*v402*/, v154 /*v410*/, v155 /*v411*/
	s_set_vgpr_msb 0x41                     ;  msbs: dst=1 src0=1 src1=0 src2=0
	v_mul_i32_i24_e32 v154 /*v410*/, v206 /*v462*/, v191
	v_mul_i32_i24_e32 v155 /*v411*/, v207 /*v463*/, v193
	s_set_vgpr_msb 20                       ;  msbs: dst=0 src0=0 src1=1 src2=1
	v_add3_u32 v36, v36, v162 /*v418*/, v163 /*v419*/
	s_set_vgpr_msb 0x41                     ;  msbs: dst=1 src0=1 src1=0 src2=0
	v_mul_i32_i24_e32 v160 /*v416*/, v210 /*v466*/, v196
	v_mul_i32_i24_e32 v162 /*v418*/, v211 /*v467*/, v197
	;; [unrolled: 1-line block ×3, first 2 shown]
	s_set_vgpr_msb 0x55                     ;  msbs: dst=1 src0=1 src1=1 src2=1
	v_add3_u32 v146 /*v402*/, v146 /*v402*/, v154 /*v410*/, v155 /*v411*/
	s_set_vgpr_msb 20                       ;  msbs: dst=0 src0=0 src1=1 src2=1
	v_add3_u32 v36, v36, v164 /*v420*/, v165 /*v421*/
	s_set_vgpr_msb 0x41                     ;  msbs: dst=1 src0=1 src1=0 src2=0
	v_mul_i32_i24_e32 v164 /*v420*/, v213 /*v469*/, v199
	v_mul_i32_i24_e32 v165 /*v421*/, v214 /*v470*/, v200
	s_set_vgpr_msb 0x44                     ;  msbs: dst=1 src0=0 src1=1 src2=0
	v_pk_fma_f32 v[154:155] /*v[410:411]*/, v[94:95], v[174:175] /*v[430:431]*/, 0 op_sel_hi:[0,1,0]
	s_set_vgpr_msb 0x55                     ;  msbs: dst=1 src0=1 src1=1 src2=1
	v_add3_u32 v146 /*v402*/, v146 /*v402*/, v157 /*v413*/, v159 /*v415*/
	s_set_vgpr_msb 20                       ;  msbs: dst=0 src0=0 src1=1 src2=1
	v_add3_u32 v36, v36, v166 /*v422*/, v167 /*v423*/
	s_set_vgpr_msb 0x41                     ;  msbs: dst=1 src0=1 src1=0 src2=0
	v_mul_i32_i24_e32 v166 /*v422*/, v215 /*v471*/, v201
	v_mul_i32_i24_e32 v167 /*v423*/, v216 /*v472*/, v198
	s_set_vgpr_msb 0x54                     ;  msbs: dst=1 src0=0 src1=1 src2=1
	v_pk_fma_f32 v[154:155] /*v[410:411]*/, v[96:97], v[168:169] /*v[424:425]*/, v[154:155] /*v[410:411]*/ op_sel_hi:[0,1,1]
	s_set_vgpr_msb 0x55                     ;  msbs: dst=1 src0=1 src1=1 src2=1
	v_add3_u32 v146 /*v402*/, v146 /*v402*/, v160 /*v416*/, v162 /*v418*/
	s_set_vgpr_msb 20                       ;  msbs: dst=0 src0=0 src1=1 src2=1
	v_add3_u32 v36, v36, v170 /*v426*/, v171 /*v427*/
	s_set_vgpr_msb 0x41                     ;  msbs: dst=1 src0=1 src1=0 src2=0
	v_mul_i32_i24_e32 v170 /*v426*/, v217 /*v473*/, v202
	v_mul_i32_i24_e32 v171 /*v427*/, v218 /*v474*/, v203
	v_pk_mul_f32 v[154:155] /*v[410:411]*/, v[154:155] /*v[410:411]*/, v[12:13]
	s_set_vgpr_msb 0x55                     ;  msbs: dst=1 src0=1 src1=1 src2=1
	v_add3_u32 v146 /*v402*/, v146 /*v402*/, v163 /*v419*/, v164 /*v420*/
	s_set_vgpr_msb 20                       ;  msbs: dst=0 src0=0 src1=1 src2=1
	v_add3_u32 v36, v36, v178 /*v434*/, v179 /*v435*/
	s_set_vgpr_msb 0x41                     ;  msbs: dst=1 src0=1 src1=0 src2=0
	v_mul_i32_i24_e32 v178 /*v434*/, v219 /*v475*/, v204
	s_set_vgpr_msb 0x44                     ;  msbs: dst=1 src0=0 src1=1 src2=0
	v_mul_i32_i24_e32 v179 /*v435*/, v206, v220 /*v476*/
	s_set_vgpr_msb 0x55                     ;  msbs: dst=1 src0=1 src1=1 src2=1
	v_mul_i32_i24_e32 v157 /*v413*/, v54 /*v310*/, v194 /*v450*/
	v_add3_u32 v146 /*v402*/, v146 /*v402*/, v165 /*v421*/, v166 /*v422*/
	s_set_vgpr_msb 20                       ;  msbs: dst=0 src0=0 src1=1 src2=1
	v_add3_u32 v36, v36, v230 /*v486*/, v231 /*v487*/
	s_set_vgpr_msb 0x44                     ;  msbs: dst=1 src0=0 src1=1 src2=0
	v_mul_i32_i24_e32 v230 /*v486*/, v205, v180 /*v436*/
	v_mul_i32_i24_e32 v231 /*v487*/, v207, v221 /*v477*/
	s_set_vgpr_msb 0x55                     ;  msbs: dst=1 src0=1 src1=1 src2=1
	v_mul_i32_i24_e32 v160 /*v416*/, v55 /*v311*/, v197 /*v453*/
	v_add3_u32 v146 /*v402*/, v146 /*v402*/, v167 /*v423*/, v170 /*v426*/
	s_set_vgpr_msb 20                       ;  msbs: dst=0 src0=0 src1=1 src2=1
	v_add3_u32 v36, v36, v232 /*v488*/, v233 /*v489*/
	s_set_vgpr_msb 0x44                     ;  msbs: dst=1 src0=0 src1=1 src2=0
	v_mul_i32_i24_e32 v232 /*v488*/, v208, v222 /*v478*/
	;; [unrolled: 8-line block ×5, first 2 shown]
	s_set_vgpr_msb 0x41                     ;  msbs: dst=1 src0=1 src1=0 src2=0
	v_mul_i32_i24_e32 v239 /*v495*/, v227 /*v483*/, v215
	s_set_vgpr_msb 0x55                     ;  msbs: dst=1 src0=1 src1=1 src2=1
	v_mul_i32_i24_e32 v165 /*v421*/, v228 /*v484*/, v90 /*v346*/
	v_add3_u32 v146 /*v402*/, v146 /*v402*/, v233 /*v489*/, v234 /*v490*/
	s_set_vgpr_msb 20                       ;  msbs: dst=0 src0=0 src1=1 src2=1
	v_add3_u32 v36, v36, v240 /*v496*/, v241 /*v497*/
	s_set_vgpr_msb 0x55                     ;  msbs: dst=1 src0=1 src1=1 src2=1
	v_mul_i32_i24_e32 v166 /*v422*/, v229 /*v485*/, v91 /*v347*/
	v_add3_u32 v146 /*v402*/, v146 /*v402*/, v235 /*v491*/, v236 /*v492*/
	s_set_vgpr_msb 0                        ;  msbs: dst=0 src0=0 src1=0 src2=0
	v_mul_lo_u32 v36, v36, v107
	s_set_vgpr_msb 0x55                     ;  msbs: dst=1 src0=1 src1=1 src2=1
	s_delay_alu instid0(VALU_DEP_2) | instskip(NEXT) | instid1(VALU_DEP_1)
	v_add3_u32 v146 /*v402*/, v146 /*v402*/, v237 /*v493*/, v238 /*v494*/
	v_add3_u32 v146 /*v402*/, v146 /*v402*/, v239 /*v495*/, v242 /*v498*/
	s_set_vgpr_msb 64                       ;  msbs: dst=1 src0=0 src1=0 src2=0
	s_delay_alu instid0(VALU_DEP_3)
	v_cvt_f32_i32_e32 v151 /*v407*/, v36
	s_set_vgpr_msb 1                        ;  msbs: dst=0 src0=1 src1=0 src2=0
	v_mul_i32_i24_e32 v36, v145 /*v401*/, v97
	s_set_vgpr_msb 0x55                     ;  msbs: dst=1 src0=1 src1=1 src2=1
	v_add3_u32 v146 /*v402*/, v146 /*v402*/, v243 /*v499*/, v152 /*v408*/
	v_mul_i32_i24_e32 v152 /*v408*/, v49 /*v305*/, v191 /*v447*/
	v_pk_fma_f32 v[150:151] /*v[406:407]*/, v[172:173] /*v[428:429]*/, v[150:151] /*v[406:407]*/, 0 op_sel_hi:[1,1,0]
	s_set_vgpr_msb 5                        ;  msbs: dst=0 src0=1 src1=1 src2=0
	v_add3_u32 v36, v161 /*v417*/, v158 /*v414*/, v36
	s_set_vgpr_msb 0x45                     ;  msbs: dst=1 src0=1 src1=1 src2=0
	v_mul_i32_i24_e32 v161 /*v417*/, v198 /*v454*/, v61 /*v317*/
	s_set_vgpr_msb 0x41                     ;  msbs: dst=1 src0=1 src1=0 src2=0
	v_mul_lo_u32 v146 /*v402*/, v146 /*v402*/, v99
	s_set_vgpr_msb 0                        ;  msbs: dst=0 src0=0 src1=0 src2=0
	v_mul_lo_u32 v36, v36, v99
	s_set_vgpr_msb 0x45                     ;  msbs: dst=1 src0=1 src1=1 src2=0
	s_delay_alu instid0(VALU_DEP_2) | instskip(SKIP_2) | instid1(VALU_DEP_3)
	v_cvt_f32_i32_e32 v159 /*v415*/, v146 /*v402*/
	v_mul_i32_i24_e32 v146 /*v402*/, v188 /*v444*/, v47 /*v303*/
	s_set_vgpr_msb 64                       ;  msbs: dst=1 src0=0 src1=0 src2=0
	v_cvt_f32_i32_e32 v158 /*v414*/, v36
	s_set_vgpr_msb 4                        ;  msbs: dst=0 src0=0 src1=1 src2=0
	v_mul_i32_i24_e32 v36, v52, v30 /*v286*/
	v_mul_i32_i24_e32 v52, v54, v31 /*v287*/
	;; [unrolled: 1-line block ×5, first 2 shown]
	v_mad_i32_i24 v36, v53, v29 /*v285*/, v36
	v_mul_i32_i24_e32 v53, v58, v34 /*v290*/
	v_mul_i32_i24_e32 v58, v71, v38 /*v294*/
	;; [unrolled: 1-line block ×3, first 2 shown]
	s_set_vgpr_msb 0x55                     ;  msbs: dst=1 src0=1 src1=1 src2=1
	v_pk_fma_f32 v[150:151] /*v[406:407]*/, v[176:177] /*v[432:433]*/, v[158:159] /*v[414:415]*/, v[150:151] /*v[406:407]*/
	s_set_vgpr_msb 0                        ;  msbs: dst=0 src0=0 src1=0 src2=0
	v_add3_u32 v36, v36, v52, v54
	s_set_vgpr_msb 4                        ;  msbs: dst=0 src0=0 src1=1 src2=0
	v_mul_i32_i24_e32 v52, v56, v33 /*v289*/
	v_mul_i32_i24_e32 v54, v61, v35 /*v291*/
	;; [unrolled: 1-line block ×5, first 2 shown]
	s_set_vgpr_msb 0                        ;  msbs: dst=0 src0=0 src1=0 src2=0
	v_add3_u32 v36, v36, v52, v53
	s_set_vgpr_msb 5                        ;  msbs: dst=0 src0=1 src1=1 src2=0
	v_mul_i32_i24_e32 v52, v202 /*v458*/, v59 /*v315*/
	v_mul_i32_i24_e32 v53, v204 /*v460*/, v56 /*v312*/
	;; [unrolled: 1-line block ×4, first 2 shown]
	s_set_vgpr_msb 0                        ;  msbs: dst=0 src0=0 src1=0 src2=0
	v_add3_u32 v36, v36, v54, v55
	s_set_vgpr_msb 5                        ;  msbs: dst=0 src0=1 src1=1 src2=0
	v_mul_i32_i24_e32 v54, v205 /*v461*/, v62 /*v318*/
	v_mad_i32_i24 v52, v203 /*v459*/, v58 /*v314*/, v52
	v_mul_i32_i24_e32 v55, v208 /*v464*/, v60 /*v316*/
	s_set_vgpr_msb 0x51                     ;  msbs: dst=1 src0=1 src1=0 src2=1
	v_pk_fma_f32 v[150:151] /*v[406:407]*/, v[150:151] /*v[406:407]*/, v[4:5], v[154:155] /*v[410:411]*/ neg_lo:[0,0,1] neg_hi:[0,0,1]
	s_set_vgpr_msb 0                        ;  msbs: dst=0 src0=0 src1=0 src2=0
	v_add3_u32 v36, v36, v56, v58
	s_set_vgpr_msb 5                        ;  msbs: dst=0 src0=1 src1=1 src2=0
	v_mul_i32_i24_e32 v56, v209 /*v465*/, v69 /*v325*/
	s_set_vgpr_msb 0                        ;  msbs: dst=0 src0=0 src1=0 src2=0
	v_add3_u32 v52, v52, v53, v54
	s_set_vgpr_msb 5                        ;  msbs: dst=0 src0=1 src1=1 src2=0
	v_mul_i32_i24_e32 v53, v206 /*v462*/, v65 /*v321*/
	v_mul_i32_i24_e32 v54, v207 /*v463*/, v67 /*v323*/
	s_set_vgpr_msb 0                        ;  msbs: dst=0 src0=0 src1=0 src2=0
	v_add3_u32 v36, v36, v61, v67
	s_set_vgpr_msb 5                        ;  msbs: dst=0 src0=1 src1=1 src2=0
	v_mul_i32_i24_e32 v86, v186 /*v442*/, v45 /*v301*/
	v_mul_i32_i24_e32 v92, v187 /*v443*/, v46 /*v302*/
	;; [unrolled: 1-line block ×3, first 2 shown]
	s_set_vgpr_msb 0                        ;  msbs: dst=0 src0=0 src1=0 src2=0
	v_add3_u32 v52, v52, v53, v54
	v_add3_u32 v36, v36, v69, v71
	s_set_vgpr_msb 5                        ;  msbs: dst=0 src0=1 src1=1 src2=0
	v_mul_i32_i24_e32 v61, v211 /*v467*/, v71 /*v327*/
	s_set_vgpr_msb 4                        ;  msbs: dst=0 src0=0 src1=1 src2=0
	v_pk_add_f32 v[26:27], v[26:27], v[150:151] /*v[406:407]*/
	s_set_vgpr_msb 0x45                     ;  msbs: dst=1 src0=1 src1=1 src2=0
	v_mul_i32_i24_e32 v150 /*v406*/, v189 /*v445*/, v48 /*v304*/
	s_set_vgpr_msb 0                        ;  msbs: dst=0 src0=0 src1=0 src2=0
	v_add3_u32 v52, v52, v55, v56
	v_add3_u32 v36, v36, v82, v84
	s_set_vgpr_msb 5                        ;  msbs: dst=0 src0=1 src1=1 src2=0
	v_mul_i32_i24_e32 v67, v212 /*v468*/, v68 /*v324*/
	v_mul_i32_i24_e32 v69, v213 /*v469*/, v73 /*v329*/
	s_set_vgpr_msb 0x45                     ;  msbs: dst=1 src0=1 src1=1 src2=0
	v_mul_i32_i24_e32 v151 /*v407*/, v50 /*v306*/, v190 /*v446*/
	s_set_vgpr_msb 0                        ;  msbs: dst=0 src0=0 src1=0 src2=0
	v_add3_u32 v52, v52, v58, v61
	v_add3_u32 v36, v36, v86, v92
	s_set_vgpr_msb 5                        ;  msbs: dst=0 src0=1 src1=1 src2=0
	v_mul_i32_i24_e32 v71, v214 /*v470*/, v74 /*v330*/
	v_mul_i32_i24_e32 v82, v215 /*v471*/, v75 /*v331*/
	s_set_vgpr_msb 0x45                     ;  msbs: dst=1 src0=1 src1=1 src2=0
	v_mul_i32_i24_e32 v154 /*v410*/, v52 /*v308*/, v192 /*v448*/
	s_set_vgpr_msb 0                        ;  msbs: dst=0 src0=0 src1=0 src2=0
	v_add3_u32 v52, v52, v67, v69
	s_set_vgpr_msb 20                       ;  msbs: dst=0 src0=0 src1=1 src2=1
	v_add3_u32 v36, v36, v146 /*v402*/, v150 /*v406*/
	s_set_vgpr_msb 0x45                     ;  msbs: dst=1 src0=1 src1=1 src2=0
	v_mul_i32_i24_e32 v155 /*v411*/, v51 /*v307*/, v193 /*v449*/
	s_set_vgpr_msb 5                        ;  msbs: dst=0 src0=1 src1=1 src2=0
	v_mul_i32_i24_e32 v84, v216 /*v472*/, v72 /*v328*/
	v_mul_i32_i24_e32 v86, v217 /*v473*/, v76 /*v332*/
	s_set_vgpr_msb 0                        ;  msbs: dst=0 src0=0 src1=0 src2=0
	v_add3_u32 v52, v52, v71, v82
	s_set_vgpr_msb 20                       ;  msbs: dst=0 src0=0 src1=1 src2=1
	v_add3_u32 v36, v36, v151 /*v407*/, v152 /*v408*/
	s_set_vgpr_msb 0x45                     ;  msbs: dst=1 src0=1 src1=1 src2=0
	v_mul_i32_i24_e32 v158 /*v414*/, v53 /*v309*/, v195 /*v451*/
	s_set_vgpr_msb 5                        ;  msbs: dst=0 src0=1 src1=1 src2=0
	v_mul_i32_i24_e32 v92, v218 /*v474*/, v77 /*v333*/
	s_set_vgpr_msb 0x45                     ;  msbs: dst=1 src0=1 src1=1 src2=0
	v_mul_i32_i24_e32 v146 /*v402*/, v219 /*v475*/, v78 /*v334*/
	s_set_vgpr_msb 0                        ;  msbs: dst=0 src0=0 src1=0 src2=0
	v_add3_u32 v52, v52, v84, v86
	s_set_vgpr_msb 20                       ;  msbs: dst=0 src0=0 src1=1 src2=1
	v_add3_u32 v36, v36, v154 /*v410*/, v155 /*v411*/
	s_set_vgpr_msb 0x45                     ;  msbs: dst=1 src0=1 src1=1 src2=0
	v_mul_i32_i24_e32 v159 /*v415*/, v57 /*v313*/, v196 /*v452*/
	v_mul_i32_i24_e32 v150 /*v406*/, v80 /*v336*/, v220 /*v476*/
	;; [unrolled: 1-line block ×3, first 2 shown]
	s_set_vgpr_msb 16                       ;  msbs: dst=0 src0=0 src1=0 src2=1
	v_add3_u32 v52, v52, v92, v146 /*v402*/
	s_set_vgpr_msb 20                       ;  msbs: dst=0 src0=0 src1=1 src2=1
	v_add3_u32 v36, v36, v157 /*v413*/, v158 /*v414*/
	s_set_vgpr_msb 0x45                     ;  msbs: dst=1 src0=1 src1=1 src2=0
	v_mul_i32_i24_e32 v152 /*v408*/, v81 /*v337*/, v221 /*v477*/
	v_mul_i32_i24_e32 v154 /*v410*/, v82 /*v338*/, v222 /*v478*/
	v_mul_i32_i24_e32 v155 /*v411*/, v84 /*v340*/, v223 /*v479*/
	s_set_vgpr_msb 20                       ;  msbs: dst=0 src0=0 src1=1 src2=1
	v_add3_u32 v52, v52, v150 /*v406*/, v151 /*v407*/
	v_add3_u32 v36, v36, v159 /*v415*/, v160 /*v416*/
	s_set_vgpr_msb 0x45                     ;  msbs: dst=1 src0=1 src1=1 src2=0
	v_mul_i32_i24_e32 v157 /*v413*/, v83 /*v339*/, v181 /*v437*/
	s_set_vgpr_msb 21                       ;  msbs: dst=0 src0=1 src1=1 src2=1
	v_add3_u32 v53, v149 /*v405*/, v147 /*v403*/, v148 /*v404*/
	s_set_vgpr_msb 0x45                     ;  msbs: dst=1 src0=1 src1=1 src2=0
	v_mul_i32_i24_e32 v158 /*v414*/, v85 /*v341*/, v224 /*v480*/
	s_set_vgpr_msb 20                       ;  msbs: dst=0 src0=0 src1=1 src2=1
	v_add3_u32 v52, v52, v152 /*v408*/, v154 /*v410*/
	v_add3_u32 v36, v36, v161 /*v417*/, v162 /*v418*/
	s_set_vgpr_msb 0x45                     ;  msbs: dst=1 src0=1 src1=1 src2=0
	v_mul_i32_i24_e32 v159 /*v415*/, v86 /*v342*/, v225 /*v481*/
	s_set_vgpr_msb 4                        ;  msbs: dst=0 src0=0 src1=1 src2=0
	v_mul_lo_u32 v53, v53, v28 /*v284*/
	s_set_vgpr_msb 0x45                     ;  msbs: dst=1 src0=1 src1=1 src2=0
	v_mul_i32_i24_e32 v160 /*v416*/, v88 /*v344*/, v226 /*v482*/
	s_set_vgpr_msb 20                       ;  msbs: dst=0 src0=0 src1=1 src2=1
	v_add3_u32 v52, v52, v155 /*v411*/, v157 /*v413*/
	v_add3_u32 v36, v36, v163 /*v419*/, v164 /*v420*/
	s_set_vgpr_msb 0x45                     ;  msbs: dst=1 src0=1 src1=1 src2=0
	v_mul_i32_i24_e32 v161 /*v417*/, v87 /*v343*/, v182 /*v438*/
	v_mul_i32_i24_e32 v162 /*v418*/, v227 /*v483*/, v89 /*v345*/
	s_set_vgpr_msb 0x44                     ;  msbs: dst=1 src0=0 src1=1 src2=0
	v_pk_fma_f32 v[148:149] /*v[404:405]*/, v[108:109], v[174:175] /*v[430:431]*/, 0 op_sel_hi:[0,1,0]
	s_set_vgpr_msb 20                       ;  msbs: dst=0 src0=0 src1=1 src2=1
	v_add3_u32 v52, v52, v158 /*v414*/, v159 /*v415*/
	v_mul_lo_u32 v36, v36, v28 /*v284*/
	s_set_vgpr_msb 64                       ;  msbs: dst=1 src0=0 src1=0 src2=0
	v_cvt_f32_i32_e32 v146 /*v402*/, v53
	s_set_vgpr_msb 20                       ;  msbs: dst=0 src0=0 src1=1 src2=1
	v_add3_u32 v52, v52, v160 /*v416*/, v161 /*v417*/
	s_set_vgpr_msb 5                        ;  msbs: dst=0 src0=1 src1=1 src2=0
	v_mul_i32_i24_e32 v53, v183 /*v439*/, v26 /*v282*/
	s_set_vgpr_msb 0x54                     ;  msbs: dst=1 src0=0 src1=1 src2=1
	v_pk_fma_f32 v[148:149] /*v[404:405]*/, v[106:107], v[168:169] /*v[424:425]*/, v[148:149] /*v[404:405]*/ op_sel_hi:[0,1,1]
	s_set_vgpr_msb 20                       ;  msbs: dst=0 src0=0 src1=1 src2=1
	v_add3_u32 v52, v52, v162 /*v418*/, v165 /*v421*/
	s_set_vgpr_msb 64                       ;  msbs: dst=1 src0=0 src1=0 src2=0
	v_cvt_f32_i32_e32 v147 /*v403*/, v36
	s_set_vgpr_msb 5                        ;  msbs: dst=0 src0=1 src1=1 src2=0
	v_mul_i32_i24_e32 v36, v145 /*v401*/, v26 /*v282*/
	s_set_vgpr_msb 0x41                     ;  msbs: dst=1 src0=1 src1=0 src2=0
	v_pk_mul_f32 v[148:149] /*v[404:405]*/, v[148:149] /*v[404:405]*/, v[14:15]
	s_set_vgpr_msb 4                        ;  msbs: dst=0 src0=0 src1=1 src2=0
	v_add3_u32 v52, v52, v166 /*v422*/, v53
	s_set_vgpr_msb 0x45                     ;  msbs: dst=1 src0=1 src1=1 src2=0
	v_pk_fma_f32 v[146:147] /*v[402:403]*/, v[172:173] /*v[428:429]*/, v[146:147] /*v[402:403]*/, 0 op_sel_hi:[1,1,0]
	s_set_vgpr_msb 5                        ;  msbs: dst=0 src0=1 src1=1 src2=0
	v_add3_u32 v36, v156 /*v412*/, v153 /*v409*/, v36
	s_set_vgpr_msb 4                        ;  msbs: dst=0 src0=0 src1=1 src2=0
	v_mul_lo_u32 v52, v52, v27 /*v283*/
	s_delay_alu instid0(VALU_DEP_2) | instskip(SKIP_1) | instid1(VALU_DEP_2)
	v_mul_lo_u32 v36, v36, v27 /*v283*/
	s_set_vgpr_msb 64                       ;  msbs: dst=1 src0=0 src1=0 src2=0
	v_cvt_f32_i32_e32 v151 /*v407*/, v52
	s_delay_alu instid0(VALU_DEP_2) | instskip(SKIP_3) | instid1(VALU_DEP_2)
	v_cvt_f32_i32_e32 v150 /*v406*/, v36
	s_set_vgpr_msb 0                        ;  msbs: dst=0 src0=0 src1=0 src2=0
	v_or_b32_e32 v36, s13, v143
	s_set_vgpr_msb 0x55                     ;  msbs: dst=1 src0=1 src1=1 src2=1
	v_pk_fma_f32 v[146:147] /*v[402:403]*/, v[176:177] /*v[432:433]*/, v[150:151] /*v[406:407]*/, v[146:147] /*v[402:403]*/
	s_set_vgpr_msb 0                        ;  msbs: dst=0 src0=0 src1=0 src2=0
	s_delay_alu instid0(VALU_DEP_2) | instskip(SKIP_4) | instid1(VALU_DEP_1)
	v_lshlrev_b32_e32 v52, 2, v36
	s_set_vgpr_msb 0x51                     ;  msbs: dst=1 src0=1 src1=0 src2=1
	v_lshrrev_b32_e32 v167 /*v423*/, 1, v36
	v_pk_fma_f32 v[146:147] /*v[402:403]*/, v[146:147] /*v[402:403]*/, v[6:7], v[148:149] /*v[404:405]*/ neg_lo:[0,0,1] neg_hi:[0,0,1]
	s_set_vgpr_msb 4                        ;  msbs: dst=0 src0=0 src1=1 src2=0
	v_pk_add_f32 v[24:25], v[24:25], v[146:147] /*v[402:403]*/
	s_set_vgpr_msb 64                       ;  msbs: dst=1 src0=0 src1=0 src2=0
	ds_load_b128 v[146:149] /*v[402:405]*/, v52 offset:16896
	ds_load_b128 v[150:153] /*v[406:409]*/, v52 offset:16912
	;; [unrolled: 1-line block ×4, first 2 shown]
	s_wait_dscnt 0x3
	s_set_vgpr_msb 1                        ;  msbs: dst=0 src0=1 src1=0 src2=0
	v_bfe_i32 v36, v146 /*v402*/, 0, 8
	v_bfe_i32 v52, v146 /*v402*/, 8, 8
	;; [unrolled: 1-line block ×3, first 2 shown]
	s_set_vgpr_msb 4                        ;  msbs: dst=0 src0=0 src1=1 src2=0
	v_ashrrev_i32_e32 v54, 24, v146 /*v402*/
	s_wait_dscnt 0x2
	s_set_vgpr_msb 0x44                     ;  msbs: dst=1 src0=0 src1=1 src2=0
	v_dual_ashrrev_i32 v146 /*v402*/, 24, v149 /*v405*/ :: v_dual_ashrrev_i32 v170 /*v426*/, 24, v151 /*v407*/
	s_set_vgpr_msb 0x41                     ;  msbs: dst=1 src0=1 src1=0 src2=0
	v_bfe_i32 v166 /*v422*/, v151 /*v407*/, 0, 8
	v_bfe_i32 v168 /*v424*/, v151 /*v407*/, 8, 8
	;; [unrolled: 1-line block ×3, first 2 shown]
	s_set_vgpr_msb 64                       ;  msbs: dst=1 src0=0 src1=0 src2=0
	v_mul_i32_i24_e32 v151 /*v407*/, v36, v119
	s_set_vgpr_msb 1                        ;  msbs: dst=0 src0=1 src1=0 src2=0
	v_bfe_i32 v55, v147 /*v403*/, 0, 8
	v_bfe_i32 v56, v147 /*v403*/, 8, 8
	s_set_vgpr_msb 0x41                     ;  msbs: dst=1 src0=1 src1=0 src2=0
	v_bfe_i32 v171 /*v427*/, v152 /*v408*/, 0, 8
	v_bfe_i32 v172 /*v428*/, v152 /*v408*/, 8, 8
	;; [unrolled: 1-line block ×3, first 2 shown]
	s_set_vgpr_msb 0x44                     ;  msbs: dst=1 src0=0 src1=1 src2=0
	v_dual_ashrrev_i32 v174 /*v430*/, 24, v152 /*v408*/ :: v_dual_ashrrev_i32 v178 /*v434*/, 24, v153 /*v409*/
	s_set_vgpr_msb 0x41                     ;  msbs: dst=1 src0=1 src1=0 src2=0
	v_bfe_i32 v175 /*v431*/, v153 /*v409*/, 0, 8
	v_bfe_i32 v176 /*v432*/, v153 /*v409*/, 8, 8
	;; [unrolled: 1-line block ×3, first 2 shown]
	s_set_vgpr_msb 0x44                     ;  msbs: dst=1 src0=0 src1=1 src2=0
	v_mul_i32_i24_e32 v152 /*v408*/, v53, v92 /*v348*/
	v_mul_i32_i24_e32 v153 /*v409*/, v54, v93 /*v349*/
	s_set_vgpr_msb 0x50                     ;  msbs: dst=1 src0=0 src1=0 src2=1
	v_mad_i32_i24 v151 /*v407*/, v52, v118, v151 /*v407*/
	s_set_vgpr_msb 1                        ;  msbs: dst=0 src0=1 src1=0 src2=0
	v_bfe_i32 v58, v147 /*v403*/, 16, 8
	s_set_vgpr_msb 4                        ;  msbs: dst=0 src0=0 src1=1 src2=0
	v_dual_ashrrev_i32 v61, 24, v147 /*v403*/ :: v_dual_ashrrev_i32 v82, 24, v148 /*v404*/
	s_set_vgpr_msb 1                        ;  msbs: dst=0 src0=1 src1=0 src2=0
	v_bfe_i32 v67, v148 /*v404*/, 0, 8
	s_set_vgpr_msb 0x55                     ;  msbs: dst=1 src0=1 src1=1 src2=1
	v_add3_u32 v151 /*v407*/, v151 /*v407*/, v152 /*v408*/, v153 /*v409*/
	s_set_vgpr_msb 0x44                     ;  msbs: dst=1 src0=0 src1=1 src2=0
	v_mul_i32_i24_e32 v152 /*v408*/, v55, v94 /*v350*/
	v_mul_i32_i24_e32 v153 /*v409*/, v56, v95 /*v351*/
	s_set_vgpr_msb 1                        ;  msbs: dst=0 src0=1 src1=0 src2=0
	v_bfe_i32 v69, v148 /*v404*/, 8, 8
	s_wait_dscnt 0x1
	s_set_vgpr_msb 0x41                     ;  msbs: dst=1 src0=1 src1=0 src2=0
	v_bfe_i32 v179 /*v435*/, v154 /*v410*/, 0, 8
	v_bfe_i32 v180 /*v436*/, v154 /*v410*/, 8, 8
	;; [unrolled: 1-line block ×3, first 2 shown]
	s_set_vgpr_msb 0x44                     ;  msbs: dst=1 src0=0 src1=1 src2=0
	v_dual_ashrrev_i32 v182 /*v438*/, 24, v154 /*v410*/ :: v_dual_ashrrev_i32 v186 /*v442*/, 24, v155 /*v411*/
	s_set_vgpr_msb 0x41                     ;  msbs: dst=1 src0=1 src1=0 src2=0
	v_bfe_i32 v183 /*v439*/, v155 /*v411*/, 0, 8
	v_bfe_i32 v184 /*v440*/, v155 /*v411*/, 8, 8
	;; [unrolled: 1-line block ×3, first 2 shown]
	s_set_vgpr_msb 0x44                     ;  msbs: dst=1 src0=0 src1=1 src2=0
	v_mul_i32_i24_e32 v154 /*v410*/, v58, v96 /*v352*/
	v_mul_i32_i24_e32 v155 /*v411*/, v61, v97 /*v353*/
	s_set_vgpr_msb 0x55                     ;  msbs: dst=1 src0=1 src1=1 src2=1
	v_add3_u32 v151 /*v407*/, v151 /*v407*/, v152 /*v408*/, v153 /*v409*/
	s_set_vgpr_msb 1                        ;  msbs: dst=0 src0=1 src1=0 src2=0
	v_bfe_i32 v71, v148 /*v404*/, 16, 8
	s_set_vgpr_msb 0x41                     ;  msbs: dst=1 src0=1 src1=0 src2=0
	v_bfe_i32 v187 /*v443*/, v156 /*v412*/, 0, 8
	v_bfe_i32 v188 /*v444*/, v156 /*v412*/, 8, 8
	;; [unrolled: 1-line block ×3, first 2 shown]
	s_set_vgpr_msb 0x44                     ;  msbs: dst=1 src0=0 src1=1 src2=0
	v_dual_ashrrev_i32 v190 /*v446*/, 24, v156 /*v412*/ :: v_dual_ashrrev_i32 v194 /*v450*/, 24, v157 /*v413*/
	s_set_vgpr_msb 0x41                     ;  msbs: dst=1 src0=1 src1=0 src2=0
	v_bfe_i32 v191 /*v447*/, v157 /*v413*/, 0, 8
	v_bfe_i32 v192 /*v448*/, v157 /*v413*/, 8, 8
	;; [unrolled: 1-line block ×3, first 2 shown]
	s_set_vgpr_msb 0x44                     ;  msbs: dst=1 src0=0 src1=1 src2=0
	v_mul_i32_i24_e32 v156 /*v412*/, v67, v98 /*v354*/
	v_mul_i32_i24_e32 v157 /*v413*/, v69, v99 /*v355*/
	s_set_vgpr_msb 0x55                     ;  msbs: dst=1 src0=1 src1=1 src2=1
	v_add3_u32 v151 /*v407*/, v151 /*v407*/, v154 /*v410*/, v155 /*v411*/
	s_set_vgpr_msb 1                        ;  msbs: dst=0 src0=1 src1=0 src2=0
	v_bfe_i32 v84, v149 /*v405*/, 0, 8
	v_bfe_i32 v86, v149 /*v405*/, 8, 8
	s_wait_dscnt 0x0
	s_set_vgpr_msb 0x41                     ;  msbs: dst=1 src0=1 src1=0 src2=0
	v_bfe_i32 v195 /*v451*/, v158 /*v414*/, 0, 8
	v_bfe_i32 v196 /*v452*/, v158 /*v414*/, 8, 8
	v_bfe_i32 v197 /*v453*/, v158 /*v414*/, 16, 8
	s_set_vgpr_msb 0x44                     ;  msbs: dst=1 src0=0 src1=1 src2=0
	v_dual_ashrrev_i32 v198 /*v454*/, 24, v158 /*v414*/ :: v_dual_ashrrev_i32 v202 /*v458*/, 24, v159 /*v415*/
	s_set_vgpr_msb 0x41                     ;  msbs: dst=1 src0=1 src1=0 src2=0
	v_bfe_i32 v199 /*v455*/, v159 /*v415*/, 0, 8
	v_bfe_i32 v200 /*v456*/, v159 /*v415*/, 8, 8
	;; [unrolled: 1-line block ×3, first 2 shown]
	s_set_vgpr_msb 0x44                     ;  msbs: dst=1 src0=0 src1=1 src2=0
	v_mul_i32_i24_e32 v158 /*v414*/, v71, v100 /*v356*/
	v_mul_i32_i24_e32 v159 /*v415*/, v82, v101 /*v357*/
	s_set_vgpr_msb 0x55                     ;  msbs: dst=1 src0=1 src1=1 src2=1
	v_add3_u32 v151 /*v407*/, v151 /*v407*/, v156 /*v412*/, v157 /*v413*/
	s_set_vgpr_msb 1                        ;  msbs: dst=0 src0=1 src1=0 src2=0
	v_bfe_i32 v92, v149 /*v405*/, 16, 8
	s_set_vgpr_msb 0x41                     ;  msbs: dst=1 src0=1 src1=0 src2=0
	v_bfe_i32 v203 /*v459*/, v160 /*v416*/, 0, 8
	v_bfe_i32 v204 /*v460*/, v160 /*v416*/, 8, 8
	;; [unrolled: 1-line block ×3, first 2 shown]
	s_set_vgpr_msb 0x44                     ;  msbs: dst=1 src0=0 src1=1 src2=0
	v_dual_ashrrev_i32 v206 /*v462*/, 24, v160 /*v416*/ :: v_dual_ashrrev_i32 v145 /*v401*/, 24, v161 /*v417*/
	s_set_vgpr_msb 0x41                     ;  msbs: dst=1 src0=1 src1=0 src2=0
	v_bfe_i32 v207 /*v463*/, v161 /*v417*/, 0, 8
	v_bfe_i32 v208 /*v464*/, v161 /*v417*/, 8, 8
	;; [unrolled: 1-line block ×3, first 2 shown]
	s_set_vgpr_msb 0x44                     ;  msbs: dst=1 src0=0 src1=1 src2=0
	v_mul_i32_i24_e32 v160 /*v416*/, v84, v102 /*v358*/
	v_mul_i32_i24_e32 v161 /*v417*/, v86, v103 /*v359*/
	s_set_vgpr_msb 0x55                     ;  msbs: dst=1 src0=1 src1=1 src2=1
	v_add3_u32 v151 /*v407*/, v151 /*v407*/, v158 /*v414*/, v159 /*v415*/
	v_bfe_i32 v147 /*v403*/, v150 /*v406*/, 0, 8
	v_bfe_i32 v148 /*v404*/, v150 /*v406*/, 8, 8
	s_set_vgpr_msb 0x44                     ;  msbs: dst=1 src0=0 src1=1 src2=0
	v_mul_i32_i24_e32 v162 /*v418*/, v92, v104 /*v360*/
	s_set_vgpr_msb 0x55                     ;  msbs: dst=1 src0=1 src1=1 src2=1
	v_mul_i32_i24_e32 v165 /*v421*/, v146 /*v402*/, v105 /*v361*/
	v_add3_u32 v151 /*v407*/, v151 /*v407*/, v160 /*v416*/, v161 /*v417*/
	v_bfe_i32 v149 /*v405*/, v150 /*v406*/, 16, 8
	v_ashrrev_i32_e32 v150 /*v406*/, 24, v150 /*v406*/
	v_mul_i32_i24_e32 v210 /*v466*/, v147 /*v403*/, v106 /*v362*/
	v_mul_i32_i24_e32 v211 /*v467*/, v148 /*v404*/, v107 /*v363*/
	v_add3_u32 v151 /*v407*/, v151 /*v407*/, v162 /*v418*/, v165 /*v421*/
	v_mul_i32_i24_e32 v212 /*v468*/, v149 /*v405*/, v108 /*v364*/
	v_mul_i32_i24_e32 v213 /*v469*/, v150 /*v406*/, v109 /*v365*/
	v_mul_i32_i24_e32 v214 /*v470*/, v111 /*v367*/, v166 /*v422*/
	v_mul_i32_i24_e32 v215 /*v471*/, v110 /*v366*/, v168 /*v424*/
	v_add3_u32 v151 /*v407*/, v151 /*v407*/, v210 /*v466*/, v211 /*v467*/
	v_mul_i32_i24_e32 v216 /*v472*/, v113 /*v369*/, v169 /*v425*/
	v_mul_i32_i24_e32 v217 /*v473*/, v112 /*v368*/, v170 /*v426*/
	;; [unrolled: 5-line block ×4, first 2 shown]
	v_mul_i32_i24_e32 v154 /*v410*/, v133 /*v389*/, v185 /*v441*/
	v_mul_i32_i24_e32 v155 /*v411*/, v115 /*v371*/, v186 /*v442*/
	v_add3_u32 v151 /*v407*/, v151 /*v407*/, v216 /*v472*/, v217 /*v473*/
	s_set_vgpr_msb 0x44                     ;  msbs: dst=1 src0=0 src1=1 src2=0
	v_mul_i32_i24_e32 v156 /*v412*/, v114, v187 /*v443*/
	s_set_vgpr_msb 0x55                     ;  msbs: dst=1 src0=1 src1=1 src2=1
	v_mul_i32_i24_e32 v157 /*v413*/, v136 /*v392*/, v188 /*v444*/
	v_mul_i32_i24_e32 v158 /*v414*/, v135 /*v391*/, v189 /*v445*/
	v_mul_i32_i24_e32 v159 /*v415*/, v116 /*v372*/, v190 /*v446*/
	v_add3_u32 v151 /*v407*/, v151 /*v407*/, v218 /*v474*/, v219 /*v475*/
	s_set_vgpr_msb 0x44                     ;  msbs: dst=1 src0=0 src1=1 src2=0
	v_mul_i32_i24_e32 v160 /*v416*/, v115, v191 /*v447*/
	s_set_vgpr_msb 0x55                     ;  msbs: dst=1 src0=1 src1=1 src2=1
	v_mul_i32_i24_e32 v162 /*v418*/, v138 /*v394*/, v192 /*v448*/
	;; [unrolled: 7-line block ×3, first 2 shown]
	v_mul_i32_i24_e32 v214 /*v470*/, v139 /*v395*/, v197 /*v453*/
	v_mul_i32_i24_e32 v215 /*v471*/, v118 /*v374*/, v198 /*v454*/
	v_add3_u32 v165 /*v421*/, v151 /*v407*/, v222 /*v478*/, v223 /*v479*/
	s_set_vgpr_msb 0x44                     ;  msbs: dst=1 src0=0 src1=1 src2=0
	v_mul_i32_i24_e32 v151 /*v407*/, v116, v179 /*v435*/
	v_mul_i32_i24_e32 v216 /*v472*/, v111, v199 /*v455*/
	s_set_vgpr_msb 0x45                     ;  msbs: dst=1 src0=1 src1=1 src2=0
	v_mul_i32_i24_e32 v217 /*v473*/, v142 /*v398*/, v200 /*v456*/
	v_mul_i32_i24_e32 v218 /*v474*/, v141 /*v397*/, v201 /*v457*/
	;; [unrolled: 1-line block ×3, first 2 shown]
	s_set_vgpr_msb 0x54                     ;  msbs: dst=1 src0=0 src1=1 src2=1
	v_mad_i32_i24 v151 /*v407*/, v113, v180 /*v436*/, v151 /*v407*/
	v_mul_i32_i24_e32 v220 /*v476*/, v112, v203 /*v459*/
	s_set_vgpr_msb 0x55                     ;  msbs: dst=1 src0=1 src1=1 src2=1
	v_mul_i32_i24_e32 v221 /*v477*/, v144 /*v400*/, v204 /*v460*/
	v_mul_i32_i24_e32 v222 /*v478*/, v143 /*v399*/, v205 /*v461*/
	;; [unrolled: 1-line block ×3, first 2 shown]
	v_add3_u32 v151 /*v407*/, v151 /*v407*/, v152 /*v408*/, v153 /*v409*/
	s_set_vgpr_msb 0x44                     ;  msbs: dst=1 src0=0 src1=1 src2=0
	v_mul_i32_i24_e32 v152 /*v408*/, v117, v183 /*v439*/
	s_set_vgpr_msb 0x45                     ;  msbs: dst=1 src0=1 src1=1 src2=0
	v_mul_i32_i24_e32 v153 /*v409*/, v134 /*v390*/, v184 /*v440*/
	v_mul_i32_i24_e32 v224 /*v480*/, v207 /*v463*/, v124 /*v380*/
	;; [unrolled: 1-line block ×3, first 2 shown]
	s_set_vgpr_msb 0x44                     ;  msbs: dst=1 src0=0 src1=1 src2=0
	v_mul_i32_i24_e32 v226 /*v482*/, v245, v174 /*v430*/
	s_set_vgpr_msb 0x41                     ;  msbs: dst=1 src0=1 src1=0 src2=0
	v_mul_i32_i24_e32 v227 /*v483*/, v175 /*v431*/, v251
	s_set_vgpr_msb 0x55                     ;  msbs: dst=1 src0=1 src1=1 src2=1
	v_add3_u32 v151 /*v407*/, v151 /*v407*/, v152 /*v408*/, v153 /*v409*/
	s_set_vgpr_msb 64                       ;  msbs: dst=1 src0=0 src1=0 src2=0
	v_mul_i32_i24_e32 v152 /*v408*/, v53, v221
	v_mul_i32_i24_e32 v153 /*v409*/, v54, v222
	s_set_vgpr_msb 0x41                     ;  msbs: dst=1 src0=1 src1=0 src2=0
	v_mul_i32_i24_e32 v228 /*v484*/, v176 /*v432*/, v253
	s_set_vgpr_msb 0x55                     ;  msbs: dst=1 src0=1 src1=1 src2=1
	v_mul_i32_i24_e32 v229 /*v485*/, v207 /*v463*/, v23 /*v279*/
	v_add3_u32 v151 /*v407*/, v151 /*v407*/, v154 /*v410*/, v155 /*v411*/
	s_set_vgpr_msb 64                       ;  msbs: dst=1 src0=0 src1=0 src2=0
	v_mul_i32_i24_e32 v154 /*v410*/, v58, v225
	v_mul_i32_i24_e32 v155 /*v411*/, v61, v226
	s_set_vgpr_msb 0x45                     ;  msbs: dst=1 src0=1 src1=1 src2=0
	v_mul_i32_i24_e32 v230 /*v486*/, v208 /*v464*/, v24 /*v280*/
	s_set_vgpr_msb 0x44                     ;  msbs: dst=1 src0=0 src1=1 src2=0
	v_mul_i32_i24_e32 v231 /*v487*/, v181, v174 /*v430*/
	s_set_vgpr_msb 0x55                     ;  msbs: dst=1 src0=1 src1=1 src2=1
	v_add3_u32 v151 /*v407*/, v151 /*v407*/, v156 /*v412*/, v157 /*v413*/
	s_set_vgpr_msb 64                       ;  msbs: dst=1 src0=0 src1=0 src2=0
	v_mul_i32_i24_e32 v156 /*v412*/, v67, v227
	v_mul_i32_i24_e32 v157 /*v413*/, v69, v228
	s_set_vgpr_msb 0x41                     ;  msbs: dst=1 src0=1 src1=0 src2=0
	v_mul_i32_i24_e32 v232 /*v488*/, v175 /*v431*/, v187
	v_mul_i32_i24_e32 v233 /*v489*/, v176 /*v432*/, v189
	s_set_vgpr_msb 0x55                     ;  msbs: dst=1 src0=1 src1=1 src2=1
	v_add3_u32 v151 /*v407*/, v151 /*v407*/, v158 /*v414*/, v159 /*v415*/
	v_mul_i32_i24_e32 v163 /*v419*/, v177 /*v433*/, v130 /*v386*/
	s_set_vgpr_msb 0x41                     ;  msbs: dst=1 src0=1 src1=0 src2=0
	v_mul_i32_i24_e32 v158 /*v414*/, v177 /*v433*/, v254
	v_mul_i32_i24_e32 v234 /*v490*/, v207 /*v463*/, v215
	;; [unrolled: 1-line block ×3, first 2 shown]
	s_set_vgpr_msb 0x55                     ;  msbs: dst=1 src0=1 src1=1 src2=1
	v_add3_u32 v151 /*v407*/, v151 /*v407*/, v160 /*v416*/, v162 /*v418*/
	s_set_vgpr_msb 64                       ;  msbs: dst=1 src0=0 src1=0 src2=0
	v_mul_i32_i24_e32 v160 /*v416*/, v71, v229
	s_set_vgpr_msb 0x55                     ;  msbs: dst=1 src0=1 src1=1 src2=1
	v_mul_i32_i24_e32 v164 /*v420*/, v178 /*v434*/, v131 /*v387*/
	v_mul_i32_i24_e32 v159 /*v415*/, v178 /*v434*/, v0 /*v256*/
	;; [unrolled: 1-line block ×3, first 2 shown]
	v_add3_u32 v151 /*v407*/, v151 /*v407*/, v210 /*v466*/, v211 /*v467*/
	s_set_vgpr_msb 64                       ;  msbs: dst=1 src0=0 src1=0 src2=0
	v_mul_i32_i24_e32 v210 /*v466*/, v82, v230
	v_mul_i32_i24_e32 v211 /*v467*/, v84, v231
	s_set_vgpr_msb 0x55                     ;  msbs: dst=1 src0=1 src1=1 src2=1
	v_add3_u32 v151 /*v407*/, v151 /*v407*/, v212 /*v468*/, v213 /*v469*/
	s_set_vgpr_msb 64                       ;  msbs: dst=1 src0=0 src1=0 src2=0
	v_mul_i32_i24_e32 v212 /*v468*/, v86, v232
	v_mul_i32_i24_e32 v213 /*v469*/, v92, v233
	s_set_vgpr_msb 0x55                     ;  msbs: dst=1 src0=1 src1=1 src2=1
	v_add3_u32 v151 /*v407*/, v151 /*v407*/, v214 /*v470*/, v215 /*v471*/
	s_set_vgpr_msb 0x41                     ;  msbs: dst=1 src0=1 src1=0 src2=0
	v_mul_i32_i24_e32 v214 /*v470*/, v146 /*v402*/, v234
	v_mul_i32_i24_e32 v215 /*v471*/, v147 /*v403*/, v235
	s_set_vgpr_msb 0x55                     ;  msbs: dst=1 src0=1 src1=1 src2=1
	v_add3_u32 v151 /*v407*/, v151 /*v407*/, v216 /*v472*/, v217 /*v473*/
	s_set_vgpr_msb 0x41                     ;  msbs: dst=1 src0=1 src1=0 src2=0
	v_mul_i32_i24_e32 v216 /*v472*/, v148 /*v404*/, v236
	v_mul_i32_i24_e32 v217 /*v473*/, v149 /*v405*/, v237
	s_set_vgpr_msb 0x55                     ;  msbs: dst=1 src0=1 src1=1 src2=1
	v_add3_u32 v151 /*v407*/, v151 /*v407*/, v218 /*v474*/, v219 /*v475*/
	s_set_vgpr_msb 0x41                     ;  msbs: dst=1 src0=1 src1=0 src2=0
	v_mul_i32_i24_e32 v218 /*v474*/, v150 /*v406*/, v238
	s_set_vgpr_msb 0x44                     ;  msbs: dst=1 src0=0 src1=1 src2=0
	v_mul_i32_i24_e32 v219 /*v475*/, v240, v166 /*v422*/
	s_set_vgpr_msb 0x55                     ;  msbs: dst=1 src0=1 src1=1 src2=1
	v_add3_u32 v151 /*v407*/, v151 /*v407*/, v220 /*v476*/, v221 /*v477*/
	s_set_vgpr_msb 0x44                     ;  msbs: dst=1 src0=0 src1=1 src2=0
	v_mul_i32_i24_e32 v220 /*v476*/, v239, v168 /*v424*/
	v_mul_i32_i24_e32 v221 /*v477*/, v242, v169 /*v425*/
	s_set_vgpr_msb 0x55                     ;  msbs: dst=1 src0=1 src1=1 src2=1
	v_add3_u32 v151 /*v407*/, v151 /*v407*/, v222 /*v478*/, v223 /*v479*/
	s_set_vgpr_msb 0x44                     ;  msbs: dst=1 src0=0 src1=1 src2=0
	v_mul_i32_i24_e32 v222 /*v478*/, v241, v170 /*v426*/
	v_mul_i32_i24_e32 v223 /*v479*/, v244, v171 /*v427*/
	s_set_vgpr_msb 0x55                     ;  msbs: dst=1 src0=1 src1=1 src2=1
	v_add3_u32 v162 /*v418*/, v151 /*v407*/, v224 /*v480*/, v225 /*v481*/
	s_set_vgpr_msb 64                       ;  msbs: dst=1 src0=0 src1=0 src2=0
	v_mul_i32_i24_e32 v151 /*v407*/, v36, v220
	s_set_vgpr_msb 0x44                     ;  msbs: dst=1 src0=0 src1=1 src2=0
	v_mul_i32_i24_e32 v224 /*v480*/, v243, v172 /*v428*/
	v_mul_i32_i24_e32 v225 /*v481*/, v247, v173 /*v429*/
	s_set_vgpr_msb 0x50                     ;  msbs: dst=1 src0=0 src1=0 src2=1
	v_mad_i32_i24 v151 /*v407*/, v52, v219, v151 /*v407*/
	s_set_vgpr_msb 0x55                     ;  msbs: dst=1 src0=1 src1=1 src2=1
	s_delay_alu instid0(VALU_DEP_1) | instskip(SKIP_4) | instid1(VALU_DEP_1)
	v_add3_u32 v151 /*v407*/, v151 /*v407*/, v152 /*v408*/, v153 /*v409*/
	s_set_vgpr_msb 64                       ;  msbs: dst=1 src0=0 src1=0 src2=0
	v_mul_i32_i24_e32 v152 /*v408*/, v55, v223
	v_mul_i32_i24_e32 v153 /*v409*/, v56, v224
	s_set_vgpr_msb 0x55                     ;  msbs: dst=1 src0=1 src1=1 src2=1
	v_add3_u32 v151 /*v407*/, v151 /*v407*/, v152 /*v408*/, v153 /*v409*/
	s_set_vgpr_msb 0x41                     ;  msbs: dst=1 src0=1 src1=0 src2=0
	v_mul_i32_i24_e32 v152 /*v408*/, v181 /*v437*/, v246
	v_mul_i32_i24_e32 v153 /*v409*/, v182 /*v438*/, v252
	s_set_vgpr_msb 0x55                     ;  msbs: dst=1 src0=1 src1=1 src2=1
	v_add3_u32 v151 /*v407*/, v151 /*v407*/, v154 /*v410*/, v155 /*v411*/
	s_set_vgpr_msb 0x41                     ;  msbs: dst=1 src0=1 src1=0 src2=0
	v_mul_i32_i24_e32 v154 /*v410*/, v185 /*v441*/, v250
	s_set_vgpr_msb 0x55                     ;  msbs: dst=1 src0=1 src1=1 src2=1
	v_mul_i32_i24_e32 v155 /*v411*/, v186 /*v442*/, v3 /*v259*/
	v_add3_u32 v151 /*v407*/, v151 /*v407*/, v156 /*v412*/, v157 /*v413*/
	v_mul_i32_i24_e32 v157 /*v413*/, v187 /*v443*/, v4 /*v260*/
	v_mul_i32_i24_e32 v156 /*v412*/, v209 /*v465*/, v25 /*v281*/
	s_delay_alu instid0(VALU_DEP_3) | instskip(SKIP_1) | instid1(VALU_DEP_2)
	v_add3_u32 v151 /*v407*/, v151 /*v407*/, v160 /*v416*/, v210 /*v466*/
	v_mul_i32_i24_e32 v210 /*v466*/, v188 /*v444*/, v5 /*v261*/
	v_add3_u32 v151 /*v407*/, v151 /*v407*/, v211 /*v467*/, v212 /*v468*/
	v_mul_i32_i24_e32 v211 /*v467*/, v189 /*v445*/, v2 /*v258*/
	v_mul_i32_i24_e32 v212 /*v468*/, v190 /*v446*/, v7 /*v263*/
	s_delay_alu instid0(VALU_DEP_3) | instskip(SKIP_2) | instid1(VALU_DEP_3)
	v_add3_u32 v151 /*v407*/, v151 /*v407*/, v213 /*v469*/, v214 /*v470*/
	v_mul_i32_i24_e32 v213 /*v469*/, v191 /*v447*/, v8 /*v264*/
	v_mul_i32_i24_e32 v214 /*v470*/, v192 /*v448*/, v9 /*v265*/
	v_add3_u32 v151 /*v407*/, v151 /*v407*/, v215 /*v471*/, v216 /*v472*/
	v_mul_i32_i24_e32 v215 /*v471*/, v193 /*v449*/, v6 /*v262*/
	v_mul_i32_i24_e32 v216 /*v472*/, v194 /*v450*/, v10 /*v266*/
	s_delay_alu instid0(VALU_DEP_3) | instskip(SKIP_2) | instid1(VALU_DEP_3)
	v_add3_u32 v151 /*v407*/, v151 /*v407*/, v217 /*v473*/, v218 /*v474*/
	v_mul_i32_i24_e32 v217 /*v473*/, v195 /*v451*/, v11 /*v267*/
	;; [unrolled: 7-line block ×4, first 2 shown]
	v_mul_i32_i24_e32 v226 /*v482*/, v20 /*v276*/, v204 /*v460*/
	v_add3_u32 v160 /*v416*/, v151 /*v407*/, v227 /*v483*/, v228 /*v484*/
	s_set_vgpr_msb 0x41                     ;  msbs: dst=1 src0=1 src1=0 src2=0
	v_mul_i32_i24_e32 v151 /*v407*/, v179 /*v435*/, v249
	s_set_vgpr_msb 0x45                     ;  msbs: dst=1 src0=1 src1=1 src2=0
	v_mul_i32_i24_e32 v227 /*v483*/, v22 /*v278*/, v205 /*v461*/
	v_mul_i32_i24_e32 v228 /*v484*/, v21 /*v277*/, v206 /*v462*/
	s_set_vgpr_msb 0x51                     ;  msbs: dst=1 src0=1 src1=0 src2=1
	v_mad_i32_i24 v151 /*v407*/, v180 /*v436*/, v248, v151 /*v407*/
	s_set_vgpr_msb 0x55                     ;  msbs: dst=1 src0=1 src1=1 src2=1
	s_delay_alu instid0(VALU_DEP_1) | instskip(SKIP_4) | instid1(VALU_DEP_1)
	v_add3_u32 v151 /*v407*/, v151 /*v407*/, v152 /*v408*/, v153 /*v409*/
	s_set_vgpr_msb 0x41                     ;  msbs: dst=1 src0=1 src1=0 src2=0
	v_mul_i32_i24_e32 v152 /*v408*/, v183 /*v439*/, v255
	s_set_vgpr_msb 0x55                     ;  msbs: dst=1 src0=1 src1=1 src2=1
	v_mul_i32_i24_e32 v153 /*v409*/, v184 /*v440*/, v1 /*v257*/
	v_add3_u32 v151 /*v407*/, v151 /*v407*/, v152 /*v408*/, v153 /*v409*/
	s_set_vgpr_msb 64                       ;  msbs: dst=1 src0=0 src1=0 src2=0
	v_mul_i32_i24_e32 v152 /*v408*/, v53, v124
	v_mul_i32_i24_e32 v153 /*v409*/, v54, v158
	s_set_vgpr_msb 4                        ;  msbs: dst=0 src0=0 src1=1 src2=0
	v_mul_i32_i24_e32 v53, v53, v31 /*v287*/
	v_mul_i32_i24_e32 v54, v54, v32 /*v288*/
	s_set_vgpr_msb 0x55                     ;  msbs: dst=1 src0=1 src1=1 src2=1
	v_add3_u32 v151 /*v407*/, v151 /*v407*/, v154 /*v410*/, v155 /*v411*/
	s_set_vgpr_msb 64                       ;  msbs: dst=1 src0=0 src1=0 src2=0
	v_mul_i32_i24_e32 v155 /*v411*/, v56, v160
	s_set_vgpr_msb 0x41                     ;  msbs: dst=1 src0=1 src1=0 src2=0
	v_mul_i32_i24_e32 v154 /*v410*/, v178 /*v434*/, v192
	s_set_vgpr_msb 0x55                     ;  msbs: dst=1 src0=1 src1=1 src2=1
	v_add3_u32 v151 /*v407*/, v151 /*v407*/, v157 /*v413*/, v210 /*v466*/
	s_set_vgpr_msb 64                       ;  msbs: dst=1 src0=0 src1=0 src2=0
	v_mul_i32_i24_e32 v210 /*v466*/, v58, v161
	s_set_vgpr_msb 0x55                     ;  msbs: dst=1 src0=1 src1=1 src2=1
	s_delay_alu instid0(VALU_DEP_2)
	v_add3_u32 v151 /*v407*/, v151 /*v407*/, v211 /*v467*/, v212 /*v468*/
	s_set_vgpr_msb 64                       ;  msbs: dst=1 src0=0 src1=0 src2=0
	v_mul_i32_i24_e32 v211 /*v467*/, v61, v162
	v_mul_i32_i24_e32 v212 /*v468*/, v67, v163
	s_set_vgpr_msb 0x55                     ;  msbs: dst=1 src0=1 src1=1 src2=1
	v_add3_u32 v151 /*v407*/, v151 /*v407*/, v213 /*v469*/, v214 /*v470*/
	s_set_vgpr_msb 64                       ;  msbs: dst=1 src0=0 src1=0 src2=0
	v_mul_i32_i24_e32 v213 /*v469*/, v69, v164
	v_mul_i32_i24_e32 v214 /*v470*/, v71, v165
	s_set_vgpr_msb 0x55                     ;  msbs: dst=1 src0=1 src1=1 src2=1
	;; [unrolled: 5-line block ×4, first 2 shown]
	v_add3_u32 v151 /*v407*/, v151 /*v407*/, v219 /*v475*/, v220 /*v476*/
	s_set_vgpr_msb 0x41                     ;  msbs: dst=1 src0=1 src1=0 src2=0
	v_mul_i32_i24_e32 v219 /*v475*/, v146 /*v402*/, v170
	v_mul_i32_i24_e32 v220 /*v476*/, v147 /*v403*/, v171
	s_set_vgpr_msb 0x55                     ;  msbs: dst=1 src0=1 src1=1 src2=1
	v_add3_u32 v151 /*v407*/, v151 /*v407*/, v221 /*v477*/, v222 /*v478*/
	s_set_vgpr_msb 0x41                     ;  msbs: dst=1 src0=1 src1=0 src2=0
	v_mul_i32_i24_e32 v221 /*v477*/, v148 /*v404*/, v172
	v_mul_i32_i24_e32 v222 /*v478*/, v149 /*v405*/, v173
	s_set_vgpr_msb 0x55                     ;  msbs: dst=1 src0=1 src1=1 src2=1
	v_add3_u32 v151 /*v407*/, v151 /*v407*/, v223 /*v479*/, v224 /*v480*/
	s_set_vgpr_msb 0x41                     ;  msbs: dst=1 src0=1 src1=0 src2=0
	v_mul_i32_i24_e32 v223 /*v479*/, v150 /*v406*/, v174
	s_set_vgpr_msb 0x44                     ;  msbs: dst=1 src0=0 src1=1 src2=0
	v_mul_i32_i24_e32 v224 /*v480*/, v176, v166 /*v422*/
	s_set_vgpr_msb 0x55                     ;  msbs: dst=1 src0=1 src1=1 src2=1
	v_add3_u32 v151 /*v407*/, v151 /*v407*/, v225 /*v481*/, v226 /*v482*/
	s_set_vgpr_msb 0x44                     ;  msbs: dst=1 src0=0 src1=1 src2=0
	v_mul_i32_i24_e32 v225 /*v481*/, v175, v168 /*v424*/
	v_mul_i32_i24_e32 v226 /*v482*/, v178, v169 /*v425*/
	s_set_vgpr_msb 0x55                     ;  msbs: dst=1 src0=1 src1=1 src2=1
	v_add3_u32 v151 /*v407*/, v151 /*v407*/, v227 /*v483*/, v228 /*v484*/
	s_set_vgpr_msb 0x44                     ;  msbs: dst=1 src0=0 src1=1 src2=0
	v_mul_i32_i24_e32 v227 /*v483*/, v177, v170 /*v426*/
	v_mul_i32_i24_e32 v228 /*v484*/, v180, v171 /*v427*/
	s_set_vgpr_msb 0x55                     ;  msbs: dst=1 src0=1 src1=1 src2=1
	v_add3_u32 v157 /*v413*/, v151 /*v407*/, v229 /*v485*/, v230 /*v486*/
	s_set_vgpr_msb 64                       ;  msbs: dst=1 src0=0 src1=0 src2=0
	v_mul_i32_i24_e32 v151 /*v407*/, v36, v122
	s_set_vgpr_msb 4                        ;  msbs: dst=0 src0=0 src1=1 src2=0
	v_mul_i32_i24_e32 v36, v36, v30 /*v286*/
	s_set_vgpr_msb 0x44                     ;  msbs: dst=1 src0=0 src1=1 src2=0
	v_mul_i32_i24_e32 v229 /*v485*/, v179, v172 /*v428*/
	v_mul_i32_i24_e32 v230 /*v486*/, v183, v173 /*v429*/
	s_set_vgpr_msb 0x50                     ;  msbs: dst=1 src0=0 src1=0 src2=1
	v_mad_i32_i24 v151 /*v407*/, v52, v120, v151 /*v407*/
	s_set_vgpr_msb 4                        ;  msbs: dst=0 src0=0 src1=1 src2=0
	v_mad_i32_i24 v36, v52, v29 /*v285*/, v36
	v_mul_i32_i24_e32 v52, v55, v33 /*v289*/
	s_set_vgpr_msb 0x55                     ;  msbs: dst=1 src0=1 src1=1 src2=1
	v_add3_u32 v151 /*v407*/, v151 /*v407*/, v152 /*v408*/, v153 /*v409*/
	s_set_vgpr_msb 0                        ;  msbs: dst=0 src0=0 src1=0 src2=0
	v_add3_u32 v36, v36, v53, v54
	s_set_vgpr_msb 4                        ;  msbs: dst=0 src0=0 src1=1 src2=0
	v_mul_i32_i24_e32 v53, v56, v34 /*v290*/
	s_set_vgpr_msb 64                       ;  msbs: dst=1 src0=0 src1=0 src2=0
	v_mul_i32_i24_e32 v152 /*v408*/, v55, v159
	s_set_vgpr_msb 4                        ;  msbs: dst=0 src0=0 src1=1 src2=0
	v_mul_i32_i24_e32 v54, v58, v35 /*v291*/
	v_mul_i32_i24_e32 v55, v61, v36 /*v292*/
	;; [unrolled: 1-line block ×3, first 2 shown]
	s_set_vgpr_msb 0                        ;  msbs: dst=0 src0=0 src1=0 src2=0
	v_add3_u32 v36, v36, v52, v53
	s_set_vgpr_msb 4                        ;  msbs: dst=0 src0=0 src1=1 src2=0
	v_mul_i32_i24_e32 v58, v69, v38 /*v294*/
	s_set_vgpr_msb 0x55                     ;  msbs: dst=1 src0=1 src1=1 src2=1
	v_add3_u32 v151 /*v407*/, v151 /*v407*/, v152 /*v408*/, v155 /*v411*/
	s_set_vgpr_msb 4                        ;  msbs: dst=0 src0=0 src1=1 src2=0
	v_mul_i32_i24_e32 v61, v71, v39 /*v295*/
	v_mul_i32_i24_e32 v67, v82, v40 /*v296*/
	s_set_vgpr_msb 0                        ;  msbs: dst=0 src0=0 src1=0 src2=0
	v_add3_u32 v36, v36, v54, v55
	s_set_vgpr_msb 4                        ;  msbs: dst=0 src0=0 src1=1 src2=0
	v_mul_i32_i24_e32 v69, v84, v41 /*v297*/
	s_set_vgpr_msb 0x55                     ;  msbs: dst=1 src0=1 src1=1 src2=1
	v_add3_u32 v151 /*v407*/, v151 /*v407*/, v210 /*v466*/, v211 /*v467*/
	s_set_vgpr_msb 4                        ;  msbs: dst=0 src0=0 src1=1 src2=0
	v_mul_i32_i24_e32 v71, v86, v42 /*v298*/
	v_mul_i32_i24_e32 v82, v92, v43 /*v299*/
	s_set_vgpr_msb 0                        ;  msbs: dst=0 src0=0 src1=0 src2=0
	v_add3_u32 v36, v36, v56, v58
	s_set_vgpr_msb 5                        ;  msbs: dst=0 src0=1 src1=1 src2=0
	v_mul_i32_i24_e32 v84, v146 /*v402*/, v44 /*v300*/
	s_set_vgpr_msb 0x55                     ;  msbs: dst=1 src0=1 src1=1 src2=1
	v_add3_u32 v151 /*v407*/, v151 /*v407*/, v212 /*v468*/, v213 /*v469*/
	s_set_vgpr_msb 5                        ;  msbs: dst=0 src0=1 src1=1 src2=0
	v_mul_i32_i24_e32 v86, v147 /*v403*/, v45 /*v301*/
	v_mul_i32_i24_e32 v92, v148 /*v404*/, v46 /*v302*/
	s_set_vgpr_msb 0                        ;  msbs: dst=0 src0=0 src1=0 src2=0
	v_add3_u32 v36, v36, v61, v67
	s_set_vgpr_msb 0x55                     ;  msbs: dst=1 src0=1 src1=1 src2=1
	v_mul_i32_i24_e32 v146 /*v402*/, v149 /*v405*/, v47 /*v303*/
	v_add3_u32 v151 /*v407*/, v151 /*v407*/, v214 /*v470*/, v215 /*v471*/
	v_mul_i32_i24_e32 v147 /*v403*/, v150 /*v406*/, v48 /*v304*/
	v_mul_i32_i24_e32 v150 /*v406*/, v50 /*v306*/, v166 /*v422*/
	s_set_vgpr_msb 0                        ;  msbs: dst=0 src0=0 src1=0 src2=0
	v_add3_u32 v36, v36, v69, v71
	s_set_vgpr_msb 0x55                     ;  msbs: dst=1 src0=1 src1=1 src2=1
	v_mul_i32_i24_e32 v166 /*v422*/, v49 /*v305*/, v168 /*v424*/
	v_add3_u32 v151 /*v407*/, v151 /*v407*/, v216 /*v472*/, v217 /*v473*/
	v_mul_i32_i24_e32 v168 /*v424*/, v52 /*v308*/, v169 /*v425*/
	v_mul_i32_i24_e32 v169 /*v425*/, v51 /*v307*/, v170 /*v426*/
	;; [unrolled: 7-line block ×4, first 2 shown]
	s_set_vgpr_msb 20                       ;  msbs: dst=0 src0=0 src1=1 src2=1
	v_add3_u32 v36, v36, v146 /*v402*/, v147 /*v403*/
	s_set_vgpr_msb 5                        ;  msbs: dst=0 src0=1 src1=1 src2=0
	v_mul_i32_i24_e32 v52, v181 /*v437*/, v56 /*v312*/
	s_set_vgpr_msb 0x55                     ;  msbs: dst=1 src0=1 src1=1 src2=1
	v_add3_u32 v151 /*v407*/, v151 /*v407*/, v222 /*v478*/, v223 /*v479*/
	s_set_vgpr_msb 5                        ;  msbs: dst=0 src0=1 src1=1 src2=0
	v_mul_i32_i24_e32 v53, v182 /*v438*/, v62 /*v318*/
	s_set_vgpr_msb 0x41                     ;  msbs: dst=1 src0=1 src1=0 src2=0
	v_mul_i32_i24_e32 v152 /*v408*/, v181 /*v437*/, v182
	s_set_vgpr_msb 20                       ;  msbs: dst=0 src0=0 src1=1 src2=1
	v_add3_u32 v36, v36, v150 /*v406*/, v166 /*v422*/
	s_set_vgpr_msb 0x41                     ;  msbs: dst=1 src0=1 src1=0 src2=0
	v_mul_i32_i24_e32 v210 /*v466*/, v182 /*v438*/, v188
	s_set_vgpr_msb 0x55                     ;  msbs: dst=1 src0=1 src1=1 src2=1
	v_add3_u32 v151 /*v407*/, v151 /*v407*/, v224 /*v480*/, v225 /*v481*/
	s_set_vgpr_msb 5                        ;  msbs: dst=0 src0=1 src1=1 src2=0
	v_mul_i32_i24_e32 v54, v185 /*v441*/, v60 /*v316*/
	v_mul_i32_i24_e32 v55, v186 /*v442*/, v69 /*v325*/
	s_set_vgpr_msb 20                       ;  msbs: dst=0 src0=0 src1=1 src2=1
	v_add3_u32 v36, v36, v168 /*v424*/, v169 /*v425*/
	s_set_vgpr_msb 0x41                     ;  msbs: dst=1 src0=1 src1=0 src2=0
	v_mul_i32_i24_e32 v211 /*v467*/, v184 /*v440*/, v193
	s_set_vgpr_msb 0x55                     ;  msbs: dst=1 src0=1 src1=1 src2=1
	v_add3_u32 v151 /*v407*/, v151 /*v407*/, v226 /*v482*/, v227 /*v483*/
	s_set_vgpr_msb 5                        ;  msbs: dst=0 src0=1 src1=1 src2=0
	v_mul_i32_i24_e32 v56, v187 /*v443*/, v70 /*v326*/
	v_mul_i32_i24_e32 v58, v188 /*v444*/, v71 /*v327*/
	s_set_vgpr_msb 20                       ;  msbs: dst=0 src0=0 src1=1 src2=1
	v_add3_u32 v36, v36, v170 /*v426*/, v171 /*v427*/
	s_set_vgpr_msb 0x41                     ;  msbs: dst=1 src0=1 src1=0 src2=0
	v_mul_i32_i24_e32 v212 /*v468*/, v185 /*v441*/, v186
	s_set_vgpr_msb 0x55                     ;  msbs: dst=1 src0=1 src1=1 src2=1
	v_add3_u32 v151 /*v407*/, v151 /*v407*/, v228 /*v484*/, v229 /*v485*/
	s_set_vgpr_msb 0x41                     ;  msbs: dst=1 src0=1 src1=0 src2=0
	v_mul_i32_i24_e32 v213 /*v469*/, v186 /*v442*/, v195
	s_set_vgpr_msb 5                        ;  msbs: dst=0 src0=1 src1=1 src2=0
	v_mul_i32_i24_e32 v61, v189 /*v445*/, v68 /*v324*/
	s_set_vgpr_msb 20                       ;  msbs: dst=0 src0=0 src1=1 src2=1
	v_add3_u32 v36, v36, v172 /*v428*/, v173 /*v429*/
	s_set_vgpr_msb 5                        ;  msbs: dst=0 src0=1 src1=1 src2=0
	v_mul_i32_i24_e32 v67, v190 /*v446*/, v73 /*v329*/
	s_set_vgpr_msb 0x55                     ;  msbs: dst=1 src0=1 src1=1 src2=1
	v_add3_u32 v151 /*v407*/, v151 /*v407*/, v230 /*v486*/, v231 /*v487*/
	s_set_vgpr_msb 0x41                     ;  msbs: dst=1 src0=1 src1=0 src2=0
	v_mul_i32_i24_e32 v214 /*v470*/, v187 /*v443*/, v196
	v_mul_i32_i24_e32 v215 /*v471*/, v188 /*v444*/, v197
	s_set_vgpr_msb 0x54                     ;  msbs: dst=1 src0=0 src1=1 src2=1
	v_add3_u32 v150 /*v406*/, v36, v174 /*v430*/, v175 /*v431*/
	s_set_vgpr_msb 5                        ;  msbs: dst=0 src0=1 src1=1 src2=0
	v_mul_i32_i24_e32 v36, v179 /*v435*/, v59 /*v315*/
	s_set_vgpr_msb 0x55                     ;  msbs: dst=1 src0=1 src1=1 src2=1
	v_add3_u32 v155 /*v411*/, v151 /*v407*/, v232 /*v488*/, v233 /*v489*/
	s_set_vgpr_msb 0x41                     ;  msbs: dst=1 src0=1 src1=0 src2=0
	v_mul_i32_i24_e32 v151 /*v407*/, v179 /*v435*/, v185
	s_set_vgpr_msb 5                        ;  msbs: dst=0 src0=1 src1=1 src2=0
	v_mul_i32_i24_e32 v69, v191 /*v447*/, v74 /*v330*/
	v_mul_i32_i24_e32 v71, v192 /*v448*/, v75 /*v331*/
	v_mad_i32_i24 v36, v180 /*v436*/, v58 /*v314*/, v36
	s_set_vgpr_msb 0x51                     ;  msbs: dst=1 src0=1 src1=0 src2=1
	v_mul_i32_i24_e32 v216 /*v472*/, v189 /*v445*/, v194
	v_mad_i32_i24 v151 /*v407*/, v180 /*v436*/, v184, v151 /*v407*/
	v_mul_i32_i24_e32 v217 /*v473*/, v190 /*v446*/, v199
	s_set_vgpr_msb 5                        ;  msbs: dst=0 src0=1 src1=1 src2=0
	v_mul_i32_i24_e32 v82, v193 /*v449*/, v72 /*v328*/
	s_set_vgpr_msb 0                        ;  msbs: dst=0 src0=0 src1=0 src2=0
	v_add3_u32 v36, v36, v52, v53
	s_set_vgpr_msb 5                        ;  msbs: dst=0 src0=1 src1=1 src2=0
	v_mul_i32_i24_e32 v52, v183 /*v439*/, v65 /*v321*/
	v_mul_i32_i24_e32 v53, v184 /*v440*/, v67 /*v323*/
	s_set_vgpr_msb 0x55                     ;  msbs: dst=1 src0=1 src1=1 src2=1
	v_add3_u32 v152 /*v408*/, v151 /*v407*/, v152 /*v408*/, v210 /*v466*/
	s_set_vgpr_msb 0x41                     ;  msbs: dst=1 src0=1 src1=0 src2=0
	v_mul_i32_i24_e32 v210 /*v466*/, v183 /*v439*/, v191
	s_set_vgpr_msb 5                        ;  msbs: dst=0 src0=1 src1=1 src2=0
	v_mul_i32_i24_e32 v84, v194 /*v450*/, v76 /*v332*/
	s_set_vgpr_msb 0x41                     ;  msbs: dst=1 src0=1 src1=0 src2=0
	v_mul_i32_i24_e32 v218 /*v474*/, v191 /*v447*/, v200
	s_set_vgpr_msb 0                        ;  msbs: dst=0 src0=0 src1=0 src2=0
	v_add3_u32 v36, v36, v52, v53
	s_set_vgpr_msb 0x41                     ;  msbs: dst=1 src0=1 src1=0 src2=0
	v_mul_i32_i24_e32 v219 /*v475*/, v192 /*v448*/, v201
	s_set_vgpr_msb 0x55                     ;  msbs: dst=1 src0=1 src1=1 src2=1
	v_add3_u32 v152 /*v408*/, v152 /*v408*/, v210 /*v466*/, v211 /*v467*/
	s_set_vgpr_msb 5                        ;  msbs: dst=0 src0=1 src1=1 src2=0
	v_mul_i32_i24_e32 v86, v195 /*v451*/, v77 /*v333*/
	v_mul_i32_i24_e32 v92, v196 /*v452*/, v78 /*v334*/
	s_set_vgpr_msb 0                        ;  msbs: dst=0 src0=0 src1=0 src2=0
	v_add3_u32 v36, v36, v54, v55
	s_set_vgpr_msb 0x41                     ;  msbs: dst=1 src0=1 src1=0 src2=0
	v_mul_i32_i24_e32 v220 /*v476*/, v193 /*v449*/, v198
	s_set_vgpr_msb 0x55                     ;  msbs: dst=1 src0=1 src1=1 src2=1
	v_add3_u32 v152 /*v408*/, v152 /*v408*/, v212 /*v468*/, v213 /*v469*/
	s_set_vgpr_msb 0x41                     ;  msbs: dst=1 src0=1 src1=0 src2=0
	v_mul_i32_i24_e32 v221 /*v477*/, v194 /*v450*/, v202
	s_set_vgpr_msb 0x45                     ;  msbs: dst=1 src0=1 src1=1 src2=0
	v_mul_i32_i24_e32 v147 /*v403*/, v80 /*v336*/, v197 /*v453*/
	s_set_vgpr_msb 0                        ;  msbs: dst=0 src0=0 src1=0 src2=0
	v_add3_u32 v36, v36, v56, v58
	s_set_vgpr_msb 0x55                     ;  msbs: dst=1 src0=1 src1=1 src2=1
	v_mul_i32_i24_e32 v166 /*v422*/, v79 /*v335*/, v198 /*v454*/
	v_add3_u32 v152 /*v408*/, v152 /*v408*/, v214 /*v470*/, v215 /*v471*/
	s_set_vgpr_msb 0x41                     ;  msbs: dst=1 src0=1 src1=0 src2=0
	v_mul_i32_i24_e32 v222 /*v478*/, v195 /*v451*/, v203
	v_mul_i32_i24_e32 v223 /*v479*/, v196 /*v452*/, v204
	s_set_vgpr_msb 0                        ;  msbs: dst=0 src0=0 src1=0 src2=0
	v_add3_u32 v36, v36, v61, v67
	s_set_vgpr_msb 0x55                     ;  msbs: dst=1 src0=1 src1=1 src2=1
	v_mul_i32_i24_e32 v168 /*v424*/, v81 /*v337*/, v199 /*v455*/
	v_add3_u32 v152 /*v408*/, v152 /*v408*/, v216 /*v472*/, v217 /*v473*/
	v_mul_i32_i24_e32 v169 /*v425*/, v82 /*v338*/, v200 /*v456*/
	s_set_vgpr_msb 0x44                     ;  msbs: dst=1 src0=0 src1=1 src2=0
	v_mul_i32_i24_e32 v224 /*v480*/, v206, v197 /*v453*/
	s_set_vgpr_msb 0                        ;  msbs: dst=0 src0=0 src1=0 src2=0
	v_add3_u32 v36, v36, v69, v71
	s_set_vgpr_msb 0x44                     ;  msbs: dst=1 src0=0 src1=1 src2=0
	v_mul_i32_i24_e32 v225 /*v481*/, v205, v198 /*v454*/
	s_set_vgpr_msb 0x55                     ;  msbs: dst=1 src0=1 src1=1 src2=1
	v_add3_u32 v152 /*v408*/, v152 /*v408*/, v218 /*v474*/, v219 /*v475*/
	v_mul_i32_i24_e32 v170 /*v426*/, v84 /*v340*/, v201 /*v457*/
	v_mul_i32_i24_e32 v171 /*v427*/, v83 /*v339*/, v202 /*v458*/
	s_set_vgpr_msb 0                        ;  msbs: dst=0 src0=0 src1=0 src2=0
	v_add3_u32 v36, v36, v82, v84
	s_set_vgpr_msb 0x44                     ;  msbs: dst=1 src0=0 src1=1 src2=0
	v_mul_i32_i24_e32 v226 /*v482*/, v207, v199 /*v455*/
	s_set_vgpr_msb 0x55                     ;  msbs: dst=1 src0=1 src1=1 src2=1
	v_add3_u32 v152 /*v408*/, v152 /*v408*/, v220 /*v476*/, v221 /*v477*/
	s_set_vgpr_msb 0x44                     ;  msbs: dst=1 src0=0 src1=1 src2=0
	v_mul_i32_i24_e32 v227 /*v483*/, v208, v200 /*v456*/
	s_set_vgpr_msb 0x45                     ;  msbs: dst=1 src0=1 src1=1 src2=0
	v_mul_i32_i24_e32 v172 /*v428*/, v85 /*v341*/, v203 /*v459*/
	s_set_vgpr_msb 0                        ;  msbs: dst=0 src0=0 src1=0 src2=0
	v_add3_u32 v36, v36, v86, v92
	s_set_vgpr_msb 0x55                     ;  msbs: dst=1 src0=1 src1=1 src2=1
	v_mul_i32_i24_e32 v173 /*v429*/, v86 /*v342*/, v204 /*v460*/
	v_add3_u32 v152 /*v408*/, v152 /*v408*/, v222 /*v478*/, v223 /*v479*/
	s_set_vgpr_msb 0x44                     ;  msbs: dst=1 src0=0 src1=1 src2=0
	v_mul_i32_i24_e32 v228 /*v484*/, v210, v201 /*v457*/
	v_mul_i32_i24_e32 v229 /*v485*/, v209, v202 /*v458*/
	s_set_vgpr_msb 20                       ;  msbs: dst=0 src0=0 src1=1 src2=1
	v_add3_u32 v36, v36, v147 /*v403*/, v166 /*v422*/
	s_set_vgpr_msb 0x55                     ;  msbs: dst=1 src0=1 src1=1 src2=1
	v_mul_i32_i24_e32 v174 /*v430*/, v88 /*v344*/, v205 /*v461*/
	v_add3_u32 v152 /*v408*/, v152 /*v408*/, v224 /*v480*/, v225 /*v481*/
	v_mul_i32_i24_e32 v175 /*v431*/, v87 /*v343*/, v206 /*v462*/
	s_set_vgpr_msb 0x41                     ;  msbs: dst=1 src0=1 src1=0 src2=0
	v_mul_i32_i24_e32 v153 /*v409*/, v177 /*v433*/, v190
	s_set_vgpr_msb 20                       ;  msbs: dst=0 src0=0 src1=1 src2=1
	v_add3_u32 v36, v36, v168 /*v424*/, v169 /*v425*/
	s_set_vgpr_msb 0x44                     ;  msbs: dst=1 src0=0 src1=1 src2=0
	v_mul_i32_i24_e32 v230 /*v486*/, v211, v203 /*v459*/
	s_set_vgpr_msb 0x55                     ;  msbs: dst=1 src0=1 src1=1 src2=1
	v_add3_u32 v152 /*v408*/, v152 /*v408*/, v226 /*v482*/, v227 /*v483*/
	s_set_vgpr_msb 0x44                     ;  msbs: dst=1 src0=0 src1=1 src2=0
	v_mul_i32_i24_e32 v231 /*v487*/, v212, v204 /*v460*/
	s_set_vgpr_msb 0x45                     ;  msbs: dst=1 src0=1 src1=1 src2=0
	v_mul_i32_i24_e32 v148 /*v404*/, v177 /*v433*/, v64 /*v320*/
	s_set_vgpr_msb 20                       ;  msbs: dst=0 src0=0 src1=1 src2=1
	v_add3_u32 v36, v36, v170 /*v426*/, v171 /*v427*/
	s_set_vgpr_msb 0x55                     ;  msbs: dst=1 src0=1 src1=1 src2=1
	v_mul_i32_i24_e32 v176 /*v432*/, v207 /*v463*/, v89 /*v345*/
	v_add3_u32 v152 /*v408*/, v152 /*v408*/, v228 /*v484*/, v229 /*v485*/
	v_mul_i32_i24_e32 v177 /*v433*/, v208 /*v464*/, v90 /*v346*/
	s_set_vgpr_msb 0x44                     ;  msbs: dst=1 src0=0 src1=1 src2=0
	v_mul_i32_i24_e32 v232 /*v488*/, v214, v205 /*v461*/
	s_set_vgpr_msb 20                       ;  msbs: dst=0 src0=0 src1=1 src2=1
	v_add3_u32 v36, v36, v172 /*v428*/, v173 /*v429*/
	s_set_vgpr_msb 0x44                     ;  msbs: dst=1 src0=0 src1=1 src2=0
	v_mul_i32_i24_e32 v233 /*v489*/, v213, v206 /*v462*/
	s_set_vgpr_msb 0x55                     ;  msbs: dst=1 src0=1 src1=1 src2=1
	v_add3_u32 v152 /*v408*/, v152 /*v408*/, v230 /*v486*/, v231 /*v487*/
	v_mul_i32_i24_e32 v149 /*v405*/, v178 /*v434*/, v66 /*v322*/
	s_set_vgpr_msb 0x41                     ;  msbs: dst=1 src0=1 src1=0 src2=0
	v_mul_i32_i24_e32 v151 /*v407*/, v209 /*v465*/, v217
	s_set_vgpr_msb 20                       ;  msbs: dst=0 src0=0 src1=1 src2=1
	v_add3_u32 v36, v36, v174 /*v430*/, v175 /*v431*/
	s_set_vgpr_msb 0x55                     ;  msbs: dst=1 src0=1 src1=1 src2=1
	v_mul_i32_i24_e32 v146 /*v402*/, v209 /*v465*/, v91 /*v347*/
	v_add3_u32 v152 /*v408*/, v152 /*v408*/, v232 /*v488*/, v233 /*v489*/
	s_set_vgpr_msb 0x54                     ;  msbs: dst=1 src0=0 src1=1 src2=1
	v_add3_u32 v147 /*v403*/, v36, v176 /*v432*/, v177 /*v433*/
	s_set_vgpr_msb 0                        ;  msbs: dst=0 src0=0 src1=0 src2=0
	v_or_b32_e32 v36, s13, v144
	s_set_vgpr_msb 0x55                     ;  msbs: dst=1 src0=1 src1=1 src2=1
	v_add3_u32 v152 /*v408*/, v152 /*v408*/, v234 /*v490*/, v235 /*v491*/
	s_set_vgpr_msb 0                        ;  msbs: dst=0 src0=0 src1=0 src2=0
	s_delay_alu instid0(VALU_DEP_2)
	v_lshlrev_b32_e32 v52, 2, v36
	s_set_vgpr_msb 64                       ;  msbs: dst=1 src0=0 src1=0 src2=0
	ds_load_b128 v[168:171] /*v[424:427]*/, v52 offset:16896
	ds_load_b128 v[172:175] /*v[428:431]*/, v52 offset:16912
	;; [unrolled: 1-line block ×4, first 2 shown]
	s_set_vgpr_msb 0                        ;  msbs: dst=0 src0=0 src1=0 src2=0
	v_lshrrev_b32_e32 v36, 1, v36
	s_wait_dscnt 0x3
	s_set_vgpr_msb 0x41                     ;  msbs: dst=1 src0=1 src1=0 src2=0
	v_bfe_i32 v228 /*v484*/, v168 /*v424*/, 0, 8
	v_bfe_i32 v199 /*v455*/, v168 /*v424*/, 8, 8
	;; [unrolled: 1-line block ×3, first 2 shown]
	s_set_vgpr_msb 0x44                     ;  msbs: dst=1 src0=0 src1=1 src2=0
	v_dual_ashrrev_i32 v230 /*v486*/, 24, v168 /*v424*/ :: v_dual_ashrrev_i32 v203 /*v459*/, 24, v169 /*v425*/
	s_set_vgpr_msb 1                        ;  msbs: dst=0 src0=1 src1=0 src2=0
	v_mul_i32_i24_e32 v52, v228 /*v484*/, v119
	s_set_vgpr_msb 0x41                     ;  msbs: dst=1 src0=1 src1=0 src2=0
	v_bfe_i32 v200 /*v456*/, v169 /*v425*/, 0, 8
	v_bfe_i32 v201 /*v457*/, v169 /*v425*/, 8, 8
	s_set_vgpr_msb 5                        ;  msbs: dst=0 src0=1 src1=1 src2=0
	v_mul_i32_i24_e32 v53, v229 /*v485*/, v92 /*v348*/
	v_mul_i32_i24_e32 v54, v230 /*v486*/, v93 /*v349*/
	s_set_vgpr_msb 1                        ;  msbs: dst=0 src0=1 src1=0 src2=0
	v_mad_i32_i24 v52, v199 /*v455*/, v118, v52
	s_set_vgpr_msb 0x41                     ;  msbs: dst=1 src0=1 src1=0 src2=0
	v_bfe_i32 v202 /*v458*/, v169 /*v425*/, 16, 8
	v_bfe_i32 v204 /*v460*/, v170 /*v426*/, 0, 8
	;; [unrolled: 1-line block ×3, first 2 shown]
	s_set_vgpr_msb 5                        ;  msbs: dst=0 src0=1 src1=1 src2=0
	v_mul_i32_i24_e32 v56, v203 /*v459*/, v97 /*v353*/
	s_set_vgpr_msb 0                        ;  msbs: dst=0 src0=0 src1=0 src2=0
	v_add3_u32 v52, v52, v53, v54
	s_set_vgpr_msb 5                        ;  msbs: dst=0 src0=1 src1=1 src2=0
	v_mul_i32_i24_e32 v53, v200 /*v456*/, v94 /*v350*/
	v_mul_i32_i24_e32 v54, v201 /*v457*/, v95 /*v351*/
	;; [unrolled: 1-line block ×3, first 2 shown]
	s_set_vgpr_msb 0x41                     ;  msbs: dst=1 src0=1 src1=0 src2=0
	v_bfe_i32 v206 /*v462*/, v170 /*v426*/, 16, 8
	s_set_vgpr_msb 0x44                     ;  msbs: dst=1 src0=0 src1=1 src2=0
	v_dual_ashrrev_i32 v207 /*v463*/, 24, v170 /*v426*/ :: v_dual_ashrrev_i32 v211 /*v467*/, 24, v171 /*v427*/
	s_set_vgpr_msb 0                        ;  msbs: dst=0 src0=0 src1=0 src2=0
	v_add3_u32 v52, v52, v53, v54
	s_set_vgpr_msb 5                        ;  msbs: dst=0 src0=1 src1=1 src2=0
	v_mul_i32_i24_e32 v58, v204 /*v460*/, v98 /*v354*/
	v_mul_i32_i24_e32 v61, v205 /*v461*/, v99 /*v355*/
	s_set_vgpr_msb 0x41                     ;  msbs: dst=1 src0=1 src1=0 src2=0
	v_bfe_i32 v208 /*v464*/, v171 /*v427*/, 0, 8
	v_bfe_i32 v209 /*v465*/, v171 /*v427*/, 8, 8
	s_set_vgpr_msb 0                        ;  msbs: dst=0 src0=0 src1=0 src2=0
	v_add3_u32 v52, v52, v55, v56
	s_set_vgpr_msb 5                        ;  msbs: dst=0 src0=1 src1=1 src2=0
	v_mul_i32_i24_e32 v67, v206 /*v462*/, v100 /*v356*/
	v_mul_i32_i24_e32 v69, v207 /*v463*/, v101 /*v357*/
	s_set_vgpr_msb 0x41                     ;  msbs: dst=1 src0=1 src1=0 src2=0
	v_bfe_i32 v210 /*v466*/, v171 /*v427*/, 16, 8
	s_set_vgpr_msb 5                        ;  msbs: dst=0 src0=1 src1=1 src2=0
	v_mul_i32_i24_e32 v71, v208 /*v464*/, v102 /*v358*/
	s_set_vgpr_msb 0                        ;  msbs: dst=0 src0=0 src1=0 src2=0
	v_add3_u32 v52, v52, v58, v61
	s_set_vgpr_msb 5                        ;  msbs: dst=0 src0=1 src1=1 src2=0
	v_mul_i32_i24_e32 v82, v209 /*v465*/, v103 /*v359*/
	s_wait_dscnt 0x2
	s_set_vgpr_msb 0x41                     ;  msbs: dst=1 src0=1 src1=0 src2=0
	v_bfe_i32 v212 /*v468*/, v172 /*v428*/, 0, 8
	v_bfe_i32 v213 /*v469*/, v172 /*v428*/, 8, 8
	s_set_vgpr_msb 5                        ;  msbs: dst=0 src0=1 src1=1 src2=0
	v_mul_i32_i24_e32 v84, v210 /*v466*/, v104 /*v360*/
	s_set_vgpr_msb 0                        ;  msbs: dst=0 src0=0 src1=0 src2=0
	v_add3_u32 v52, v52, v67, v69
	s_set_vgpr_msb 5                        ;  msbs: dst=0 src0=1 src1=1 src2=0
	v_mul_i32_i24_e32 v86, v211 /*v467*/, v105 /*v361*/
	s_set_vgpr_msb 0x41                     ;  msbs: dst=1 src0=1 src1=0 src2=0
	v_bfe_i32 v214 /*v470*/, v172 /*v428*/, 16, 8
	s_set_vgpr_msb 0x44                     ;  msbs: dst=1 src0=0 src1=1 src2=0
	v_dual_ashrrev_i32 v215 /*v471*/, 24, v172 /*v428*/ :: v_dual_ashrrev_i32 v219 /*v475*/, 24, v173 /*v429*/
	s_set_vgpr_msb 0                        ;  msbs: dst=0 src0=0 src1=0 src2=0
	v_add3_u32 v52, v52, v71, v82
	s_set_vgpr_msb 5                        ;  msbs: dst=0 src0=1 src1=1 src2=0
	v_mul_i32_i24_e32 v92, v212 /*v468*/, v106 /*v362*/
	v_mul_i32_i24_e32 v118, v213 /*v469*/, v107 /*v363*/
	s_set_vgpr_msb 0x41                     ;  msbs: dst=1 src0=1 src1=0 src2=0
	v_bfe_i32 v216 /*v472*/, v173 /*v429*/, 0, 8
	v_bfe_i32 v217 /*v473*/, v173 /*v429*/, 8, 8
	s_set_vgpr_msb 0                        ;  msbs: dst=0 src0=0 src1=0 src2=0
	v_add3_u32 v52, v52, v84, v86
	s_set_vgpr_msb 5                        ;  msbs: dst=0 src0=1 src1=1 src2=0
	v_mul_i32_i24_e32 v119, v214 /*v470*/, v108 /*v364*/
	s_set_vgpr_msb 0x45                     ;  msbs: dst=1 src0=1 src1=1 src2=0
	v_mul_i32_i24_e32 v92 /*v348*/, v215 /*v471*/, v109 /*v365*/
	v_bfe_i32 v218 /*v474*/, v173 /*v429*/, 16, 8
	v_mul_i32_i24_e32 v93 /*v349*/, v111 /*v367*/, v216 /*v472*/
	s_set_vgpr_msb 0                        ;  msbs: dst=0 src0=0 src1=0 src2=0
	v_add3_u32 v52, v52, v92, v118
	s_set_vgpr_msb 0x45                     ;  msbs: dst=1 src0=1 src1=1 src2=0
	v_mul_i32_i24_e32 v96 /*v352*/, v110 /*v366*/, v217 /*v473*/
	v_bfe_i32 v220 /*v476*/, v174 /*v430*/, 0, 8
	v_bfe_i32 v221 /*v477*/, v174 /*v430*/, 8, 8
	v_mul_i32_i24_e32 v97 /*v353*/, v113 /*v369*/, v218 /*v474*/
	s_set_vgpr_msb 16                       ;  msbs: dst=0 src0=0 src1=0 src2=1
	v_add3_u32 v52, v52, v119, v92 /*v348*/
	s_set_vgpr_msb 0x45                     ;  msbs: dst=1 src0=1 src1=1 src2=0
	v_mul_i32_i24_e32 v98 /*v354*/, v112 /*v368*/, v219 /*v475*/
	v_bfe_i32 v222 /*v478*/, v174 /*v430*/, 16, 8
	v_dual_ashrrev_i32 v223 /*v479*/, 24, v174 /*v430*/ :: v_dual_ashrrev_i32 v227 /*v483*/, 24, v175 /*v431*/
	s_set_vgpr_msb 20                       ;  msbs: dst=0 src0=0 src1=1 src2=1
	v_add3_u32 v52, v52, v93 /*v349*/, v96 /*v352*/
	s_set_vgpr_msb 0x45                     ;  msbs: dst=1 src0=1 src1=1 src2=0
	v_mul_i32_i24_e32 v99 /*v355*/, v121 /*v377*/, v220 /*v476*/
	v_mul_i32_i24_e32 v100 /*v356*/, v114 /*v370*/, v221 /*v477*/
	v_bfe_i32 v224 /*v480*/, v175 /*v431*/, 0, 8
	v_bfe_i32 v225 /*v481*/, v175 /*v431*/, 8, 8
	s_set_vgpr_msb 20                       ;  msbs: dst=0 src0=0 src1=1 src2=1
	v_add3_u32 v52, v52, v97 /*v353*/, v98 /*v354*/
	s_set_vgpr_msb 0x45                     ;  msbs: dst=1 src0=1 src1=1 src2=0
	v_mul_i32_i24_e32 v101 /*v357*/, v125 /*v381*/, v222 /*v478*/
	v_mul_i32_i24_e32 v102 /*v358*/, v122 /*v378*/, v223 /*v479*/
	s_wait_dscnt 0x1
	v_bfe_i32 v196 /*v452*/, v178 /*v434*/, 0, 8
	v_mul_i32_i24_e32 v103 /*v359*/, v224 /*v480*/, v128 /*v384*/
	s_set_vgpr_msb 20                       ;  msbs: dst=0 src0=0 src1=1 src2=1
	v_add3_u32 v52, v52, v99 /*v355*/, v100 /*v356*/
	s_set_vgpr_msb 0x45                     ;  msbs: dst=1 src0=1 src1=1 src2=0
	v_mul_i32_i24_e32 v104 /*v360*/, v225 /*v481*/, v129 /*v385*/
	v_bfe_i32 v168 /*v424*/, v178 /*v434*/, 8, 8
	v_bfe_i32 v197 /*v453*/, v178 /*v434*/, 16, 8
	v_dual_ashrrev_i32 v198 /*v454*/, 24, v178 /*v434*/ :: v_dual_ashrrev_i32 v172 /*v428*/, 24, v179 /*v435*/
	s_set_vgpr_msb 20                       ;  msbs: dst=0 src0=0 src1=1 src2=1
	v_add3_u32 v52, v52, v101 /*v357*/, v102 /*v358*/
	s_set_vgpr_msb 0x41                     ;  msbs: dst=1 src0=1 src1=0 src2=0
	v_bfe_i32 v169 /*v425*/, v179 /*v435*/, 0, 8
	v_bfe_i32 v170 /*v426*/, v179 /*v435*/, 8, 8
	s_set_vgpr_msb 5                        ;  msbs: dst=0 src0=1 src1=1 src2=0
	v_mul_i32_i24_e32 v53, v132 /*v388*/, v197 /*v453*/
	v_mul_i32_i24_e32 v54, v123 /*v379*/, v198 /*v454*/
	s_set_vgpr_msb 0x54                     ;  msbs: dst=1 src0=0 src1=1 src2=1
	v_add3_u32 v96 /*v352*/, v52, v103 /*v359*/, v104 /*v360*/
	s_set_vgpr_msb 4                        ;  msbs: dst=0 src0=0 src1=1 src2=0
	v_mul_i32_i24_e32 v52, v116, v196 /*v452*/
	s_set_vgpr_msb 0x41                     ;  msbs: dst=1 src0=1 src1=0 src2=0
	v_bfe_i32 v171 /*v427*/, v179 /*v435*/, 16, 8
	v_bfe_i32 v173 /*v429*/, v180 /*v436*/, 0, 8
	;; [unrolled: 1-line block ×3, first 2 shown]
	s_set_vgpr_msb 5                        ;  msbs: dst=0 src0=1 src1=1 src2=0
	v_mul_i32_i24_e32 v56, v115 /*v371*/, v172 /*v428*/
	s_set_vgpr_msb 4                        ;  msbs: dst=0 src0=0 src1=1 src2=0
	v_mad_i32_i24 v52, v113, v168 /*v424*/, v52
	s_set_vgpr_msb 5                        ;  msbs: dst=0 src0=1 src1=1 src2=0
	v_mul_i32_i24_e32 v55, v133 /*v389*/, v171 /*v427*/
	s_set_vgpr_msb 0x41                     ;  msbs: dst=1 src0=1 src1=0 src2=0
	v_bfe_i32 v226 /*v482*/, v175 /*v431*/, 16, 8
	v_bfe_i32 v175 /*v431*/, v180 /*v436*/, 16, 8
	s_set_vgpr_msb 0x44                     ;  msbs: dst=1 src0=0 src1=1 src2=0
	v_dual_ashrrev_i32 v176 /*v432*/, 24, v180 /*v436*/ :: v_dual_ashrrev_i32 v180 /*v436*/, 24, v181 /*v437*/
	s_set_vgpr_msb 0                        ;  msbs: dst=0 src0=0 src1=0 src2=0
	v_add3_u32 v52, v52, v53, v54
	s_set_vgpr_msb 4                        ;  msbs: dst=0 src0=0 src1=1 src2=0
	v_mul_i32_i24_e32 v53, v117, v169 /*v425*/
	s_set_vgpr_msb 5                        ;  msbs: dst=0 src0=1 src1=1 src2=0
	v_mul_i32_i24_e32 v54, v134 /*v390*/, v170 /*v426*/
	s_set_vgpr_msb 4                        ;  msbs: dst=0 src0=0 src1=1 src2=0
	v_mul_i32_i24_e32 v58, v114, v173 /*v429*/
	s_set_vgpr_msb 5                        ;  msbs: dst=0 src0=1 src1=1 src2=0
	v_mul_i32_i24_e32 v61, v136 /*v392*/, v174 /*v430*/
	s_set_vgpr_msb 0x41                     ;  msbs: dst=1 src0=1 src1=0 src2=0
	v_bfe_i32 v177 /*v433*/, v181 /*v437*/, 0, 8
	v_bfe_i32 v178 /*v434*/, v181 /*v437*/, 8, 8
	s_set_vgpr_msb 0                        ;  msbs: dst=0 src0=0 src1=0 src2=0
	v_add3_u32 v52, v52, v53, v54
	s_set_vgpr_msb 5                        ;  msbs: dst=0 src0=1 src1=1 src2=0
	v_mul_i32_i24_e32 v67, v135 /*v391*/, v175 /*v431*/
	v_mul_i32_i24_e32 v69, v116 /*v372*/, v176 /*v432*/
	s_set_vgpr_msb 0x41                     ;  msbs: dst=1 src0=1 src1=0 src2=0
	v_bfe_i32 v179 /*v435*/, v181 /*v437*/, 16, 8
	s_set_vgpr_msb 4                        ;  msbs: dst=0 src0=0 src1=1 src2=0
	v_mul_i32_i24_e32 v71, v115, v177 /*v433*/
	s_set_vgpr_msb 0                        ;  msbs: dst=0 src0=0 src1=0 src2=0
	v_add3_u32 v52, v52, v55, v56
	s_set_vgpr_msb 5                        ;  msbs: dst=0 src0=1 src1=1 src2=0
	v_mul_i32_i24_e32 v82, v138 /*v394*/, v178 /*v434*/
	s_wait_dscnt 0x0
	s_set_vgpr_msb 0x41                     ;  msbs: dst=1 src0=1 src1=0 src2=0
	v_bfe_i32 v181 /*v437*/, v232 /*v488*/, 0, 8
	v_bfe_i32 v182 /*v438*/, v232 /*v488*/, 8, 8
	s_set_vgpr_msb 5                        ;  msbs: dst=0 src0=1 src1=1 src2=0
	v_mul_i32_i24_e32 v84, v137 /*v393*/, v179 /*v435*/
	s_set_vgpr_msb 0                        ;  msbs: dst=0 src0=0 src1=0 src2=0
	v_add3_u32 v52, v52, v58, v61
	s_set_vgpr_msb 5                        ;  msbs: dst=0 src0=1 src1=1 src2=0
	v_mul_i32_i24_e32 v86, v117 /*v373*/, v180 /*v436*/
	s_set_vgpr_msb 0x41                     ;  msbs: dst=1 src0=1 src1=0 src2=0
	v_bfe_i32 v183 /*v439*/, v232 /*v488*/, 16, 8
	s_set_vgpr_msb 0x44                     ;  msbs: dst=1 src0=0 src1=1 src2=0
	v_dual_ashrrev_i32 v184 /*v440*/, 24, v232 /*v488*/ :: v_dual_ashrrev_i32 v188 /*v444*/, 24, v233 /*v489*/
	s_set_vgpr_msb 0                        ;  msbs: dst=0 src0=0 src1=0 src2=0
	v_add3_u32 v52, v52, v67, v69
	s_set_vgpr_msb 4                        ;  msbs: dst=0 src0=0 src1=1 src2=0
	v_mul_i32_i24_e32 v92, v110, v181 /*v437*/
	s_set_vgpr_msb 5                        ;  msbs: dst=0 src0=1 src1=1 src2=0
	v_mul_i32_i24_e32 v110, v140 /*v396*/, v182 /*v438*/
	s_set_vgpr_msb 0x41                     ;  msbs: dst=1 src0=1 src1=0 src2=0
	v_bfe_i32 v185 /*v441*/, v233 /*v489*/, 0, 8
	v_bfe_i32 v186 /*v442*/, v233 /*v489*/, 8, 8
	s_set_vgpr_msb 0                        ;  msbs: dst=0 src0=0 src1=0 src2=0
	v_add3_u32 v52, v52, v71, v82
	s_set_vgpr_msb 5                        ;  msbs: dst=0 src0=1 src1=1 src2=0
	v_mul_i32_i24_e32 v113, v139 /*v395*/, v183 /*v439*/
	v_mul_i32_i24_e32 v114, v118 /*v374*/, v184 /*v440*/
	s_set_vgpr_msb 0x41                     ;  msbs: dst=1 src0=1 src1=0 src2=0
	v_bfe_i32 v187 /*v443*/, v233 /*v489*/, 16, 8
	s_set_vgpr_msb 4                        ;  msbs: dst=0 src0=0 src1=1 src2=0
	v_mul_i32_i24_e32 v111, v111, v185 /*v441*/
	s_set_vgpr_msb 0                        ;  msbs: dst=0 src0=0 src1=0 src2=0
	v_add3_u32 v52, v52, v84, v86
	s_set_vgpr_msb 5                        ;  msbs: dst=0 src0=1 src1=1 src2=0
	v_mul_i32_i24_e32 v115, v142 /*v398*/, v186 /*v442*/
	s_set_vgpr_msb 0x41                     ;  msbs: dst=1 src0=1 src1=0 src2=0
	v_bfe_i32 v189 /*v445*/, v234 /*v490*/, 0, 8
	v_bfe_i32 v190 /*v446*/, v234 /*v490*/, 8, 8
	s_set_vgpr_msb 5                        ;  msbs: dst=0 src0=1 src1=1 src2=0
	v_mul_i32_i24_e32 v116, v141 /*v397*/, v187 /*v443*/
	s_set_vgpr_msb 0                        ;  msbs: dst=0 src0=0 src1=0 src2=0
	v_add3_u32 v52, v52, v92, v110
	s_set_vgpr_msb 5                        ;  msbs: dst=0 src0=1 src1=1 src2=0
	v_mul_i32_i24_e32 v117, v119 /*v375*/, v188 /*v444*/
	s_set_vgpr_msb 0x41                     ;  msbs: dst=1 src0=1 src1=0 src2=0
	v_bfe_i32 v191 /*v447*/, v234 /*v490*/, 16, 8
	s_set_vgpr_msb 0x44                     ;  msbs: dst=1 src0=0 src1=1 src2=0
	v_dual_ashrrev_i32 v192 /*v448*/, 24, v234 /*v490*/ :: v_dual_ashrrev_i32 v166 /*v422*/, 24, v235 /*v491*/
	s_set_vgpr_msb 0                        ;  msbs: dst=0 src0=0 src1=0 src2=0
	v_add3_u32 v52, v52, v113, v114
	s_set_vgpr_msb 4                        ;  msbs: dst=0 src0=0 src1=1 src2=0
	v_mul_i32_i24_e32 v112, v112, v189 /*v445*/
	s_set_vgpr_msb 5                        ;  msbs: dst=0 src0=1 src1=1 src2=0
	v_mul_i32_i24_e32 v118, v144 /*v400*/, v190 /*v446*/
	v_mul_i32_i24_e32 v119, v143 /*v399*/, v191 /*v447*/
	s_set_vgpr_msb 0x45                     ;  msbs: dst=1 src0=1 src1=1 src2=0
	v_mul_i32_i24_e32 v93 /*v349*/, v120 /*v376*/, v192 /*v448*/
	s_set_vgpr_msb 0                        ;  msbs: dst=0 src0=0 src1=0 src2=0
	v_add3_u32 v52, v52, v111, v115
	s_set_vgpr_msb 0x45                     ;  msbs: dst=1 src0=1 src1=1 src2=0
	v_bfe_i32 v193 /*v449*/, v235 /*v491*/, 0, 8
	v_bfe_i32 v194 /*v450*/, v235 /*v491*/, 8, 8
	v_mul_i32_i24_e32 v94 /*v350*/, v226 /*v482*/, v130 /*v386*/
	v_mul_i32_i24_e32 v95 /*v351*/, v227 /*v483*/, v131 /*v387*/
	s_set_vgpr_msb 0                        ;  msbs: dst=0 src0=0 src1=0 src2=0
	v_add3_u32 v52, v52, v116, v117
	s_set_vgpr_msb 1                        ;  msbs: dst=0 src0=1 src1=0 src2=0
	ds_load_b64 v[116:117], v167 /*v423*/ offset:27200
	s_set_vgpr_msb 0x45                     ;  msbs: dst=1 src0=1 src1=1 src2=0
	v_mul_i32_i24_e32 v97 /*v353*/, v193 /*v449*/, v124 /*v380*/
	v_mul_i32_i24_e32 v98 /*v354*/, v194 /*v450*/, v126 /*v382*/
	v_bfe_i32 v195 /*v451*/, v235 /*v491*/, 16, 8
	s_set_vgpr_msb 0                        ;  msbs: dst=0 src0=0 src1=0 src2=0
	v_add3_u32 v52, v52, v112, v118
	s_set_vgpr_msb 1                        ;  msbs: dst=0 src0=1 src1=0 src2=0
	v_mul_i32_i24_e32 v53, v230 /*v486*/, v222
	v_mul_i32_i24_e32 v54, v202 /*v458*/, v225
	;; [unrolled: 1-line block ×3, first 2 shown]
	s_set_vgpr_msb 0x45                     ;  msbs: dst=1 src0=1 src1=1 src2=0
	v_mul_i32_i24_e32 v92 /*v348*/, v195 /*v451*/, v127 /*v383*/
	s_set_vgpr_msb 16                       ;  msbs: dst=0 src0=0 src1=0 src2=1
	v_add3_u32 v52, v52, v119, v93 /*v349*/
	ds_load_b64 v[118:119], v36 offset:27200
	s_set_vgpr_msb 1                        ;  msbs: dst=0 src0=1 src1=0 src2=0
	v_mul_i32_i24_e32 v56, v204 /*v460*/, v227
	v_mul_i32_i24_e32 v58, v205 /*v461*/, v228
	;; [unrolled: 1-line block ×3, first 2 shown]
	s_set_vgpr_msb 0x54                     ;  msbs: dst=1 src0=0 src1=1 src2=1
	v_add3_u32 v93 /*v349*/, v52, v97 /*v353*/, v98 /*v354*/
	s_set_vgpr_msb 1                        ;  msbs: dst=0 src0=1 src1=0 src2=0
	v_mul_i32_i24_e32 v67, v207 /*v463*/, v230
	v_mul_i32_i24_e32 v69, v208 /*v464*/, v231
	;; [unrolled: 1-line block ×5, first 2 shown]
	s_wait_dscnt 0x1
	v_lshrrev_b32_e32 v52, 16, v116
	s_set_vgpr_msb 0                        ;  msbs: dst=0 src0=0 src1=0 src2=0
	v_cvt_f32_f16_e32 v114, v116
	v_cvt_f32_f16_e32 v110, v117
	s_set_vgpr_msb 1                        ;  msbs: dst=0 src0=1 src1=0 src2=0
	v_mul_i32_i24_e32 v86, v212 /*v468*/, v235
	v_mul_i32_i24_e32 v92, v213 /*v469*/, v236
	s_set_vgpr_msb 0                        ;  msbs: dst=0 src0=0 src1=0 src2=0
	v_cvt_f32_f16_e32 v112, v52
	s_set_vgpr_msb 1                        ;  msbs: dst=0 src0=1 src1=0 src2=0
	v_mul_i32_i24_e32 v222, v224 /*v480*/, v251
	s_set_vgpr_msb 5                        ;  msbs: dst=0 src0=1 src1=1 src2=0
	v_mul_i32_i24_e32 v225, v227 /*v483*/, v0 /*v256*/
	v_mul_i32_i24_e32 v226, v194 /*v450*/, v24 /*v280*/
	;; [unrolled: 1-line block ×3, first 2 shown]
	s_wait_dscnt 0x0
	s_set_vgpr_msb 0                        ;  msbs: dst=0 src0=0 src1=0 src2=0
	v_dual_lshrrev_b32 v36, 16, v118 :: v_dual_lshrrev_b32 v52, 16, v119
	v_cvt_f32_f16_e32 v111, v119
	v_cvt_f32_f16_e32 v115, v118
	s_delay_alu instid0(VALU_DEP_3)
	v_cvt_f32_f16_e32 v113, v36
	v_lshrrev_b32_e32 v36, 16, v117
	v_cvt_f32_f16_e32 v117, v52
	s_set_vgpr_msb 21                       ;  msbs: dst=0 src0=1 src1=1 src2=1
	v_add3_u32 v52, v165 /*v421*/, v163 /*v419*/, v164 /*v420*/
	s_set_vgpr_msb 0                        ;  msbs: dst=0 src0=0 src1=0 src2=0
	v_cvt_f32_f16_e32 v116, v36
	s_set_vgpr_msb 21                       ;  msbs: dst=0 src0=1 src1=1 src2=1
	v_add3_u32 v36, v96 /*v352*/, v94 /*v350*/, v95 /*v351*/
	s_set_vgpr_msb 0                        ;  msbs: dst=0 src0=0 src1=0 src2=0
	v_mul_lo_u32 v52, v52, v105
	s_set_vgpr_msb 64                       ;  msbs: dst=1 src0=0 src1=0 src2=0
	v_pk_fma_f32 v[94:95] /*v[350:351]*/, v[98:99], v[112:113], 0 op_sel_hi:[0,1,0]
	s_set_vgpr_msb 1                        ;  msbs: dst=0 src0=1 src1=0 src2=0
	v_mul_i32_i24_e32 v98, v214 /*v470*/, v237
	s_set_vgpr_msb 0                        ;  msbs: dst=0 src0=0 src1=0 src2=0
	v_mul_lo_u32 v36, v36, v105
	s_set_vgpr_msb 4                        ;  msbs: dst=0 src0=0 src1=1 src2=0
	v_mul_i32_i24_e32 v105, v242, v218 /*v474*/
	v_cvt_f32_i32_e32 v118, v52
	s_set_vgpr_msb 1                        ;  msbs: dst=0 src0=1 src1=0 src2=0
	v_mul_i32_i24_e32 v52, v166 /*v422*/, v103
	s_set_vgpr_msb 0                        ;  msbs: dst=0 src0=0 src1=0 src2=0
	s_delay_alu instid0(VALU_DEP_4)
	v_cvt_f32_i32_e32 v119, v36
	s_set_vgpr_msb 1                        ;  msbs: dst=0 src0=1 src1=0 src2=0
	v_mul_i32_i24_e32 v36, v145 /*v401*/, v103
	s_set_vgpr_msb 5                        ;  msbs: dst=0 src0=1 src1=1 src2=0
	v_add3_u32 v52, v93 /*v349*/, v92 /*v348*/, v52
	s_set_vgpr_msb 4                        ;  msbs: dst=0 src0=0 src1=1 src2=0
	v_mul_i32_i24_e32 v103, v239, v217 /*v473*/
	s_set_vgpr_msb 0                        ;  msbs: dst=0 src0=0 src1=0 src2=0
	v_pk_fma_f32 v[118:119], v[114:115], v[118:119], 0 op_sel_hi:[1,1,0]
	s_set_vgpr_msb 5                        ;  msbs: dst=0 src0=1 src1=1 src2=0
	v_add3_u32 v36, v162 /*v418*/, v161 /*v417*/, v36
	s_set_vgpr_msb 16                       ;  msbs: dst=0 src0=0 src1=0 src2=1
	v_mul_lo_u32 v52, v52, v101
	s_delay_alu instid0(VALU_DEP_2) | instskip(SKIP_1) | instid1(VALU_DEP_1)
	v_mul_lo_u32 v36, v36, v101
	v_pk_fma_f32 v[100:101], v[100:101], v[116:117], v[94:95] /*v[350:351]*/ op_sel_hi:[0,1,1]
	v_pk_mul_f32 v[100:101], v[100:101], v[8:9]
	s_set_vgpr_msb 64                       ;  msbs: dst=1 src0=0 src1=0 src2=0
	s_delay_alu instid0(VALU_DEP_4)
	v_cvt_f32_i32_e32 v93 /*v349*/, v52
	s_set_vgpr_msb 1                        ;  msbs: dst=0 src0=1 src1=0 src2=0
	v_mul_i32_i24_e32 v52, v229 /*v485*/, v221
	s_set_vgpr_msb 4                        ;  msbs: dst=0 src0=0 src1=1 src2=0
	v_mul_i32_i24_e32 v221, v245, v223 /*v479*/
	s_set_vgpr_msb 64                       ;  msbs: dst=1 src0=0 src1=0 src2=0
	v_cvt_f32_i32_e32 v92 /*v348*/, v36
	s_set_vgpr_msb 1                        ;  msbs: dst=0 src0=1 src1=0 src2=0
	v_mul_i32_i24_e32 v36, v228 /*v484*/, v220
	s_set_vgpr_msb 4                        ;  msbs: dst=0 src0=0 src1=1 src2=0
	v_mul_i32_i24_e32 v220, v247, v222 /*v478*/
	v_pk_fma_f32 v[118:119], v[110:111], v[92:93] /*v[348:349]*/, v[118:119]
	s_set_vgpr_msb 1                        ;  msbs: dst=0 src0=1 src1=0 src2=0
	v_mad_i32_i24 v36, v199 /*v455*/, v219, v36
	s_set_vgpr_msb 4                        ;  msbs: dst=0 src0=0 src1=1 src2=0
	v_mul_i32_i24_e32 v219, v243, v221 /*v477*/
	s_set_vgpr_msb 0                        ;  msbs: dst=0 src0=0 src1=0 src2=0
	v_pk_fma_f32 v[100:101], v[118:119], v[0:1], v[100:101] neg_lo:[0,0,1] neg_hi:[0,0,1]
	v_add3_u32 v36, v36, v52, v53
	s_set_vgpr_msb 1                        ;  msbs: dst=0 src0=1 src1=0 src2=0
	v_mul_i32_i24_e32 v52, v200 /*v456*/, v223
	v_mul_i32_i24_e32 v53, v201 /*v457*/, v224
	s_set_vgpr_msb 4                        ;  msbs: dst=0 src0=0 src1=1 src2=0
	v_mul_i32_i24_e32 v118, v241, v219 /*v475*/
	s_set_vgpr_msb 0                        ;  msbs: dst=0 src0=0 src1=0 src2=0
	v_pk_add_f32 v[22:23], v[22:23], v[100:101]
	s_set_vgpr_msb 1                        ;  msbs: dst=0 src0=1 src1=0 src2=0
	v_mul_i32_i24_e32 v100, v215 /*v471*/, v238
	s_set_vgpr_msb 4                        ;  msbs: dst=0 src0=0 src1=1 src2=0
	v_mul_i32_i24_e32 v101, v240, v216 /*v472*/
	s_set_vgpr_msb 0                        ;  msbs: dst=0 src0=0 src1=0 src2=0
	v_add3_u32 v36, v36, v52, v53
	s_set_vgpr_msb 1                        ;  msbs: dst=0 src0=1 src1=0 src2=0
	v_mul_i32_i24_e32 v52, v196 /*v452*/, v249
	v_mul_i32_i24_e32 v53, v197 /*v453*/, v246
	s_set_vgpr_msb 4                        ;  msbs: dst=0 src0=0 src1=1 src2=0
	v_mul_i32_i24_e32 v119, v244, v220 /*v476*/
	s_set_vgpr_msb 1                        ;  msbs: dst=0 src0=1 src1=0 src2=0
	v_mul_i32_i24_e32 v223, v225 /*v481*/, v253
	s_set_vgpr_msb 0                        ;  msbs: dst=0 src0=0 src1=0 src2=0
	v_add3_u32 v36, v36, v54, v55
	s_set_vgpr_msb 1                        ;  msbs: dst=0 src0=1 src1=0 src2=0
	v_mul_i32_i24_e32 v54, v198 /*v454*/, v252
	v_mad_i32_i24 v52, v168 /*v424*/, v248, v52
	v_mul_i32_i24_e32 v55, v171 /*v427*/, v250
	v_mul_i32_i24_e32 v224, v226 /*v482*/, v254
	s_set_vgpr_msb 0                        ;  msbs: dst=0 src0=0 src1=0 src2=0
	v_add3_u32 v36, v36, v56, v58
	s_set_vgpr_msb 5                        ;  msbs: dst=0 src0=1 src1=1 src2=0
	v_mul_i32_i24_e32 v56, v172 /*v428*/, v3 /*v259*/
	s_set_vgpr_msb 0                        ;  msbs: dst=0 src0=0 src1=0 src2=0
	v_add3_u32 v52, v52, v53, v54
	s_set_vgpr_msb 1                        ;  msbs: dst=0 src0=1 src1=0 src2=0
	v_mul_i32_i24_e32 v53, v169 /*v425*/, v255
	s_set_vgpr_msb 5                        ;  msbs: dst=0 src0=1 src1=1 src2=0
	v_mul_i32_i24_e32 v54, v170 /*v426*/, v1 /*v257*/
	s_set_vgpr_msb 0                        ;  msbs: dst=0 src0=0 src1=0 src2=0
	v_add3_u32 v36, v36, v61, v67
	s_set_vgpr_msb 5                        ;  msbs: dst=0 src0=1 src1=1 src2=0
	v_mul_i32_i24_e32 v58, v173 /*v429*/, v4 /*v260*/
	v_mul_i32_i24_e32 v61, v174 /*v430*/, v5 /*v261*/
	;; [unrolled: 1-line block ×3, first 2 shown]
	s_set_vgpr_msb 0                        ;  msbs: dst=0 src0=0 src1=0 src2=0
	v_add3_u32 v52, v52, v53, v54
	v_add3_u32 v36, v36, v69, v71
	s_set_vgpr_msb 21                       ;  msbs: dst=0 src0=1 src1=1 src2=1
	v_mul_i32_i24_e32 v69, v176 /*v432*/, v7 /*v263*/
	v_mul_i32_i24_e32 v71, v177 /*v433*/, v8 /*v264*/
	v_add3_u32 v53, v160 /*v416*/, v158 /*v414*/, v159 /*v415*/
	s_set_vgpr_msb 0                        ;  msbs: dst=0 src0=0 src1=0 src2=0
	v_add3_u32 v52, v52, v55, v56
	v_add3_u32 v36, v36, v82, v84
	s_set_vgpr_msb 5                        ;  msbs: dst=0 src0=1 src1=1 src2=0
	v_mul_i32_i24_e32 v82, v178 /*v434*/, v9 /*v265*/
	v_mul_i32_i24_e32 v84, v179 /*v435*/, v6 /*v262*/
	s_set_vgpr_msb 0                        ;  msbs: dst=0 src0=0 src1=0 src2=0
	v_mul_lo_u32 v53, v53, v218
	v_add3_u32 v52, v52, v58, v61
	v_add3_u32 v36, v36, v86, v92
	s_set_vgpr_msb 5                        ;  msbs: dst=0 src0=1 src1=1 src2=0
	v_mul_i32_i24_e32 v86, v180 /*v436*/, v10 /*v266*/
	v_mul_i32_i24_e32 v92, v181 /*v437*/, v11 /*v267*/
	s_set_vgpr_msb 1                        ;  msbs: dst=0 src0=1 src1=0 src2=0
	v_mul_i32_i24_e32 v54, v202 /*v458*/, v161
	s_set_vgpr_msb 0                        ;  msbs: dst=0 src0=0 src1=0 src2=0
	v_add3_u32 v52, v52, v67, v69
	v_add3_u32 v36, v36, v98, v100
	s_set_vgpr_msb 5                        ;  msbs: dst=0 src0=1 src1=1 src2=0
	v_mul_i32_i24_e32 v98, v182 /*v438*/, v12 /*v268*/
	v_mul_i32_i24_e32 v100, v14 /*v270*/, v183 /*v439*/
	s_set_vgpr_msb 1                        ;  msbs: dst=0 src0=1 src1=0 src2=0
	v_mul_i32_i24_e32 v55, v203 /*v459*/, v162
	s_set_vgpr_msb 0                        ;  msbs: dst=0 src0=0 src1=0 src2=0
	;; [unrolled: 8-line block ×5, first 2 shown]
	v_add3_u32 v52, v52, v100, v101
	v_add3_u32 v36, v36, v220, v221
	s_set_vgpr_msb 5                        ;  msbs: dst=0 src0=1 src1=1 src2=0
	v_mul_i32_i24_e32 v220, v20 /*v276*/, v190 /*v446*/
	v_mul_i32_i24_e32 v221, v22 /*v278*/, v191 /*v447*/
	s_set_vgpr_msb 0                        ;  msbs: dst=0 src0=0 src1=0 src2=0
	v_cvt_f32_i32_e32 v100, v53
	v_add3_u32 v52, v52, v103, v105
	v_add3_u32 v36, v36, v222, v223
	s_set_vgpr_msb 5                        ;  msbs: dst=0 src0=1 src1=1 src2=0
	v_mul_i32_i24_e32 v222, v21 /*v277*/, v192 /*v448*/
	v_mul_i32_i24_e32 v223, v193 /*v449*/, v23 /*v279*/
	s_set_vgpr_msb 1                        ;  msbs: dst=0 src0=1 src1=0 src2=0
	v_mul_i32_i24_e32 v53, v166 /*v422*/, v109
	s_set_vgpr_msb 0                        ;  msbs: dst=0 src0=0 src1=0 src2=0
	v_add3_u32 v52, v52, v118, v119
	v_add3_u32 v36, v36, v224, v225
	v_pk_fma_f32 v[102:103], v[102:103], v[112:113], 0 op_sel_hi:[0,1,0]
	s_set_vgpr_msb 1                        ;  msbs: dst=0 src0=1 src1=0 src2=0
	v_mul_i32_i24_e32 v67, v207 /*v463*/, v166
	v_mul_i32_i24_e32 v69, v208 /*v464*/, v167
	s_set_vgpr_msb 0                        ;  msbs: dst=0 src0=0 src1=0 src2=0
	v_add3_u32 v52, v52, v219, v220
	v_mul_lo_u32 v36, v36, v218
	v_pk_fma_f32 v[102:103], v[104:105], v[116:117], v[102:103] op_sel_hi:[0,1,1]
	s_set_vgpr_msb 1                        ;  msbs: dst=0 src0=1 src1=0 src2=0
	v_mul_i32_i24_e32 v71, v209 /*v465*/, v168
	v_mul_i32_i24_e32 v82, v210 /*v466*/, v169
	s_set_vgpr_msb 0                        ;  msbs: dst=0 src0=0 src1=0 src2=0
	v_add3_u32 v52, v52, v221, v222
	s_set_vgpr_msb 1                        ;  msbs: dst=0 src0=1 src1=0 src2=0
	v_mul_i32_i24_e32 v84, v211 /*v467*/, v170
	s_set_vgpr_msb 0                        ;  msbs: dst=0 src0=0 src1=0 src2=0
	v_pk_mul_f32 v[102:103], v[102:103], v[10:11]
	s_set_vgpr_msb 1                        ;  msbs: dst=0 src0=1 src1=0 src2=0
	v_mul_i32_i24_e32 v86, v212 /*v468*/, v171
	v_mul_i32_i24_e32 v92, v213 /*v469*/, v172
	s_set_vgpr_msb 0                        ;  msbs: dst=0 src0=0 src1=0 src2=0
	v_add3_u32 v52, v52, v223, v226
	s_set_vgpr_msb 1                        ;  msbs: dst=0 src0=1 src1=0 src2=0
	v_mul_i32_i24_e32 v98, v214 /*v470*/, v173
	s_set_vgpr_msb 0                        ;  msbs: dst=0 src0=0 src1=0 src2=0
	v_cvt_f32_i32_e32 v101, v36
	s_set_vgpr_msb 1                        ;  msbs: dst=0 src0=1 src1=0 src2=0
	v_mul_i32_i24_e32 v36, v145 /*v401*/, v109
	s_set_vgpr_msb 4                        ;  msbs: dst=0 src0=0 src1=1 src2=0
	v_mul_i32_i24_e32 v104, v177, v219 /*v475*/
	s_set_vgpr_msb 0                        ;  msbs: dst=0 src0=0 src1=0 src2=0
	v_add3_u32 v52, v52, v227, v53
	s_set_vgpr_msb 1                        ;  msbs: dst=0 src0=1 src1=0 src2=0
	v_mul_i32_i24_e32 v53, v230 /*v486*/, v158
	s_set_vgpr_msb 0                        ;  msbs: dst=0 src0=0 src1=0 src2=0
	v_pk_fma_f32 v[100:101], v[114:115], v[100:101], 0 op_sel_hi:[1,1,0]
	s_set_vgpr_msb 5                        ;  msbs: dst=0 src0=1 src1=1 src2=0
	v_add3_u32 v36, v157 /*v413*/, v156 /*v412*/, v36
	s_set_vgpr_msb 4                        ;  msbs: dst=0 src0=0 src1=1 src2=0
	v_mul_i32_i24_e32 v105, v180, v220 /*v476*/
	s_set_vgpr_msb 0                        ;  msbs: dst=0 src0=0 src1=0 src2=0
	v_mul_lo_u32 v52, v52, v157
	s_set_vgpr_msb 4                        ;  msbs: dst=0 src0=0 src1=1 src2=0
	v_mul_i32_i24_e32 v109, v179, v221 /*v477*/
	s_set_vgpr_msb 1                        ;  msbs: dst=0 src0=1 src1=0 src2=0
	v_mul_i32_i24_e32 v158, v194 /*v450*/, v216
	s_set_vgpr_msb 0                        ;  msbs: dst=0 src0=0 src1=0 src2=0
	v_mul_lo_u32 v36, v36, v157
	s_set_vgpr_msb 1                        ;  msbs: dst=0 src0=1 src1=0 src2=0
	v_mul_i32_i24_e32 v157, v227 /*v483*/, v192
	s_set_vgpr_msb 0                        ;  msbs: dst=0 src0=0 src1=0 src2=0
	v_cvt_f32_i32_e32 v119, v52
	s_set_vgpr_msb 1                        ;  msbs: dst=0 src0=1 src1=0 src2=0
	v_mul_i32_i24_e32 v52, v229 /*v485*/, v124
	v_mul_i32_i24_e32 v124, v226 /*v482*/, v190
	s_set_vgpr_msb 0                        ;  msbs: dst=0 src0=0 src1=0 src2=0
	v_cvt_f32_i32_e32 v118, v36
	s_set_vgpr_msb 1                        ;  msbs: dst=0 src0=1 src1=0 src2=0
	v_mul_i32_i24_e32 v36, v228 /*v484*/, v122
	v_mul_i32_i24_e32 v122, v225 /*v481*/, v189
	s_set_vgpr_msb 0                        ;  msbs: dst=0 src0=0 src1=0 src2=0
	v_pk_fma_f32 v[100:101], v[110:111], v[118:119], v[100:101]
	s_set_vgpr_msb 1                        ;  msbs: dst=0 src0=1 src1=0 src2=0
	v_mad_i32_i24 v36, v199 /*v455*/, v120, v36
	s_set_vgpr_msb 4                        ;  msbs: dst=0 src0=0 src1=1 src2=0
	v_mul_i32_i24_e32 v118, v183, v222 /*v478*/
	v_mul_i32_i24_e32 v119, v181, v223 /*v479*/
	s_set_vgpr_msb 1                        ;  msbs: dst=0 src0=1 src1=0 src2=0
	v_mul_i32_i24_e32 v120, v224 /*v480*/, v187
	s_set_vgpr_msb 0                        ;  msbs: dst=0 src0=0 src1=0 src2=0
	v_pk_fma_f32 v[100:101], v[100:101], v[2:3], v[102:103] neg_lo:[0,0,1] neg_hi:[0,0,1]
	v_add3_u32 v36, v36, v52, v53
	s_set_vgpr_msb 1                        ;  msbs: dst=0 src0=1 src1=0 src2=0
	v_mul_i32_i24_e32 v52, v200 /*v456*/, v159
	v_mul_i32_i24_e32 v53, v201 /*v457*/, v160
	s_set_vgpr_msb 4                        ;  msbs: dst=0 src0=0 src1=1 src2=0
	v_mul_i32_i24_e32 v102, v175, v217 /*v473*/
	s_set_vgpr_msb 0                        ;  msbs: dst=0 src0=0 src1=0 src2=0
	v_pk_add_f32 v[20:21], v[20:21], v[100:101]
	s_set_vgpr_msb 1                        ;  msbs: dst=0 src0=1 src1=0 src2=0
	v_mul_i32_i24_e32 v100, v215 /*v471*/, v174
	s_set_vgpr_msb 4                        ;  msbs: dst=0 src0=0 src1=1 src2=0
	v_mul_i32_i24_e32 v101, v176, v216 /*v472*/
	s_set_vgpr_msb 0                        ;  msbs: dst=0 src0=0 src1=0 src2=0
	v_add3_u32 v36, v36, v52, v53
	s_set_vgpr_msb 1                        ;  msbs: dst=0 src0=1 src1=0 src2=0
	v_mul_i32_i24_e32 v52, v196 /*v452*/, v185
	v_mul_i32_i24_e32 v53, v197 /*v453*/, v182
	s_set_vgpr_msb 4                        ;  msbs: dst=0 src0=0 src1=1 src2=0
	v_mul_i32_i24_e32 v103, v178, v218 /*v474*/
	s_set_vgpr_msb 1                        ;  msbs: dst=0 src0=1 src1=0 src2=0
	v_mul_i32_i24_e32 v159, v195 /*v451*/, v217
	s_set_vgpr_msb 0                        ;  msbs: dst=0 src0=0 src1=0 src2=0
	v_add3_u32 v36, v36, v54, v55
	s_set_vgpr_msb 1                        ;  msbs: dst=0 src0=1 src1=0 src2=0
	v_mul_i32_i24_e32 v54, v198 /*v454*/, v188
	v_mad_i32_i24 v52, v168 /*v424*/, v184, v52
	v_mul_i32_i24_e32 v55, v171 /*v427*/, v186
	s_set_vgpr_msb 0                        ;  msbs: dst=0 src0=0 src1=0 src2=0
	v_add3_u32 v36, v36, v56, v58
	s_set_vgpr_msb 1                        ;  msbs: dst=0 src0=1 src1=0 src2=0
	v_mul_i32_i24_e32 v56, v172 /*v428*/, v195
	s_set_vgpr_msb 0                        ;  msbs: dst=0 src0=0 src1=0 src2=0
	v_add3_u32 v52, v52, v53, v54
	s_set_vgpr_msb 1                        ;  msbs: dst=0 src0=1 src1=0 src2=0
	v_mul_i32_i24_e32 v53, v169 /*v425*/, v191
	v_mul_i32_i24_e32 v54, v170 /*v426*/, v193
	s_set_vgpr_msb 0                        ;  msbs: dst=0 src0=0 src1=0 src2=0
	v_add3_u32 v36, v36, v61, v67
	s_set_vgpr_msb 1                        ;  msbs: dst=0 src0=1 src1=0 src2=0
	v_mul_i32_i24_e32 v58, v173 /*v429*/, v196
	v_mul_i32_i24_e32 v61, v174 /*v430*/, v197
	;; [unrolled: 1-line block ×3, first 2 shown]
	s_set_vgpr_msb 0                        ;  msbs: dst=0 src0=0 src1=0 src2=0
	v_add3_u32 v52, v52, v53, v54
	v_add3_u32 v36, v36, v69, v71
	s_set_vgpr_msb 1                        ;  msbs: dst=0 src0=1 src1=0 src2=0
	v_mul_i32_i24_e32 v69, v176 /*v432*/, v199
	v_mul_i32_i24_e32 v71, v177 /*v433*/, v200
	s_set_vgpr_msb 21                       ;  msbs: dst=0 src0=1 src1=1 src2=1
	v_add3_u32 v53, v155 /*v411*/, v153 /*v409*/, v154 /*v410*/
	s_set_vgpr_msb 0                        ;  msbs: dst=0 src0=0 src1=0 src2=0
	v_add3_u32 v52, v52, v55, v56
	v_add3_u32 v36, v36, v82, v84
	s_set_vgpr_msb 1                        ;  msbs: dst=0 src0=1 src1=0 src2=0
	v_mul_i32_i24_e32 v82, v178 /*v434*/, v201
	v_mul_i32_i24_e32 v84, v179 /*v435*/, v198
	s_set_vgpr_msb 0                        ;  msbs: dst=0 src0=0 src1=0 src2=0
	v_mul_lo_u32 v53, v53, v107
	v_add3_u32 v52, v52, v58, v61
	v_add3_u32 v36, v36, v86, v92
	s_set_vgpr_msb 1                        ;  msbs: dst=0 src0=1 src1=0 src2=0
	v_mul_i32_i24_e32 v86, v180 /*v436*/, v202
	v_mul_i32_i24_e32 v92, v181 /*v437*/, v203
	s_set_vgpr_msb 5                        ;  msbs: dst=0 src0=1 src1=1 src2=0
	v_mul_i32_i24_e32 v54, v202 /*v458*/, v35 /*v291*/
	s_set_vgpr_msb 0                        ;  msbs: dst=0 src0=0 src1=0 src2=0
	v_add3_u32 v52, v52, v67, v69
	v_add3_u32 v36, v36, v98, v100
	s_set_vgpr_msb 1                        ;  msbs: dst=0 src0=1 src1=0 src2=0
	v_mul_i32_i24_e32 v98, v182 /*v438*/, v204
	s_set_vgpr_msb 4                        ;  msbs: dst=0 src0=0 src1=1 src2=0
	v_mul_i32_i24_e32 v100, v206, v183 /*v439*/
	s_set_vgpr_msb 5                        ;  msbs: dst=0 src0=1 src1=1 src2=0
	v_mul_i32_i24_e32 v55, v203 /*v459*/, v36 /*v292*/
	s_set_vgpr_msb 0                        ;  msbs: dst=0 src0=0 src1=0 src2=0
	v_add3_u32 v52, v52, v71, v82
	v_add3_u32 v36, v36, v101, v102
	s_set_vgpr_msb 4                        ;  msbs: dst=0 src0=0 src1=1 src2=0
	v_mul_i32_i24_e32 v101, v205, v184 /*v440*/
	v_mul_i32_i24_e32 v102, v207, v185 /*v441*/
	s_set_vgpr_msb 5                        ;  msbs: dst=0 src0=1 src1=1 src2=0
	v_mul_i32_i24_e32 v56, v204 /*v460*/, v37 /*v293*/
	s_set_vgpr_msb 0                        ;  msbs: dst=0 src0=0 src1=0 src2=0
	v_add3_u32 v52, v52, v84, v86
	v_add3_u32 v36, v36, v103, v104
	s_set_vgpr_msb 4                        ;  msbs: dst=0 src0=0 src1=1 src2=0
	v_mul_i32_i24_e32 v103, v208, v186 /*v442*/
	;; [unrolled: 8-line block ×4, first 2 shown]
	v_mul_i32_i24_e32 v119, v214, v191 /*v447*/
	v_cvt_f32_i32_e32 v100, v53
	s_set_vgpr_msb 0                        ;  msbs: dst=0 src0=0 src1=0 src2=0
	v_add3_u32 v52, v52, v102, v103
	v_add3_u32 v36, v36, v120, v122
	s_set_vgpr_msb 4                        ;  msbs: dst=0 src0=0 src1=1 src2=0
	v_mul_i32_i24_e32 v120, v213, v192 /*v448*/
	s_set_vgpr_msb 1                        ;  msbs: dst=0 src0=1 src1=0 src2=0
	v_mul_i32_i24_e32 v122, v193 /*v449*/, v215
	v_mul_i32_i24_e32 v53, v166 /*v422*/, v97
	s_set_vgpr_msb 0                        ;  msbs: dst=0 src0=0 src1=0 src2=0
	v_add3_u32 v52, v52, v104, v105
	v_add3_u32 v36, v36, v124, v157
	v_pk_fma_f32 v[102:103], v[94:95], v[112:113], 0 op_sel_hi:[0,1,0]
	s_set_vgpr_msb 5                        ;  msbs: dst=0 src0=1 src1=1 src2=0
	v_mul_i32_i24_e32 v67, v207 /*v463*/, v40 /*v296*/
	v_mul_i32_i24_e32 v69, v208 /*v464*/, v41 /*v297*/
	s_set_vgpr_msb 0                        ;  msbs: dst=0 src0=0 src1=0 src2=0
	v_add3_u32 v52, v52, v109, v118
	v_mul_lo_u32 v36, v36, v107
	s_set_vgpr_msb 5                        ;  msbs: dst=0 src0=1 src1=1 src2=0
	v_mul_i32_i24_e32 v71, v209 /*v465*/, v42 /*v298*/
	v_mul_i32_i24_e32 v82, v210 /*v466*/, v43 /*v299*/
	;; [unrolled: 1-line block ×3, first 2 shown]
	s_set_vgpr_msb 0                        ;  msbs: dst=0 src0=0 src1=0 src2=0
	v_add3_u32 v52, v52, v119, v120
	s_set_vgpr_msb 5                        ;  msbs: dst=0 src0=1 src1=1 src2=0
	v_mul_i32_i24_e32 v86, v212 /*v468*/, v45 /*v301*/
	v_mul_i32_i24_e32 v92, v213 /*v469*/, v46 /*v302*/
	;; [unrolled: 1-line block ×4, first 2 shown]
	s_set_vgpr_msb 0                        ;  msbs: dst=0 src0=0 src1=0 src2=0
	v_add3_u32 v52, v52, v122, v158
	s_set_vgpr_msb 5                        ;  msbs: dst=0 src0=1 src1=1 src2=0
	v_mul_i32_i24_e32 v105, v224 /*v480*/, v61 /*v317*/
	s_set_vgpr_msb 0                        ;  msbs: dst=0 src0=0 src1=0 src2=0
	v_cvt_f32_i32_e32 v101, v36
	s_set_vgpr_msb 1                        ;  msbs: dst=0 src0=1 src1=0 src2=0
	v_mul_i32_i24_e32 v36, v145 /*v401*/, v97
	s_set_vgpr_msb 0                        ;  msbs: dst=0 src0=0 src1=0 src2=0
	v_pk_fma_f32 v[96:97], v[96:97], v[116:117], v[102:103] op_sel_hi:[0,1,1]
	v_add3_u32 v52, v52, v159, v53
	s_set_vgpr_msb 5                        ;  msbs: dst=0 src0=1 src1=1 src2=0
	v_mul_i32_i24_e32 v53, v230 /*v486*/, v32 /*v288*/
	s_set_vgpr_msb 0                        ;  msbs: dst=0 src0=0 src1=0 src2=0
	v_pk_fma_f32 v[100:101], v[114:115], v[100:101], 0 op_sel_hi:[1,1,0]
	s_set_vgpr_msb 5                        ;  msbs: dst=0 src0=1 src1=1 src2=0
	v_add3_u32 v36, v152 /*v408*/, v151 /*v407*/, v36
	s_set_vgpr_msb 0                        ;  msbs: dst=0 src0=0 src1=0 src2=0
	v_pk_mul_f32 v[96:97], v[96:97], v[12:13]
	v_mul_lo_u32 v52, v52, v99
	s_set_vgpr_msb 5                        ;  msbs: dst=0 src0=1 src1=1 src2=0
	v_mul_i32_i24_e32 v102, v53 /*v309*/, v221 /*v477*/
	v_mul_i32_i24_e32 v103, v57 /*v313*/, v222 /*v478*/
	s_set_vgpr_msb 0                        ;  msbs: dst=0 src0=0 src1=0 src2=0
	v_mul_lo_u32 v36, v36, v99
	s_set_vgpr_msb 5                        ;  msbs: dst=0 src0=1 src1=1 src2=0
	v_mul_i32_i24_e32 v107, v225 /*v481*/, v63 /*v319*/
	v_mul_i32_i24_e32 v109, v226 /*v482*/, v64 /*v320*/
	;; [unrolled: 1-line block ×5, first 2 shown]
	s_set_vgpr_msb 0                        ;  msbs: dst=0 src0=0 src1=0 src2=0
	v_cvt_f32_i32_e32 v99, v52
	s_set_vgpr_msb 5                        ;  msbs: dst=0 src0=1 src1=1 src2=0
	v_mul_i32_i24_e32 v52, v229 /*v485*/, v31 /*v287*/
	s_set_vgpr_msb 0                        ;  msbs: dst=0 src0=0 src1=0 src2=0
	v_cvt_f32_i32_e32 v98, v36
	s_set_vgpr_msb 5                        ;  msbs: dst=0 src0=1 src1=1 src2=0
	v_mul_i32_i24_e32 v36, v228 /*v484*/, v30 /*v286*/
	s_set_vgpr_msb 0                        ;  msbs: dst=0 src0=0 src1=0 src2=0
	s_delay_alu instid0(VALU_DEP_2) | instskip(SKIP_1) | instid1(VALU_DEP_2)
	v_pk_fma_f32 v[98:99], v[110:111], v[98:99], v[100:101]
	s_set_vgpr_msb 5                        ;  msbs: dst=0 src0=1 src1=1 src2=0
	v_mad_i32_i24 v36, v199 /*v455*/, v29 /*v285*/, v36
	v_mul_i32_i24_e32 v100, v51 /*v307*/, v219 /*v475*/
	v_mul_i32_i24_e32 v101, v54 /*v310*/, v220 /*v476*/
	s_set_vgpr_msb 0                        ;  msbs: dst=0 src0=0 src1=0 src2=0
	v_pk_fma_f32 v[96:97], v[98:99], v[4:5], v[96:97] neg_lo:[0,0,1] neg_hi:[0,0,1]
	v_add3_u32 v36, v36, v52, v53
	s_set_vgpr_msb 5                        ;  msbs: dst=0 src0=1 src1=1 src2=0
	v_mul_i32_i24_e32 v52, v200 /*v456*/, v33 /*v289*/
	v_mul_i32_i24_e32 v53, v201 /*v457*/, v34 /*v290*/
	v_mul_i32_i24_e32 v98, v49 /*v305*/, v217 /*v473*/
	s_set_vgpr_msb 0                        ;  msbs: dst=0 src0=0 src1=0 src2=0
	v_pk_add_f32 v[18:19], v[18:19], v[96:97]
	s_set_vgpr_msb 5                        ;  msbs: dst=0 src0=1 src1=1 src2=0
	v_mul_i32_i24_e32 v96, v215 /*v471*/, v48 /*v304*/
	v_mul_i32_i24_e32 v97, v50 /*v306*/, v216 /*v472*/
	s_set_vgpr_msb 0                        ;  msbs: dst=0 src0=0 src1=0 src2=0
	v_add3_u32 v36, v36, v52, v53
	s_set_vgpr_msb 5                        ;  msbs: dst=0 src0=1 src1=1 src2=0
	v_mul_i32_i24_e32 v52, v196 /*v452*/, v59 /*v315*/
	v_mul_i32_i24_e32 v53, v197 /*v453*/, v56 /*v312*/
	;; [unrolled: 1-line block ×3, first 2 shown]
	s_set_vgpr_msb 0                        ;  msbs: dst=0 src0=0 src1=0 src2=0
	v_add3_u32 v36, v36, v54, v55
	s_set_vgpr_msb 5                        ;  msbs: dst=0 src0=1 src1=1 src2=0
	v_mul_i32_i24_e32 v54, v198 /*v454*/, v62 /*v318*/
	v_mad_i32_i24 v52, v168 /*v424*/, v58 /*v314*/, v52
	v_mul_i32_i24_e32 v55, v171 /*v427*/, v60 /*v316*/
	s_set_vgpr_msb 0                        ;  msbs: dst=0 src0=0 src1=0 src2=0
	v_add3_u32 v36, v36, v56, v58
	s_set_vgpr_msb 5                        ;  msbs: dst=0 src0=1 src1=1 src2=0
	v_mul_i32_i24_e32 v56, v172 /*v428*/, v69 /*v325*/
	s_set_vgpr_msb 0                        ;  msbs: dst=0 src0=0 src1=0 src2=0
	v_add3_u32 v52, v52, v53, v54
	s_set_vgpr_msb 5                        ;  msbs: dst=0 src0=1 src1=1 src2=0
	v_mul_i32_i24_e32 v53, v169 /*v425*/, v65 /*v321*/
	v_mul_i32_i24_e32 v54, v170 /*v426*/, v67 /*v323*/
	s_set_vgpr_msb 0                        ;  msbs: dst=0 src0=0 src1=0 src2=0
	v_add3_u32 v36, v36, v61, v67
	s_set_vgpr_msb 5                        ;  msbs: dst=0 src0=1 src1=1 src2=0
	v_mul_i32_i24_e32 v58, v173 /*v429*/, v70 /*v326*/
	v_mul_i32_i24_e32 v61, v174 /*v430*/, v71 /*v327*/
	;; [unrolled: 1-line block ×3, first 2 shown]
	s_set_vgpr_msb 0                        ;  msbs: dst=0 src0=0 src1=0 src2=0
	v_add3_u32 v52, v52, v53, v54
	v_add3_u32 v36, v36, v69, v71
	s_set_vgpr_msb 21                       ;  msbs: dst=0 src0=1 src1=1 src2=1
	v_mul_i32_i24_e32 v69, v176 /*v432*/, v73 /*v329*/
	v_mul_i32_i24_e32 v71, v177 /*v433*/, v74 /*v330*/
	v_add3_u32 v53, v150 /*v406*/, v148 /*v404*/, v149 /*v405*/
	s_set_vgpr_msb 0                        ;  msbs: dst=0 src0=0 src1=0 src2=0
	v_add3_u32 v52, v52, v55, v56
	v_add3_u32 v36, v36, v82, v84
	s_set_vgpr_msb 5                        ;  msbs: dst=0 src0=1 src1=1 src2=0
	v_mul_i32_i24_e32 v82, v178 /*v434*/, v75 /*v331*/
	v_mul_i32_i24_e32 v84, v179 /*v435*/, v72 /*v328*/
	s_set_vgpr_msb 4                        ;  msbs: dst=0 src0=0 src1=1 src2=0
	v_mul_lo_u32 v53, v53, v28 /*v284*/
	s_set_vgpr_msb 0                        ;  msbs: dst=0 src0=0 src1=0 src2=0
	v_add3_u32 v52, v52, v58, v61
	v_add3_u32 v36, v36, v86, v92
	s_set_vgpr_msb 5                        ;  msbs: dst=0 src0=1 src1=1 src2=0
	v_mul_i32_i24_e32 v86, v180 /*v436*/, v76 /*v332*/
	v_mul_i32_i24_e32 v92, v181 /*v437*/, v77 /*v333*/
	s_set_vgpr_msb 0                        ;  msbs: dst=0 src0=0 src1=0 src2=0
	v_add3_u32 v52, v52, v67, v69
	v_add3_u32 v36, v36, v94, v96
	s_set_vgpr_msb 5                        ;  msbs: dst=0 src0=1 src1=1 src2=0
	v_mul_i32_i24_e32 v94, v182 /*v438*/, v78 /*v334*/
	v_mul_i32_i24_e32 v96, v80 /*v336*/, v183 /*v439*/
	;; [unrolled: 6-line block ×6, first 2 shown]
	s_set_vgpr_msb 0                        ;  msbs: dst=0 src0=0 src1=0 src2=0
	v_cvt_f32_i32_e32 v96, v53
	v_add3_u32 v52, v52, v98, v99
	v_add3_u32 v36, v36, v105, v107
	s_set_vgpr_msb 5                        ;  msbs: dst=0 src0=1 src1=1 src2=0
	v_mul_i32_i24_e32 v105, v87 /*v343*/, v192 /*v448*/
	v_mul_i32_i24_e32 v107, v193 /*v449*/, v89 /*v345*/
	;; [unrolled: 1-line block ×3, first 2 shown]
	s_set_vgpr_msb 0                        ;  msbs: dst=0 src0=0 src1=0 src2=0
	v_add3_u32 v52, v52, v100, v101
	v_add3_u32 v36, v36, v109, v118
	v_pk_fma_f32 v[98:99], v[108:109], v[112:113], 0 op_sel_hi:[0,1,0]
	s_delay_alu instid0(VALU_DEP_3) | instskip(SKIP_1) | instid1(VALU_DEP_3)
	v_add3_u32 v52, v52, v102, v103
	s_set_vgpr_msb 4                        ;  msbs: dst=0 src0=0 src1=1 src2=0
	v_mul_lo_u32 v36, v36, v28 /*v284*/
	s_set_vgpr_msb 0                        ;  msbs: dst=0 src0=0 src1=0 src2=0
	v_pk_fma_f32 v[98:99], v[106:107], v[116:117], v[98:99] op_sel_hi:[0,1,1]
	v_add3_u32 v52, v52, v104, v105
	s_delay_alu instid0(VALU_DEP_2) | instskip(NEXT) | instid1(VALU_DEP_2)
	v_pk_mul_f32 v[98:99], v[98:99], v[14:15]
	v_add3_u32 v52, v52, v107, v119
	v_cvt_f32_i32_e32 v97, v36
	s_set_vgpr_msb 5                        ;  msbs: dst=0 src0=1 src1=1 src2=0
	v_mul_i32_i24_e32 v36, v145 /*v401*/, v26 /*v282*/
	s_set_vgpr_msb 0                        ;  msbs: dst=0 src0=0 src1=0 src2=0
	v_add3_u32 v52, v52, v120, v53
	v_pk_fma_f32 v[96:97], v[114:115], v[96:97], 0 op_sel_hi:[1,1,0]
	s_set_vgpr_msb 5                        ;  msbs: dst=0 src0=1 src1=1 src2=0
	v_add3_u32 v36, v147 /*v403*/, v146 /*v402*/, v36
	s_set_vgpr_msb 4                        ;  msbs: dst=0 src0=0 src1=1 src2=0
	v_mul_lo_u32 v52, v52, v27 /*v283*/
	s_delay_alu instid0(VALU_DEP_2) | instskip(NEXT) | instid1(VALU_DEP_2)
	v_mul_lo_u32 v36, v36, v27 /*v283*/
	v_cvt_f32_i32_e32 v101, v52
	s_delay_alu instid0(VALU_DEP_2) | instskip(SKIP_1) | instid1(VALU_DEP_1)
	v_cvt_f32_i32_e32 v100, v36
	s_set_vgpr_msb 0                        ;  msbs: dst=0 src0=0 src1=0 src2=0
	v_pk_fma_f32 v[96:97], v[110:111], v[100:101], v[96:97]
	s_delay_alu instid0(VALU_DEP_1) | instskip(NEXT) | instid1(VALU_DEP_1)
	v_pk_fma_f32 v[96:97], v[96:97], v[6:7], v[98:99] neg_lo:[0,0,1] neg_hi:[0,0,1]
	v_pk_add_f32 v[16:17], v[16:17], v[96:97]
	s_cbranch_vccnz .LBB131_6
; %bb.7:                                ;   in Loop: Header=BB131_5 Depth=1
	v_add_nc_u32_e32 v8, s5, v123
	s_barrier_signal -1
	s_barrier_wait -1
	s_delay_alu instid0(VALU_DEP_1) | instskip(SKIP_3) | instid1(VALU_DEP_4)
	v_dual_add_nc_u32 v6, v8, v121 :: v_dual_add_nc_u32 v12, v8, v91
	v_dual_add_nc_u32 v0, v8, v81 :: v_dual_add_nc_u32 v2, v8, v83
	;; [unrolled: 1-line block ×4, first 2 shown]
	v_mad_nc_i64_i32 v[6:7], v6, 36, v[72:73]
	s_delay_alu instid0(VALU_DEP_4)
	v_mad_nc_i64_i32 v[0:1], v0, 36, v[72:73]
	v_mad_nc_i64_i32 v[2:3], v2, 36, v[72:73]
	v_add_nc_u32_e32 v14, v8, v93
	v_mad_nc_i64_i32 v[4:5], v4, 36, v[72:73]
	v_mad_nc_i64_i32 v[8:9], v9, 36, v[72:73]
	v_mad_nc_i64_i32 v[10:11], v10, 36, v[72:73]
	v_mad_nc_i64_i32 v[12:13], v12, 36, v[72:73]
	v_mad_nc_i64_i32 v[14:15], v14, 36, v[72:73]
	v_mad_nc_u64_u32 v[94:95], v36, 36, s[2:3]
	s_clause 0x8
	global_load_b32 v36, v[6:7], off offset:4
	global_load_b32 v52, v[0:1], off offset:4
	;; [unrolled: 1-line block ×8, first 2 shown]
	global_load_b32 v67, v[94:95], off
	s_mov_b32 s5, 16
	s_wait_loadcnt 0x8
	ds_store_b32 v132, v36
	s_wait_loadcnt 0x7
	ds_store_b32 v125, v52
	;; [unrolled: 2-line block ×9, first 2 shown]
	s_wait_dscnt 0x0
	s_barrier_signal -1
	s_barrier_wait -1
	ds_load_b32 v0, v134
	ds_load_b32 v1, v135 offset:128
	ds_load_b32 v2, v136 offset:256
	;; [unrolled: 1-line block ×3, first 2 shown]
	s_wait_dscnt 0x3
	v_cvt_f32_f16_e32 v94, v0
	v_lshrrev_b32_e32 v0, 16, v0
	s_wait_dscnt 0x2
	v_cvt_f32_f16_e32 v96, v1
	s_wait_dscnt 0x0
	v_dual_lshrrev_b32 v1, 16, v1 :: v_dual_lshrrev_b32 v4, 16, v3
	v_cvt_f32_f16_e32 v98, v2
	v_lshrrev_b32_e32 v2, 16, v2
	v_cvt_f32_f16_e32 v100, v3
	v_cvt_f32_f16_e32 v102, v0
	;; [unrolled: 1-line block ×5, first 2 shown]
	v_dual_mov_b32 v95, v94 :: v_dual_mov_b32 v97, v96
	v_dual_mov_b32 v99, v98 :: v_dual_mov_b32 v101, v100
	;; [unrolled: 1-line block ×3, first 2 shown]
	s_delay_alu instid0(VALU_DEP_4)
	v_dual_mov_b32 v107, v106 :: v_dual_mov_b32 v109, v108
.LBB131_8:                              ;   Parent Loop BB131_5 Depth=1
                                        ; =>  This Inner Loop Header: Depth=2
	s_lshr_b32 s12, s5, 2
	s_lshl_b32 s13, s5, 2
	s_and_b32 s16, s12, 0x3ffffffe
	s_lshl_b32 s12, s5, 1
	s_addk_co_i32 s16, 0x6200
	s_and_b32 s12, s12, 16
	v_add3_u32 v36, s16, v155, v148
	v_or_b32_e32 v0, s12, v59
	s_delay_alu instid0(VALU_DEP_1)
	v_lshlrev_b32_e32 v1, 2, v0
	s_set_vgpr_msb 64                       ;  msbs: dst=1 src0=0 src1=0 src2=0
	v_lshrrev_b32_e32 v151 /*v407*/, 1, v0
	s_set_vgpr_msb 0                        ;  msbs: dst=0 src0=0 src1=0 src2=0
	ds_load_b128 v[8:11], v1 offset:16896
	ds_load_b128 v[4:7], v1 offset:16912
	;; [unrolled: 1-line block ×4, first 2 shown]
	s_wait_dscnt 0x3
	v_bfe_i32 v176, v10, 0, 8
	s_wait_dscnt 0x2
	v_bfe_i32 v184, v4, 0, 8
	v_bfe_i32 v185, v4, 8, 8
	;; [unrolled: 1-line block ×3, first 2 shown]
	v_dual_ashrrev_i32 v188, 24, v4 :: v_dual_ashrrev_i32 v166, 24, v5
	v_dual_ashrrev_i32 v162, 24, v6 :: v_dual_add_nc_u32 v4, s13, v151
	v_bfe_i32 v177, v10, 8, 8
	v_bfe_i32 v178, v10, 16, 8
	v_dual_ashrrev_i32 v179, 24, v10 :: v_dual_ashrrev_i32 v183, 24, v11
	v_bfe_i32 v180, v11, 0, 8
	v_bfe_i32 v181, v11, 8, 8
	;; [unrolled: 1-line block ×3, first 2 shown]
	ds_load_2addr_b32 v[10:11], v4 offset1:1
	v_bfe_i32 v167, v8, 0, 8
	s_wait_dscnt 0x1
	s_set_vgpr_msb 64                       ;  msbs: dst=1 src0=0 src1=0 src2=0
	v_ashrrev_i32_e32 v160 /*v416*/, 24, v1
	s_set_vgpr_msb 0                        ;  msbs: dst=0 src0=0 src1=0 src2=0
	v_bfe_i32 v171, v8, 8, 8
	v_bfe_i32 v170, v8, 16, 8
	v_ashrrev_i32_e32 v186, 24, v8
	s_set_vgpr_msb 64                       ;  msbs: dst=1 src0=0 src1=0 src2=0
	v_dual_ashrrev_i32 v163 /*v419*/, 24, v15 :: v_dual_ashrrev_i32 v161 /*v417*/, 24, v0
	v_bfe_i32 v154 /*v410*/, v0, 0, 8
	v_bfe_i32 v155 /*v411*/, v0, 8, 8
	;; [unrolled: 1-line block ×3, first 2 shown]
	s_set_vgpr_msb 0                        ;  msbs: dst=0 src0=0 src1=0 src2=0
	v_bfe_i32 v172, v9, 0, 8
	v_bfe_i32 v173, v9, 8, 8
	v_bfe_i32 v189, v5, 0, 8
	v_bfe_i32 v190, v5, 8, 8
	v_bfe_i32 v165, v5, 16, 8
	s_set_vgpr_msb 64                       ;  msbs: dst=1 src0=0 src1=0 src2=0
	v_bfe_i32 v157 /*v413*/, v1, 0, 8
	v_bfe_i32 v158 /*v414*/, v1, 8, 8
	;; [unrolled: 1-line block ×3, first 2 shown]
	s_set_vgpr_msb 0                        ;  msbs: dst=0 src0=0 src1=0 src2=0
	v_bfe_i32 v174, v9, 16, 8
	s_wait_dscnt 0x0
	s_set_vgpr_msb 64                       ;  msbs: dst=1 src0=0 src1=0 src2=0
	v_and_b32_e32 v102 /*v358*/, 15, v10
	v_bfe_u32 v101 /*v357*/, v10, 8, 4
	v_bfe_u32 v103 /*v359*/, v10, 16, 4
	;; [unrolled: 1-line block ×3, first 2 shown]
	v_dual_lshrrev_b32 v134 /*v390*/, 28, v10 :: v_dual_bitop2_b32 v105 /*v361*/, 15, v11 bitop3:0x40
	s_set_vgpr_msb 1                        ;  msbs: dst=0 src0=1 src1=0 src2=0
	v_mul_i32_i24_e32 v0, v102 /*v358*/, v167
	v_mul_i32_i24_e32 v1, v103 /*v359*/, v170
	v_mul_i32_i24_e32 v5, v104 /*v360*/, v186
	s_set_vgpr_msb 64                       ;  msbs: dst=1 src0=0 src1=0 src2=0
	v_bfe_u32 v106 /*v362*/, v11, 8, 4
	s_set_vgpr_msb 1                        ;  msbs: dst=0 src0=1 src1=0 src2=0
	v_ashrrev_i32_e32 v175, 24, v9
	v_mad_i32_i24 v0, v101 /*v357*/, v171, v0
	s_set_vgpr_msb 64                       ;  msbs: dst=1 src0=0 src1=0 src2=0
	v_bfe_u32 v107 /*v363*/, v11, 16, 4
	v_bfe_u32 v108 /*v364*/, v11, 24, 4
	s_set_vgpr_msb 0                        ;  msbs: dst=0 src0=0 src1=0 src2=0
	v_bfe_i32 v163, v6, 0, 8
	v_bfe_i32 v164, v6, 8, 8
	v_add3_u32 v0, v0, v1, v5
	s_set_vgpr_msb 1                        ;  msbs: dst=0 src0=1 src1=0 src2=0
	v_mul_i32_i24_e32 v1, v105 /*v361*/, v172
	v_mul_i32_i24_e32 v5, v106 /*v362*/, v173
	;; [unrolled: 1-line block ×4, first 2 shown]
	s_set_vgpr_msb 0                        ;  msbs: dst=0 src0=0 src1=0 src2=0
	v_bfe_i32 v161, v6, 16, 8
	s_set_vgpr_msb 64                       ;  msbs: dst=1 src0=0 src1=0 src2=0
	v_bfe_i32 v152 /*v408*/, v15, 0, 8
	s_set_vgpr_msb 0                        ;  msbs: dst=0 src0=0 src1=0 src2=0
	v_add3_u32 v0, v0, v5, v1
	s_set_vgpr_msb 64                       ;  msbs: dst=1 src0=0 src1=0 src2=0
	v_bfe_i32 v153 /*v409*/, v15, 8, 8
	v_bfe_i32 v162 /*v418*/, v15, 16, 8
	s_set_vgpr_msb 0                        ;  msbs: dst=0 src0=0 src1=0 src2=0
	v_ashrrev_i32_e32 v15, 24, v2
	s_set_vgpr_msb 64                       ;  msbs: dst=1 src0=0 src1=0 src2=0
	v_bfe_i32 v143 /*v399*/, v12, 0, 8
	s_set_vgpr_msb 0                        ;  msbs: dst=0 src0=0 src1=0 src2=0
	v_add3_u32 v0, v0, v8, v9
	ds_load_2addr_b32 v[8:9], v4 offset0:2 offset1:3
	s_set_vgpr_msb 64                       ;  msbs: dst=1 src0=0 src1=0 src2=0
	v_bfe_i32 v142 /*v398*/, v12, 8, 8
	v_bfe_i32 v144 /*v400*/, v12, 16, 8
	v_dual_ashrrev_i32 v166 /*v422*/, 24, v12 :: v_dual_ashrrev_i32 v164 /*v420*/, 24, v14
	v_bfe_i32 v145 /*v401*/, v13, 0, 8
	v_lshrrev_b32_e32 v126 /*v382*/, 28, v11
	v_bfe_i32 v146 /*v402*/, v13, 8, 8
	v_bfe_i32 v147 /*v403*/, v13, 16, 8
	v_ashrrev_i32_e32 v165 /*v421*/, 24, v13
	v_bfe_i32 v148 /*v404*/, v14, 0, 8
	v_bfe_i32 v149 /*v405*/, v14, 8, 8
	;; [unrolled: 1-line block ×3, first 2 shown]
	s_set_vgpr_msb 0                        ;  msbs: dst=0 src0=0 src1=0 src2=0
	v_bfe_i32 v12, v2, 0, 8
	v_bfe_i32 v13, v2, 8, 8
	;; [unrolled: 1-line block ×7, first 2 shown]
	s_wait_dscnt 0x0
	s_set_vgpr_msb 64                       ;  msbs: dst=1 src0=0 src1=0 src2=0
	v_and_b32_e32 v109 /*v365*/, 15, v8
	v_bfe_u32 v110 /*v366*/, v8, 8, 4
	v_bfe_u32 v111 /*v367*/, v8, 16, 4
	;; [unrolled: 1-line block ×3, first 2 shown]
	v_dual_lshrrev_b32 v127 /*v383*/, 28, v8 :: v_dual_bitop2_b32 v113 /*v369*/, 15, v9 bitop3:0x40
	s_set_vgpr_msb 1                        ;  msbs: dst=0 src0=1 src1=0 src2=0
	v_mul_i32_i24_e32 v1, v109 /*v365*/, v176
	v_mul_i32_i24_e32 v5, v110 /*v366*/, v177
	;; [unrolled: 1-line block ×4, first 2 shown]
	s_set_vgpr_msb 64                       ;  msbs: dst=1 src0=0 src1=0 src2=0
	v_bfe_u32 v114 /*v370*/, v9, 8, 4
	v_bfe_u32 v115 /*v371*/, v9, 16, 4
	s_set_vgpr_msb 0                        ;  msbs: dst=0 src0=0 src1=0 src2=0
	v_add3_u32 v0, v0, v5, v1
	s_set_vgpr_msb 1                        ;  msbs: dst=0 src0=1 src1=0 src2=0
	v_mul_i32_i24_e32 v1, v113 /*v369*/, v180
	s_set_vgpr_msb 64                       ;  msbs: dst=1 src0=0 src1=0 src2=0
	v_bfe_u32 v116 /*v372*/, v9, 24, 4
	s_set_vgpr_msb 1                        ;  msbs: dst=0 src0=1 src1=0 src2=0
	v_mul_i32_i24_e32 v5, v114 /*v370*/, v181
	s_set_vgpr_msb 0                        ;  msbs: dst=0 src0=0 src1=0 src2=0
	v_bfe_i32 v2, v3, 8, 8
	v_add3_u32 v0, v0, v52, v53
	s_set_vgpr_msb 1                        ;  msbs: dst=0 src0=1 src1=0 src2=0
	v_mul_i32_i24_e32 v52, v115 /*v371*/, v182
	v_mul_i32_i24_e32 v53, v116 /*v372*/, v183
	s_set_vgpr_msb 64                       ;  msbs: dst=1 src0=0 src1=0 src2=0
	v_bfe_i32 v251 /*v507*/, v3, 16, 8
	v_lshrrev_b32_e32 v128 /*v384*/, 28, v9
	s_set_vgpr_msb 0                        ;  msbs: dst=0 src0=0 src1=0 src2=0
	v_add3_u32 v0, v0, v5, v1
	v_ashrrev_i32_e32 v7, 24, v7
	s_delay_alu instid0(VALU_DEP_2)
	v_add3_u32 v5, v0, v52, v53
	ds_load_2addr_b32 v[0:1], v4 offset0:4 offset1:5
	s_wait_dscnt 0x0
	s_set_vgpr_msb 64                       ;  msbs: dst=1 src0=0 src1=0 src2=0
	v_and_b32_e32 v117 /*v373*/, 15, v0
	v_bfe_u32 v118 /*v374*/, v0, 8, 4
	v_bfe_u32 v119 /*v375*/, v0, 24, 4
	;; [unrolled: 1-line block ×4, first 2 shown]
	s_set_vgpr_msb 1                        ;  msbs: dst=0 src0=1 src1=0 src2=0
	v_mul_i32_i24_e32 v52, v117 /*v373*/, v184
	v_mul_i32_i24_e32 v53, v118 /*v374*/, v185
	s_set_vgpr_msb 4                        ;  msbs: dst=0 src0=0 src1=1 src2=0
	v_mul_i32_i24_e32 v54, v188, v119 /*v375*/
	v_mul_i32_i24_e32 v55, v187, v120 /*v376*/
	s_set_vgpr_msb 64                       ;  msbs: dst=1 src0=0 src1=0 src2=0
	v_dual_lshrrev_b32 v129 /*v385*/, 28, v0 :: v_dual_bitop2_b32 v122 /*v378*/, 15, v1 bitop3:0x40
	s_set_vgpr_msb 0                        ;  msbs: dst=0 src0=0 src1=0 src2=0
	v_add3_u32 v5, v5, v53, v52
	s_set_vgpr_msb 4                        ;  msbs: dst=0 src0=0 src1=1 src2=0
	v_mul_i32_i24_e32 v53, v190, v121 /*v377*/
	s_set_vgpr_msb 64                       ;  msbs: dst=1 src0=0 src1=0 src2=0
	v_bfe_u32 v123 /*v379*/, v1, 24, 4
	s_set_vgpr_msb 4                        ;  msbs: dst=0 src0=0 src1=1 src2=0
	v_mul_i32_i24_e32 v52, v189, v122 /*v378*/
	s_set_vgpr_msb 64                       ;  msbs: dst=1 src0=0 src1=0 src2=0
	v_bfe_u32 v124 /*v380*/, v1, 16, 4
	s_set_vgpr_msb 0                        ;  msbs: dst=0 src0=0 src1=0 src2=0
	v_add3_u32 v5, v5, v55, v54
	s_set_vgpr_msb 64                       ;  msbs: dst=1 src0=0 src1=0 src2=0
	v_lshrrev_b32_e32 v130 /*v386*/, 28, v1
	s_set_vgpr_msb 4                        ;  msbs: dst=0 src0=0 src1=1 src2=0
	v_mul_i32_i24_e32 v54, v166, v123 /*v379*/
	v_mul_i32_i24_e32 v55, v165, v124 /*v380*/
	s_set_vgpr_msb 0                        ;  msbs: dst=0 src0=0 src1=0 src2=0
	v_add3_u32 v5, v5, v53, v52
	s_delay_alu instid0(VALU_DEP_1)
	v_add3_u32 v52, v5, v55, v54
	ds_load_2addr_b32 v[4:5], v4 offset0:6 offset1:7
	s_wait_dscnt 0x0
	s_set_vgpr_msb 64                       ;  msbs: dst=1 src0=0 src1=0 src2=0
	v_bfe_u32 v125 /*v381*/, v4, 8, 4
	v_and_b32_e32 v132 /*v388*/, 15, v4
	v_bfe_u32 v133 /*v389*/, v4, 24, 4
	v_bfe_u32 v136 /*v392*/, v4, 16, 4
	v_dual_lshrrev_b32 v131 /*v387*/, 28, v4 :: v_dual_bitop2_b32 v137 /*v393*/, 15, v5 bitop3:0x40
	s_set_vgpr_msb 4                        ;  msbs: dst=0 src0=0 src1=1 src2=0
	v_mul_i32_i24_e32 v53, v163, v132 /*v388*/
	v_mul_i32_i24_e32 v54, v164, v125 /*v381*/
	;; [unrolled: 1-line block ×4, first 2 shown]
	s_set_vgpr_msb 64                       ;  msbs: dst=1 src0=0 src1=0 src2=0
	v_bfe_u32 v138 /*v394*/, v5, 8, 4
	v_bfe_u32 v34 /*v290*/, v5, 16, 4
	s_set_vgpr_msb 0                        ;  msbs: dst=0 src0=0 src1=0 src2=0
	v_add3_u32 v52, v52, v54, v53
	s_set_vgpr_msb 64                       ;  msbs: dst=1 src0=0 src1=0 src2=0
	v_bfe_u32 v33 /*v289*/, v5, 24, 4
	v_bfe_u32 v135 /*v391*/, v5, 4, 4
	;; [unrolled: 1-line block ×4, first 2 shown]
	v_add3_u32 v169 /*v425*/, v52, v56, v55
	s_set_vgpr_msb 0                        ;  msbs: dst=0 src0=0 src1=0 src2=0
	ds_load_u16 v52, v36
	ds_load_u16 v36, v36 offset:8
	s_set_vgpr_msb 64                       ;  msbs: dst=1 src0=0 src1=0 src2=0
	v_lshrrev_b32_e32 v36 /*v292*/, 28, v5
	s_set_vgpr_msb 0                        ;  msbs: dst=0 src0=0 src1=0 src2=0
	v_add_nc_u32_e32 v5, s13, v152
	s_set_vgpr_msb 0x41                     ;  msbs: dst=1 src0=1 src1=0 src2=0
	v_mul_i32_i24_e32 v171 /*v427*/, v138 /*v394*/, v116
	v_mul_i32_i24_e32 v167 /*v423*/, v135 /*v391*/, v114
	;; [unrolled: 1-line block ×3, first 2 shown]
	s_set_vgpr_msb 0x44                     ;  msbs: dst=1 src0=0 src1=1 src2=0
	v_mul_i32_i24_e32 v255 /*v511*/, v2, v38 /*v294*/
	s_set_vgpr_msb 0                        ;  msbs: dst=0 src0=0 src1=0 src2=0
	ds_load_2addr_b32 v[110:111], v5 offset1:1
	ds_load_2addr_b32 v[112:113], v5 offset0:2 offset1:3
	ds_load_2addr_b32 v[118:119], v5 offset0:4 offset1:5
	;; [unrolled: 1-line block ×3, first 2 shown]
	s_set_vgpr_msb 5                        ;  msbs: dst=0 src0=1 src1=1 src2=0
	v_mul_i32_i24_e32 v62, v37 /*v293*/, v251 /*v507*/
	s_wait_dscnt 0x5
	s_set_vgpr_msb 0                        ;  msbs: dst=0 src0=0 src1=0 src2=0
	v_lshrrev_b16 v53, 8, v52
	s_set_vgpr_msb 64                       ;  msbs: dst=1 src0=0 src1=0 src2=0
	v_and_b32_e32 v32 /*v288*/, 0xff, v52
	s_set_vgpr_msb 0                        ;  msbs: dst=0 src0=0 src1=0 src2=0
	v_lshrrev_b32_e32 v52, 4, v10
	s_wait_dscnt 0x4
	v_cvt_f32_ubyte0_e32 v120, v36
	v_cvt_f32_ubyte1_e32 v122, v36
	s_set_vgpr_msb 64                       ;  msbs: dst=1 src0=0 src1=0 src2=0
	v_and_b32_e32 v35 /*v291*/, 0xffff, v53
	s_set_vgpr_msb 0                        ;  msbs: dst=0 src0=0 src1=0 src2=0
	v_add3_u32 v36, s16, v156, v145
	v_lshrrev_b16 v52, 8, v52
	s_wait_dscnt 0x3
	s_set_vgpr_msb 64                       ;  msbs: dst=1 src0=0 src1=0 src2=0
	v_and_b32_e32 v43 /*v299*/, 15, v110
	s_wait_dscnt 0x1
	v_dual_lshrrev_b32 v94 /*v350*/, 28, v119 :: v_dual_bitop2_b32 v50 /*v306*/, 15, v112 bitop3:0x40
	v_bfe_u32 v62 /*v318*/, v119, 8, 4
	v_dual_lshrrev_b32 v75 /*v331*/, 28, v110 :: v_dual_bitop2_b32 v139 /*v395*/, 15, v52 bitop3:0x40
	s_set_vgpr_msb 0                        ;  msbs: dst=0 src0=0 src1=0 src2=0
	v_lshrrev_b32_e32 v52, 4, v11
	s_set_vgpr_msb 64                       ;  msbs: dst=1 src0=0 src1=0 src2=0
	v_and_b32_e32 v63 /*v319*/, 15, v119
	v_bfe_u32 v64 /*v320*/, v119, 24, 4
	v_bfe_u32 v65 /*v321*/, v119, 16, 4
	;; [unrolled: 1-line block ×3, first 2 shown]
	s_set_vgpr_msb 0                        ;  msbs: dst=0 src0=0 src1=0 src2=0
	v_lshrrev_b16 v52, 8, v52
	s_set_vgpr_msb 64                       ;  msbs: dst=1 src0=0 src1=0 src2=0
	v_bfe_u32 v93 /*v349*/, v119, 12, 4
	v_bfe_u32 v95 /*v351*/, v119, 20, 4
	s_wait_dscnt 0x0
	s_set_vgpr_msb 0                        ;  msbs: dst=0 src0=0 src1=0 src2=0
	v_lshrrev_b32_e32 v119, 28, v159
	s_set_vgpr_msb 64                       ;  msbs: dst=1 src0=0 src1=0 src2=0
	v_bfe_u32 v42 /*v298*/, v110, 8, 4
	v_dual_lshrrev_b32 v80 /*v336*/, 28, v111 :: v_dual_bitop2_b32 v176 /*v432*/, 15, v52 bitop3:0x40
	s_set_vgpr_msb 0                        ;  msbs: dst=0 src0=0 src1=0 src2=0
	v_lshrrev_b32_e32 v52, 4, v8
	s_set_vgpr_msb 64                       ;  msbs: dst=1 src0=0 src1=0 src2=0
	v_bfe_u32 v44 /*v300*/, v110, 16, 4
	v_bfe_u32 v45 /*v301*/, v110, 24, 4
	v_dual_lshrrev_b32 v84 /*v340*/, 28, v112 :: v_dual_bitop2_b32 v46 /*v302*/, 15, v111 bitop3:0x40
	s_set_vgpr_msb 1                        ;  msbs: dst=0 src0=1 src1=0 src2=0
	v_lshrrev_b16 v52, 8, v52
	v_mul_i32_i24_e32 v53, v44 /*v300*/, v170
	v_mul_i32_i24_e32 v54, v45 /*v301*/, v186
	s_set_vgpr_msb 64                       ;  msbs: dst=1 src0=0 src1=0 src2=0
	v_bfe_u32 v47 /*v303*/, v111, 8, 4
	v_bfe_u32 v48 /*v304*/, v111, 16, 4
	v_dual_lshrrev_b32 v87 /*v343*/, 28, v113 :: v_dual_bitop2_b32 v175 /*v431*/, 15, v52 bitop3:0x40
	s_set_vgpr_msb 0                        ;  msbs: dst=0 src0=0 src1=0 src2=0
	v_lshrrev_b32_e32 v52, 4, v9
	s_set_vgpr_msb 64                       ;  msbs: dst=1 src0=0 src1=0 src2=0
	v_bfe_u32 v49 /*v305*/, v111, 24, 4
	s_set_vgpr_msb 1                        ;  msbs: dst=0 src0=1 src1=0 src2=0
	v_mul_i32_i24_e32 v55, v48 /*v304*/, v174
	s_set_vgpr_msb 64                       ;  msbs: dst=1 src0=0 src1=0 src2=0
	v_bfe_u32 v51 /*v307*/, v112, 8, 4
	v_bfe_u32 v52 /*v308*/, v112, 16, 4
	s_set_vgpr_msb 1                        ;  msbs: dst=0 src0=1 src1=0 src2=0
	v_lshrrev_b16 v52, 8, v52
	v_mul_i32_i24_e32 v56, v49 /*v305*/, v175
	s_set_vgpr_msb 64                       ;  msbs: dst=1 src0=0 src1=0 src2=0
	v_bfe_u32 v53 /*v309*/, v112, 24, 4
	v_and_b32_e32 v54 /*v310*/, 15, v113
	v_bfe_u32 v55 /*v311*/, v113, 8, 4
	v_dual_lshrrev_b32 v90 /*v346*/, 28, v118 :: v_dual_bitop2_b32 v174 /*v430*/, 15, v52 bitop3:0x40
	s_set_vgpr_msb 0                        ;  msbs: dst=0 src0=0 src1=0 src2=0
	v_lshrrev_b32_e32 v52, 4, v0
	s_set_vgpr_msb 64                       ;  msbs: dst=1 src0=0 src1=0 src2=0
	v_bfe_u32 v56 /*v312*/, v113, 16, 4
	v_bfe_u32 v57 /*v313*/, v113, 24, 4
	v_and_b32_e32 v58 /*v314*/, 15, v118
	v_bfe_u32 v59 /*v315*/, v118, 8, 4
	s_set_vgpr_msb 0                        ;  msbs: dst=0 src0=0 src1=0 src2=0
	v_lshrrev_b16 v52, 8, v52
	s_set_vgpr_msb 64                       ;  msbs: dst=1 src0=0 src1=0 src2=0
	v_bfe_u32 v60 /*v316*/, v118, 24, 4
	v_bfe_u32 v61 /*v317*/, v118, 16, 4
	;; [unrolled: 1-line block ×3, first 2 shown]
	v_and_b32_e32 v67 /*v323*/, 15, v158
	v_dual_lshrrev_b32 v98 /*v354*/, 28, v158 :: v_dual_bitop2_b32 v173 /*v429*/, 15, v52 bitop3:0x40
	s_set_vgpr_msb 0                        ;  msbs: dst=0 src0=0 src1=0 src2=0
	v_lshrrev_b32_e32 v52, 4, v1
	s_set_vgpr_msb 64                       ;  msbs: dst=1 src0=0 src1=0 src2=0
	v_bfe_u32 v68 /*v324*/, v158, 24, 4
	s_set_vgpr_msb 4                        ;  msbs: dst=0 src0=0 src1=1 src2=0
	v_mul_i32_i24_e32 v5, v163, v67 /*v323*/
	s_set_vgpr_msb 64                       ;  msbs: dst=1 src0=0 src1=0 src2=0
	v_bfe_u32 v70 /*v326*/, v158, 16, 4
	v_bfe_u32 v72 /*v328*/, v110, 4, 4
	s_set_vgpr_msb 0                        ;  msbs: dst=0 src0=0 src1=0 src2=0
	v_lshrrev_b16 v52, 8, v52
	s_set_vgpr_msb 64                       ;  msbs: dst=1 src0=0 src1=0 src2=0
	v_bfe_u32 v69 /*v325*/, v110, 20, 4
	v_bfe_u32 v71 /*v327*/, v110, 12, 4
	;; [unrolled: 1-line block ×4, first 2 shown]
	v_and_b32_e32 v172 /*v428*/, 15, v52
	s_set_vgpr_msb 0                        ;  msbs: dst=0 src0=0 src1=0 src2=0
	v_lshrrev_b32_e32 v52, 4, v4
	s_set_vgpr_msb 64                       ;  msbs: dst=1 src0=0 src1=0 src2=0
	v_bfe_u32 v73 /*v329*/, v111, 20, 4
	s_set_vgpr_msb 5                        ;  msbs: dst=0 src0=1 src1=1 src2=0
	v_mul_i32_i24_e32 v58, v80 /*v336*/, v165 /*v421*/
	s_set_vgpr_msb 64                       ;  msbs: dst=1 src0=0 src1=0 src2=0
	v_bfe_u32 v81 /*v337*/, v112, 4, 4
	v_bfe_u32 v82 /*v338*/, v112, 12, 4
	s_set_vgpr_msb 0                        ;  msbs: dst=0 src0=0 src1=0 src2=0
	v_lshrrev_b16 v52, 8, v52
	s_set_vgpr_msb 64                       ;  msbs: dst=1 src0=0 src1=0 src2=0
	v_bfe_u32 v79 /*v335*/, v112, 20, 4
	s_set_vgpr_msb 5                        ;  msbs: dst=0 src0=1 src1=1 src2=0
	v_mul_i32_i24_e32 v71, v84 /*v340*/, v164 /*v420*/
	v_mul_i32_i24_e32 v61, v81 /*v337*/, v148 /*v404*/
	;; [unrolled: 1-line block ×3, first 2 shown]
	s_set_vgpr_msb 64                       ;  msbs: dst=1 src0=0 src1=0 src2=0
	v_and_b32_e32 v168 /*v424*/, 15, v52
	s_set_vgpr_msb 1                        ;  msbs: dst=0 src0=1 src1=0 src2=0
	v_mul_i32_i24_e32 v52, v43 /*v299*/, v167
	s_set_vgpr_msb 5                        ;  msbs: dst=0 src0=1 src1=1 src2=0
	v_mul_i32_i24_e32 v69, v79 /*v335*/, v150 /*v406*/
	s_set_vgpr_msb 64                       ;  msbs: dst=1 src0=0 src1=0 src2=0
	v_bfe_u32 v85 /*v341*/, v113, 4, 4
	v_bfe_u32 v86 /*v342*/, v113, 12, 4
	;; [unrolled: 1-line block ×3, first 2 shown]
	s_set_vgpr_msb 1                        ;  msbs: dst=0 src0=1 src1=0 src2=0
	v_mad_i32_i24 v52, v42 /*v298*/, v171, v52
	s_set_vgpr_msb 5                        ;  msbs: dst=0 src0=1 src1=1 src2=0
	v_mul_i32_i24_e32 v92, v87 /*v343*/, v163 /*v419*/
	v_mul_i32_i24_e32 v82, v85 /*v341*/, v152 /*v408*/
	;; [unrolled: 1-line block ×4, first 2 shown]
	s_set_vgpr_msb 0                        ;  msbs: dst=0 src0=0 src1=0 src2=0
	v_add3_u32 v52, v52, v53, v54
	s_set_vgpr_msb 1                        ;  msbs: dst=0 src0=1 src1=0 src2=0
	v_mul_i32_i24_e32 v53, v46 /*v302*/, v172
	v_mul_i32_i24_e32 v54, v47 /*v303*/, v173
	s_set_vgpr_msb 64                       ;  msbs: dst=1 src0=0 src1=0 src2=0
	v_bfe_u32 v88 /*v344*/, v118, 4, 4
	v_bfe_u32 v89 /*v345*/, v118, 12, 4
	;; [unrolled: 1-line block ×3, first 2 shown]
	s_set_vgpr_msb 5                        ;  msbs: dst=0 src0=1 src1=1 src2=0
	v_mul_i32_i24_e32 v112, v161 /*v417*/, v90 /*v346*/
	s_set_vgpr_msb 0                        ;  msbs: dst=0 src0=0 src1=0 src2=0
	v_add3_u32 v52, v52, v54, v53
	s_set_vgpr_msb 1                        ;  msbs: dst=0 src0=1 src1=0 src2=0
	v_mul_i32_i24_e32 v53, v50 /*v306*/, v176
	v_mul_i32_i24_e32 v54, v51 /*v307*/, v177
	s_set_vgpr_msb 5                        ;  msbs: dst=0 src0=1 src1=1 src2=0
	v_mul_i32_i24_e32 v110, v155 /*v411*/, v89 /*v345*/
	v_mul_i32_i24_e32 v111, v154 /*v410*/, v88 /*v344*/
	s_set_vgpr_msb 0                        ;  msbs: dst=0 src0=0 src1=0 src2=0
	v_add3_u32 v52, v52, v55, v56
	s_set_vgpr_msb 1                        ;  msbs: dst=0 src0=1 src1=0 src2=0
	v_mul_i32_i24_e32 v55, v52 /*v308*/, v178
	v_mul_i32_i24_e32 v56, v53 /*v309*/, v179
	s_set_vgpr_msb 5                        ;  msbs: dst=0 src0=1 src1=1 src2=0
	v_mul_i32_i24_e32 v113, v156 /*v412*/, v91 /*v347*/
	v_mul_i32_i24_e32 v115, v158 /*v414*/, v93 /*v349*/
	s_set_vgpr_msb 0                        ;  msbs: dst=0 src0=0 src1=0 src2=0
	v_add3_u32 v52, v52, v54, v53
	s_set_vgpr_msb 1                        ;  msbs: dst=0 src0=1 src1=0 src2=0
	v_mul_i32_i24_e32 v53, v54 /*v310*/, v180
	v_mul_i32_i24_e32 v54, v55 /*v311*/, v181
	s_set_vgpr_msb 5                        ;  msbs: dst=0 src0=1 src1=1 src2=0
	v_mul_i32_i24_e32 v117, v157 /*v413*/, v92 /*v348*/
	v_mul_i32_i24_e32 v118, v160 /*v416*/, v94 /*v350*/
	s_set_vgpr_msb 0                        ;  msbs: dst=0 src0=0 src1=0 src2=0
	v_add3_u32 v52, v52, v55, v56
	s_set_vgpr_msb 1                        ;  msbs: dst=0 src0=1 src1=0 src2=0
	v_mul_i32_i24_e32 v55, v56 /*v312*/, v182
	v_mul_i32_i24_e32 v56, v57 /*v313*/, v183
	s_set_vgpr_msb 5                        ;  msbs: dst=0 src0=1 src1=1 src2=0
	v_mul_i32_i24_e32 v168, v159 /*v415*/, v95 /*v351*/
	s_set_vgpr_msb 64                       ;  msbs: dst=1 src0=0 src1=0 src2=0
	v_bfe_u32 v96 /*v352*/, v158, 4, 4
	s_set_vgpr_msb 0                        ;  msbs: dst=0 src0=0 src1=0 src2=0
	v_add3_u32 v52, v52, v54, v53
	s_set_vgpr_msb 1                        ;  msbs: dst=0 src0=1 src1=0 src2=0
	v_mul_i32_i24_e32 v53, v58 /*v314*/, v184
	v_mul_i32_i24_e32 v54, v59 /*v315*/, v185
	s_set_vgpr_msb 64                       ;  msbs: dst=1 src0=0 src1=0 src2=0
	v_bfe_u32 v97 /*v353*/, v158, 12, 4
	s_set_vgpr_msb 4                        ;  msbs: dst=0 src0=0 src1=1 src2=0
	v_mul_i32_i24_e32 v191, v12, v96 /*v352*/
	s_set_vgpr_msb 0                        ;  msbs: dst=0 src0=0 src1=0 src2=0
	v_add3_u32 v52, v52, v55, v56
	s_set_vgpr_msb 4                        ;  msbs: dst=0 src0=0 src1=1 src2=0
	v_mul_i32_i24_e32 v55, v188, v60 /*v316*/
	v_mul_i32_i24_e32 v56, v187, v61 /*v317*/
	;; [unrolled: 1-line block ×3, first 2 shown]
	s_set_vgpr_msb 64                       ;  msbs: dst=1 src0=0 src1=0 src2=0
	v_bfe_u32 v99 /*v355*/, v158, 20, 4
	s_set_vgpr_msb 0                        ;  msbs: dst=0 src0=0 src1=0 src2=0
	v_add3_u32 v52, v52, v54, v53
	s_set_vgpr_msb 4                        ;  msbs: dst=0 src0=0 src1=1 src2=0
	v_mul_i32_i24_e32 v53, v189, v63 /*v319*/
	v_mul_i32_i24_e32 v54, v190, v62 /*v318*/
	;; [unrolled: 1-line block ×4, first 2 shown]
	s_set_vgpr_msb 0                        ;  msbs: dst=0 src0=0 src1=0 src2=0
	v_add3_u32 v52, v52, v56, v55
	s_set_vgpr_msb 4                        ;  msbs: dst=0 src0=0 src1=1 src2=0
	v_mul_i32_i24_e32 v55, v166, v64 /*v320*/
	v_mul_i32_i24_e32 v56, v165, v65 /*v321*/
	s_set_vgpr_msb 64                       ;  msbs: dst=1 src0=0 src1=0 src2=0
	v_bfe_u32 v76 /*v332*/, v159, 8, 4
	v_bfe_u32 v41 /*v297*/, v159, 16, 4
	s_set_vgpr_msb 0                        ;  msbs: dst=0 src0=0 src1=0 src2=0
	v_add3_u32 v52, v52, v54, v53
	s_set_vgpr_msb 4                        ;  msbs: dst=0 src0=0 src1=1 src2=0
	v_mul_i32_i24_e32 v53, v164, v66 /*v322*/
	v_mul_i32_i24_e32 v54, v162, v68 /*v324*/
	s_set_vgpr_msb 64                       ;  msbs: dst=1 src0=0 src1=0 src2=0
	v_bfe_u32 v40 /*v296*/, v159, 24, 4
	v_bfe_u32 v100 /*v356*/, v159, 4, 4
	s_set_vgpr_msb 0                        ;  msbs: dst=0 src0=0 src1=0 src2=0
	v_add3_u32 v52, v52, v56, v55
	s_set_vgpr_msb 4                        ;  msbs: dst=0 src0=0 src1=1 src2=0
	v_mul_i32_i24_e32 v55, v161, v70 /*v326*/
	s_set_vgpr_msb 5                        ;  msbs: dst=0 src0=1 src1=1 src2=0
	v_mul_i32_i24_e32 v56, v73 /*v329*/, v147 /*v403*/
	s_set_vgpr_msb 0                        ;  msbs: dst=0 src0=0 src1=0 src2=0
	v_bfe_u32 v158, v159, 12, 4
	v_bfe_u32 v157, v159, 20, 4
	v_add3_u32 v5, v52, v53, v5
	ds_load_u16 v52, v36
	ds_load_u16 v36, v36 offset:8
	s_set_vgpr_msb 0x41                     ;  msbs: dst=1 src0=1 src1=0 src2=0
	v_mul_i32_i24_e32 v178 /*v434*/, v76 /*v332*/, v116
	v_mul_i32_i24_e32 v179 /*v435*/, v100 /*v356*/, v114
	s_set_vgpr_msb 0x44                     ;  msbs: dst=1 src0=0 src1=1 src2=0
	v_and_b32_e32 v139 /*v395*/, 0xffff, v139 /*v395*/
	s_set_vgpr_msb 0                        ;  msbs: dst=0 src0=0 src1=0 src2=0
	v_add3_u32 v5, v5, v55, v54
	s_set_vgpr_msb 5                        ;  msbs: dst=0 src0=1 src1=1 src2=0
	v_mul_i32_i24_e32 v54, v69 /*v325*/, v144 /*v400*/
	v_mul_i32_i24_e32 v55, v75 /*v331*/, v166 /*v422*/
	s_wait_dscnt 0x1
	s_set_vgpr_msb 0                        ;  msbs: dst=0 src0=0 src1=0 src2=0
	v_lshrrev_b16 v53, 8, v52
	s_set_vgpr_msb 64                       ;  msbs: dst=1 src0=0 src1=0 src2=0
	v_and_b32_e32 v39 /*v295*/, 0xff, v52
	s_set_vgpr_msb 5                        ;  msbs: dst=0 src0=1 src1=1 src2=0
	v_mul_i32_i24_e32 v52, v72 /*v328*/, v143 /*v399*/
	s_wait_dscnt 0x0
	s_set_vgpr_msb 0                        ;  msbs: dst=0 src0=0 src1=0 src2=0
	v_cvt_f32_ubyte0_e32 v124, v36
	s_set_vgpr_msb 5                        ;  msbs: dst=0 src0=1 src1=1 src2=0
	v_mad_i32_i24 v52, v71 /*v327*/, v142 /*v398*/, v52
	s_set_vgpr_msb 0                        ;  msbs: dst=0 src0=0 src1=0 src2=0
	s_delay_alu instid0(VALU_DEP_1) | instskip(SKIP_4) | instid1(VALU_DEP_1)
	v_add3_u32 v52, v52, v54, v55
	s_set_vgpr_msb 5                        ;  msbs: dst=0 src0=1 src1=1 src2=0
	v_mul_i32_i24_e32 v54, v77 /*v333*/, v145 /*v401*/
	v_mul_i32_i24_e32 v55, v78 /*v334*/, v146 /*v402*/
	s_set_vgpr_msb 0                        ;  msbs: dst=0 src0=0 src1=0 src2=0
	v_add3_u32 v52, v52, v54, v55
	s_delay_alu instid0(VALU_DEP_1) | instskip(NEXT) | instid1(VALU_DEP_1)
	v_add3_u32 v52, v52, v56, v58
	v_add3_u32 v52, v52, v61, v67
	s_delay_alu instid0(VALU_DEP_1) | instskip(NEXT) | instid1(VALU_DEP_1)
	v_add3_u32 v52, v52, v69, v71
	;; [unrolled: 3-line block ×4, first 2 shown]
	v_add3_u32 v52, v52, v117, v115
	s_delay_alu instid0(VALU_DEP_1) | instskip(SKIP_2) | instid1(VALU_DEP_3)
	v_add3_u32 v52, v52, v168, v118
	v_cvt_f32_ubyte1_e32 v118, v36
	v_add3_u32 v36, s16, v149, v146
	v_add3_u32 v52, v52, v191, v169
	s_set_vgpr_msb 64                       ;  msbs: dst=1 src0=0 src1=0 src2=0
	s_delay_alu instid0(VALU_DEP_1)
	v_add3_u32 v180 /*v436*/, v52, v193, v192
	s_set_vgpr_msb 0                        ;  msbs: dst=0 src0=0 src1=0 src2=0
	v_add_nc_u32_e32 v52, s13, v153
	ds_load_2addr_b32 v[112:113], v52 offset1:1
	ds_load_2addr_b32 v[168:169], v52 offset0:2 offset1:3
	ds_load_2addr_b32 v[192:193], v52 offset0:4 offset1:5
	;; [unrolled: 1-line block ×3, first 2 shown]
	s_set_vgpr_msb 64                       ;  msbs: dst=1 src0=0 src1=0 src2=0
	v_and_b32_e32 v74 /*v330*/, 15, v159
	s_set_vgpr_msb 0                        ;  msbs: dst=0 src0=0 src1=0 src2=0
	v_and_b32_e32 v159, 0xffff, v53
	s_wait_dscnt 0x3
	v_and_b32_e32 v230, 15, v112
	v_bfe_u32 v229, v112, 8, 4
	v_bfe_u32 v231, v112, 16, 4
	v_bfe_u32 v232, v112, 24, 4
	v_and_b32_e32 v233, 15, v113
	v_mul_i32_i24_e32 v53, v230, v167
	v_bfe_u32 v234, v113, 8, 4
	v_mul_i32_i24_e32 v54, v231, v170
	v_mul_i32_i24_e32 v55, v232, v186
	v_bfe_u32 v235, v113, 16, 4
	v_mad_i32_i24 v53, v229, v171, v53
	v_bfe_u32 v236, v113, 24, 4
	s_wait_dscnt 0x2
	v_and_b32_e32 v237, 15, v168
	v_bfe_u32 v238, v168, 8, 4
	v_mul_i32_i24_e32 v56, v235, v174
	v_add3_u32 v53, v53, v54, v55
	v_mul_i32_i24_e32 v54, v233, v172
	v_mul_i32_i24_e32 v55, v234, v173
	;; [unrolled: 1-line block ×3, first 2 shown]
	v_bfe_u32 v239, v168, 16, 4
	v_bfe_u32 v240, v168, 24, 4
	v_and_b32_e32 v241, 15, v169
	v_add3_u32 v53, v53, v55, v54
	v_mul_i32_i24_e32 v54, v237, v176
	v_mul_i32_i24_e32 v55, v238, v177
	v_bfe_u32 v242, v169, 8, 4
	v_bfe_u32 v243, v169, 16, 4
	v_add3_u32 v53, v53, v56, v58
	v_mul_i32_i24_e32 v56, v239, v178
	v_mul_i32_i24_e32 v58, v240, v179
	v_bfe_u32 v244, v169, 24, 4
	s_wait_dscnt 0x1
	v_and_b32_e32 v245, 15, v192
	v_add3_u32 v53, v53, v55, v54
	v_mul_i32_i24_e32 v54, v241, v180
	v_mul_i32_i24_e32 v55, v242, v181
	v_bfe_u32 v246, v192, 8, 4
	v_bfe_u32 v247, v192, 24, 4
	v_add3_u32 v53, v53, v56, v58
	v_mul_i32_i24_e32 v56, v243, v182
	v_mul_i32_i24_e32 v58, v244, v183
	v_bfe_u32 v248, v192, 16, 4
	v_bfe_u32 v249, v193, 8, 4
	v_add3_u32 v53, v53, v55, v54
	v_mul_i32_i24_e32 v54, v245, v184
	v_mul_i32_i24_e32 v55, v246, v185
	s_wait_dscnt 0x0
	v_dual_lshrrev_b32 v111, 28, v195 :: v_dual_bitop2_b32 v250, 15, v193 bitop3:0x40
	v_add3_u32 v53, v53, v56, v58
	v_mul_i32_i24_e32 v56, v188, v247
	v_mul_i32_i24_e32 v58, v187, v248
	v_bfe_u32 v251, v193, 24, 4
	v_bfe_u32 v252, v193, 16, 4
	v_add3_u32 v53, v53, v55, v54
	v_mul_i32_i24_e32 v54, v189, v250
	v_mul_i32_i24_e32 v55, v190, v249
	v_bfe_u32 v253, v194, 8, 4
	v_and_b32_e32 v254, 15, v194
	v_add3_u32 v53, v53, v58, v56
	v_mul_i32_i24_e32 v56, v166, v251
	v_mul_i32_i24_e32 v58, v165, v252
	v_bfe_u32 v255, v194, 24, 4
	v_mul_i32_i24_e32 v52, v163, v254
	v_add3_u32 v53, v53, v55, v54
	v_mul_i32_i24_e32 v54, v164, v253
	s_set_vgpr_msb 64                       ;  msbs: dst=1 src0=0 src1=0 src2=0
	v_bfe_u32 v1 /*v257*/, v194, 16, 4
	s_set_vgpr_msb 0                        ;  msbs: dst=0 src0=0 src1=0 src2=0
	v_mul_i32_i24_e32 v55, v162, v255
	s_set_vgpr_msb 64                       ;  msbs: dst=1 src0=0 src1=0 src2=0
	v_bfe_u32 v3 /*v259*/, v112, 4, 4
	s_set_vgpr_msb 0                        ;  msbs: dst=0 src0=0 src1=0 src2=0
	v_add3_u32 v53, v53, v58, v56
	s_set_vgpr_msb 64                       ;  msbs: dst=1 src0=0 src1=0 src2=0
	v_bfe_u32 v0 /*v256*/, v112, 20, 4
	s_set_vgpr_msb 4                        ;  msbs: dst=0 src0=0 src1=1 src2=0
	v_mul_i32_i24_e32 v56, v161, v1 /*v257*/
	s_set_vgpr_msb 64                       ;  msbs: dst=1 src0=0 src1=0 src2=0
	v_bfe_u32 v2 /*v258*/, v112, 12, 4
	v_lshrrev_b32_e32 v6 /*v262*/, 28, v112
	s_set_vgpr_msb 0                        ;  msbs: dst=0 src0=0 src1=0 src2=0
	v_add3_u32 v52, v53, v54, v52
	s_set_vgpr_msb 5                        ;  msbs: dst=0 src0=1 src1=1 src2=0
	v_mul_i32_i24_e32 v54, v0 /*v256*/, v144 /*v400*/
	s_set_vgpr_msb 64                       ;  msbs: dst=1 src0=0 src1=0 src2=0
	v_bfe_u32 v8 /*v264*/, v113, 4, 4
	v_bfe_u32 v9 /*v265*/, v113, 12, 4
	;; [unrolled: 1-line block ×3, first 2 shown]
	v_add3_u32 v181 /*v437*/, v52, v56, v55
	s_set_vgpr_msb 0                        ;  msbs: dst=0 src0=0 src1=0 src2=0
	ds_load_u16 v52, v36
	ds_load_u16 v36, v36 offset:8
	s_set_vgpr_msb 5                        ;  msbs: dst=0 src0=1 src1=1 src2=0
	v_mul_i32_i24_e32 v55, v6 /*v262*/, v166 /*v422*/
	s_set_vgpr_msb 64                       ;  msbs: dst=1 src0=0 src1=0 src2=0
	v_lshrrev_b32_e32 v11 /*v267*/, 28, v113
	s_set_vgpr_msb 5                        ;  msbs: dst=0 src0=1 src1=1 src2=0
	v_mul_i32_i24_e32 v56, v4 /*v260*/, v147 /*v403*/
	s_set_vgpr_msb 64                       ;  msbs: dst=1 src0=0 src1=0 src2=0
	v_bfe_u32 v12 /*v268*/, v168, 4, 4
	v_bfe_u32 v13 /*v269*/, v168, 12, 4
	;; [unrolled: 1-line block ×3, first 2 shown]
	s_set_vgpr_msb 5                        ;  msbs: dst=0 src0=1 src1=1 src2=0
	v_mul_i32_i24_e32 v58, v11 /*v267*/, v165 /*v421*/
	s_set_vgpr_msb 64                       ;  msbs: dst=1 src0=0 src1=0 src2=0
	v_lshrrev_b32_e32 v15 /*v271*/, 28, v168
	s_set_vgpr_msb 5                        ;  msbs: dst=0 src0=1 src1=1 src2=0
	v_mul_i32_i24_e32 v61, v12 /*v268*/, v148 /*v404*/
	v_mul_i32_i24_e32 v67, v13 /*v269*/, v149 /*v405*/
	;; [unrolled: 1-line block ×3, first 2 shown]
	s_set_vgpr_msb 64                       ;  msbs: dst=1 src0=0 src1=0 src2=0
	v_bfe_u32 v16 /*v272*/, v169, 4, 4
	s_set_vgpr_msb 5                        ;  msbs: dst=0 src0=1 src1=1 src2=0
	v_mul_i32_i24_e32 v71, v15 /*v271*/, v164 /*v420*/
	s_set_vgpr_msb 64                       ;  msbs: dst=1 src0=0 src1=0 src2=0
	v_bfe_u32 v17 /*v273*/, v169, 12, 4
	v_bfe_u32 v14 /*v270*/, v169, 20, 4
	v_lshrrev_b32_e32 v18 /*v274*/, 28, v169
	s_set_vgpr_msb 5                        ;  msbs: dst=0 src0=1 src1=1 src2=0
	v_mul_i32_i24_e32 v82, v16 /*v272*/, v152 /*v408*/
	s_set_vgpr_msb 64                       ;  msbs: dst=1 src0=0 src1=0 src2=0
	v_bfe_u32 v19 /*v275*/, v192, 4, 4
	s_wait_dscnt 0x1
	s_set_vgpr_msb 0                        ;  msbs: dst=0 src0=0 src1=0 src2=0
	v_lshrrev_b16 v53, 8, v52
	v_and_b32_e32 v226, 0xff, v52
	s_set_vgpr_msb 5                        ;  msbs: dst=0 src0=1 src1=1 src2=0
	v_mul_i32_i24_e32 v52, v3 /*v259*/, v143 /*v399*/
	v_mul_i32_i24_e32 v84, v17 /*v273*/, v153 /*v409*/
	;; [unrolled: 1-line block ×4, first 2 shown]
	s_set_vgpr_msb 64                       ;  msbs: dst=1 src0=0 src1=0 src2=0
	v_bfe_u32 v20 /*v276*/, v192, 12, 4
	s_set_vgpr_msb 5                        ;  msbs: dst=0 src0=1 src1=1 src2=0
	v_mad_i32_i24 v52, v2 /*v258*/, v142 /*v398*/, v52
	v_mul_i32_i24_e32 v117, v154 /*v410*/, v19 /*v275*/
	s_set_vgpr_msb 64                       ;  msbs: dst=1 src0=0 src1=0 src2=0
	v_lshrrev_b32_e32 v21 /*v277*/, 28, v192
	v_bfe_u32 v22 /*v278*/, v192, 20, 4
	s_set_vgpr_msb 5                        ;  msbs: dst=0 src0=1 src1=1 src2=0
	v_mul_i32_i24_e32 v112, v155 /*v411*/, v20 /*v276*/
	s_set_vgpr_msb 0                        ;  msbs: dst=0 src0=0 src1=0 src2=0
	v_add3_u32 v52, v52, v54, v55
	s_set_vgpr_msb 5                        ;  msbs: dst=0 src0=1 src1=1 src2=0
	v_mul_i32_i24_e32 v54, v8 /*v264*/, v145 /*v401*/
	v_mul_i32_i24_e32 v55, v9 /*v265*/, v146 /*v402*/
	;; [unrolled: 1-line block ×4, first 2 shown]
	s_set_vgpr_msb 64                       ;  msbs: dst=1 src0=0 src1=0 src2=0
	v_bfe_u32 v23 /*v279*/, v193, 4, 4
	v_bfe_u32 v24 /*v280*/, v193, 12, 4
	s_set_vgpr_msb 0                        ;  msbs: dst=0 src0=0 src1=0 src2=0
	v_add3_u32 v52, v52, v54, v55
	s_set_vgpr_msb 64                       ;  msbs: dst=1 src0=0 src1=0 src2=0
	v_lshrrev_b32_e32 v25 /*v281*/, 28, v193
	v_bfe_u32 v26 /*v282*/, v193, 20, 4
	s_set_vgpr_msb 5                        ;  msbs: dst=0 src0=1 src1=1 src2=0
	v_mul_i32_i24_e32 v192, v157 /*v413*/, v23 /*v279*/
	v_mul_i32_i24_e32 v191, v158 /*v414*/, v24 /*v280*/
	s_set_vgpr_msb 0                        ;  msbs: dst=0 src0=0 src1=0 src2=0
	v_add3_u32 v52, v52, v56, v58
	s_set_vgpr_msb 5                        ;  msbs: dst=0 src0=1 src1=1 src2=0
	v_mul_i32_i24_e32 v193, v160 /*v416*/, v25 /*v281*/
	v_mul_i32_i24_e32 v196, v159 /*v415*/, v26 /*v282*/
	s_set_vgpr_msb 64                       ;  msbs: dst=1 src0=0 src1=0 src2=0
	v_bfe_u32 v27 /*v283*/, v194, 4, 4
	v_bfe_u32 v28 /*v284*/, v194, 12, 4
	s_set_vgpr_msb 0                        ;  msbs: dst=0 src0=0 src1=0 src2=0
	v_add3_u32 v52, v52, v61, v67
	s_set_vgpr_msb 64                       ;  msbs: dst=1 src0=0 src1=0 src2=0
	v_lshrrev_b32_e32 v29 /*v285*/, 28, v194
	v_bfe_u32 v30 /*v286*/, v194, 20, 4
	s_set_vgpr_msb 4                        ;  msbs: dst=0 src0=0 src1=1 src2=0
	v_mul_i32_i24_e32 v198, v12, v27 /*v283*/
	v_mul_i32_i24_e32 v197, v13, v28 /*v284*/
	s_set_vgpr_msb 0                        ;  msbs: dst=0 src0=0 src1=0 src2=0
	v_add3_u32 v52, v52, v69, v71
	s_set_vgpr_msb 4                        ;  msbs: dst=0 src0=0 src1=1 src2=0
	v_mul_i32_i24_e32 v194, v15, v29 /*v285*/
	v_mul_i32_i24_e32 v199, v14, v30 /*v286*/
	s_set_vgpr_msb 64                       ;  msbs: dst=1 src0=0 src1=0 src2=0
	v_and_b32_e32 v5 /*v261*/, 15, v195
	v_bfe_u32 v7 /*v263*/, v195, 8, 4
	s_set_vgpr_msb 0                        ;  msbs: dst=0 src0=0 src1=0 src2=0
	v_add3_u32 v52, v52, v82, v84
	v_bfe_u32 v228, v195, 16, 4
	v_bfe_u32 v227, v195, 24, 4
	s_set_vgpr_msb 64                       ;  msbs: dst=1 src0=0 src1=0 src2=0
	v_bfe_u32 v31 /*v287*/, v195, 4, 4
	s_set_vgpr_msb 0                        ;  msbs: dst=0 src0=0 src1=0 src2=0
	v_bfe_u32 v115, v195, 12, 4
	v_add3_u32 v52, v52, v86, v92
	v_bfe_u32 v113, v195, 20, 4
	s_wait_dscnt 0x0
	v_cvt_f32_ubyte0_e32 v110, v36
	s_set_vgpr_msb 0x41                     ;  msbs: dst=1 src0=1 src1=0 src2=0
	v_mul_i32_i24_e32 v183 /*v439*/, v7 /*v263*/, v116
	v_mul_i32_i24_e32 v184 /*v440*/, v31 /*v287*/, v114
	s_set_vgpr_msb 0                        ;  msbs: dst=0 src0=0 src1=0 src2=0
	v_add3_u32 v52, v52, v117, v112
	v_and_b32_e32 v117, 0xffff, v53
	v_cvt_f32_ubyte1_e32 v112, v36
	v_add3_u32 v36, s16, v150, v147
	s_set_vgpr_msb 0x41                     ;  msbs: dst=1 src0=1 src1=0 src2=0
	v_mul_i32_i24_e32 v177 /*v433*/, v74 /*v330*/, v160
	s_set_vgpr_msb 0                        ;  msbs: dst=0 src0=0 src1=0 src2=0
	v_add3_u32 v52, v52, v169, v168
	s_set_vgpr_msb 0x41                     ;  msbs: dst=1 src0=1 src1=0 src2=0
	v_mul_i32_i24_e32 v182 /*v438*/, v5 /*v261*/, v160
	s_set_vgpr_msb 20                       ;  msbs: dst=0 src0=0 src1=1 src2=1
	v_add3_u32 v5, v5, v178 /*v434*/, v177 /*v433*/
	s_set_vgpr_msb 0                        ;  msbs: dst=0 src0=0 src1=0 src2=0
	v_add3_u32 v52, v52, v192, v191
	s_delay_alu instid0(VALU_DEP_1) | instskip(NEXT) | instid1(VALU_DEP_1)
	v_add3_u32 v52, v52, v196, v193
	v_add3_u32 v52, v52, v198, v197
	s_set_vgpr_msb 64                       ;  msbs: dst=1 src0=0 src1=0 src2=0
	s_delay_alu instid0(VALU_DEP_1)
	v_add3_u32 v185 /*v441*/, v52, v199, v194
	s_set_vgpr_msb 0                        ;  msbs: dst=0 src0=0 src1=0 src2=0
	v_add_nc_u32_e32 v52, s13, v154
	ds_load_2addr_b32 v[204:205], v52 offset1:1
	ds_load_2addr_b32 v[212:213], v52 offset0:2 offset1:3
	ds_load_2addr_b32 v[220:221], v52 offset0:4 offset1:5
	s_set_vgpr_msb 64                       ;  msbs: dst=1 src0=0 src1=0 src2=0
	ds_load_2addr_b32 v[140:141] /*v[396:397]*/, v52 offset0:6 offset1:7
	s_wait_dscnt 0x3
	s_set_vgpr_msb 0                        ;  msbs: dst=0 src0=0 src1=0 src2=0
	v_and_b32_e32 v168, 15, v204
	v_bfe_u32 v169, v204, 16, 4
	s_wait_dscnt 0x2
	v_lshrrev_b32_e32 v209, 28, v212
	v_bfe_u32 v194, v204, 20, 4
	v_bfe_u32 v197, v204, 4, 4
	v_mul_i32_i24_e32 v53, v168, v167
	v_bfe_u32 v167, v204, 8, 4
	v_mul_i32_i24_e32 v54, v169, v170
	v_bfe_u32 v170, v204, 24, 4
	v_bfe_u32 v196, v204, 12, 4
	v_lshrrev_b32_e32 v200, 28, v204
	v_mad_i32_i24 v53, v167, v171, v53
	v_and_b32_e32 v171, 15, v205
	v_mul_i32_i24_e32 v55, v170, v186
	v_bfe_u32 v204, v212, 20, 4
	v_bfe_u32 v206, v212, 4, 4
	;; [unrolled: 1-line block ×3, first 2 shown]
	s_wait_dscnt 0x1
	v_lshrrev_b32_e32 v215, 28, v220
	v_add3_u32 v53, v53, v54, v55
	v_mul_i32_i24_e32 v54, v171, v172
	v_bfe_u32 v172, v205, 8, 4
	v_bfe_u32 v186, v220, 16, 4
	v_lshrrev_b32_e32 v219, 28, v221
	s_wait_dscnt 0x0
	s_set_vgpr_msb 1                        ;  msbs: dst=0 src0=1 src1=0 src2=0
	v_bfe_u32 v191, v140 /*v396*/, 8, 4
	s_set_vgpr_msb 4                        ;  msbs: dst=0 src0=0 src1=1 src2=0
	v_dual_lshrrev_b32 v223, 28, v140 /*v396*/ :: v_dual_bitop2_b32 v192, 15, v140 /*v396*/ bitop3:0x40
	s_set_vgpr_msb 0                        ;  msbs: dst=0 src0=0 src1=0 src2=0
	v_mul_i32_i24_e32 v55, v172, v173
	v_bfe_u32 v173, v205, 16, 4
	s_set_vgpr_msb 1                        ;  msbs: dst=0 src0=1 src1=0 src2=0
	v_bfe_u32 v193, v140 /*v396*/, 24, 4
	s_set_vgpr_msb 0                        ;  msbs: dst=0 src0=0 src1=0 src2=0
	v_mul_i32_i24_e32 v52, v163, v192
	s_set_vgpr_msb 1                        ;  msbs: dst=0 src0=1 src1=0 src2=0
	v_bfe_u32 v195, v140 /*v396*/, 16, 4
	s_set_vgpr_msb 0                        ;  msbs: dst=0 src0=0 src1=0 src2=0
	v_add3_u32 v53, v53, v55, v54
	v_mul_i32_i24_e32 v56, v173, v174
	v_bfe_u32 v174, v205, 24, 4
	v_bfe_u32 v202, v205, 4, 4
	;; [unrolled: 1-line block ×4, first 2 shown]
	v_lshrrev_b32_e32 v205, 28, v205
	v_mul_i32_i24_e32 v58, v174, v175
	v_and_b32_e32 v175, 15, v212
	s_set_vgpr_msb 4                        ;  msbs: dst=0 src0=0 src1=1 src2=0
	v_mul_i32_i24_e32 v61, v206, v148 /*v404*/
	v_mul_i32_i24_e32 v67, v207, v149 /*v405*/
	;; [unrolled: 1-line block ×3, first 2 shown]
	s_set_vgpr_msb 0                        ;  msbs: dst=0 src0=0 src1=0 src2=0
	v_add3_u32 v53, v53, v56, v58
	v_mul_i32_i24_e32 v54, v175, v176
	v_bfe_u32 v176, v212, 8, 4
	s_set_vgpr_msb 4                        ;  msbs: dst=0 src0=0 src1=1 src2=0
	v_mul_i32_i24_e32 v71, v209, v164 /*v420*/
	v_bfe_u32 v210, v213, 4, 4
	v_bfe_u32 v211, v213, 12, 4
	v_bfe_u32 v208, v213, 20, 4
	s_set_vgpr_msb 0                        ;  msbs: dst=0 src0=0 src1=0 src2=0
	v_mul_i32_i24_e32 v55, v176, v177
	v_bfe_u32 v177, v212, 16, 4
	s_set_vgpr_msb 4                        ;  msbs: dst=0 src0=0 src1=1 src2=0
	v_mul_i32_i24_e32 v82, v210, v152 /*v408*/
	v_mul_i32_i24_e32 v84, v211, v153 /*v409*/
	;; [unrolled: 1-line block ×3, first 2 shown]
	s_set_vgpr_msb 0                        ;  msbs: dst=0 src0=0 src1=0 src2=0
	v_add3_u32 v53, v53, v55, v54
	v_mul_i32_i24_e32 v56, v177, v178
	v_bfe_u32 v178, v212, 24, 4
	v_lshrrev_b32_e32 v212, 28, v213
	v_bfe_u32 v214, v220, 12, 4
	v_bfe_u32 v216, v220, 20, 4
	s_set_vgpr_msb 0x41                     ;  msbs: dst=1 src0=1 src1=0 src2=0
	v_mul_i32_i24_e32 v191 /*v447*/, v161 /*v417*/, v215
	s_set_vgpr_msb 0                        ;  msbs: dst=0 src0=0 src1=0 src2=0
	v_mul_i32_i24_e32 v58, v178, v179
	v_and_b32_e32 v179, 15, v213
	s_set_vgpr_msb 4                        ;  msbs: dst=0 src0=0 src1=1 src2=0
	v_mul_i32_i24_e32 v92, v212, v163 /*v419*/
	s_set_vgpr_msb 1                        ;  msbs: dst=0 src0=1 src1=0 src2=0
	v_mul_i32_i24_e32 v163, v155 /*v411*/, v214
	s_set_vgpr_msb 0x41                     ;  msbs: dst=1 src0=1 src1=0 src2=0
	v_mul_i32_i24_e32 v192 /*v448*/, v156 /*v412*/, v216
	s_set_vgpr_msb 0                        ;  msbs: dst=0 src0=0 src1=0 src2=0
	v_add3_u32 v53, v53, v56, v58
	v_mul_i32_i24_e32 v54, v179, v180
	v_bfe_u32 v180, v213, 8, 4
	v_bfe_u32 v217, v221, 4, 4
	;; [unrolled: 1-line block ×3, first 2 shown]
	s_set_vgpr_msb 0x41                     ;  msbs: dst=1 src0=1 src1=0 src2=0
	v_mul_i32_i24_e32 v195 /*v451*/, v160 /*v416*/, v219
	s_set_vgpr_msb 1                        ;  msbs: dst=0 src0=1 src1=0 src2=0
	v_bfe_u32 v222, v140 /*v396*/, 12, 4
	s_set_vgpr_msb 0                        ;  msbs: dst=0 src0=0 src1=0 src2=0
	v_mul_i32_i24_e32 v55, v180, v181
	v_bfe_u32 v181, v213, 16, 4
	s_set_vgpr_msb 0x41                     ;  msbs: dst=1 src0=1 src1=0 src2=0
	v_mul_i32_i24_e32 v193 /*v449*/, v158 /*v414*/, v218
	v_mul_i32_i24_e32 v194 /*v450*/, v157 /*v413*/, v217
	s_set_vgpr_msb 1                        ;  msbs: dst=0 src0=1 src1=0 src2=0
	v_bfe_u32 v201, v141 /*v397*/, 8, 4
	s_set_vgpr_msb 0                        ;  msbs: dst=0 src0=0 src1=0 src2=0
	v_add3_u32 v53, v53, v55, v54
	v_mul_i32_i24_e32 v56, v181, v182
	v_bfe_u32 v182, v213, 24, 4
	v_bfe_u32 v213, v220, 4, 4
	s_set_vgpr_msb 64                       ;  msbs: dst=1 src0=0 src1=0 src2=0
	v_mul_i32_i24_e32 v197 /*v453*/, v13, v222
	s_set_vgpr_msb 1                        ;  msbs: dst=0 src0=1 src1=0 src2=0
	v_bfe_u32 v224, v140 /*v396*/, 20, 4
	v_bfe_u32 v225, v141 /*v397*/, 4, 4
	s_set_vgpr_msb 0                        ;  msbs: dst=0 src0=0 src1=0 src2=0
	v_mul_i32_i24_e32 v58, v182, v183
	v_and_b32_e32 v183, 15, v220
	s_set_vgpr_msb 0x41                     ;  msbs: dst=1 src0=1 src1=0 src2=0
	v_mul_i32_i24_e32 v190 /*v446*/, v154 /*v410*/, v213
	s_set_vgpr_msb 64                       ;  msbs: dst=1 src0=0 src1=0 src2=0
	v_mul_i32_i24_e32 v188 /*v444*/, v201, v116
	v_mul_i32_i24_e32 v199 /*v455*/, v14, v224
	s_set_vgpr_msb 0                        ;  msbs: dst=0 src0=0 src1=0 src2=0
	v_add3_u32 v53, v53, v56, v58
	v_mul_i32_i24_e32 v54, v183, v184
	v_bfe_u32 v184, v220, 8, 4
	v_mul_i32_i24_e32 v58, v187, v186
	v_bfe_u32 v187, v221, 8, 4
	s_set_vgpr_msb 64                       ;  msbs: dst=1 src0=0 src1=0 src2=0
	v_mul_i32_i24_e32 v189 /*v445*/, v225, v114
	s_set_vgpr_msb 4                        ;  msbs: dst=0 src0=0 src1=1 src2=0
	v_and_b32_e32 v199, 15, v141 /*v397*/
	s_set_vgpr_msb 0                        ;  msbs: dst=0 src0=0 src1=0 src2=0
	v_mul_i32_i24_e32 v55, v184, v185
	v_bfe_u32 v185, v220, 24, 4
	v_bfe_u32 v220, v221, 20, 4
	s_set_vgpr_msb 64                       ;  msbs: dst=1 src0=0 src1=0 src2=0
	v_mul_i32_i24_e32 v187 /*v443*/, v199, v160
	s_set_vgpr_msb 0                        ;  msbs: dst=0 src0=0 src1=0 src2=0
	v_add3_u32 v53, v53, v55, v54
	v_mul_i32_i24_e32 v56, v188, v185
	v_and_b32_e32 v188, 15, v221
	v_mul_i32_i24_e32 v55, v190, v187
	v_bfe_u32 v190, v221, 16, 4
	s_set_vgpr_msb 0x41                     ;  msbs: dst=1 src0=1 src1=0 src2=0
	v_mul_i32_i24_e32 v196 /*v452*/, v159 /*v415*/, v220
	s_set_vgpr_msb 0                        ;  msbs: dst=0 src0=0 src1=0 src2=0
	v_add3_u32 v53, v53, v58, v56
	v_mul_i32_i24_e32 v54, v189, v188
	v_bfe_u32 v189, v221, 24, 4
	v_mul_i32_i24_e32 v58, v165, v190
	s_set_vgpr_msb 1                        ;  msbs: dst=0 src0=1 src1=0 src2=0
	v_bfe_u32 v221, v140 /*v396*/, 4, 4
	s_set_vgpr_msb 64                       ;  msbs: dst=1 src0=0 src1=0 src2=0
	v_mul_i32_i24_e32 v140 /*v396*/, v15, v223
	s_set_vgpr_msb 0                        ;  msbs: dst=0 src0=0 src1=0 src2=0
	v_add3_u32 v53, v53, v55, v54
	v_mul_i32_i24_e32 v56, v166, v189
	v_mul_i32_i24_e32 v54, v164, v191
	;; [unrolled: 1-line block ×3, first 2 shown]
	s_set_vgpr_msb 64                       ;  msbs: dst=1 src0=0 src1=0 src2=0
	v_mul_i32_i24_e32 v198 /*v454*/, v12, v221
	s_set_vgpr_msb 1                        ;  msbs: dst=0 src0=1 src1=0 src2=0
	v_bfe_u32 v166, v141 /*v397*/, 16, 4
	s_set_vgpr_msb 0                        ;  msbs: dst=0 src0=0 src1=0 src2=0
	v_add3_u32 v53, v53, v58, v56
	v_mul_i32_i24_e32 v56, v161, v195
	s_set_vgpr_msb 4                        ;  msbs: dst=0 src0=0 src1=1 src2=0
	v_mul_i32_i24_e32 v58, v205, v165 /*v421*/
	s_set_vgpr_msb 1                        ;  msbs: dst=0 src0=1 src1=0 src2=0
	v_bfe_u32 v165, v141 /*v397*/, 24, 4
	v_bfe_u32 v162, v141 /*v397*/, 12, 4
	s_set_vgpr_msb 0                        ;  msbs: dst=0 src0=0 src1=0 src2=0
	v_add3_u32 v52, v53, v54, v52
	s_set_vgpr_msb 4                        ;  msbs: dst=0 src0=0 src1=1 src2=0
	v_mul_i32_i24_e32 v54, v194, v144 /*v400*/
	s_set_vgpr_msb 1                        ;  msbs: dst=0 src0=1 src1=0 src2=0
	v_bfe_u32 v161, v141 /*v397*/, 20, 4
	s_set_vgpr_msb 4                        ;  msbs: dst=0 src0=0 src1=1 src2=0
	v_lshrrev_b32_e32 v160, 28, v141 /*v397*/
	s_set_vgpr_msb 64                       ;  msbs: dst=1 src0=0 src1=0 src2=0
	v_add3_u32 v186 /*v442*/, v52, v56, v55
	s_set_vgpr_msb 4                        ;  msbs: dst=0 src0=0 src1=1 src2=0
	ds_load_u16 v52, v36
	ds_load_u16 v36, v36 offset:8
	v_mul_i32_i24_e32 v55, v200, v166 /*v422*/
	v_mul_i32_i24_e32 v56, v198, v147 /*v403*/
	s_wait_dscnt 0x1
	s_set_vgpr_msb 0                        ;  msbs: dst=0 src0=0 src1=0 src2=0
	v_lshrrev_b16 v53, 8, v52
	v_and_b32_e32 v164, 0xff, v52
	s_set_vgpr_msb 4                        ;  msbs: dst=0 src0=0 src1=1 src2=0
	v_mul_i32_i24_e32 v52, v197, v143 /*v399*/
	s_wait_dscnt 0x0
	v_cvt_f32_ubyte0_e32 v116, v36
	v_cvt_f32_ubyte1_e32 v114, v36
	s_set_vgpr_msb 0                        ;  msbs: dst=0 src0=0 src1=0 src2=0
	v_or_b32_e32 v36, s12, v138
	s_set_vgpr_msb 4                        ;  msbs: dst=0 src0=0 src1=1 src2=0
	v_mad_i32_i24 v52, v196, v142 /*v398*/, v52
	s_set_vgpr_msb 0                        ;  msbs: dst=0 src0=0 src1=0 src2=0
	s_delay_alu instid0(VALU_DEP_1) | instskip(SKIP_4) | instid1(VALU_DEP_1)
	v_add3_u32 v52, v52, v54, v55
	s_set_vgpr_msb 4                        ;  msbs: dst=0 src0=0 src1=1 src2=0
	v_mul_i32_i24_e32 v54, v202, v145 /*v401*/
	v_mul_i32_i24_e32 v55, v203, v146 /*v402*/
	s_set_vgpr_msb 0                        ;  msbs: dst=0 src0=0 src1=0 src2=0
	v_add3_u32 v52, v52, v54, v55
	s_delay_alu instid0(VALU_DEP_1) | instskip(NEXT) | instid1(VALU_DEP_1)
	v_add3_u32 v52, v52, v56, v58
	v_add3_u32 v52, v52, v61, v67
	s_delay_alu instid0(VALU_DEP_1) | instskip(NEXT) | instid1(VALU_DEP_1)
	v_add3_u32 v52, v52, v69, v71
	v_add3_u32 v52, v52, v82, v84
	s_delay_alu instid0(VALU_DEP_1) | instskip(SKIP_1) | instid1(VALU_DEP_1)
	v_add3_u32 v52, v52, v86, v92
	s_set_vgpr_msb 4                        ;  msbs: dst=0 src0=0 src1=1 src2=0
	v_add3_u32 v52, v52, v190 /*v446*/, v163
	s_set_vgpr_msb 0                        ;  msbs: dst=0 src0=0 src1=0 src2=0
	v_and_b32_e32 v163, 0xffff, v53
	s_set_vgpr_msb 20                       ;  msbs: dst=0 src0=0 src1=1 src2=1
	s_delay_alu instid0(VALU_DEP_2) | instskip(NEXT) | instid1(VALU_DEP_1)
	v_add3_u32 v52, v52, v192 /*v448*/, v191 /*v447*/
	v_add3_u32 v52, v52, v194 /*v450*/, v193 /*v449*/
	s_delay_alu instid0(VALU_DEP_1) | instskip(NEXT) | instid1(VALU_DEP_1)
	v_add3_u32 v52, v52, v196 /*v452*/, v195 /*v451*/
	v_add3_u32 v52, v52, v198 /*v454*/, v197 /*v453*/
	s_set_vgpr_msb 0x54                     ;  msbs: dst=1 src0=0 src1=1 src2=1
	s_delay_alu instid0(VALU_DEP_1)
	v_add3_u32 v190 /*v446*/, v52, v199 /*v455*/, v140 /*v396*/
	s_set_vgpr_msb 0                        ;  msbs: dst=0 src0=0 src1=0 src2=0
	v_dual_lshlrev_b32 v52, 2, v36 :: v_dual_lshrrev_b32 v36, 1, v36
	s_set_vgpr_msb 64                       ;  msbs: dst=1 src0=0 src1=0 src2=0
	ds_load_b128 v[192:195] /*v[448:451]*/, v52 offset:16896
	ds_load_b128 v[196:199] /*v[452:455]*/, v52 offset:16912
	ds_load_b128 v[200:203] /*v[456:459]*/, v52 offset:16928
	ds_load_b128 v[204:207] /*v[460:463]*/, v52 offset:16944
	s_wait_dscnt 0x3
	s_set_vgpr_msb 1                        ;  msbs: dst=0 src0=1 src1=0 src2=0
	v_bfe_i32 v52, v192 /*v448*/, 0, 8
	v_bfe_i32 v53, v192 /*v448*/, 8, 8
	;; [unrolled: 1-line block ×3, first 2 shown]
	s_set_vgpr_msb 4                        ;  msbs: dst=0 src0=0 src1=1 src2=0
	v_dual_ashrrev_i32 v55, 24, v192 /*v448*/ :: v_dual_ashrrev_i32 v67, 24, v193 /*v449*/
	s_set_vgpr_msb 0x44                     ;  msbs: dst=1 src0=0 src1=1 src2=0
	v_mul_i32_i24_e32 v140 /*v396*/, v52, v102 /*v358*/
	s_set_vgpr_msb 1                        ;  msbs: dst=0 src0=1 src1=0 src2=0
	v_bfe_i32 v56, v193 /*v449*/, 0, 8
	v_bfe_i32 v58, v193 /*v449*/, 8, 8
	s_set_vgpr_msb 0x54                     ;  msbs: dst=1 src0=0 src1=1 src2=1
	v_mul_i32_i24_e32 v141 /*v397*/, v54, v103 /*v359*/
	v_mul_i32_i24_e32 v217 /*v473*/, v55, v104 /*v360*/
	v_mad_i32_i24 v140 /*v396*/, v53, v101 /*v357*/, v140 /*v396*/
	s_set_vgpr_msb 1                        ;  msbs: dst=0 src0=1 src1=0 src2=0
	v_bfe_i32 v61, v193 /*v449*/, 16, 8
	v_bfe_i32 v69, v194 /*v450*/, 0, 8
	;; [unrolled: 1-line block ×3, first 2 shown]
	s_set_vgpr_msb 0x44                     ;  msbs: dst=1 src0=0 src1=1 src2=0
	v_mul_i32_i24_e32 v219 /*v475*/, v67, v108 /*v364*/
	s_set_vgpr_msb 0x55                     ;  msbs: dst=1 src0=1 src1=1 src2=1
	v_add3_u32 v140 /*v396*/, v140 /*v396*/, v141 /*v397*/, v217 /*v473*/
	s_set_vgpr_msb 0x44                     ;  msbs: dst=1 src0=0 src1=1 src2=0
	v_mul_i32_i24_e32 v141 /*v397*/, v56, v105 /*v361*/
	v_mul_i32_i24_e32 v217 /*v473*/, v58, v106 /*v362*/
	;; [unrolled: 1-line block ×3, first 2 shown]
	s_set_vgpr_msb 1                        ;  msbs: dst=0 src0=1 src1=0 src2=0
	v_bfe_i32 v82, v194 /*v450*/, 16, 8
	s_set_vgpr_msb 4                        ;  msbs: dst=0 src0=0 src1=1 src2=0
	v_ashrrev_i32_e32 v84, 24, v194 /*v450*/
	s_set_vgpr_msb 0x44                     ;  msbs: dst=1 src0=0 src1=1 src2=0
	v_mul_i32_i24_e32 v220 /*v476*/, v69, v109 /*v365*/
	s_set_vgpr_msb 0x55                     ;  msbs: dst=1 src0=1 src1=1 src2=1
	v_add3_u32 v140 /*v396*/, v140 /*v396*/, v141 /*v397*/, v217 /*v473*/
	s_set_vgpr_msb 0x44                     ;  msbs: dst=1 src0=0 src1=1 src2=0
	v_mul_i32_i24_e32 v221 /*v477*/, v71, v110 /*v366*/
	s_set_vgpr_msb 1                        ;  msbs: dst=0 src0=1 src1=0 src2=0
	v_bfe_i32 v86, v195 /*v451*/, 0, 8
	v_bfe_i32 v92, v195 /*v451*/, 8, 8
	s_set_vgpr_msb 0x44                     ;  msbs: dst=1 src0=0 src1=1 src2=0
	v_mul_i32_i24_e32 v222 /*v478*/, v82, v111 /*v367*/
	s_set_vgpr_msb 0x55                     ;  msbs: dst=1 src0=1 src1=1 src2=1
	v_add3_u32 v140 /*v396*/, v140 /*v396*/, v218 /*v474*/, v219 /*v475*/
	s_set_vgpr_msb 0x44                     ;  msbs: dst=1 src0=0 src1=1 src2=0
	v_mul_i32_i24_e32 v223 /*v479*/, v84, v112 /*v368*/
	s_set_vgpr_msb 0x41                     ;  msbs: dst=1 src0=1 src1=0 src2=0
	v_bfe_i32 v191 /*v447*/, v195 /*v451*/, 16, 8
	s_set_vgpr_msb 0x44                     ;  msbs: dst=1 src0=0 src1=1 src2=0
	v_ashrrev_i32_e32 v192 /*v448*/, 24, v195 /*v451*/
	v_mul_i32_i24_e32 v224 /*v480*/, v86, v113 /*v369*/
	s_set_vgpr_msb 0x55                     ;  msbs: dst=1 src0=1 src1=1 src2=1
	v_add3_u32 v140 /*v396*/, v140 /*v396*/, v220 /*v476*/, v221 /*v477*/
	s_set_vgpr_msb 0x44                     ;  msbs: dst=1 src0=0 src1=1 src2=0
	v_mul_i32_i24_e32 v225 /*v481*/, v92, v114 /*v370*/
	s_wait_dscnt 0x2
	s_set_vgpr_msb 0x55                     ;  msbs: dst=1 src0=1 src1=1 src2=1
	v_bfe_i32 v193 /*v449*/, v196 /*v452*/, 0, 8
	v_bfe_i32 v194 /*v450*/, v196 /*v452*/, 8, 8
	;; [unrolled: 1-line block ×3, first 2 shown]
	v_add3_u32 v140 /*v396*/, v140 /*v396*/, v222 /*v478*/, v223 /*v479*/
	v_ashrrev_i32_e32 v196 /*v452*/, 24, v196 /*v452*/
	v_mul_i32_i24_e32 v226 /*v482*/, v191 /*v447*/, v115 /*v371*/
	v_mul_i32_i24_e32 v227 /*v483*/, v192 /*v448*/, v116 /*v372*/
	;; [unrolled: 1-line block ×3, first 2 shown]
	v_add3_u32 v140 /*v396*/, v140 /*v396*/, v224 /*v480*/, v225 /*v481*/
	v_mul_i32_i24_e32 v229 /*v485*/, v194 /*v450*/, v118 /*v374*/
	v_bfe_i32 v208 /*v464*/, v197 /*v453*/, 0, 8
	v_bfe_i32 v209 /*v465*/, v197 /*v453*/, 8, 8
	v_mul_i32_i24_e32 v230 /*v486*/, v120 /*v376*/, v195 /*v451*/
	v_add3_u32 v140 /*v396*/, v140 /*v396*/, v226 /*v482*/, v227 /*v483*/
	v_mul_i32_i24_e32 v231 /*v487*/, v119 /*v375*/, v196 /*v452*/
	v_bfe_i32 v210 /*v466*/, v197 /*v453*/, 16, 8
	v_ashrrev_i32_e32 v197 /*v453*/, 24, v197 /*v453*/
	v_mul_i32_i24_e32 v232 /*v488*/, v122 /*v378*/, v208 /*v464*/
	v_add3_u32 v140 /*v396*/, v140 /*v396*/, v228 /*v484*/, v229 /*v485*/
	v_mul_i32_i24_e32 v233 /*v489*/, v121 /*v377*/, v209 /*v465*/
	v_bfe_i32 v211 /*v467*/, v198 /*v454*/, 0, 8
	v_bfe_i32 v212 /*v468*/, v198 /*v454*/, 8, 8
	;; [unrolled: 1-line block ×3, first 2 shown]
	v_add3_u32 v140 /*v396*/, v140 /*v396*/, v230 /*v486*/, v231 /*v487*/
	v_ashrrev_i32_e32 v198 /*v454*/, 24, v198 /*v454*/
	v_mul_i32_i24_e32 v234 /*v490*/, v124 /*v380*/, v210 /*v466*/
	v_mul_i32_i24_e32 v235 /*v491*/, v123 /*v379*/, v197 /*v453*/
	;; [unrolled: 1-line block ×3, first 2 shown]
	v_add3_u32 v140 /*v396*/, v140 /*v396*/, v232 /*v488*/, v233 /*v489*/
	v_mul_i32_i24_e32 v237 /*v493*/, v125 /*v381*/, v212 /*v468*/
	v_mul_i32_i24_e32 v238 /*v494*/, v136 /*v392*/, v213 /*v469*/
	;; [unrolled: 1-line block ×3, first 2 shown]
	s_set_vgpr_msb 64                       ;  msbs: dst=1 src0=0 src1=0 src2=0
	v_bfe_u32 v141 /*v397*/, v10, 4, 4
	s_set_vgpr_msb 0x55                     ;  msbs: dst=1 src0=1 src1=1 src2=1
	v_add3_u32 v140 /*v396*/, v140 /*v396*/, v234 /*v490*/, v235 /*v491*/
	v_bfe_i32 v214 /*v470*/, v199 /*v455*/, 0, 8
	v_bfe_i32 v215 /*v471*/, v199 /*v455*/, 8, 8
	;; [unrolled: 1-line block ×3, first 2 shown]
	v_ashrrev_i32_e32 v199 /*v455*/, 24, v199 /*v455*/
	v_add3_u32 v140 /*v396*/, v140 /*v396*/, v236 /*v492*/, v237 /*v493*/
	v_mul_i32_i24_e32 v240 /*v496*/, v214 /*v470*/, v137 /*v393*/
	v_mul_i32_i24_e32 v241 /*v497*/, v215 /*v471*/, v138 /*v394*/
	s_wait_dscnt 0x1
	v_lshrrev_b16 v218 /*v474*/, 8, v202 /*v458*/
	v_lshrrev_b16 v219 /*v475*/, 8, v203 /*v459*/
	v_add3_u32 v217 /*v473*/, v140 /*v396*/, v238 /*v494*/, v239 /*v495*/
	s_set_vgpr_msb 64                       ;  msbs: dst=1 src0=0 src1=0 src2=0
	v_bfe_u32 v140 /*v396*/, v10, 20, 4
	s_set_vgpr_msb 5                        ;  msbs: dst=0 src0=1 src1=1 src2=0
	v_mul_i32_i24_e32 v10, v141 /*v397*/, v143 /*v399*/
	s_set_vgpr_msb 0x44                     ;  msbs: dst=1 src0=0 src1=1 src2=0
	v_ashrrev_i32_e32 v221 /*v477*/, 24, v200 /*v456*/
	s_set_vgpr_msb 0x45                     ;  msbs: dst=1 src0=1 src1=1 src2=0
	v_bfe_i32 v222 /*v478*/, v200 /*v456*/, 16, 8
	v_bfe_i32 v226 /*v482*/, v201 /*v457*/, 16, 8
	v_mul_i32_i24_e32 v143 /*v399*/, v140 /*v396*/, v144 /*v400*/
	v_mul_i32_i24_e32 v144 /*v400*/, v134 /*v390*/, v166 /*v422*/
	s_set_vgpr_msb 5                        ;  msbs: dst=0 src0=1 src1=1 src2=0
	v_mad_i32_i24 v10, v139 /*v395*/, v142 /*v398*/, v10
	s_set_vgpr_msb 0x44                     ;  msbs: dst=1 src0=0 src1=1 src2=0
	v_lshrrev_b16 v142 /*v398*/, 8, v200 /*v456*/
	v_lshrrev_b16 v166 /*v422*/, 8, v201 /*v457*/
	s_set_vgpr_msb 0x41                     ;  msbs: dst=1 src0=1 src1=0 src2=0
	v_bfe_i32 v200 /*v456*/, v200 /*v456*/, 0, 8
	s_set_vgpr_msb 0x44                     ;  msbs: dst=1 src0=0 src1=1 src2=0
	v_dual_ashrrev_i32 v231 /*v487*/, 24, v202 /*v458*/ :: v_dual_ashrrev_i32 v237 /*v493*/, 24, v203 /*v459*/
	s_set_vgpr_msb 20                       ;  msbs: dst=0 src0=0 src1=1 src2=1
	v_add3_u32 v10, v10, v143 /*v399*/, v144 /*v400*/
	s_set_vgpr_msb 0x44                     ;  msbs: dst=1 src0=0 src1=1 src2=0
	v_and_b32_e32 v143 /*v399*/, 0xffff, v176 /*v432*/
	v_bfe_u32 v144 /*v400*/, v11, 4, 4
	s_set_vgpr_msb 0x41                     ;  msbs: dst=1 src0=1 src1=0 src2=0
	v_bfe_i32 v220 /*v476*/, v142 /*v398*/, 0, 8
	s_set_vgpr_msb 0x44                     ;  msbs: dst=1 src0=0 src1=1 src2=0
	v_bfe_u32 v142 /*v398*/, v11, 20, 4
	v_ashrrev_i32_e32 v176 /*v432*/, 24, v201 /*v457*/
	s_set_vgpr_msb 0x41                     ;  msbs: dst=1 src0=1 src1=0 src2=0
	v_bfe_i32 v166 /*v422*/, v166 /*v422*/, 0, 8
	s_set_vgpr_msb 5                        ;  msbs: dst=0 src0=1 src1=1 src2=0
	v_mul_i32_i24_e32 v11, v144 /*v400*/, v145 /*v401*/
	s_set_vgpr_msb 0x45                     ;  msbs: dst=1 src0=1 src1=1 src2=0
	v_mul_i32_i24_e32 v145 /*v401*/, v143 /*v399*/, v146 /*v402*/
	v_mul_i32_i24_e32 v146 /*v402*/, v142 /*v398*/, v147 /*v403*/
	;; [unrolled: 1-line block ×3, first 2 shown]
	v_bfe_i32 v201 /*v457*/, v201 /*v457*/, 0, 8
	v_bfe_i32 v232 /*v488*/, v202 /*v458*/, 16, 8
	s_set_vgpr_msb 16                       ;  msbs: dst=0 src0=0 src1=0 src2=1
	v_add3_u32 v10, v10, v11, v145 /*v401*/
	s_set_vgpr_msb 64                       ;  msbs: dst=1 src0=0 src1=0 src2=0
	v_bfe_u32 v145 /*v401*/, v8, 20, 4
	s_set_vgpr_msb 0x45                     ;  msbs: dst=1 src0=1 src1=1 src2=0
	v_bfe_i32 v202 /*v458*/, v202 /*v458*/, 0, 8
	v_mul_i32_i24_e32 v223 /*v479*/, v200 /*v456*/, v141 /*v397*/
	v_mul_i32_i24_e32 v225 /*v481*/, v221 /*v477*/, v134 /*v390*/
	s_set_vgpr_msb 20                       ;  msbs: dst=0 src0=0 src1=1 src2=1
	v_add3_u32 v10, v10, v146 /*v402*/, v147 /*v403*/
	s_set_vgpr_msb 0x44                     ;  msbs: dst=1 src0=0 src1=1 src2=0
	v_and_b32_e32 v146 /*v402*/, 0xffff, v175 /*v431*/
	v_bfe_u32 v147 /*v403*/, v8, 4, 4
	s_set_vgpr_msb 0x45                     ;  msbs: dst=1 src0=1 src1=1 src2=0
	v_mul_i32_i24_e32 v227 /*v483*/, v201 /*v457*/, v144 /*v400*/
	v_mul_i32_i24_e32 v228 /*v484*/, v166 /*v422*/, v143 /*v399*/
	;; [unrolled: 1-line block ×3, first 2 shown]
	s_set_vgpr_msb 5                        ;  msbs: dst=0 src0=1 src1=1 src2=0
	v_mul_i32_i24_e32 v11, v146 /*v402*/, v149 /*v405*/
	v_mul_i32_i24_e32 v8, v147 /*v403*/, v148 /*v404*/
	s_set_vgpr_msb 0x45                     ;  msbs: dst=1 src0=1 src1=1 src2=0
	v_mul_i32_i24_e32 v148 /*v404*/, v145 /*v401*/, v150 /*v406*/
	v_mul_i32_i24_e32 v149 /*v405*/, v127 /*v383*/, v164 /*v420*/
	s_set_vgpr_msb 64                       ;  msbs: dst=1 src0=0 src1=0 src2=0
	v_bfe_u32 v150 /*v406*/, v9, 4, 4
	s_set_vgpr_msb 0x41                     ;  msbs: dst=1 src0=1 src1=0 src2=0
	v_bfe_i32 v218 /*v474*/, v218 /*v474*/, 0, 8
	s_set_vgpr_msb 0                        ;  msbs: dst=0 src0=0 src1=0 src2=0
	v_add3_u32 v8, v10, v8, v11
	s_set_vgpr_msb 0x45                     ;  msbs: dst=1 src0=1 src1=1 src2=0
	v_mul_i32_i24_e32 v233 /*v489*/, v202 /*v458*/, v147 /*v403*/
	v_mul_i32_i24_e32 v236 /*v492*/, v231 /*v487*/, v127 /*v383*/
	v_bfe_i32 v238 /*v494*/, v203 /*v459*/, 16, 8
	v_bfe_i32 v219 /*v475*/, v219 /*v475*/, 0, 8
	s_set_vgpr_msb 20                       ;  msbs: dst=0 src0=0 src1=1 src2=1
	v_add3_u32 v8, v8, v148 /*v404*/, v149 /*v405*/
	s_set_vgpr_msb 0x44                     ;  msbs: dst=1 src0=0 src1=1 src2=0
	v_and_b32_e32 v149 /*v405*/, 0xffff, v174 /*v430*/
	v_bfe_u32 v148 /*v404*/, v9, 20, 4
	s_set_vgpr_msb 5                        ;  msbs: dst=0 src0=1 src1=1 src2=0
	v_mul_i32_i24_e32 v9, v150 /*v406*/, v152 /*v408*/
	s_set_vgpr_msb 0x45                     ;  msbs: dst=1 src0=1 src1=1 src2=0
	v_mul_i32_i24_e32 v152 /*v408*/, v128 /*v384*/, v163 /*v419*/
	v_bfe_i32 v203 /*v459*/, v203 /*v459*/, 0, 8
	s_set_vgpr_msb 5                        ;  msbs: dst=0 src0=1 src1=1 src2=0
	v_mul_i32_i24_e32 v10, v149 /*v405*/, v153 /*v409*/
	v_mul_i32_i24_e32 v11, v148 /*v404*/, v162 /*v418*/
	s_set_vgpr_msb 0x55                     ;  msbs: dst=1 src0=1 src1=1 src2=1
	v_add3_u32 v153 /*v409*/, v169 /*v425*/, v171 /*v427*/, v170 /*v426*/
	v_add3_u32 v169 /*v425*/, v217 /*v473*/, v240 /*v496*/, v241 /*v497*/
	s_wait_dscnt 0x0
	v_lshrrev_b16 v246 /*v502*/, 8, v205 /*v461*/
	s_set_vgpr_msb 0                        ;  msbs: dst=0 src0=0 src1=0 src2=0
	v_add3_u32 v8, v8, v9, v10
	s_set_vgpr_msb 0x45                     ;  msbs: dst=1 src0=1 src1=1 src2=0
	v_mul_i32_i24_e32 v224 /*v480*/, v222 /*v478*/, v140 /*v396*/
	v_mul_i32_i24_e32 v229 /*v485*/, v226 /*v482*/, v142 /*v398*/
	;; [unrolled: 1-line block ×4, first 2 shown]
	s_set_vgpr_msb 0x50                     ;  msbs: dst=1 src0=0 src1=0 src2=1
	v_add3_u32 v239 /*v495*/, v8, v11, v152 /*v408*/
	s_set_vgpr_msb 1                        ;  msbs: dst=0 src0=1 src1=0 src2=0
	ds_load_b64 v[8:9], v151 /*v407*/ offset:27200
	s_set_vgpr_msb 0                        ;  msbs: dst=0 src0=0 src1=0 src2=0
	ds_load_b64 v[10:11], v36 offset:27200
	v_ashrrev_i32_e32 v3, 24, v3
	s_set_vgpr_msb 0x41                     ;  msbs: dst=1 src0=1 src1=0 src2=0
	v_mul_i32_i24_e32 v151 /*v407*/, v33 /*v289*/, v7
	s_set_vgpr_msb 0x45                     ;  msbs: dst=1 src0=1 src1=1 src2=0
	v_mul_i32_i24_e32 v152 /*v408*/, v33 /*v289*/, v199 /*v455*/
	s_set_vgpr_msb 4                        ;  msbs: dst=0 src0=0 src1=1 src2=0
	v_lshrrev_b16 v36, 8, v204 /*v460*/
	s_set_vgpr_msb 0x45                     ;  msbs: dst=1 src0=1 src1=1 src2=0
	v_mul_i32_i24_e32 v242 /*v498*/, v203 /*v459*/, v150 /*v406*/
	v_mul_i32_i24_e32 v243 /*v499*/, v219 /*v475*/, v149 /*v405*/
	;; [unrolled: 1-line block ×3, first 2 shown]
	v_lshrrev_b16 v247 /*v503*/, 8, v206 /*v462*/
	v_bfe_i32 v248 /*v504*/, v207 /*v463*/, 0, 8
	v_bfe_i32 v249 /*v505*/, v207 /*v463*/, 8, 8
	v_bfe_i32 v250 /*v506*/, v207 /*v463*/, 16, 8
	v_ashrrev_i32_e32 v207 /*v463*/, 24, v207 /*v463*/
	s_set_vgpr_msb 0                        ;  msbs: dst=0 src0=0 src1=0 src2=0
	v_bfe_i32 v36, v36, 0, 8
	s_set_vgpr_msb 0x55                     ;  msbs: dst=1 src0=1 src1=1 src2=1
	v_bfe_i32 v241 /*v497*/, v246 /*v502*/, 0, 8
	v_mad_i32_i24 v228 /*v484*/, v220 /*v476*/, v139 /*v395*/, v228 /*v484*/
	v_add3_u32 v223 /*v479*/, v223 /*v479*/, v227 /*v483*/, v233 /*v489*/
	v_add3_u32 v225 /*v481*/, v225 /*v481*/, v230 /*v486*/, v236 /*v492*/
	v_mul_i32_i24_e32 v244 /*v500*/, v238 /*v494*/, v148 /*v404*/
	s_wait_dscnt 0x1
	s_set_vgpr_msb 64                       ;  msbs: dst=1 src0=0 src1=0 src2=0
	v_cvt_f32_f16_e64 v162 /*v418*/, v8
	s_wait_dscnt 0x0
	v_cvt_f32_f16_e64 v163 /*v419*/, v10
	s_set_vgpr_msb 0                        ;  msbs: dst=0 src0=0 src1=0 src2=0
	v_dual_lshrrev_b32 v8, 16, v8 :: v_dual_lshrrev_b32 v10, 16, v10
	s_set_vgpr_msb 64                       ;  msbs: dst=1 src0=0 src1=0 src2=0
	v_cvt_f32_f16_e64 v175 /*v431*/, v11
	v_cvt_f32_f16_e64 v174 /*v430*/, v9
	s_set_vgpr_msb 0x41                     ;  msbs: dst=1 src0=1 src1=0 src2=0
	v_bfe_i32 v247 /*v503*/, v247 /*v503*/, 0, 8
	s_set_vgpr_msb 64                       ;  msbs: dst=1 src0=0 src1=0 src2=0
	v_cvt_f32_f16_e64 v164 /*v420*/, v8
	v_cvt_f32_f16_e64 v165 /*v421*/, v10
	s_set_vgpr_msb 0                        ;  msbs: dst=0 src0=0 src1=0 src2=0
	v_dual_lshrrev_b32 v8, 16, v9 :: v_dual_lshrrev_b32 v9, 16, v11
	s_set_vgpr_msb 4                        ;  msbs: dst=0 src0=0 src1=1 src2=0
	v_mul_i32_i24_e32 v10, v6, v34 /*v290*/
	s_set_vgpr_msb 5                        ;  msbs: dst=0 src0=1 src1=1 src2=0
	v_mul_i32_i24_e32 v11, v216 /*v472*/, v34 /*v290*/
	s_set_vgpr_msb 0x55                     ;  msbs: dst=1 src0=1 src1=1 src2=1
	v_add3_u32 v224 /*v480*/, v224 /*v480*/, v229 /*v485*/, v235 /*v491*/
	v_add3_u32 v227 /*v483*/, v228 /*v484*/, v234 /*v490*/, v243 /*v499*/
	v_mul_i32_i24_e32 v254 /*v510*/, v248 /*v504*/, v135 /*v391*/
	s_set_vgpr_msb 17                       ;  msbs: dst=0 src0=1 src1=0 src2=1
	v_add3_u32 v10, v153 /*v409*/, v10, v151 /*v407*/
	v_add3_u32 v11, v169 /*v425*/, v11, v152 /*v408*/
	s_set_vgpr_msb 0x44                     ;  msbs: dst=1 src0=0 src1=1 src2=0
	v_and_b32_e32 v152 /*v408*/, 0xffff, v173 /*v429*/
	v_bfe_u32 v153 /*v409*/, v0, 4, 4
	v_bfe_u32 v151 /*v407*/, v0, 20, 4
	s_set_vgpr_msb 0x41                     ;  msbs: dst=1 src0=1 src1=0 src2=0
	v_bfe_i32 v173 /*v429*/, v204 /*v460*/, 0, 8
	v_bfe_i32 v169 /*v425*/, v204 /*v460*/, 16, 8
	s_set_vgpr_msb 0x44                     ;  msbs: dst=1 src0=0 src1=1 src2=0
	v_mul_i32_i24_e32 v217 /*v473*/, v36, v152 /*v408*/
	s_set_vgpr_msb 5                        ;  msbs: dst=0 src0=1 src1=1 src2=0
	v_mul_i32_i24_e32 v0, v153 /*v409*/, v154 /*v410*/
	s_set_vgpr_msb 0x45                     ;  msbs: dst=1 src0=1 src1=1 src2=0
	v_mul_i32_i24_e32 v154 /*v410*/, v152 /*v408*/, v155 /*v411*/
	v_mul_i32_i24_e32 v155 /*v411*/, v151 /*v407*/, v156 /*v412*/
	;; [unrolled: 1-line block ×3, first 2 shown]
	v_ashrrev_i32_e32 v161 /*v417*/, 24, v204 /*v460*/
	v_mul_i32_i24_e32 v204 /*v460*/, v173 /*v429*/, v153 /*v409*/
	s_set_vgpr_msb 17                       ;  msbs: dst=0 src0=1 src1=0 src2=1
	v_add3_u32 v0, v239 /*v495*/, v0, v154 /*v410*/
	s_set_vgpr_msb 64                       ;  msbs: dst=1 src0=0 src1=0 src2=0
	v_bfe_u32 v154 /*v410*/, v1, 20, 4
	s_set_vgpr_msb 0x55                     ;  msbs: dst=1 src0=1 src1=1 src2=1
	v_mul_i32_i24_e32 v239 /*v495*/, v169 /*v425*/, v151 /*v407*/
	v_mul_i32_i24_e32 v240 /*v496*/, v161 /*v417*/, v129 /*v385*/
	v_add3_u32 v204 /*v460*/, v223 /*v479*/, v242 /*v498*/, v204 /*v460*/
	s_set_vgpr_msb 20                       ;  msbs: dst=0 src0=0 src1=1 src2=1
	v_add3_u32 v0, v0, v155 /*v411*/, v156 /*v412*/
	s_set_vgpr_msb 0x44                     ;  msbs: dst=1 src0=0 src1=1 src2=0
	v_and_b32_e32 v155 /*v411*/, 0xffff, v172 /*v428*/
	v_bfe_u32 v156 /*v412*/, v1, 4, 4
	s_set_vgpr_msb 0x55                     ;  msbs: dst=1 src0=1 src1=1 src2=1
	v_bfe_i32 v172 /*v428*/, v205 /*v461*/, 16, 8
	v_add3_u32 v225 /*v481*/, v225 /*v481*/, v245 /*v501*/, v240 /*v496*/
	v_add3_u32 v223 /*v479*/, v224 /*v480*/, v244 /*v500*/, v239 /*v495*/
	v_mul_i32_i24_e32 v246 /*v502*/, v241 /*v497*/, v155 /*v411*/
	s_set_vgpr_msb 5                        ;  msbs: dst=0 src0=1 src1=1 src2=0
	v_mul_i32_i24_e32 v1, v156 /*v412*/, v157 /*v413*/
	s_set_vgpr_msb 0x45                     ;  msbs: dst=1 src0=1 src1=1 src2=0
	v_mul_i32_i24_e32 v157 /*v413*/, v155 /*v411*/, v158 /*v414*/
	v_mul_i32_i24_e32 v158 /*v414*/, v154 /*v410*/, v159 /*v415*/
	;; [unrolled: 1-line block ×3, first 2 shown]
	v_ashrrev_i32_e32 v160 /*v416*/, 24, v205 /*v461*/
	v_bfe_i32 v205 /*v461*/, v205 /*v461*/, 0, 8
	s_set_vgpr_msb 16                       ;  msbs: dst=0 src0=0 src1=0 src2=1
	v_add3_u32 v0, v0, v1, v157 /*v413*/
	s_set_vgpr_msb 64                       ;  msbs: dst=1 src0=0 src1=0 src2=0
	v_bfe_u32 v157 /*v413*/, v4, 20, 4
	s_set_vgpr_msb 0x45                     ;  msbs: dst=1 src0=1 src1=1 src2=0
	v_mul_i32_i24_e32 v252 /*v508*/, v172 /*v428*/, v154 /*v410*/
	v_mul_i32_i24_e32 v253 /*v509*/, v160 /*v416*/, v130 /*v386*/
	s_set_vgpr_msb 5                        ;  msbs: dst=0 src0=1 src1=1 src2=0
	v_mul_i32_i24_e32 v1, v205 /*v461*/, v156 /*v412*/
	s_set_vgpr_msb 20                       ;  msbs: dst=0 src0=0 src1=1 src2=1
	v_add3_u32 v0, v0, v158 /*v414*/, v159 /*v415*/
	s_set_vgpr_msb 0x44                     ;  msbs: dst=1 src0=0 src1=1 src2=0
	v_and_b32_e32 v158 /*v414*/, 0xffff, v168 /*v424*/
	v_bfe_u32 v159 /*v415*/, v4, 4, 4
	s_set_vgpr_msb 0x55                     ;  msbs: dst=1 src0=1 src1=1 src2=1
	v_bfe_i32 v168 /*v424*/, v206 /*v462*/, 16, 8
	v_add3_u32 v217 /*v473*/, v227 /*v483*/, v217 /*v473*/, v246 /*v502*/
	s_set_vgpr_msb 5                        ;  msbs: dst=0 src0=1 src1=1 src2=0
	v_mul_i32_i24_e32 v60, v249 /*v505*/, v38 /*v294*/
	v_mul_i32_i24_e32 v133, v37 /*v293*/, v250 /*v506*/
	s_set_vgpr_msb 1                        ;  msbs: dst=0 src0=1 src1=0 src2=0
	v_mul_i32_i24_e32 v4, v159 /*v415*/, v12
	v_mul_i32_i24_e32 v12, v158 /*v414*/, v13
	;; [unrolled: 1-line block ×4, first 2 shown]
	s_set_vgpr_msb 4                        ;  msbs: dst=0 src0=0 src1=1 src2=0
	v_ashrrev_i32_e32 v15, 24, v206 /*v462*/
	s_set_vgpr_msb 0x41                     ;  msbs: dst=1 src0=1 src1=0 src2=0
	v_bfe_i32 v206 /*v462*/, v206 /*v462*/, 0, 8
	s_set_vgpr_msb 0                        ;  msbs: dst=0 src0=0 src1=0 src2=0
	v_add3_u32 v0, v0, v4, v12
	s_set_vgpr_msb 5                        ;  msbs: dst=0 src0=1 src1=1 src2=0
	v_mul_i32_i24_e32 v12, v247 /*v503*/, v158 /*v414*/
	s_set_vgpr_msb 1                        ;  msbs: dst=0 src0=1 src1=0 src2=0
	v_mul_i32_i24_e32 v64, v36 /*v292*/, v3
	s_set_vgpr_msb 5                        ;  msbs: dst=0 src0=1 src1=1 src2=0
	v_mul_i32_i24_e32 v66, v36 /*v292*/, v207 /*v463*/
	v_mul_i32_i24_e32 v4, v206 /*v462*/, v159 /*v415*/
	s_set_vgpr_msb 0                        ;  msbs: dst=0 src0=0 src1=0 src2=0
	v_add3_u32 v0, v0, v13, v14
	s_set_vgpr_msb 4                        ;  msbs: dst=0 src0=0 src1=1 src2=0
	v_mul_i32_i24_e32 v14, v15, v131 /*v387*/
	s_set_vgpr_msb 5                        ;  msbs: dst=0 src0=1 src1=1 src2=0
	v_mul_i32_i24_e32 v13, v168 /*v424*/, v157 /*v413*/
	s_set_vgpr_msb 4                        ;  msbs: dst=0 src0=0 src1=1 src2=0
	v_mul_lo_u32 v10, v10, v32 /*v288*/
	s_set_vgpr_msb 1                        ;  msbs: dst=0 src0=1 src1=0 src2=0
	v_add3_u32 v1, v204 /*v460*/, v1, v4
	s_set_vgpr_msb 20                       ;  msbs: dst=0 src0=0 src1=1 src2=1
	v_add3_u32 v0, v0, v167 /*v423*/, v255 /*v511*/
	s_set_vgpr_msb 5                        ;  msbs: dst=0 src0=1 src1=1 src2=0
	v_add3_u32 v4, v225 /*v481*/, v253 /*v509*/, v14
	v_add3_u32 v13, v223 /*v479*/, v252 /*v508*/, v13
	s_set_vgpr_msb 4                        ;  msbs: dst=0 src0=0 src1=1 src2=0
	v_mul_lo_u32 v11, v11, v32 /*v288*/
	v_cvt_f32_f16_e32 v9, v9
	s_set_vgpr_msb 0                        ;  msbs: dst=0 src0=0 src1=0 src2=0
	v_add3_u32 v0, v0, v62, v64
	s_set_vgpr_msb 1                        ;  msbs: dst=0 src0=1 src1=0 src2=0
	v_add3_u32 v4, v217 /*v473*/, v12, v4
	s_set_vgpr_msb 0                        ;  msbs: dst=0 src0=0 src1=0 src2=0
	v_cvt_f32_f16_e32 v8, v8
	s_set_vgpr_msb 0x44                     ;  msbs: dst=1 src0=0 src1=1 src2=0
	v_pk_fma_f32 v[170:171] /*v[426:427]*/, v[120:121], v[164:165] /*v[420:421]*/, 0 op_sel_hi:[0,1,0]
	s_set_vgpr_msb 4                        ;  msbs: dst=0 src0=0 src1=1 src2=0
	v_cvt_f32_i32_e32 v10, v10
	v_mul_lo_u32 v0, v0, v35 /*v291*/
	s_set_vgpr_msb 0                        ;  msbs: dst=0 src0=0 src1=0 src2=0
	v_add3_u32 v1, v1, v13, v4
	s_set_vgpr_msb 4                        ;  msbs: dst=0 src0=0 src1=1 src2=0
	v_mul_i32_i24_e32 v4, v55, v45 /*v301*/
	v_mul_i32_i24_e32 v12, v69, v50 /*v306*/
	v_cvt_f32_i32_e32 v11, v11
	v_mul_i32_i24_e32 v13, v71, v51 /*v307*/
	v_add3_u32 v1, v1, v254 /*v510*/, v60
	v_mul_i32_i24_e32 v14, v82, v52 /*v308*/
	v_mul_i32_i24_e32 v60, v84, v53 /*v309*/
	s_set_vgpr_msb 1                        ;  msbs: dst=0 src0=1 src1=0 src2=0
	v_pk_fma_f32 v[10:11], v[162:163] /*v[418:419]*/, v[10:11], 0 op_sel_hi:[1,1,0]
	s_set_vgpr_msb 4                        ;  msbs: dst=0 src0=0 src1=1 src2=0
	v_mul_i32_i24_e32 v62, v86, v54 /*v310*/
	s_set_vgpr_msb 0                        ;  msbs: dst=0 src0=0 src1=0 src2=0
	v_add3_u32 v1, v1, v133, v66
	v_cvt_f32_i32_e32 v0, v0
	s_set_vgpr_msb 4                        ;  msbs: dst=0 src0=0 src1=1 src2=0
	v_mul_i32_i24_e32 v64, v92, v55 /*v311*/
	s_set_vgpr_msb 5                        ;  msbs: dst=0 src0=1 src1=1 src2=0
	v_mul_i32_i24_e32 v66, v191 /*v447*/, v56 /*v312*/
	v_mul_i32_i24_e32 v133, v192 /*v448*/, v57 /*v313*/
	s_set_vgpr_msb 4                        ;  msbs: dst=0 src0=0 src1=1 src2=0
	v_mul_lo_u32 v1, v1, v35 /*v291*/
	s_set_vgpr_msb 0x45                     ;  msbs: dst=1 src0=1 src1=1 src2=0
	v_mul_i32_i24_e32 v167 /*v423*/, v193 /*v449*/, v58 /*v314*/
	v_mul_i32_i24_e32 v204 /*v460*/, v60 /*v316*/, v196 /*v452*/
	v_mul_i32_i24_e32 v217 /*v473*/, v63 /*v319*/, v208 /*v464*/
	v_mul_i32_i24_e32 v223 /*v479*/, v62 /*v318*/, v209 /*v465*/
	v_mul_i32_i24_e32 v224 /*v480*/, v65 /*v321*/, v210 /*v466*/
	v_mul_i32_i24_e32 v225 /*v481*/, v64 /*v320*/, v197 /*v453*/
	v_mul_i32_i24_e32 v227 /*v483*/, v67 /*v323*/, v211 /*v467*/
	v_mul_i32_i24_e32 v228 /*v484*/, v66 /*v322*/, v212 /*v468*/
	v_mul_i32_i24_e32 v229 /*v485*/, v70 /*v326*/, v213 /*v469*/
	v_mul_i32_i24_e32 v230 /*v486*/, v68 /*v324*/, v198 /*v454*/
	s_set_vgpr_msb 0                        ;  msbs: dst=0 src0=0 src1=0 src2=0
	v_cvt_f32_i32_e32 v1, v1
	s_set_vgpr_msb 0x45                     ;  msbs: dst=1 src0=1 src1=1 src2=0
	v_mul_i32_i24_e32 v233 /*v489*/, v214 /*v470*/, v74 /*v330*/
	v_mul_i32_i24_e32 v234 /*v490*/, v215 /*v471*/, v76 /*v332*/
	s_set_vgpr_msb 0x44                     ;  msbs: dst=1 src0=0 src1=1 src2=0
	v_mul_i32_i24_e32 v235 /*v491*/, v15, v98 /*v354*/
	s_set_vgpr_msb 0x45                     ;  msbs: dst=1 src0=1 src1=1 src2=0
	v_mul_i32_i24_e32 v236 /*v492*/, v248 /*v504*/, v100 /*v356*/
	s_set_vgpr_msb 1                        ;  msbs: dst=0 src0=1 src1=0 src2=0
	v_pk_fma_f32 v[0:1], v[174:175] /*v[430:431]*/, v[0:1], v[10:11]
	s_set_vgpr_msb 16                       ;  msbs: dst=0 src0=0 src1=0 src2=1
	v_pk_fma_f32 v[10:11], v[122:123], v[8:9], v[170:171] /*v[426:427]*/ op_sel_hi:[0,1,1]
	s_set_vgpr_msb 0x45                     ;  msbs: dst=1 src0=1 src1=1 src2=0
	v_mul_i32_i24_e32 v170 /*v426*/, v194 /*v450*/, v59 /*v315*/
	v_mul_i32_i24_e32 v171 /*v427*/, v61 /*v317*/, v195 /*v451*/
	s_set_vgpr_msb 0x44                     ;  msbs: dst=1 src0=0 src1=1 src2=0
	v_mul_i32_i24_e32 v177 /*v433*/, v250, v208 /*v464*/
	v_mul_i32_i24_e32 v178 /*v434*/, v249, v209 /*v465*/
	s_set_vgpr_msb 0                        ;  msbs: dst=0 src0=0 src1=0 src2=0
	v_pk_mul_f32 v[10:11], v[10:11], v[102:103]
	s_delay_alu instid0(VALU_DEP_1)
	v_pk_fma_f32 v[0:1], v[0:1], v[94:95], v[10:11] neg_lo:[0,0,1] neg_hi:[0,0,1]
	s_set_vgpr_msb 4                        ;  msbs: dst=0 src0=0 src1=1 src2=0
	v_mul_i32_i24_e32 v10, v61, v48 /*v304*/
	v_mul_i32_i24_e32 v11, v67, v49 /*v305*/
	s_set_vgpr_msb 0                        ;  msbs: dst=0 src0=0 src1=0 src2=0
	v_pk_add_f32 v[50:51], v[50:51], v[0:1]
	s_set_vgpr_msb 4                        ;  msbs: dst=0 src0=0 src1=1 src2=0
	v_mul_i32_i24_e32 v0, v52, v43 /*v299*/
	v_mul_i32_i24_e32 v1, v54, v44 /*v300*/
	s_delay_alu instid0(VALU_DEP_2) | instskip(SKIP_1) | instid1(VALU_DEP_1)
	v_mad_i32_i24 v0, v53, v42 /*v298*/, v0
	s_set_vgpr_msb 0                        ;  msbs: dst=0 src0=0 src1=0 src2=0
	v_add3_u32 v0, v0, v1, v4
	s_set_vgpr_msb 4                        ;  msbs: dst=0 src0=0 src1=1 src2=0
	v_mul_i32_i24_e32 v1, v56, v46 /*v302*/
	v_mul_i32_i24_e32 v4, v58, v47 /*v303*/
	s_set_vgpr_msb 0                        ;  msbs: dst=0 src0=0 src1=0 src2=0
	s_delay_alu instid0(VALU_DEP_1)
	v_add3_u32 v0, v0, v1, v4
	s_set_vgpr_msb 5                        ;  msbs: dst=0 src0=1 src1=1 src2=0
	v_mul_i32_i24_e32 v1, v200 /*v456*/, v72 /*v328*/
	v_mul_i32_i24_e32 v4, v222 /*v478*/, v69 /*v325*/
	s_set_vgpr_msb 0                        ;  msbs: dst=0 src0=0 src1=0 src2=0
	v_add3_u32 v0, v0, v10, v11
	s_set_vgpr_msb 5                        ;  msbs: dst=0 src0=1 src1=1 src2=0
	v_mul_i32_i24_e32 v10, v221 /*v477*/, v75 /*v331*/
	v_mad_i32_i24 v1, v220 /*v476*/, v71 /*v327*/, v1
	v_mul_i32_i24_e32 v11, v226 /*v482*/, v73 /*v329*/
	s_set_vgpr_msb 0                        ;  msbs: dst=0 src0=0 src1=0 src2=0
	v_add3_u32 v0, v0, v12, v13
	s_set_vgpr_msb 5                        ;  msbs: dst=0 src0=1 src1=1 src2=0
	v_mul_i32_i24_e32 v12, v176 /*v432*/, v80 /*v336*/
	s_set_vgpr_msb 0                        ;  msbs: dst=0 src0=0 src1=0 src2=0
	v_add3_u32 v1, v1, v4, v10
	s_set_vgpr_msb 5                        ;  msbs: dst=0 src0=1 src1=1 src2=0
	v_mul_i32_i24_e32 v4, v201 /*v457*/, v77 /*v333*/
	v_mul_i32_i24_e32 v10, v166 /*v422*/, v78 /*v334*/
	s_set_vgpr_msb 0                        ;  msbs: dst=0 src0=0 src1=0 src2=0
	v_add3_u32 v0, v0, v14, v60
	s_set_vgpr_msb 5                        ;  msbs: dst=0 src0=1 src1=1 src2=0
	v_mul_i32_i24_e32 v13, v202 /*v458*/, v81 /*v337*/
	v_mul_i32_i24_e32 v14, v218 /*v474*/, v82 /*v338*/
	;; [unrolled: 1-line block ×3, first 2 shown]
	s_set_vgpr_msb 0                        ;  msbs: dst=0 src0=0 src1=0 src2=0
	v_add3_u32 v1, v1, v4, v10
	v_add3_u32 v0, v0, v62, v64
	s_set_vgpr_msb 5                        ;  msbs: dst=0 src0=1 src1=1 src2=0
	v_mul_i32_i24_e32 v62, v231 /*v487*/, v84 /*v340*/
	v_mul_i32_i24_e32 v64, v203 /*v459*/, v85 /*v341*/
	;; [unrolled: 1-line block ×3, first 2 shown]
	s_set_vgpr_msb 0                        ;  msbs: dst=0 src0=0 src1=0 src2=0
	v_add3_u32 v1, v1, v11, v12
	v_add3_u32 v0, v0, v66, v133
	s_set_vgpr_msb 5                        ;  msbs: dst=0 src0=1 src1=1 src2=0
	v_mul_i32_i24_e32 v66, v219 /*v475*/, v86 /*v342*/
	v_mul_i32_i24_e32 v133, v238 /*v494*/, v83 /*v339*/
	s_set_vgpr_msb 1                        ;  msbs: dst=0 src0=1 src1=0 src2=0
	v_mul_i32_i24_e32 v11, v40 /*v296*/, v7
	s_set_vgpr_msb 0                        ;  msbs: dst=0 src0=0 src1=0 src2=0
	v_add3_u32 v1, v1, v13, v14
	s_set_vgpr_msb 20                       ;  msbs: dst=0 src0=0 src1=1 src2=1
	v_add3_u32 v0, v0, v167 /*v423*/, v170 /*v426*/
	s_set_vgpr_msb 0x45                     ;  msbs: dst=1 src0=1 src1=1 src2=0
	v_mul_i32_i24_e32 v167 /*v423*/, v237 /*v493*/, v87 /*v343*/
	v_mul_i32_i24_e32 v170 /*v426*/, v173 /*v429*/, v88 /*v344*/
	s_set_vgpr_msb 5                        ;  msbs: dst=0 src0=1 src1=1 src2=0
	v_mul_i32_i24_e32 v12, v40 /*v296*/, v199 /*v455*/
	s_set_vgpr_msb 0                        ;  msbs: dst=0 src0=0 src1=0 src2=0
	v_add3_u32 v1, v1, v60, v62
	s_set_vgpr_msb 20                       ;  msbs: dst=0 src0=0 src1=1 src2=1
	v_add3_u32 v0, v0, v171 /*v427*/, v204 /*v460*/
	s_set_vgpr_msb 0x44                     ;  msbs: dst=1 src0=0 src1=1 src2=0
	v_mul_i32_i24_e32 v171 /*v427*/, v36, v89 /*v345*/
	s_set_vgpr_msb 0x45                     ;  msbs: dst=1 src0=1 src1=1 src2=0
	v_mul_i32_i24_e32 v204 /*v460*/, v169 /*v425*/, v91 /*v347*/
	s_set_vgpr_msb 4                        ;  msbs: dst=0 src0=0 src1=1 src2=0
	v_mul_i32_i24_e32 v13, v157, v250 /*v506*/
	s_set_vgpr_msb 0                        ;  msbs: dst=0 src0=0 src1=0 src2=0
	v_add3_u32 v1, v1, v64, v66
	s_set_vgpr_msb 20                       ;  msbs: dst=0 src0=0 src1=1 src2=1
	v_add3_u32 v0, v0, v217 /*v473*/, v223 /*v479*/
	s_set_vgpr_msb 0x45                     ;  msbs: dst=1 src0=1 src1=1 src2=0
	v_mul_i32_i24_e32 v217 /*v473*/, v161 /*v417*/, v90 /*v346*/
	v_mul_i32_i24_e32 v223 /*v479*/, v205 /*v461*/, v92 /*v348*/
	s_set_vgpr_msb 4                        ;  msbs: dst=0 src0=0 src1=1 src2=0
	v_mul_i32_i24_e32 v14, v157, v251 /*v507*/
	s_set_vgpr_msb 16                       ;  msbs: dst=0 src0=0 src1=0 src2=1
	v_add3_u32 v1, v1, v133, v167 /*v423*/
	s_set_vgpr_msb 20                       ;  msbs: dst=0 src0=0 src1=1 src2=1
	v_add3_u32 v0, v0, v224 /*v480*/, v225 /*v481*/
	s_set_vgpr_msb 0x45                     ;  msbs: dst=1 src0=1 src1=1 src2=0
	v_mul_i32_i24_e32 v224 /*v480*/, v241 /*v497*/, v93 /*v349*/
	v_mul_i32_i24_e32 v225 /*v481*/, v172 /*v428*/, v95 /*v351*/
	s_set_vgpr_msb 20                       ;  msbs: dst=0 src0=0 src1=1 src2=1
	v_mul_i32_i24_e32 v60, v119, v207 /*v463*/
	v_add3_u32 v1, v1, v170 /*v426*/, v171 /*v427*/
	v_add3_u32 v0, v0, v227 /*v483*/, v228 /*v484*/
	s_set_vgpr_msb 0x45                     ;  msbs: dst=1 src0=1 src1=1 src2=0
	v_mul_i32_i24_e32 v227 /*v483*/, v160 /*v416*/, v94 /*v350*/
	v_mul_i32_i24_e32 v228 /*v484*/, v206 /*v462*/, v96 /*v352*/
	s_set_vgpr_msb 0                        ;  msbs: dst=0 src0=0 src1=0 src2=0
	v_mul_i32_i24_e32 v62, v119, v3
	s_set_vgpr_msb 20                       ;  msbs: dst=0 src0=0 src1=1 src2=1
	v_add3_u32 v1, v1, v204 /*v460*/, v217 /*v473*/
	v_add3_u32 v0, v0, v229 /*v485*/, v230 /*v486*/
	s_set_vgpr_msb 0x45                     ;  msbs: dst=1 src0=1 src1=1 src2=0
	v_mul_i32_i24_e32 v229 /*v485*/, v247 /*v503*/, v97 /*v353*/
	v_mul_i32_i24_e32 v230 /*v486*/, v168 /*v424*/, v99 /*v355*/
	s_set_vgpr_msb 1                        ;  msbs: dst=0 src0=1 src1=0 src2=0
	v_mul_i32_i24_e32 v64, v191 /*v447*/, v243
	s_set_vgpr_msb 20                       ;  msbs: dst=0 src0=0 src1=1 src2=1
	v_add3_u32 v1, v1, v223 /*v479*/, v224 /*v480*/
	v_add3_u32 v0, v0, v233 /*v489*/, v234 /*v490*/
	s_set_vgpr_msb 1                        ;  msbs: dst=0 src0=1 src1=0 src2=0
	v_mul_i32_i24_e32 v66, v192 /*v448*/, v244
	v_mul_i32_i24_e32 v133, v193 /*v449*/, v245
	s_set_vgpr_msb 0x41                     ;  msbs: dst=1 src0=1 src1=0 src2=0
	v_mul_i32_i24_e32 v167 /*v423*/, v194 /*v450*/, v246
	s_set_vgpr_msb 20                       ;  msbs: dst=0 src0=0 src1=1 src2=1
	v_add3_u32 v1, v1, v225 /*v481*/, v227 /*v483*/
	s_set_vgpr_msb 0                        ;  msbs: dst=0 src0=0 src1=0 src2=0
	v_add3_u32 v0, v0, v4, v12
	s_set_vgpr_msb 1                        ;  msbs: dst=0 src0=1 src1=0 src2=0
	v_mul_i32_i24_e32 v12, v249 /*v505*/, v158
	s_set_vgpr_msb 0x44                     ;  msbs: dst=1 src0=0 src1=1 src2=0
	v_mul_i32_i24_e32 v170 /*v426*/, v248, v195 /*v451*/
	v_mul_i32_i24_e32 v171 /*v427*/, v247, v196 /*v452*/
	s_set_vgpr_msb 20                       ;  msbs: dst=0 src0=0 src1=1 src2=1
	v_add3_u32 v1, v1, v228 /*v484*/, v229 /*v485*/
	v_mul_lo_u32 v0, v0, v39 /*v295*/
	s_set_vgpr_msb 0x44                     ;  msbs: dst=1 src0=0 src1=1 src2=0
	v_mul_i32_i24_e32 v204 /*v460*/, v254, v211 /*v467*/
	v_mul_i32_i24_e32 v217 /*v473*/, v253, v212 /*v468*/
	s_set_vgpr_msb 0x45                     ;  msbs: dst=1 src0=1 src1=1 src2=0
	v_mul_i32_i24_e32 v223 /*v479*/, v1 /*v257*/, v213 /*v469*/
	s_set_vgpr_msb 20                       ;  msbs: dst=0 src0=0 src1=1 src2=1
	v_add3_u32 v10, v1, v230 /*v486*/, v235 /*v491*/
	v_mul_i32_i24_e32 v1, v6, v41 /*v297*/
	s_set_vgpr_msb 0x44                     ;  msbs: dst=1 src0=0 src1=1 src2=0
	v_mul_i32_i24_e32 v224 /*v480*/, v255, v198 /*v454*/
	s_set_vgpr_msb 0x45                     ;  msbs: dst=1 src0=1 src1=1 src2=0
	v_mul_i32_i24_e32 v225 /*v481*/, v214 /*v470*/, v5 /*v261*/
	v_mul_i32_i24_e32 v227 /*v483*/, v215 /*v471*/, v7 /*v263*/
	s_set_vgpr_msb 4                        ;  msbs: dst=0 src0=0 src1=1 src2=0
	v_add3_u32 v10, v10, v236 /*v492*/, v12
	s_set_vgpr_msb 0                        ;  msbs: dst=0 src0=0 src1=0 src2=0
	v_add3_u32 v1, v5, v1, v11
	v_mul_i32_i24_e32 v11, v2, v158
	s_set_vgpr_msb 0x44                     ;  msbs: dst=1 src0=0 src1=1 src2=0
	v_mul_i32_i24_e32 v228 /*v484*/, v15, v29 /*v285*/
	s_set_vgpr_msb 0x45                     ;  msbs: dst=1 src0=1 src1=1 src2=0
	v_mul_i32_i24_e32 v229 /*v485*/, v248 /*v504*/, v31 /*v287*/
	s_set_vgpr_msb 0                        ;  msbs: dst=0 src0=0 src1=0 src2=0
	v_add3_u32 v10, v10, v13, v60
	s_set_vgpr_msb 4                        ;  msbs: dst=0 src0=0 src1=1 src2=0
	v_mul_lo_u32 v4, v1, v39 /*v295*/
	s_set_vgpr_msb 5                        ;  msbs: dst=0 src0=1 src1=1 src2=0
	v_add3_u32 v11, v180 /*v436*/, v179 /*v435*/, v11
	s_set_vgpr_msb 0                        ;  msbs: dst=0 src0=0 src1=0 src2=0
	v_cvt_f32_i32_e32 v1, v0
	v_mul_i32_i24_e32 v13, v82, v239
	v_mul_lo_u32 v12, v10, v159
	v_mul_i32_i24_e32 v60, v86, v241
	v_add3_u32 v11, v11, v14, v62
	v_mul_i32_i24_e32 v14, v84, v240
	v_mul_i32_i24_e32 v62, v92, v242
	s_set_vgpr_msb 0x44                     ;  msbs: dst=1 src0=0 src1=1 src2=0
	v_mul_i32_i24_e32 v179 /*v435*/, v252, v210 /*v466*/
	v_mul_i32_i24_e32 v180 /*v436*/, v251, v197 /*v453*/
	s_set_vgpr_msb 0                        ;  msbs: dst=0 src0=0 src1=0 src2=0
	v_mul_lo_u32 v10, v11, v159
	v_cvt_f32_i32_e32 v0, v4
	s_set_vgpr_msb 4                        ;  msbs: dst=0 src0=0 src1=1 src2=0
	v_pk_fma_f32 v[4:5], v[124:125], v[164:165] /*v[420:421]*/, 0 op_sel_hi:[0,1,0]
	s_set_vgpr_msb 0                        ;  msbs: dst=0 src0=0 src1=0 src2=0
	v_mul_i32_i24_e32 v15, v15, v223
	v_cvt_f32_i32_e32 v11, v12
	v_mul_i32_i24_e32 v12, v71, v238
	s_set_vgpr_msb 1                        ;  msbs: dst=0 src0=1 src1=0 src2=0
	v_pk_fma_f32 v[0:1], v[162:163] /*v[418:419]*/, v[0:1], 0 op_sel_hi:[1,1,0]
	s_set_vgpr_msb 0                        ;  msbs: dst=0 src0=0 src1=0 src2=0
	v_pk_fma_f32 v[4:5], v[118:119], v[8:9], v[4:5] op_sel_hi:[0,1,1]
	v_cvt_f32_i32_e32 v10, v10
	s_delay_alu instid0(VALU_DEP_2) | instskip(SKIP_1) | instid1(VALU_DEP_2)
	v_pk_mul_f32 v[4:5], v[4:5], v[104:105]
	s_set_vgpr_msb 1                        ;  msbs: dst=0 src0=1 src1=0 src2=0
	v_pk_fma_f32 v[0:1], v[174:175] /*v[430:431]*/, v[10:11], v[0:1]
	s_set_vgpr_msb 0                        ;  msbs: dst=0 src0=0 src1=0 src2=0
	v_mul_i32_i24_e32 v10, v67, v236
	v_mul_i32_i24_e32 v11, v69, v237
	s_delay_alu instid0(VALU_DEP_3) | instskip(SKIP_2) | instid1(VALU_DEP_3)
	v_pk_fma_f32 v[0:1], v[0:1], v[96:97], v[4:5] neg_lo:[0,0,1] neg_hi:[0,0,1]
	v_mul_i32_i24_e32 v4, v55, v232
	v_mul_i32_i24_e32 v5, v61, v235
	v_pk_add_f32 v[48:49], v[48:49], v[0:1]
	v_mul_i32_i24_e32 v0, v52, v230
	v_mul_i32_i24_e32 v1, v54, v231
	s_delay_alu instid0(VALU_DEP_2) | instskip(NEXT) | instid1(VALU_DEP_1)
	v_mad_i32_i24 v0, v53, v229, v0
	v_add3_u32 v0, v0, v1, v4
	v_mul_i32_i24_e32 v1, v56, v233
	v_mul_i32_i24_e32 v4, v58, v234
	s_delay_alu instid0(VALU_DEP_1)
	v_add3_u32 v0, v0, v1, v4
	s_set_vgpr_msb 5                        ;  msbs: dst=0 src0=1 src1=1 src2=0
	v_mul_i32_i24_e32 v1, v200 /*v456*/, v3 /*v259*/
	v_mul_i32_i24_e32 v4, v222 /*v478*/, v0 /*v256*/
	s_set_vgpr_msb 0                        ;  msbs: dst=0 src0=0 src1=0 src2=0
	v_add3_u32 v0, v0, v5, v10
	s_set_vgpr_msb 5                        ;  msbs: dst=0 src0=1 src1=1 src2=0
	v_mul_i32_i24_e32 v5, v221 /*v477*/, v6 /*v262*/
	v_mad_i32_i24 v1, v220 /*v476*/, v2 /*v258*/, v1
	v_mul_i32_i24_e32 v10, v226 /*v482*/, v4 /*v260*/
	s_set_vgpr_msb 0                        ;  msbs: dst=0 src0=0 src1=0 src2=0
	v_add3_u32 v0, v0, v11, v12
	s_set_vgpr_msb 5                        ;  msbs: dst=0 src0=1 src1=1 src2=0
	v_mul_i32_i24_e32 v11, v176 /*v432*/, v11 /*v267*/
	s_set_vgpr_msb 0                        ;  msbs: dst=0 src0=0 src1=0 src2=0
	v_add3_u32 v1, v1, v4, v5
	s_set_vgpr_msb 5                        ;  msbs: dst=0 src0=1 src1=1 src2=0
	v_mul_i32_i24_e32 v4, v201 /*v457*/, v8 /*v264*/
	v_mul_i32_i24_e32 v5, v166 /*v422*/, v9 /*v265*/
	s_set_vgpr_msb 0                        ;  msbs: dst=0 src0=0 src1=0 src2=0
	v_add3_u32 v0, v0, v13, v14
	s_set_vgpr_msb 5                        ;  msbs: dst=0 src0=1 src1=1 src2=0
	v_mul_i32_i24_e32 v12, v202 /*v458*/, v12 /*v268*/
	v_mul_i32_i24_e32 v13, v218 /*v474*/, v13 /*v269*/
	;; [unrolled: 1-line block ×3, first 2 shown]
	s_set_vgpr_msb 0                        ;  msbs: dst=0 src0=0 src1=0 src2=0
	v_add3_u32 v1, v1, v4, v5
	v_add3_u32 v0, v0, v60, v62
	s_set_vgpr_msb 5                        ;  msbs: dst=0 src0=1 src1=1 src2=0
	v_mul_i32_i24_e32 v60, v231 /*v487*/, v15 /*v271*/
	v_mul_i32_i24_e32 v62, v203 /*v459*/, v16 /*v272*/
	s_set_vgpr_msb 1                        ;  msbs: dst=0 src0=1 src1=0 src2=0
	v_mul_i32_i24_e32 v4, v216 /*v472*/, v228
	s_set_vgpr_msb 0                        ;  msbs: dst=0 src0=0 src1=0 src2=0
	v_add3_u32 v1, v1, v10, v11
	v_add3_u32 v0, v0, v64, v66
	s_set_vgpr_msb 5                        ;  msbs: dst=0 src0=1 src1=1 src2=0
	v_mul_i32_i24_e32 v64, v219 /*v475*/, v17 /*v273*/
	v_mul_i32_i24_e32 v66, v238 /*v494*/, v14 /*v270*/
	s_set_vgpr_msb 0                        ;  msbs: dst=0 src0=0 src1=0 src2=0
	v_mul_i32_i24_e32 v5, v227, v7
	v_add3_u32 v1, v1, v12, v13
	s_set_vgpr_msb 16                       ;  msbs: dst=0 src0=0 src1=0 src2=1
	v_add3_u32 v0, v0, v133, v167 /*v423*/
	s_set_vgpr_msb 5                        ;  msbs: dst=0 src0=1 src1=1 src2=0
	v_mul_i32_i24_e32 v133, v237 /*v493*/, v18 /*v274*/
	s_set_vgpr_msb 0x45                     ;  msbs: dst=1 src0=1 src1=1 src2=0
	v_mul_i32_i24_e32 v167 /*v423*/, v173 /*v429*/, v19 /*v275*/
	s_set_vgpr_msb 4                        ;  msbs: dst=0 src0=0 src1=1 src2=0
	v_mul_i32_i24_e32 v11, v227, v199 /*v455*/
	s_set_vgpr_msb 0                        ;  msbs: dst=0 src0=0 src1=0 src2=0
	v_add3_u32 v1, v1, v14, v60
	s_set_vgpr_msb 20                       ;  msbs: dst=0 src0=0 src1=1 src2=1
	v_add3_u32 v0, v0, v170 /*v426*/, v171 /*v427*/
	s_set_vgpr_msb 0x44                     ;  msbs: dst=1 src0=0 src1=1 src2=0
	v_mul_i32_i24_e32 v170 /*v426*/, v36, v20 /*v276*/
	s_set_vgpr_msb 0x45                     ;  msbs: dst=1 src0=1 src1=1 src2=0
	v_mul_i32_i24_e32 v171 /*v427*/, v169 /*v425*/, v22 /*v278*/
	s_set_vgpr_msb 21                       ;  msbs: dst=0 src0=1 src1=1 src2=1
	v_add3_u32 v12, v181 /*v437*/, v183 /*v439*/, v182 /*v438*/
	s_set_vgpr_msb 0                        ;  msbs: dst=0 src0=0 src1=0 src2=0
	v_add3_u32 v1, v1, v62, v64
	s_set_vgpr_msb 20                       ;  msbs: dst=0 src0=0 src1=1 src2=1
	v_add3_u32 v0, v0, v177 /*v433*/, v178 /*v434*/
	s_set_vgpr_msb 0x45                     ;  msbs: dst=1 src0=1 src1=1 src2=0
	v_mul_i32_i24_e32 v177 /*v433*/, v161 /*v417*/, v21 /*v277*/
	v_mul_i32_i24_e32 v178 /*v434*/, v205 /*v461*/, v23 /*v279*/
	s_set_vgpr_msb 4                        ;  msbs: dst=0 src0=0 src1=1 src2=0
	v_mul_i32_i24_e32 v13, v113, v250 /*v506*/
	s_set_vgpr_msb 0                        ;  msbs: dst=0 src0=0 src1=0 src2=0
	v_add3_u32 v1, v1, v66, v133
	s_set_vgpr_msb 20                       ;  msbs: dst=0 src0=0 src1=1 src2=1
	v_add3_u32 v0, v0, v179 /*v435*/, v180 /*v436*/
	s_set_vgpr_msb 0x45                     ;  msbs: dst=1 src0=1 src1=1 src2=0
	v_mul_i32_i24_e32 v179 /*v435*/, v241 /*v497*/, v24 /*v280*/
	v_mul_i32_i24_e32 v180 /*v436*/, v172 /*v428*/, v26 /*v282*/
	s_set_vgpr_msb 20                       ;  msbs: dst=0 src0=0 src1=1 src2=1
	v_mul_i32_i24_e32 v14, v113, v251 /*v507*/
	v_add3_u32 v1, v1, v167 /*v423*/, v170 /*v426*/
	v_add3_u32 v0, v0, v204 /*v460*/, v217 /*v473*/
	s_set_vgpr_msb 0x45                     ;  msbs: dst=1 src0=1 src1=1 src2=0
	v_mul_i32_i24_e32 v204 /*v460*/, v160 /*v416*/, v25 /*v281*/
	v_mul_i32_i24_e32 v217 /*v473*/, v206 /*v462*/, v27 /*v283*/
	s_set_vgpr_msb 20                       ;  msbs: dst=0 src0=0 src1=1 src2=1
	v_mul_i32_i24_e32 v60, v111, v207 /*v463*/
	v_add3_u32 v1, v1, v171 /*v427*/, v177 /*v433*/
	v_add3_u32 v0, v0, v223 /*v479*/, v224 /*v480*/
	s_set_vgpr_msb 0x45                     ;  msbs: dst=1 src0=1 src1=1 src2=0
	v_mul_i32_i24_e32 v223 /*v479*/, v247 /*v503*/, v28 /*v284*/
	v_mul_i32_i24_e32 v224 /*v480*/, v168 /*v424*/, v30 /*v286*/
	s_set_vgpr_msb 0                        ;  msbs: dst=0 src0=0 src1=0 src2=0
	v_mul_i32_i24_e32 v62, v111, v3
	s_set_vgpr_msb 20                       ;  msbs: dst=0 src0=0 src1=1 src2=1
	v_add3_u32 v1, v1, v178 /*v434*/, v179 /*v435*/
	v_add3_u32 v0, v0, v225 /*v481*/, v227 /*v483*/
	s_set_vgpr_msb 0                        ;  msbs: dst=0 src0=0 src1=0 src2=0
	v_mul_i32_i24_e32 v36, v36, v214
	s_set_vgpr_msb 20                       ;  msbs: dst=0 src0=0 src1=1 src2=1
	v_mul_i32_i24_e32 v64, v187, v209 /*v465*/
	v_mul_i32_i24_e32 v66, v190, v210 /*v466*/
	v_add3_u32 v1, v1, v180 /*v436*/, v204 /*v460*/
	s_set_vgpr_msb 0                        ;  msbs: dst=0 src0=0 src1=0 src2=0
	v_add3_u32 v0, v0, v4, v11
	v_mul_i32_i24_e32 v11, v2, v115
	v_mul_i32_i24_e32 v2, v2, v162
	v_mul_i32_i24_e32 v3, v160, v3
	s_set_vgpr_msb 20                       ;  msbs: dst=0 src0=0 src1=1 src2=1
	v_add3_u32 v1, v1, v217 /*v473*/, v223 /*v479*/
	s_set_vgpr_msb 0                        ;  msbs: dst=0 src0=0 src1=0 src2=0
	v_mul_lo_u32 v0, v0, v226
	s_set_vgpr_msb 5                        ;  msbs: dst=0 src0=1 src1=1 src2=0
	v_add3_u32 v11, v185 /*v441*/, v184 /*v440*/, v11
	v_add3_u32 v2, v190 /*v446*/, v189 /*v445*/, v2
	s_set_vgpr_msb 20                       ;  msbs: dst=0 src0=0 src1=1 src2=1
	v_add3_u32 v10, v1, v224 /*v480*/, v228 /*v484*/
	s_set_vgpr_msb 0                        ;  msbs: dst=0 src0=0 src1=0 src2=0
	v_mul_i32_i24_e32 v1, v6, v228
	v_add3_u32 v11, v11, v14, v62
	v_mul_i32_i24_e32 v14, v84, v178
	s_set_vgpr_msb 4                        ;  msbs: dst=0 src0=0 src1=1 src2=0
	v_mul_i32_i24_e32 v62, v188, v208 /*v464*/
	v_mul_i32_i24_e32 v84, v193, v198 /*v454*/
	s_set_vgpr_msb 0                        ;  msbs: dst=0 src0=0 src1=0 src2=0
	v_add3_u32 v1, v12, v1, v5
	s_set_vgpr_msb 1                        ;  msbs: dst=0 src0=1 src1=0 src2=0
	v_mul_i32_i24_e32 v12, v249 /*v505*/, v115
	s_set_vgpr_msb 0                        ;  msbs: dst=0 src0=0 src1=0 src2=0
	s_delay_alu instid0(VALU_DEP_2) | instskip(SKIP_1) | instid1(VALU_DEP_2)
	v_mul_lo_u32 v4, v1, v226
	s_set_vgpr_msb 4                        ;  msbs: dst=0 src0=0 src1=1 src2=0
	v_add3_u32 v10, v10, v229 /*v485*/, v12
	v_cvt_f32_i32_e32 v1, v0
	s_set_vgpr_msb 0                        ;  msbs: dst=0 src0=0 src1=0 src2=0
	s_delay_alu instid0(VALU_DEP_2)
	v_add3_u32 v10, v10, v13, v60
	v_mul_i32_i24_e32 v13, v82, v177
	s_set_vgpr_msb 4                        ;  msbs: dst=0 src0=0 src1=1 src2=0
	v_mul_i32_i24_e32 v60, v186, v195 /*v451*/
	v_mul_i32_i24_e32 v82, v195, v213 /*v469*/
	s_set_vgpr_msb 0                        ;  msbs: dst=0 src0=0 src1=0 src2=0
	v_mul_lo_u32 v12, v10, v117
	v_mul_lo_u32 v10, v11, v117
	v_cvt_f32_i32_e32 v0, v4
	s_set_vgpr_msb 4                        ;  msbs: dst=0 src0=0 src1=1 src2=0
	v_pk_fma_f32 v[4:5], v[110:111], v[164:165] /*v[420:421]*/, 0 op_sel_hi:[0,1,0]
	s_set_vgpr_msb 1                        ;  msbs: dst=0 src0=1 src1=0 src2=0
	s_delay_alu instid0(VALU_DEP_2) | instskip(SKIP_1) | instid1(VALU_DEP_2)
	v_pk_fma_f32 v[0:1], v[162:163] /*v[418:419]*/, v[0:1], 0 op_sel_hi:[1,1,0]
	s_set_vgpr_msb 0                        ;  msbs: dst=0 src0=0 src1=0 src2=0
	v_pk_fma_f32 v[4:5], v[112:113], v[8:9], v[4:5] op_sel_hi:[0,1,1]
	v_cvt_f32_i32_e32 v11, v12
	v_cvt_f32_i32_e32 v10, v10
	s_delay_alu instid0(VALU_DEP_3)
	v_pk_mul_f32 v[4:5], v[4:5], v[106:107]
	v_mul_i32_i24_e32 v12, v71, v176
	s_set_vgpr_msb 4                        ;  msbs: dst=0 src0=0 src1=1 src2=0
	v_mul_i32_i24_e32 v71, v191, v212 /*v468*/
	s_set_vgpr_msb 1                        ;  msbs: dst=0 src0=1 src1=0 src2=0
	v_pk_fma_f32 v[0:1], v[174:175] /*v[430:431]*/, v[10:11], v[0:1]
	s_set_vgpr_msb 0                        ;  msbs: dst=0 src0=0 src1=0 src2=0
	v_mul_i32_i24_e32 v10, v67, v174
	v_mul_i32_i24_e32 v11, v69, v175
	s_set_vgpr_msb 4                        ;  msbs: dst=0 src0=0 src1=1 src2=0
	v_mul_i32_i24_e32 v67, v189, v197 /*v453*/
	v_mul_i32_i24_e32 v69, v192, v211 /*v467*/
	s_set_vgpr_msb 0                        ;  msbs: dst=0 src0=0 src1=0 src2=0
	v_pk_fma_f32 v[0:1], v[0:1], v[98:99], v[4:5] neg_lo:[0,0,1] neg_hi:[0,0,1]
	v_mul_i32_i24_e32 v4, v55, v170
	v_mul_i32_i24_e32 v5, v61, v173
	s_set_vgpr_msb 1                        ;  msbs: dst=0 src0=1 src1=0 src2=0
	v_mul_i32_i24_e32 v55, v192 /*v448*/, v182
	s_set_vgpr_msb 4                        ;  msbs: dst=0 src0=0 src1=1 src2=0
	v_mul_i32_i24_e32 v61, v185, v196 /*v452*/
	s_set_vgpr_msb 0                        ;  msbs: dst=0 src0=0 src1=0 src2=0
	v_pk_add_f32 v[46:47], v[46:47], v[0:1]
	v_mul_i32_i24_e32 v0, v52, v168
	v_mul_i32_i24_e32 v1, v54, v169
	;; [unrolled: 1-line block ×3, first 2 shown]
	s_set_vgpr_msb 1                        ;  msbs: dst=0 src0=1 src1=0 src2=0
	v_mul_i32_i24_e32 v54, v191 /*v447*/, v181
	v_mul_i32_i24_e32 v86, v214 /*v470*/, v199
	s_set_vgpr_msb 0                        ;  msbs: dst=0 src0=0 src1=0 src2=0
	v_mad_i32_i24 v0, v53, v167, v0
	v_mul_i32_i24_e32 v53, v92, v180
	s_set_vgpr_msb 1                        ;  msbs: dst=0 src0=1 src1=0 src2=0
	v_mul_i32_i24_e32 v92, v215 /*v471*/, v201
	s_set_vgpr_msb 0                        ;  msbs: dst=0 src0=0 src1=0 src2=0
	v_add3_u32 v0, v0, v1, v4
	v_mul_i32_i24_e32 v1, v56, v171
	v_mul_i32_i24_e32 v4, v58, v172
	s_set_vgpr_msb 1                        ;  msbs: dst=0 src0=1 src1=0 src2=0
	v_mul_i32_i24_e32 v56, v193 /*v449*/, v183
	v_mul_i32_i24_e32 v58, v194 /*v450*/, v184
	s_set_vgpr_msb 0                        ;  msbs: dst=0 src0=0 src1=0 src2=0
	v_add3_u32 v0, v0, v1, v4
	s_set_vgpr_msb 1                        ;  msbs: dst=0 src0=1 src1=0 src2=0
	v_mul_i32_i24_e32 v1, v200 /*v456*/, v197
	v_mul_i32_i24_e32 v4, v222 /*v478*/, v194
	s_set_vgpr_msb 0                        ;  msbs: dst=0 src0=0 src1=0 src2=0
	v_add3_u32 v0, v0, v5, v10
	s_set_vgpr_msb 1                        ;  msbs: dst=0 src0=1 src1=0 src2=0
	v_mul_i32_i24_e32 v5, v221 /*v477*/, v200
	v_mad_i32_i24 v1, v220 /*v476*/, v196, v1
	v_mul_i32_i24_e32 v10, v226 /*v482*/, v198
	s_set_vgpr_msb 0                        ;  msbs: dst=0 src0=0 src1=0 src2=0
	v_add3_u32 v0, v0, v11, v12
	s_set_vgpr_msb 1                        ;  msbs: dst=0 src0=1 src1=0 src2=0
	v_mul_i32_i24_e32 v11, v176 /*v432*/, v205
	s_set_vgpr_msb 0                        ;  msbs: dst=0 src0=0 src1=0 src2=0
	v_add3_u32 v1, v1, v4, v5
	s_set_vgpr_msb 1                        ;  msbs: dst=0 src0=1 src1=0 src2=0
	v_mul_i32_i24_e32 v4, v201 /*v457*/, v202
	v_mul_i32_i24_e32 v5, v166 /*v422*/, v203
	s_set_vgpr_msb 0                        ;  msbs: dst=0 src0=0 src1=0 src2=0
	v_add3_u32 v0, v0, v13, v14
	s_set_vgpr_msb 1                        ;  msbs: dst=0 src0=1 src1=0 src2=0
	v_mul_i32_i24_e32 v12, v202 /*v458*/, v206
	v_mul_i32_i24_e32 v13, v218 /*v474*/, v207
	;; [unrolled: 1-line block ×3, first 2 shown]
	s_set_vgpr_msb 0                        ;  msbs: dst=0 src0=0 src1=0 src2=0
	v_add3_u32 v1, v1, v4, v5
	v_add3_u32 v0, v0, v52, v53
	s_set_vgpr_msb 1                        ;  msbs: dst=0 src0=1 src1=0 src2=0
	v_mul_i32_i24_e32 v52, v231 /*v487*/, v209
	v_mul_i32_i24_e32 v53, v203 /*v459*/, v210
	;; [unrolled: 1-line block ×3, first 2 shown]
	s_set_vgpr_msb 0                        ;  msbs: dst=0 src0=0 src1=0 src2=0
	v_add3_u32 v1, v1, v10, v11
	v_add3_u32 v0, v0, v54, v55
	s_set_vgpr_msb 1                        ;  msbs: dst=0 src0=1 src1=0 src2=0
	v_mul_i32_i24_e32 v54, v219 /*v475*/, v211
	v_mul_i32_i24_e32 v55, v238 /*v494*/, v208
	s_set_vgpr_msb 0                        ;  msbs: dst=0 src0=0 src1=0 src2=0
	v_mul_i32_i24_e32 v5, v165, v7
	v_add3_u32 v1, v1, v12, v13
	v_add3_u32 v0, v0, v56, v58
	s_set_vgpr_msb 1                        ;  msbs: dst=0 src0=1 src1=0 src2=0
	v_mul_i32_i24_e32 v56, v237 /*v493*/, v212
	v_mul_i32_i24_e32 v58, v173 /*v429*/, v213
	s_set_vgpr_msb 21                       ;  msbs: dst=0 src0=1 src1=1 src2=1
	v_add3_u32 v7, v186 /*v442*/, v188 /*v444*/, v187 /*v443*/
	s_set_vgpr_msb 0                        ;  msbs: dst=0 src0=0 src1=0 src2=0
	v_add3_u32 v1, v1, v14, v52
	v_add3_u32 v0, v0, v60, v61
	s_set_vgpr_msb 1                        ;  msbs: dst=0 src0=1 src1=0 src2=0
	v_mul_i32_i24_e32 v60, v169 /*v425*/, v216
	v_mul_i32_i24_e32 v61, v161 /*v417*/, v215
	s_set_vgpr_msb 4                        ;  msbs: dst=0 src0=0 src1=1 src2=0
	v_mul_i32_i24_e32 v11, v161, v251 /*v507*/
	s_set_vgpr_msb 0                        ;  msbs: dst=0 src0=0 src1=0 src2=0
	v_add3_u32 v1, v1, v53, v54
	v_add3_u32 v0, v0, v62, v64
	s_set_vgpr_msb 1                        ;  msbs: dst=0 src0=1 src1=0 src2=0
	v_mul_i32_i24_e32 v62, v205 /*v461*/, v217
	v_mul_i32_i24_e32 v64, v241 /*v497*/, v218
	s_set_vgpr_msb 4                        ;  msbs: dst=0 src0=0 src1=1 src2=0
	v_mul_i32_i24_e32 v12, v160, v207 /*v463*/
	s_set_vgpr_msb 0                        ;  msbs: dst=0 src0=0 src1=0 src2=0
	v_add3_u32 v1, v1, v55, v56
	v_add3_u32 v0, v0, v66, v67
	s_set_vgpr_msb 1                        ;  msbs: dst=0 src0=1 src1=0 src2=0
	v_mul_i32_i24_e32 v66, v172 /*v428*/, v220
	v_mul_i32_i24_e32 v67, v160 /*v416*/, v219
	s_set_vgpr_msb 0                        ;  msbs: dst=0 src0=0 src1=0 src2=0
	v_add3_u32 v2, v2, v11, v3
	v_add3_u32 v1, v1, v58, v36
	;; [unrolled: 1-line block ×3, first 2 shown]
	s_set_vgpr_msb 1                        ;  msbs: dst=0 src0=1 src1=0 src2=0
	v_mul_i32_i24_e32 v69, v206 /*v462*/, v221
	v_mul_i32_i24_e32 v71, v247 /*v503*/, v222
	s_set_vgpr_msb 0                        ;  msbs: dst=0 src0=0 src1=0 src2=0
	v_mul_lo_u32 v2, v2, v163
	v_add3_u32 v1, v1, v60, v61
	v_add3_u32 v0, v0, v82, v84
	s_set_vgpr_msb 1                        ;  msbs: dst=0 src0=1 src1=0 src2=0
	v_mul_i32_i24_e32 v82, v168 /*v424*/, v224
	v_mul_i32_i24_e32 v84, v248 /*v504*/, v225
	s_set_vgpr_msb 0                        ;  msbs: dst=0 src0=0 src1=0 src2=0
	v_add3_u32 v1, v1, v62, v64
	v_add3_u32 v0, v0, v86, v92
	s_delay_alu instid0(VALU_DEP_2) | instskip(SKIP_1) | instid1(VALU_DEP_2)
	v_add3_u32 v1, v1, v66, v67
	v_cvt_f32_i32_e32 v2, v2
	v_add3_u32 v1, v1, v69, v71
	s_delay_alu instid0(VALU_DEP_1) | instskip(SKIP_4) | instid1(VALU_DEP_2)
	v_add3_u32 v10, v1, v82, v15
	v_mul_i32_i24_e32 v1, v6, v166
	s_set_vgpr_msb 4                        ;  msbs: dst=0 src0=0 src1=1 src2=0
	v_mul_i32_i24_e32 v6, v165, v199 /*v455*/
	s_set_vgpr_msb 0                        ;  msbs: dst=0 src0=0 src1=0 src2=0
	v_add3_u32 v1, v7, v1, v5
	s_delay_alu instid0(VALU_DEP_2)
	v_add3_u32 v0, v0, v4, v6
	s_set_vgpr_msb 1                        ;  msbs: dst=0 src0=1 src1=0 src2=0
	v_mul_i32_i24_e32 v6, v249 /*v505*/, v162
	s_set_vgpr_msb 4                        ;  msbs: dst=0 src0=0 src1=1 src2=0
	v_mul_i32_i24_e32 v7, v161, v250 /*v506*/
	s_set_vgpr_msb 0                        ;  msbs: dst=0 src0=0 src1=0 src2=0
	v_mul_lo_u32 v4, v1, v164
	v_mul_lo_u32 v0, v0, v164
	v_add3_u32 v6, v10, v84, v6
	s_delay_alu instid0(VALU_DEP_1) | instskip(NEXT) | instid1(VALU_DEP_1)
	v_add3_u32 v3, v6, v7, v12
	v_mul_lo_u32 v3, v3, v163
	s_delay_alu instid0(VALU_DEP_4) | instskip(SKIP_4) | instid1(VALU_DEP_2)
	v_cvt_f32_i32_e32 v1, v0
	v_cvt_f32_i32_e32 v0, v4
	s_set_vgpr_msb 4                        ;  msbs: dst=0 src0=0 src1=1 src2=0
	v_pk_fma_f32 v[4:5], v[116:117], v[164:165] /*v[420:421]*/, 0 op_sel_hi:[0,1,0]
	s_set_vgpr_msb 1                        ;  msbs: dst=0 src0=1 src1=0 src2=0
	v_pk_fma_f32 v[0:1], v[162:163] /*v[418:419]*/, v[0:1], 0 op_sel_hi:[1,1,0]
	s_set_vgpr_msb 0                        ;  msbs: dst=0 src0=0 src1=0 src2=0
	v_cvt_f32_i32_e32 v3, v3
	s_set_vgpr_msb 1                        ;  msbs: dst=0 src0=1 src1=0 src2=0
	s_delay_alu instid0(VALU_DEP_1) | instskip(SKIP_2) | instid1(VALU_DEP_1)
	v_pk_fma_f32 v[0:1], v[174:175] /*v[430:431]*/, v[2:3], v[0:1]
	s_set_vgpr_msb 0                        ;  msbs: dst=0 src0=0 src1=0 src2=0
	v_pk_fma_f32 v[2:3], v[114:115], v[8:9], v[4:5] op_sel_hi:[0,1,1]
	v_pk_mul_f32 v[2:3], v[2:3], v[108:109]
	s_delay_alu instid0(VALU_DEP_1) | instskip(NEXT) | instid1(VALU_DEP_1)
	v_pk_fma_f32 v[0:1], v[0:1], v[100:101], v[2:3] neg_lo:[0,0,1] neg_hi:[0,0,1]
	v_pk_add_f32 v[44:45], v[44:45], v[0:1]
	v_or_b32_e32 v0, s12, v139
	s_delay_alu instid0(VALU_DEP_1)
	v_dual_lshlrev_b32 v1, 2, v0 :: v_dual_lshrrev_b32 v8, 1, v0
	ds_load_b128 v[10:13], v1 offset:16896
	ds_load_b128 v[4:7], v1 offset:16912
	s_set_vgpr_msb 64                       ;  msbs: dst=1 src0=0 src1=0 src2=0
	ds_load_b128 v[160:163] /*v[416:419]*/, v1 offset:16928
	s_set_vgpr_msb 0                        ;  msbs: dst=0 src0=0 src1=0 src2=0
	ds_load_b128 v[0:3], v1 offset:16944
	s_wait_dscnt 0x3
	v_bfe_i32 v36, v10, 0, 8
	v_bfe_i32 v52, v10, 8, 8
	;; [unrolled: 1-line block ×3, first 2 shown]
	v_ashrrev_i32_e32 v54, 24, v10
	s_wait_dscnt 0x0
	s_set_vgpr_msb 64                       ;  msbs: dst=1 src0=0 src1=0 src2=0
	v_bfe_i32 v196 /*v452*/, v1, 0, 8
	v_bfe_i32 v197 /*v453*/, v1, 8, 8
	;; [unrolled: 1-line block ×3, first 2 shown]
	v_dual_ashrrev_i32 v199 /*v455*/, 24, v1 :: v_dual_ashrrev_i32 v203 /*v459*/, 24, v2
	s_set_vgpr_msb 4                        ;  msbs: dst=0 src0=0 src1=1 src2=0
	v_mul_i32_i24_e32 v1, v36, v102 /*v358*/
	v_bfe_i32 v55, v11, 0, 8
	v_bfe_i32 v56, v11, 8, 8
	s_set_vgpr_msb 64                       ;  msbs: dst=1 src0=0 src1=0 src2=0
	v_bfe_i32 v200 /*v456*/, v2, 0, 8
	v_bfe_i32 v201 /*v457*/, v2, 8, 8
	;; [unrolled: 1-line block ×3, first 2 shown]
	s_set_vgpr_msb 4                        ;  msbs: dst=0 src0=0 src1=1 src2=0
	v_mul_i32_i24_e32 v2, v53, v103 /*v359*/
	v_mul_i32_i24_e32 v9, v54, v104 /*v360*/
	v_mad_i32_i24 v1, v52, v101 /*v357*/, v1
	v_bfe_i32 v58, v11, 16, 8
	s_set_vgpr_msb 0                        ;  msbs: dst=0 src0=0 src1=0 src2=0
	v_ashrrev_i32_e32 v11, 24, v11
	v_bfe_i32 v60, v12, 0, 8
	v_bfe_i32 v61, v12, 8, 8
	v_add3_u32 v1, v1, v2, v9
	s_set_vgpr_msb 4                        ;  msbs: dst=0 src0=0 src1=1 src2=0
	v_mul_i32_i24_e32 v2, v55, v105 /*v361*/
	v_mul_i32_i24_e32 v9, v56, v106 /*v362*/
	v_bfe_i32 v62, v12, 16, 8
	s_set_vgpr_msb 0                        ;  msbs: dst=0 src0=0 src1=0 src2=0
	v_dual_ashrrev_i32 v64, 24, v12 :: v_dual_ashrrev_i32 v71, 24, v13
	s_set_vgpr_msb 4                        ;  msbs: dst=0 src0=0 src1=1 src2=0
	v_mul_i32_i24_e32 v10, v58, v107 /*v363*/
	v_mul_i32_i24_e32 v12, v11, v108 /*v364*/
	s_set_vgpr_msb 0                        ;  msbs: dst=0 src0=0 src1=0 src2=0
	v_add3_u32 v1, v1, v2, v9
	v_bfe_i32 v66, v13, 0, 8
	v_bfe_i32 v67, v13, 8, 8
	;; [unrolled: 1-line block ×3, first 2 shown]
	s_set_vgpr_msb 4                        ;  msbs: dst=0 src0=0 src1=1 src2=0
	v_mul_i32_i24_e32 v13, v60, v109 /*v365*/
	v_mul_i32_i24_e32 v14, v61, v110 /*v366*/
	s_set_vgpr_msb 0                        ;  msbs: dst=0 src0=0 src1=0 src2=0
	v_add3_u32 v1, v1, v10, v12
	s_set_vgpr_msb 0x41                     ;  msbs: dst=1 src0=1 src1=0 src2=0
	v_bfe_i32 v176 /*v432*/, v160 /*v416*/, 0, 8
	v_bfe_i32 v177 /*v433*/, v160 /*v416*/, 8, 8
	;; [unrolled: 1-line block ×3, first 2 shown]
	s_set_vgpr_msb 0x44                     ;  msbs: dst=1 src0=0 src1=1 src2=0
	v_dual_ashrrev_i32 v179 /*v435*/, 24, v160 /*v416*/ :: v_dual_ashrrev_i32 v183 /*v439*/, 24, v161 /*v417*/
	s_set_vgpr_msb 4                        ;  msbs: dst=0 src0=0 src1=1 src2=0
	v_mul_i32_i24_e32 v15, v62, v111 /*v367*/
	s_set_vgpr_msb 0x44                     ;  msbs: dst=1 src0=0 src1=1 src2=0
	v_mul_i32_i24_e32 v160 /*v416*/, v64, v112 /*v368*/
	s_set_vgpr_msb 0                        ;  msbs: dst=0 src0=0 src1=0 src2=0
	v_add3_u32 v1, v1, v13, v14
	s_set_vgpr_msb 0x41                     ;  msbs: dst=1 src0=1 src1=0 src2=0
	v_bfe_i32 v180 /*v436*/, v161 /*v417*/, 0, 8
	v_bfe_i32 v181 /*v437*/, v161 /*v417*/, 8, 8
	v_bfe_i32 v182 /*v438*/, v161 /*v417*/, 16, 8
	v_bfe_i32 v184 /*v440*/, v162 /*v418*/, 0, 8
	v_bfe_i32 v185 /*v441*/, v162 /*v418*/, 8, 8
	v_bfe_i32 v186 /*v442*/, v162 /*v418*/, 16, 8
	s_set_vgpr_msb 0x44                     ;  msbs: dst=1 src0=0 src1=1 src2=0
	v_dual_ashrrev_i32 v187 /*v443*/, 24, v162 /*v418*/ :: v_dual_ashrrev_i32 v191 /*v447*/, 24, v163 /*v419*/
	v_mul_i32_i24_e32 v161 /*v417*/, v66, v113 /*v369*/
	v_mul_i32_i24_e32 v162 /*v418*/, v67, v114 /*v370*/
	s_set_vgpr_msb 16                       ;  msbs: dst=0 src0=0 src1=0 src2=1
	v_add3_u32 v1, v1, v15, v160 /*v416*/
	v_bfe_i32 v82, v4, 0, 8
	v_bfe_i32 v84, v4, 8, 8
	s_set_vgpr_msb 0x44                     ;  msbs: dst=1 src0=0 src1=1 src2=0
	v_mul_i32_i24_e32 v165 /*v421*/, v69, v115 /*v371*/
	v_mul_i32_i24_e32 v166 /*v422*/, v71, v116 /*v372*/
	s_set_vgpr_msb 20                       ;  msbs: dst=0 src0=0 src1=1 src2=1
	v_add3_u32 v1, v1, v161 /*v417*/, v162 /*v418*/
	v_bfe_i32 v86, v4, 16, 8
	s_set_vgpr_msb 0                        ;  msbs: dst=0 src0=0 src1=0 src2=0
	v_ashrrev_i32_e32 v92, 24, v4
	s_set_vgpr_msb 0x44                     ;  msbs: dst=1 src0=0 src1=1 src2=0
	v_mul_i32_i24_e32 v167 /*v423*/, v82, v117 /*v373*/
	v_mul_i32_i24_e32 v168 /*v424*/, v84, v118 /*v374*/
	s_set_vgpr_msb 20                       ;  msbs: dst=0 src0=0 src1=1 src2=1
	v_add3_u32 v1, v1, v165 /*v421*/, v166 /*v422*/
	v_bfe_i32 v133, v5, 0, 8
	s_set_vgpr_msb 64                       ;  msbs: dst=1 src0=0 src1=0 src2=0
	v_bfe_i32 v169 /*v425*/, v5, 8, 8
	v_bfe_i32 v170 /*v426*/, v5, 16, 8
	s_set_vgpr_msb 0                        ;  msbs: dst=0 src0=0 src1=0 src2=0
	v_ashrrev_i32_e32 v5, 24, v5
	s_set_vgpr_msb 0x41                     ;  msbs: dst=1 src0=1 src1=0 src2=0
	v_mul_i32_i24_e32 v205 /*v461*/, v120 /*v376*/, v86
	v_mul_i32_i24_e32 v206 /*v462*/, v119 /*v375*/, v92
	s_set_vgpr_msb 20                       ;  msbs: dst=0 src0=0 src1=1 src2=1
	v_add3_u32 v1, v1, v167 /*v423*/, v168 /*v424*/
	s_set_vgpr_msb 0x41                     ;  msbs: dst=1 src0=1 src1=0 src2=0
	v_mul_i32_i24_e32 v207 /*v463*/, v122 /*v378*/, v133
	s_set_vgpr_msb 0x45                     ;  msbs: dst=1 src0=1 src1=1 src2=0
	v_mul_i32_i24_e32 v208 /*v464*/, v121 /*v377*/, v169 /*v425*/
	s_set_vgpr_msb 64                       ;  msbs: dst=1 src0=0 src1=0 src2=0
	v_bfe_i32 v171 /*v427*/, v6, 0, 8
	v_bfe_i32 v172 /*v428*/, v6, 8, 8
	s_set_vgpr_msb 20                       ;  msbs: dst=0 src0=0 src1=1 src2=1
	v_add3_u32 v1, v1, v205 /*v461*/, v206 /*v462*/
	s_set_vgpr_msb 0x45                     ;  msbs: dst=1 src0=1 src1=1 src2=0
	v_mul_i32_i24_e32 v209 /*v465*/, v124 /*v380*/, v170 /*v426*/
	s_set_vgpr_msb 0x41                     ;  msbs: dst=1 src0=1 src1=0 src2=0
	v_mul_i32_i24_e32 v210 /*v466*/, v123 /*v379*/, v5
	s_set_vgpr_msb 64                       ;  msbs: dst=1 src0=0 src1=0 src2=0
	v_bfe_i32 v173 /*v429*/, v6, 16, 8
	s_set_vgpr_msb 0                        ;  msbs: dst=0 src0=0 src1=0 src2=0
	v_ashrrev_i32_e32 v6, 24, v6
	s_set_vgpr_msb 20                       ;  msbs: dst=0 src0=0 src1=1 src2=1
	v_add3_u32 v1, v1, v207 /*v463*/, v208 /*v464*/
	s_set_vgpr_msb 0x45                     ;  msbs: dst=1 src0=1 src1=1 src2=0
	v_mul_i32_i24_e32 v211 /*v467*/, v132 /*v388*/, v171 /*v427*/
	v_mul_i32_i24_e32 v212 /*v468*/, v125 /*v381*/, v172 /*v428*/
	v_mul_i32_i24_e32 v213 /*v469*/, v136 /*v392*/, v173 /*v429*/
	s_set_vgpr_msb 0x41                     ;  msbs: dst=1 src0=1 src1=0 src2=0
	v_mul_i32_i24_e32 v214 /*v470*/, v133 /*v389*/, v6
	s_set_vgpr_msb 20                       ;  msbs: dst=0 src0=0 src1=1 src2=1
	v_add3_u32 v1, v1, v209 /*v465*/, v210 /*v466*/
	s_set_vgpr_msb 5                        ;  msbs: dst=0 src0=1 src1=1 src2=0
	v_mul_i32_i24_e32 v2, v140 /*v396*/, v178 /*v434*/
	v_mul_i32_i24_e32 v9, v134 /*v390*/, v179 /*v435*/
	;; [unrolled: 1-line block ×4, first 2 shown]
	s_set_vgpr_msb 20                       ;  msbs: dst=0 src0=0 src1=1 src2=1
	v_add3_u32 v1, v1, v211 /*v467*/, v212 /*v468*/
	s_set_vgpr_msb 5                        ;  msbs: dst=0 src0=1 src1=1 src2=0
	v_mul_i32_i24_e32 v13, v147 /*v403*/, v184 /*v440*/
	v_mul_i32_i24_e32 v14, v146 /*v402*/, v185 /*v441*/
	s_set_vgpr_msb 0x41                     ;  msbs: dst=1 src0=1 src1=0 src2=0
	v_bfe_i32 v188 /*v444*/, v163 /*v419*/, 0, 8
	v_bfe_i32 v189 /*v445*/, v163 /*v419*/, 8, 8
	s_set_vgpr_msb 0x54                     ;  msbs: dst=1 src0=0 src1=1 src2=1
	v_add3_u32 v166 /*v422*/, v1, v213 /*v469*/, v214 /*v470*/
	s_set_vgpr_msb 5                        ;  msbs: dst=0 src0=1 src1=1 src2=0
	v_mul_i32_i24_e32 v1, v141 /*v397*/, v176 /*v432*/
	v_mul_i32_i24_e32 v15, v145 /*v401*/, v186 /*v442*/
	s_set_vgpr_msb 0x45                     ;  msbs: dst=1 src0=1 src1=1 src2=0
	v_mul_i32_i24_e32 v160 /*v416*/, v127 /*v383*/, v187 /*v443*/
	v_bfe_i32 v190 /*v446*/, v163 /*v419*/, 16, 8
	v_mul_i32_i24_e32 v161 /*v417*/, v150 /*v406*/, v188 /*v444*/
	s_set_vgpr_msb 5                        ;  msbs: dst=0 src0=1 src1=1 src2=0
	v_mad_i32_i24 v1, v139 /*v395*/, v177 /*v433*/, v1
	s_set_vgpr_msb 0x45                     ;  msbs: dst=1 src0=1 src1=1 src2=0
	v_mul_i32_i24_e32 v162 /*v418*/, v149 /*v405*/, v189 /*v445*/
	s_set_vgpr_msb 64                       ;  msbs: dst=1 src0=0 src1=0 src2=0
	v_bfe_i32 v192 /*v448*/, v0, 0, 8
	v_bfe_i32 v193 /*v449*/, v0, 8, 8
	s_set_vgpr_msb 0x45                     ;  msbs: dst=1 src0=1 src1=1 src2=0
	v_mul_i32_i24_e32 v165 /*v421*/, v148 /*v404*/, v190 /*v446*/
	s_set_vgpr_msb 0                        ;  msbs: dst=0 src0=0 src1=0 src2=0
	v_add3_u32 v1, v1, v2, v9
	s_set_vgpr_msb 5                        ;  msbs: dst=0 src0=1 src1=1 src2=0
	v_mul_i32_i24_e32 v2, v144 /*v400*/, v180 /*v436*/
	v_mul_i32_i24_e32 v9, v143 /*v399*/, v181 /*v437*/
	s_set_vgpr_msb 0x45                     ;  msbs: dst=1 src0=1 src1=1 src2=0
	v_mul_i32_i24_e32 v168 /*v424*/, v128 /*v384*/, v191 /*v447*/
	s_set_vgpr_msb 64                       ;  msbs: dst=1 src0=0 src1=0 src2=0
	v_bfe_i32 v194 /*v450*/, v0, 16, 8
	v_ashrrev_i32_e32 v195 /*v451*/, 24, v0
	s_set_vgpr_msb 0x45                     ;  msbs: dst=1 src0=1 src1=1 src2=0
	v_mul_i32_i24_e32 v205 /*v461*/, v153 /*v409*/, v192 /*v448*/
	s_set_vgpr_msb 0                        ;  msbs: dst=0 src0=0 src1=0 src2=0
	v_add3_u32 v1, v1, v2, v9
	s_set_vgpr_msb 0x45                     ;  msbs: dst=1 src0=1 src1=1 src2=0
	v_mul_i32_i24_e32 v206 /*v462*/, v152 /*v408*/, v193 /*v449*/
	v_mul_i32_i24_e32 v207 /*v463*/, v151 /*v407*/, v194 /*v450*/
	v_mul_i32_i24_e32 v208 /*v464*/, v129 /*v385*/, v195 /*v451*/
	v_mul_i32_i24_e32 v209 /*v465*/, v156 /*v412*/, v196 /*v452*/
	s_set_vgpr_msb 0                        ;  msbs: dst=0 src0=0 src1=0 src2=0
	v_add3_u32 v1, v1, v10, v12
	s_set_vgpr_msb 0x45                     ;  msbs: dst=1 src0=1 src1=1 src2=0
	v_mul_i32_i24_e32 v210 /*v466*/, v155 /*v411*/, v197 /*v453*/
	v_mul_i32_i24_e32 v211 /*v467*/, v154 /*v410*/, v198 /*v454*/
	v_mul_i32_i24_e32 v212 /*v468*/, v130 /*v386*/, v199 /*v455*/
	;; [unrolled: 7-line block ×3, first 2 shown]
	s_set_vgpr_msb 4                        ;  msbs: dst=0 src0=0 src1=1 src2=0
	v_mul_i32_i24_e32 v2, v53, v44 /*v300*/
	s_set_vgpr_msb 16                       ;  msbs: dst=0 src0=0 src1=0 src2=1
	v_add3_u32 v1, v1, v15, v160 /*v416*/
	s_set_vgpr_msb 20                       ;  msbs: dst=0 src0=0 src1=1 src2=1
	v_mul_i32_i24_e32 v9, v54, v45 /*v301*/
	v_mul_i32_i24_e32 v10, v58, v48 /*v304*/
	;; [unrolled: 1-line block ×4, first 2 shown]
	v_add3_u32 v1, v1, v161 /*v417*/, v162 /*v418*/
	s_set_vgpr_msb 0x44                     ;  msbs: dst=1 src0=0 src1=1 src2=0
	v_mul_i32_i24_e32 v160 /*v416*/, v61, v51 /*v307*/
	v_mul_i32_i24_e32 v161 /*v417*/, v62, v52 /*v308*/
	v_mul_i32_i24_e32 v162 /*v418*/, v64, v53 /*v309*/
	s_set_vgpr_msb 0x45                     ;  msbs: dst=1 src0=1 src1=1 src2=0
	v_mul_i32_i24_e32 v217 /*v473*/, v66 /*v322*/, v172 /*v428*/
	s_set_vgpr_msb 20                       ;  msbs: dst=0 src0=0 src1=1 src2=1
	v_add3_u32 v1, v1, v165 /*v421*/, v168 /*v424*/
	s_set_vgpr_msb 0x44                     ;  msbs: dst=1 src0=0 src1=1 src2=0
	v_mul_i32_i24_e32 v165 /*v421*/, v66, v54 /*v310*/
	s_set_vgpr_msb 0x45                     ;  msbs: dst=1 src0=1 src1=1 src2=0
	v_mul_i32_i24_e32 v218 /*v474*/, v70 /*v326*/, v173 /*v429*/
	s_set_vgpr_msb 0x41                     ;  msbs: dst=1 src0=1 src1=0 src2=0
	v_mul_i32_i24_e32 v219 /*v475*/, v68 /*v324*/, v6
	s_set_vgpr_msb 0x45                     ;  msbs: dst=1 src0=1 src1=1 src2=0
	v_mul_i32_i24_e32 v220 /*v476*/, v99 /*v355*/, v202 /*v458*/
	s_set_vgpr_msb 20                       ;  msbs: dst=0 src0=0 src1=1 src2=1
	v_add3_u32 v1, v1, v205 /*v461*/, v206 /*v462*/
	s_set_vgpr_msb 0x44                     ;  msbs: dst=1 src0=0 src1=1 src2=0
	v_mul_i32_i24_e32 v205 /*v461*/, v67, v55 /*v311*/
	v_mul_i32_i24_e32 v206 /*v462*/, v69, v56 /*v312*/
	s_set_vgpr_msb 0x45                     ;  msbs: dst=1 src0=1 src1=1 src2=0
	v_mul_i32_i24_e32 v221 /*v477*/, v98 /*v354*/, v203 /*v459*/
	s_set_vgpr_msb 0x44                     ;  msbs: dst=1 src0=0 src1=1 src2=0
	v_mul_i32_i24_e32 v222 /*v478*/, v253, v172 /*v428*/
	s_set_vgpr_msb 20                       ;  msbs: dst=0 src0=0 src1=1 src2=1
	v_add3_u32 v1, v1, v207 /*v463*/, v208 /*v464*/
	s_set_vgpr_msb 0x44                     ;  msbs: dst=1 src0=0 src1=1 src2=0
	v_mul_i32_i24_e32 v207 /*v463*/, v71, v57 /*v313*/
	v_mul_i32_i24_e32 v208 /*v464*/, v82, v58 /*v314*/
	s_set_vgpr_msb 0x45                     ;  msbs: dst=1 src0=1 src1=1 src2=0
	v_mul_i32_i24_e32 v223 /*v479*/, v1 /*v257*/, v173 /*v429*/
	s_set_vgpr_msb 64                       ;  msbs: dst=1 src0=0 src1=0 src2=0
	v_mul_i32_i24_e32 v224 /*v480*/, v255, v6
	s_set_vgpr_msb 20                       ;  msbs: dst=0 src0=0 src1=1 src2=1
	v_add3_u32 v1, v1, v209 /*v465*/, v210 /*v466*/
	s_set_vgpr_msb 0x44                     ;  msbs: dst=1 src0=0 src1=1 src2=0
	v_mul_i32_i24_e32 v209 /*v465*/, v84, v59 /*v315*/
	s_set_vgpr_msb 0x41                     ;  msbs: dst=1 src0=1 src1=0 src2=0
	v_mul_i32_i24_e32 v210 /*v466*/, v61 /*v317*/, v86
	s_set_vgpr_msb 0x45                     ;  msbs: dst=1 src0=1 src1=1 src2=0
	v_mul_i32_i24_e32 v225 /*v481*/, v30 /*v286*/, v202 /*v458*/
	v_mul_i32_i24_e32 v226 /*v482*/, v29 /*v285*/, v203 /*v459*/
	s_set_vgpr_msb 20                       ;  msbs: dst=0 src0=0 src1=1 src2=1
	v_add3_u32 v1, v1, v211 /*v467*/, v212 /*v468*/
	s_set_vgpr_msb 0x41                     ;  msbs: dst=1 src0=1 src1=0 src2=0
	v_mul_i32_i24_e32 v211 /*v467*/, v60 /*v316*/, v92
	v_mul_i32_i24_e32 v212 /*v468*/, v63 /*v319*/, v133
	s_set_vgpr_msb 0                        ;  msbs: dst=0 src0=0 src1=0 src2=0
	v_mul_i32_i24_e32 v6, v193, v6
	s_set_vgpr_msb 64                       ;  msbs: dst=1 src0=0 src1=0 src2=0
	v_bfe_i32 v174 /*v430*/, v7, 0, 8
	s_set_vgpr_msb 20                       ;  msbs: dst=0 src0=0 src1=1 src2=1
	v_add3_u32 v1, v1, v213 /*v469*/, v214 /*v470*/
	s_set_vgpr_msb 0x45                     ;  msbs: dst=1 src0=1 src1=1 src2=0
	v_mul_i32_i24_e32 v213 /*v469*/, v62 /*v318*/, v169 /*v425*/
	v_mul_i32_i24_e32 v214 /*v470*/, v65 /*v321*/, v170 /*v426*/
	s_set_vgpr_msb 64                       ;  msbs: dst=1 src0=0 src1=0 src2=0
	v_bfe_i32 v175 /*v431*/, v7, 8, 8
	s_set_vgpr_msb 0x45                     ;  msbs: dst=1 src0=1 src1=1 src2=0
	v_mul_i32_i24_e32 v163 /*v419*/, v174 /*v430*/, v137 /*v393*/
	s_set_vgpr_msb 0x54                     ;  msbs: dst=1 src0=0 src1=1 src2=1
	v_add3_u32 v168 /*v424*/, v1, v215 /*v471*/, v216 /*v472*/
	s_set_vgpr_msb 4                        ;  msbs: dst=0 src0=0 src1=1 src2=0
	v_mul_i32_i24_e32 v1, v36, v43 /*v299*/
	s_set_vgpr_msb 0x41                     ;  msbs: dst=1 src0=1 src1=0 src2=0
	v_mul_i32_i24_e32 v215 /*v471*/, v64 /*v320*/, v5
	s_set_vgpr_msb 0x45                     ;  msbs: dst=1 src0=1 src1=1 src2=0
	v_mul_i32_i24_e32 v216 /*v472*/, v67 /*v323*/, v171 /*v427*/
	v_mul_i32_i24_e32 v164 /*v420*/, v175 /*v431*/, v138 /*v394*/
	s_set_vgpr_msb 5                        ;  msbs: dst=0 src0=1 src1=1 src2=0
	v_mul_i32_i24_e32 v14, v174 /*v430*/, v74 /*v330*/
	s_set_vgpr_msb 4                        ;  msbs: dst=0 src0=0 src1=1 src2=0
	v_mad_i32_i24 v1, v52, v42 /*v298*/, v1
	s_set_vgpr_msb 5                        ;  msbs: dst=0 src0=1 src1=1 src2=0
	v_mul_i32_i24_e32 v15, v175 /*v431*/, v76 /*v332*/
	s_set_vgpr_msb 64                       ;  msbs: dst=1 src0=0 src1=0 src2=0
	v_bfe_i32 v204 /*v460*/, v3, 0, 8
	s_set_vgpr_msb 0                        ;  msbs: dst=0 src0=0 src1=0 src2=0
	v_bfe_i32 v4, v7, 16, 8
	v_bfe_i32 v0, v3, 8, 8
	v_add3_u32 v1, v1, v2, v9
	s_set_vgpr_msb 4                        ;  msbs: dst=0 src0=0 src1=1 src2=0
	v_mul_i32_i24_e32 v2, v55, v46 /*v302*/
	v_mul_i32_i24_e32 v9, v56, v47 /*v303*/
	s_set_vgpr_msb 0x45                     ;  msbs: dst=1 src0=1 src1=1 src2=0
	v_mul_i32_i24_e32 v167 /*v423*/, v204 /*v460*/, v135 /*v391*/
	s_set_vgpr_msb 0                        ;  msbs: dst=0 src0=0 src1=0 src2=0
	v_ashrrev_i32_e32 v7, 24, v7
	s_set_vgpr_msb 0x55                     ;  msbs: dst=1 src0=1 src1=1 src2=1
	v_add3_u32 v163 /*v419*/, v166 /*v422*/, v163 /*v419*/, v164 /*v420*/
	s_set_vgpr_msb 0                        ;  msbs: dst=0 src0=0 src1=0 src2=0
	v_add3_u32 v1, v1, v2, v9
	s_set_vgpr_msb 5                        ;  msbs: dst=0 src0=1 src1=1 src2=0
	v_mul_i32_i24_e32 v2, v178 /*v434*/, v69 /*v325*/
	v_mul_i32_i24_e32 v9, v179 /*v435*/, v75 /*v331*/
	s_set_vgpr_msb 0                        ;  msbs: dst=0 src0=0 src1=0 src2=0
	v_add3_u32 v1, v1, v10, v12
	s_set_vgpr_msb 5                        ;  msbs: dst=0 src0=1 src1=1 src2=0
	v_mul_i32_i24_e32 v10, v182 /*v438*/, v73 /*v329*/
	v_mul_i32_i24_e32 v12, v183 /*v439*/, v80 /*v336*/
	s_set_vgpr_msb 16                       ;  msbs: dst=0 src0=0 src1=0 src2=1
	v_add3_u32 v1, v1, v13, v160 /*v416*/
	s_set_vgpr_msb 5                        ;  msbs: dst=0 src0=1 src1=1 src2=0
	v_mul_i32_i24_e32 v13, v184 /*v440*/, v81 /*v337*/
	s_set_vgpr_msb 0x45                     ;  msbs: dst=1 src0=1 src1=1 src2=0
	v_mul_i32_i24_e32 v160 /*v416*/, v185 /*v441*/, v82 /*v338*/
	s_set_vgpr_msb 20                       ;  msbs: dst=0 src0=0 src1=1 src2=1
	v_add3_u32 v1, v1, v161 /*v417*/, v162 /*v418*/
	s_set_vgpr_msb 0x45                     ;  msbs: dst=1 src0=1 src1=1 src2=0
	v_mul_i32_i24_e32 v162 /*v418*/, v204 /*v460*/, v100 /*v356*/
	s_set_vgpr_msb 20                       ;  msbs: dst=0 src0=0 src1=1 src2=1
	s_delay_alu instid0(VALU_DEP_2)
	v_add3_u32 v1, v1, v165 /*v421*/, v205 /*v461*/
	s_set_vgpr_msb 0x45                     ;  msbs: dst=1 src0=1 src1=1 src2=0
	v_mul_i32_i24_e32 v165 /*v421*/, v186 /*v442*/, v79 /*v335*/
	v_mul_i32_i24_e32 v205 /*v461*/, v187 /*v443*/, v84 /*v340*/
	s_set_vgpr_msb 20                       ;  msbs: dst=0 src0=0 src1=1 src2=1
	v_add3_u32 v1, v1, v206 /*v462*/, v207 /*v463*/
	s_set_vgpr_msb 0x45                     ;  msbs: dst=1 src0=1 src1=1 src2=0
	v_mul_i32_i24_e32 v206 /*v462*/, v188 /*v444*/, v85 /*v341*/
	v_mul_i32_i24_e32 v207 /*v463*/, v189 /*v445*/, v86 /*v342*/
	s_set_vgpr_msb 20                       ;  msbs: dst=0 src0=0 src1=1 src2=1
	;; [unrolled: 5-line block ×6, first 2 shown]
	v_add3_u32 v1, v1, v216 /*v472*/, v217 /*v473*/
	s_set_vgpr_msb 0x45                     ;  msbs: dst=1 src0=1 src1=1 src2=0
	v_mul_i32_i24_e32 v216 /*v472*/, v95 /*v351*/, v198 /*v454*/
	v_mul_i32_i24_e32 v217 /*v473*/, v94 /*v350*/, v199 /*v455*/
	s_set_vgpr_msb 0x54                     ;  msbs: dst=1 src0=0 src1=1 src2=1
	v_add3_u32 v161 /*v417*/, v1, v218 /*v474*/, v219 /*v475*/
	s_set_vgpr_msb 5                        ;  msbs: dst=0 src0=1 src1=1 src2=0
	v_mul_i32_i24_e32 v1, v176 /*v432*/, v72 /*v328*/
	s_set_vgpr_msb 0x45                     ;  msbs: dst=1 src0=1 src1=1 src2=0
	v_mul_i32_i24_e32 v218 /*v474*/, v96 /*v352*/, v200 /*v456*/
	v_mul_i32_i24_e32 v219 /*v475*/, v97 /*v353*/, v201 /*v457*/
	s_set_vgpr_msb 1                        ;  msbs: dst=0 src0=1 src1=0 src2=0
	v_add3_u32 v14, v161 /*v417*/, v14, v15
	s_set_vgpr_msb 5                        ;  msbs: dst=0 src0=1 src1=1 src2=0
	v_mad_i32_i24 v1, v177 /*v433*/, v71 /*v327*/, v1
	s_set_vgpr_msb 64                       ;  msbs: dst=1 src0=0 src1=0 src2=0
	v_mul_i32_i24_e32 v161 /*v417*/, v0, v158
	s_set_vgpr_msb 0                        ;  msbs: dst=0 src0=0 src1=0 src2=0
	s_delay_alu instid0(VALU_DEP_2) | instskip(SKIP_4) | instid1(VALU_DEP_1)
	v_add3_u32 v1, v1, v2, v9
	s_set_vgpr_msb 5                        ;  msbs: dst=0 src0=1 src1=1 src2=0
	v_mul_i32_i24_e32 v2, v180 /*v436*/, v77 /*v333*/
	v_mul_i32_i24_e32 v9, v181 /*v437*/, v78 /*v334*/
	s_set_vgpr_msb 0                        ;  msbs: dst=0 src0=0 src1=0 src2=0
	v_add3_u32 v1, v1, v2, v9
	v_mul_i32_i24_e32 v2, v53, v231
	v_mul_i32_i24_e32 v9, v54, v232
	s_delay_alu instid0(VALU_DEP_3)
	v_add3_u32 v1, v1, v10, v12
	v_mul_i32_i24_e32 v12, v56, v234
	s_set_vgpr_msb 5                        ;  msbs: dst=0 src0=1 src1=1 src2=0
	v_mul_i32_i24_e32 v10, v175 /*v431*/, v7 /*v263*/
	s_set_vgpr_msb 16                       ;  msbs: dst=0 src0=0 src1=0 src2=1
	v_add3_u32 v1, v1, v13, v160 /*v416*/
	v_mul_i32_i24_e32 v13, v58, v235
	s_set_vgpr_msb 64                       ;  msbs: dst=1 src0=0 src1=0 src2=0
	v_mul_i32_i24_e32 v160 /*v416*/, v11, v236
	s_set_vgpr_msb 0                        ;  msbs: dst=0 src0=0 src1=0 src2=0
	v_mul_i32_i24_e32 v11, v11, v174
	s_set_vgpr_msb 20                       ;  msbs: dst=0 src0=0 src1=1 src2=1
	v_add3_u32 v1, v1, v165 /*v421*/, v205 /*v461*/
	s_set_vgpr_msb 64                       ;  msbs: dst=1 src0=0 src1=0 src2=0
	v_mul_i32_i24_e32 v205 /*v461*/, v60, v237
	s_set_vgpr_msb 20                       ;  msbs: dst=0 src0=0 src1=1 src2=1
	s_delay_alu instid0(VALU_DEP_2)
	v_add3_u32 v1, v1, v206 /*v462*/, v207 /*v463*/
	s_set_vgpr_msb 64                       ;  msbs: dst=1 src0=0 src1=0 src2=0
	v_mul_i32_i24_e32 v206 /*v462*/, v61, v238
	v_mul_i32_i24_e32 v207 /*v463*/, v62, v239
	s_set_vgpr_msb 20                       ;  msbs: dst=0 src0=0 src1=1 src2=1
	v_add3_u32 v1, v1, v208 /*v464*/, v209 /*v465*/
	s_set_vgpr_msb 64                       ;  msbs: dst=1 src0=0 src1=0 src2=0
	v_mul_i32_i24_e32 v208 /*v464*/, v64, v240
	v_mul_i32_i24_e32 v209 /*v465*/, v66, v241
	s_set_vgpr_msb 20                       ;  msbs: dst=0 src0=0 src1=1 src2=1
	;; [unrolled: 5-line block ×6, first 2 shown]
	v_add3_u32 v1, v1, v218 /*v474*/, v219 /*v475*/
	s_set_vgpr_msb 0x54                     ;  msbs: dst=1 src0=0 src1=1 src2=1
	v_mul_i32_i24_e32 v218 /*v474*/, v249, v169 /*v425*/
	v_mul_i32_i24_e32 v219 /*v475*/, v252, v170 /*v426*/
	s_delay_alu instid0(VALU_DEP_3)
	v_add3_u32 v165 /*v421*/, v1, v220 /*v476*/, v221 /*v477*/
	s_set_vgpr_msb 0                        ;  msbs: dst=0 src0=0 src1=0 src2=0
	v_mul_i32_i24_e32 v1, v36, v230
	s_set_vgpr_msb 64                       ;  msbs: dst=1 src0=0 src1=0 src2=0
	v_mul_i32_i24_e32 v220 /*v476*/, v251, v5
	s_set_vgpr_msb 0x44                     ;  msbs: dst=1 src0=0 src1=1 src2=0
	v_mul_i32_i24_e32 v221 /*v477*/, v254, v171 /*v427*/
	s_set_vgpr_msb 0                        ;  msbs: dst=0 src0=0 src1=0 src2=0
	v_mul_i32_i24_e32 v5, v189, v5
	s_set_vgpr_msb 0x55                     ;  msbs: dst=1 src0=1 src1=1 src2=1
	v_add3_u32 v161 /*v417*/, v165 /*v421*/, v162 /*v418*/, v161 /*v417*/
	s_set_vgpr_msb 0                        ;  msbs: dst=0 src0=0 src1=0 src2=0
	v_mad_i32_i24 v1, v52, v229, v1
	s_delay_alu instid0(VALU_DEP_1) | instskip(SKIP_4) | instid1(VALU_DEP_2)
	v_add3_u32 v1, v1, v2, v9
	v_mul_i32_i24_e32 v2, v55, v233
	s_set_vgpr_msb 5                        ;  msbs: dst=0 src0=1 src1=1 src2=0
	v_mul_i32_i24_e32 v9, v174 /*v430*/, v5 /*v261*/
	s_set_vgpr_msb 0                        ;  msbs: dst=0 src0=0 src1=0 src2=0
	v_add3_u32 v1, v1, v2, v12
	s_set_vgpr_msb 5                        ;  msbs: dst=0 src0=1 src1=1 src2=0
	v_mul_i32_i24_e32 v2, v178 /*v434*/, v0 /*v256*/
	s_set_vgpr_msb 16                       ;  msbs: dst=0 src0=0 src1=0 src2=1
	s_delay_alu instid0(VALU_DEP_2)
	v_add3_u32 v1, v1, v13, v160 /*v416*/
	s_set_vgpr_msb 5                        ;  msbs: dst=0 src0=1 src1=1 src2=0
	v_mul_i32_i24_e32 v13, v179 /*v435*/, v6 /*v262*/
	s_set_vgpr_msb 0x45                     ;  msbs: dst=1 src0=1 src1=1 src2=0
	v_mul_i32_i24_e32 v160 /*v416*/, v181 /*v437*/, v9 /*v265*/
	s_set_vgpr_msb 20                       ;  msbs: dst=0 src0=0 src1=1 src2=1
	v_add3_u32 v1, v1, v205 /*v461*/, v206 /*v462*/
	s_set_vgpr_msb 0x45                     ;  msbs: dst=1 src0=1 src1=1 src2=0
	v_mul_i32_i24_e32 v205 /*v461*/, v182 /*v438*/, v4 /*v260*/
	v_mul_i32_i24_e32 v206 /*v462*/, v183 /*v439*/, v11 /*v267*/
	s_set_vgpr_msb 20                       ;  msbs: dst=0 src0=0 src1=1 src2=1
	v_add3_u32 v1, v1, v207 /*v463*/, v208 /*v464*/
	s_set_vgpr_msb 0x45                     ;  msbs: dst=1 src0=1 src1=1 src2=0
	v_mul_i32_i24_e32 v207 /*v463*/, v184 /*v440*/, v12 /*v268*/
	;; [unrolled: 5-line block ×9, first 2 shown]
	v_mul_i32_i24_e32 v222 /*v478*/, v25 /*v281*/, v199 /*v455*/
	s_set_vgpr_msb 20                       ;  msbs: dst=0 src0=0 src1=1 src2=1
	v_add3_u32 v12, v1, v223 /*v479*/, v224 /*v480*/
	s_set_vgpr_msb 5                        ;  msbs: dst=0 src0=1 src1=1 src2=0
	v_mul_i32_i24_e32 v1, v176 /*v432*/, v3 /*v259*/
	s_set_vgpr_msb 0x45                     ;  msbs: dst=1 src0=1 src1=1 src2=0
	v_mul_i32_i24_e32 v223 /*v479*/, v27 /*v283*/, v200 /*v456*/
	v_mul_i32_i24_e32 v224 /*v480*/, v28 /*v284*/, v201 /*v457*/
	s_set_vgpr_msb 0                        ;  msbs: dst=0 src0=0 src1=0 src2=0
	v_add3_u32 v9, v12, v9, v10
	s_set_vgpr_msb 5                        ;  msbs: dst=0 src0=1 src1=1 src2=0
	v_mad_i32_i24 v1, v177 /*v433*/, v2 /*v258*/, v1
	s_set_vgpr_msb 0                        ;  msbs: dst=0 src0=0 src1=0 src2=0
	v_mul_i32_i24_e32 v10, v0, v115
	s_delay_alu instid0(VALU_DEP_2) | instskip(SKIP_4) | instid1(VALU_DEP_2)
	v_add3_u32 v1, v1, v2, v13
	s_set_vgpr_msb 5                        ;  msbs: dst=0 src0=1 src1=1 src2=0
	v_mul_i32_i24_e32 v2, v180 /*v436*/, v8 /*v264*/
	v_mul_i32_i24_e32 v13, v204 /*v460*/, v31 /*v287*/
	s_set_vgpr_msb 16                       ;  msbs: dst=0 src0=0 src1=0 src2=1
	v_add3_u32 v1, v1, v2, v160 /*v416*/
	v_mul_i32_i24_e32 v2, v53, v169
	v_mul_i32_i24_e32 v53, v56, v172
	;; [unrolled: 1-line block ×4, first 2 shown]
	s_set_vgpr_msb 20                       ;  msbs: dst=0 src0=0 src1=1 src2=1
	v_add3_u32 v1, v1, v205 /*v461*/, v206 /*v462*/
	s_set_vgpr_msb 0                        ;  msbs: dst=0 src0=0 src1=0 src2=0
	v_mul_i32_i24_e32 v66, v71, v182
	v_mul_i32_i24_e32 v71, v186, v86
	s_set_vgpr_msb 4                        ;  msbs: dst=0 src0=0 src1=1 src2=0
	v_mul_i32_i24_e32 v86, v187, v169 /*v425*/
	s_set_vgpr_msb 0x44                     ;  msbs: dst=1 src0=0 src1=1 src2=0
	v_mul_i32_i24_e32 v169 /*v425*/, v191, v172 /*v428*/
	s_set_vgpr_msb 20                       ;  msbs: dst=0 src0=0 src1=1 src2=1
	v_add3_u32 v1, v1, v207 /*v463*/, v208 /*v464*/
	s_set_vgpr_msb 0x44                     ;  msbs: dst=1 src0=0 src1=1 src2=0
	v_mul_i32_i24_e32 v172 /*v428*/, v223, v203 /*v459*/
	s_set_vgpr_msb 20                       ;  msbs: dst=0 src0=0 src1=1 src2=1
	s_delay_alu instid0(VALU_DEP_2) | instskip(NEXT) | instid1(VALU_DEP_1)
	v_add3_u32 v1, v1, v209 /*v465*/, v210 /*v466*/
	v_add3_u32 v1, v1, v211 /*v467*/, v212 /*v468*/
	s_delay_alu instid0(VALU_DEP_1) | instskip(NEXT) | instid1(VALU_DEP_1)
	v_add3_u32 v1, v1, v213 /*v469*/, v214 /*v470*/
	v_add3_u32 v1, v1, v215 /*v471*/, v216 /*v472*/
	s_delay_alu instid0(VALU_DEP_1) | instskip(NEXT) | instid1(VALU_DEP_1)
	;; [unrolled: 3-line block ×3, first 2 shown]
	v_add3_u32 v1, v1, v221 /*v477*/, v222 /*v478*/
	v_add3_u32 v1, v1, v223 /*v479*/, v224 /*v480*/
	s_set_vgpr_msb 0x54                     ;  msbs: dst=1 src0=0 src1=1 src2=1
	s_delay_alu instid0(VALU_DEP_1)
	v_add3_u32 v160 /*v416*/, v1, v225 /*v481*/, v226 /*v482*/
	s_set_vgpr_msb 0                        ;  msbs: dst=0 src0=0 src1=0 src2=0
	v_mul_i32_i24_e32 v1, v36, v168
	v_mul_i32_i24_e32 v36, v54, v170
	v_mul_i32_i24_e32 v54, v58, v173
	v_mul_i32_i24_e32 v58, v62, v177
	v_mul_i32_i24_e32 v62, v67, v180
	v_mad_i32_i24 v1, v52, v167, v1
	v_mul_i32_i24_e32 v52, v55, v171
	v_mul_i32_i24_e32 v55, v60, v175
	;; [unrolled: 1-line block ×4, first 2 shown]
	v_add3_u32 v36, v1, v2, v36
	v_mul_i32_i24_e32 v67, v82, v183
	v_mul_i32_i24_e32 v69, v84, v184
	;; [unrolled: 1-line block ×4, first 2 shown]
	v_add3_u32 v36, v36, v52, v53
	s_set_vgpr_msb 4                        ;  msbs: dst=0 src0=0 src1=1 src2=0
	v_mul_i32_i24_e32 v92, v190, v170 /*v426*/
	v_mul_i32_i24_e32 v133, v192, v171 /*v427*/
	s_set_vgpr_msb 0x44                     ;  msbs: dst=1 src0=0 src1=1 src2=0
	v_mul_i32_i24_e32 v170 /*v426*/, v195, v173 /*v429*/
	s_set_vgpr_msb 1                        ;  msbs: dst=0 src0=1 src1=0 src2=0
	v_mul_i32_i24_e32 v52, v181 /*v437*/, v203
	s_set_vgpr_msb 0                        ;  msbs: dst=0 src0=0 src1=0 src2=0
	v_add3_u32 v11, v36, v54, v11
	s_set_vgpr_msb 1                        ;  msbs: dst=0 src0=1 src1=0 src2=0
	v_mul_i32_i24_e32 v36, v179 /*v435*/, v200
	v_mul_i32_i24_e32 v53, v182 /*v438*/, v198
	;; [unrolled: 1-line block ×3, first 2 shown]
	s_set_vgpr_msb 0x44                     ;  msbs: dst=1 src0=0 src1=1 src2=0
	v_mul_i32_i24_e32 v171 /*v427*/, v224, v202 /*v458*/
	s_set_vgpr_msb 0                        ;  msbs: dst=0 src0=0 src1=0 src2=0
	v_add3_u32 v11, v11, v55, v56
	s_set_vgpr_msb 1                        ;  msbs: dst=0 src0=1 src1=0 src2=0
	v_mul_i32_i24_e32 v55, v184 /*v440*/, v206
	v_mul_i32_i24_e32 v56, v185 /*v441*/, v207
	;; [unrolled: 1-line block ×4, first 2 shown]
	s_set_vgpr_msb 0                        ;  msbs: dst=0 src0=0 src1=0 src2=0
	v_add3_u32 v11, v11, v58, v60
	s_set_vgpr_msb 1                        ;  msbs: dst=0 src0=1 src1=0 src2=0
	v_mul_i32_i24_e32 v58, v186 /*v442*/, v204
	v_mul_i32_i24_e32 v60, v187 /*v443*/, v209
	v_add3_u32 v10, v160 /*v416*/, v13, v10
	s_set_vgpr_msb 0                        ;  msbs: dst=0 src0=0 src1=0 src2=0
	v_add3_u32 v11, v11, v61, v62
	s_set_vgpr_msb 1                        ;  msbs: dst=0 src0=1 src1=0 src2=0
	v_mul_i32_i24_e32 v61, v188 /*v444*/, v210
	v_mul_i32_i24_e32 v62, v189 /*v445*/, v211
	s_set_vgpr_msb 0                        ;  msbs: dst=0 src0=0 src1=0 src2=0
	v_add3_u32 v11, v11, v64, v66
	s_set_vgpr_msb 1                        ;  msbs: dst=0 src0=1 src1=0 src2=0
	v_mul_i32_i24_e32 v64, v190 /*v446*/, v208
	v_mul_i32_i24_e32 v66, v191 /*v447*/, v212
	s_set_vgpr_msb 0                        ;  msbs: dst=0 src0=0 src1=0 src2=0
	v_add3_u32 v11, v11, v67, v69
	s_set_vgpr_msb 4                        ;  msbs: dst=0 src0=0 src1=1 src2=0
	v_mul_i32_i24_e32 v67, v213, v192 /*v448*/
	v_mul_i32_i24_e32 v69, v214, v193 /*v449*/
	s_set_vgpr_msb 0                        ;  msbs: dst=0 src0=0 src1=0 src2=0
	v_add3_u32 v11, v11, v71, v82
	s_set_vgpr_msb 4                        ;  msbs: dst=0 src0=0 src1=1 src2=0
	v_mul_i32_i24_e32 v71, v216, v194 /*v450*/
	v_mul_i32_i24_e32 v82, v215, v195 /*v451*/
	;; [unrolled: 5-line block ×3, first 2 shown]
	s_set_vgpr_msb 0                        ;  msbs: dst=0 src0=0 src1=0 src2=0
	v_add3_u32 v5, v11, v92, v5
	s_set_vgpr_msb 1                        ;  msbs: dst=0 src0=1 src1=0 src2=0
	v_mul_i32_i24_e32 v11, v178 /*v434*/, v194
	s_set_vgpr_msb 4                        ;  msbs: dst=0 src0=0 src1=1 src2=0
	v_mul_i32_i24_e32 v92, v220, v198 /*v454*/
	s_set_vgpr_msb 16                       ;  msbs: dst=0 src0=0 src1=0 src2=1
	v_add3_u32 v5, v5, v133, v169 /*v425*/
	s_set_vgpr_msb 4                        ;  msbs: dst=0 src0=0 src1=1 src2=0
	v_mul_i32_i24_e32 v133, v219, v199 /*v455*/
	s_set_vgpr_msb 0x44                     ;  msbs: dst=1 src0=0 src1=1 src2=0
	v_mul_i32_i24_e32 v169 /*v425*/, v221, v200 /*v456*/
	s_set_vgpr_msb 4                        ;  msbs: dst=0 src0=0 src1=1 src2=0
	v_add3_u32 v5, v5, v170 /*v426*/, v6
	s_set_vgpr_msb 1                        ;  msbs: dst=0 src0=1 src1=0 src2=0
	v_mul_i32_i24_e32 v6, v176 /*v432*/, v197
	s_set_vgpr_msb 0x44                     ;  msbs: dst=1 src0=0 src1=1 src2=0
	v_mul_i32_i24_e32 v170 /*v426*/, v222, v201 /*v457*/
	s_set_vgpr_msb 0                        ;  msbs: dst=0 src0=0 src1=0 src2=0
	v_add3_u32 v1, v5, v1, v2
	s_set_vgpr_msb 1                        ;  msbs: dst=0 src0=1 src1=0 src2=0
	v_mad_i32_i24 v6, v177 /*v433*/, v196, v6
	s_set_vgpr_msb 0                        ;  msbs: dst=0 src0=0 src1=0 src2=0
	s_delay_alu instid0(VALU_DEP_1) | instskip(SKIP_4) | instid1(VALU_DEP_2)
	v_add3_u32 v11, v6, v11, v36
	s_set_vgpr_msb 1                        ;  msbs: dst=0 src0=1 src1=0 src2=0
	v_mul_i32_i24_e32 v36, v180 /*v436*/, v202
	v_mul_i32_i24_e32 v6, v204 /*v460*/, v225
	s_set_vgpr_msb 0                        ;  msbs: dst=0 src0=0 src1=0 src2=0
	v_add3_u32 v11, v11, v36, v52
	v_or_b32_e32 v36, s12, v140
	s_delay_alu instid0(VALU_DEP_2) | instskip(NEXT) | instid1(VALU_DEP_2)
	v_add3_u32 v11, v11, v53, v54
	v_dual_lshlrev_b32 v52, 2, v36 :: v_dual_lshrrev_b32 v36, 1, v36
	s_delay_alu instid0(VALU_DEP_2) | instskip(NEXT) | instid1(VALU_DEP_1)
	v_add3_u32 v11, v11, v55, v56
	v_add3_u32 v11, v11, v58, v60
	s_delay_alu instid0(VALU_DEP_1) | instskip(NEXT) | instid1(VALU_DEP_1)
	v_add3_u32 v11, v11, v61, v62
	v_add3_u32 v11, v11, v64, v66
	s_delay_alu instid0(VALU_DEP_1) | instskip(NEXT) | instid1(VALU_DEP_1)
	;; [unrolled: 3-line block ×3, first 2 shown]
	v_add3_u32 v11, v11, v84, v86
	v_add3_u32 v11, v11, v92, v133
	s_set_vgpr_msb 20                       ;  msbs: dst=0 src0=0 src1=1 src2=1
	s_delay_alu instid0(VALU_DEP_1) | instskip(NEXT) | instid1(VALU_DEP_1)
	v_add3_u32 v11, v11, v169 /*v425*/, v170 /*v426*/
	v_add3_u32 v11, v11, v171 /*v427*/, v172 /*v428*/
	s_set_vgpr_msb 64                       ;  msbs: dst=1 src0=0 src1=0 src2=0
	ds_load_b128 v[170:173] /*v[426:429]*/, v52 offset:16896
	ds_load_b128 v[174:177] /*v[430:433]*/, v52 offset:16912
	;; [unrolled: 1-line block ×4, first 2 shown]
	s_wait_dscnt 0x3
	s_set_vgpr_msb 1                        ;  msbs: dst=0 src0=1 src1=0 src2=0
	v_bfe_i32 v52, v170 /*v426*/, 0, 8
	v_bfe_i32 v53, v170 /*v426*/, 8, 8
	;; [unrolled: 1-line block ×3, first 2 shown]
	s_set_vgpr_msb 4                        ;  msbs: dst=0 src0=0 src1=1 src2=0
	v_dual_ashrrev_i32 v55, 24, v170 /*v426*/ :: v_dual_ashrrev_i32 v84, 24, v173 /*v429*/
	s_set_vgpr_msb 0x44                     ;  msbs: dst=1 src0=0 src1=1 src2=0
	v_mul_i32_i24_e32 v169 /*v425*/, v52, v102 /*v358*/
	s_set_vgpr_msb 1                        ;  msbs: dst=0 src0=1 src1=0 src2=0
	v_bfe_i32 v56, v171 /*v427*/, 0, 8
	v_bfe_i32 v58, v171 /*v427*/, 8, 8
	;; [unrolled: 1-line block ×3, first 2 shown]
	s_set_vgpr_msb 4                        ;  msbs: dst=0 src0=0 src1=1 src2=0
	v_ashrrev_i32_e32 v61, 24, v171 /*v427*/
	s_set_vgpr_msb 0x54                     ;  msbs: dst=1 src0=0 src1=1 src2=1
	v_mul_i32_i24_e32 v170 /*v426*/, v54, v103 /*v359*/
	v_mul_i32_i24_e32 v171 /*v427*/, v55, v104 /*v360*/
	v_mad_i32_i24 v169 /*v425*/, v53, v101 /*v357*/, v169 /*v425*/
	s_wait_dscnt 0x1
	s_set_vgpr_msb 0x41                     ;  msbs: dst=1 src0=1 src1=0 src2=0
	v_bfe_i32 v198 /*v454*/, v178 /*v434*/, 0, 8
	s_set_vgpr_msb 1                        ;  msbs: dst=0 src0=1 src1=0 src2=0
	v_bfe_i32 v62, v172 /*v428*/, 0, 8
	v_bfe_i32 v64, v172 /*v428*/, 8, 8
	;; [unrolled: 1-line block ×3, first 2 shown]
	s_set_vgpr_msb 0x55                     ;  msbs: dst=1 src0=1 src1=1 src2=1
	v_add3_u32 v169 /*v425*/, v169 /*v425*/, v170 /*v426*/, v171 /*v427*/
	s_set_vgpr_msb 0x44                     ;  msbs: dst=1 src0=0 src1=1 src2=0
	v_mul_i32_i24_e32 v170 /*v426*/, v56, v105 /*v361*/
	v_mul_i32_i24_e32 v171 /*v427*/, v58, v106 /*v362*/
	s_set_vgpr_msb 4                        ;  msbs: dst=0 src0=0 src1=1 src2=0
	v_ashrrev_i32_e32 v67, 24, v172 /*v428*/
	s_set_vgpr_msb 1                        ;  msbs: dst=0 src0=1 src1=0 src2=0
	v_bfe_i32 v69, v173 /*v429*/, 0, 8
	v_bfe_i32 v71, v173 /*v429*/, 8, 8
	;; [unrolled: 1-line block ×3, first 2 shown]
	s_set_vgpr_msb 0x44                     ;  msbs: dst=1 src0=0 src1=1 src2=0
	v_dual_ashrrev_i32 v194 /*v450*/, 24, v176 /*v432*/ :: v_dual_ashrrev_i32 v201 /*v457*/, 24, v178 /*v434*/
	s_set_vgpr_msb 0x41                     ;  msbs: dst=1 src0=1 src1=0 src2=0
	v_bfe_i32 v199 /*v455*/, v178 /*v434*/, 8, 8
	v_bfe_i32 v200 /*v456*/, v178 /*v434*/, 16, 8
	s_set_vgpr_msb 0x44                     ;  msbs: dst=1 src0=0 src1=1 src2=0
	v_mul_i32_i24_e32 v172 /*v428*/, v60, v107 /*v363*/
	v_mul_i32_i24_e32 v173 /*v429*/, v61, v108 /*v364*/
	s_set_vgpr_msb 0x55                     ;  msbs: dst=1 src0=1 src1=1 src2=1
	v_add3_u32 v169 /*v425*/, v169 /*v425*/, v170 /*v426*/, v171 /*v427*/
	v_mul_i32_i24_e32 v170 /*v426*/, v141 /*v397*/, v198 /*v454*/
	v_bfe_i32 v202 /*v458*/, v179 /*v435*/, 0, 8
	v_bfe_i32 v203 /*v459*/, v179 /*v435*/, 8, 8
	v_mul_i32_i24_e32 v171 /*v427*/, v140 /*v396*/, v200 /*v456*/
	v_add3_u32 v169 /*v425*/, v169 /*v425*/, v172 /*v428*/, v173 /*v429*/
	v_mul_i32_i24_e32 v172 /*v428*/, v134 /*v390*/, v201 /*v457*/
	v_mad_i32_i24 v170 /*v426*/, v139 /*v395*/, v199 /*v455*/, v170 /*v426*/
	s_set_vgpr_msb 1                        ;  msbs: dst=0 src0=1 src1=0 src2=0
	v_bfe_i32 v86, v174 /*v430*/, 0, 8
	v_bfe_i32 v92, v174 /*v430*/, 8, 8
	;; [unrolled: 1-line block ×3, first 2 shown]
	s_set_vgpr_msb 0x44                     ;  msbs: dst=1 src0=0 src1=1 src2=0
	v_dual_ashrrev_i32 v186 /*v442*/, 24, v174 /*v430*/ :: v_dual_ashrrev_i32 v190 /*v446*/, 24, v175 /*v431*/
	s_set_vgpr_msb 0x41                     ;  msbs: dst=1 src0=1 src1=0 src2=0
	v_bfe_i32 v187 /*v443*/, v175 /*v431*/, 0, 8
	v_bfe_i32 v188 /*v444*/, v175 /*v431*/, 8, 8
	;; [unrolled: 1-line block ×4, first 2 shown]
	s_set_vgpr_msb 0x44                     ;  msbs: dst=1 src0=0 src1=1 src2=0
	v_dual_ashrrev_i32 v205 /*v461*/, 24, v179 /*v435*/ :: v_dual_ashrrev_i32 v209 /*v465*/, 24, v180 /*v436*/
	v_mul_i32_i24_e32 v174 /*v430*/, v62, v109 /*v365*/
	v_mul_i32_i24_e32 v175 /*v431*/, v64, v110 /*v366*/
	s_set_vgpr_msb 0x55                     ;  msbs: dst=1 src0=1 src1=1 src2=1
	v_add3_u32 v170 /*v426*/, v170 /*v426*/, v171 /*v427*/, v172 /*v428*/
	v_mul_i32_i24_e32 v171 /*v427*/, v144 /*v400*/, v202 /*v458*/
	v_mul_i32_i24_e32 v172 /*v428*/, v143 /*v399*/, v203 /*v459*/
	v_bfe_i32 v191 /*v447*/, v176 /*v432*/, 0, 8
	v_bfe_i32 v192 /*v448*/, v176 /*v432*/, 8, 8
	;; [unrolled: 1-line block ×5, first 2 shown]
	s_set_vgpr_msb 0x44                     ;  msbs: dst=1 src0=0 src1=1 src2=0
	v_mul_i32_i24_e32 v176 /*v432*/, v66, v111 /*v367*/
	v_mul_i32_i24_e32 v178 /*v434*/, v67, v112 /*v368*/
	s_set_vgpr_msb 0x55                     ;  msbs: dst=1 src0=1 src1=1 src2=1
	v_add3_u32 v169 /*v425*/, v169 /*v425*/, v174 /*v430*/, v175 /*v431*/
	v_mul_i32_i24_e32 v173 /*v429*/, v142 /*v398*/, v204 /*v460*/
	v_mul_i32_i24_e32 v174 /*v430*/, v126 /*v382*/, v205 /*v461*/
	v_add3_u32 v170 /*v426*/, v170 /*v426*/, v171 /*v427*/, v172 /*v428*/
	v_bfe_i32 v208 /*v464*/, v180 /*v436*/, 16, 8
	s_set_vgpr_msb 0x44                     ;  msbs: dst=1 src0=0 src1=1 src2=0
	v_mul_i32_i24_e32 v179 /*v435*/, v69, v113 /*v369*/
	v_mul_i32_i24_e32 v180 /*v436*/, v71, v114 /*v370*/
	s_set_vgpr_msb 0x55                     ;  msbs: dst=1 src0=1 src1=1 src2=1
	v_add3_u32 v169 /*v425*/, v169 /*v425*/, v176 /*v432*/, v178 /*v434*/
	v_mul_i32_i24_e32 v175 /*v431*/, v147 /*v403*/, v206 /*v462*/
	v_mul_i32_i24_e32 v176 /*v432*/, v146 /*v402*/, v207 /*v463*/
	v_add3_u32 v170 /*v426*/, v170 /*v426*/, v173 /*v429*/, v174 /*v430*/
	v_bfe_i32 v210 /*v466*/, v181 /*v437*/, 0, 8
	v_bfe_i32 v211 /*v467*/, v181 /*v437*/, 8, 8
	;; [unrolled: 1-line block ×3, first 2 shown]
	v_ashrrev_i32_e32 v213 /*v469*/, 24, v181 /*v437*/
	s_set_vgpr_msb 0x44                     ;  msbs: dst=1 src0=0 src1=1 src2=0
	v_mul_i32_i24_e32 v181 /*v437*/, v82, v115 /*v371*/
	v_mul_i32_i24_e32 v225 /*v481*/, v84, v116 /*v372*/
	s_set_vgpr_msb 0x55                     ;  msbs: dst=1 src0=1 src1=1 src2=1
	v_add3_u32 v169 /*v425*/, v169 /*v425*/, v179 /*v435*/, v180 /*v436*/
	v_mul_i32_i24_e32 v178 /*v434*/, v145 /*v401*/, v208 /*v464*/
	v_mul_i32_i24_e32 v179 /*v435*/, v127 /*v383*/, v209 /*v465*/
	v_add3_u32 v170 /*v426*/, v170 /*v426*/, v175 /*v431*/, v176 /*v432*/
	s_set_vgpr_msb 0x44                     ;  msbs: dst=1 src0=0 src1=1 src2=0
	v_mul_i32_i24_e32 v226 /*v482*/, v86, v117 /*v373*/
	v_mul_i32_i24_e32 v227 /*v483*/, v92, v118 /*v374*/
	s_set_vgpr_msb 0x55                     ;  msbs: dst=1 src0=1 src1=1 src2=1
	v_add3_u32 v169 /*v425*/, v169 /*v425*/, v181 /*v437*/, v225 /*v481*/
	v_mul_i32_i24_e32 v180 /*v436*/, v150 /*v406*/, v210 /*v466*/
	v_mul_i32_i24_e32 v181 /*v437*/, v149 /*v405*/, v211 /*v467*/
	v_add3_u32 v170 /*v426*/, v170 /*v426*/, v178 /*v434*/, v179 /*v435*/
	s_wait_dscnt 0x0
	v_bfe_i32 v214 /*v470*/, v182 /*v438*/, 0, 8
	v_bfe_i32 v215 /*v471*/, v182 /*v438*/, 8, 8
	;; [unrolled: 1-line block ×3, first 2 shown]
	v_ashrrev_i32_e32 v182 /*v438*/, 24, v182 /*v438*/
	s_set_vgpr_msb 0x41                     ;  msbs: dst=1 src0=1 src1=0 src2=0
	v_mul_i32_i24_e32 v228 /*v484*/, v120 /*v376*/, v133
	s_set_vgpr_msb 0x55                     ;  msbs: dst=1 src0=1 src1=1 src2=1
	v_mul_i32_i24_e32 v229 /*v485*/, v119 /*v375*/, v186 /*v442*/
	v_add3_u32 v169 /*v425*/, v169 /*v425*/, v226 /*v482*/, v227 /*v483*/
	v_mul_i32_i24_e32 v225 /*v481*/, v148 /*v404*/, v212 /*v468*/
	v_mul_i32_i24_e32 v226 /*v482*/, v128 /*v384*/, v213 /*v469*/
	v_add3_u32 v170 /*v426*/, v170 /*v426*/, v180 /*v436*/, v181 /*v437*/
	v_mul_i32_i24_e32 v230 /*v486*/, v122 /*v378*/, v187 /*v443*/
	;; [unrolled: 3-line block ×3, first 2 shown]
	v_mul_i32_i24_e32 v228 /*v484*/, v152 /*v408*/, v215 /*v471*/
	v_add3_u32 v170 /*v426*/, v170 /*v426*/, v225 /*v481*/, v226 /*v482*/
	v_bfe_i32 v217 /*v473*/, v183 /*v439*/, 0, 8
	v_bfe_i32 v218 /*v474*/, v183 /*v439*/, 8, 8
	v_mul_i32_i24_e32 v232 /*v488*/, v124 /*v380*/, v189 /*v445*/
	v_mul_i32_i24_e32 v233 /*v489*/, v123 /*v379*/, v190 /*v446*/
	v_add3_u32 v169 /*v425*/, v169 /*v425*/, v230 /*v486*/, v231 /*v487*/
	v_mul_i32_i24_e32 v229 /*v485*/, v151 /*v407*/, v216 /*v472*/
	v_mul_i32_i24_e32 v230 /*v486*/, v129 /*v385*/, v182 /*v438*/
	v_add3_u32 v170 /*v426*/, v170 /*v426*/, v227 /*v483*/, v228 /*v484*/
	v_bfe_i32 v219 /*v475*/, v183 /*v439*/, 16, 8
	v_ashrrev_i32_e32 v183 /*v439*/, 24, v183 /*v439*/
	v_mul_i32_i24_e32 v234 /*v490*/, v132 /*v388*/, v191 /*v447*/
	v_mul_i32_i24_e32 v235 /*v491*/, v125 /*v381*/, v192 /*v448*/
	v_add3_u32 v169 /*v425*/, v169 /*v425*/, v232 /*v488*/, v233 /*v489*/
	v_mul_i32_i24_e32 v231 /*v487*/, v156 /*v412*/, v217 /*v473*/
	v_mul_i32_i24_e32 v232 /*v488*/, v155 /*v411*/, v218 /*v474*/
	v_add3_u32 v170 /*v426*/, v170 /*v426*/, v229 /*v485*/, v230 /*v486*/
	v_bfe_i32 v220 /*v476*/, v184 /*v440*/, 0, 8
	v_bfe_i32 v221 /*v477*/, v184 /*v440*/, 8, 8
	;; [unrolled: 1-line block ×3, first 2 shown]
	v_ashrrev_i32_e32 v184 /*v440*/, 24, v184 /*v440*/
	v_mul_i32_i24_e32 v236 /*v492*/, v136 /*v392*/, v193 /*v449*/
	v_mul_i32_i24_e32 v237 /*v493*/, v133 /*v389*/, v194 /*v450*/
	v_add3_u32 v169 /*v425*/, v169 /*v425*/, v234 /*v490*/, v235 /*v491*/
	v_mul_i32_i24_e32 v233 /*v489*/, v154 /*v410*/, v219 /*v475*/
	v_mul_i32_i24_e32 v234 /*v490*/, v130 /*v386*/, v183 /*v439*/
	v_add3_u32 v170 /*v426*/, v170 /*v426*/, v231 /*v487*/, v232 /*v488*/
	v_mul_i32_i24_e32 v235 /*v491*/, v159 /*v415*/, v220 /*v476*/
	v_add3_u32 v169 /*v425*/, v169 /*v425*/, v236 /*v492*/, v237 /*v493*/
	v_mul_i32_i24_e32 v236 /*v492*/, v158 /*v414*/, v221 /*v477*/
	v_mul_i32_i24_e32 v237 /*v493*/, v157 /*v413*/, v222 /*v478*/
	v_add3_u32 v170 /*v426*/, v170 /*v426*/, v233 /*v489*/, v234 /*v490*/
	v_mul_i32_i24_e32 v240 /*v496*/, v131 /*v387*/, v184 /*v440*/
	s_set_vgpr_msb 64                       ;  msbs: dst=1 src0=0 src1=0 src2=0
	ds_load_b64 v[172:173] /*v[428:429]*/, v36 offset:27200
	s_set_vgpr_msb 0x55                     ;  msbs: dst=1 src0=1 src1=1 src2=1
	v_bfe_i32 v195 /*v451*/, v177 /*v433*/, 0, 8
	v_bfe_i32 v196 /*v452*/, v177 /*v433*/, 8, 8
	v_add3_u32 v170 /*v426*/, v170 /*v426*/, v235 /*v491*/, v236 /*v492*/
	v_bfe_i32 v197 /*v453*/, v177 /*v433*/, 16, 8
	v_ashrrev_i32_e32 v226 /*v482*/, 24, v177 /*v433*/
	v_mul_i32_i24_e32 v238 /*v494*/, v195 /*v451*/, v137 /*v393*/
	v_mul_i32_i24_e32 v239 /*v495*/, v196 /*v452*/, v138 /*v394*/
	v_add3_u32 v225 /*v481*/, v170 /*v426*/, v237 /*v493*/, v240 /*v496*/
	s_set_vgpr_msb 64                       ;  msbs: dst=1 src0=0 src1=0 src2=0
	ds_load_b64 v[170:171] /*v[426:427]*/, v8 offset:27200
	v_bfe_i32 v227 /*v483*/, v3, 16, 8
	v_ashrrev_i32_e32 v228 /*v484*/, 24, v3
	s_set_vgpr_msb 0x55                     ;  msbs: dst=1 src0=1 src1=1 src2=1
	v_add3_u32 v164 /*v420*/, v169 /*v425*/, v238 /*v494*/, v239 /*v495*/
	v_bfe_i32 v223 /*v479*/, v185 /*v441*/, 0, 8
	v_bfe_i32 v224 /*v480*/, v185 /*v441*/, 8, 8
	s_set_vgpr_msb 0x44                     ;  msbs: dst=1 src0=0 src1=1 src2=0
	v_mul_i32_i24_e32 v229 /*v485*/, v86, v58 /*v314*/
	s_set_vgpr_msb 0x45                     ;  msbs: dst=1 src0=1 src1=1 src2=0
	v_mul_i32_i24_e32 v166 /*v422*/, v36 /*v292*/, v228 /*v484*/
	s_set_vgpr_msb 0x44                     ;  msbs: dst=1 src0=0 src1=1 src2=0
	v_mul_i32_i24_e32 v230 /*v486*/, v92, v59 /*v315*/
	s_set_vgpr_msb 0x45                     ;  msbs: dst=1 src0=1 src1=1 src2=0
	v_mul_i32_i24_e32 v241 /*v497*/, v223 /*v479*/, v135 /*v391*/
	s_set_vgpr_msb 0x41                     ;  msbs: dst=1 src0=1 src1=0 src2=0
	v_mul_i32_i24_e32 v231 /*v487*/, v61 /*v317*/, v133
	s_wait_dscnt 0x1
	s_set_vgpr_msb 4                        ;  msbs: dst=0 src0=0 src1=1 src2=0
	v_lshrrev_b32_e32 v36, 16, v172 /*v428*/
	s_set_vgpr_msb 0x41                     ;  msbs: dst=1 src0=1 src1=0 src2=0
	v_cvt_f32_f16_e64 v175 /*v431*/, v172 /*v428*/
	v_cvt_f32_f16_e64 v179 /*v435*/, v173 /*v429*/
	v_mul_i32_i24_e32 v172 /*v428*/, v33 /*v289*/, v7
	s_set_vgpr_msb 0x45                     ;  msbs: dst=1 src0=1 src1=1 src2=0
	v_mul_i32_i24_e32 v232 /*v488*/, v60 /*v316*/, v186 /*v442*/
	s_set_vgpr_msb 64                       ;  msbs: dst=1 src0=0 src1=0 src2=0
	v_cvt_f32_f16_e64 v177 /*v433*/, v36
	s_set_vgpr_msb 1                        ;  msbs: dst=0 src0=1 src1=0 src2=0
	v_bfe_i32 v36, v185 /*v441*/, 16, 8
	s_set_vgpr_msb 0x45                     ;  msbs: dst=1 src0=1 src1=1 src2=0
	v_ashrrev_i32_e32 v185 /*v441*/, 24, v185 /*v441*/
	v_mul_i32_i24_e32 v233 /*v489*/, v63 /*v319*/, v187 /*v443*/
	s_wait_dscnt 0x0
	s_set_vgpr_msb 4                        ;  msbs: dst=0 src0=0 src1=1 src2=0
	v_dual_lshrrev_b32 v8, 16, v170 /*v426*/ :: v_dual_lshrrev_b32 v3, 16, v171 /*v427*/
	s_set_vgpr_msb 0x45                     ;  msbs: dst=1 src0=1 src1=1 src2=0
	v_cvt_f32_f16_e64 v174 /*v430*/, v170 /*v426*/
	v_cvt_f32_f16_e64 v178 /*v434*/, v171 /*v427*/
	v_mul_i32_i24_e32 v169 /*v425*/, v36 /*v292*/, v185 /*v441*/
	s_set_vgpr_msb 64                       ;  msbs: dst=1 src0=0 src1=0 src2=0
	v_cvt_f32_f16_e64 v176 /*v432*/, v8
	s_set_vgpr_msb 4                        ;  msbs: dst=0 src0=0 src1=1 src2=0
	v_lshrrev_b32_e32 v8, 16, v173 /*v429*/
	s_set_vgpr_msb 64                       ;  msbs: dst=1 src0=0 src1=0 src2=0
	v_cvt_f32_f16_e64 v170 /*v426*/, v3
	s_set_vgpr_msb 4                        ;  msbs: dst=0 src0=0 src1=1 src2=0
	v_mul_i32_i24_e32 v3, v4, v34 /*v290*/
	s_set_vgpr_msb 0x45                     ;  msbs: dst=1 src0=1 src1=1 src2=0
	v_mul_i32_i24_e32 v173 /*v429*/, v33 /*v289*/, v226 /*v482*/
	s_set_vgpr_msb 0x44                     ;  msbs: dst=1 src0=0 src1=1 src2=0
	v_pk_fma_f32 v[180:181] /*v[436:437]*/, v[120:121], v[176:177] /*v[432:433]*/, 0 op_sel_hi:[0,1,0]
	v_cvt_f32_f16_e64 v171 /*v427*/, v8
	s_set_vgpr_msb 5                        ;  msbs: dst=0 src0=1 src1=1 src2=0
	v_mul_i32_i24_e32 v8, v197 /*v453*/, v34 /*v290*/
	s_set_vgpr_msb 17                       ;  msbs: dst=0 src0=1 src1=0 src2=1
	v_add3_u32 v3, v163 /*v419*/, v3, v172 /*v428*/
	s_set_vgpr_msb 0x45                     ;  msbs: dst=1 src0=1 src1=1 src2=0
	v_mul_i32_i24_e32 v163 /*v419*/, v37 /*v293*/, v227 /*v483*/
	v_mul_i32_i24_e32 v234 /*v490*/, v62 /*v318*/, v188 /*v444*/
	;; [unrolled: 1-line block ×3, first 2 shown]
	s_set_vgpr_msb 17                       ;  msbs: dst=0 src0=1 src1=0 src2=1
	v_add3_u32 v8, v164 /*v420*/, v8, v173 /*v429*/
	s_set_vgpr_msb 4                        ;  msbs: dst=0 src0=0 src1=1 src2=0
	v_mul_lo_u32 v3, v3, v32 /*v288*/
	s_set_vgpr_msb 0x41                     ;  msbs: dst=1 src0=1 src1=0 src2=0
	v_mul_i32_i24_e32 v164 /*v420*/, v37 /*v293*/, v36
	s_set_vgpr_msb 0x45                     ;  msbs: dst=1 src0=1 src1=1 src2=0
	v_mul_i32_i24_e32 v236 /*v492*/, v64 /*v320*/, v190 /*v446*/
	v_mul_i32_i24_e32 v237 /*v493*/, v67 /*v323*/, v191 /*v447*/
	s_set_vgpr_msb 4                        ;  msbs: dst=0 src0=0 src1=1 src2=0
	v_mul_lo_u32 v8, v8, v32 /*v288*/
	s_set_vgpr_msb 0x45                     ;  msbs: dst=1 src0=1 src1=1 src2=0
	v_mul_i32_i24_e32 v238 /*v494*/, v66 /*v322*/, v192 /*v448*/
	v_mul_i32_i24_e32 v239 /*v495*/, v70 /*v326*/, v193 /*v449*/
	;; [unrolled: 1-line block ×6, first 2 shown]
	s_set_vgpr_msb 64                       ;  msbs: dst=1 src0=0 src1=0 src2=0
	v_cvt_f32_i32_e32 v172 /*v428*/, v3
	s_set_vgpr_msb 5                        ;  msbs: dst=0 src0=1 src1=1 src2=0
	v_mul_i32_i24_e32 v3, v224 /*v480*/, v38 /*v294*/
	s_set_vgpr_msb 64                       ;  msbs: dst=1 src0=0 src1=0 src2=0
	v_mul_i32_i24_e32 v165 /*v421*/, v67, v240
	s_set_vgpr_msb 4                        ;  msbs: dst=0 src0=0 src1=1 src2=0
	v_mul_i32_i24_e32 v12, v113, v227 /*v483*/
	s_set_vgpr_msb 64                       ;  msbs: dst=1 src0=0 src1=0 src2=0
	v_cvt_f32_i32_e32 v173 /*v429*/, v8
	s_set_vgpr_msb 4                        ;  msbs: dst=0 src0=0 src1=1 src2=0
	v_mul_i32_i24_e32 v8, v0, v38 /*v294*/
	s_set_vgpr_msb 5                        ;  msbs: dst=0 src0=1 src1=1 src2=0
	v_add3_u32 v3, v225 /*v481*/, v241 /*v497*/, v3
	s_set_vgpr_msb 0x44                     ;  msbs: dst=1 src0=0 src1=1 src2=0
	v_mul_i32_i24_e32 v225 /*v481*/, v84, v57 /*v313*/
	s_set_vgpr_msb 0x45                     ;  msbs: dst=1 src0=1 src1=1 src2=0
	v_mul_i32_i24_e32 v241 /*v497*/, v195 /*v451*/, v74 /*v330*/
	v_pk_fma_f32 v[172:173] /*v[428:429]*/, v[174:175] /*v[430:431]*/, v[172:173] /*v[428:429]*/, 0 op_sel_hi:[1,1,0]
	s_set_vgpr_msb 5                        ;  msbs: dst=0 src0=1 src1=1 src2=0
	v_add3_u32 v8, v168 /*v424*/, v167 /*v423*/, v8
	s_set_vgpr_msb 20                       ;  msbs: dst=0 src0=0 src1=1 src2=1
	v_add3_u32 v3, v3, v164 /*v420*/, v169 /*v425*/
	s_set_vgpr_msb 0x54                     ;  msbs: dst=1 src0=0 src1=1 src2=1
	v_pk_fma_f32 v[168:169] /*v[424:425]*/, v[122:123], v[170:171] /*v[426:427]*/, v[180:181] /*v[436:437]*/ op_sel_hi:[0,1,1]
	v_mul_i32_i24_e32 v164 /*v420*/, v60, v48 /*v304*/
	v_mul_i32_i24_e32 v180 /*v436*/, v71, v55 /*v311*/
	s_set_vgpr_msb 20                       ;  msbs: dst=0 src0=0 src1=1 src2=1
	v_add3_u32 v8, v8, v163 /*v419*/, v166 /*v422*/
	v_mul_lo_u32 v3, v3, v35 /*v291*/
	s_set_vgpr_msb 0x41                     ;  msbs: dst=1 src0=1 src1=0 src2=0
	v_pk_mul_f32 v[168:169] /*v[424:425]*/, v[168:169] /*v[424:425]*/, v[102:103]
	s_set_vgpr_msb 0x44                     ;  msbs: dst=1 src0=0 src1=1 src2=0
	v_mul_i32_i24_e32 v163 /*v419*/, v55, v45 /*v301*/
	v_mul_i32_i24_e32 v181 /*v437*/, v82, v56 /*v312*/
	s_set_vgpr_msb 4                        ;  msbs: dst=0 src0=0 src1=1 src2=0
	v_mul_lo_u32 v8, v8, v35 /*v291*/
	s_set_vgpr_msb 0x44                     ;  msbs: dst=1 src0=0 src1=1 src2=0
	v_mul_i32_i24_e32 v160 /*v416*/, v223, v184 /*v440*/
	s_set_vgpr_msb 0                        ;  msbs: dst=0 src0=0 src1=0 src2=0
	v_mul_i32_i24_e32 v0, v0, v162
	s_set_vgpr_msb 64                       ;  msbs: dst=1 src0=0 src1=0 src2=0
	v_cvt_f32_i32_e32 v167 /*v423*/, v3
	s_set_vgpr_msb 4                        ;  msbs: dst=0 src0=0 src1=1 src2=0
	v_mul_i32_i24_e32 v3, v52, v43 /*v299*/
	s_set_vgpr_msb 0                        ;  msbs: dst=0 src0=0 src1=0 src2=0
	v_add3_u32 v0, v11, v6, v0
	s_set_vgpr_msb 64                       ;  msbs: dst=1 src0=0 src1=0 src2=0
	v_cvt_f32_i32_e32 v166 /*v422*/, v8
	s_set_vgpr_msb 4                        ;  msbs: dst=0 src0=0 src1=1 src2=0
	v_mul_i32_i24_e32 v8, v54, v44 /*v300*/
	v_mad_i32_i24 v3, v53, v42 /*v298*/, v3
	s_set_vgpr_msb 0x55                     ;  msbs: dst=1 src0=1 src1=1 src2=1
	v_pk_fma_f32 v[166:167] /*v[422:423]*/, v[178:179] /*v[434:435]*/, v[166:167] /*v[422:423]*/, v[172:173] /*v[428:429]*/
	s_set_vgpr_msb 0x44                     ;  msbs: dst=1 src0=0 src1=1 src2=0
	v_mul_i32_i24_e32 v172 /*v428*/, v67, v53 /*v309*/
	s_set_vgpr_msb 16                       ;  msbs: dst=0 src0=0 src1=0 src2=1
	v_add3_u32 v3, v3, v8, v163 /*v419*/
	s_set_vgpr_msb 4                        ;  msbs: dst=0 src0=0 src1=1 src2=0
	v_mul_i32_i24_e32 v8, v56, v46 /*v302*/
	s_set_vgpr_msb 0x44                     ;  msbs: dst=1 src0=0 src1=1 src2=0
	v_mul_i32_i24_e32 v163 /*v419*/, v58, v47 /*v303*/
	s_set_vgpr_msb 0x51                     ;  msbs: dst=1 src0=1 src1=0 src2=1
	v_pk_fma_f32 v[166:167] /*v[422:423]*/, v[166:167] /*v[422:423]*/, v[94:95], v[168:169] /*v[424:425]*/ neg_lo:[0,0,1] neg_hi:[0,0,1]
	s_set_vgpr_msb 0x44                     ;  msbs: dst=1 src0=0 src1=1 src2=0
	v_mul_i32_i24_e32 v168 /*v424*/, v64, v51 /*v307*/
	v_mul_i32_i24_e32 v169 /*v425*/, v66, v52 /*v308*/
	;; [unrolled: 1-line block ×3, first 2 shown]
	s_set_vgpr_msb 16                       ;  msbs: dst=0 src0=0 src1=0 src2=1
	v_add3_u32 v3, v3, v8, v163 /*v419*/
	s_set_vgpr_msb 4                        ;  msbs: dst=0 src0=0 src1=1 src2=0
	v_pk_add_f32 v[42:43], v[42:43], v[166:167] /*v[422:423]*/
	s_set_vgpr_msb 0x44                     ;  msbs: dst=1 src0=0 src1=1 src2=0
	v_mul_i32_i24_e32 v166 /*v422*/, v61, v49 /*v305*/
	v_mul_i32_i24_e32 v167 /*v423*/, v62, v50 /*v306*/
	s_set_vgpr_msb 5                        ;  msbs: dst=0 src0=1 src1=1 src2=0
	v_mul_i32_i24_e32 v8, v198 /*v454*/, v72 /*v328*/
	s_set_vgpr_msb 0x45                     ;  msbs: dst=1 src0=1 src1=1 src2=0
	v_mul_i32_i24_e32 v163 /*v419*/, v200 /*v456*/, v69 /*v325*/
	s_set_vgpr_msb 20                       ;  msbs: dst=0 src0=0 src1=1 src2=1
	v_add3_u32 v3, v3, v164 /*v420*/, v166 /*v422*/
	s_set_vgpr_msb 0x45                     ;  msbs: dst=1 src0=1 src1=1 src2=0
	v_mul_i32_i24_e32 v164 /*v420*/, v201 /*v457*/, v75 /*v331*/
	s_set_vgpr_msb 5                        ;  msbs: dst=0 src0=1 src1=1 src2=0
	v_mad_i32_i24 v8, v199 /*v455*/, v71 /*v327*/, v8
	s_set_vgpr_msb 0x45                     ;  msbs: dst=1 src0=1 src1=1 src2=0
	v_mul_i32_i24_e32 v166 /*v422*/, v204 /*v460*/, v73 /*v329*/
	s_set_vgpr_msb 20                       ;  msbs: dst=0 src0=0 src1=1 src2=1
	v_add3_u32 v3, v3, v167 /*v423*/, v168 /*v424*/
	s_set_vgpr_msb 0x45                     ;  msbs: dst=1 src0=1 src1=1 src2=0
	v_mul_i32_i24_e32 v167 /*v423*/, v205 /*v461*/, v80 /*v336*/
	s_set_vgpr_msb 20                       ;  msbs: dst=0 src0=0 src1=1 src2=1
	v_add3_u32 v8, v8, v163 /*v419*/, v164 /*v420*/
	s_set_vgpr_msb 0x45                     ;  msbs: dst=1 src0=1 src1=1 src2=0
	v_mul_i32_i24_e32 v163 /*v419*/, v202 /*v458*/, v77 /*v333*/
	v_mul_i32_i24_e32 v164 /*v420*/, v203 /*v459*/, v78 /*v334*/
	s_set_vgpr_msb 20                       ;  msbs: dst=0 src0=0 src1=1 src2=1
	v_add3_u32 v3, v3, v169 /*v425*/, v172 /*v428*/
	s_set_vgpr_msb 0x45                     ;  msbs: dst=1 src0=1 src1=1 src2=0
	v_mul_i32_i24_e32 v168 /*v424*/, v206 /*v462*/, v81 /*v337*/
	v_mul_i32_i24_e32 v169 /*v425*/, v207 /*v463*/, v82 /*v338*/
	v_mul_i32_i24_e32 v172 /*v428*/, v208 /*v464*/, v79 /*v335*/
	s_set_vgpr_msb 20                       ;  msbs: dst=0 src0=0 src1=1 src2=1
	v_add3_u32 v8, v8, v163 /*v419*/, v164 /*v420*/
	v_add3_u32 v3, v3, v173 /*v429*/, v180 /*v436*/
	s_set_vgpr_msb 0x45                     ;  msbs: dst=1 src0=1 src1=1 src2=0
	v_mul_i32_i24_e32 v173 /*v429*/, v209 /*v465*/, v84 /*v340*/
	v_mul_i32_i24_e32 v180 /*v436*/, v210 /*v466*/, v85 /*v341*/
	v_mul_i32_i24_e32 v164 /*v420*/, v197 /*v453*/, v41 /*v297*/
	s_set_vgpr_msb 20                       ;  msbs: dst=0 src0=0 src1=1 src2=1
	v_add3_u32 v8, v8, v166 /*v422*/, v167 /*v423*/
	;; [unrolled: 7-line block ×3, first 2 shown]
	v_add3_u32 v3, v3, v229 /*v485*/, v230 /*v486*/
	s_set_vgpr_msb 0x45                     ;  msbs: dst=1 src0=1 src1=1 src2=0
	v_mul_i32_i24_e32 v229 /*v485*/, v213 /*v469*/, v87 /*v343*/
	v_mul_i32_i24_e32 v230 /*v486*/, v88 /*v344*/, v214 /*v470*/
	s_set_vgpr_msb 0x44                     ;  msbs: dst=1 src0=0 src1=1 src2=0
	v_mul_i32_i24_e32 v163 /*v419*/, v4, v41 /*v297*/
	s_set_vgpr_msb 20                       ;  msbs: dst=0 src0=0 src1=1 src2=1
	v_add3_u32 v8, v8, v172 /*v428*/, v173 /*v429*/
	v_add3_u32 v3, v3, v231 /*v487*/, v232 /*v488*/
	s_set_vgpr_msb 0x45                     ;  msbs: dst=1 src0=1 src1=1 src2=0
	v_mul_i32_i24_e32 v231 /*v487*/, v89 /*v345*/, v215 /*v471*/
	v_mul_i32_i24_e32 v232 /*v488*/, v91 /*v347*/, v216 /*v472*/
	s_set_vgpr_msb 0x41                     ;  msbs: dst=1 src0=1 src1=0 src2=0
	v_mul_i32_i24_e32 v166 /*v422*/, v40 /*v296*/, v7
	s_set_vgpr_msb 20                       ;  msbs: dst=0 src0=0 src1=1 src2=1
	v_add3_u32 v8, v8, v180 /*v436*/, v181 /*v437*/
	v_add3_u32 v3, v3, v233 /*v489*/, v234 /*v490*/
	s_set_vgpr_msb 0x45                     ;  msbs: dst=1 src0=1 src1=1 src2=0
	v_mul_i32_i24_e32 v233 /*v489*/, v90 /*v346*/, v182 /*v438*/
	v_mul_i32_i24_e32 v234 /*v490*/, v92 /*v348*/, v217 /*v473*/
	s_set_vgpr_msb 20                       ;  msbs: dst=0 src0=0 src1=1 src2=1
	v_add3_u32 v14, v14, v163 /*v419*/, v166 /*v422*/
	v_add3_u32 v8, v8, v225 /*v481*/, v229 /*v485*/
	;; [unrolled: 1-line block ×3, first 2 shown]
	s_set_vgpr_msb 0x45                     ;  msbs: dst=1 src0=1 src1=1 src2=0
	v_mul_i32_i24_e32 v235 /*v491*/, v93 /*v349*/, v218 /*v474*/
	v_mul_i32_i24_e32 v236 /*v492*/, v95 /*v351*/, v219 /*v475*/
	s_set_vgpr_msb 0x44                     ;  msbs: dst=1 src0=0 src1=1 src2=0
	v_mul_i32_i24_e32 v163 /*v419*/, v157, v227 /*v483*/
	s_set_vgpr_msb 20                       ;  msbs: dst=0 src0=0 src1=1 src2=1
	v_add3_u32 v8, v8, v230 /*v486*/, v231 /*v487*/
	v_add3_u32 v3, v3, v237 /*v493*/, v238 /*v494*/
	s_set_vgpr_msb 0x45                     ;  msbs: dst=1 src0=1 src1=1 src2=0
	v_mul_i32_i24_e32 v237 /*v493*/, v94 /*v350*/, v183 /*v439*/
	v_mul_i32_i24_e32 v238 /*v494*/, v96 /*v352*/, v220 /*v476*/
	s_set_vgpr_msb 0x44                     ;  msbs: dst=1 src0=0 src1=1 src2=0
	v_mul_i32_i24_e32 v168 /*v424*/, v119, v228 /*v484*/
	s_set_vgpr_msb 20                       ;  msbs: dst=0 src0=0 src1=1 src2=1
	v_add3_u32 v8, v8, v232 /*v488*/, v233 /*v489*/
	v_add3_u32 v3, v3, v239 /*v495*/, v240 /*v496*/
	;; [unrolled: 8-line block ×3, first 2 shown]
	v_mul_lo_u32 v14, v14, v39 /*v295*/
	s_set_vgpr_msb 64                       ;  msbs: dst=1 src0=0 src1=0 src2=0
	v_mul_i32_i24_e32 v172 /*v428*/, v86, v245
	v_mul_i32_i24_e32 v173 /*v429*/, v92, v246
	s_set_vgpr_msb 20                       ;  msbs: dst=0 src0=0 src1=1 src2=1
	v_add3_u32 v8, v8, v236 /*v492*/, v237 /*v493*/
	v_add3_u32 v3, v3, v164 /*v420*/, v167 /*v423*/
	s_set_vgpr_msb 64                       ;  msbs: dst=1 src0=0 src1=0 src2=0
	v_mul_i32_i24_e32 v164 /*v420*/, v157, v36
	s_set_vgpr_msb 0x44                     ;  msbs: dst=1 src0=0 src1=1 src2=0
	v_pk_fma_f32 v[166:167] /*v[422:423]*/, v[124:125], v[176:177] /*v[432:433]*/, 0 op_sel_hi:[0,1,0]
	s_set_vgpr_msb 64                       ;  msbs: dst=1 src0=0 src1=0 src2=0
	v_mul_i32_i24_e32 v180 /*v436*/, v248, v133
	s_set_vgpr_msb 20                       ;  msbs: dst=0 src0=0 src1=1 src2=1
	v_add3_u32 v8, v8, v238 /*v494*/, v239 /*v495*/
	v_mul_lo_u32 v3, v3, v39 /*v295*/
	s_set_vgpr_msb 0x44                     ;  msbs: dst=1 src0=0 src1=1 src2=0
	v_mul_i32_i24_e32 v181 /*v437*/, v247, v186 /*v442*/
	s_set_vgpr_msb 0                        ;  msbs: dst=0 src0=0 src1=0 src2=0
	v_cvt_f32_i32_e32 v14, v14
	s_set_vgpr_msb 0x44                     ;  msbs: dst=1 src0=0 src1=1 src2=0
	v_mul_i32_i24_e32 v225 /*v481*/, v250, v187 /*v443*/
	s_set_vgpr_msb 20                       ;  msbs: dst=0 src0=0 src1=1 src2=1
	v_add3_u32 v8, v8, v240 /*v496*/, v243 /*v499*/
	s_set_vgpr_msb 0x44                     ;  msbs: dst=1 src0=0 src1=1 src2=0
	v_mul_i32_i24_e32 v229 /*v485*/, v249, v188 /*v444*/
	v_mul_i32_i24_e32 v230 /*v486*/, v252, v189 /*v445*/
	;; [unrolled: 1-line block ×5, first 2 shown]
	s_set_vgpr_msb 0x45                     ;  msbs: dst=1 src0=1 src1=1 src2=0
	v_mul_i32_i24_e32 v234 /*v490*/, v1 /*v257*/, v193 /*v449*/
	s_set_vgpr_msb 0                        ;  msbs: dst=0 src0=0 src1=0 src2=0
	v_cvt_f32_i32_e32 v15, v3
	s_set_vgpr_msb 1                        ;  msbs: dst=0 src0=1 src1=0 src2=0
	v_mul_i32_i24_e32 v3, v224 /*v480*/, v158
	s_set_vgpr_msb 0x44                     ;  msbs: dst=1 src0=0 src1=1 src2=0
	v_mul_i32_i24_e32 v235 /*v491*/, v255, v194 /*v450*/
	s_set_vgpr_msb 0x45                     ;  msbs: dst=1 src0=1 src1=1 src2=0
	v_mul_i32_i24_e32 v236 /*v492*/, v195 /*v451*/, v5 /*v261*/
	v_mul_i32_i24_e32 v237 /*v493*/, v196 /*v452*/, v7 /*v263*/
	s_set_vgpr_msb 1                        ;  msbs: dst=0 src0=1 src1=0 src2=0
	v_pk_fma_f32 v[14:15], v[174:175] /*v[430:431]*/, v[14:15], 0 op_sel_hi:[1,1,0]
	s_set_vgpr_msb 4                        ;  msbs: dst=0 src0=0 src1=1 src2=0
	v_add3_u32 v3, v8, v244 /*v500*/, v3
	s_set_vgpr_msb 21                       ;  msbs: dst=0 src0=1 src1=1 src2=1
	v_add3_u32 v8, v161 /*v417*/, v163 /*v419*/, v168 /*v424*/
	s_set_vgpr_msb 64                       ;  msbs: dst=1 src0=0 src1=0 src2=0
	v_mul_i32_i24_e32 v161 /*v417*/, v61, v236
	v_mul_i32_i24_e32 v168 /*v424*/, v82, v243
	s_set_vgpr_msb 0x45                     ;  msbs: dst=1 src0=1 src1=1 src2=0
	v_mul_i32_i24_e32 v238 /*v494*/, v29 /*v285*/, v184 /*v440*/
	s_set_vgpr_msb 20                       ;  msbs: dst=0 src0=0 src1=1 src2=1
	v_add3_u32 v3, v3, v164 /*v420*/, v169 /*v425*/
	s_set_vgpr_msb 0                        ;  msbs: dst=0 src0=0 src1=0 src2=0
	v_mul_lo_u32 v8, v8, v159
	s_set_vgpr_msb 64                       ;  msbs: dst=1 src0=0 src1=0 src2=0
	v_mul_i32_i24_e32 v164 /*v420*/, v66, v239
	v_mul_i32_i24_e32 v169 /*v425*/, v84, v244
	s_set_vgpr_msb 0x45                     ;  msbs: dst=1 src0=1 src1=1 src2=0
	v_mul_i32_i24_e32 v239 /*v495*/, v223 /*v479*/, v31 /*v287*/
	s_set_vgpr_msb 0                        ;  msbs: dst=0 src0=0 src1=0 src2=0
	v_mul_lo_u32 v3, v3, v159
	s_set_vgpr_msb 64                       ;  msbs: dst=1 src0=0 src1=0 src2=0
	v_cvt_f32_i32_e32 v162 /*v418*/, v8
	s_set_vgpr_msb 0                        ;  msbs: dst=0 src0=0 src1=0 src2=0
	v_mul_i32_i24_e32 v8, v54, v231
	s_set_vgpr_msb 64                       ;  msbs: dst=1 src0=0 src1=0 src2=0
	s_delay_alu instid0(VALU_DEP_3) | instskip(SKIP_3) | instid1(VALU_DEP_2)
	v_cvt_f32_i32_e32 v163 /*v419*/, v3
	s_set_vgpr_msb 0                        ;  msbs: dst=0 src0=0 src1=0 src2=0
	v_mul_i32_i24_e32 v3, v52, v230
	s_set_vgpr_msb 5                        ;  msbs: dst=0 src0=1 src1=1 src2=0
	v_pk_fma_f32 v[14:15], v[178:179] /*v[434:435]*/, v[162:163] /*v[418:419]*/, v[14:15]
	s_set_vgpr_msb 0x54                     ;  msbs: dst=1 src0=0 src1=1 src2=1
	v_pk_fma_f32 v[162:163] /*v[418:419]*/, v[118:119], v[170:171] /*v[426:427]*/, v[166:167] /*v[422:423]*/ op_sel_hi:[0,1,1]
	s_set_vgpr_msb 0                        ;  msbs: dst=0 src0=0 src1=0 src2=0
	v_mad_i32_i24 v3, v53, v229, v3
	s_set_vgpr_msb 64                       ;  msbs: dst=1 src0=0 src1=0 src2=0
	v_mul_i32_i24_e32 v166 /*v422*/, v69, v241
	v_mul_i32_i24_e32 v167 /*v423*/, v71, v242
	s_set_vgpr_msb 0x41                     ;  msbs: dst=1 src0=1 src1=0 src2=0
	v_pk_mul_f32 v[162:163] /*v[418:419]*/, v[162:163] /*v[418:419]*/, v[104:105]
	s_set_vgpr_msb 16                       ;  msbs: dst=0 src0=0 src1=0 src2=1
	s_delay_alu instid0(VALU_DEP_1)
	v_pk_fma_f32 v[14:15], v[14:15], v[96:97], v[162:163] /*v[418:419]*/ neg_lo:[0,0,1] neg_hi:[0,0,1]
	s_set_vgpr_msb 64                       ;  msbs: dst=1 src0=0 src1=0 src2=0
	v_mul_i32_i24_e32 v162 /*v418*/, v62, v237
	v_mul_i32_i24_e32 v163 /*v419*/, v64, v238
	s_set_vgpr_msb 0                        ;  msbs: dst=0 src0=0 src1=0 src2=0
	v_pk_add_f32 v[38:39], v[38:39], v[14:15]
	v_mul_i32_i24_e32 v14, v55, v232
	v_mul_i32_i24_e32 v15, v60, v235
	s_delay_alu instid0(VALU_DEP_2) | instskip(SKIP_2) | instid1(VALU_DEP_1)
	v_add3_u32 v3, v3, v8, v14
	v_mul_i32_i24_e32 v8, v56, v233
	v_mul_i32_i24_e32 v14, v58, v234
	v_add3_u32 v3, v3, v8, v14
	s_set_vgpr_msb 5                        ;  msbs: dst=0 src0=1 src1=1 src2=0
	v_mul_i32_i24_e32 v8, v198 /*v454*/, v3 /*v259*/
	v_mul_i32_i24_e32 v14, v200 /*v456*/, v0 /*v256*/
	s_set_vgpr_msb 16                       ;  msbs: dst=0 src0=0 src1=0 src2=1
	v_add3_u32 v3, v3, v15, v161 /*v417*/
	s_set_vgpr_msb 5                        ;  msbs: dst=0 src0=1 src1=1 src2=0
	v_mul_i32_i24_e32 v15, v201 /*v457*/, v6 /*v262*/
	v_mad_i32_i24 v8, v199 /*v455*/, v2 /*v258*/, v8
	s_set_vgpr_msb 0x45                     ;  msbs: dst=1 src0=1 src1=1 src2=0
	v_mul_i32_i24_e32 v161 /*v417*/, v204 /*v460*/, v4 /*v260*/
	s_set_vgpr_msb 20                       ;  msbs: dst=0 src0=0 src1=1 src2=1
	v_add3_u32 v3, v3, v162 /*v418*/, v163 /*v419*/
	s_set_vgpr_msb 0x45                     ;  msbs: dst=1 src0=1 src1=1 src2=0
	v_mul_i32_i24_e32 v162 /*v418*/, v205 /*v461*/, v11 /*v267*/
	s_set_vgpr_msb 0                        ;  msbs: dst=0 src0=0 src1=0 src2=0
	v_add3_u32 v8, v8, v14, v15
	s_set_vgpr_msb 5                        ;  msbs: dst=0 src0=1 src1=1 src2=0
	v_mul_i32_i24_e32 v14, v202 /*v458*/, v8 /*v264*/
	v_mul_i32_i24_e32 v15, v203 /*v459*/, v9 /*v265*/
	s_set_vgpr_msb 20                       ;  msbs: dst=0 src0=0 src1=1 src2=1
	v_add3_u32 v3, v3, v164 /*v420*/, v165 /*v421*/
	s_set_vgpr_msb 0x45                     ;  msbs: dst=1 src0=1 src1=1 src2=0
	v_mul_i32_i24_e32 v163 /*v419*/, v206 /*v462*/, v12 /*v268*/
	v_mul_i32_i24_e32 v164 /*v420*/, v207 /*v463*/, v13 /*v269*/
	;; [unrolled: 1-line block ×3, first 2 shown]
	s_set_vgpr_msb 0                        ;  msbs: dst=0 src0=0 src1=0 src2=0
	v_add3_u32 v8, v8, v14, v15
	s_set_vgpr_msb 20                       ;  msbs: dst=0 src0=0 src1=1 src2=1
	v_add3_u32 v3, v3, v166 /*v422*/, v167 /*v423*/
	s_set_vgpr_msb 0x45                     ;  msbs: dst=1 src0=1 src1=1 src2=0
	v_mul_i32_i24_e32 v166 /*v422*/, v209 /*v465*/, v15 /*v271*/
	v_mul_i32_i24_e32 v167 /*v423*/, v210 /*v466*/, v16 /*v272*/
	s_set_vgpr_msb 1                        ;  msbs: dst=0 src0=1 src1=0 src2=0
	v_mul_i32_i24_e32 v14, v197 /*v453*/, v228
	s_set_vgpr_msb 20                       ;  msbs: dst=0 src0=0 src1=1 src2=1
	v_add3_u32 v8, v8, v161 /*v417*/, v162 /*v418*/
	v_add3_u32 v3, v3, v168 /*v424*/, v169 /*v425*/
	s_set_vgpr_msb 0x45                     ;  msbs: dst=1 src0=1 src1=1 src2=0
	v_mul_i32_i24_e32 v168 /*v424*/, v211 /*v467*/, v17 /*v273*/
	v_mul_i32_i24_e32 v169 /*v425*/, v212 /*v468*/, v14 /*v270*/
	s_set_vgpr_msb 0x44                     ;  msbs: dst=1 src0=0 src1=1 src2=0
	v_mul_i32_i24_e32 v162 /*v418*/, v227, v226 /*v482*/
	s_set_vgpr_msb 20                       ;  msbs: dst=0 src0=0 src1=1 src2=1
	v_add3_u32 v8, v8, v163 /*v419*/, v164 /*v420*/
	v_add3_u32 v3, v3, v172 /*v428*/, v173 /*v429*/
	s_set_vgpr_msb 0x45                     ;  msbs: dst=1 src0=1 src1=1 src2=0
	v_mul_i32_i24_e32 v172 /*v428*/, v213 /*v469*/, v18 /*v274*/
	v_mul_i32_i24_e32 v173 /*v429*/, v19 /*v275*/, v214 /*v470*/
	s_set_vgpr_msb 0                        ;  msbs: dst=0 src0=0 src1=0 src2=0
	v_mul_i32_i24_e32 v15, v227, v7
	s_set_vgpr_msb 20                       ;  msbs: dst=0 src0=0 src1=1 src2=1
	v_add3_u32 v8, v8, v165 /*v421*/, v166 /*v422*/
	v_add3_u32 v3, v3, v180 /*v436*/, v181 /*v437*/
	s_set_vgpr_msb 0x45                     ;  msbs: dst=1 src0=1 src1=1 src2=0
	v_mul_i32_i24_e32 v180 /*v436*/, v20 /*v276*/, v215 /*v471*/
	v_mul_i32_i24_e32 v181 /*v437*/, v22 /*v278*/, v216 /*v472*/
	s_set_vgpr_msb 0x44                     ;  msbs: dst=1 src0=0 src1=1 src2=0
	v_mul_i32_i24_e32 v163 /*v419*/, v111, v228 /*v484*/
	s_set_vgpr_msb 20                       ;  msbs: dst=0 src0=0 src1=1 src2=1
	v_add3_u32 v8, v8, v167 /*v423*/, v168 /*v424*/
	v_add3_u32 v3, v3, v225 /*v481*/, v229 /*v485*/
	s_set_vgpr_msb 0x45                     ;  msbs: dst=1 src0=1 src1=1 src2=0
	v_mul_i32_i24_e32 v225 /*v481*/, v21 /*v277*/, v182 /*v438*/
	v_mul_i32_i24_e32 v229 /*v485*/, v23 /*v279*/, v217 /*v473*/
	s_set_vgpr_msb 0x44                     ;  msbs: dst=1 src0=0 src1=1 src2=0
	v_mul_i32_i24_e32 v164 /*v420*/, v111, v185 /*v441*/
	s_set_vgpr_msb 20                       ;  msbs: dst=0 src0=0 src1=1 src2=1
	v_add3_u32 v8, v8, v169 /*v425*/, v172 /*v428*/
	v_add3_u32 v3, v3, v230 /*v486*/, v231 /*v487*/
	s_set_vgpr_msb 0x45                     ;  msbs: dst=1 src0=1 src1=1 src2=0
	v_mul_i32_i24_e32 v230 /*v486*/, v24 /*v280*/, v218 /*v474*/
	v_mul_i32_i24_e32 v231 /*v487*/, v26 /*v282*/, v219 /*v475*/
	s_set_vgpr_msb 16                       ;  msbs: dst=0 src0=0 src1=0 src2=1
	v_add3_u32 v10, v10, v12, v163 /*v419*/
	s_set_vgpr_msb 20                       ;  msbs: dst=0 src0=0 src1=1 src2=1
	v_add3_u32 v8, v8, v173 /*v429*/, v180 /*v436*/
	v_add3_u32 v3, v3, v232 /*v488*/, v233 /*v489*/
	s_set_vgpr_msb 0x45                     ;  msbs: dst=1 src0=1 src1=1 src2=0
	v_mul_i32_i24_e32 v232 /*v488*/, v25 /*v281*/, v183 /*v439*/
	v_mul_i32_i24_e32 v233 /*v489*/, v27 /*v283*/, v220 /*v476*/
	s_set_vgpr_msb 0                        ;  msbs: dst=0 src0=0 src1=0 src2=0
	v_mul_lo_u32 v10, v10, v117
	s_set_vgpr_msb 20                       ;  msbs: dst=0 src0=0 src1=1 src2=1
	v_add3_u32 v8, v8, v181 /*v437*/, v225 /*v481*/
	v_add3_u32 v3, v3, v234 /*v490*/, v235 /*v491*/
	s_set_vgpr_msb 0x45                     ;  msbs: dst=1 src0=1 src1=1 src2=0
	v_mul_i32_i24_e32 v234 /*v490*/, v28 /*v284*/, v221 /*v477*/
	v_mul_i32_i24_e32 v235 /*v491*/, v30 /*v286*/, v222 /*v478*/
	s_set_vgpr_msb 0                        ;  msbs: dst=0 src0=0 src1=0 src2=0
	v_mul_i32_i24_e32 v7, v165, v7
	s_set_vgpr_msb 20                       ;  msbs: dst=0 src0=0 src1=1 src2=1
	v_add3_u32 v8, v8, v229 /*v485*/, v230 /*v486*/
	v_add3_u32 v3, v3, v236 /*v492*/, v237 /*v493*/
	s_delay_alu instid0(VALU_DEP_2) | instskip(SKIP_1) | instid1(VALU_DEP_2)
	v_add3_u32 v8, v8, v231 /*v487*/, v232 /*v488*/
	s_set_vgpr_msb 16                       ;  msbs: dst=0 src0=0 src1=0 src2=1
	v_add3_u32 v3, v3, v14, v162 /*v418*/
	s_set_vgpr_msb 64                       ;  msbs: dst=1 src0=0 src1=0 src2=0
	v_mul_i32_i24_e32 v162 /*v418*/, v113, v36
	s_set_vgpr_msb 0                        ;  msbs: dst=0 src0=0 src1=0 src2=0
	v_cvt_f32_i32_e32 v12, v10
	v_mul_i32_i24_e32 v10, v60, v173
	s_set_vgpr_msb 20                       ;  msbs: dst=0 src0=0 src1=1 src2=1
	v_add3_u32 v8, v8, v233 /*v489*/, v234 /*v490*/
	s_set_vgpr_msb 0                        ;  msbs: dst=0 src0=0 src1=0 src2=0
	v_mul_lo_u32 v3, v3, v226
	v_mul_i32_i24_e32 v60, v92, v184
	s_set_vgpr_msb 1                        ;  msbs: dst=0 src0=1 src1=0 src2=0
	v_mul_i32_i24_e32 v92, v195 /*v451*/, v199
	s_set_vgpr_msb 0x54                     ;  msbs: dst=1 src0=0 src1=1 src2=1
	v_add3_u32 v161 /*v417*/, v8, v235 /*v491*/, v238 /*v494*/
	s_set_vgpr_msb 0                        ;  msbs: dst=0 src0=0 src1=0 src2=0
	v_mul_i32_i24_e32 v8, v4, v228
	v_mul_i32_i24_e32 v4, v4, v166
	s_delay_alu instid0(VALU_DEP_2)
	v_add3_u32 v8, v9, v8, v15
	v_cvt_f32_i32_e32 v9, v3
	s_set_vgpr_msb 1                        ;  msbs: dst=0 src0=1 src1=0 src2=0
	v_mul_i32_i24_e32 v3, v224 /*v480*/, v115
	s_set_vgpr_msb 4                        ;  msbs: dst=0 src0=0 src1=1 src2=0
	v_pk_fma_f32 v[14:15], v[110:111], v[176:177] /*v[432:433]*/, 0 op_sel_hi:[0,1,0]
	s_set_vgpr_msb 0                        ;  msbs: dst=0 src0=0 src1=0 src2=0
	v_add3_u32 v1, v1, v4, v7
	v_mul_lo_u32 v8, v8, v226
	s_set_vgpr_msb 4                        ;  msbs: dst=0 src0=0 src1=1 src2=0
	v_mul_i32_i24_e32 v7, v161, v227 /*v483*/
	s_set_vgpr_msb 5                        ;  msbs: dst=0 src0=1 src1=1 src2=0
	v_add3_u32 v3, v161 /*v417*/, v239 /*v495*/, v3
	s_set_vgpr_msb 0x41                     ;  msbs: dst=1 src0=1 src1=0 src2=0
	v_mul_i32_i24_e32 v161 /*v417*/, v223 /*v479*/, v225
	s_set_vgpr_msb 0                        ;  msbs: dst=0 src0=0 src1=0 src2=0
	v_mul_lo_u32 v1, v1, v164
	s_set_vgpr_msb 20                       ;  msbs: dst=0 src0=0 src1=1 src2=1
	v_pk_fma_f32 v[4:5], v[116:117], v[176:177] /*v[432:433]*/, 0 op_sel_hi:[0,1,0]
	v_add3_u32 v3, v3, v162 /*v418*/, v164 /*v420*/
	v_cvt_f32_i32_e32 v8, v8
	s_set_vgpr_msb 0                        ;  msbs: dst=0 src0=0 src1=0 src2=0
	s_delay_alu instid0(VALU_DEP_2) | instskip(SKIP_1) | instid1(VALU_DEP_2)
	v_mul_lo_u32 v3, v3, v117
	s_set_vgpr_msb 1                        ;  msbs: dst=0 src0=1 src1=0 src2=0
	v_pk_fma_f32 v[8:9], v[174:175] /*v[430:431]*/, v[8:9], 0 op_sel_hi:[1,1,0]
	s_set_vgpr_msb 0                        ;  msbs: dst=0 src0=0 src1=0 src2=0
	s_delay_alu instid0(VALU_DEP_2)
	v_cvt_f32_i32_e32 v13, v3
	v_mul_i32_i24_e32 v3, v52, v168
	v_mul_i32_i24_e32 v52, v67, v178
	s_set_vgpr_msb 4                        ;  msbs: dst=0 src0=0 src1=1 src2=0
	v_mul_i32_i24_e32 v67, v190, v189 /*v445*/
	s_set_vgpr_msb 1                        ;  msbs: dst=0 src0=1 src1=0 src2=0
	v_pk_fma_f32 v[8:9], v[178:179] /*v[434:435]*/, v[12:13], v[8:9]
	s_set_vgpr_msb 4                        ;  msbs: dst=0 src0=0 src1=1 src2=0
	v_pk_fma_f32 v[12:13], v[112:113], v[170:171] /*v[426:427]*/, v[14:15] op_sel_hi:[0,1,1]
	s_set_vgpr_msb 0                        ;  msbs: dst=0 src0=0 src1=0 src2=0
	v_mad_i32_i24 v3, v53, v167, v3
	v_mul_i32_i24_e32 v14, v64, v176
	v_mul_i32_i24_e32 v15, v66, v177
	;; [unrolled: 1-line block ×3, first 2 shown]
	v_pk_mul_f32 v[12:13], v[12:13], v[106:107]
	s_set_vgpr_msb 4                        ;  msbs: dst=0 src0=0 src1=1 src2=0
	v_mul_i32_i24_e32 v64, v188, v187 /*v443*/
	v_mul_i32_i24_e32 v66, v187, v188 /*v444*/
	;; [unrolled: 1-line block ×3, first 2 shown]
	s_set_vgpr_msb 0                        ;  msbs: dst=0 src0=0 src1=0 src2=0
	v_pk_fma_f32 v[8:9], v[8:9], v[98:99], v[12:13] neg_lo:[0,0,1] neg_hi:[0,0,1]
	v_mul_i32_i24_e32 v12, v61, v174
	v_mul_i32_i24_e32 v13, v62, v175
	;; [unrolled: 1-line block ×3, first 2 shown]
	s_set_vgpr_msb 4                        ;  msbs: dst=0 src0=0 src1=1 src2=0
	v_mul_i32_i24_e32 v62, v185, v186 /*v442*/
	s_set_vgpr_msb 0                        ;  msbs: dst=0 src0=0 src1=0 src2=0
	v_pk_add_f32 v[34:35], v[34:35], v[8:9]
	v_mul_i32_i24_e32 v8, v54, v169
	v_mul_i32_i24_e32 v9, v55, v170
	;; [unrolled: 1-line block ×4, first 2 shown]
	s_set_vgpr_msb 4                        ;  msbs: dst=0 src0=0 src1=1 src2=0
	v_mul_i32_i24_e32 v71, v192, v191 /*v447*/
	v_mul_i32_i24_e32 v82, v191, v192 /*v448*/
	s_set_vgpr_msb 0                        ;  msbs: dst=0 src0=0 src1=0 src2=0
	v_add3_u32 v3, v3, v8, v9
	v_mul_i32_i24_e32 v8, v56, v171
	v_mul_i32_i24_e32 v9, v58, v172
	;; [unrolled: 1-line block ×4, first 2 shown]
	s_set_vgpr_msb 4                        ;  msbs: dst=0 src0=0 src1=1 src2=0
	v_mul_i32_i24_e32 v84, v195, v193 /*v449*/
	v_mul_i32_i24_e32 v86, v193, v194 /*v450*/
	s_set_vgpr_msb 0                        ;  msbs: dst=0 src0=0 src1=0 src2=0
	v_add3_u32 v3, v3, v8, v9
	s_set_vgpr_msb 1                        ;  msbs: dst=0 src0=1 src1=0 src2=0
	v_mul_i32_i24_e32 v8, v198 /*v454*/, v197
	v_mul_i32_i24_e32 v9, v200 /*v456*/, v194
	;; [unrolled: 1-line block ×3, first 2 shown]
	s_set_vgpr_msb 0                        ;  msbs: dst=0 src0=0 src1=0 src2=0
	v_add3_u32 v3, v3, v10, v12
	s_set_vgpr_msb 1                        ;  msbs: dst=0 src0=1 src1=0 src2=0
	v_mul_i32_i24_e32 v10, v201 /*v457*/, v200
	v_mad_i32_i24 v8, v199 /*v455*/, v196, v8
	v_mul_i32_i24_e32 v12, v204 /*v460*/, v198
	s_set_vgpr_msb 0                        ;  msbs: dst=0 src0=0 src1=0 src2=0
	v_add3_u32 v3, v3, v13, v14
	s_set_vgpr_msb 1                        ;  msbs: dst=0 src0=1 src1=0 src2=0
	v_mul_i32_i24_e32 v13, v205 /*v461*/, v205
	s_set_vgpr_msb 0                        ;  msbs: dst=0 src0=0 src1=0 src2=0
	v_add3_u32 v8, v8, v9, v10
	s_set_vgpr_msb 1                        ;  msbs: dst=0 src0=1 src1=0 src2=0
	v_mul_i32_i24_e32 v9, v202 /*v458*/, v202
	v_mul_i32_i24_e32 v10, v203 /*v459*/, v203
	s_set_vgpr_msb 0                        ;  msbs: dst=0 src0=0 src1=0 src2=0
	v_add3_u32 v3, v3, v15, v52
	s_set_vgpr_msb 1                        ;  msbs: dst=0 src0=1 src1=0 src2=0
	v_mul_i32_i24_e32 v14, v206 /*v462*/, v206
	v_mul_i32_i24_e32 v15, v207 /*v463*/, v207
	;; [unrolled: 1-line block ×3, first 2 shown]
	s_set_vgpr_msb 0                        ;  msbs: dst=0 src0=0 src1=0 src2=0
	v_add3_u32 v8, v8, v9, v10
	v_add3_u32 v3, v3, v53, v54
	s_set_vgpr_msb 1                        ;  msbs: dst=0 src0=1 src1=0 src2=0
	v_mul_i32_i24_e32 v53, v209 /*v465*/, v209
	v_mul_i32_i24_e32 v54, v210 /*v466*/, v210
	v_mul_i32_i24_e32 v9, v197 /*v453*/, v166
	s_set_vgpr_msb 0                        ;  msbs: dst=0 src0=0 src1=0 src2=0
	v_add3_u32 v8, v8, v12, v13
	v_add3_u32 v3, v3, v55, v56
	s_set_vgpr_msb 1                        ;  msbs: dst=0 src0=1 src1=0 src2=0
	v_mul_i32_i24_e32 v55, v211 /*v467*/, v211
	v_mul_i32_i24_e32 v56, v212 /*v468*/, v208
	s_set_vgpr_msb 4                        ;  msbs: dst=0 src0=0 src1=1 src2=0
	v_mul_i32_i24_e32 v10, v165, v226 /*v482*/
	s_set_vgpr_msb 0                        ;  msbs: dst=0 src0=0 src1=0 src2=0
	v_add3_u32 v8, v8, v14, v15
	v_add3_u32 v3, v3, v58, v60
	s_set_vgpr_msb 1                        ;  msbs: dst=0 src0=1 src1=0 src2=0
	v_mul_i32_i24_e32 v58, v213 /*v469*/, v212
	s_set_vgpr_msb 4                        ;  msbs: dst=0 src0=0 src1=1 src2=0
	v_mul_i32_i24_e32 v60, v213, v214 /*v470*/
	v_mul_i32_i24_e32 v12, v160, v185 /*v441*/
	s_set_vgpr_msb 0                        ;  msbs: dst=0 src0=0 src1=0 src2=0
	v_add3_u32 v8, v8, v52, v53
	v_add3_u32 v3, v3, v61, v62
	s_set_vgpr_msb 4                        ;  msbs: dst=0 src0=0 src1=1 src2=0
	v_mul_i32_i24_e32 v61, v214, v215 /*v471*/
	v_mul_i32_i24_e32 v62, v216, v216 /*v472*/
	s_set_vgpr_msb 0                        ;  msbs: dst=0 src0=0 src1=0 src2=0
	v_add3_u32 v8, v8, v54, v55
	v_add3_u32 v3, v3, v64, v66
	;; [unrolled: 6-line block ×6, first 2 shown]
	s_delay_alu instid0(VALU_DEP_2) | instskip(NEXT) | instid1(VALU_DEP_2)
	v_add3_u32 v8, v8, v69, v71
	v_add3_u32 v2, v2, v9, v10
	v_mul_i32_i24_e32 v9, v161, v36
	s_set_vgpr_msb 4                        ;  msbs: dst=0 src0=0 src1=1 src2=0
	v_mul_i32_i24_e32 v10, v160, v228 /*v484*/
	s_set_vgpr_msb 0                        ;  msbs: dst=0 src0=0 src1=0 src2=0
	v_add3_u32 v8, v8, v82, v84
	v_mul_lo_u32 v2, v2, v164
	s_delay_alu instid0(VALU_DEP_3) | instskip(SKIP_1) | instid1(VALU_DEP_3)
	v_add3_u32 v0, v0, v7, v10
	s_set_vgpr_msb 16                       ;  msbs: dst=0 src0=0 src1=0 src2=1
	v_add3_u32 v8, v8, v86, v160 /*v416*/
	s_delay_alu instid0(VALU_DEP_2) | instskip(NEXT) | instid1(VALU_DEP_4)
	v_mul_lo_u32 v0, v0, v163
	v_cvt_f32_i32_e32 v3, v2
	v_cvt_f32_i32_e32 v2, v1
	s_set_vgpr_msb 1                        ;  msbs: dst=0 src0=1 src1=0 src2=0
	v_mul_i32_i24_e32 v1, v224 /*v480*/, v162
	s_delay_alu instid0(VALU_DEP_2) | instskip(SKIP_1) | instid1(VALU_DEP_2)
	v_pk_fma_f32 v[2:3], v[174:175] /*v[430:431]*/, v[2:3], 0 op_sel_hi:[1,1,0]
	s_set_vgpr_msb 4                        ;  msbs: dst=0 src0=0 src1=1 src2=0
	v_add3_u32 v1, v8, v161 /*v417*/, v1
	v_cvt_f32_i32_e32 v0, v0
	s_set_vgpr_msb 0                        ;  msbs: dst=0 src0=0 src1=0 src2=0
	s_delay_alu instid0(VALU_DEP_2) | instskip(NEXT) | instid1(VALU_DEP_1)
	v_add3_u32 v1, v1, v9, v12
	v_mul_lo_u32 v1, v1, v163
	s_delay_alu instid0(VALU_DEP_1) | instskip(SKIP_1) | instid1(VALU_DEP_1)
	v_cvt_f32_i32_e32 v1, v1
	s_set_vgpr_msb 1                        ;  msbs: dst=0 src0=1 src1=0 src2=0
	v_pk_fma_f32 v[0:1], v[178:179] /*v[434:435]*/, v[0:1], v[2:3]
	s_set_vgpr_msb 4                        ;  msbs: dst=0 src0=0 src1=1 src2=0
	v_pk_fma_f32 v[2:3], v[114:115], v[170:171] /*v[426:427]*/, v[4:5] op_sel_hi:[0,1,1]
	s_set_vgpr_msb 0                        ;  msbs: dst=0 src0=0 src1=0 src2=0
	s_delay_alu instid0(VALU_DEP_1) | instskip(NEXT) | instid1(VALU_DEP_1)
	v_pk_mul_f32 v[2:3], v[2:3], v[108:109]
	v_pk_fma_f32 v[0:1], v[0:1], v[100:101], v[2:3] neg_lo:[0,0,1] neg_hi:[0,0,1]
	s_delay_alu instid0(VALU_DEP_1) | instskip(SKIP_1) | instid1(VALU_DEP_1)
	v_pk_add_f32 v[32:33], v[32:33], v[0:1]
	v_or_b32_e32 v0, s12, v141
	v_dual_lshlrev_b32 v1, 2, v0 :: v_dual_lshrrev_b32 v8, 1, v0
	ds_load_b128 v[10:13], v1 offset:16896
	ds_load_b128 v[4:7], v1 offset:16912
	s_set_vgpr_msb 64                       ;  msbs: dst=1 src0=0 src1=0 src2=0
	ds_load_b128 v[160:163] /*v[416:419]*/, v1 offset:16928
	s_set_vgpr_msb 0                        ;  msbs: dst=0 src0=0 src1=0 src2=0
	ds_load_b128 v[0:3], v1 offset:16944
	s_wait_dscnt 0x3
	v_bfe_i32 v36, v10, 0, 8
	v_bfe_i32 v52, v10, 8, 8
	;; [unrolled: 1-line block ×3, first 2 shown]
	v_ashrrev_i32_e32 v54, 24, v10
	s_wait_dscnt 0x0
	s_set_vgpr_msb 64                       ;  msbs: dst=1 src0=0 src1=0 src2=0
	v_bfe_i32 v196 /*v452*/, v1, 0, 8
	v_bfe_i32 v197 /*v453*/, v1, 8, 8
	;; [unrolled: 1-line block ×3, first 2 shown]
	v_dual_ashrrev_i32 v199 /*v455*/, 24, v1 :: v_dual_ashrrev_i32 v203 /*v459*/, 24, v2
	s_set_vgpr_msb 4                        ;  msbs: dst=0 src0=0 src1=1 src2=0
	v_mul_i32_i24_e32 v1, v36, v102 /*v358*/
	v_bfe_i32 v55, v11, 0, 8
	v_bfe_i32 v56, v11, 8, 8
	v_bfe_i32 v58, v11, 16, 8
	s_set_vgpr_msb 0                        ;  msbs: dst=0 src0=0 src1=0 src2=0
	v_ashrrev_i32_e32 v11, 24, v11
	s_set_vgpr_msb 64                       ;  msbs: dst=1 src0=0 src1=0 src2=0
	v_bfe_i32 v200 /*v456*/, v2, 0, 8
	v_bfe_i32 v201 /*v457*/, v2, 8, 8
	;; [unrolled: 1-line block ×3, first 2 shown]
	s_set_vgpr_msb 4                        ;  msbs: dst=0 src0=0 src1=1 src2=0
	v_mul_i32_i24_e32 v2, v53, v103 /*v359*/
	v_mul_i32_i24_e32 v9, v54, v104 /*v360*/
	v_mad_i32_i24 v1, v52, v101 /*v357*/, v1
	v_bfe_i32 v60, v12, 0, 8
	v_bfe_i32 v61, v12, 8, 8
	;; [unrolled: 1-line block ×3, first 2 shown]
	s_set_vgpr_msb 0                        ;  msbs: dst=0 src0=0 src1=0 src2=0
	v_dual_ashrrev_i32 v64, 24, v12 :: v_dual_ashrrev_i32 v71, 24, v13
	v_add3_u32 v1, v1, v2, v9
	s_set_vgpr_msb 4                        ;  msbs: dst=0 src0=0 src1=1 src2=0
	v_mul_i32_i24_e32 v2, v55, v105 /*v361*/
	v_mul_i32_i24_e32 v9, v56, v106 /*v362*/
	;; [unrolled: 1-line block ×4, first 2 shown]
	v_bfe_i32 v66, v13, 0, 8
	v_bfe_i32 v67, v13, 8, 8
	s_set_vgpr_msb 0                        ;  msbs: dst=0 src0=0 src1=0 src2=0
	v_add3_u32 v1, v1, v2, v9
	v_bfe_i32 v69, v13, 16, 8
	s_set_vgpr_msb 4                        ;  msbs: dst=0 src0=0 src1=1 src2=0
	v_mul_i32_i24_e32 v13, v60, v109 /*v365*/
	v_mul_i32_i24_e32 v14, v61, v110 /*v366*/
	s_set_vgpr_msb 0x41                     ;  msbs: dst=1 src0=1 src1=0 src2=0
	v_bfe_i32 v176 /*v432*/, v160 /*v416*/, 0, 8
	s_set_vgpr_msb 0                        ;  msbs: dst=0 src0=0 src1=0 src2=0
	v_add3_u32 v1, v1, v10, v12
	s_set_vgpr_msb 0x41                     ;  msbs: dst=1 src0=1 src1=0 src2=0
	v_bfe_i32 v177 /*v433*/, v160 /*v416*/, 8, 8
	v_bfe_i32 v178 /*v434*/, v160 /*v416*/, 16, 8
	s_set_vgpr_msb 0x44                     ;  msbs: dst=1 src0=0 src1=1 src2=0
	v_ashrrev_i32_e32 v179 /*v435*/, 24, v160 /*v416*/
	s_set_vgpr_msb 4                        ;  msbs: dst=0 src0=0 src1=1 src2=0
	v_mul_i32_i24_e32 v15, v62, v111 /*v367*/
	s_set_vgpr_msb 0x44                     ;  msbs: dst=1 src0=0 src1=1 src2=0
	v_mul_i32_i24_e32 v160 /*v416*/, v64, v112 /*v368*/
	s_set_vgpr_msb 0                        ;  msbs: dst=0 src0=0 src1=0 src2=0
	v_add3_u32 v1, v1, v13, v14
	s_set_vgpr_msb 0x41                     ;  msbs: dst=1 src0=1 src1=0 src2=0
	v_bfe_i32 v180 /*v436*/, v161 /*v417*/, 0, 8
	v_bfe_i32 v181 /*v437*/, v161 /*v417*/, 8, 8
	;; [unrolled: 1-line block ×3, first 2 shown]
	s_set_vgpr_msb 0x44                     ;  msbs: dst=1 src0=0 src1=1 src2=0
	v_dual_ashrrev_i32 v183 /*v439*/, 24, v161 /*v417*/ :: v_dual_ashrrev_i32 v191 /*v447*/, 24, v163 /*v419*/
	s_set_vgpr_msb 0x41                     ;  msbs: dst=1 src0=1 src1=0 src2=0
	v_bfe_i32 v184 /*v440*/, v162 /*v418*/, 0, 8
	v_bfe_i32 v185 /*v441*/, v162 /*v418*/, 8, 8
	;; [unrolled: 1-line block ×3, first 2 shown]
	s_set_vgpr_msb 0x44                     ;  msbs: dst=1 src0=0 src1=1 src2=0
	v_ashrrev_i32_e32 v187 /*v443*/, 24, v162 /*v418*/
	v_mul_i32_i24_e32 v161 /*v417*/, v66, v113 /*v369*/
	v_mul_i32_i24_e32 v162 /*v418*/, v67, v114 /*v370*/
	s_set_vgpr_msb 16                       ;  msbs: dst=0 src0=0 src1=0 src2=1
	v_add3_u32 v1, v1, v15, v160 /*v416*/
	v_bfe_i32 v82, v4, 0, 8
	v_bfe_i32 v84, v4, 8, 8
	s_set_vgpr_msb 0x44                     ;  msbs: dst=1 src0=0 src1=1 src2=0
	v_mul_i32_i24_e32 v165 /*v421*/, v69, v115 /*v371*/
	v_mul_i32_i24_e32 v166 /*v422*/, v71, v116 /*v372*/
	s_set_vgpr_msb 20                       ;  msbs: dst=0 src0=0 src1=1 src2=1
	v_add3_u32 v1, v1, v161 /*v417*/, v162 /*v418*/
	v_bfe_i32 v86, v4, 16, 8
	s_set_vgpr_msb 0                        ;  msbs: dst=0 src0=0 src1=0 src2=0
	v_ashrrev_i32_e32 v92, 24, v4
	s_set_vgpr_msb 0x44                     ;  msbs: dst=1 src0=0 src1=1 src2=0
	v_mul_i32_i24_e32 v167 /*v423*/, v82, v117 /*v373*/
	v_mul_i32_i24_e32 v168 /*v424*/, v84, v118 /*v374*/
	s_set_vgpr_msb 20                       ;  msbs: dst=0 src0=0 src1=1 src2=1
	v_add3_u32 v1, v1, v165 /*v421*/, v166 /*v422*/
	v_bfe_i32 v133, v5, 0, 8
	s_set_vgpr_msb 64                       ;  msbs: dst=1 src0=0 src1=0 src2=0
	v_bfe_i32 v169 /*v425*/, v5, 8, 8
	v_bfe_i32 v170 /*v426*/, v5, 16, 8
	s_set_vgpr_msb 0                        ;  msbs: dst=0 src0=0 src1=0 src2=0
	v_ashrrev_i32_e32 v5, 24, v5
	s_set_vgpr_msb 0x41                     ;  msbs: dst=1 src0=1 src1=0 src2=0
	v_mul_i32_i24_e32 v205 /*v461*/, v120 /*v376*/, v86
	v_mul_i32_i24_e32 v206 /*v462*/, v119 /*v375*/, v92
	s_set_vgpr_msb 20                       ;  msbs: dst=0 src0=0 src1=1 src2=1
	v_add3_u32 v1, v1, v167 /*v423*/, v168 /*v424*/
	s_set_vgpr_msb 0x41                     ;  msbs: dst=1 src0=1 src1=0 src2=0
	v_mul_i32_i24_e32 v207 /*v463*/, v122 /*v378*/, v133
	s_set_vgpr_msb 0x45                     ;  msbs: dst=1 src0=1 src1=1 src2=0
	v_mul_i32_i24_e32 v208 /*v464*/, v121 /*v377*/, v169 /*v425*/
	s_set_vgpr_msb 64                       ;  msbs: dst=1 src0=0 src1=0 src2=0
	v_bfe_i32 v171 /*v427*/, v6, 0, 8
	v_bfe_i32 v172 /*v428*/, v6, 8, 8
	s_set_vgpr_msb 20                       ;  msbs: dst=0 src0=0 src1=1 src2=1
	v_add3_u32 v1, v1, v205 /*v461*/, v206 /*v462*/
	s_set_vgpr_msb 0x45                     ;  msbs: dst=1 src0=1 src1=1 src2=0
	v_mul_i32_i24_e32 v209 /*v465*/, v124 /*v380*/, v170 /*v426*/
	s_set_vgpr_msb 0x41                     ;  msbs: dst=1 src0=1 src1=0 src2=0
	v_mul_i32_i24_e32 v210 /*v466*/, v123 /*v379*/, v5
	s_set_vgpr_msb 64                       ;  msbs: dst=1 src0=0 src1=0 src2=0
	v_bfe_i32 v173 /*v429*/, v6, 16, 8
	s_set_vgpr_msb 0                        ;  msbs: dst=0 src0=0 src1=0 src2=0
	v_ashrrev_i32_e32 v6, 24, v6
	s_set_vgpr_msb 20                       ;  msbs: dst=0 src0=0 src1=1 src2=1
	v_add3_u32 v1, v1, v207 /*v463*/, v208 /*v464*/
	s_set_vgpr_msb 0x45                     ;  msbs: dst=1 src0=1 src1=1 src2=0
	v_mul_i32_i24_e32 v211 /*v467*/, v132 /*v388*/, v171 /*v427*/
	v_mul_i32_i24_e32 v212 /*v468*/, v125 /*v381*/, v172 /*v428*/
	;; [unrolled: 1-line block ×3, first 2 shown]
	s_set_vgpr_msb 0x41                     ;  msbs: dst=1 src0=1 src1=0 src2=0
	v_mul_i32_i24_e32 v214 /*v470*/, v133 /*v389*/, v6
	s_set_vgpr_msb 20                       ;  msbs: dst=0 src0=0 src1=1 src2=1
	v_add3_u32 v1, v1, v209 /*v465*/, v210 /*v466*/
	s_set_vgpr_msb 5                        ;  msbs: dst=0 src0=1 src1=1 src2=0
	v_mul_i32_i24_e32 v2, v140 /*v396*/, v178 /*v434*/
	v_mul_i32_i24_e32 v9, v134 /*v390*/, v179 /*v435*/
	;; [unrolled: 1-line block ×4, first 2 shown]
	s_set_vgpr_msb 20                       ;  msbs: dst=0 src0=0 src1=1 src2=1
	v_add3_u32 v1, v1, v211 /*v467*/, v212 /*v468*/
	s_set_vgpr_msb 5                        ;  msbs: dst=0 src0=1 src1=1 src2=0
	v_mul_i32_i24_e32 v13, v147 /*v403*/, v184 /*v440*/
	v_mul_i32_i24_e32 v14, v146 /*v402*/, v185 /*v441*/
	s_set_vgpr_msb 0x41                     ;  msbs: dst=1 src0=1 src1=0 src2=0
	v_bfe_i32 v188 /*v444*/, v163 /*v419*/, 0, 8
	v_bfe_i32 v189 /*v445*/, v163 /*v419*/, 8, 8
	s_set_vgpr_msb 0x54                     ;  msbs: dst=1 src0=0 src1=1 src2=1
	v_add3_u32 v166 /*v422*/, v1, v213 /*v469*/, v214 /*v470*/
	s_set_vgpr_msb 5                        ;  msbs: dst=0 src0=1 src1=1 src2=0
	v_mul_i32_i24_e32 v1, v141 /*v397*/, v176 /*v432*/
	v_mul_i32_i24_e32 v15, v145 /*v401*/, v186 /*v442*/
	s_set_vgpr_msb 0x45                     ;  msbs: dst=1 src0=1 src1=1 src2=0
	v_mul_i32_i24_e32 v160 /*v416*/, v127 /*v383*/, v187 /*v443*/
	v_bfe_i32 v190 /*v446*/, v163 /*v419*/, 16, 8
	v_mul_i32_i24_e32 v161 /*v417*/, v150 /*v406*/, v188 /*v444*/
	s_set_vgpr_msb 5                        ;  msbs: dst=0 src0=1 src1=1 src2=0
	v_mad_i32_i24 v1, v139 /*v395*/, v177 /*v433*/, v1
	s_set_vgpr_msb 0x45                     ;  msbs: dst=1 src0=1 src1=1 src2=0
	v_mul_i32_i24_e32 v162 /*v418*/, v149 /*v405*/, v189 /*v445*/
	s_set_vgpr_msb 64                       ;  msbs: dst=1 src0=0 src1=0 src2=0
	v_bfe_i32 v192 /*v448*/, v0, 0, 8
	v_bfe_i32 v193 /*v449*/, v0, 8, 8
	s_set_vgpr_msb 0x45                     ;  msbs: dst=1 src0=1 src1=1 src2=0
	v_mul_i32_i24_e32 v165 /*v421*/, v148 /*v404*/, v190 /*v446*/
	s_set_vgpr_msb 0                        ;  msbs: dst=0 src0=0 src1=0 src2=0
	v_add3_u32 v1, v1, v2, v9
	s_set_vgpr_msb 5                        ;  msbs: dst=0 src0=1 src1=1 src2=0
	v_mul_i32_i24_e32 v2, v144 /*v400*/, v180 /*v436*/
	v_mul_i32_i24_e32 v9, v143 /*v399*/, v181 /*v437*/
	s_set_vgpr_msb 0x45                     ;  msbs: dst=1 src0=1 src1=1 src2=0
	v_mul_i32_i24_e32 v168 /*v424*/, v128 /*v384*/, v191 /*v447*/
	s_set_vgpr_msb 64                       ;  msbs: dst=1 src0=0 src1=0 src2=0
	v_bfe_i32 v194 /*v450*/, v0, 16, 8
	v_ashrrev_i32_e32 v195 /*v451*/, 24, v0
	s_set_vgpr_msb 0x45                     ;  msbs: dst=1 src0=1 src1=1 src2=0
	v_mul_i32_i24_e32 v205 /*v461*/, v153 /*v409*/, v192 /*v448*/
	s_set_vgpr_msb 0                        ;  msbs: dst=0 src0=0 src1=0 src2=0
	v_add3_u32 v1, v1, v2, v9
	s_set_vgpr_msb 0x45                     ;  msbs: dst=1 src0=1 src1=1 src2=0
	v_mul_i32_i24_e32 v206 /*v462*/, v152 /*v408*/, v193 /*v449*/
	v_mul_i32_i24_e32 v207 /*v463*/, v151 /*v407*/, v194 /*v450*/
	v_mul_i32_i24_e32 v208 /*v464*/, v129 /*v385*/, v195 /*v451*/
	v_mul_i32_i24_e32 v209 /*v465*/, v156 /*v412*/, v196 /*v452*/
	s_set_vgpr_msb 0                        ;  msbs: dst=0 src0=0 src1=0 src2=0
	v_add3_u32 v1, v1, v10, v12
	s_set_vgpr_msb 0x45                     ;  msbs: dst=1 src0=1 src1=1 src2=0
	v_mul_i32_i24_e32 v210 /*v466*/, v155 /*v411*/, v197 /*v453*/
	v_mul_i32_i24_e32 v211 /*v467*/, v154 /*v410*/, v198 /*v454*/
	v_mul_i32_i24_e32 v212 /*v468*/, v130 /*v386*/, v199 /*v455*/
	v_mul_i32_i24_e32 v213 /*v469*/, v159 /*v415*/, v200 /*v456*/
	s_set_vgpr_msb 0                        ;  msbs: dst=0 src0=0 src1=0 src2=0
	v_add3_u32 v1, v1, v13, v14
	s_set_vgpr_msb 0x45                     ;  msbs: dst=1 src0=1 src1=1 src2=0
	v_mul_i32_i24_e32 v214 /*v470*/, v158 /*v414*/, v201 /*v457*/
	v_mul_i32_i24_e32 v215 /*v471*/, v157 /*v413*/, v202 /*v458*/
	v_mul_i32_i24_e32 v216 /*v472*/, v131 /*v387*/, v203 /*v459*/
	s_set_vgpr_msb 4                        ;  msbs: dst=0 src0=0 src1=1 src2=0
	v_mul_i32_i24_e32 v2, v53, v44 /*v300*/
	s_set_vgpr_msb 16                       ;  msbs: dst=0 src0=0 src1=0 src2=1
	v_add3_u32 v1, v1, v15, v160 /*v416*/
	s_set_vgpr_msb 20                       ;  msbs: dst=0 src0=0 src1=1 src2=1
	v_mul_i32_i24_e32 v9, v54, v45 /*v301*/
	v_mul_i32_i24_e32 v10, v58, v48 /*v304*/
	;; [unrolled: 1-line block ×4, first 2 shown]
	v_add3_u32 v1, v1, v161 /*v417*/, v162 /*v418*/
	s_set_vgpr_msb 0x44                     ;  msbs: dst=1 src0=0 src1=1 src2=0
	v_mul_i32_i24_e32 v160 /*v416*/, v61, v51 /*v307*/
	v_mul_i32_i24_e32 v161 /*v417*/, v62, v52 /*v308*/
	;; [unrolled: 1-line block ×3, first 2 shown]
	s_set_vgpr_msb 0x45                     ;  msbs: dst=1 src0=1 src1=1 src2=0
	v_mul_i32_i24_e32 v217 /*v473*/, v66 /*v322*/, v172 /*v428*/
	s_set_vgpr_msb 20                       ;  msbs: dst=0 src0=0 src1=1 src2=1
	v_add3_u32 v1, v1, v165 /*v421*/, v168 /*v424*/
	s_set_vgpr_msb 0x44                     ;  msbs: dst=1 src0=0 src1=1 src2=0
	v_mul_i32_i24_e32 v165 /*v421*/, v66, v54 /*v310*/
	s_set_vgpr_msb 0x45                     ;  msbs: dst=1 src0=1 src1=1 src2=0
	v_mul_i32_i24_e32 v218 /*v474*/, v70 /*v326*/, v173 /*v429*/
	s_set_vgpr_msb 0x41                     ;  msbs: dst=1 src0=1 src1=0 src2=0
	v_mul_i32_i24_e32 v219 /*v475*/, v68 /*v324*/, v6
	s_set_vgpr_msb 0x45                     ;  msbs: dst=1 src0=1 src1=1 src2=0
	v_mul_i32_i24_e32 v220 /*v476*/, v99 /*v355*/, v202 /*v458*/
	s_set_vgpr_msb 20                       ;  msbs: dst=0 src0=0 src1=1 src2=1
	v_add3_u32 v1, v1, v205 /*v461*/, v206 /*v462*/
	s_set_vgpr_msb 0x44                     ;  msbs: dst=1 src0=0 src1=1 src2=0
	v_mul_i32_i24_e32 v205 /*v461*/, v67, v55 /*v311*/
	v_mul_i32_i24_e32 v206 /*v462*/, v69, v56 /*v312*/
	s_set_vgpr_msb 0x45                     ;  msbs: dst=1 src0=1 src1=1 src2=0
	v_mul_i32_i24_e32 v221 /*v477*/, v98 /*v354*/, v203 /*v459*/
	s_set_vgpr_msb 0x44                     ;  msbs: dst=1 src0=0 src1=1 src2=0
	v_mul_i32_i24_e32 v222 /*v478*/, v253, v172 /*v428*/
	s_set_vgpr_msb 20                       ;  msbs: dst=0 src0=0 src1=1 src2=1
	v_add3_u32 v1, v1, v207 /*v463*/, v208 /*v464*/
	s_set_vgpr_msb 0x44                     ;  msbs: dst=1 src0=0 src1=1 src2=0
	v_mul_i32_i24_e32 v207 /*v463*/, v71, v57 /*v313*/
	v_mul_i32_i24_e32 v208 /*v464*/, v82, v58 /*v314*/
	s_set_vgpr_msb 0x45                     ;  msbs: dst=1 src0=1 src1=1 src2=0
	v_mul_i32_i24_e32 v223 /*v479*/, v1 /*v257*/, v173 /*v429*/
	s_set_vgpr_msb 64                       ;  msbs: dst=1 src0=0 src1=0 src2=0
	v_mul_i32_i24_e32 v224 /*v480*/, v255, v6
	s_set_vgpr_msb 20                       ;  msbs: dst=0 src0=0 src1=1 src2=1
	v_add3_u32 v1, v1, v209 /*v465*/, v210 /*v466*/
	s_set_vgpr_msb 0x44                     ;  msbs: dst=1 src0=0 src1=1 src2=0
	v_mul_i32_i24_e32 v209 /*v465*/, v84, v59 /*v315*/
	s_set_vgpr_msb 0x41                     ;  msbs: dst=1 src0=1 src1=0 src2=0
	v_mul_i32_i24_e32 v210 /*v466*/, v61 /*v317*/, v86
	s_set_vgpr_msb 0x45                     ;  msbs: dst=1 src0=1 src1=1 src2=0
	v_mul_i32_i24_e32 v225 /*v481*/, v30 /*v286*/, v202 /*v458*/
	v_mul_i32_i24_e32 v226 /*v482*/, v29 /*v285*/, v203 /*v459*/
	s_set_vgpr_msb 20                       ;  msbs: dst=0 src0=0 src1=1 src2=1
	v_add3_u32 v1, v1, v211 /*v467*/, v212 /*v468*/
	s_set_vgpr_msb 0x41                     ;  msbs: dst=1 src0=1 src1=0 src2=0
	v_mul_i32_i24_e32 v211 /*v467*/, v60 /*v316*/, v92
	v_mul_i32_i24_e32 v212 /*v468*/, v63 /*v319*/, v133
	s_set_vgpr_msb 0                        ;  msbs: dst=0 src0=0 src1=0 src2=0
	v_mul_i32_i24_e32 v6, v193, v6
	s_set_vgpr_msb 64                       ;  msbs: dst=1 src0=0 src1=0 src2=0
	v_bfe_i32 v174 /*v430*/, v7, 0, 8
	s_set_vgpr_msb 20                       ;  msbs: dst=0 src0=0 src1=1 src2=1
	v_add3_u32 v1, v1, v213 /*v469*/, v214 /*v470*/
	s_set_vgpr_msb 0x45                     ;  msbs: dst=1 src0=1 src1=1 src2=0
	v_mul_i32_i24_e32 v213 /*v469*/, v62 /*v318*/, v169 /*v425*/
	v_mul_i32_i24_e32 v214 /*v470*/, v65 /*v321*/, v170 /*v426*/
	s_set_vgpr_msb 64                       ;  msbs: dst=1 src0=0 src1=0 src2=0
	v_bfe_i32 v175 /*v431*/, v7, 8, 8
	s_set_vgpr_msb 0                        ;  msbs: dst=0 src0=0 src1=0 src2=0
	v_bfe_i32 v4, v7, 16, 8
	s_set_vgpr_msb 0x54                     ;  msbs: dst=1 src0=0 src1=1 src2=1
	v_add3_u32 v168 /*v424*/, v1, v215 /*v471*/, v216 /*v472*/
	s_set_vgpr_msb 4                        ;  msbs: dst=0 src0=0 src1=1 src2=0
	v_mul_i32_i24_e32 v1, v36, v43 /*v299*/
	s_set_vgpr_msb 0x41                     ;  msbs: dst=1 src0=1 src1=0 src2=0
	v_mul_i32_i24_e32 v215 /*v471*/, v64 /*v320*/, v5
	s_set_vgpr_msb 0x45                     ;  msbs: dst=1 src0=1 src1=1 src2=0
	v_mul_i32_i24_e32 v216 /*v472*/, v67 /*v323*/, v171 /*v427*/
	v_mul_i32_i24_e32 v163 /*v419*/, v174 /*v430*/, v137 /*v393*/
	;; [unrolled: 1-line block ×3, first 2 shown]
	s_set_vgpr_msb 4                        ;  msbs: dst=0 src0=0 src1=1 src2=0
	v_mad_i32_i24 v1, v52, v42 /*v298*/, v1
	s_set_vgpr_msb 5                        ;  msbs: dst=0 src0=1 src1=1 src2=0
	v_mul_i32_i24_e32 v14, v174 /*v430*/, v74 /*v330*/
	v_mul_i32_i24_e32 v15, v175 /*v431*/, v76 /*v332*/
	s_set_vgpr_msb 64                       ;  msbs: dst=1 src0=0 src1=0 src2=0
	v_bfe_i32 v204 /*v460*/, v3, 0, 8
	s_set_vgpr_msb 0                        ;  msbs: dst=0 src0=0 src1=0 src2=0
	v_bfe_i32 v0, v3, 8, 8
	v_add3_u32 v1, v1, v2, v9
	s_set_vgpr_msb 4                        ;  msbs: dst=0 src0=0 src1=1 src2=0
	v_mul_i32_i24_e32 v2, v55, v46 /*v302*/
	v_mul_i32_i24_e32 v9, v56, v47 /*v303*/
	s_set_vgpr_msb 0x55                     ;  msbs: dst=1 src0=1 src1=1 src2=1
	v_mul_i32_i24_e32 v167 /*v423*/, v204 /*v460*/, v135 /*v391*/
	v_add3_u32 v163 /*v419*/, v166 /*v422*/, v163 /*v419*/, v164 /*v420*/
	s_set_vgpr_msb 0                        ;  msbs: dst=0 src0=0 src1=0 src2=0
	v_ashrrev_i32_e32 v7, 24, v7
	v_add3_u32 v1, v1, v2, v9
	s_set_vgpr_msb 5                        ;  msbs: dst=0 src0=1 src1=1 src2=0
	v_mul_i32_i24_e32 v2, v178 /*v434*/, v69 /*v325*/
	v_mul_i32_i24_e32 v9, v179 /*v435*/, v75 /*v331*/
	s_set_vgpr_msb 0                        ;  msbs: dst=0 src0=0 src1=0 src2=0
	v_add3_u32 v1, v1, v10, v12
	s_set_vgpr_msb 5                        ;  msbs: dst=0 src0=1 src1=1 src2=0
	v_mul_i32_i24_e32 v10, v182 /*v438*/, v73 /*v329*/
	v_mul_i32_i24_e32 v12, v183 /*v439*/, v80 /*v336*/
	s_set_vgpr_msb 16                       ;  msbs: dst=0 src0=0 src1=0 src2=1
	v_add3_u32 v1, v1, v13, v160 /*v416*/
	s_set_vgpr_msb 5                        ;  msbs: dst=0 src0=1 src1=1 src2=0
	v_mul_i32_i24_e32 v13, v184 /*v440*/, v81 /*v337*/
	s_set_vgpr_msb 0x45                     ;  msbs: dst=1 src0=1 src1=1 src2=0
	v_mul_i32_i24_e32 v160 /*v416*/, v185 /*v441*/, v82 /*v338*/
	s_set_vgpr_msb 20                       ;  msbs: dst=0 src0=0 src1=1 src2=1
	v_add3_u32 v1, v1, v161 /*v417*/, v162 /*v418*/
	s_set_vgpr_msb 0x45                     ;  msbs: dst=1 src0=1 src1=1 src2=0
	v_mul_i32_i24_e32 v162 /*v418*/, v204 /*v460*/, v100 /*v356*/
	s_set_vgpr_msb 20                       ;  msbs: dst=0 src0=0 src1=1 src2=1
	s_delay_alu instid0(VALU_DEP_2)
	v_add3_u32 v1, v1, v165 /*v421*/, v205 /*v461*/
	s_set_vgpr_msb 0x45                     ;  msbs: dst=1 src0=1 src1=1 src2=0
	v_mul_i32_i24_e32 v165 /*v421*/, v186 /*v442*/, v79 /*v335*/
	v_mul_i32_i24_e32 v205 /*v461*/, v187 /*v443*/, v84 /*v340*/
	s_set_vgpr_msb 20                       ;  msbs: dst=0 src0=0 src1=1 src2=1
	v_add3_u32 v1, v1, v206 /*v462*/, v207 /*v463*/
	s_set_vgpr_msb 0x45                     ;  msbs: dst=1 src0=1 src1=1 src2=0
	v_mul_i32_i24_e32 v206 /*v462*/, v188 /*v444*/, v85 /*v341*/
	v_mul_i32_i24_e32 v207 /*v463*/, v189 /*v445*/, v86 /*v342*/
	s_set_vgpr_msb 20                       ;  msbs: dst=0 src0=0 src1=1 src2=1
	;; [unrolled: 5-line block ×6, first 2 shown]
	v_add3_u32 v1, v1, v216 /*v472*/, v217 /*v473*/
	s_set_vgpr_msb 0x45                     ;  msbs: dst=1 src0=1 src1=1 src2=0
	v_mul_i32_i24_e32 v216 /*v472*/, v95 /*v351*/, v198 /*v454*/
	v_mul_i32_i24_e32 v217 /*v473*/, v94 /*v350*/, v199 /*v455*/
	s_set_vgpr_msb 0x54                     ;  msbs: dst=1 src0=0 src1=1 src2=1
	v_add3_u32 v161 /*v417*/, v1, v218 /*v474*/, v219 /*v475*/
	s_set_vgpr_msb 5                        ;  msbs: dst=0 src0=1 src1=1 src2=0
	v_mul_i32_i24_e32 v1, v176 /*v432*/, v72 /*v328*/
	s_set_vgpr_msb 0x45                     ;  msbs: dst=1 src0=1 src1=1 src2=0
	v_mul_i32_i24_e32 v218 /*v474*/, v96 /*v352*/, v200 /*v456*/
	v_mul_i32_i24_e32 v219 /*v475*/, v97 /*v353*/, v201 /*v457*/
	s_set_vgpr_msb 1                        ;  msbs: dst=0 src0=1 src1=0 src2=0
	v_add3_u32 v14, v161 /*v417*/, v14, v15
	s_set_vgpr_msb 5                        ;  msbs: dst=0 src0=1 src1=1 src2=0
	v_mad_i32_i24 v1, v177 /*v433*/, v71 /*v327*/, v1
	s_set_vgpr_msb 64                       ;  msbs: dst=1 src0=0 src1=0 src2=0
	v_mul_i32_i24_e32 v161 /*v417*/, v0, v158
	s_set_vgpr_msb 0                        ;  msbs: dst=0 src0=0 src1=0 src2=0
	s_delay_alu instid0(VALU_DEP_2) | instskip(SKIP_4) | instid1(VALU_DEP_1)
	v_add3_u32 v1, v1, v2, v9
	s_set_vgpr_msb 5                        ;  msbs: dst=0 src0=1 src1=1 src2=0
	v_mul_i32_i24_e32 v2, v180 /*v436*/, v77 /*v333*/
	v_mul_i32_i24_e32 v9, v181 /*v437*/, v78 /*v334*/
	s_set_vgpr_msb 0                        ;  msbs: dst=0 src0=0 src1=0 src2=0
	v_add3_u32 v1, v1, v2, v9
	v_mul_i32_i24_e32 v2, v53, v231
	v_mul_i32_i24_e32 v9, v54, v232
	s_delay_alu instid0(VALU_DEP_3)
	v_add3_u32 v1, v1, v10, v12
	v_mul_i32_i24_e32 v12, v56, v234
	s_set_vgpr_msb 5                        ;  msbs: dst=0 src0=1 src1=1 src2=0
	v_mul_i32_i24_e32 v10, v175 /*v431*/, v7 /*v263*/
	s_set_vgpr_msb 16                       ;  msbs: dst=0 src0=0 src1=0 src2=1
	v_add3_u32 v1, v1, v13, v160 /*v416*/
	v_mul_i32_i24_e32 v13, v58, v235
	s_set_vgpr_msb 64                       ;  msbs: dst=1 src0=0 src1=0 src2=0
	v_mul_i32_i24_e32 v160 /*v416*/, v11, v236
	s_set_vgpr_msb 0                        ;  msbs: dst=0 src0=0 src1=0 src2=0
	v_mul_i32_i24_e32 v11, v11, v174
	s_set_vgpr_msb 20                       ;  msbs: dst=0 src0=0 src1=1 src2=1
	v_add3_u32 v1, v1, v165 /*v421*/, v205 /*v461*/
	s_set_vgpr_msb 64                       ;  msbs: dst=1 src0=0 src1=0 src2=0
	v_mul_i32_i24_e32 v205 /*v461*/, v60, v237
	s_set_vgpr_msb 20                       ;  msbs: dst=0 src0=0 src1=1 src2=1
	s_delay_alu instid0(VALU_DEP_2)
	v_add3_u32 v1, v1, v206 /*v462*/, v207 /*v463*/
	s_set_vgpr_msb 64                       ;  msbs: dst=1 src0=0 src1=0 src2=0
	v_mul_i32_i24_e32 v206 /*v462*/, v61, v238
	v_mul_i32_i24_e32 v207 /*v463*/, v62, v239
	s_set_vgpr_msb 20                       ;  msbs: dst=0 src0=0 src1=1 src2=1
	v_add3_u32 v1, v1, v208 /*v464*/, v209 /*v465*/
	s_set_vgpr_msb 64                       ;  msbs: dst=1 src0=0 src1=0 src2=0
	v_mul_i32_i24_e32 v208 /*v464*/, v64, v240
	v_mul_i32_i24_e32 v209 /*v465*/, v66, v241
	s_set_vgpr_msb 20                       ;  msbs: dst=0 src0=0 src1=1 src2=1
	;; [unrolled: 5-line block ×6, first 2 shown]
	v_add3_u32 v1, v1, v218 /*v474*/, v219 /*v475*/
	s_set_vgpr_msb 0x54                     ;  msbs: dst=1 src0=0 src1=1 src2=1
	v_mul_i32_i24_e32 v218 /*v474*/, v249, v169 /*v425*/
	v_mul_i32_i24_e32 v219 /*v475*/, v252, v170 /*v426*/
	s_delay_alu instid0(VALU_DEP_3)
	v_add3_u32 v165 /*v421*/, v1, v220 /*v476*/, v221 /*v477*/
	s_set_vgpr_msb 0                        ;  msbs: dst=0 src0=0 src1=0 src2=0
	v_mul_i32_i24_e32 v1, v36, v230
	s_set_vgpr_msb 64                       ;  msbs: dst=1 src0=0 src1=0 src2=0
	v_mul_i32_i24_e32 v220 /*v476*/, v251, v5
	s_set_vgpr_msb 0x44                     ;  msbs: dst=1 src0=0 src1=1 src2=0
	v_mul_i32_i24_e32 v221 /*v477*/, v254, v171 /*v427*/
	s_set_vgpr_msb 0                        ;  msbs: dst=0 src0=0 src1=0 src2=0
	v_mul_i32_i24_e32 v5, v189, v5
	s_set_vgpr_msb 0x55                     ;  msbs: dst=1 src0=1 src1=1 src2=1
	v_add3_u32 v161 /*v417*/, v165 /*v421*/, v162 /*v418*/, v161 /*v417*/
	s_set_vgpr_msb 0                        ;  msbs: dst=0 src0=0 src1=0 src2=0
	v_mad_i32_i24 v1, v52, v229, v1
	s_delay_alu instid0(VALU_DEP_1) | instskip(SKIP_4) | instid1(VALU_DEP_2)
	v_add3_u32 v1, v1, v2, v9
	v_mul_i32_i24_e32 v2, v55, v233
	s_set_vgpr_msb 5                        ;  msbs: dst=0 src0=1 src1=1 src2=0
	v_mul_i32_i24_e32 v9, v174 /*v430*/, v5 /*v261*/
	s_set_vgpr_msb 0                        ;  msbs: dst=0 src0=0 src1=0 src2=0
	v_add3_u32 v1, v1, v2, v12
	s_set_vgpr_msb 5                        ;  msbs: dst=0 src0=1 src1=1 src2=0
	v_mul_i32_i24_e32 v2, v178 /*v434*/, v0 /*v256*/
	s_set_vgpr_msb 16                       ;  msbs: dst=0 src0=0 src1=0 src2=1
	s_delay_alu instid0(VALU_DEP_2)
	v_add3_u32 v1, v1, v13, v160 /*v416*/
	s_set_vgpr_msb 5                        ;  msbs: dst=0 src0=1 src1=1 src2=0
	v_mul_i32_i24_e32 v13, v179 /*v435*/, v6 /*v262*/
	s_set_vgpr_msb 0x45                     ;  msbs: dst=1 src0=1 src1=1 src2=0
	v_mul_i32_i24_e32 v160 /*v416*/, v181 /*v437*/, v9 /*v265*/
	s_set_vgpr_msb 20                       ;  msbs: dst=0 src0=0 src1=1 src2=1
	v_add3_u32 v1, v1, v205 /*v461*/, v206 /*v462*/
	s_set_vgpr_msb 0x45                     ;  msbs: dst=1 src0=1 src1=1 src2=0
	v_mul_i32_i24_e32 v205 /*v461*/, v182 /*v438*/, v4 /*v260*/
	v_mul_i32_i24_e32 v206 /*v462*/, v183 /*v439*/, v11 /*v267*/
	s_set_vgpr_msb 20                       ;  msbs: dst=0 src0=0 src1=1 src2=1
	v_add3_u32 v1, v1, v207 /*v463*/, v208 /*v464*/
	s_set_vgpr_msb 0x45                     ;  msbs: dst=1 src0=1 src1=1 src2=0
	v_mul_i32_i24_e32 v207 /*v463*/, v184 /*v440*/, v12 /*v268*/
	;; [unrolled: 5-line block ×9, first 2 shown]
	v_mul_i32_i24_e32 v222 /*v478*/, v25 /*v281*/, v199 /*v455*/
	s_set_vgpr_msb 20                       ;  msbs: dst=0 src0=0 src1=1 src2=1
	v_add3_u32 v12, v1, v223 /*v479*/, v224 /*v480*/
	s_set_vgpr_msb 5                        ;  msbs: dst=0 src0=1 src1=1 src2=0
	v_mul_i32_i24_e32 v1, v176 /*v432*/, v3 /*v259*/
	s_set_vgpr_msb 0x45                     ;  msbs: dst=1 src0=1 src1=1 src2=0
	v_mul_i32_i24_e32 v223 /*v479*/, v27 /*v283*/, v200 /*v456*/
	v_mul_i32_i24_e32 v224 /*v480*/, v28 /*v284*/, v201 /*v457*/
	s_set_vgpr_msb 0                        ;  msbs: dst=0 src0=0 src1=0 src2=0
	v_add3_u32 v9, v12, v9, v10
	s_set_vgpr_msb 5                        ;  msbs: dst=0 src0=1 src1=1 src2=0
	v_mad_i32_i24 v1, v177 /*v433*/, v2 /*v258*/, v1
	s_set_vgpr_msb 0                        ;  msbs: dst=0 src0=0 src1=0 src2=0
	v_mul_i32_i24_e32 v10, v0, v115
	s_delay_alu instid0(VALU_DEP_2) | instskip(SKIP_4) | instid1(VALU_DEP_2)
	v_add3_u32 v1, v1, v2, v13
	s_set_vgpr_msb 5                        ;  msbs: dst=0 src0=1 src1=1 src2=0
	v_mul_i32_i24_e32 v2, v180 /*v436*/, v8 /*v264*/
	v_mul_i32_i24_e32 v13, v204 /*v460*/, v31 /*v287*/
	s_set_vgpr_msb 16                       ;  msbs: dst=0 src0=0 src1=0 src2=1
	v_add3_u32 v1, v1, v2, v160 /*v416*/
	v_mul_i32_i24_e32 v2, v53, v169
	v_mul_i32_i24_e32 v53, v56, v172
	;; [unrolled: 1-line block ×4, first 2 shown]
	s_set_vgpr_msb 20                       ;  msbs: dst=0 src0=0 src1=1 src2=1
	v_add3_u32 v1, v1, v205 /*v461*/, v206 /*v462*/
	s_set_vgpr_msb 0                        ;  msbs: dst=0 src0=0 src1=0 src2=0
	v_mul_i32_i24_e32 v66, v71, v182
	v_mul_i32_i24_e32 v71, v186, v86
	s_set_vgpr_msb 4                        ;  msbs: dst=0 src0=0 src1=1 src2=0
	v_mul_i32_i24_e32 v86, v187, v169 /*v425*/
	s_set_vgpr_msb 0x44                     ;  msbs: dst=1 src0=0 src1=1 src2=0
	v_mul_i32_i24_e32 v169 /*v425*/, v191, v172 /*v428*/
	s_set_vgpr_msb 20                       ;  msbs: dst=0 src0=0 src1=1 src2=1
	v_add3_u32 v1, v1, v207 /*v463*/, v208 /*v464*/
	s_set_vgpr_msb 0x44                     ;  msbs: dst=1 src0=0 src1=1 src2=0
	v_mul_i32_i24_e32 v172 /*v428*/, v223, v203 /*v459*/
	s_set_vgpr_msb 20                       ;  msbs: dst=0 src0=0 src1=1 src2=1
	s_delay_alu instid0(VALU_DEP_2) | instskip(NEXT) | instid1(VALU_DEP_1)
	v_add3_u32 v1, v1, v209 /*v465*/, v210 /*v466*/
	v_add3_u32 v1, v1, v211 /*v467*/, v212 /*v468*/
	s_delay_alu instid0(VALU_DEP_1) | instskip(NEXT) | instid1(VALU_DEP_1)
	v_add3_u32 v1, v1, v213 /*v469*/, v214 /*v470*/
	v_add3_u32 v1, v1, v215 /*v471*/, v216 /*v472*/
	s_delay_alu instid0(VALU_DEP_1) | instskip(NEXT) | instid1(VALU_DEP_1)
	;; [unrolled: 3-line block ×3, first 2 shown]
	v_add3_u32 v1, v1, v221 /*v477*/, v222 /*v478*/
	v_add3_u32 v1, v1, v223 /*v479*/, v224 /*v480*/
	s_set_vgpr_msb 0x54                     ;  msbs: dst=1 src0=0 src1=1 src2=1
	s_delay_alu instid0(VALU_DEP_1)
	v_add3_u32 v160 /*v416*/, v1, v225 /*v481*/, v226 /*v482*/
	s_set_vgpr_msb 0                        ;  msbs: dst=0 src0=0 src1=0 src2=0
	v_mul_i32_i24_e32 v1, v36, v168
	v_mul_i32_i24_e32 v36, v54, v170
	;; [unrolled: 1-line block ×5, first 2 shown]
	v_mad_i32_i24 v1, v52, v167, v1
	v_mul_i32_i24_e32 v52, v55, v171
	v_mul_i32_i24_e32 v55, v60, v175
	;; [unrolled: 1-line block ×4, first 2 shown]
	v_add3_u32 v36, v1, v2, v36
	v_mul_i32_i24_e32 v67, v82, v183
	v_mul_i32_i24_e32 v69, v84, v184
	;; [unrolled: 1-line block ×4, first 2 shown]
	v_add3_u32 v36, v36, v52, v53
	s_set_vgpr_msb 4                        ;  msbs: dst=0 src0=0 src1=1 src2=0
	v_mul_i32_i24_e32 v92, v190, v170 /*v426*/
	v_mul_i32_i24_e32 v133, v192, v171 /*v427*/
	s_set_vgpr_msb 0x44                     ;  msbs: dst=1 src0=0 src1=1 src2=0
	v_mul_i32_i24_e32 v170 /*v426*/, v195, v173 /*v429*/
	s_set_vgpr_msb 1                        ;  msbs: dst=0 src0=1 src1=0 src2=0
	v_mul_i32_i24_e32 v52, v181 /*v437*/, v203
	s_set_vgpr_msb 0                        ;  msbs: dst=0 src0=0 src1=0 src2=0
	v_add3_u32 v11, v36, v54, v11
	s_set_vgpr_msb 1                        ;  msbs: dst=0 src0=1 src1=0 src2=0
	v_mul_i32_i24_e32 v36, v179 /*v435*/, v200
	v_mul_i32_i24_e32 v53, v182 /*v438*/, v198
	;; [unrolled: 1-line block ×3, first 2 shown]
	s_set_vgpr_msb 0x44                     ;  msbs: dst=1 src0=0 src1=1 src2=0
	v_mul_i32_i24_e32 v171 /*v427*/, v224, v202 /*v458*/
	s_set_vgpr_msb 0                        ;  msbs: dst=0 src0=0 src1=0 src2=0
	v_add3_u32 v11, v11, v55, v56
	s_set_vgpr_msb 1                        ;  msbs: dst=0 src0=1 src1=0 src2=0
	v_mul_i32_i24_e32 v55, v184 /*v440*/, v206
	v_mul_i32_i24_e32 v56, v185 /*v441*/, v207
	;; [unrolled: 1-line block ×4, first 2 shown]
	s_set_vgpr_msb 0                        ;  msbs: dst=0 src0=0 src1=0 src2=0
	v_add3_u32 v11, v11, v58, v60
	s_set_vgpr_msb 1                        ;  msbs: dst=0 src0=1 src1=0 src2=0
	v_mul_i32_i24_e32 v58, v186 /*v442*/, v204
	v_mul_i32_i24_e32 v60, v187 /*v443*/, v209
	v_add3_u32 v10, v160 /*v416*/, v13, v10
	s_set_vgpr_msb 0                        ;  msbs: dst=0 src0=0 src1=0 src2=0
	v_add3_u32 v11, v11, v61, v62
	s_set_vgpr_msb 1                        ;  msbs: dst=0 src0=1 src1=0 src2=0
	v_mul_i32_i24_e32 v61, v188 /*v444*/, v210
	v_mul_i32_i24_e32 v62, v189 /*v445*/, v211
	s_set_vgpr_msb 0                        ;  msbs: dst=0 src0=0 src1=0 src2=0
	v_add3_u32 v11, v11, v64, v66
	s_set_vgpr_msb 1                        ;  msbs: dst=0 src0=1 src1=0 src2=0
	v_mul_i32_i24_e32 v64, v190 /*v446*/, v208
	v_mul_i32_i24_e32 v66, v191 /*v447*/, v212
	s_set_vgpr_msb 0                        ;  msbs: dst=0 src0=0 src1=0 src2=0
	v_add3_u32 v11, v11, v67, v69
	s_set_vgpr_msb 4                        ;  msbs: dst=0 src0=0 src1=1 src2=0
	v_mul_i32_i24_e32 v67, v213, v192 /*v448*/
	v_mul_i32_i24_e32 v69, v214, v193 /*v449*/
	s_set_vgpr_msb 0                        ;  msbs: dst=0 src0=0 src1=0 src2=0
	v_add3_u32 v11, v11, v71, v82
	s_set_vgpr_msb 4                        ;  msbs: dst=0 src0=0 src1=1 src2=0
	v_mul_i32_i24_e32 v71, v216, v194 /*v450*/
	v_mul_i32_i24_e32 v82, v215, v195 /*v451*/
	;; [unrolled: 5-line block ×3, first 2 shown]
	s_set_vgpr_msb 0                        ;  msbs: dst=0 src0=0 src1=0 src2=0
	v_add3_u32 v5, v11, v92, v5
	s_set_vgpr_msb 1                        ;  msbs: dst=0 src0=1 src1=0 src2=0
	v_mul_i32_i24_e32 v11, v178 /*v434*/, v194
	s_set_vgpr_msb 4                        ;  msbs: dst=0 src0=0 src1=1 src2=0
	v_mul_i32_i24_e32 v92, v220, v198 /*v454*/
	s_set_vgpr_msb 16                       ;  msbs: dst=0 src0=0 src1=0 src2=1
	v_add3_u32 v5, v5, v133, v169 /*v425*/
	s_set_vgpr_msb 4                        ;  msbs: dst=0 src0=0 src1=1 src2=0
	v_mul_i32_i24_e32 v133, v219, v199 /*v455*/
	s_set_vgpr_msb 0x44                     ;  msbs: dst=1 src0=0 src1=1 src2=0
	v_mul_i32_i24_e32 v169 /*v425*/, v221, v200 /*v456*/
	s_set_vgpr_msb 4                        ;  msbs: dst=0 src0=0 src1=1 src2=0
	v_add3_u32 v5, v5, v170 /*v426*/, v6
	s_set_vgpr_msb 1                        ;  msbs: dst=0 src0=1 src1=0 src2=0
	v_mul_i32_i24_e32 v6, v176 /*v432*/, v197
	s_set_vgpr_msb 0x44                     ;  msbs: dst=1 src0=0 src1=1 src2=0
	v_mul_i32_i24_e32 v170 /*v426*/, v222, v201 /*v457*/
	s_set_vgpr_msb 0                        ;  msbs: dst=0 src0=0 src1=0 src2=0
	v_add3_u32 v1, v5, v1, v2
	s_set_vgpr_msb 1                        ;  msbs: dst=0 src0=1 src1=0 src2=0
	v_mad_i32_i24 v6, v177 /*v433*/, v196, v6
	s_set_vgpr_msb 0                        ;  msbs: dst=0 src0=0 src1=0 src2=0
	s_delay_alu instid0(VALU_DEP_1) | instskip(SKIP_4) | instid1(VALU_DEP_2)
	v_add3_u32 v11, v6, v11, v36
	s_set_vgpr_msb 1                        ;  msbs: dst=0 src0=1 src1=0 src2=0
	v_mul_i32_i24_e32 v36, v180 /*v436*/, v202
	v_mul_i32_i24_e32 v6, v204 /*v460*/, v225
	s_set_vgpr_msb 0                        ;  msbs: dst=0 src0=0 src1=0 src2=0
	v_add3_u32 v11, v11, v36, v52
	v_or_b32_e32 v36, s12, v142
	s_delay_alu instid0(VALU_DEP_2) | instskip(NEXT) | instid1(VALU_DEP_2)
	v_add3_u32 v11, v11, v53, v54
	v_dual_lshlrev_b32 v52, 2, v36 :: v_dual_lshrrev_b32 v36, 1, v36
	s_delay_alu instid0(VALU_DEP_2) | instskip(NEXT) | instid1(VALU_DEP_1)
	v_add3_u32 v11, v11, v55, v56
	v_add3_u32 v11, v11, v58, v60
	s_delay_alu instid0(VALU_DEP_1) | instskip(NEXT) | instid1(VALU_DEP_1)
	v_add3_u32 v11, v11, v61, v62
	v_add3_u32 v11, v11, v64, v66
	s_delay_alu instid0(VALU_DEP_1) | instskip(NEXT) | instid1(VALU_DEP_1)
	v_add3_u32 v11, v11, v67, v69
	v_add3_u32 v11, v11, v71, v82
	s_delay_alu instid0(VALU_DEP_1) | instskip(NEXT) | instid1(VALU_DEP_1)
	v_add3_u32 v11, v11, v84, v86
	v_add3_u32 v11, v11, v92, v133
	s_set_vgpr_msb 20                       ;  msbs: dst=0 src0=0 src1=1 src2=1
	s_delay_alu instid0(VALU_DEP_1) | instskip(NEXT) | instid1(VALU_DEP_1)
	v_add3_u32 v11, v11, v169 /*v425*/, v170 /*v426*/
	v_add3_u32 v11, v11, v171 /*v427*/, v172 /*v428*/
	s_set_vgpr_msb 64                       ;  msbs: dst=1 src0=0 src1=0 src2=0
	ds_load_b128 v[170:173] /*v[426:429]*/, v52 offset:16896
	ds_load_b128 v[174:177] /*v[430:433]*/, v52 offset:16912
	;; [unrolled: 1-line block ×4, first 2 shown]
	s_wait_dscnt 0x3
	s_set_vgpr_msb 1                        ;  msbs: dst=0 src0=1 src1=0 src2=0
	v_bfe_i32 v52, v170 /*v426*/, 0, 8
	v_bfe_i32 v53, v170 /*v426*/, 8, 8
	;; [unrolled: 1-line block ×3, first 2 shown]
	s_set_vgpr_msb 4                        ;  msbs: dst=0 src0=0 src1=1 src2=0
	v_dual_ashrrev_i32 v55, 24, v170 /*v426*/ :: v_dual_ashrrev_i32 v61, 24, v171 /*v427*/
	s_set_vgpr_msb 0x44                     ;  msbs: dst=1 src0=0 src1=1 src2=0
	v_mul_i32_i24_e32 v169 /*v425*/, v52, v102 /*v358*/
	s_set_vgpr_msb 1                        ;  msbs: dst=0 src0=1 src1=0 src2=0
	v_bfe_i32 v56, v171 /*v427*/, 0, 8
	v_bfe_i32 v58, v171 /*v427*/, 8, 8
	;; [unrolled: 1-line block ×3, first 2 shown]
	s_set_vgpr_msb 0x54                     ;  msbs: dst=1 src0=0 src1=1 src2=1
	v_mul_i32_i24_e32 v170 /*v426*/, v54, v103 /*v359*/
	v_mul_i32_i24_e32 v171 /*v427*/, v55, v104 /*v360*/
	v_mad_i32_i24 v169 /*v425*/, v53, v101 /*v357*/, v169 /*v425*/
	s_wait_dscnt 0x1
	s_set_vgpr_msb 0x41                     ;  msbs: dst=1 src0=1 src1=0 src2=0
	v_bfe_i32 v198 /*v454*/, v178 /*v434*/, 0, 8
	s_set_vgpr_msb 1                        ;  msbs: dst=0 src0=1 src1=0 src2=0
	v_bfe_i32 v62, v172 /*v428*/, 0, 8
	v_bfe_i32 v64, v172 /*v428*/, 8, 8
	;; [unrolled: 1-line block ×3, first 2 shown]
	s_set_vgpr_msb 0x55                     ;  msbs: dst=1 src0=1 src1=1 src2=1
	v_add3_u32 v169 /*v425*/, v169 /*v425*/, v170 /*v426*/, v171 /*v427*/
	s_set_vgpr_msb 0x44                     ;  msbs: dst=1 src0=0 src1=1 src2=0
	v_mul_i32_i24_e32 v170 /*v426*/, v56, v105 /*v361*/
	v_mul_i32_i24_e32 v171 /*v427*/, v58, v106 /*v362*/
	s_set_vgpr_msb 4                        ;  msbs: dst=0 src0=0 src1=1 src2=0
	v_dual_ashrrev_i32 v67, 24, v172 /*v428*/ :: v_dual_ashrrev_i32 v84, 24, v173 /*v429*/
	s_set_vgpr_msb 1                        ;  msbs: dst=0 src0=1 src1=0 src2=0
	v_bfe_i32 v69, v173 /*v429*/, 0, 8
	v_bfe_i32 v71, v173 /*v429*/, 8, 8
	;; [unrolled: 1-line block ×3, first 2 shown]
	s_set_vgpr_msb 0x44                     ;  msbs: dst=1 src0=0 src1=1 src2=0
	v_dual_ashrrev_i32 v194 /*v450*/, 24, v176 /*v432*/ :: v_dual_ashrrev_i32 v201 /*v457*/, 24, v178 /*v434*/
	s_set_vgpr_msb 0x41                     ;  msbs: dst=1 src0=1 src1=0 src2=0
	v_bfe_i32 v199 /*v455*/, v178 /*v434*/, 8, 8
	v_bfe_i32 v200 /*v456*/, v178 /*v434*/, 16, 8
	s_set_vgpr_msb 0x44                     ;  msbs: dst=1 src0=0 src1=1 src2=0
	v_mul_i32_i24_e32 v172 /*v428*/, v60, v107 /*v363*/
	v_mul_i32_i24_e32 v173 /*v429*/, v61, v108 /*v364*/
	s_set_vgpr_msb 0x55                     ;  msbs: dst=1 src0=1 src1=1 src2=1
	v_add3_u32 v169 /*v425*/, v169 /*v425*/, v170 /*v426*/, v171 /*v427*/
	v_mul_i32_i24_e32 v170 /*v426*/, v141 /*v397*/, v198 /*v454*/
	v_bfe_i32 v202 /*v458*/, v179 /*v435*/, 0, 8
	v_bfe_i32 v203 /*v459*/, v179 /*v435*/, 8, 8
	v_mul_i32_i24_e32 v171 /*v427*/, v140 /*v396*/, v200 /*v456*/
	v_add3_u32 v169 /*v425*/, v169 /*v425*/, v172 /*v428*/, v173 /*v429*/
	v_mul_i32_i24_e32 v172 /*v428*/, v134 /*v390*/, v201 /*v457*/
	v_mad_i32_i24 v170 /*v426*/, v139 /*v395*/, v199 /*v455*/, v170 /*v426*/
	s_set_vgpr_msb 1                        ;  msbs: dst=0 src0=1 src1=0 src2=0
	v_bfe_i32 v86, v174 /*v430*/, 0, 8
	v_bfe_i32 v92, v174 /*v430*/, 8, 8
	;; [unrolled: 1-line block ×3, first 2 shown]
	s_set_vgpr_msb 0x44                     ;  msbs: dst=1 src0=0 src1=1 src2=0
	v_dual_ashrrev_i32 v186 /*v442*/, 24, v174 /*v430*/ :: v_dual_ashrrev_i32 v190 /*v446*/, 24, v175 /*v431*/
	s_set_vgpr_msb 0x41                     ;  msbs: dst=1 src0=1 src1=0 src2=0
	v_bfe_i32 v187 /*v443*/, v175 /*v431*/, 0, 8
	v_bfe_i32 v188 /*v444*/, v175 /*v431*/, 8, 8
	;; [unrolled: 1-line block ×4, first 2 shown]
	s_set_vgpr_msb 0x44                     ;  msbs: dst=1 src0=0 src1=1 src2=0
	v_dual_ashrrev_i32 v205 /*v461*/, 24, v179 /*v435*/ :: v_dual_ashrrev_i32 v209 /*v465*/, 24, v180 /*v436*/
	v_mul_i32_i24_e32 v174 /*v430*/, v62, v109 /*v365*/
	v_mul_i32_i24_e32 v175 /*v431*/, v64, v110 /*v366*/
	s_set_vgpr_msb 0x55                     ;  msbs: dst=1 src0=1 src1=1 src2=1
	v_add3_u32 v170 /*v426*/, v170 /*v426*/, v171 /*v427*/, v172 /*v428*/
	v_mul_i32_i24_e32 v171 /*v427*/, v144 /*v400*/, v202 /*v458*/
	v_mul_i32_i24_e32 v172 /*v428*/, v143 /*v399*/, v203 /*v459*/
	v_bfe_i32 v191 /*v447*/, v176 /*v432*/, 0, 8
	v_bfe_i32 v192 /*v448*/, v176 /*v432*/, 8, 8
	;; [unrolled: 1-line block ×5, first 2 shown]
	s_set_vgpr_msb 0x44                     ;  msbs: dst=1 src0=0 src1=1 src2=0
	v_mul_i32_i24_e32 v176 /*v432*/, v66, v111 /*v367*/
	v_mul_i32_i24_e32 v178 /*v434*/, v67, v112 /*v368*/
	s_set_vgpr_msb 0x55                     ;  msbs: dst=1 src0=1 src1=1 src2=1
	v_add3_u32 v169 /*v425*/, v169 /*v425*/, v174 /*v430*/, v175 /*v431*/
	v_mul_i32_i24_e32 v173 /*v429*/, v142 /*v398*/, v204 /*v460*/
	v_mul_i32_i24_e32 v174 /*v430*/, v126 /*v382*/, v205 /*v461*/
	v_add3_u32 v170 /*v426*/, v170 /*v426*/, v171 /*v427*/, v172 /*v428*/
	v_bfe_i32 v208 /*v464*/, v180 /*v436*/, 16, 8
	s_set_vgpr_msb 0x44                     ;  msbs: dst=1 src0=0 src1=1 src2=0
	v_mul_i32_i24_e32 v179 /*v435*/, v69, v113 /*v369*/
	v_mul_i32_i24_e32 v180 /*v436*/, v71, v114 /*v370*/
	s_set_vgpr_msb 0x55                     ;  msbs: dst=1 src0=1 src1=1 src2=1
	v_add3_u32 v169 /*v425*/, v169 /*v425*/, v176 /*v432*/, v178 /*v434*/
	v_mul_i32_i24_e32 v175 /*v431*/, v147 /*v403*/, v206 /*v462*/
	v_mul_i32_i24_e32 v176 /*v432*/, v146 /*v402*/, v207 /*v463*/
	v_add3_u32 v170 /*v426*/, v170 /*v426*/, v173 /*v429*/, v174 /*v430*/
	v_bfe_i32 v210 /*v466*/, v181 /*v437*/, 0, 8
	v_bfe_i32 v211 /*v467*/, v181 /*v437*/, 8, 8
	;; [unrolled: 1-line block ×3, first 2 shown]
	v_ashrrev_i32_e32 v213 /*v469*/, 24, v181 /*v437*/
	s_set_vgpr_msb 0x44                     ;  msbs: dst=1 src0=0 src1=1 src2=0
	v_mul_i32_i24_e32 v181 /*v437*/, v82, v115 /*v371*/
	v_mul_i32_i24_e32 v225 /*v481*/, v84, v116 /*v372*/
	s_set_vgpr_msb 0x55                     ;  msbs: dst=1 src0=1 src1=1 src2=1
	v_add3_u32 v169 /*v425*/, v169 /*v425*/, v179 /*v435*/, v180 /*v436*/
	v_mul_i32_i24_e32 v178 /*v434*/, v145 /*v401*/, v208 /*v464*/
	v_mul_i32_i24_e32 v179 /*v435*/, v127 /*v383*/, v209 /*v465*/
	v_add3_u32 v170 /*v426*/, v170 /*v426*/, v175 /*v431*/, v176 /*v432*/
	s_set_vgpr_msb 0x44                     ;  msbs: dst=1 src0=0 src1=1 src2=0
	v_mul_i32_i24_e32 v226 /*v482*/, v86, v117 /*v373*/
	v_mul_i32_i24_e32 v227 /*v483*/, v92, v118 /*v374*/
	s_set_vgpr_msb 0x55                     ;  msbs: dst=1 src0=1 src1=1 src2=1
	v_add3_u32 v169 /*v425*/, v169 /*v425*/, v181 /*v437*/, v225 /*v481*/
	v_mul_i32_i24_e32 v180 /*v436*/, v150 /*v406*/, v210 /*v466*/
	v_mul_i32_i24_e32 v181 /*v437*/, v149 /*v405*/, v211 /*v467*/
	v_add3_u32 v170 /*v426*/, v170 /*v426*/, v178 /*v434*/, v179 /*v435*/
	s_wait_dscnt 0x0
	v_bfe_i32 v214 /*v470*/, v182 /*v438*/, 0, 8
	v_bfe_i32 v215 /*v471*/, v182 /*v438*/, 8, 8
	;; [unrolled: 1-line block ×3, first 2 shown]
	v_ashrrev_i32_e32 v182 /*v438*/, 24, v182 /*v438*/
	s_set_vgpr_msb 0x41                     ;  msbs: dst=1 src0=1 src1=0 src2=0
	v_mul_i32_i24_e32 v228 /*v484*/, v120 /*v376*/, v133
	s_set_vgpr_msb 0x55                     ;  msbs: dst=1 src0=1 src1=1 src2=1
	v_mul_i32_i24_e32 v229 /*v485*/, v119 /*v375*/, v186 /*v442*/
	v_add3_u32 v169 /*v425*/, v169 /*v425*/, v226 /*v482*/, v227 /*v483*/
	v_mul_i32_i24_e32 v225 /*v481*/, v148 /*v404*/, v212 /*v468*/
	v_mul_i32_i24_e32 v226 /*v482*/, v128 /*v384*/, v213 /*v469*/
	v_add3_u32 v170 /*v426*/, v170 /*v426*/, v180 /*v436*/, v181 /*v437*/
	v_mul_i32_i24_e32 v230 /*v486*/, v122 /*v378*/, v187 /*v443*/
	;; [unrolled: 3-line block ×3, first 2 shown]
	v_mul_i32_i24_e32 v228 /*v484*/, v152 /*v408*/, v215 /*v471*/
	v_add3_u32 v170 /*v426*/, v170 /*v426*/, v225 /*v481*/, v226 /*v482*/
	v_bfe_i32 v217 /*v473*/, v183 /*v439*/, 0, 8
	v_bfe_i32 v218 /*v474*/, v183 /*v439*/, 8, 8
	v_mul_i32_i24_e32 v232 /*v488*/, v124 /*v380*/, v189 /*v445*/
	v_mul_i32_i24_e32 v233 /*v489*/, v123 /*v379*/, v190 /*v446*/
	v_add3_u32 v169 /*v425*/, v169 /*v425*/, v230 /*v486*/, v231 /*v487*/
	v_mul_i32_i24_e32 v229 /*v485*/, v151 /*v407*/, v216 /*v472*/
	v_mul_i32_i24_e32 v230 /*v486*/, v129 /*v385*/, v182 /*v438*/
	v_add3_u32 v170 /*v426*/, v170 /*v426*/, v227 /*v483*/, v228 /*v484*/
	v_bfe_i32 v219 /*v475*/, v183 /*v439*/, 16, 8
	v_ashrrev_i32_e32 v183 /*v439*/, 24, v183 /*v439*/
	v_mul_i32_i24_e32 v234 /*v490*/, v132 /*v388*/, v191 /*v447*/
	v_mul_i32_i24_e32 v235 /*v491*/, v125 /*v381*/, v192 /*v448*/
	v_add3_u32 v169 /*v425*/, v169 /*v425*/, v232 /*v488*/, v233 /*v489*/
	v_mul_i32_i24_e32 v231 /*v487*/, v156 /*v412*/, v217 /*v473*/
	v_mul_i32_i24_e32 v232 /*v488*/, v155 /*v411*/, v218 /*v474*/
	v_add3_u32 v170 /*v426*/, v170 /*v426*/, v229 /*v485*/, v230 /*v486*/
	v_bfe_i32 v220 /*v476*/, v184 /*v440*/, 0, 8
	v_bfe_i32 v221 /*v477*/, v184 /*v440*/, 8, 8
	;; [unrolled: 1-line block ×3, first 2 shown]
	v_ashrrev_i32_e32 v184 /*v440*/, 24, v184 /*v440*/
	v_mul_i32_i24_e32 v236 /*v492*/, v136 /*v392*/, v193 /*v449*/
	v_mul_i32_i24_e32 v237 /*v493*/, v133 /*v389*/, v194 /*v450*/
	v_add3_u32 v169 /*v425*/, v169 /*v425*/, v234 /*v490*/, v235 /*v491*/
	v_mul_i32_i24_e32 v233 /*v489*/, v154 /*v410*/, v219 /*v475*/
	v_mul_i32_i24_e32 v234 /*v490*/, v130 /*v386*/, v183 /*v439*/
	v_add3_u32 v170 /*v426*/, v170 /*v426*/, v231 /*v487*/, v232 /*v488*/
	v_mul_i32_i24_e32 v235 /*v491*/, v159 /*v415*/, v220 /*v476*/
	v_add3_u32 v169 /*v425*/, v169 /*v425*/, v236 /*v492*/, v237 /*v493*/
	v_mul_i32_i24_e32 v236 /*v492*/, v158 /*v414*/, v221 /*v477*/
	v_mul_i32_i24_e32 v237 /*v493*/, v157 /*v413*/, v222 /*v478*/
	v_add3_u32 v170 /*v426*/, v170 /*v426*/, v233 /*v489*/, v234 /*v490*/
	v_mul_i32_i24_e32 v240 /*v496*/, v131 /*v387*/, v184 /*v440*/
	s_set_vgpr_msb 64                       ;  msbs: dst=1 src0=0 src1=0 src2=0
	ds_load_b64 v[172:173] /*v[428:429]*/, v36 offset:27200
	s_set_vgpr_msb 0x55                     ;  msbs: dst=1 src0=1 src1=1 src2=1
	v_bfe_i32 v195 /*v451*/, v177 /*v433*/, 0, 8
	v_bfe_i32 v196 /*v452*/, v177 /*v433*/, 8, 8
	v_add3_u32 v170 /*v426*/, v170 /*v426*/, v235 /*v491*/, v236 /*v492*/
	v_bfe_i32 v197 /*v453*/, v177 /*v433*/, 16, 8
	v_ashrrev_i32_e32 v226 /*v482*/, 24, v177 /*v433*/
	v_mul_i32_i24_e32 v238 /*v494*/, v195 /*v451*/, v137 /*v393*/
	v_mul_i32_i24_e32 v239 /*v495*/, v196 /*v452*/, v138 /*v394*/
	v_add3_u32 v225 /*v481*/, v170 /*v426*/, v237 /*v493*/, v240 /*v496*/
	s_set_vgpr_msb 64                       ;  msbs: dst=1 src0=0 src1=0 src2=0
	ds_load_b64 v[170:171] /*v[426:427]*/, v8 offset:27200
	v_bfe_i32 v227 /*v483*/, v3, 16, 8
	v_ashrrev_i32_e32 v228 /*v484*/, 24, v3
	s_set_vgpr_msb 0x55                     ;  msbs: dst=1 src0=1 src1=1 src2=1
	v_add3_u32 v164 /*v420*/, v169 /*v425*/, v238 /*v494*/, v239 /*v495*/
	v_bfe_i32 v223 /*v479*/, v185 /*v441*/, 0, 8
	v_bfe_i32 v224 /*v480*/, v185 /*v441*/, 8, 8
	s_set_vgpr_msb 0x44                     ;  msbs: dst=1 src0=0 src1=1 src2=0
	v_mul_i32_i24_e32 v229 /*v485*/, v86, v58 /*v314*/
	s_set_vgpr_msb 0x45                     ;  msbs: dst=1 src0=1 src1=1 src2=0
	v_mul_i32_i24_e32 v166 /*v422*/, v36 /*v292*/, v228 /*v484*/
	s_set_vgpr_msb 0x44                     ;  msbs: dst=1 src0=0 src1=1 src2=0
	v_mul_i32_i24_e32 v230 /*v486*/, v92, v59 /*v315*/
	s_set_vgpr_msb 0x45                     ;  msbs: dst=1 src0=1 src1=1 src2=0
	v_mul_i32_i24_e32 v241 /*v497*/, v223 /*v479*/, v135 /*v391*/
	s_set_vgpr_msb 0x41                     ;  msbs: dst=1 src0=1 src1=0 src2=0
	v_mul_i32_i24_e32 v231 /*v487*/, v61 /*v317*/, v133
	s_wait_dscnt 0x1
	s_set_vgpr_msb 4                        ;  msbs: dst=0 src0=0 src1=1 src2=0
	v_lshrrev_b32_e32 v36, 16, v172 /*v428*/
	s_set_vgpr_msb 0x41                     ;  msbs: dst=1 src0=1 src1=0 src2=0
	v_cvt_f32_f16_e64 v175 /*v431*/, v172 /*v428*/
	v_cvt_f32_f16_e64 v179 /*v435*/, v173 /*v429*/
	v_mul_i32_i24_e32 v172 /*v428*/, v33 /*v289*/, v7
	s_set_vgpr_msb 0x45                     ;  msbs: dst=1 src0=1 src1=1 src2=0
	v_mul_i32_i24_e32 v232 /*v488*/, v60 /*v316*/, v186 /*v442*/
	s_set_vgpr_msb 64                       ;  msbs: dst=1 src0=0 src1=0 src2=0
	v_cvt_f32_f16_e64 v177 /*v433*/, v36
	s_set_vgpr_msb 1                        ;  msbs: dst=0 src0=1 src1=0 src2=0
	v_bfe_i32 v36, v185 /*v441*/, 16, 8
	s_set_vgpr_msb 0x45                     ;  msbs: dst=1 src0=1 src1=1 src2=0
	v_ashrrev_i32_e32 v185 /*v441*/, 24, v185 /*v441*/
	v_mul_i32_i24_e32 v233 /*v489*/, v63 /*v319*/, v187 /*v443*/
	s_wait_dscnt 0x0
	s_set_vgpr_msb 4                        ;  msbs: dst=0 src0=0 src1=1 src2=0
	v_dual_lshrrev_b32 v8, 16, v170 /*v426*/ :: v_dual_lshrrev_b32 v3, 16, v171 /*v427*/
	s_set_vgpr_msb 0x45                     ;  msbs: dst=1 src0=1 src1=1 src2=0
	v_cvt_f32_f16_e64 v174 /*v430*/, v170 /*v426*/
	v_cvt_f32_f16_e64 v178 /*v434*/, v171 /*v427*/
	v_mul_i32_i24_e32 v169 /*v425*/, v36 /*v292*/, v185 /*v441*/
	s_set_vgpr_msb 64                       ;  msbs: dst=1 src0=0 src1=0 src2=0
	v_cvt_f32_f16_e64 v176 /*v432*/, v8
	s_set_vgpr_msb 4                        ;  msbs: dst=0 src0=0 src1=1 src2=0
	v_lshrrev_b32_e32 v8, 16, v173 /*v429*/
	s_set_vgpr_msb 64                       ;  msbs: dst=1 src0=0 src1=0 src2=0
	v_cvt_f32_f16_e64 v170 /*v426*/, v3
	s_set_vgpr_msb 4                        ;  msbs: dst=0 src0=0 src1=1 src2=0
	v_mul_i32_i24_e32 v3, v4, v34 /*v290*/
	s_set_vgpr_msb 0x45                     ;  msbs: dst=1 src0=1 src1=1 src2=0
	v_mul_i32_i24_e32 v173 /*v429*/, v33 /*v289*/, v226 /*v482*/
	s_set_vgpr_msb 0x44                     ;  msbs: dst=1 src0=0 src1=1 src2=0
	v_pk_fma_f32 v[180:181] /*v[436:437]*/, v[120:121], v[176:177] /*v[432:433]*/, 0 op_sel_hi:[0,1,0]
	v_cvt_f32_f16_e64 v171 /*v427*/, v8
	s_set_vgpr_msb 5                        ;  msbs: dst=0 src0=1 src1=1 src2=0
	v_mul_i32_i24_e32 v8, v197 /*v453*/, v34 /*v290*/
	s_set_vgpr_msb 17                       ;  msbs: dst=0 src0=1 src1=0 src2=1
	v_add3_u32 v3, v163 /*v419*/, v3, v172 /*v428*/
	s_set_vgpr_msb 0x45                     ;  msbs: dst=1 src0=1 src1=1 src2=0
	v_mul_i32_i24_e32 v163 /*v419*/, v37 /*v293*/, v227 /*v483*/
	v_mul_i32_i24_e32 v234 /*v490*/, v62 /*v318*/, v188 /*v444*/
	;; [unrolled: 1-line block ×3, first 2 shown]
	s_set_vgpr_msb 17                       ;  msbs: dst=0 src0=1 src1=0 src2=1
	v_add3_u32 v8, v164 /*v420*/, v8, v173 /*v429*/
	s_set_vgpr_msb 4                        ;  msbs: dst=0 src0=0 src1=1 src2=0
	v_mul_lo_u32 v3, v3, v32 /*v288*/
	s_set_vgpr_msb 0x41                     ;  msbs: dst=1 src0=1 src1=0 src2=0
	v_mul_i32_i24_e32 v164 /*v420*/, v37 /*v293*/, v36
	s_set_vgpr_msb 0x45                     ;  msbs: dst=1 src0=1 src1=1 src2=0
	v_mul_i32_i24_e32 v236 /*v492*/, v64 /*v320*/, v190 /*v446*/
	v_mul_i32_i24_e32 v237 /*v493*/, v67 /*v323*/, v191 /*v447*/
	s_set_vgpr_msb 4                        ;  msbs: dst=0 src0=0 src1=1 src2=0
	v_mul_lo_u32 v8, v8, v32 /*v288*/
	s_set_vgpr_msb 0x45                     ;  msbs: dst=1 src0=1 src1=1 src2=0
	v_mul_i32_i24_e32 v238 /*v494*/, v66 /*v322*/, v192 /*v448*/
	v_mul_i32_i24_e32 v239 /*v495*/, v70 /*v326*/, v193 /*v449*/
	v_mul_i32_i24_e32 v240 /*v496*/, v68 /*v324*/, v194 /*v450*/
	v_mul_i32_i24_e32 v242 /*v498*/, v196 /*v452*/, v76 /*v332*/
	v_mul_i32_i24_e32 v243 /*v499*/, v98 /*v354*/, v184 /*v440*/
	v_mul_i32_i24_e32 v244 /*v500*/, v223 /*v479*/, v100 /*v356*/
	s_set_vgpr_msb 64                       ;  msbs: dst=1 src0=0 src1=0 src2=0
	v_cvt_f32_i32_e32 v172 /*v428*/, v3
	s_set_vgpr_msb 5                        ;  msbs: dst=0 src0=1 src1=1 src2=0
	v_mul_i32_i24_e32 v3, v224 /*v480*/, v38 /*v294*/
	s_set_vgpr_msb 64                       ;  msbs: dst=1 src0=0 src1=0 src2=0
	v_mul_i32_i24_e32 v165 /*v421*/, v67, v240
	s_set_vgpr_msb 4                        ;  msbs: dst=0 src0=0 src1=1 src2=0
	v_mul_i32_i24_e32 v12, v113, v227 /*v483*/
	s_set_vgpr_msb 64                       ;  msbs: dst=1 src0=0 src1=0 src2=0
	v_cvt_f32_i32_e32 v173 /*v429*/, v8
	s_set_vgpr_msb 4                        ;  msbs: dst=0 src0=0 src1=1 src2=0
	v_mul_i32_i24_e32 v8, v0, v38 /*v294*/
	s_set_vgpr_msb 5                        ;  msbs: dst=0 src0=1 src1=1 src2=0
	v_add3_u32 v3, v225 /*v481*/, v241 /*v497*/, v3
	s_set_vgpr_msb 0x44                     ;  msbs: dst=1 src0=0 src1=1 src2=0
	v_mul_i32_i24_e32 v225 /*v481*/, v84, v57 /*v313*/
	s_set_vgpr_msb 0x45                     ;  msbs: dst=1 src0=1 src1=1 src2=0
	v_mul_i32_i24_e32 v241 /*v497*/, v195 /*v451*/, v74 /*v330*/
	v_pk_fma_f32 v[172:173] /*v[428:429]*/, v[174:175] /*v[430:431]*/, v[172:173] /*v[428:429]*/, 0 op_sel_hi:[1,1,0]
	s_set_vgpr_msb 5                        ;  msbs: dst=0 src0=1 src1=1 src2=0
	v_add3_u32 v8, v168 /*v424*/, v167 /*v423*/, v8
	s_set_vgpr_msb 20                       ;  msbs: dst=0 src0=0 src1=1 src2=1
	v_add3_u32 v3, v3, v164 /*v420*/, v169 /*v425*/
	s_set_vgpr_msb 0x54                     ;  msbs: dst=1 src0=0 src1=1 src2=1
	v_pk_fma_f32 v[168:169] /*v[424:425]*/, v[122:123], v[170:171] /*v[426:427]*/, v[180:181] /*v[436:437]*/ op_sel_hi:[0,1,1]
	v_mul_i32_i24_e32 v164 /*v420*/, v60, v48 /*v304*/
	v_mul_i32_i24_e32 v180 /*v436*/, v71, v55 /*v311*/
	s_set_vgpr_msb 20                       ;  msbs: dst=0 src0=0 src1=1 src2=1
	v_add3_u32 v8, v8, v163 /*v419*/, v166 /*v422*/
	v_mul_lo_u32 v3, v3, v35 /*v291*/
	s_set_vgpr_msb 0x41                     ;  msbs: dst=1 src0=1 src1=0 src2=0
	v_pk_mul_f32 v[168:169] /*v[424:425]*/, v[168:169] /*v[424:425]*/, v[102:103]
	s_set_vgpr_msb 0x44                     ;  msbs: dst=1 src0=0 src1=1 src2=0
	v_mul_i32_i24_e32 v163 /*v419*/, v55, v45 /*v301*/
	v_mul_i32_i24_e32 v181 /*v437*/, v82, v56 /*v312*/
	s_set_vgpr_msb 4                        ;  msbs: dst=0 src0=0 src1=1 src2=0
	v_mul_lo_u32 v8, v8, v35 /*v291*/
	s_set_vgpr_msb 0x44                     ;  msbs: dst=1 src0=0 src1=1 src2=0
	v_mul_i32_i24_e32 v160 /*v416*/, v223, v184 /*v440*/
	s_set_vgpr_msb 0                        ;  msbs: dst=0 src0=0 src1=0 src2=0
	v_mul_i32_i24_e32 v0, v0, v162
	s_set_vgpr_msb 64                       ;  msbs: dst=1 src0=0 src1=0 src2=0
	v_cvt_f32_i32_e32 v167 /*v423*/, v3
	s_set_vgpr_msb 4                        ;  msbs: dst=0 src0=0 src1=1 src2=0
	v_mul_i32_i24_e32 v3, v52, v43 /*v299*/
	s_set_vgpr_msb 0                        ;  msbs: dst=0 src0=0 src1=0 src2=0
	v_add3_u32 v0, v11, v6, v0
	s_set_vgpr_msb 64                       ;  msbs: dst=1 src0=0 src1=0 src2=0
	v_cvt_f32_i32_e32 v166 /*v422*/, v8
	s_set_vgpr_msb 4                        ;  msbs: dst=0 src0=0 src1=1 src2=0
	v_mul_i32_i24_e32 v8, v54, v44 /*v300*/
	v_mad_i32_i24 v3, v53, v42 /*v298*/, v3
	s_set_vgpr_msb 0x55                     ;  msbs: dst=1 src0=1 src1=1 src2=1
	v_pk_fma_f32 v[166:167] /*v[422:423]*/, v[178:179] /*v[434:435]*/, v[166:167] /*v[422:423]*/, v[172:173] /*v[428:429]*/
	s_set_vgpr_msb 0x44                     ;  msbs: dst=1 src0=0 src1=1 src2=0
	v_mul_i32_i24_e32 v172 /*v428*/, v67, v53 /*v309*/
	s_set_vgpr_msb 16                       ;  msbs: dst=0 src0=0 src1=0 src2=1
	v_add3_u32 v3, v3, v8, v163 /*v419*/
	s_set_vgpr_msb 4                        ;  msbs: dst=0 src0=0 src1=1 src2=0
	v_mul_i32_i24_e32 v8, v56, v46 /*v302*/
	s_set_vgpr_msb 0x44                     ;  msbs: dst=1 src0=0 src1=1 src2=0
	v_mul_i32_i24_e32 v163 /*v419*/, v58, v47 /*v303*/
	s_set_vgpr_msb 0x51                     ;  msbs: dst=1 src0=1 src1=0 src2=1
	v_pk_fma_f32 v[166:167] /*v[422:423]*/, v[166:167] /*v[422:423]*/, v[94:95], v[168:169] /*v[424:425]*/ neg_lo:[0,0,1] neg_hi:[0,0,1]
	s_set_vgpr_msb 0x44                     ;  msbs: dst=1 src0=0 src1=1 src2=0
	v_mul_i32_i24_e32 v168 /*v424*/, v64, v51 /*v307*/
	v_mul_i32_i24_e32 v169 /*v425*/, v66, v52 /*v308*/
	;; [unrolled: 1-line block ×3, first 2 shown]
	s_set_vgpr_msb 16                       ;  msbs: dst=0 src0=0 src1=0 src2=1
	v_add3_u32 v3, v3, v8, v163 /*v419*/
	s_set_vgpr_msb 4                        ;  msbs: dst=0 src0=0 src1=1 src2=0
	v_pk_add_f32 v[30:31], v[30:31], v[166:167] /*v[422:423]*/
	s_set_vgpr_msb 0x44                     ;  msbs: dst=1 src0=0 src1=1 src2=0
	v_mul_i32_i24_e32 v166 /*v422*/, v61, v49 /*v305*/
	v_mul_i32_i24_e32 v167 /*v423*/, v62, v50 /*v306*/
	s_set_vgpr_msb 5                        ;  msbs: dst=0 src0=1 src1=1 src2=0
	v_mul_i32_i24_e32 v8, v198 /*v454*/, v72 /*v328*/
	s_set_vgpr_msb 0x45                     ;  msbs: dst=1 src0=1 src1=1 src2=0
	v_mul_i32_i24_e32 v163 /*v419*/, v200 /*v456*/, v69 /*v325*/
	s_set_vgpr_msb 20                       ;  msbs: dst=0 src0=0 src1=1 src2=1
	v_add3_u32 v3, v3, v164 /*v420*/, v166 /*v422*/
	s_set_vgpr_msb 0x45                     ;  msbs: dst=1 src0=1 src1=1 src2=0
	v_mul_i32_i24_e32 v164 /*v420*/, v201 /*v457*/, v75 /*v331*/
	s_set_vgpr_msb 5                        ;  msbs: dst=0 src0=1 src1=1 src2=0
	v_mad_i32_i24 v8, v199 /*v455*/, v71 /*v327*/, v8
	s_set_vgpr_msb 0x45                     ;  msbs: dst=1 src0=1 src1=1 src2=0
	v_mul_i32_i24_e32 v166 /*v422*/, v204 /*v460*/, v73 /*v329*/
	s_set_vgpr_msb 20                       ;  msbs: dst=0 src0=0 src1=1 src2=1
	v_add3_u32 v3, v3, v167 /*v423*/, v168 /*v424*/
	s_set_vgpr_msb 0x45                     ;  msbs: dst=1 src0=1 src1=1 src2=0
	v_mul_i32_i24_e32 v167 /*v423*/, v205 /*v461*/, v80 /*v336*/
	s_set_vgpr_msb 20                       ;  msbs: dst=0 src0=0 src1=1 src2=1
	v_add3_u32 v8, v8, v163 /*v419*/, v164 /*v420*/
	s_set_vgpr_msb 0x45                     ;  msbs: dst=1 src0=1 src1=1 src2=0
	v_mul_i32_i24_e32 v163 /*v419*/, v202 /*v458*/, v77 /*v333*/
	v_mul_i32_i24_e32 v164 /*v420*/, v203 /*v459*/, v78 /*v334*/
	s_set_vgpr_msb 20                       ;  msbs: dst=0 src0=0 src1=1 src2=1
	v_add3_u32 v3, v3, v169 /*v425*/, v172 /*v428*/
	s_set_vgpr_msb 0x45                     ;  msbs: dst=1 src0=1 src1=1 src2=0
	v_mul_i32_i24_e32 v168 /*v424*/, v206 /*v462*/, v81 /*v337*/
	v_mul_i32_i24_e32 v169 /*v425*/, v207 /*v463*/, v82 /*v338*/
	v_mul_i32_i24_e32 v172 /*v428*/, v208 /*v464*/, v79 /*v335*/
	s_set_vgpr_msb 20                       ;  msbs: dst=0 src0=0 src1=1 src2=1
	v_add3_u32 v8, v8, v163 /*v419*/, v164 /*v420*/
	v_add3_u32 v3, v3, v173 /*v429*/, v180 /*v436*/
	s_set_vgpr_msb 0x45                     ;  msbs: dst=1 src0=1 src1=1 src2=0
	v_mul_i32_i24_e32 v173 /*v429*/, v209 /*v465*/, v84 /*v340*/
	v_mul_i32_i24_e32 v180 /*v436*/, v210 /*v466*/, v85 /*v341*/
	v_mul_i32_i24_e32 v164 /*v420*/, v197 /*v453*/, v41 /*v297*/
	s_set_vgpr_msb 20                       ;  msbs: dst=0 src0=0 src1=1 src2=1
	v_add3_u32 v8, v8, v166 /*v422*/, v167 /*v423*/
	v_add3_u32 v3, v3, v181 /*v437*/, v225 /*v481*/
	s_set_vgpr_msb 0x45                     ;  msbs: dst=1 src0=1 src1=1 src2=0
	v_mul_i32_i24_e32 v181 /*v437*/, v211 /*v467*/, v86 /*v342*/
	v_mul_i32_i24_e32 v225 /*v481*/, v212 /*v468*/, v83 /*v339*/
	v_mul_i32_i24_e32 v167 /*v423*/, v40 /*v296*/, v226 /*v482*/
	s_set_vgpr_msb 20                       ;  msbs: dst=0 src0=0 src1=1 src2=1
	v_add3_u32 v8, v8, v168 /*v424*/, v169 /*v425*/
	v_add3_u32 v3, v3, v229 /*v485*/, v230 /*v486*/
	s_set_vgpr_msb 0x45                     ;  msbs: dst=1 src0=1 src1=1 src2=0
	v_mul_i32_i24_e32 v229 /*v485*/, v213 /*v469*/, v87 /*v343*/
	v_mul_i32_i24_e32 v230 /*v486*/, v88 /*v344*/, v214 /*v470*/
	s_set_vgpr_msb 0x44                     ;  msbs: dst=1 src0=0 src1=1 src2=0
	v_mul_i32_i24_e32 v163 /*v419*/, v4, v41 /*v297*/
	s_set_vgpr_msb 20                       ;  msbs: dst=0 src0=0 src1=1 src2=1
	v_add3_u32 v8, v8, v172 /*v428*/, v173 /*v429*/
	v_add3_u32 v3, v3, v231 /*v487*/, v232 /*v488*/
	s_set_vgpr_msb 0x45                     ;  msbs: dst=1 src0=1 src1=1 src2=0
	v_mul_i32_i24_e32 v231 /*v487*/, v89 /*v345*/, v215 /*v471*/
	v_mul_i32_i24_e32 v232 /*v488*/, v91 /*v347*/, v216 /*v472*/
	s_set_vgpr_msb 0x41                     ;  msbs: dst=1 src0=1 src1=0 src2=0
	v_mul_i32_i24_e32 v166 /*v422*/, v40 /*v296*/, v7
	s_set_vgpr_msb 20                       ;  msbs: dst=0 src0=0 src1=1 src2=1
	v_add3_u32 v8, v8, v180 /*v436*/, v181 /*v437*/
	v_add3_u32 v3, v3, v233 /*v489*/, v234 /*v490*/
	s_set_vgpr_msb 0x45                     ;  msbs: dst=1 src0=1 src1=1 src2=0
	v_mul_i32_i24_e32 v233 /*v489*/, v90 /*v346*/, v182 /*v438*/
	v_mul_i32_i24_e32 v234 /*v490*/, v92 /*v348*/, v217 /*v473*/
	s_set_vgpr_msb 20                       ;  msbs: dst=0 src0=0 src1=1 src2=1
	v_add3_u32 v14, v14, v163 /*v419*/, v166 /*v422*/
	v_add3_u32 v8, v8, v225 /*v481*/, v229 /*v485*/
	;; [unrolled: 1-line block ×3, first 2 shown]
	s_set_vgpr_msb 0x45                     ;  msbs: dst=1 src0=1 src1=1 src2=0
	v_mul_i32_i24_e32 v235 /*v491*/, v93 /*v349*/, v218 /*v474*/
	v_mul_i32_i24_e32 v236 /*v492*/, v95 /*v351*/, v219 /*v475*/
	s_set_vgpr_msb 0x44                     ;  msbs: dst=1 src0=0 src1=1 src2=0
	v_mul_i32_i24_e32 v163 /*v419*/, v157, v227 /*v483*/
	s_set_vgpr_msb 20                       ;  msbs: dst=0 src0=0 src1=1 src2=1
	v_add3_u32 v8, v8, v230 /*v486*/, v231 /*v487*/
	v_add3_u32 v3, v3, v237 /*v493*/, v238 /*v494*/
	s_set_vgpr_msb 0x45                     ;  msbs: dst=1 src0=1 src1=1 src2=0
	v_mul_i32_i24_e32 v237 /*v493*/, v94 /*v350*/, v183 /*v439*/
	v_mul_i32_i24_e32 v238 /*v494*/, v96 /*v352*/, v220 /*v476*/
	s_set_vgpr_msb 0x44                     ;  msbs: dst=1 src0=0 src1=1 src2=0
	v_mul_i32_i24_e32 v168 /*v424*/, v119, v228 /*v484*/
	s_set_vgpr_msb 20                       ;  msbs: dst=0 src0=0 src1=1 src2=1
	v_add3_u32 v8, v8, v232 /*v488*/, v233 /*v489*/
	v_add3_u32 v3, v3, v239 /*v495*/, v240 /*v496*/
	;; [unrolled: 8-line block ×3, first 2 shown]
	v_mul_lo_u32 v14, v14, v39 /*v295*/
	s_set_vgpr_msb 64                       ;  msbs: dst=1 src0=0 src1=0 src2=0
	v_mul_i32_i24_e32 v172 /*v428*/, v86, v245
	v_mul_i32_i24_e32 v173 /*v429*/, v92, v246
	s_set_vgpr_msb 20                       ;  msbs: dst=0 src0=0 src1=1 src2=1
	v_add3_u32 v8, v8, v236 /*v492*/, v237 /*v493*/
	v_add3_u32 v3, v3, v164 /*v420*/, v167 /*v423*/
	s_set_vgpr_msb 64                       ;  msbs: dst=1 src0=0 src1=0 src2=0
	v_mul_i32_i24_e32 v164 /*v420*/, v157, v36
	s_set_vgpr_msb 0x44                     ;  msbs: dst=1 src0=0 src1=1 src2=0
	v_pk_fma_f32 v[166:167] /*v[422:423]*/, v[124:125], v[176:177] /*v[432:433]*/, 0 op_sel_hi:[0,1,0]
	s_set_vgpr_msb 64                       ;  msbs: dst=1 src0=0 src1=0 src2=0
	v_mul_i32_i24_e32 v180 /*v436*/, v248, v133
	s_set_vgpr_msb 20                       ;  msbs: dst=0 src0=0 src1=1 src2=1
	v_add3_u32 v8, v8, v238 /*v494*/, v239 /*v495*/
	v_mul_lo_u32 v3, v3, v39 /*v295*/
	s_set_vgpr_msb 0x44                     ;  msbs: dst=1 src0=0 src1=1 src2=0
	v_mul_i32_i24_e32 v181 /*v437*/, v247, v186 /*v442*/
	s_set_vgpr_msb 0                        ;  msbs: dst=0 src0=0 src1=0 src2=0
	v_cvt_f32_i32_e32 v14, v14
	s_set_vgpr_msb 0x44                     ;  msbs: dst=1 src0=0 src1=1 src2=0
	v_mul_i32_i24_e32 v225 /*v481*/, v250, v187 /*v443*/
	s_set_vgpr_msb 20                       ;  msbs: dst=0 src0=0 src1=1 src2=1
	v_add3_u32 v8, v8, v240 /*v496*/, v243 /*v499*/
	s_set_vgpr_msb 0x44                     ;  msbs: dst=1 src0=0 src1=1 src2=0
	v_mul_i32_i24_e32 v229 /*v485*/, v249, v188 /*v444*/
	v_mul_i32_i24_e32 v230 /*v486*/, v252, v189 /*v445*/
	;; [unrolled: 1-line block ×5, first 2 shown]
	s_set_vgpr_msb 0x45                     ;  msbs: dst=1 src0=1 src1=1 src2=0
	v_mul_i32_i24_e32 v234 /*v490*/, v1 /*v257*/, v193 /*v449*/
	s_set_vgpr_msb 0                        ;  msbs: dst=0 src0=0 src1=0 src2=0
	v_cvt_f32_i32_e32 v15, v3
	s_set_vgpr_msb 1                        ;  msbs: dst=0 src0=1 src1=0 src2=0
	v_mul_i32_i24_e32 v3, v224 /*v480*/, v158
	s_set_vgpr_msb 0x44                     ;  msbs: dst=1 src0=0 src1=1 src2=0
	v_mul_i32_i24_e32 v235 /*v491*/, v255, v194 /*v450*/
	s_set_vgpr_msb 0x45                     ;  msbs: dst=1 src0=1 src1=1 src2=0
	v_mul_i32_i24_e32 v236 /*v492*/, v195 /*v451*/, v5 /*v261*/
	v_mul_i32_i24_e32 v237 /*v493*/, v196 /*v452*/, v7 /*v263*/
	s_set_vgpr_msb 1                        ;  msbs: dst=0 src0=1 src1=0 src2=0
	v_pk_fma_f32 v[14:15], v[174:175] /*v[430:431]*/, v[14:15], 0 op_sel_hi:[1,1,0]
	s_set_vgpr_msb 4                        ;  msbs: dst=0 src0=0 src1=1 src2=0
	v_add3_u32 v3, v8, v244 /*v500*/, v3
	s_set_vgpr_msb 21                       ;  msbs: dst=0 src0=1 src1=1 src2=1
	v_add3_u32 v8, v161 /*v417*/, v163 /*v419*/, v168 /*v424*/
	s_set_vgpr_msb 64                       ;  msbs: dst=1 src0=0 src1=0 src2=0
	v_mul_i32_i24_e32 v161 /*v417*/, v61, v236
	v_mul_i32_i24_e32 v168 /*v424*/, v82, v243
	s_set_vgpr_msb 0x45                     ;  msbs: dst=1 src0=1 src1=1 src2=0
	v_mul_i32_i24_e32 v238 /*v494*/, v29 /*v285*/, v184 /*v440*/
	s_set_vgpr_msb 20                       ;  msbs: dst=0 src0=0 src1=1 src2=1
	v_add3_u32 v3, v3, v164 /*v420*/, v169 /*v425*/
	s_set_vgpr_msb 0                        ;  msbs: dst=0 src0=0 src1=0 src2=0
	v_mul_lo_u32 v8, v8, v159
	s_set_vgpr_msb 64                       ;  msbs: dst=1 src0=0 src1=0 src2=0
	v_mul_i32_i24_e32 v164 /*v420*/, v66, v239
	v_mul_i32_i24_e32 v169 /*v425*/, v84, v244
	s_set_vgpr_msb 0x45                     ;  msbs: dst=1 src0=1 src1=1 src2=0
	v_mul_i32_i24_e32 v239 /*v495*/, v223 /*v479*/, v31 /*v287*/
	s_set_vgpr_msb 0                        ;  msbs: dst=0 src0=0 src1=0 src2=0
	v_mul_lo_u32 v3, v3, v159
	s_set_vgpr_msb 64                       ;  msbs: dst=1 src0=0 src1=0 src2=0
	v_cvt_f32_i32_e32 v162 /*v418*/, v8
	s_set_vgpr_msb 0                        ;  msbs: dst=0 src0=0 src1=0 src2=0
	v_mul_i32_i24_e32 v8, v54, v231
	s_set_vgpr_msb 64                       ;  msbs: dst=1 src0=0 src1=0 src2=0
	s_delay_alu instid0(VALU_DEP_3) | instskip(SKIP_3) | instid1(VALU_DEP_2)
	v_cvt_f32_i32_e32 v163 /*v419*/, v3
	s_set_vgpr_msb 0                        ;  msbs: dst=0 src0=0 src1=0 src2=0
	v_mul_i32_i24_e32 v3, v52, v230
	s_set_vgpr_msb 5                        ;  msbs: dst=0 src0=1 src1=1 src2=0
	v_pk_fma_f32 v[14:15], v[178:179] /*v[434:435]*/, v[162:163] /*v[418:419]*/, v[14:15]
	s_set_vgpr_msb 0x54                     ;  msbs: dst=1 src0=0 src1=1 src2=1
	v_pk_fma_f32 v[162:163] /*v[418:419]*/, v[118:119], v[170:171] /*v[426:427]*/, v[166:167] /*v[422:423]*/ op_sel_hi:[0,1,1]
	s_set_vgpr_msb 0                        ;  msbs: dst=0 src0=0 src1=0 src2=0
	v_mad_i32_i24 v3, v53, v229, v3
	s_set_vgpr_msb 64                       ;  msbs: dst=1 src0=0 src1=0 src2=0
	v_mul_i32_i24_e32 v166 /*v422*/, v69, v241
	v_mul_i32_i24_e32 v167 /*v423*/, v71, v242
	s_set_vgpr_msb 0x41                     ;  msbs: dst=1 src0=1 src1=0 src2=0
	v_pk_mul_f32 v[162:163] /*v[418:419]*/, v[162:163] /*v[418:419]*/, v[104:105]
	s_set_vgpr_msb 16                       ;  msbs: dst=0 src0=0 src1=0 src2=1
	s_delay_alu instid0(VALU_DEP_1)
	v_pk_fma_f32 v[14:15], v[14:15], v[96:97], v[162:163] /*v[418:419]*/ neg_lo:[0,0,1] neg_hi:[0,0,1]
	s_set_vgpr_msb 64                       ;  msbs: dst=1 src0=0 src1=0 src2=0
	v_mul_i32_i24_e32 v162 /*v418*/, v62, v237
	v_mul_i32_i24_e32 v163 /*v419*/, v64, v238
	s_set_vgpr_msb 0                        ;  msbs: dst=0 src0=0 src1=0 src2=0
	v_pk_add_f32 v[28:29], v[28:29], v[14:15]
	v_mul_i32_i24_e32 v14, v55, v232
	v_mul_i32_i24_e32 v15, v60, v235
	s_delay_alu instid0(VALU_DEP_2) | instskip(SKIP_2) | instid1(VALU_DEP_1)
	v_add3_u32 v3, v3, v8, v14
	v_mul_i32_i24_e32 v8, v56, v233
	v_mul_i32_i24_e32 v14, v58, v234
	v_add3_u32 v3, v3, v8, v14
	s_set_vgpr_msb 5                        ;  msbs: dst=0 src0=1 src1=1 src2=0
	v_mul_i32_i24_e32 v8, v198 /*v454*/, v3 /*v259*/
	v_mul_i32_i24_e32 v14, v200 /*v456*/, v0 /*v256*/
	s_set_vgpr_msb 16                       ;  msbs: dst=0 src0=0 src1=0 src2=1
	v_add3_u32 v3, v3, v15, v161 /*v417*/
	s_set_vgpr_msb 5                        ;  msbs: dst=0 src0=1 src1=1 src2=0
	v_mul_i32_i24_e32 v15, v201 /*v457*/, v6 /*v262*/
	v_mad_i32_i24 v8, v199 /*v455*/, v2 /*v258*/, v8
	s_set_vgpr_msb 0x45                     ;  msbs: dst=1 src0=1 src1=1 src2=0
	v_mul_i32_i24_e32 v161 /*v417*/, v204 /*v460*/, v4 /*v260*/
	s_set_vgpr_msb 20                       ;  msbs: dst=0 src0=0 src1=1 src2=1
	v_add3_u32 v3, v3, v162 /*v418*/, v163 /*v419*/
	s_set_vgpr_msb 0x45                     ;  msbs: dst=1 src0=1 src1=1 src2=0
	v_mul_i32_i24_e32 v162 /*v418*/, v205 /*v461*/, v11 /*v267*/
	s_set_vgpr_msb 0                        ;  msbs: dst=0 src0=0 src1=0 src2=0
	v_add3_u32 v8, v8, v14, v15
	s_set_vgpr_msb 5                        ;  msbs: dst=0 src0=1 src1=1 src2=0
	v_mul_i32_i24_e32 v14, v202 /*v458*/, v8 /*v264*/
	v_mul_i32_i24_e32 v15, v203 /*v459*/, v9 /*v265*/
	s_set_vgpr_msb 20                       ;  msbs: dst=0 src0=0 src1=1 src2=1
	v_add3_u32 v3, v3, v164 /*v420*/, v165 /*v421*/
	s_set_vgpr_msb 0x45                     ;  msbs: dst=1 src0=1 src1=1 src2=0
	v_mul_i32_i24_e32 v163 /*v419*/, v206 /*v462*/, v12 /*v268*/
	v_mul_i32_i24_e32 v164 /*v420*/, v207 /*v463*/, v13 /*v269*/
	;; [unrolled: 1-line block ×3, first 2 shown]
	s_set_vgpr_msb 0                        ;  msbs: dst=0 src0=0 src1=0 src2=0
	v_add3_u32 v8, v8, v14, v15
	s_set_vgpr_msb 20                       ;  msbs: dst=0 src0=0 src1=1 src2=1
	v_add3_u32 v3, v3, v166 /*v422*/, v167 /*v423*/
	s_set_vgpr_msb 0x45                     ;  msbs: dst=1 src0=1 src1=1 src2=0
	v_mul_i32_i24_e32 v166 /*v422*/, v209 /*v465*/, v15 /*v271*/
	v_mul_i32_i24_e32 v167 /*v423*/, v210 /*v466*/, v16 /*v272*/
	s_set_vgpr_msb 1                        ;  msbs: dst=0 src0=1 src1=0 src2=0
	v_mul_i32_i24_e32 v14, v197 /*v453*/, v228
	s_set_vgpr_msb 20                       ;  msbs: dst=0 src0=0 src1=1 src2=1
	v_add3_u32 v8, v8, v161 /*v417*/, v162 /*v418*/
	v_add3_u32 v3, v3, v168 /*v424*/, v169 /*v425*/
	s_set_vgpr_msb 0x45                     ;  msbs: dst=1 src0=1 src1=1 src2=0
	v_mul_i32_i24_e32 v168 /*v424*/, v211 /*v467*/, v17 /*v273*/
	v_mul_i32_i24_e32 v169 /*v425*/, v212 /*v468*/, v14 /*v270*/
	s_set_vgpr_msb 0x44                     ;  msbs: dst=1 src0=0 src1=1 src2=0
	v_mul_i32_i24_e32 v162 /*v418*/, v227, v226 /*v482*/
	s_set_vgpr_msb 20                       ;  msbs: dst=0 src0=0 src1=1 src2=1
	v_add3_u32 v8, v8, v163 /*v419*/, v164 /*v420*/
	v_add3_u32 v3, v3, v172 /*v428*/, v173 /*v429*/
	s_set_vgpr_msb 0x45                     ;  msbs: dst=1 src0=1 src1=1 src2=0
	v_mul_i32_i24_e32 v172 /*v428*/, v213 /*v469*/, v18 /*v274*/
	v_mul_i32_i24_e32 v173 /*v429*/, v19 /*v275*/, v214 /*v470*/
	s_set_vgpr_msb 0                        ;  msbs: dst=0 src0=0 src1=0 src2=0
	v_mul_i32_i24_e32 v15, v227, v7
	s_set_vgpr_msb 20                       ;  msbs: dst=0 src0=0 src1=1 src2=1
	v_add3_u32 v8, v8, v165 /*v421*/, v166 /*v422*/
	v_add3_u32 v3, v3, v180 /*v436*/, v181 /*v437*/
	s_set_vgpr_msb 0x45                     ;  msbs: dst=1 src0=1 src1=1 src2=0
	v_mul_i32_i24_e32 v180 /*v436*/, v20 /*v276*/, v215 /*v471*/
	v_mul_i32_i24_e32 v181 /*v437*/, v22 /*v278*/, v216 /*v472*/
	s_set_vgpr_msb 0x44                     ;  msbs: dst=1 src0=0 src1=1 src2=0
	v_mul_i32_i24_e32 v163 /*v419*/, v111, v228 /*v484*/
	s_set_vgpr_msb 20                       ;  msbs: dst=0 src0=0 src1=1 src2=1
	v_add3_u32 v8, v8, v167 /*v423*/, v168 /*v424*/
	v_add3_u32 v3, v3, v225 /*v481*/, v229 /*v485*/
	s_set_vgpr_msb 0x45                     ;  msbs: dst=1 src0=1 src1=1 src2=0
	v_mul_i32_i24_e32 v225 /*v481*/, v21 /*v277*/, v182 /*v438*/
	v_mul_i32_i24_e32 v229 /*v485*/, v23 /*v279*/, v217 /*v473*/
	s_set_vgpr_msb 0x44                     ;  msbs: dst=1 src0=0 src1=1 src2=0
	v_mul_i32_i24_e32 v164 /*v420*/, v111, v185 /*v441*/
	s_set_vgpr_msb 20                       ;  msbs: dst=0 src0=0 src1=1 src2=1
	v_add3_u32 v8, v8, v169 /*v425*/, v172 /*v428*/
	v_add3_u32 v3, v3, v230 /*v486*/, v231 /*v487*/
	s_set_vgpr_msb 0x45                     ;  msbs: dst=1 src0=1 src1=1 src2=0
	v_mul_i32_i24_e32 v230 /*v486*/, v24 /*v280*/, v218 /*v474*/
	v_mul_i32_i24_e32 v231 /*v487*/, v26 /*v282*/, v219 /*v475*/
	s_set_vgpr_msb 16                       ;  msbs: dst=0 src0=0 src1=0 src2=1
	v_add3_u32 v10, v10, v12, v163 /*v419*/
	s_set_vgpr_msb 20                       ;  msbs: dst=0 src0=0 src1=1 src2=1
	v_add3_u32 v8, v8, v173 /*v429*/, v180 /*v436*/
	v_add3_u32 v3, v3, v232 /*v488*/, v233 /*v489*/
	s_set_vgpr_msb 0x45                     ;  msbs: dst=1 src0=1 src1=1 src2=0
	v_mul_i32_i24_e32 v232 /*v488*/, v25 /*v281*/, v183 /*v439*/
	v_mul_i32_i24_e32 v233 /*v489*/, v27 /*v283*/, v220 /*v476*/
	s_set_vgpr_msb 0                        ;  msbs: dst=0 src0=0 src1=0 src2=0
	v_mul_lo_u32 v10, v10, v117
	s_set_vgpr_msb 20                       ;  msbs: dst=0 src0=0 src1=1 src2=1
	v_add3_u32 v8, v8, v181 /*v437*/, v225 /*v481*/
	v_add3_u32 v3, v3, v234 /*v490*/, v235 /*v491*/
	s_set_vgpr_msb 0x45                     ;  msbs: dst=1 src0=1 src1=1 src2=0
	v_mul_i32_i24_e32 v234 /*v490*/, v28 /*v284*/, v221 /*v477*/
	v_mul_i32_i24_e32 v235 /*v491*/, v30 /*v286*/, v222 /*v478*/
	s_set_vgpr_msb 0                        ;  msbs: dst=0 src0=0 src1=0 src2=0
	v_mul_i32_i24_e32 v7, v165, v7
	s_set_vgpr_msb 20                       ;  msbs: dst=0 src0=0 src1=1 src2=1
	v_add3_u32 v8, v8, v229 /*v485*/, v230 /*v486*/
	v_add3_u32 v3, v3, v236 /*v492*/, v237 /*v493*/
	s_delay_alu instid0(VALU_DEP_2) | instskip(SKIP_1) | instid1(VALU_DEP_2)
	v_add3_u32 v8, v8, v231 /*v487*/, v232 /*v488*/
	s_set_vgpr_msb 16                       ;  msbs: dst=0 src0=0 src1=0 src2=1
	v_add3_u32 v3, v3, v14, v162 /*v418*/
	s_set_vgpr_msb 64                       ;  msbs: dst=1 src0=0 src1=0 src2=0
	v_mul_i32_i24_e32 v162 /*v418*/, v113, v36
	s_set_vgpr_msb 0                        ;  msbs: dst=0 src0=0 src1=0 src2=0
	v_cvt_f32_i32_e32 v12, v10
	v_mul_i32_i24_e32 v10, v60, v173
	s_set_vgpr_msb 20                       ;  msbs: dst=0 src0=0 src1=1 src2=1
	v_add3_u32 v8, v8, v233 /*v489*/, v234 /*v490*/
	s_set_vgpr_msb 0                        ;  msbs: dst=0 src0=0 src1=0 src2=0
	v_mul_lo_u32 v3, v3, v226
	v_mul_i32_i24_e32 v60, v92, v184
	s_set_vgpr_msb 1                        ;  msbs: dst=0 src0=1 src1=0 src2=0
	v_mul_i32_i24_e32 v92, v195 /*v451*/, v199
	s_set_vgpr_msb 0x54                     ;  msbs: dst=1 src0=0 src1=1 src2=1
	v_add3_u32 v161 /*v417*/, v8, v235 /*v491*/, v238 /*v494*/
	s_set_vgpr_msb 0                        ;  msbs: dst=0 src0=0 src1=0 src2=0
	v_mul_i32_i24_e32 v8, v4, v228
	v_mul_i32_i24_e32 v4, v4, v166
	s_delay_alu instid0(VALU_DEP_2)
	v_add3_u32 v8, v9, v8, v15
	v_cvt_f32_i32_e32 v9, v3
	s_set_vgpr_msb 1                        ;  msbs: dst=0 src0=1 src1=0 src2=0
	v_mul_i32_i24_e32 v3, v224 /*v480*/, v115
	s_set_vgpr_msb 4                        ;  msbs: dst=0 src0=0 src1=1 src2=0
	v_pk_fma_f32 v[14:15], v[110:111], v[176:177] /*v[432:433]*/, 0 op_sel_hi:[0,1,0]
	s_set_vgpr_msb 0                        ;  msbs: dst=0 src0=0 src1=0 src2=0
	v_add3_u32 v1, v1, v4, v7
	v_mul_lo_u32 v8, v8, v226
	s_set_vgpr_msb 4                        ;  msbs: dst=0 src0=0 src1=1 src2=0
	v_mul_i32_i24_e32 v7, v161, v227 /*v483*/
	s_set_vgpr_msb 5                        ;  msbs: dst=0 src0=1 src1=1 src2=0
	v_add3_u32 v3, v161 /*v417*/, v239 /*v495*/, v3
	s_set_vgpr_msb 0x41                     ;  msbs: dst=1 src0=1 src1=0 src2=0
	v_mul_i32_i24_e32 v161 /*v417*/, v223 /*v479*/, v225
	s_set_vgpr_msb 0                        ;  msbs: dst=0 src0=0 src1=0 src2=0
	v_mul_lo_u32 v1, v1, v164
	s_set_vgpr_msb 20                       ;  msbs: dst=0 src0=0 src1=1 src2=1
	v_pk_fma_f32 v[4:5], v[116:117], v[176:177] /*v[432:433]*/, 0 op_sel_hi:[0,1,0]
	v_add3_u32 v3, v3, v162 /*v418*/, v164 /*v420*/
	v_cvt_f32_i32_e32 v8, v8
	s_set_vgpr_msb 0                        ;  msbs: dst=0 src0=0 src1=0 src2=0
	s_delay_alu instid0(VALU_DEP_2) | instskip(SKIP_1) | instid1(VALU_DEP_2)
	v_mul_lo_u32 v3, v3, v117
	s_set_vgpr_msb 1                        ;  msbs: dst=0 src0=1 src1=0 src2=0
	v_pk_fma_f32 v[8:9], v[174:175] /*v[430:431]*/, v[8:9], 0 op_sel_hi:[1,1,0]
	s_set_vgpr_msb 0                        ;  msbs: dst=0 src0=0 src1=0 src2=0
	s_delay_alu instid0(VALU_DEP_2)
	v_cvt_f32_i32_e32 v13, v3
	v_mul_i32_i24_e32 v3, v52, v168
	v_mul_i32_i24_e32 v52, v67, v178
	s_set_vgpr_msb 4                        ;  msbs: dst=0 src0=0 src1=1 src2=0
	v_mul_i32_i24_e32 v67, v190, v189 /*v445*/
	s_set_vgpr_msb 1                        ;  msbs: dst=0 src0=1 src1=0 src2=0
	v_pk_fma_f32 v[8:9], v[178:179] /*v[434:435]*/, v[12:13], v[8:9]
	s_set_vgpr_msb 4                        ;  msbs: dst=0 src0=0 src1=1 src2=0
	v_pk_fma_f32 v[12:13], v[112:113], v[170:171] /*v[426:427]*/, v[14:15] op_sel_hi:[0,1,1]
	s_set_vgpr_msb 0                        ;  msbs: dst=0 src0=0 src1=0 src2=0
	v_mad_i32_i24 v3, v53, v167, v3
	v_mul_i32_i24_e32 v14, v64, v176
	v_mul_i32_i24_e32 v15, v66, v177
	;; [unrolled: 1-line block ×3, first 2 shown]
	v_pk_mul_f32 v[12:13], v[12:13], v[106:107]
	s_set_vgpr_msb 4                        ;  msbs: dst=0 src0=0 src1=1 src2=0
	v_mul_i32_i24_e32 v64, v188, v187 /*v443*/
	v_mul_i32_i24_e32 v66, v187, v188 /*v444*/
	;; [unrolled: 1-line block ×3, first 2 shown]
	s_set_vgpr_msb 0                        ;  msbs: dst=0 src0=0 src1=0 src2=0
	v_pk_fma_f32 v[8:9], v[8:9], v[98:99], v[12:13] neg_lo:[0,0,1] neg_hi:[0,0,1]
	v_mul_i32_i24_e32 v12, v61, v174
	v_mul_i32_i24_e32 v13, v62, v175
	;; [unrolled: 1-line block ×3, first 2 shown]
	s_set_vgpr_msb 4                        ;  msbs: dst=0 src0=0 src1=1 src2=0
	v_mul_i32_i24_e32 v62, v185, v186 /*v442*/
	s_set_vgpr_msb 0                        ;  msbs: dst=0 src0=0 src1=0 src2=0
	v_pk_add_f32 v[26:27], v[26:27], v[8:9]
	v_mul_i32_i24_e32 v8, v54, v169
	v_mul_i32_i24_e32 v9, v55, v170
	;; [unrolled: 1-line block ×4, first 2 shown]
	s_set_vgpr_msb 4                        ;  msbs: dst=0 src0=0 src1=1 src2=0
	v_mul_i32_i24_e32 v71, v192, v191 /*v447*/
	v_mul_i32_i24_e32 v82, v191, v192 /*v448*/
	s_set_vgpr_msb 0                        ;  msbs: dst=0 src0=0 src1=0 src2=0
	v_add3_u32 v3, v3, v8, v9
	v_mul_i32_i24_e32 v8, v56, v171
	v_mul_i32_i24_e32 v9, v58, v172
	;; [unrolled: 1-line block ×4, first 2 shown]
	s_set_vgpr_msb 4                        ;  msbs: dst=0 src0=0 src1=1 src2=0
	v_mul_i32_i24_e32 v84, v195, v193 /*v449*/
	v_mul_i32_i24_e32 v86, v193, v194 /*v450*/
	s_set_vgpr_msb 0                        ;  msbs: dst=0 src0=0 src1=0 src2=0
	v_add3_u32 v3, v3, v8, v9
	s_set_vgpr_msb 1                        ;  msbs: dst=0 src0=1 src1=0 src2=0
	v_mul_i32_i24_e32 v8, v198 /*v454*/, v197
	v_mul_i32_i24_e32 v9, v200 /*v456*/, v194
	;; [unrolled: 1-line block ×3, first 2 shown]
	s_set_vgpr_msb 0                        ;  msbs: dst=0 src0=0 src1=0 src2=0
	v_add3_u32 v3, v3, v10, v12
	s_set_vgpr_msb 1                        ;  msbs: dst=0 src0=1 src1=0 src2=0
	v_mul_i32_i24_e32 v10, v201 /*v457*/, v200
	v_mad_i32_i24 v8, v199 /*v455*/, v196, v8
	v_mul_i32_i24_e32 v12, v204 /*v460*/, v198
	s_set_vgpr_msb 0                        ;  msbs: dst=0 src0=0 src1=0 src2=0
	v_add3_u32 v3, v3, v13, v14
	s_set_vgpr_msb 1                        ;  msbs: dst=0 src0=1 src1=0 src2=0
	v_mul_i32_i24_e32 v13, v205 /*v461*/, v205
	s_set_vgpr_msb 0                        ;  msbs: dst=0 src0=0 src1=0 src2=0
	v_add3_u32 v8, v8, v9, v10
	s_set_vgpr_msb 1                        ;  msbs: dst=0 src0=1 src1=0 src2=0
	v_mul_i32_i24_e32 v9, v202 /*v458*/, v202
	v_mul_i32_i24_e32 v10, v203 /*v459*/, v203
	s_set_vgpr_msb 0                        ;  msbs: dst=0 src0=0 src1=0 src2=0
	v_add3_u32 v3, v3, v15, v52
	s_set_vgpr_msb 1                        ;  msbs: dst=0 src0=1 src1=0 src2=0
	v_mul_i32_i24_e32 v14, v206 /*v462*/, v206
	v_mul_i32_i24_e32 v15, v207 /*v463*/, v207
	;; [unrolled: 1-line block ×3, first 2 shown]
	s_set_vgpr_msb 0                        ;  msbs: dst=0 src0=0 src1=0 src2=0
	v_add3_u32 v8, v8, v9, v10
	v_add3_u32 v3, v3, v53, v54
	s_set_vgpr_msb 1                        ;  msbs: dst=0 src0=1 src1=0 src2=0
	v_mul_i32_i24_e32 v53, v209 /*v465*/, v209
	v_mul_i32_i24_e32 v54, v210 /*v466*/, v210
	;; [unrolled: 1-line block ×3, first 2 shown]
	s_set_vgpr_msb 0                        ;  msbs: dst=0 src0=0 src1=0 src2=0
	v_add3_u32 v8, v8, v12, v13
	v_add3_u32 v3, v3, v55, v56
	s_set_vgpr_msb 1                        ;  msbs: dst=0 src0=1 src1=0 src2=0
	v_mul_i32_i24_e32 v55, v211 /*v467*/, v211
	v_mul_i32_i24_e32 v56, v212 /*v468*/, v208
	s_set_vgpr_msb 4                        ;  msbs: dst=0 src0=0 src1=1 src2=0
	v_mul_i32_i24_e32 v10, v165, v226 /*v482*/
	s_set_vgpr_msb 0                        ;  msbs: dst=0 src0=0 src1=0 src2=0
	v_add3_u32 v8, v8, v14, v15
	v_add3_u32 v3, v3, v58, v60
	s_set_vgpr_msb 1                        ;  msbs: dst=0 src0=1 src1=0 src2=0
	v_mul_i32_i24_e32 v58, v213 /*v469*/, v212
	s_set_vgpr_msb 4                        ;  msbs: dst=0 src0=0 src1=1 src2=0
	v_mul_i32_i24_e32 v60, v213, v214 /*v470*/
	v_mul_i32_i24_e32 v12, v160, v185 /*v441*/
	s_set_vgpr_msb 0                        ;  msbs: dst=0 src0=0 src1=0 src2=0
	v_add3_u32 v8, v8, v52, v53
	v_add3_u32 v3, v3, v61, v62
	s_set_vgpr_msb 4                        ;  msbs: dst=0 src0=0 src1=1 src2=0
	v_mul_i32_i24_e32 v61, v214, v215 /*v471*/
	v_mul_i32_i24_e32 v62, v216, v216 /*v472*/
	s_set_vgpr_msb 0                        ;  msbs: dst=0 src0=0 src1=0 src2=0
	v_add3_u32 v8, v8, v54, v55
	v_add3_u32 v3, v3, v64, v66
	;; [unrolled: 6-line block ×6, first 2 shown]
	s_delay_alu instid0(VALU_DEP_2) | instskip(NEXT) | instid1(VALU_DEP_2)
	v_add3_u32 v8, v8, v69, v71
	v_add3_u32 v2, v2, v9, v10
	v_mul_i32_i24_e32 v9, v161, v36
	s_set_vgpr_msb 4                        ;  msbs: dst=0 src0=0 src1=1 src2=0
	v_mul_i32_i24_e32 v10, v160, v228 /*v484*/
	s_set_vgpr_msb 0                        ;  msbs: dst=0 src0=0 src1=0 src2=0
	v_add3_u32 v8, v8, v82, v84
	v_mul_lo_u32 v2, v2, v164
	s_delay_alu instid0(VALU_DEP_3) | instskip(SKIP_1) | instid1(VALU_DEP_3)
	v_add3_u32 v0, v0, v7, v10
	s_set_vgpr_msb 16                       ;  msbs: dst=0 src0=0 src1=0 src2=1
	v_add3_u32 v8, v8, v86, v160 /*v416*/
	s_delay_alu instid0(VALU_DEP_2) | instskip(NEXT) | instid1(VALU_DEP_4)
	v_mul_lo_u32 v0, v0, v163
	v_cvt_f32_i32_e32 v3, v2
	v_cvt_f32_i32_e32 v2, v1
	s_set_vgpr_msb 1                        ;  msbs: dst=0 src0=1 src1=0 src2=0
	v_mul_i32_i24_e32 v1, v224 /*v480*/, v162
	s_delay_alu instid0(VALU_DEP_2) | instskip(SKIP_1) | instid1(VALU_DEP_2)
	v_pk_fma_f32 v[2:3], v[174:175] /*v[430:431]*/, v[2:3], 0 op_sel_hi:[1,1,0]
	s_set_vgpr_msb 4                        ;  msbs: dst=0 src0=0 src1=1 src2=0
	v_add3_u32 v1, v8, v161 /*v417*/, v1
	v_cvt_f32_i32_e32 v0, v0
	s_set_vgpr_msb 0                        ;  msbs: dst=0 src0=0 src1=0 src2=0
	s_delay_alu instid0(VALU_DEP_2) | instskip(NEXT) | instid1(VALU_DEP_1)
	v_add3_u32 v1, v1, v9, v12
	v_mul_lo_u32 v1, v1, v163
	s_delay_alu instid0(VALU_DEP_1) | instskip(SKIP_1) | instid1(VALU_DEP_1)
	v_cvt_f32_i32_e32 v1, v1
	s_set_vgpr_msb 1                        ;  msbs: dst=0 src0=1 src1=0 src2=0
	v_pk_fma_f32 v[0:1], v[178:179] /*v[434:435]*/, v[0:1], v[2:3]
	s_set_vgpr_msb 4                        ;  msbs: dst=0 src0=0 src1=1 src2=0
	v_pk_fma_f32 v[2:3], v[114:115], v[170:171] /*v[426:427]*/, v[4:5] op_sel_hi:[0,1,1]
	s_set_vgpr_msb 0                        ;  msbs: dst=0 src0=0 src1=0 src2=0
	s_delay_alu instid0(VALU_DEP_1) | instskip(NEXT) | instid1(VALU_DEP_1)
	v_pk_mul_f32 v[2:3], v[2:3], v[108:109]
	v_pk_fma_f32 v[0:1], v[0:1], v[100:101], v[2:3] neg_lo:[0,0,1] neg_hi:[0,0,1]
	s_delay_alu instid0(VALU_DEP_1) | instskip(SKIP_1) | instid1(VALU_DEP_1)
	v_pk_add_f32 v[24:25], v[24:25], v[0:1]
	v_or_b32_e32 v0, s12, v143
	v_lshlrev_b32_e32 v1, 2, v0
	s_set_vgpr_msb 64                       ;  msbs: dst=1 src0=0 src1=0 src2=0
	v_lshrrev_b32_e32 v232 /*v488*/, 1, v0
	s_set_vgpr_msb 0                        ;  msbs: dst=0 src0=0 src1=0 src2=0
	ds_load_b128 v[8:11], v1 offset:16896
	ds_load_b128 v[4:7], v1 offset:16912
	ds_load_b128 v[12:15], v1 offset:16928
	ds_load_b128 v[0:3], v1 offset:16944
	s_wait_dscnt 0x3
	v_bfe_i32 v36, v8, 0, 8
	v_bfe_i32 v52, v8, 8, 8
	;; [unrolled: 1-line block ×3, first 2 shown]
	v_ashrrev_i32_e32 v8, 24, v8
	v_bfe_i32 v54, v9, 0, 8
	s_set_vgpr_msb 0x44                     ;  msbs: dst=1 src0=0 src1=1 src2=0
	v_mul_i32_i24_e32 v164 /*v420*/, v36, v102 /*v358*/
	s_set_vgpr_msb 0                        ;  msbs: dst=0 src0=0 src1=0 src2=0
	v_bfe_i32 v55, v9, 8, 8
	v_bfe_i32 v58, v10, 0, 8
	;; [unrolled: 1-line block ×4, first 2 shown]
	v_ashrrev_i32_e32 v10, 24, v10
	s_set_vgpr_msb 0x54                     ;  msbs: dst=1 src0=0 src1=1 src2=1
	v_mul_i32_i24_e32 v166 /*v422*/, v53, v103 /*v359*/
	v_mul_i32_i24_e32 v167 /*v423*/, v8, v104 /*v360*/
	v_mad_i32_i24 v164 /*v420*/, v52, v101 /*v357*/, v164 /*v420*/
	s_set_vgpr_msb 0                        ;  msbs: dst=0 src0=0 src1=0 src2=0
	v_bfe_i32 v56, v9, 16, 8
	v_ashrrev_i32_e32 v9, 24, v9
	s_set_vgpr_msb 0x44                     ;  msbs: dst=1 src0=0 src1=1 src2=0
	v_mul_i32_i24_e32 v170 /*v426*/, v58, v109 /*v365*/
	v_mul_i32_i24_e32 v171 /*v427*/, v60, v110 /*v366*/
	s_set_vgpr_msb 0x55                     ;  msbs: dst=1 src0=1 src1=1 src2=1
	v_add3_u32 v164 /*v420*/, v164 /*v420*/, v166 /*v422*/, v167 /*v423*/
	s_set_vgpr_msb 0x44                     ;  msbs: dst=1 src0=0 src1=1 src2=0
	v_mul_i32_i24_e32 v166 /*v422*/, v54, v105 /*v361*/
	v_mul_i32_i24_e32 v167 /*v423*/, v55, v106 /*v362*/
	;; [unrolled: 1-line block ×4, first 2 shown]
	s_set_vgpr_msb 0                        ;  msbs: dst=0 src0=0 src1=0 src2=0
	v_bfe_i32 v62, v11, 0, 8
	v_bfe_i32 v64, v11, 8, 8
	s_set_vgpr_msb 0x55                     ;  msbs: dst=1 src0=1 src1=1 src2=1
	v_add3_u32 v164 /*v420*/, v164 /*v420*/, v166 /*v422*/, v167 /*v423*/
	s_set_vgpr_msb 0x44                     ;  msbs: dst=1 src0=0 src1=1 src2=0
	v_mul_i32_i24_e32 v172 /*v428*/, v61, v111 /*v367*/
	v_mul_i32_i24_e32 v173 /*v429*/, v10, v112 /*v368*/
	s_set_vgpr_msb 0                        ;  msbs: dst=0 src0=0 src1=0 src2=0
	v_bfe_i32 v66, v11, 16, 8
	v_ashrrev_i32_e32 v11, 24, v11
	s_set_vgpr_msb 0x55                     ;  msbs: dst=1 src0=1 src1=1 src2=1
	v_add3_u32 v164 /*v420*/, v164 /*v420*/, v168 /*v424*/, v169 /*v425*/
	s_set_vgpr_msb 0x44                     ;  msbs: dst=1 src0=0 src1=1 src2=0
	v_mul_i32_i24_e32 v196 /*v452*/, v62, v113 /*v369*/
	v_mul_i32_i24_e32 v197 /*v453*/, v64, v114 /*v370*/
	s_wait_dscnt 0x2
	s_set_vgpr_msb 0                        ;  msbs: dst=0 src0=0 src1=0 src2=0
	v_bfe_i32 v67, v4, 0, 8
	v_bfe_i32 v69, v4, 8, 8
	s_set_vgpr_msb 0x55                     ;  msbs: dst=1 src0=1 src1=1 src2=1
	v_add3_u32 v164 /*v420*/, v164 /*v420*/, v170 /*v426*/, v171 /*v427*/
	s_set_vgpr_msb 0                        ;  msbs: dst=0 src0=0 src1=0 src2=0
	v_bfe_i32 v71, v4, 16, 8
	v_ashrrev_i32_e32 v4, 24, v4
	s_set_vgpr_msb 0x44                     ;  msbs: dst=1 src0=0 src1=1 src2=0
	v_mul_i32_i24_e32 v198 /*v454*/, v66, v115 /*v371*/
	v_mul_i32_i24_e32 v199 /*v455*/, v11, v116 /*v372*/
	s_set_vgpr_msb 0x55                     ;  msbs: dst=1 src0=1 src1=1 src2=1
	v_add3_u32 v164 /*v420*/, v164 /*v420*/, v172 /*v428*/, v173 /*v429*/
	s_set_vgpr_msb 0x44                     ;  msbs: dst=1 src0=0 src1=1 src2=0
	v_mul_i32_i24_e32 v200 /*v456*/, v67, v117 /*v373*/
	v_mul_i32_i24_e32 v201 /*v457*/, v69, v118 /*v374*/
	s_set_vgpr_msb 0                        ;  msbs: dst=0 src0=0 src1=0 src2=0
	v_bfe_i32 v82, v5, 0, 8
	v_bfe_i32 v84, v5, 8, 8
	s_set_vgpr_msb 0x55                     ;  msbs: dst=1 src0=1 src1=1 src2=1
	v_add3_u32 v164 /*v420*/, v164 /*v420*/, v196 /*v452*/, v197 /*v453*/
	s_set_vgpr_msb 0x41                     ;  msbs: dst=1 src0=1 src1=0 src2=0
	v_mul_i32_i24_e32 v202 /*v458*/, v120 /*v376*/, v71
	v_mul_i32_i24_e32 v203 /*v459*/, v119 /*v375*/, v4
	s_set_vgpr_msb 0                        ;  msbs: dst=0 src0=0 src1=0 src2=0
	v_bfe_i32 v86, v5, 16, 8
	v_ashrrev_i32_e32 v5, 24, v5
	s_set_vgpr_msb 0x55                     ;  msbs: dst=1 src0=1 src1=1 src2=1
	v_add3_u32 v164 /*v420*/, v164 /*v420*/, v198 /*v454*/, v199 /*v455*/
	s_set_vgpr_msb 0x41                     ;  msbs: dst=1 src0=1 src1=0 src2=0
	v_mul_i32_i24_e32 v204 /*v460*/, v122 /*v378*/, v82
	v_mul_i32_i24_e32 v205 /*v461*/, v121 /*v377*/, v84
	s_set_vgpr_msb 0                        ;  msbs: dst=0 src0=0 src1=0 src2=0
	v_bfe_i32 v92, v6, 0, 8
	v_bfe_i32 v133, v6, 8, 8
	s_set_vgpr_msb 0x55                     ;  msbs: dst=1 src0=1 src1=1 src2=1
	v_add3_u32 v164 /*v420*/, v164 /*v420*/, v200 /*v456*/, v201 /*v457*/
	s_set_vgpr_msb 64                       ;  msbs: dst=1 src0=0 src1=0 src2=0
	v_bfe_i32 v161 /*v417*/, v6, 16, 8
	s_set_vgpr_msb 0                        ;  msbs: dst=0 src0=0 src1=0 src2=0
	v_ashrrev_i32_e32 v6, 24, v6
	s_set_vgpr_msb 0x41                     ;  msbs: dst=1 src0=1 src1=0 src2=0
	v_mul_i32_i24_e32 v206 /*v462*/, v124 /*v380*/, v86
	v_mul_i32_i24_e32 v207 /*v463*/, v123 /*v379*/, v5
	s_set_vgpr_msb 0x55                     ;  msbs: dst=1 src0=1 src1=1 src2=1
	v_add3_u32 v164 /*v420*/, v164 /*v420*/, v202 /*v458*/, v203 /*v459*/
	s_set_vgpr_msb 0x41                     ;  msbs: dst=1 src0=1 src1=0 src2=0
	v_mul_i32_i24_e32 v208 /*v464*/, v132 /*v388*/, v92
	v_mul_i32_i24_e32 v209 /*v465*/, v125 /*v381*/, v133
	s_wait_dscnt 0x1
	s_set_vgpr_msb 64                       ;  msbs: dst=1 src0=0 src1=0 src2=0
	v_bfe_i32 v174 /*v430*/, v12, 0, 8
	s_set_vgpr_msb 0x55                     ;  msbs: dst=1 src0=1 src1=1 src2=1
	v_mul_i32_i24_e32 v210 /*v466*/, v136 /*v392*/, v161 /*v417*/
	v_add3_u32 v164 /*v420*/, v164 /*v420*/, v204 /*v460*/, v205 /*v461*/
	s_set_vgpr_msb 0x41                     ;  msbs: dst=1 src0=1 src1=0 src2=0
	v_mul_i32_i24_e32 v211 /*v467*/, v133 /*v389*/, v6
	s_set_vgpr_msb 64                       ;  msbs: dst=1 src0=0 src1=0 src2=0
	v_bfe_i32 v175 /*v431*/, v12, 8, 8
	v_bfe_i32 v176 /*v432*/, v12, 16, 8
	s_set_vgpr_msb 0                        ;  msbs: dst=0 src0=0 src1=0 src2=0
	v_ashrrev_i32_e32 v12, 24, v12
	s_set_vgpr_msb 0x55                     ;  msbs: dst=1 src0=1 src1=1 src2=1
	v_add3_u32 v164 /*v420*/, v164 /*v420*/, v206 /*v462*/, v207 /*v463*/
	s_set_vgpr_msb 64                       ;  msbs: dst=1 src0=0 src1=0 src2=0
	v_bfe_i32 v177 /*v433*/, v13, 0, 8
	v_bfe_i32 v178 /*v434*/, v13, 8, 8
	v_bfe_i32 v179 /*v435*/, v13, 16, 8
	s_set_vgpr_msb 0                        ;  msbs: dst=0 src0=0 src1=0 src2=0
	v_ashrrev_i32_e32 v13, 24, v13
	s_set_vgpr_msb 0x55                     ;  msbs: dst=1 src0=1 src1=1 src2=1
	v_add3_u32 v164 /*v420*/, v164 /*v420*/, v208 /*v464*/, v209 /*v465*/
	v_mul_i32_i24_e32 v166 /*v422*/, v140 /*v396*/, v176 /*v432*/
	s_set_vgpr_msb 0x41                     ;  msbs: dst=1 src0=1 src1=0 src2=0
	v_mul_i32_i24_e32 v167 /*v423*/, v134 /*v390*/, v12
	s_set_vgpr_msb 64                       ;  msbs: dst=1 src0=0 src1=0 src2=0
	v_bfe_i32 v180 /*v436*/, v14, 0, 8
	v_bfe_i32 v181 /*v437*/, v14, 8, 8
	s_set_vgpr_msb 0x55                     ;  msbs: dst=1 src0=1 src1=1 src2=1
	v_add3_u32 v238 /*v494*/, v164 /*v420*/, v210 /*v466*/, v211 /*v467*/
	v_mul_i32_i24_e32 v164 /*v420*/, v141 /*v397*/, v174 /*v430*/
	v_mul_i32_i24_e32 v168 /*v424*/, v142 /*v398*/, v179 /*v435*/
	s_set_vgpr_msb 0x41                     ;  msbs: dst=1 src0=1 src1=0 src2=0
	v_mul_i32_i24_e32 v169 /*v425*/, v126 /*v382*/, v13
	s_set_vgpr_msb 64                       ;  msbs: dst=1 src0=0 src1=0 src2=0
	v_bfe_i32 v182 /*v438*/, v14, 16, 8
	s_set_vgpr_msb 0                        ;  msbs: dst=0 src0=0 src1=0 src2=0
	v_ashrrev_i32_e32 v14, 24, v14
	s_set_vgpr_msb 0x55                     ;  msbs: dst=1 src0=1 src1=1 src2=1
	v_mad_i32_i24 v164 /*v420*/, v139 /*v395*/, v175 /*v431*/, v164 /*v420*/
	v_mul_i32_i24_e32 v170 /*v426*/, v147 /*v403*/, v180 /*v436*/
	v_mul_i32_i24_e32 v171 /*v427*/, v146 /*v402*/, v181 /*v437*/
	s_set_vgpr_msb 64                       ;  msbs: dst=1 src0=0 src1=0 src2=0
	v_bfe_i32 v183 /*v439*/, v15, 0, 8
	v_bfe_i32 v184 /*v440*/, v15, 8, 8
	s_set_vgpr_msb 0x55                     ;  msbs: dst=1 src0=1 src1=1 src2=1
	v_add3_u32 v164 /*v420*/, v164 /*v420*/, v166 /*v422*/, v167 /*v423*/
	v_mul_i32_i24_e32 v166 /*v422*/, v144 /*v400*/, v177 /*v433*/
	v_mul_i32_i24_e32 v167 /*v423*/, v143 /*v399*/, v178 /*v434*/
	s_set_vgpr_msb 64                       ;  msbs: dst=1 src0=0 src1=0 src2=0
	v_bfe_i32 v185 /*v441*/, v15, 16, 8
	s_set_vgpr_msb 0                        ;  msbs: dst=0 src0=0 src1=0 src2=0
	v_ashrrev_i32_e32 v15, 24, v15
	s_set_vgpr_msb 0x45                     ;  msbs: dst=1 src0=1 src1=1 src2=0
	v_mul_i32_i24_e32 v172 /*v428*/, v145 /*v401*/, v182 /*v438*/
	s_set_vgpr_msb 0x41                     ;  msbs: dst=1 src0=1 src1=0 src2=0
	v_mul_i32_i24_e32 v173 /*v429*/, v127 /*v383*/, v14
	s_set_vgpr_msb 0x55                     ;  msbs: dst=1 src0=1 src1=1 src2=1
	v_add3_u32 v164 /*v420*/, v164 /*v420*/, v166 /*v422*/, v167 /*v423*/
	v_mul_i32_i24_e32 v196 /*v452*/, v150 /*v406*/, v183 /*v439*/
	v_mul_i32_i24_e32 v197 /*v453*/, v149 /*v405*/, v184 /*v440*/
	s_wait_dscnt 0x0
	s_set_vgpr_msb 64                       ;  msbs: dst=1 src0=0 src1=0 src2=0
	v_bfe_i32 v186 /*v442*/, v0, 0, 8
	v_bfe_i32 v187 /*v443*/, v0, 8, 8
	s_set_vgpr_msb 0x55                     ;  msbs: dst=1 src0=1 src1=1 src2=1
	v_add3_u32 v164 /*v420*/, v164 /*v420*/, v168 /*v424*/, v169 /*v425*/
	v_mul_i32_i24_e32 v198 /*v454*/, v148 /*v404*/, v185 /*v441*/
	s_set_vgpr_msb 0x41                     ;  msbs: dst=1 src0=1 src1=0 src2=0
	v_mul_i32_i24_e32 v199 /*v455*/, v128 /*v384*/, v15
	s_set_vgpr_msb 64                       ;  msbs: dst=1 src0=0 src1=0 src2=0
	v_bfe_i32 v188 /*v444*/, v0, 16, 8
	s_set_vgpr_msb 0                        ;  msbs: dst=0 src0=0 src1=0 src2=0
	v_ashrrev_i32_e32 v0, 24, v0
	s_set_vgpr_msb 0x55                     ;  msbs: dst=1 src0=1 src1=1 src2=1
	v_add3_u32 v164 /*v420*/, v164 /*v420*/, v170 /*v426*/, v171 /*v427*/
	v_mul_i32_i24_e32 v200 /*v456*/, v153 /*v409*/, v186 /*v442*/
	v_mul_i32_i24_e32 v201 /*v457*/, v152 /*v408*/, v187 /*v443*/
	s_set_vgpr_msb 64                       ;  msbs: dst=1 src0=0 src1=0 src2=0
	v_bfe_i32 v189 /*v445*/, v1, 0, 8
	v_bfe_i32 v190 /*v446*/, v1, 8, 8
	s_set_vgpr_msb 0x55                     ;  msbs: dst=1 src0=1 src1=1 src2=1
	v_add3_u32 v164 /*v420*/, v164 /*v420*/, v172 /*v428*/, v173 /*v429*/
	s_set_vgpr_msb 64                       ;  msbs: dst=1 src0=0 src1=0 src2=0
	v_bfe_i32 v191 /*v447*/, v1, 16, 8
	s_set_vgpr_msb 0                        ;  msbs: dst=0 src0=0 src1=0 src2=0
	v_ashrrev_i32_e32 v1, 24, v1
	s_set_vgpr_msb 0x45                     ;  msbs: dst=1 src0=1 src1=1 src2=0
	v_mul_i32_i24_e32 v202 /*v458*/, v151 /*v407*/, v188 /*v444*/
	s_set_vgpr_msb 0x41                     ;  msbs: dst=1 src0=1 src1=0 src2=0
	v_mul_i32_i24_e32 v203 /*v459*/, v129 /*v385*/, v0
	s_set_vgpr_msb 0x55                     ;  msbs: dst=1 src0=1 src1=1 src2=1
	v_add3_u32 v164 /*v420*/, v164 /*v420*/, v196 /*v452*/, v197 /*v453*/
	v_mul_i32_i24_e32 v204 /*v460*/, v156 /*v412*/, v189 /*v445*/
	v_mul_i32_i24_e32 v205 /*v461*/, v155 /*v411*/, v190 /*v446*/
	s_set_vgpr_msb 64                       ;  msbs: dst=1 src0=0 src1=0 src2=0
	v_bfe_i32 v192 /*v448*/, v2, 0, 8
	v_bfe_i32 v193 /*v449*/, v2, 8, 8
	s_set_vgpr_msb 0x55                     ;  msbs: dst=1 src0=1 src1=1 src2=1
	v_add3_u32 v164 /*v420*/, v164 /*v420*/, v198 /*v454*/, v199 /*v455*/
	v_mul_i32_i24_e32 v206 /*v462*/, v154 /*v410*/, v191 /*v447*/
	s_set_vgpr_msb 0x41                     ;  msbs: dst=1 src0=1 src1=0 src2=0
	v_mul_i32_i24_e32 v207 /*v463*/, v130 /*v386*/, v1
	s_set_vgpr_msb 64                       ;  msbs: dst=1 src0=0 src1=0 src2=0
	v_bfe_i32 v194 /*v450*/, v2, 16, 8
	s_set_vgpr_msb 0                        ;  msbs: dst=0 src0=0 src1=0 src2=0
	v_ashrrev_i32_e32 v2, 24, v2
	s_set_vgpr_msb 0x55                     ;  msbs: dst=1 src0=1 src1=1 src2=1
	v_add3_u32 v164 /*v420*/, v164 /*v420*/, v200 /*v456*/, v201 /*v457*/
	v_mul_i32_i24_e32 v208 /*v464*/, v159 /*v415*/, v192 /*v448*/
	v_mul_i32_i24_e32 v209 /*v465*/, v158 /*v414*/, v193 /*v449*/
	;; [unrolled: 1-line block ×3, first 2 shown]
	s_set_vgpr_msb 0x41                     ;  msbs: dst=1 src0=1 src1=0 src2=0
	v_mul_i32_i24_e32 v211 /*v467*/, v131 /*v387*/, v2
	s_set_vgpr_msb 0x55                     ;  msbs: dst=1 src0=1 src1=1 src2=1
	v_add3_u32 v164 /*v420*/, v164 /*v420*/, v202 /*v458*/, v203 /*v459*/
	s_set_vgpr_msb 0x44                     ;  msbs: dst=1 src0=0 src1=1 src2=0
	v_mul_i32_i24_e32 v166 /*v422*/, v53, v44 /*v300*/
	v_mul_i32_i24_e32 v167 /*v423*/, v8, v45 /*v301*/
	v_mul_i32_i24_e32 v168 /*v424*/, v56, v48 /*v304*/
	v_mul_i32_i24_e32 v169 /*v425*/, v9, v49 /*v305*/
	s_set_vgpr_msb 0x55                     ;  msbs: dst=1 src0=1 src1=1 src2=1
	v_add3_u32 v164 /*v420*/, v164 /*v420*/, v204 /*v460*/, v205 /*v461*/
	s_set_vgpr_msb 0x44                     ;  msbs: dst=1 src0=0 src1=1 src2=0
	v_mul_i32_i24_e32 v170 /*v426*/, v58, v50 /*v306*/
	v_mul_i32_i24_e32 v171 /*v427*/, v60, v51 /*v307*/
	v_mul_i32_i24_e32 v172 /*v428*/, v61, v52 /*v308*/
	v_mul_i32_i24_e32 v173 /*v429*/, v10, v53 /*v309*/
	s_set_vgpr_msb 0x55                     ;  msbs: dst=1 src0=1 src1=1 src2=1
	v_add3_u32 v164 /*v420*/, v164 /*v420*/, v206 /*v462*/, v207 /*v463*/
	s_set_vgpr_msb 0x44                     ;  msbs: dst=1 src0=0 src1=1 src2=0
	v_mul_i32_i24_e32 v196 /*v452*/, v62, v54 /*v310*/
	v_mul_i32_i24_e32 v197 /*v453*/, v64, v55 /*v311*/
	v_mul_i32_i24_e32 v198 /*v454*/, v66, v56 /*v312*/
	v_mul_i32_i24_e32 v199 /*v455*/, v11, v57 /*v313*/
	s_set_vgpr_msb 0x55                     ;  msbs: dst=1 src0=1 src1=1 src2=1
	v_add3_u32 v164 /*v420*/, v164 /*v420*/, v208 /*v464*/, v209 /*v465*/
	s_set_vgpr_msb 0x44                     ;  msbs: dst=1 src0=0 src1=1 src2=0
	v_mul_i32_i24_e32 v200 /*v456*/, v67, v58 /*v314*/
	v_mul_i32_i24_e32 v201 /*v457*/, v69, v59 /*v315*/
	s_set_vgpr_msb 0x41                     ;  msbs: dst=1 src0=1 src1=0 src2=0
	v_mul_i32_i24_e32 v202 /*v458*/, v61 /*v317*/, v71
	v_mul_i32_i24_e32 v203 /*v459*/, v60 /*v316*/, v4
	s_set_vgpr_msb 0x55                     ;  msbs: dst=1 src0=1 src1=1 src2=1
	v_add3_u32 v240 /*v496*/, v164 /*v420*/, v210 /*v466*/, v211 /*v467*/
	s_set_vgpr_msb 0x44                     ;  msbs: dst=1 src0=0 src1=1 src2=0
	v_mul_i32_i24_e32 v164 /*v420*/, v36, v43 /*v299*/
	s_set_vgpr_msb 0x41                     ;  msbs: dst=1 src0=1 src1=0 src2=0
	v_mul_i32_i24_e32 v204 /*v460*/, v63 /*v319*/, v82
	v_mul_i32_i24_e32 v205 /*v461*/, v62 /*v318*/, v84
	;; [unrolled: 1-line block ×4, first 2 shown]
	s_set_vgpr_msb 0x54                     ;  msbs: dst=1 src0=0 src1=1 src2=1
	v_mad_i32_i24 v164 /*v420*/, v52, v42 /*v298*/, v164 /*v420*/
	s_set_vgpr_msb 0x41                     ;  msbs: dst=1 src0=1 src1=0 src2=0
	v_mul_i32_i24_e32 v208 /*v464*/, v67 /*v323*/, v92
	v_mul_i32_i24_e32 v209 /*v465*/, v66 /*v322*/, v133
	s_set_vgpr_msb 0x45                     ;  msbs: dst=1 src0=1 src1=1 src2=0
	v_mul_i32_i24_e32 v210 /*v466*/, v70 /*v326*/, v161 /*v417*/
	s_set_vgpr_msb 0x41                     ;  msbs: dst=1 src0=1 src1=0 src2=0
	v_mul_i32_i24_e32 v211 /*v467*/, v68 /*v324*/, v6
	s_set_vgpr_msb 0x55                     ;  msbs: dst=1 src0=1 src1=1 src2=1
	v_add3_u32 v164 /*v420*/, v164 /*v420*/, v166 /*v422*/, v167 /*v423*/
	s_set_vgpr_msb 0x44                     ;  msbs: dst=1 src0=0 src1=1 src2=0
	v_mul_i32_i24_e32 v166 /*v422*/, v54, v46 /*v302*/
	v_mul_i32_i24_e32 v167 /*v423*/, v55, v47 /*v303*/
	s_set_vgpr_msb 0x41                     ;  msbs: dst=1 src0=1 src1=0 src2=0
	v_mul_i32_i24_e32 v212 /*v468*/, v98 /*v354*/, v2
	s_set_vgpr_msb 64                       ;  msbs: dst=1 src0=0 src1=0 src2=0
	v_mul_i32_i24_e32 v213 /*v469*/, v253, v133
	s_set_vgpr_msb 0x45                     ;  msbs: dst=1 src0=1 src1=1 src2=0
	v_mul_i32_i24_e32 v214 /*v470*/, v1 /*v257*/, v161 /*v417*/
	s_set_vgpr_msb 64                       ;  msbs: dst=1 src0=0 src1=0 src2=0
	v_mul_i32_i24_e32 v215 /*v471*/, v255, v6
	s_set_vgpr_msb 0x55                     ;  msbs: dst=1 src0=1 src1=1 src2=1
	v_add3_u32 v164 /*v420*/, v164 /*v420*/, v166 /*v422*/, v167 /*v423*/
	v_mul_i32_i24_e32 v166 /*v422*/, v176 /*v432*/, v69 /*v325*/
	s_set_vgpr_msb 0x44                     ;  msbs: dst=1 src0=0 src1=1 src2=0
	v_mul_i32_i24_e32 v167 /*v423*/, v12, v75 /*v331*/
	s_set_vgpr_msb 0                        ;  msbs: dst=0 src0=0 src1=0 src2=0
	v_mul_i32_i24_e32 v6, v193, v6
	s_set_vgpr_msb 64                       ;  msbs: dst=1 src0=0 src1=0 src2=0
	v_bfe_i32 v162 /*v418*/, v7, 0, 8
	s_set_vgpr_msb 0x55                     ;  msbs: dst=1 src0=1 src1=1 src2=1
	v_add3_u32 v164 /*v420*/, v164 /*v420*/, v168 /*v424*/, v169 /*v425*/
	v_mul_i32_i24_e32 v168 /*v424*/, v179 /*v435*/, v73 /*v329*/
	s_set_vgpr_msb 0x44                     ;  msbs: dst=1 src0=0 src1=1 src2=0
	v_mul_i32_i24_e32 v169 /*v425*/, v13, v80 /*v336*/
	s_set_vgpr_msb 0x45                     ;  msbs: dst=1 src0=1 src1=1 src2=0
	v_mul_i32_i24_e32 v216 /*v472*/, v30 /*v286*/, v194 /*v450*/
	s_set_vgpr_msb 0x41                     ;  msbs: dst=1 src0=1 src1=0 src2=0
	v_mul_i32_i24_e32 v217 /*v473*/, v29 /*v285*/, v2
	s_set_vgpr_msb 0x55                     ;  msbs: dst=1 src0=1 src1=1 src2=1
	v_add3_u32 v164 /*v420*/, v164 /*v420*/, v170 /*v426*/, v171 /*v427*/
	v_mul_i32_i24_e32 v170 /*v426*/, v180 /*v436*/, v81 /*v337*/
	v_mul_i32_i24_e32 v171 /*v427*/, v181 /*v437*/, v82 /*v338*/
	s_set_vgpr_msb 0                        ;  msbs: dst=0 src0=0 src1=0 src2=0
	v_mul_i32_i24_e32 v2, v223, v2
	s_set_vgpr_msb 0x55                     ;  msbs: dst=1 src0=1 src1=1 src2=1
	v_mul_i32_i24_e32 v236 /*v492*/, v162 /*v418*/, v137 /*v393*/
	v_add3_u32 v164 /*v420*/, v164 /*v420*/, v172 /*v428*/, v173 /*v429*/
	v_mul_i32_i24_e32 v173 /*v429*/, v182 /*v438*/, v79 /*v335*/
	v_mul_i32_i24_e32 v233 /*v489*/, v162 /*v418*/, v74 /*v330*/
	s_set_vgpr_msb 64                       ;  msbs: dst=1 src0=0 src1=0 src2=0
	v_bfe_i32 v195 /*v451*/, v3, 0, 8
	v_bfe_i32 v165 /*v421*/, v7, 8, 8
	s_set_vgpr_msb 0x55                     ;  msbs: dst=1 src0=1 src1=1 src2=1
	v_add3_u32 v164 /*v420*/, v164 /*v420*/, v196 /*v452*/, v197 /*v453*/
	s_set_vgpr_msb 0x44                     ;  msbs: dst=1 src0=0 src1=1 src2=0
	v_mul_i32_i24_e32 v196 /*v452*/, v14, v84 /*v340*/
	s_set_vgpr_msb 0x55                     ;  msbs: dst=1 src0=1 src1=1 src2=1
	v_mul_i32_i24_e32 v197 /*v453*/, v183 /*v439*/, v85 /*v341*/
	v_mul_i32_i24_e32 v239 /*v495*/, v195 /*v451*/, v135 /*v391*/
	;; [unrolled: 1-line block ×3, first 2 shown]
	v_add3_u32 v164 /*v420*/, v164 /*v420*/, v198 /*v454*/, v199 /*v455*/
	v_mul_i32_i24_e32 v198 /*v454*/, v184 /*v440*/, v86 /*v342*/
	v_mul_i32_i24_e32 v199 /*v455*/, v185 /*v441*/, v83 /*v339*/
	s_set_vgpr_msb 64                       ;  msbs: dst=1 src0=0 src1=0 src2=0
	v_bfe_i32 v163 /*v419*/, v7, 16, 8
	s_set_vgpr_msb 0x55                     ;  msbs: dst=1 src0=1 src1=1 src2=1
	v_mul_i32_i24_e32 v237 /*v493*/, v165 /*v421*/, v138 /*v394*/
	v_add3_u32 v164 /*v420*/, v164 /*v420*/, v200 /*v456*/, v201 /*v457*/
	s_set_vgpr_msb 0x44                     ;  msbs: dst=1 src0=0 src1=1 src2=0
	v_mul_i32_i24_e32 v200 /*v456*/, v15, v87 /*v343*/
	s_set_vgpr_msb 0x45                     ;  msbs: dst=1 src0=1 src1=1 src2=0
	v_mul_i32_i24_e32 v201 /*v457*/, v88 /*v344*/, v186 /*v442*/
	s_set_vgpr_msb 64                       ;  msbs: dst=1 src0=0 src1=0 src2=0
	v_bfe_i32 v160 /*v416*/, v3, 8, 8
	s_set_vgpr_msb 0x55                     ;  msbs: dst=1 src0=1 src1=1 src2=1
	v_mul_i32_i24_e32 v234 /*v490*/, v165 /*v421*/, v76 /*v332*/
	v_add3_u32 v164 /*v420*/, v164 /*v420*/, v202 /*v458*/, v203 /*v459*/
	v_mul_i32_i24_e32 v202 /*v458*/, v89 /*v345*/, v187 /*v443*/
	v_mul_i32_i24_e32 v203 /*v459*/, v91 /*v347*/, v188 /*v444*/
	s_delay_alu instid0(VALU_DEP_3)
	v_add3_u32 v164 /*v420*/, v164 /*v420*/, v204 /*v460*/, v205 /*v461*/
	s_set_vgpr_msb 0x41                     ;  msbs: dst=1 src0=1 src1=0 src2=0
	v_mul_i32_i24_e32 v204 /*v460*/, v90 /*v346*/, v0
	s_set_vgpr_msb 0x55                     ;  msbs: dst=1 src0=1 src1=1 src2=1
	v_mul_i32_i24_e32 v205 /*v461*/, v92 /*v348*/, v189 /*v445*/
	v_add3_u32 v164 /*v420*/, v164 /*v420*/, v206 /*v462*/, v207 /*v463*/
	v_mul_i32_i24_e32 v206 /*v462*/, v93 /*v349*/, v190 /*v446*/
	v_mul_i32_i24_e32 v207 /*v463*/, v95 /*v351*/, v191 /*v447*/
	s_delay_alu instid0(VALU_DEP_3)
	v_add3_u32 v164 /*v420*/, v164 /*v420*/, v208 /*v464*/, v209 /*v465*/
	s_set_vgpr_msb 0x41                     ;  msbs: dst=1 src0=1 src1=0 src2=0
	v_mul_i32_i24_e32 v208 /*v464*/, v94 /*v350*/, v1
	s_set_vgpr_msb 0x55                     ;  msbs: dst=1 src0=1 src1=1 src2=1
	v_mul_i32_i24_e32 v209 /*v465*/, v96 /*v352*/, v192 /*v448*/
	v_add3_u32 v235 /*v491*/, v164 /*v420*/, v210 /*v466*/, v211 /*v467*/
	v_mul_i32_i24_e32 v164 /*v420*/, v174 /*v430*/, v72 /*v328*/
	v_mul_i32_i24_e32 v210 /*v466*/, v97 /*v353*/, v193 /*v449*/
	;; [unrolled: 1-line block ×3, first 2 shown]
	s_delay_alu instid0(VALU_DEP_3) | instskip(NEXT) | instid1(VALU_DEP_1)
	v_mad_i32_i24 v164 /*v420*/, v175 /*v431*/, v71 /*v327*/, v164 /*v420*/
	v_add3_u32 v164 /*v420*/, v164 /*v420*/, v166 /*v422*/, v167 /*v423*/
	v_mul_i32_i24_e32 v166 /*v422*/, v177 /*v433*/, v77 /*v333*/
	v_mul_i32_i24_e32 v167 /*v423*/, v178 /*v434*/, v78 /*v334*/
	s_delay_alu instid0(VALU_DEP_1)
	v_add3_u32 v164 /*v420*/, v164 /*v420*/, v166 /*v422*/, v167 /*v423*/
	s_set_vgpr_msb 64                       ;  msbs: dst=1 src0=0 src1=0 src2=0
	v_mul_i32_i24_e32 v166 /*v422*/, v53, v231
	v_mul_i32_i24_e32 v167 /*v423*/, v8, v232
	s_set_vgpr_msb 0                        ;  msbs: dst=0 src0=0 src1=0 src2=0
	v_mul_i32_i24_e32 v53, v53, v169
	v_mul_i32_i24_e32 v8, v8, v170
	s_set_vgpr_msb 0x55                     ;  msbs: dst=1 src0=1 src1=1 src2=1
	v_add3_u32 v164 /*v420*/, v164 /*v420*/, v168 /*v424*/, v169 /*v425*/
	s_set_vgpr_msb 64                       ;  msbs: dst=1 src0=0 src1=0 src2=0
	v_mul_i32_i24_e32 v168 /*v424*/, v56, v235
	s_set_vgpr_msb 0x55                     ;  msbs: dst=1 src0=1 src1=1 src2=1
	v_mul_i32_i24_e32 v169 /*v425*/, v162 /*v418*/, v5 /*v261*/
	v_add3_u32 v164 /*v420*/, v164 /*v420*/, v170 /*v426*/, v171 /*v427*/
	s_set_vgpr_msb 64                       ;  msbs: dst=1 src0=0 src1=0 src2=0
	v_mul_i32_i24_e32 v171 /*v427*/, v9, v236
	s_set_vgpr_msb 0                        ;  msbs: dst=0 src0=0 src1=0 src2=0
	v_mul_i32_i24_e32 v9, v9, v174
	s_set_vgpr_msb 0x45                     ;  msbs: dst=1 src0=1 src1=1 src2=0
	v_mul_i32_i24_e32 v170 /*v426*/, v165 /*v421*/, v7 /*v263*/
	s_set_vgpr_msb 0x41                     ;  msbs: dst=1 src0=1 src1=0 src2=0
	v_mul_i32_i24_e32 v165 /*v421*/, v165 /*v421*/, v201
	s_set_vgpr_msb 0x55                     ;  msbs: dst=1 src0=1 src1=1 src2=1
	v_add3_u32 v164 /*v420*/, v164 /*v420*/, v173 /*v429*/, v196 /*v452*/
	s_set_vgpr_msb 64                       ;  msbs: dst=1 src0=0 src1=0 src2=0
	v_mul_i32_i24_e32 v196 /*v452*/, v58, v237
	s_set_vgpr_msb 0x55                     ;  msbs: dst=1 src0=1 src1=1 src2=1
	s_delay_alu instid0(VALU_DEP_2)
	v_add3_u32 v164 /*v420*/, v164 /*v420*/, v197 /*v453*/, v198 /*v454*/
	s_set_vgpr_msb 64                       ;  msbs: dst=1 src0=0 src1=0 src2=0
	v_mul_i32_i24_e32 v197 /*v453*/, v60, v238
	v_mul_i32_i24_e32 v198 /*v454*/, v61, v239
	s_set_vgpr_msb 0x55                     ;  msbs: dst=1 src0=1 src1=1 src2=1
	v_add3_u32 v164 /*v420*/, v164 /*v420*/, v199 /*v455*/, v200 /*v456*/
	s_set_vgpr_msb 64                       ;  msbs: dst=1 src0=0 src1=0 src2=0
	v_mul_i32_i24_e32 v199 /*v455*/, v10, v240
	v_mul_i32_i24_e32 v200 /*v456*/, v62, v241
	s_set_vgpr_msb 0                        ;  msbs: dst=0 src0=0 src1=0 src2=0
	v_mul_i32_i24_e32 v10, v10, v178
	s_set_vgpr_msb 0x55                     ;  msbs: dst=1 src0=1 src1=1 src2=1
	v_add3_u32 v164 /*v420*/, v164 /*v420*/, v201 /*v457*/, v202 /*v458*/
	s_set_vgpr_msb 64                       ;  msbs: dst=1 src0=0 src1=0 src2=0
	v_mul_i32_i24_e32 v201 /*v457*/, v64, v242
	v_mul_i32_i24_e32 v202 /*v458*/, v66, v243
	s_set_vgpr_msb 0x55                     ;  msbs: dst=1 src0=1 src1=1 src2=1
	v_add3_u32 v164 /*v420*/, v164 /*v420*/, v203 /*v459*/, v204 /*v460*/
	s_set_vgpr_msb 64                       ;  msbs: dst=1 src0=0 src1=0 src2=0
	v_mul_i32_i24_e32 v203 /*v459*/, v11, v244
	v_mul_i32_i24_e32 v204 /*v460*/, v67, v245
	s_set_vgpr_msb 0                        ;  msbs: dst=0 src0=0 src1=0 src2=0
	v_mul_i32_i24_e32 v11, v11, v182
	s_set_vgpr_msb 0x55                     ;  msbs: dst=1 src0=1 src1=1 src2=1
	;; [unrolled: 12-line block ×3, first 2 shown]
	v_add3_u32 v164 /*v420*/, v164 /*v420*/, v209 /*v465*/, v210 /*v466*/
	s_set_vgpr_msb 64                       ;  msbs: dst=1 src0=0 src1=0 src2=0
	v_mul_i32_i24_e32 v209 /*v465*/, v249, v84
	v_mul_i32_i24_e32 v210 /*v466*/, v252, v86
	s_set_vgpr_msb 0x55                     ;  msbs: dst=1 src0=1 src1=1 src2=1
	v_add3_u32 v173 /*v429*/, v164 /*v420*/, v211 /*v467*/, v212 /*v468*/
	s_set_vgpr_msb 64                       ;  msbs: dst=1 src0=0 src1=0 src2=0
	v_mul_i32_i24_e32 v164 /*v420*/, v36, v230
	s_set_vgpr_msb 0                        ;  msbs: dst=0 src0=0 src1=0 src2=0
	v_mul_i32_i24_e32 v36, v36, v168
	s_set_vgpr_msb 64                       ;  msbs: dst=1 src0=0 src1=0 src2=0
	v_mul_i32_i24_e32 v211 /*v467*/, v251, v5
	v_mul_i32_i24_e32 v212 /*v468*/, v254, v92
	s_set_vgpr_msb 0                        ;  msbs: dst=0 src0=0 src1=0 src2=0
	v_mul_i32_i24_e32 v5, v189, v5
	s_set_vgpr_msb 0x50                     ;  msbs: dst=1 src0=0 src1=0 src2=1
	v_mad_i32_i24 v164 /*v420*/, v52, v229, v164 /*v420*/
	s_set_vgpr_msb 0                        ;  msbs: dst=0 src0=0 src1=0 src2=0
	v_mad_i32_i24 v36, v52, v167, v36
	v_mul_i32_i24_e32 v52, v55, v172
	s_set_vgpr_msb 0x55                     ;  msbs: dst=1 src0=1 src1=1 src2=1
	v_add3_u32 v164 /*v420*/, v164 /*v420*/, v166 /*v422*/, v167 /*v423*/
	s_set_vgpr_msb 64                       ;  msbs: dst=1 src0=0 src1=0 src2=0
	v_mul_i32_i24_e32 v166 /*v422*/, v54, v233
	v_mul_i32_i24_e32 v167 /*v423*/, v55, v234
	s_set_vgpr_msb 0                        ;  msbs: dst=0 src0=0 src1=0 src2=0
	v_add3_u32 v8, v36, v53, v8
	v_mul_i32_i24_e32 v36, v54, v171
	v_mul_i32_i24_e32 v53, v56, v173
	;; [unrolled: 1-line block ×3, first 2 shown]
	s_set_vgpr_msb 0x55                     ;  msbs: dst=1 src0=1 src1=1 src2=1
	v_add3_u32 v164 /*v420*/, v164 /*v420*/, v166 /*v422*/, v167 /*v423*/
	s_set_vgpr_msb 0                        ;  msbs: dst=0 src0=0 src1=0 src2=0
	v_mul_i32_i24_e32 v55, v60, v176
	v_add3_u32 v8, v8, v36, v52
	v_mul_i32_i24_e32 v56, v61, v177
	v_mul_i32_i24_e32 v58, v62, v179
	s_set_vgpr_msb 0x55                     ;  msbs: dst=1 src0=1 src1=1 src2=1
	v_add3_u32 v164 /*v420*/, v164 /*v420*/, v168 /*v424*/, v171 /*v427*/
	s_set_vgpr_msb 0                        ;  msbs: dst=0 src0=0 src1=0 src2=0
	v_mul_i32_i24_e32 v60, v64, v180
	v_add3_u32 v8, v8, v53, v9
	v_mul_i32_i24_e32 v61, v66, v181
	v_mul_i32_i24_e32 v62, v67, v183
	;; [unrolled: 7-line block ×3, first 2 shown]
	s_set_vgpr_msb 0x55                     ;  msbs: dst=1 src0=1 src1=1 src2=1
	v_add3_u32 v164 /*v420*/, v164 /*v420*/, v198 /*v454*/, v199 /*v455*/
	s_set_vgpr_msb 0                        ;  msbs: dst=0 src0=0 src1=0 src2=0
	v_mul_i32_i24_e32 v69, v187, v84
	v_add3_u32 v8, v8, v56, v10
	v_mul_i32_i24_e32 v71, v190, v86
	s_set_vgpr_msb 0x55                     ;  msbs: dst=1 src0=1 src1=1 src2=1
	v_mul_i32_i24_e32 v166 /*v422*/, v176 /*v432*/, v0 /*v256*/
	v_add3_u32 v164 /*v420*/, v164 /*v420*/, v200 /*v456*/, v201 /*v457*/
	s_set_vgpr_msb 0x44                     ;  msbs: dst=1 src0=0 src1=1 src2=0
	v_mul_i32_i24_e32 v167 /*v423*/, v12, v6 /*v262*/
	s_set_vgpr_msb 0                        ;  msbs: dst=0 src0=0 src1=0 src2=0
	v_add3_u32 v8, v8, v58, v60
	v_mul_i32_i24_e32 v82, v192, v92
	v_mul_i32_i24_e32 v84, v191, v133
	s_set_vgpr_msb 0x55                     ;  msbs: dst=1 src0=1 src1=1 src2=1
	v_add3_u32 v164 /*v420*/, v164 /*v420*/, v202 /*v458*/, v203 /*v459*/
	v_mul_i32_i24_e32 v168 /*v424*/, v178 /*v434*/, v9 /*v265*/
	s_set_vgpr_msb 0                        ;  msbs: dst=0 src0=0 src1=0 src2=0
	v_add3_u32 v8, v8, v61, v11
	s_set_vgpr_msb 4                        ;  msbs: dst=0 src0=0 src1=1 src2=0
	v_mul_i32_i24_e32 v86, v195, v161 /*v417*/
	s_set_vgpr_msb 0x55                     ;  msbs: dst=1 src0=1 src1=1 src2=1
	v_mul_i32_i24_e32 v196 /*v452*/, v179 /*v435*/, v4 /*v260*/
	v_add3_u32 v164 /*v420*/, v164 /*v420*/, v204 /*v460*/, v205 /*v461*/
	s_set_vgpr_msb 0x44                     ;  msbs: dst=1 src0=0 src1=1 src2=0
	v_mul_i32_i24_e32 v197 /*v453*/, v13, v11 /*v267*/
	s_set_vgpr_msb 0                        ;  msbs: dst=0 src0=0 src1=0 src2=0
	v_add3_u32 v8, v8, v62, v64
	v_mul_i32_i24_e32 v9, v13, v205
	s_set_vgpr_msb 0x55                     ;  msbs: dst=1 src0=1 src1=1 src2=1
	v_mul_i32_i24_e32 v198 /*v454*/, v180 /*v436*/, v12 /*v268*/
	v_add3_u32 v164 /*v420*/, v164 /*v420*/, v206 /*v462*/, v207 /*v463*/
	v_mul_i32_i24_e32 v199 /*v455*/, v181 /*v437*/, v13 /*v269*/
	s_set_vgpr_msb 0                        ;  msbs: dst=0 src0=0 src1=0 src2=0
	v_add3_u32 v4, v8, v66, v4
	s_set_vgpr_msb 1                        ;  msbs: dst=0 src0=1 src1=0 src2=0
	v_mul_i32_i24_e32 v8, v179 /*v435*/, v198
	v_mul_i32_i24_e32 v10, v180 /*v436*/, v206
	s_set_vgpr_msb 0x55                     ;  msbs: dst=1 src0=1 src1=1 src2=1
	v_add3_u32 v164 /*v420*/, v164 /*v420*/, v208 /*v464*/, v209 /*v465*/
	s_set_vgpr_msb 1                        ;  msbs: dst=0 src0=1 src1=0 src2=0
	v_mul_i32_i24_e32 v11, v181 /*v437*/, v207
	s_set_vgpr_msb 0                        ;  msbs: dst=0 src0=0 src1=0 src2=0
	v_add3_u32 v4, v4, v67, v69
	s_set_vgpr_msb 0x45                     ;  msbs: dst=1 src0=1 src1=1 src2=0
	v_mul_i32_i24_e32 v200 /*v456*/, v182 /*v438*/, v10 /*v266*/
	s_set_vgpr_msb 0x44                     ;  msbs: dst=1 src0=0 src1=1 src2=0
	v_mul_i32_i24_e32 v201 /*v457*/, v14, v15 /*v271*/
	s_set_vgpr_msb 0x55                     ;  msbs: dst=1 src0=1 src1=1 src2=1
	v_add3_u32 v164 /*v420*/, v164 /*v420*/, v210 /*v466*/, v211 /*v467*/
	s_set_vgpr_msb 0                        ;  msbs: dst=0 src0=0 src1=0 src2=0
	v_mul_i32_i24_e32 v13, v14, v209
	v_add3_u32 v4, v4, v71, v5
	s_set_vgpr_msb 1                        ;  msbs: dst=0 src0=1 src1=0 src2=0
	v_mul_i32_i24_e32 v5, v176 /*v432*/, v194
	s_set_vgpr_msb 0x55                     ;  msbs: dst=1 src0=1 src1=1 src2=1
	v_mul_i32_i24_e32 v202 /*v458*/, v183 /*v439*/, v16 /*v272*/
	v_add3_u32 v164 /*v420*/, v164 /*v420*/, v212 /*v468*/, v213 /*v469*/
	v_mul_i32_i24_e32 v203 /*v459*/, v184 /*v440*/, v17 /*v273*/
	s_set_vgpr_msb 0                        ;  msbs: dst=0 src0=0 src1=0 src2=0
	v_add3_u32 v4, v4, v82, v84
	s_set_vgpr_msb 1                        ;  msbs: dst=0 src0=1 src1=0 src2=0
	v_mul_i32_i24_e32 v14, v183 /*v439*/, v210
	v_mul_i32_i24_e32 v36, v184 /*v440*/, v211
	s_set_vgpr_msb 0x55                     ;  msbs: dst=1 src0=1 src1=1 src2=1
	v_add3_u32 v171 /*v427*/, v164 /*v420*/, v214 /*v470*/, v215 /*v471*/
	v_mul_i32_i24_e32 v164 /*v420*/, v174 /*v430*/, v3 /*v259*/
	v_mul_i32_i24_e32 v204 /*v460*/, v185 /*v441*/, v14 /*v270*/
	s_set_vgpr_msb 0x44                     ;  msbs: dst=1 src0=0 src1=1 src2=0
	v_mul_i32_i24_e32 v205 /*v461*/, v15, v18 /*v274*/
	s_set_vgpr_msb 1                        ;  msbs: dst=0 src0=1 src1=0 src2=0
	v_mul_i32_i24_e32 v52, v185 /*v441*/, v208
	s_set_vgpr_msb 0                        ;  msbs: dst=0 src0=0 src1=0 src2=0
	v_mul_i32_i24_e32 v15, v15, v212
	s_set_vgpr_msb 0x55                     ;  msbs: dst=1 src0=1 src1=1 src2=1
	v_mad_i32_i24 v164 /*v420*/, v175 /*v431*/, v2 /*v258*/, v164 /*v420*/
	v_mul_i32_i24_e32 v206 /*v462*/, v19 /*v275*/, v186 /*v442*/
	v_mul_i32_i24_e32 v207 /*v463*/, v20 /*v276*/, v187 /*v443*/
	s_set_vgpr_msb 4                        ;  msbs: dst=0 src0=0 src1=1 src2=0
	v_mul_i32_i24_e32 v53, v213, v186 /*v442*/
	v_mul_i32_i24_e32 v54, v214, v187 /*v443*/
	s_set_vgpr_msb 0x55                     ;  msbs: dst=1 src0=1 src1=1 src2=1
	v_add3_u32 v164 /*v420*/, v164 /*v420*/, v166 /*v422*/, v167 /*v423*/
	v_mul_i32_i24_e32 v166 /*v422*/, v177 /*v433*/, v8 /*v264*/
	v_mul_i32_i24_e32 v208 /*v464*/, v22 /*v278*/, v188 /*v444*/
	s_set_vgpr_msb 0x41                     ;  msbs: dst=1 src0=1 src1=0 src2=0
	v_mul_i32_i24_e32 v209 /*v465*/, v21 /*v277*/, v0
	s_set_vgpr_msb 4                        ;  msbs: dst=0 src0=0 src1=1 src2=0
	v_mul_i32_i24_e32 v55, v216, v188 /*v444*/
	s_set_vgpr_msb 0                        ;  msbs: dst=0 src0=0 src1=0 src2=0
	v_mul_i32_i24_e32 v0, v215, v0
	s_set_vgpr_msb 0x55                     ;  msbs: dst=1 src0=1 src1=1 src2=1
	v_add3_u32 v164 /*v420*/, v164 /*v420*/, v166 /*v422*/, v168 /*v424*/
	s_set_vgpr_msb 64                       ;  msbs: dst=1 src0=0 src1=0 src2=0
	v_add3_u32 v166 /*v422*/, v4, v86, v6
	s_set_vgpr_msb 1                        ;  msbs: dst=0 src0=1 src1=0 src2=0
	v_mul_i32_i24_e32 v4, v174 /*v430*/, v197
	s_set_vgpr_msb 0                        ;  msbs: dst=0 src0=0 src1=0 src2=0
	v_mul_i32_i24_e32 v6, v12, v200
	s_set_vgpr_msb 1                        ;  msbs: dst=0 src0=1 src1=0 src2=0
	v_mul_i32_i24_e32 v12, v182 /*v438*/, v204
	s_set_vgpr_msb 0x55                     ;  msbs: dst=1 src0=1 src1=1 src2=1
	v_add3_u32 v164 /*v420*/, v164 /*v420*/, v196 /*v452*/, v197 /*v453*/
	v_mul_i32_i24_e32 v210 /*v466*/, v23 /*v279*/, v189 /*v445*/
	s_set_vgpr_msb 1                        ;  msbs: dst=0 src0=1 src1=0 src2=0
	v_mad_i32_i24 v4, v175 /*v431*/, v196, v4
	s_set_vgpr_msb 0x45                     ;  msbs: dst=1 src0=1 src1=1 src2=0
	v_mul_i32_i24_e32 v211 /*v467*/, v24 /*v280*/, v190 /*v446*/
	s_set_vgpr_msb 4                        ;  msbs: dst=0 src0=0 src1=1 src2=0
	v_mul_i32_i24_e32 v56, v217, v189 /*v445*/
	s_set_vgpr_msb 0x55                     ;  msbs: dst=1 src0=1 src1=1 src2=1
	v_add3_u32 v164 /*v420*/, v164 /*v420*/, v198 /*v454*/, v199 /*v455*/
	s_set_vgpr_msb 4                        ;  msbs: dst=0 src0=0 src1=1 src2=0
	v_mul_i32_i24_e32 v58, v218, v190 /*v446*/
	s_set_vgpr_msb 0                        ;  msbs: dst=0 src0=0 src1=0 src2=0
	v_add3_u32 v4, v4, v5, v6
	s_set_vgpr_msb 1                        ;  msbs: dst=0 src0=1 src1=0 src2=0
	v_mul_i32_i24_e32 v5, v177 /*v433*/, v202
	v_mul_i32_i24_e32 v6, v178 /*v434*/, v203
	s_set_vgpr_msb 0x55                     ;  msbs: dst=1 src0=1 src1=1 src2=1
	v_add3_u32 v164 /*v420*/, v164 /*v420*/, v200 /*v456*/, v201 /*v457*/
	v_mul_i32_i24_e32 v212 /*v468*/, v26 /*v282*/, v191 /*v447*/
	s_set_vgpr_msb 0x41                     ;  msbs: dst=1 src0=1 src1=0 src2=0
	v_mul_i32_i24_e32 v213 /*v469*/, v25 /*v281*/, v1
	s_set_vgpr_msb 4                        ;  msbs: dst=0 src0=0 src1=1 src2=0
	v_mul_i32_i24_e32 v60, v220, v191 /*v447*/
	s_set_vgpr_msb 0                        ;  msbs: dst=0 src0=0 src1=0 src2=0
	v_add3_u32 v4, v4, v5, v6
	s_set_vgpr_msb 0x55                     ;  msbs: dst=1 src0=1 src1=1 src2=1
	v_add3_u32 v164 /*v420*/, v164 /*v420*/, v202 /*v458*/, v203 /*v459*/
	s_set_vgpr_msb 0                        ;  msbs: dst=0 src0=0 src1=0 src2=0
	v_mul_i32_i24_e32 v1, v219, v1
	s_set_vgpr_msb 0x45                     ;  msbs: dst=1 src0=1 src1=1 src2=0
	v_mul_i32_i24_e32 v214 /*v470*/, v27 /*v283*/, v192 /*v448*/
	v_mul_i32_i24_e32 v215 /*v471*/, v28 /*v284*/, v193 /*v449*/
	s_set_vgpr_msb 0                        ;  msbs: dst=0 src0=0 src1=0 src2=0
	v_add3_u32 v4, v4, v8, v9
	s_set_vgpr_msb 0x55                     ;  msbs: dst=1 src0=1 src1=1 src2=1
	v_add3_u32 v164 /*v420*/, v164 /*v420*/, v204 /*v460*/, v205 /*v461*/
	s_set_vgpr_msb 4                        ;  msbs: dst=0 src0=0 src1=1 src2=0
	v_mul_i32_i24_e32 v61, v221, v192 /*v448*/
	v_mul_i32_i24_e32 v62, v222, v193 /*v449*/
	;; [unrolled: 1-line block ×3, first 2 shown]
	s_set_vgpr_msb 0                        ;  msbs: dst=0 src0=0 src1=0 src2=0
	v_add3_u32 v4, v4, v10, v11
	s_set_vgpr_msb 0x55                     ;  msbs: dst=1 src0=1 src1=1 src2=1
	v_add3_u32 v164 /*v420*/, v164 /*v420*/, v206 /*v462*/, v207 /*v463*/
	v_mul_i32_i24_e32 v167 /*v423*/, v195 /*v451*/, v31 /*v287*/
	s_set_vgpr_msb 0x41                     ;  msbs: dst=1 src0=1 src1=0 src2=0
	v_mul_i32_i24_e32 v161 /*v417*/, v195 /*v451*/, v225
	s_set_vgpr_msb 0                        ;  msbs: dst=0 src0=0 src1=0 src2=0
	v_add3_u32 v4, v4, v12, v13
	s_set_vgpr_msb 0x55                     ;  msbs: dst=1 src0=1 src1=1 src2=1
	v_add3_u32 v164 /*v420*/, v164 /*v420*/, v208 /*v464*/, v209 /*v465*/
	s_set_vgpr_msb 0                        ;  msbs: dst=0 src0=0 src1=0 src2=0
	s_delay_alu instid0(VALU_DEP_2) | instskip(SKIP_1) | instid1(VALU_DEP_2)
	v_add3_u32 v4, v4, v14, v36
	s_set_vgpr_msb 0x55                     ;  msbs: dst=1 src0=1 src1=1 src2=1
	v_add3_u32 v164 /*v420*/, v164 /*v420*/, v210 /*v466*/, v211 /*v467*/
	s_set_vgpr_msb 0                        ;  msbs: dst=0 src0=0 src1=0 src2=0
	s_delay_alu instid0(VALU_DEP_2) | instskip(SKIP_1) | instid1(VALU_DEP_2)
	;; [unrolled: 5-line block ×4, first 2 shown]
	v_add3_u32 v0, v4, v55, v0
	s_set_vgpr_msb 0x55                     ;  msbs: dst=1 src0=1 src1=1 src2=1
	v_add3_u32 v168 /*v424*/, v164 /*v420*/, v216 /*v472*/, v217 /*v473*/
	s_set_vgpr_msb 0x41                     ;  msbs: dst=1 src0=1 src1=0 src2=0
	v_mul_i32_i24_e32 v164 /*v420*/, v162 /*v418*/, v199
	s_set_vgpr_msb 0                        ;  msbs: dst=0 src0=0 src1=0 src2=0
	v_add3_u32 v0, v0, v56, v58
	s_delay_alu instid0(VALU_DEP_1) | instskip(NEXT) | instid1(VALU_DEP_1)
	v_add3_u32 v0, v0, v60, v1
	v_add3_u32 v0, v0, v61, v62
	s_set_vgpr_msb 64                       ;  msbs: dst=1 src0=0 src1=0 src2=0
	s_delay_alu instid0(VALU_DEP_1)
	v_add3_u32 v162 /*v418*/, v0, v64, v2
	s_set_vgpr_msb 0                        ;  msbs: dst=0 src0=0 src1=0 src2=0
	v_or_b32_e32 v0, s12, v144
	s_add_co_i32 s12, s5, 8
	s_cmp_lt_u32 s5, 24
	s_mov_b32 s5, s12
	s_delay_alu instid0(VALU_DEP_1)
	v_dual_lshlrev_b32 v1, 2, v0 :: v_dual_lshrrev_b32 v0, 1, v0
	s_set_vgpr_msb 64                       ;  msbs: dst=1 src0=0 src1=0 src2=0
	ds_load_b128 v[174:177] /*v[430:433]*/, v1 offset:16896
	s_set_vgpr_msb 0                        ;  msbs: dst=0 src0=0 src1=0 src2=0
	ds_load_b128 v[12:15], v1 offset:16912
	s_set_vgpr_msb 64                       ;  msbs: dst=1 src0=0 src1=0 src2=0
	ds_load_b128 v[182:185] /*v[438:441]*/, v1 offset:16928
	s_set_vgpr_msb 0                        ;  msbs: dst=0 src0=0 src1=0 src2=0
	ds_load_b128 v[8:11], v1 offset:16944
	s_wait_dscnt 0x3
	s_set_vgpr_msb 0x41                     ;  msbs: dst=1 src0=1 src1=0 src2=0
	v_bfe_i32 v229 /*v485*/, v174 /*v430*/, 0, 8
	v_bfe_i32 v202 /*v458*/, v174 /*v430*/, 8, 8
	;; [unrolled: 1-line block ×3, first 2 shown]
	s_set_vgpr_msb 0x44                     ;  msbs: dst=1 src0=0 src1=1 src2=0
	v_ashrrev_i32_e32 v231 /*v487*/, 24, v174 /*v430*/
	s_set_vgpr_msb 0x41                     ;  msbs: dst=1 src0=1 src1=0 src2=0
	v_bfe_i32 v203 /*v459*/, v175 /*v431*/, 0, 8
	s_set_vgpr_msb 5                        ;  msbs: dst=0 src0=1 src1=1 src2=0
	v_mul_i32_i24_e32 v1, v229 /*v485*/, v102 /*v358*/
	s_set_vgpr_msb 0x41                     ;  msbs: dst=1 src0=1 src1=0 src2=0
	v_bfe_i32 v204 /*v460*/, v175 /*v431*/, 8, 8
	s_set_vgpr_msb 5                        ;  msbs: dst=0 src0=1 src1=1 src2=0
	v_mul_i32_i24_e32 v2, v230 /*v486*/, v103 /*v359*/
	v_mul_i32_i24_e32 v4, v231 /*v487*/, v104 /*v360*/
	s_set_vgpr_msb 0x41                     ;  msbs: dst=1 src0=1 src1=0 src2=0
	v_bfe_i32 v205 /*v461*/, v175 /*v431*/, 16, 8
	s_set_vgpr_msb 5                        ;  msbs: dst=0 src0=1 src1=1 src2=0
	v_mad_i32_i24 v1, v202 /*v458*/, v101 /*v357*/, v1
	s_set_vgpr_msb 0x44                     ;  msbs: dst=1 src0=0 src1=1 src2=0
	v_ashrrev_i32_e32 v206 /*v462*/, 24, v175 /*v431*/
	s_set_vgpr_msb 0x41                     ;  msbs: dst=1 src0=1 src1=0 src2=0
	v_bfe_i32 v207 /*v463*/, v176 /*v432*/, 0, 8
	v_bfe_i32 v208 /*v464*/, v176 /*v432*/, 8, 8
	s_set_vgpr_msb 5                        ;  msbs: dst=0 src0=1 src1=1 src2=0
	v_mul_i32_i24_e32 v5, v205 /*v461*/, v107 /*v363*/
	s_set_vgpr_msb 0                        ;  msbs: dst=0 src0=0 src1=0 src2=0
	v_add3_u32 v1, v1, v2, v4
	s_set_vgpr_msb 5                        ;  msbs: dst=0 src0=1 src1=1 src2=0
	v_mul_i32_i24_e32 v2, v203 /*v459*/, v105 /*v361*/
	v_mul_i32_i24_e32 v4, v204 /*v460*/, v106 /*v362*/
	;; [unrolled: 1-line block ×3, first 2 shown]
	s_set_vgpr_msb 0x41                     ;  msbs: dst=1 src0=1 src1=0 src2=0
	v_bfe_i32 v209 /*v465*/, v176 /*v432*/, 16, 8
	s_set_vgpr_msb 0x44                     ;  msbs: dst=1 src0=0 src1=1 src2=0
	v_dual_ashrrev_i32 v210 /*v466*/, 24, v176 /*v432*/ :: v_dual_ashrrev_i32 v214 /*v470*/, 24, v177 /*v433*/
	s_set_vgpr_msb 0                        ;  msbs: dst=0 src0=0 src1=0 src2=0
	v_add3_u32 v1, v1, v2, v4
	s_wait_dscnt 0x0
	s_set_vgpr_msb 64                       ;  msbs: dst=1 src0=0 src1=0 src2=0
	v_dual_ashrrev_i32 v226 /*v482*/, 24, v14 :: v_dual_ashrrev_i32 v189 /*v445*/, 24, v8
	v_bfe_i32 v186 /*v442*/, v8, 0, 8
	v_bfe_i32 v187 /*v443*/, v8, 8, 8
	;; [unrolled: 1-line block ×6, first 2 shown]
	v_dual_ashrrev_i32 v193 /*v449*/, 24, v9 :: v_dual_ashrrev_i32 v197 /*v453*/, 24, v10
	s_set_vgpr_msb 5                        ;  msbs: dst=0 src0=1 src1=1 src2=0
	v_mul_i32_i24_e32 v8, v207 /*v463*/, v109 /*v365*/
	v_mul_i32_i24_e32 v9, v208 /*v464*/, v110 /*v366*/
	s_set_vgpr_msb 0                        ;  msbs: dst=0 src0=0 src1=0 src2=0
	v_add3_u32 v1, v1, v5, v6
	s_set_vgpr_msb 0x41                     ;  msbs: dst=1 src0=1 src1=0 src2=0
	v_bfe_i32 v211 /*v467*/, v177 /*v433*/, 0, 8
	v_bfe_i32 v212 /*v468*/, v177 /*v433*/, 8, 8
	s_set_vgpr_msb 64                       ;  msbs: dst=1 src0=0 src1=0 src2=0
	v_bfe_i32 v194 /*v450*/, v10, 0, 8
	v_bfe_i32 v195 /*v451*/, v10, 8, 8
	;; [unrolled: 1-line block ×3, first 2 shown]
	s_set_vgpr_msb 5                        ;  msbs: dst=0 src0=1 src1=1 src2=0
	v_mul_i32_i24_e32 v10, v209 /*v465*/, v111 /*v367*/
	v_mul_i32_i24_e32 v36, v210 /*v466*/, v112 /*v368*/
	s_set_vgpr_msb 0                        ;  msbs: dst=0 src0=0 src1=0 src2=0
	v_add3_u32 v1, v1, v8, v9
	s_set_vgpr_msb 0x41                     ;  msbs: dst=1 src0=1 src1=0 src2=0
	v_bfe_i32 v213 /*v469*/, v177 /*v433*/, 16, 8
	s_set_vgpr_msb 5                        ;  msbs: dst=0 src0=1 src1=1 src2=0
	v_mul_i32_i24_e32 v52, v211 /*v467*/, v113 /*v369*/
	v_mul_i32_i24_e32 v53, v212 /*v468*/, v114 /*v370*/
	s_set_vgpr_msb 64                       ;  msbs: dst=1 src0=0 src1=0 src2=0
	v_bfe_i32 v215 /*v471*/, v12, 0, 8
	s_set_vgpr_msb 0                        ;  msbs: dst=0 src0=0 src1=0 src2=0
	v_add3_u32 v1, v1, v10, v36
	s_set_vgpr_msb 64                       ;  msbs: dst=1 src0=0 src1=0 src2=0
	v_bfe_i32 v216 /*v472*/, v12, 8, 8
	s_set_vgpr_msb 5                        ;  msbs: dst=0 src0=1 src1=1 src2=0
	v_mul_i32_i24_e32 v54, v213 /*v469*/, v115 /*v371*/
	v_mul_i32_i24_e32 v55, v214 /*v470*/, v116 /*v372*/
	s_set_vgpr_msb 64                       ;  msbs: dst=1 src0=0 src1=0 src2=0
	v_bfe_i32 v217 /*v473*/, v12, 16, 8
	s_set_vgpr_msb 0                        ;  msbs: dst=0 src0=0 src1=0 src2=0
	v_add3_u32 v1, v1, v52, v53
	s_set_vgpr_msb 64                       ;  msbs: dst=1 src0=0 src1=0 src2=0
	v_dual_ashrrev_i32 v218 /*v474*/, 24, v12 :: v_dual_ashrrev_i32 v222 /*v478*/, 24, v13
	s_set_vgpr_msb 5                        ;  msbs: dst=0 src0=1 src1=1 src2=0
	v_mul_i32_i24_e32 v56, v215 /*v471*/, v117 /*v373*/
	v_mul_i32_i24_e32 v58, v216 /*v472*/, v118 /*v374*/
	s_set_vgpr_msb 0                        ;  msbs: dst=0 src0=0 src1=0 src2=0
	v_add3_u32 v1, v1, v54, v55
	s_set_vgpr_msb 64                       ;  msbs: dst=1 src0=0 src1=0 src2=0
	v_bfe_i32 v219 /*v475*/, v13, 0, 8
	v_bfe_i32 v220 /*v476*/, v13, 8, 8
	s_set_vgpr_msb 5                        ;  msbs: dst=0 src0=1 src1=1 src2=0
	v_mul_i32_i24_e32 v60, v120 /*v376*/, v217 /*v473*/
	v_mul_i32_i24_e32 v61, v119 /*v375*/, v218 /*v474*/
	s_set_vgpr_msb 0                        ;  msbs: dst=0 src0=0 src1=0 src2=0
	v_add3_u32 v1, v1, v56, v58
	s_set_vgpr_msb 64                       ;  msbs: dst=1 src0=0 src1=0 src2=0
	v_bfe_i32 v221 /*v477*/, v13, 16, 8
	s_set_vgpr_msb 5                        ;  msbs: dst=0 src0=1 src1=1 src2=0
	v_mul_i32_i24_e32 v62, v122 /*v378*/, v219 /*v475*/
	v_mul_i32_i24_e32 v64, v121 /*v377*/, v220 /*v476*/
	s_set_vgpr_msb 64                       ;  msbs: dst=1 src0=0 src1=0 src2=0
	v_bfe_i32 v223 /*v479*/, v14, 0, 8
	s_set_vgpr_msb 0                        ;  msbs: dst=0 src0=0 src1=0 src2=0
	v_add3_u32 v1, v1, v60, v61
	s_set_vgpr_msb 64                       ;  msbs: dst=1 src0=0 src1=0 src2=0
	v_bfe_i32 v224 /*v480*/, v14, 8, 8
	s_set_vgpr_msb 5                        ;  msbs: dst=0 src0=1 src1=1 src2=0
	v_mul_i32_i24_e32 v66, v124 /*v380*/, v221 /*v477*/
	v_mul_i32_i24_e32 v67, v123 /*v379*/, v222 /*v478*/
	s_set_vgpr_msb 64                       ;  msbs: dst=1 src0=0 src1=0 src2=0
	v_bfe_i32 v225 /*v481*/, v14, 16, 8
	s_set_vgpr_msb 0                        ;  msbs: dst=0 src0=0 src1=0 src2=0
	v_add3_u32 v1, v1, v62, v64
	s_set_vgpr_msb 5                        ;  msbs: dst=0 src0=1 src1=1 src2=0
	v_mul_i32_i24_e32 v69, v132 /*v388*/, v223 /*v479*/
	v_mul_i32_i24_e32 v71, v125 /*v381*/, v224 /*v480*/
	s_set_vgpr_msb 0x41                     ;  msbs: dst=1 src0=1 src1=0 src2=0
	v_bfe_i32 v199 /*v455*/, v182 /*v438*/, 0, 8
	s_set_vgpr_msb 5                        ;  msbs: dst=0 src0=1 src1=1 src2=0
	v_mul_i32_i24_e32 v82, v136 /*v392*/, v225 /*v481*/
	s_set_vgpr_msb 0                        ;  msbs: dst=0 src0=0 src1=0 src2=0
	v_add3_u32 v1, v1, v66, v67
	s_set_vgpr_msb 5                        ;  msbs: dst=0 src0=1 src1=1 src2=0
	v_mul_i32_i24_e32 v84, v133 /*v389*/, v226 /*v482*/
	v_bfe_i32 v14, v182 /*v438*/, 8, 8
	s_set_vgpr_msb 0x41                     ;  msbs: dst=1 src0=1 src1=0 src2=0
	v_bfe_i32 v200 /*v456*/, v182 /*v438*/, 16, 8
	s_set_vgpr_msb 0x44                     ;  msbs: dst=1 src0=0 src1=1 src2=0
	v_dual_ashrrev_i32 v201 /*v457*/, 24, v182 /*v438*/ :: v_dual_ashrrev_i32 v177 /*v433*/, 24, v183 /*v439*/
	s_set_vgpr_msb 0                        ;  msbs: dst=0 src0=0 src1=0 src2=0
	v_add3_u32 v1, v1, v69, v71
	s_set_vgpr_msb 0x41                     ;  msbs: dst=1 src0=1 src1=0 src2=0
	v_bfe_i32 v174 /*v430*/, v183 /*v439*/, 0, 8
	v_bfe_i32 v175 /*v431*/, v183 /*v439*/, 8, 8
	s_set_vgpr_msb 5                        ;  msbs: dst=0 src0=1 src1=1 src2=0
	v_mul_i32_i24_e32 v2, v140 /*v396*/, v200 /*v456*/
	v_mul_i32_i24_e32 v4, v134 /*v390*/, v201 /*v457*/
	s_set_vgpr_msb 0                        ;  msbs: dst=0 src0=0 src1=0 src2=0
	v_add3_u32 v10, v1, v82, v84
	s_set_vgpr_msb 5                        ;  msbs: dst=0 src0=1 src1=1 src2=0
	v_mul_i32_i24_e32 v1, v141 /*v397*/, v199 /*v455*/
	s_set_vgpr_msb 0x41                     ;  msbs: dst=1 src0=1 src1=0 src2=0
	v_bfe_i32 v176 /*v432*/, v183 /*v439*/, 16, 8
	v_bfe_i32 v178 /*v434*/, v184 /*v440*/, 0, 8
	;; [unrolled: 1-line block ×3, first 2 shown]
	s_set_vgpr_msb 5                        ;  msbs: dst=0 src0=1 src1=1 src2=0
	v_mul_i32_i24_e32 v6, v126 /*v382*/, v177 /*v433*/
	s_set_vgpr_msb 1                        ;  msbs: dst=0 src0=1 src1=0 src2=0
	v_mad_i32_i24 v1, v139 /*v395*/, v14, v1
	s_set_vgpr_msb 5                        ;  msbs: dst=0 src0=1 src1=1 src2=0
	v_mul_i32_i24_e32 v5, v142 /*v398*/, v176 /*v432*/
	s_set_vgpr_msb 0x41                     ;  msbs: dst=1 src0=1 src1=0 src2=0
	v_bfe_i32 v180 /*v436*/, v184 /*v440*/, 16, 8
	s_set_vgpr_msb 0x44                     ;  msbs: dst=1 src0=0 src1=1 src2=0
	v_ashrrev_i32_e32 v181 /*v437*/, 24, v184 /*v440*/
	s_set_vgpr_msb 5                        ;  msbs: dst=0 src0=1 src1=1 src2=0
	v_mul_i32_i24_e32 v8, v147 /*v403*/, v178 /*v434*/
	s_set_vgpr_msb 0                        ;  msbs: dst=0 src0=0 src1=0 src2=0
	v_add3_u32 v1, v1, v2, v4
	s_set_vgpr_msb 5                        ;  msbs: dst=0 src0=1 src1=1 src2=0
	v_mul_i32_i24_e32 v2, v144 /*v400*/, v174 /*v430*/
	v_mul_i32_i24_e32 v4, v143 /*v399*/, v175 /*v431*/
	;; [unrolled: 1-line block ×3, first 2 shown]
	s_set_vgpr_msb 0x41                     ;  msbs: dst=1 src0=1 src1=0 src2=0
	v_bfe_i32 v182 /*v438*/, v185 /*v441*/, 0, 8
	v_bfe_i32 v183 /*v439*/, v185 /*v441*/, 8, 8
	;; [unrolled: 1-line block ×3, first 2 shown]
	s_set_vgpr_msb 0                        ;  msbs: dst=0 src0=0 src1=0 src2=0
	v_add3_u32 v1, v1, v2, v4
	s_set_vgpr_msb 0x44                     ;  msbs: dst=1 src0=0 src1=1 src2=0
	v_ashrrev_i32_e32 v185 /*v441*/, 24, v185 /*v441*/
	s_set_vgpr_msb 5                        ;  msbs: dst=0 src0=1 src1=1 src2=0
	v_mul_i32_i24_e32 v36, v145 /*v401*/, v180 /*v436*/
	v_mul_i32_i24_e32 v52, v127 /*v383*/, v181 /*v437*/
	;; [unrolled: 1-line block ×3, first 2 shown]
	s_set_vgpr_msb 0                        ;  msbs: dst=0 src0=0 src1=0 src2=0
	v_add3_u32 v1, v1, v5, v6
	s_set_vgpr_msb 5                        ;  msbs: dst=0 src0=1 src1=1 src2=0
	v_mul_i32_i24_e32 v54, v149 /*v405*/, v183 /*v439*/
	v_mul_i32_i24_e32 v55, v148 /*v404*/, v184 /*v440*/
	;; [unrolled: 1-line block ×4, first 2 shown]
	s_set_vgpr_msb 0                        ;  msbs: dst=0 src0=0 src1=0 src2=0
	v_add3_u32 v1, v1, v8, v9
	s_set_vgpr_msb 5                        ;  msbs: dst=0 src0=1 src1=1 src2=0
	v_mul_i32_i24_e32 v60, v152 /*v408*/, v187 /*v443*/
	ds_load_b64 v[8:9], v232 /*v488*/ offset:27200
	s_set_vgpr_msb 64                       ;  msbs: dst=1 src0=0 src1=0 src2=0
	ds_load_b64 v[106:107] /*v[362:363]*/, v0 offset:27200
	s_set_vgpr_msb 5                        ;  msbs: dst=0 src0=1 src1=1 src2=0
	v_mul_i32_i24_e32 v61, v151 /*v407*/, v188 /*v444*/
	s_set_vgpr_msb 0                        ;  msbs: dst=0 src0=0 src1=0 src2=0
	v_add3_u32 v1, v1, v36, v52
	s_set_vgpr_msb 5                        ;  msbs: dst=0 src0=1 src1=1 src2=0
	v_mul_i32_i24_e32 v62, v129 /*v385*/, v189 /*v445*/
	v_mul_i32_i24_e32 v64, v156 /*v412*/, v190 /*v446*/
	v_mul_i32_i24_e32 v66, v155 /*v411*/, v191 /*v447*/
	s_set_vgpr_msb 64                       ;  msbs: dst=1 src0=0 src1=0 src2=0
	v_bfe_i32 v227 /*v483*/, v15, 0, 8
	s_set_vgpr_msb 0                        ;  msbs: dst=0 src0=0 src1=0 src2=0
	v_add3_u32 v1, v1, v53, v54
	s_set_vgpr_msb 64                       ;  msbs: dst=1 src0=0 src1=0 src2=0
	v_bfe_i32 v228 /*v484*/, v15, 8, 8
	s_set_vgpr_msb 5                        ;  msbs: dst=0 src0=1 src1=1 src2=0
	v_mul_i32_i24_e32 v67, v154 /*v410*/, v192 /*v448*/
	v_mul_i32_i24_e32 v69, v130 /*v386*/, v193 /*v449*/
	s_set_vgpr_msb 0                        ;  msbs: dst=0 src0=0 src1=0 src2=0
	v_bfe_i32 v13, v15, 16, 8
	v_add3_u32 v1, v1, v55, v56
	s_set_vgpr_msb 5                        ;  msbs: dst=0 src0=1 src1=1 src2=0
	v_mul_i32_i24_e32 v86, v227 /*v483*/, v137 /*v393*/
	v_mul_i32_i24_e32 v92, v228 /*v484*/, v138 /*v394*/
	;; [unrolled: 1-line block ×4, first 2 shown]
	s_set_vgpr_msb 0                        ;  msbs: dst=0 src0=0 src1=0 src2=0
	v_add3_u32 v1, v1, v58, v60
	s_set_vgpr_msb 64                       ;  msbs: dst=1 src0=0 src1=0 src2=0
	v_ashrrev_i32_e32 v104 /*v360*/, 24, v15
	v_ashrrev_i32_e32 v105 /*v361*/, 24, v7
	s_wait_dscnt 0x1
	s_set_vgpr_msb 0                        ;  msbs: dst=0 src0=0 src1=0 src2=0
	v_dual_lshrrev_b32 v0, 16, v8 :: v_dual_lshrrev_b32 v2, 16, v9
	v_add3_u32 v1, v1, v61, v62
	s_set_vgpr_msb 64                       ;  msbs: dst=1 src0=0 src1=0 src2=0
	v_bfe_i32 v198 /*v454*/, v11, 0, 8
	s_set_vgpr_msb 0                        ;  msbs: dst=0 src0=0 src1=0 src2=0
	v_bfe_i32 v12, v11, 8, 8
	s_set_vgpr_msb 5                        ;  msbs: dst=0 src0=1 src1=1 src2=0
	v_mul_i32_i24_e32 v84, v157 /*v413*/, v196 /*v452*/
	v_mul_i32_i24_e32 v133, v131 /*v387*/, v197 /*v453*/
	s_set_vgpr_msb 0                        ;  msbs: dst=0 src0=0 src1=0 src2=0
	v_add3_u32 v1, v1, v64, v66
	v_cvt_f32_f16_e32 v6, v8
	v_cvt_f32_f16_e32 v4, v0
	v_bfe_i32 v15, v11, 16, 8
	s_set_vgpr_msb 64                       ;  msbs: dst=1 src0=0 src1=0 src2=0
	v_ashrrev_i32_e32 v101 /*v357*/, 24, v11
	s_set_vgpr_msb 0                        ;  msbs: dst=0 src0=0 src1=0 src2=0
	v_add3_u32 v1, v1, v67, v69
	v_cvt_f32_f16_e32 v0, v9
	s_set_vgpr_msb 5                        ;  msbs: dst=0 src0=1 src1=1 src2=0
	v_mul_i32_i24_e32 v8, v163 /*v419*/, v34 /*v290*/
	s_set_vgpr_msb 4                        ;  msbs: dst=0 src0=0 src1=1 src2=0
	v_mul_i32_i24_e32 v9, v13, v34 /*v290*/
	s_set_vgpr_msb 5                        ;  msbs: dst=0 src0=1 src1=1 src2=0
	v_mul_i32_i24_e32 v11, v33 /*v289*/, v105 /*v361*/
	s_set_vgpr_msb 0                        ;  msbs: dst=0 src0=0 src1=0 src2=0
	v_add3_u32 v1, v1, v71, v82
	s_set_vgpr_msb 21                       ;  msbs: dst=0 src0=1 src1=1 src2=1
	v_mul_i32_i24_e32 v52, v33 /*v289*/, v104 /*v360*/
	v_add3_u32 v53, v238 /*v494*/, v236 /*v492*/, v237 /*v493*/
	s_set_vgpr_msb 0                        ;  msbs: dst=0 src0=0 src1=0 src2=0
	v_add3_u32 v10, v10, v86, v92
	s_set_vgpr_msb 0x45                     ;  msbs: dst=1 src0=1 src1=1 src2=0
	v_mul_i32_i24_e32 v108 /*v364*/, v198 /*v454*/, v135 /*v391*/
	s_set_vgpr_msb 0                        ;  msbs: dst=0 src0=0 src1=0 src2=0
	v_add3_u32 v36, v1, v84, v133
	s_set_vgpr_msb 64                       ;  msbs: dst=1 src0=0 src1=0 src2=0
	v_bfe_i32 v102 /*v358*/, v3, 16, 8
	v_ashrrev_i32_e32 v103 /*v359*/, 24, v3
	s_set_vgpr_msb 0                        ;  msbs: dst=0 src0=0 src1=0 src2=0
	v_add3_u32 v9, v10, v9, v52
	v_add3_u32 v8, v53, v8, v11
	s_set_vgpr_msb 4                        ;  msbs: dst=0 src0=0 src1=1 src2=0
	v_mul_i32_i24_e32 v52, v12, v38 /*v294*/
	s_set_vgpr_msb 5                        ;  msbs: dst=0 src0=1 src1=1 src2=0
	v_mul_i32_i24_e32 v53, v160 /*v416*/, v38 /*v294*/
	v_mul_i32_i24_e32 v54, v37 /*v293*/, v102 /*v358*/
	s_set_vgpr_msb 1                        ;  msbs: dst=0 src0=1 src1=0 src2=0
	v_mul_i32_i24_e32 v55, v37 /*v293*/, v15
	s_set_vgpr_msb 5                        ;  msbs: dst=0 src0=1 src1=1 src2=0
	v_mul_i32_i24_e32 v56, v36 /*v292*/, v103 /*v359*/
	v_mul_i32_i24_e32 v58, v36 /*v292*/, v101 /*v357*/
	v_add3_u32 v53, v240 /*v496*/, v239 /*v495*/, v53
	s_set_vgpr_msb 4                        ;  msbs: dst=0 src0=0 src1=1 src2=0
	v_add3_u32 v36, v36, v108 /*v364*/, v52
	v_mul_lo_u32 v8, v8, v32 /*v288*/
	v_mul_lo_u32 v9, v9, v32 /*v288*/
	s_wait_dscnt 0x0
	v_dual_lshrrev_b32 v1, 16, v106 /*v362*/ :: v_dual_lshrrev_b32 v3, 16, v107 /*v363*/
	s_set_vgpr_msb 0                        ;  msbs: dst=0 src0=0 src1=0 src2=0
	v_add3_u32 v36, v36, v55, v58
	v_add3_u32 v52, v53, v54, v56
	s_set_vgpr_msb 1                        ;  msbs: dst=0 src0=1 src1=0 src2=0
	v_cvt_f32_f16_e64 v7, v106 /*v362*/
	s_set_vgpr_msb 4                        ;  msbs: dst=0 src0=0 src1=1 src2=0
	v_cvt_f32_f16_e32 v5, v1
	v_cvt_f32_f16_e32 v3, v3
	v_mul_lo_u32 v36, v36, v35 /*v291*/
	v_mul_lo_u32 v52, v52, v35 /*v291*/
	v_cvt_f32_f16_e32 v2, v2
	v_cvt_f32_i32_e32 v9, v9
	v_cvt_f32_i32_e32 v8, v8
	s_set_vgpr_msb 0                        ;  msbs: dst=0 src0=0 src1=0 src2=0
	v_pk_fma_f32 v[10:11], v[120:121], v[4:5], 0 op_sel_hi:[0,1,0]
	s_set_vgpr_msb 5                        ;  msbs: dst=0 src0=1 src1=1 src2=0
	v_cvt_f32_f16_e64 v1, v107 /*v363*/
	v_mul_i32_i24_e32 v53, v208 /*v464*/, v51 /*v307*/
	v_mul_i32_i24_e32 v54, v209 /*v465*/, v52 /*v308*/
	s_set_vgpr_msb 0                        ;  msbs: dst=0 src0=0 src1=0 src2=0
	v_pk_fma_f32 v[8:9], v[6:7], v[8:9], 0 op_sel_hi:[1,1,0]
	v_pk_fma_f32 v[10:11], v[122:123], v[2:3], v[10:11] op_sel_hi:[0,1,1]
	s_set_vgpr_msb 64                       ;  msbs: dst=1 src0=0 src1=0 src2=0
	v_cvt_f32_i32_e32 v33 /*v289*/, v36
	v_cvt_f32_i32_e32 v32 /*v288*/, v52
	s_set_vgpr_msb 5                        ;  msbs: dst=0 src0=1 src1=1 src2=0
	v_mul_i32_i24_e32 v36, v206 /*v462*/, v49 /*v305*/
	v_mul_i32_i24_e32 v52, v207 /*v463*/, v50 /*v306*/
	s_set_vgpr_msb 0                        ;  msbs: dst=0 src0=0 src1=0 src2=0
	v_pk_mul_f32 v[10:11], v[10:11], v[102:103]
	s_set_vgpr_msb 5                        ;  msbs: dst=0 src0=1 src1=1 src2=0
	v_mul_i32_i24_e32 v55, v210 /*v466*/, v53 /*v309*/
	s_set_vgpr_msb 4                        ;  msbs: dst=0 src0=0 src1=1 src2=0
	v_pk_fma_f32 v[8:9], v[0:1], v[32:33] /*v[288:289]*/, v[8:9]
	s_set_vgpr_msb 5                        ;  msbs: dst=0 src0=1 src1=1 src2=0
	v_mul_i32_i24_e32 v56, v211 /*v467*/, v54 /*v310*/
	v_mul_i32_i24_e32 v58, v212 /*v468*/, v55 /*v311*/
	;; [unrolled: 1-line block ×4, first 2 shown]
	s_set_vgpr_msb 0                        ;  msbs: dst=0 src0=0 src1=0 src2=0
	v_pk_fma_f32 v[8:9], v[8:9], v[94:95], v[10:11] neg_lo:[0,0,1] neg_hi:[0,0,1]
	s_set_vgpr_msb 5                        ;  msbs: dst=0 src0=1 src1=1 src2=0
	v_mul_i32_i24_e32 v10, v231 /*v487*/, v45 /*v301*/
	v_mul_i32_i24_e32 v11, v205 /*v461*/, v48 /*v304*/
	;; [unrolled: 1-line block ×4, first 2 shown]
	s_set_vgpr_msb 0                        ;  msbs: dst=0 src0=0 src1=0 src2=0
	v_pk_add_f32 v[22:23], v[22:23], v[8:9]
	s_set_vgpr_msb 5                        ;  msbs: dst=0 src0=1 src1=1 src2=0
	v_mul_i32_i24_e32 v8, v229 /*v485*/, v43 /*v299*/
	v_mul_i32_i24_e32 v9, v230 /*v486*/, v44 /*v300*/
	;; [unrolled: 1-line block ×5, first 2 shown]
	v_mad_i32_i24 v8, v202 /*v458*/, v42 /*v298*/, v8
	v_mul_i32_i24_e32 v71, v62 /*v318*/, v220 /*v476*/
	v_mul_i32_i24_e32 v82, v65 /*v321*/, v221 /*v477*/
	;; [unrolled: 1-line block ×4, first 2 shown]
	s_set_vgpr_msb 0                        ;  msbs: dst=0 src0=0 src1=0 src2=0
	v_add3_u32 v8, v8, v9, v10
	s_set_vgpr_msb 5                        ;  msbs: dst=0 src0=1 src1=1 src2=0
	v_mul_i32_i24_e32 v9, v203 /*v459*/, v46 /*v302*/
	v_mul_i32_i24_e32 v10, v204 /*v460*/, v47 /*v303*/
	;; [unrolled: 1-line block ×6, first 2 shown]
	s_set_vgpr_msb 0                        ;  msbs: dst=0 src0=0 src1=0 src2=0
	v_add3_u32 v8, v8, v9, v10
	s_set_vgpr_msb 5                        ;  msbs: dst=0 src0=1 src1=1 src2=0
	v_mul_i32_i24_e32 v9, v199 /*v455*/, v72 /*v328*/
	v_mul_i32_i24_e32 v10, v200 /*v456*/, v69 /*v325*/
	s_set_vgpr_msb 0x45                     ;  msbs: dst=1 src0=1 src1=1 src2=0
	v_mul_i32_i24_e32 v32 /*v288*/, v228 /*v484*/, v76 /*v332*/
	v_mul_i32_i24_e32 v33 /*v289*/, v99 /*v355*/, v196 /*v452*/
	s_set_vgpr_msb 0                        ;  msbs: dst=0 src0=0 src1=0 src2=0
	v_add3_u32 v8, v8, v11, v36
	s_set_vgpr_msb 5                        ;  msbs: dst=0 src0=1 src1=1 src2=0
	v_mul_i32_i24_e32 v11, v201 /*v457*/, v75 /*v331*/
	s_set_vgpr_msb 4                        ;  msbs: dst=0 src0=0 src1=1 src2=0
	v_mad_i32_i24 v9, v14, v71 /*v327*/, v9
	s_set_vgpr_msb 5                        ;  msbs: dst=0 src0=1 src1=1 src2=0
	v_mul_i32_i24_e32 v36, v176 /*v432*/, v73 /*v329*/
	s_set_vgpr_msb 0x45                     ;  msbs: dst=1 src0=1 src1=1 src2=0
	v_mul_i32_i24_e32 v34 /*v290*/, v98 /*v354*/, v197 /*v453*/
	s_set_vgpr_msb 0                        ;  msbs: dst=0 src0=0 src1=0 src2=0
	v_add3_u32 v8, v8, v52, v53
	s_set_vgpr_msb 5                        ;  msbs: dst=0 src0=1 src1=1 src2=0
	v_mul_i32_i24_e32 v52, v177 /*v433*/, v80 /*v336*/
	s_set_vgpr_msb 0                        ;  msbs: dst=0 src0=0 src1=0 src2=0
	v_add3_u32 v9, v9, v10, v11
	s_set_vgpr_msb 5                        ;  msbs: dst=0 src0=1 src1=1 src2=0
	v_mul_i32_i24_e32 v10, v174 /*v430*/, v77 /*v333*/
	v_mul_i32_i24_e32 v11, v175 /*v431*/, v78 /*v334*/
	s_set_vgpr_msb 0                        ;  msbs: dst=0 src0=0 src1=0 src2=0
	v_add3_u32 v8, v8, v54, v55
	s_set_vgpr_msb 5                        ;  msbs: dst=0 src0=1 src1=1 src2=0
	v_mul_i32_i24_e32 v53, v178 /*v434*/, v81 /*v337*/
	v_mul_i32_i24_e32 v54, v179 /*v435*/, v82 /*v338*/
	;; [unrolled: 1-line block ×3, first 2 shown]
	s_set_vgpr_msb 0                        ;  msbs: dst=0 src0=0 src1=0 src2=0
	v_add3_u32 v9, v9, v10, v11
	v_add3_u32 v8, v8, v56, v58
	s_set_vgpr_msb 5                        ;  msbs: dst=0 src0=1 src1=1 src2=0
	v_mul_i32_i24_e32 v56, v181 /*v437*/, v84 /*v340*/
	v_mul_i32_i24_e32 v58, v182 /*v438*/, v85 /*v341*/
	s_set_vgpr_msb 4                        ;  msbs: dst=0 src0=0 src1=1 src2=0
	v_mul_i32_i24_e32 v10, v13, v41 /*v297*/
	s_set_vgpr_msb 0                        ;  msbs: dst=0 src0=0 src1=0 src2=0
	v_add3_u32 v9, v9, v36, v52
	v_add3_u32 v8, v8, v60, v61
	s_set_vgpr_msb 5                        ;  msbs: dst=0 src0=1 src1=1 src2=0
	v_mul_i32_i24_e32 v60, v183 /*v439*/, v86 /*v342*/
	v_mul_i32_i24_e32 v61, v184 /*v440*/, v83 /*v339*/
	;; [unrolled: 1-line block ×3, first 2 shown]
	s_set_vgpr_msb 0                        ;  msbs: dst=0 src0=0 src1=0 src2=0
	v_add3_u32 v9, v9, v53, v54
	v_add3_u32 v8, v8, v62, v64
	s_set_vgpr_msb 5                        ;  msbs: dst=0 src0=1 src1=1 src2=0
	v_mul_i32_i24_e32 v62, v185 /*v441*/, v87 /*v343*/
	v_mul_i32_i24_e32 v64, v88 /*v344*/, v186 /*v442*/
	;; [unrolled: 1-line block ×3, first 2 shown]
	s_set_vgpr_msb 0                        ;  msbs: dst=0 src0=0 src1=0 src2=0
	v_add3_u32 v9, v9, v55, v56
	v_add3_u32 v8, v8, v66, v67
	s_set_vgpr_msb 21                       ;  msbs: dst=0 src0=1 src1=1 src2=1
	v_mul_i32_i24_e32 v66, v89 /*v345*/, v187 /*v443*/
	v_mul_i32_i24_e32 v67, v91 /*v347*/, v188 /*v444*/
	v_add3_u32 v52, v235 /*v491*/, v233 /*v489*/, v234 /*v490*/
	s_set_vgpr_msb 0                        ;  msbs: dst=0 src0=0 src1=0 src2=0
	v_add3_u32 v9, v9, v58, v60
	v_add3_u32 v8, v8, v69, v71
	s_set_vgpr_msb 5                        ;  msbs: dst=0 src0=1 src1=1 src2=0
	v_mul_i32_i24_e32 v69, v90 /*v346*/, v189 /*v445*/
	v_mul_i32_i24_e32 v71, v92 /*v348*/, v190 /*v446*/
	s_set_vgpr_msb 4                        ;  msbs: dst=0 src0=0 src1=1 src2=0
	v_mul_i32_i24_e32 v53, v157, v102 /*v358*/
	s_set_vgpr_msb 0                        ;  msbs: dst=0 src0=0 src1=0 src2=0
	v_add3_u32 v9, v9, v61, v62
	v_add3_u32 v8, v8, v82, v84
	s_set_vgpr_msb 5                        ;  msbs: dst=0 src0=1 src1=1 src2=0
	v_mul_i32_i24_e32 v82, v93 /*v349*/, v191 /*v447*/
	v_mul_i32_i24_e32 v84, v95 /*v351*/, v192 /*v448*/
	s_set_vgpr_msb 0                        ;  msbs: dst=0 src0=0 src1=0 src2=0
	v_mul_i32_i24_e32 v54, v157, v15
	v_add3_u32 v9, v9, v64, v66
	v_add3_u32 v8, v8, v86, v92
	s_set_vgpr_msb 5                        ;  msbs: dst=0 src0=1 src1=1 src2=0
	v_mul_i32_i24_e32 v86, v94 /*v350*/, v193 /*v449*/
	v_mul_i32_i24_e32 v92, v96 /*v352*/, v194 /*v450*/
	s_set_vgpr_msb 4                        ;  msbs: dst=0 src0=0 src1=1 src2=0
	v_mul_i32_i24_e32 v55, v119, v103 /*v359*/
	s_set_vgpr_msb 0                        ;  msbs: dst=0 src0=0 src1=0 src2=0
	v_add3_u32 v9, v9, v67, v69
	v_add3_u32 v8, v8, v120, v122
	s_set_vgpr_msb 5                        ;  msbs: dst=0 src0=1 src1=1 src2=0
	v_mul_i32_i24_e32 v122, v97 /*v353*/, v195 /*v451*/
	v_mul_i32_i24_e32 v120, v198 /*v454*/, v100 /*v356*/
	s_set_vgpr_msb 4                        ;  msbs: dst=0 src0=0 src1=1 src2=0
	v_mul_i32_i24_e32 v56, v119, v101 /*v357*/
	s_set_vgpr_msb 0                        ;  msbs: dst=0 src0=0 src1=0 src2=0
	v_add3_u32 v9, v9, v71, v82
	s_set_vgpr_msb 16                       ;  msbs: dst=0 src0=0 src1=0 src2=1
	v_add3_u32 v8, v8, v133, v32 /*v288*/
	s_set_vgpr_msb 1                        ;  msbs: dst=0 src0=1 src1=0 src2=0
	v_mul_i32_i24_e32 v58, v212 /*v468*/, v242
	v_mul_i32_i24_e32 v60, v213 /*v469*/, v243
	;; [unrolled: 1-line block ×3, first 2 shown]
	s_set_vgpr_msb 0                        ;  msbs: dst=0 src0=0 src1=0 src2=0
	v_add3_u32 v9, v9, v84, v86
	v_add3_u32 v8, v8, v10, v36
	v_mul_i32_i24_e32 v36, v12, v158
	s_set_vgpr_msb 1                        ;  msbs: dst=0 src0=1 src1=0 src2=0
	v_mul_i32_i24_e32 v62, v215 /*v471*/, v245
	v_mul_i32_i24_e32 v64, v216 /*v472*/, v246
	s_set_vgpr_msb 0                        ;  msbs: dst=0 src0=0 src1=0 src2=0
	v_add3_u32 v9, v9, v92, v122
	s_set_vgpr_msb 20                       ;  msbs: dst=0 src0=0 src1=1 src2=1
	v_mul_lo_u32 v8, v8, v39 /*v295*/
	v_mul_i32_i24_e32 v66, v248, v217 /*v473*/
	v_mul_i32_i24_e32 v67, v247, v218 /*v474*/
	;; [unrolled: 1-line block ×3, first 2 shown]
	v_add3_u32 v122, v9, v33 /*v289*/, v34 /*v290*/
	s_set_vgpr_msb 5                        ;  msbs: dst=0 src0=1 src1=1 src2=0
	v_mul_i32_i24_e32 v9, v163 /*v419*/, v41 /*v297*/
	s_set_vgpr_msb 4                        ;  msbs: dst=0 src0=0 src1=1 src2=0
	v_mul_i32_i24_e32 v71, v249, v220 /*v476*/
	v_mul_i32_i24_e32 v82, v252, v221 /*v477*/
	;; [unrolled: 1-line block ×3, first 2 shown]
	s_set_vgpr_msb 0                        ;  msbs: dst=0 src0=0 src1=0 src2=0
	v_add3_u32 v36, v122, v120, v36
	v_add3_u32 v9, v52, v9, v11
	s_set_vgpr_msb 1                        ;  msbs: dst=0 src0=1 src1=0 src2=0
	v_mul_i32_i24_e32 v52, v160 /*v416*/, v158
	s_set_vgpr_msb 4                        ;  msbs: dst=0 src0=0 src1=1 src2=0
	v_mul_i32_i24_e32 v86, v254, v223 /*v479*/
	v_mul_i32_i24_e32 v92, v253, v224 /*v480*/
	s_set_vgpr_msb 0                        ;  msbs: dst=0 src0=0 src1=0 src2=0
	v_add3_u32 v36, v36, v54, v56
	s_set_vgpr_msb 4                        ;  msbs: dst=0 src0=0 src1=1 src2=0
	v_mul_lo_u32 v10, v9, v39 /*v295*/
	s_set_vgpr_msb 5                        ;  msbs: dst=0 src0=1 src1=1 src2=0
	v_add3_u32 v52, v173 /*v429*/, v172 /*v428*/, v52
	s_set_vgpr_msb 0                        ;  msbs: dst=0 src0=0 src1=0 src2=0
	v_cvt_f32_i32_e32 v9, v8
	s_set_vgpr_msb 1                        ;  msbs: dst=0 src0=1 src1=0 src2=0
	v_mul_i32_i24_e32 v54, v209 /*v465*/, v239
	s_set_vgpr_msb 0                        ;  msbs: dst=0 src0=0 src1=0 src2=0
	v_mul_lo_u32 v36, v36, v159
	s_set_vgpr_msb 1                        ;  msbs: dst=0 src0=1 src1=0 src2=0
	v_mul_i32_i24_e32 v56, v211 /*v467*/, v241
	s_set_vgpr_msb 0                        ;  msbs: dst=0 src0=0 src1=0 src2=0
	v_add3_u32 v52, v52, v53, v55
	s_set_vgpr_msb 1                        ;  msbs: dst=0 src0=1 src1=0 src2=0
	v_mul_i32_i24_e32 v53, v208 /*v464*/, v238
	v_mul_i32_i24_e32 v55, v210 /*v466*/, v240
	s_set_vgpr_msb 5                        ;  msbs: dst=0 src0=1 src1=1 src2=0
	v_mul_i32_i24_e32 v120, v227 /*v483*/, v5 /*v261*/
	v_mul_i32_i24_e32 v122, v228 /*v484*/, v7 /*v263*/
	s_set_vgpr_msb 0                        ;  msbs: dst=0 src0=0 src1=0 src2=0
	v_mul_lo_u32 v52, v52, v159
	v_cvt_f32_i32_e32 v8, v10
	v_pk_fma_f32 v[10:11], v[124:125], v[4:5], 0 op_sel_hi:[0,1,0]
	s_set_vgpr_msb 5                        ;  msbs: dst=0 src0=1 src1=1 src2=0
	v_mul_i32_i24_e32 v124, v29 /*v285*/, v197 /*v453*/
	s_set_vgpr_msb 0                        ;  msbs: dst=0 src0=0 src1=0 src2=0
	v_cvt_f32_i32_e32 v159, v36
	s_set_vgpr_msb 1                        ;  msbs: dst=0 src0=1 src1=0 src2=0
	v_mul_i32_i24_e32 v36, v206 /*v462*/, v236
	s_set_vgpr_msb 0                        ;  msbs: dst=0 src0=0 src1=0 src2=0
	v_pk_fma_f32 v[8:9], v[6:7], v[8:9], 0 op_sel_hi:[1,1,0]
	v_pk_fma_f32 v[10:11], v[118:119], v[2:3], v[10:11] op_sel_hi:[0,1,1]
	s_set_vgpr_msb 5                        ;  msbs: dst=0 src0=1 src1=1 src2=0
	v_mul_i32_i24_e32 v118, v1 /*v257*/, v225 /*v481*/
	s_set_vgpr_msb 4                        ;  msbs: dst=0 src0=0 src1=1 src2=0
	v_mul_i32_i24_e32 v119, v255, v226 /*v482*/
	s_set_vgpr_msb 5                        ;  msbs: dst=0 src0=1 src1=1 src2=0
	v_mul_i32_i24_e32 v133, v198 /*v454*/, v31 /*v287*/
	s_set_vgpr_msb 0                        ;  msbs: dst=0 src0=0 src1=0 src2=0
	v_cvt_f32_i32_e32 v158, v52
	v_pk_mul_f32 v[10:11], v[10:11], v[104:105]
	s_set_vgpr_msb 1                        ;  msbs: dst=0 src0=1 src1=0 src2=0
	v_mul_i32_i24_e32 v52, v207 /*v463*/, v237
	s_set_vgpr_msb 0                        ;  msbs: dst=0 src0=0 src1=0 src2=0
	v_pk_fma_f32 v[8:9], v[0:1], v[158:159], v[8:9]
	s_delay_alu instid0(VALU_DEP_1)
	v_pk_fma_f32 v[8:9], v[8:9], v[96:97], v[10:11] neg_lo:[0,0,1] neg_hi:[0,0,1]
	s_set_vgpr_msb 1                        ;  msbs: dst=0 src0=1 src1=0 src2=0
	v_mul_i32_i24_e32 v10, v231 /*v487*/, v232
	v_mul_i32_i24_e32 v11, v205 /*v461*/, v235
	s_set_vgpr_msb 0                        ;  msbs: dst=0 src0=0 src1=0 src2=0
	v_pk_add_f32 v[20:21], v[20:21], v[8:9]
	s_set_vgpr_msb 1                        ;  msbs: dst=0 src0=1 src1=0 src2=0
	v_mul_i32_i24_e32 v8, v229 /*v485*/, v230
	v_mul_i32_i24_e32 v9, v230 /*v486*/, v231
	s_delay_alu instid0(VALU_DEP_2) | instskip(SKIP_1) | instid1(VALU_DEP_1)
	v_mad_i32_i24 v8, v202 /*v458*/, v229, v8
	s_set_vgpr_msb 0                        ;  msbs: dst=0 src0=0 src1=0 src2=0
	v_add3_u32 v8, v8, v9, v10
	s_set_vgpr_msb 1                        ;  msbs: dst=0 src0=1 src1=0 src2=0
	v_mul_i32_i24_e32 v9, v203 /*v459*/, v233
	v_mul_i32_i24_e32 v10, v204 /*v460*/, v234
	s_set_vgpr_msb 0                        ;  msbs: dst=0 src0=0 src1=0 src2=0
	s_delay_alu instid0(VALU_DEP_1)
	v_add3_u32 v8, v8, v9, v10
	s_set_vgpr_msb 5                        ;  msbs: dst=0 src0=1 src1=1 src2=0
	v_mul_i32_i24_e32 v9, v199 /*v455*/, v3 /*v259*/
	v_mul_i32_i24_e32 v10, v200 /*v456*/, v0 /*v256*/
	s_set_vgpr_msb 0                        ;  msbs: dst=0 src0=0 src1=0 src2=0
	v_add3_u32 v8, v8, v11, v36
	s_set_vgpr_msb 5                        ;  msbs: dst=0 src0=1 src1=1 src2=0
	v_mul_i32_i24_e32 v11, v201 /*v457*/, v6 /*v262*/
	s_set_vgpr_msb 4                        ;  msbs: dst=0 src0=0 src1=1 src2=0
	v_mad_i32_i24 v9, v14, v2 /*v258*/, v9
	s_set_vgpr_msb 5                        ;  msbs: dst=0 src0=1 src1=1 src2=0
	v_mul_i32_i24_e32 v36, v176 /*v432*/, v4 /*v260*/
	s_set_vgpr_msb 0                        ;  msbs: dst=0 src0=0 src1=0 src2=0
	v_add3_u32 v8, v8, v52, v53
	s_set_vgpr_msb 5                        ;  msbs: dst=0 src0=1 src1=1 src2=0
	v_mul_i32_i24_e32 v52, v177 /*v433*/, v11 /*v267*/
	s_set_vgpr_msb 0                        ;  msbs: dst=0 src0=0 src1=0 src2=0
	v_add3_u32 v9, v9, v10, v11
	s_set_vgpr_msb 5                        ;  msbs: dst=0 src0=1 src1=1 src2=0
	v_mul_i32_i24_e32 v10, v174 /*v430*/, v8 /*v264*/
	v_mul_i32_i24_e32 v11, v175 /*v431*/, v9 /*v265*/
	s_set_vgpr_msb 0                        ;  msbs: dst=0 src0=0 src1=0 src2=0
	v_add3_u32 v8, v8, v54, v55
	s_set_vgpr_msb 5                        ;  msbs: dst=0 src0=1 src1=1 src2=0
	v_mul_i32_i24_e32 v53, v178 /*v434*/, v12 /*v268*/
	v_mul_i32_i24_e32 v54, v179 /*v435*/, v13 /*v269*/
	v_mul_i32_i24_e32 v55, v180 /*v436*/, v10 /*v266*/
	s_set_vgpr_msb 0                        ;  msbs: dst=0 src0=0 src1=0 src2=0
	v_add3_u32 v9, v9, v10, v11
	v_add3_u32 v8, v8, v56, v58
	s_set_vgpr_msb 5                        ;  msbs: dst=0 src0=1 src1=1 src2=0
	v_mul_i32_i24_e32 v56, v181 /*v437*/, v15 /*v271*/
	v_mul_i32_i24_e32 v58, v182 /*v438*/, v16 /*v272*/
	s_set_vgpr_msb 0                        ;  msbs: dst=0 src0=0 src1=0 src2=0
	v_mul_i32_i24_e32 v10, v13, v228
	v_add3_u32 v9, v9, v36, v52
	v_add3_u32 v8, v8, v60, v61
	s_set_vgpr_msb 5                        ;  msbs: dst=0 src0=1 src1=1 src2=0
	v_mul_i32_i24_e32 v60, v183 /*v439*/, v17 /*v273*/
	v_mul_i32_i24_e32 v61, v184 /*v440*/, v14 /*v270*/
	s_set_vgpr_msb 4                        ;  msbs: dst=0 src0=0 src1=1 src2=0
	v_mul_i32_i24_e32 v11, v227, v105 /*v361*/
	s_set_vgpr_msb 0                        ;  msbs: dst=0 src0=0 src1=0 src2=0
	v_add3_u32 v9, v9, v53, v54
	v_add3_u32 v8, v8, v62, v64
	s_set_vgpr_msb 5                        ;  msbs: dst=0 src0=1 src1=1 src2=0
	v_mul_i32_i24_e32 v62, v185 /*v441*/, v18 /*v274*/
	v_mul_i32_i24_e32 v64, v19 /*v275*/, v186 /*v442*/
	s_set_vgpr_msb 4                        ;  msbs: dst=0 src0=0 src1=1 src2=0
	v_mul_i32_i24_e32 v52, v227, v104 /*v360*/
	s_set_vgpr_msb 0                        ;  msbs: dst=0 src0=0 src1=0 src2=0
	v_add3_u32 v9, v9, v55, v56
	v_add3_u32 v8, v8, v66, v67
	s_set_vgpr_msb 21                       ;  msbs: dst=0 src0=1 src1=1 src2=1
	v_mul_i32_i24_e32 v66, v20 /*v276*/, v187 /*v443*/
	v_mul_i32_i24_e32 v67, v22 /*v278*/, v188 /*v444*/
	v_add3_u32 v53, v171 /*v427*/, v169 /*v425*/, v170 /*v426*/
	s_set_vgpr_msb 0                        ;  msbs: dst=0 src0=0 src1=0 src2=0
	v_add3_u32 v9, v9, v58, v60
	v_add3_u32 v8, v8, v69, v71
	s_set_vgpr_msb 5                        ;  msbs: dst=0 src0=1 src1=1 src2=0
	v_mul_i32_i24_e32 v69, v21 /*v277*/, v189 /*v445*/
	v_mul_i32_i24_e32 v71, v23 /*v279*/, v190 /*v446*/
	s_set_vgpr_msb 4                        ;  msbs: dst=0 src0=0 src1=1 src2=0
	v_mul_i32_i24_e32 v54, v113, v102 /*v358*/
	s_set_vgpr_msb 0                        ;  msbs: dst=0 src0=0 src1=0 src2=0
	v_add3_u32 v9, v9, v61, v62
	v_add3_u32 v8, v8, v82, v84
	s_set_vgpr_msb 5                        ;  msbs: dst=0 src0=1 src1=1 src2=0
	v_mul_i32_i24_e32 v82, v24 /*v280*/, v191 /*v447*/
	v_mul_i32_i24_e32 v84, v26 /*v282*/, v192 /*v448*/
	s_set_vgpr_msb 0                        ;  msbs: dst=0 src0=0 src1=0 src2=0
	v_mul_i32_i24_e32 v55, v113, v15
	v_add3_u32 v9, v9, v64, v66
	v_add3_u32 v8, v8, v86, v92
	s_set_vgpr_msb 5                        ;  msbs: dst=0 src0=1 src1=1 src2=0
	v_mul_i32_i24_e32 v86, v25 /*v281*/, v193 /*v449*/
	v_mul_i32_i24_e32 v92, v27 /*v283*/, v194 /*v450*/
	s_set_vgpr_msb 4                        ;  msbs: dst=0 src0=0 src1=1 src2=0
	v_mul_i32_i24_e32 v56, v111, v103 /*v359*/
	s_set_vgpr_msb 0                        ;  msbs: dst=0 src0=0 src1=0 src2=0
	v_add3_u32 v9, v9, v67, v69
	v_add3_u32 v8, v8, v118, v119
	s_set_vgpr_msb 5                        ;  msbs: dst=0 src0=1 src1=1 src2=0
	v_mul_i32_i24_e32 v118, v28 /*v284*/, v195 /*v451*/
	v_mul_i32_i24_e32 v119, v30 /*v286*/, v196 /*v452*/
	s_set_vgpr_msb 4                        ;  msbs: dst=0 src0=0 src1=1 src2=0
	v_mul_i32_i24_e32 v58, v111, v101 /*v357*/
	s_set_vgpr_msb 0                        ;  msbs: dst=0 src0=0 src1=0 src2=0
	v_add3_u32 v9, v9, v71, v82
	v_add3_u32 v8, v8, v120, v122
	s_set_vgpr_msb 1                        ;  msbs: dst=0 src0=1 src1=0 src2=0
	v_mul_i32_i24_e32 v60, v213 /*v469*/, v181
	v_mul_i32_i24_e32 v61, v214 /*v470*/, v182
	v_mul_i32_i24_e32 v62, v215 /*v471*/, v183
	s_set_vgpr_msb 0                        ;  msbs: dst=0 src0=0 src1=0 src2=0
	v_add3_u32 v9, v9, v84, v86
	v_add3_u32 v8, v8, v10, v52
	v_mul_i32_i24_e32 v52, v12, v115
	s_set_vgpr_msb 1                        ;  msbs: dst=0 src0=1 src1=0 src2=0
	v_mul_i32_i24_e32 v64, v216 /*v472*/, v184
	s_set_vgpr_msb 4                        ;  msbs: dst=0 src0=0 src1=1 src2=0
	v_mul_i32_i24_e32 v66, v186, v217 /*v473*/
	s_set_vgpr_msb 0                        ;  msbs: dst=0 src0=0 src1=0 src2=0
	v_add3_u32 v9, v9, v92, v118
	v_mul_lo_u32 v8, v8, v226
	s_set_vgpr_msb 4                        ;  msbs: dst=0 src0=0 src1=1 src2=0
	v_mul_i32_i24_e32 v67, v185, v218 /*v474*/
	v_mul_i32_i24_e32 v69, v188, v219 /*v475*/
	;; [unrolled: 1-line block ×3, first 2 shown]
	s_set_vgpr_msb 0                        ;  msbs: dst=0 src0=0 src1=0 src2=0
	v_add3_u32 v36, v9, v119, v124
	s_set_vgpr_msb 1                        ;  msbs: dst=0 src0=1 src1=0 src2=0
	v_mul_i32_i24_e32 v9, v163 /*v419*/, v228
	s_set_vgpr_msb 4                        ;  msbs: dst=0 src0=0 src1=1 src2=0
	v_mul_i32_i24_e32 v82, v190, v221 /*v477*/
	v_mul_i32_i24_e32 v84, v189, v222 /*v478*/
	;; [unrolled: 1-line block ×3, first 2 shown]
	s_set_vgpr_msb 0                        ;  msbs: dst=0 src0=0 src1=0 src2=0
	v_add3_u32 v36, v36, v133, v52
	v_add3_u32 v9, v53, v9, v11
	s_set_vgpr_msb 1                        ;  msbs: dst=0 src0=1 src1=0 src2=0
	v_mul_i32_i24_e32 v53, v160 /*v416*/, v115
	s_set_vgpr_msb 4                        ;  msbs: dst=0 src0=0 src1=1 src2=0
	v_mul_i32_i24_e32 v92, v191, v224 /*v480*/
	s_set_vgpr_msb 1                        ;  msbs: dst=0 src0=1 src1=0 src2=0
	v_mul_i32_i24_e32 v115, v198 /*v454*/, v225
	s_set_vgpr_msb 0                        ;  msbs: dst=0 src0=0 src1=0 src2=0
	v_add3_u32 v36, v36, v55, v58
	v_mul_lo_u32 v10, v9, v226
	s_set_vgpr_msb 5                        ;  msbs: dst=0 src0=1 src1=1 src2=0
	v_add3_u32 v53, v168 /*v424*/, v167 /*v423*/, v53
	s_set_vgpr_msb 0                        ;  msbs: dst=0 src0=0 src1=0 src2=0
	v_cvt_f32_i32_e32 v9, v8
	s_set_vgpr_msb 1                        ;  msbs: dst=0 src0=1 src1=0 src2=0
	v_mul_i32_i24_e32 v55, v210 /*v466*/, v178
	s_set_vgpr_msb 0                        ;  msbs: dst=0 src0=0 src1=0 src2=0
	v_mul_lo_u32 v36, v36, v117
	s_set_vgpr_msb 1                        ;  msbs: dst=0 src0=1 src1=0 src2=0
	v_mul_i32_i24_e32 v58, v212 /*v468*/, v180
	s_set_vgpr_msb 0                        ;  msbs: dst=0 src0=0 src1=0 src2=0
	v_add3_u32 v52, v53, v54, v56
	s_set_vgpr_msb 1                        ;  msbs: dst=0 src0=1 src1=0 src2=0
	v_mul_i32_i24_e32 v53, v208 /*v464*/, v176
	v_mul_i32_i24_e32 v54, v209 /*v465*/, v177
	;; [unrolled: 1-line block ×3, first 2 shown]
	s_set_vgpr_msb 0                        ;  msbs: dst=0 src0=0 src1=0 src2=0
	v_mul_lo_u32 v52, v52, v117
	v_cvt_f32_i32_e32 v8, v10
	v_pk_fma_f32 v[10:11], v[110:111], v[4:5], 0 op_sel_hi:[0,1,0]
	v_pk_fma_f32 v[4:5], v[116:117], v[4:5], 0 op_sel_hi:[0,1,0]
	v_cvt_f32_i32_e32 v111, v36
	s_set_vgpr_msb 1                        ;  msbs: dst=0 src0=1 src1=0 src2=0
	v_mul_i32_i24_e32 v36, v206 /*v462*/, v174
	s_set_vgpr_msb 0                        ;  msbs: dst=0 src0=0 src1=0 src2=0
	v_pk_fma_f32 v[8:9], v[6:7], v[8:9], 0 op_sel_hi:[1,1,0]
	v_pk_fma_f32 v[10:11], v[112:113], v[2:3], v[10:11] op_sel_hi:[0,1,1]
	s_set_vgpr_msb 1                        ;  msbs: dst=0 src0=1 src1=0 src2=0
	v_mul_i32_i24_e32 v112, v227 /*v483*/, v199
	v_mul_i32_i24_e32 v113, v228 /*v484*/, v201
	s_set_vgpr_msb 0                        ;  msbs: dst=0 src0=0 src1=0 src2=0
	v_pk_fma_f32 v[2:3], v[114:115], v[2:3], v[4:5] op_sel_hi:[0,1,1]
	v_cvt_f32_i32_e32 v110, v52
	v_pk_mul_f32 v[10:11], v[10:11], v[106:107]
	s_set_vgpr_msb 1                        ;  msbs: dst=0 src0=1 src1=0 src2=0
	v_mul_i32_i24_e32 v52, v207 /*v463*/, v175
	s_set_vgpr_msb 0                        ;  msbs: dst=0 src0=0 src1=0 src2=0
	v_pk_mul_f32 v[2:3], v[2:3], v[108:109]
	v_pk_fma_f32 v[8:9], v[0:1], v[110:111], v[8:9]
	s_set_vgpr_msb 4                        ;  msbs: dst=0 src0=0 src1=1 src2=0
	v_mul_i32_i24_e32 v110, v195, v225 /*v481*/
	v_mul_i32_i24_e32 v111, v193, v226 /*v482*/
	s_set_vgpr_msb 0                        ;  msbs: dst=0 src0=0 src1=0 src2=0
	v_pk_fma_f32 v[8:9], v[8:9], v[98:99], v[10:11] neg_lo:[0,0,1] neg_hi:[0,0,1]
	s_set_vgpr_msb 1                        ;  msbs: dst=0 src0=1 src1=0 src2=0
	v_mul_i32_i24_e32 v10, v231 /*v487*/, v170
	v_mul_i32_i24_e32 v11, v205 /*v461*/, v173
	s_set_vgpr_msb 0                        ;  msbs: dst=0 src0=0 src1=0 src2=0
	v_pk_add_f32 v[18:19], v[18:19], v[8:9]
	s_set_vgpr_msb 1                        ;  msbs: dst=0 src0=1 src1=0 src2=0
	v_mul_i32_i24_e32 v8, v229 /*v485*/, v168
	v_mul_i32_i24_e32 v9, v230 /*v486*/, v169
	s_delay_alu instid0(VALU_DEP_2) | instskip(SKIP_1) | instid1(VALU_DEP_1)
	v_mad_i32_i24 v8, v202 /*v458*/, v167, v8
	s_set_vgpr_msb 0                        ;  msbs: dst=0 src0=0 src1=0 src2=0
	v_add3_u32 v8, v8, v9, v10
	s_set_vgpr_msb 1                        ;  msbs: dst=0 src0=1 src1=0 src2=0
	v_mul_i32_i24_e32 v9, v203 /*v459*/, v171
	v_mul_i32_i24_e32 v10, v204 /*v460*/, v172
	s_set_vgpr_msb 0                        ;  msbs: dst=0 src0=0 src1=0 src2=0
	s_delay_alu instid0(VALU_DEP_1)
	v_add3_u32 v8, v8, v9, v10
	s_set_vgpr_msb 1                        ;  msbs: dst=0 src0=1 src1=0 src2=0
	v_mul_i32_i24_e32 v9, v199 /*v455*/, v197
	v_mul_i32_i24_e32 v10, v200 /*v456*/, v194
	s_set_vgpr_msb 0                        ;  msbs: dst=0 src0=0 src1=0 src2=0
	v_add3_u32 v8, v8, v11, v36
	s_set_vgpr_msb 1                        ;  msbs: dst=0 src0=1 src1=0 src2=0
	v_mul_i32_i24_e32 v11, v201 /*v457*/, v200
	s_set_vgpr_msb 0                        ;  msbs: dst=0 src0=0 src1=0 src2=0
	v_mad_i32_i24 v9, v14, v196, v9
	s_set_vgpr_msb 1                        ;  msbs: dst=0 src0=1 src1=0 src2=0
	v_mul_i32_i24_e32 v14, v176 /*v432*/, v198
	v_mul_i32_i24_e32 v36, v177 /*v433*/, v205
	s_set_vgpr_msb 0                        ;  msbs: dst=0 src0=0 src1=0 src2=0
	v_add3_u32 v8, v8, v52, v53
	s_set_vgpr_msb 1                        ;  msbs: dst=0 src0=1 src1=0 src2=0
	v_mul_i32_i24_e32 v52, v178 /*v434*/, v206
	s_set_vgpr_msb 0                        ;  msbs: dst=0 src0=0 src1=0 src2=0
	v_add3_u32 v9, v9, v10, v11
	s_set_vgpr_msb 1                        ;  msbs: dst=0 src0=1 src1=0 src2=0
	v_mul_i32_i24_e32 v10, v174 /*v430*/, v202
	v_mul_i32_i24_e32 v11, v175 /*v431*/, v203
	;; [unrolled: 1-line block ×3, first 2 shown]
	s_set_vgpr_msb 0                        ;  msbs: dst=0 src0=0 src1=0 src2=0
	v_add3_u32 v8, v8, v54, v55
	s_set_vgpr_msb 1                        ;  msbs: dst=0 src0=1 src1=0 src2=0
	v_mul_i32_i24_e32 v54, v180 /*v436*/, v204
	v_mul_i32_i24_e32 v55, v181 /*v437*/, v209
	s_set_vgpr_msb 0                        ;  msbs: dst=0 src0=0 src1=0 src2=0
	v_add3_u32 v9, v9, v10, v11
	v_mul_i32_i24_e32 v11, v13, v166
	v_add3_u32 v8, v8, v56, v58
	s_set_vgpr_msb 1                        ;  msbs: dst=0 src0=1 src1=0 src2=0
	v_mul_i32_i24_e32 v56, v182 /*v438*/, v210
	v_mul_i32_i24_e32 v58, v183 /*v439*/, v211
	s_set_vgpr_msb 0                        ;  msbs: dst=0 src0=0 src1=0 src2=0
	v_add3_u32 v9, v9, v14, v36
	s_set_vgpr_msb 4                        ;  msbs: dst=0 src0=0 src1=1 src2=0
	v_mul_i32_i24_e32 v13, v165, v105 /*v361*/
	s_set_vgpr_msb 0                        ;  msbs: dst=0 src0=0 src1=0 src2=0
	v_add3_u32 v8, v8, v60, v61
	s_set_vgpr_msb 1                        ;  msbs: dst=0 src0=1 src1=0 src2=0
	v_mul_i32_i24_e32 v60, v184 /*v440*/, v208
	v_mul_i32_i24_e32 v61, v185 /*v441*/, v212
	s_set_vgpr_msb 0                        ;  msbs: dst=0 src0=0 src1=0 src2=0
	v_add3_u32 v9, v9, v52, v53
	s_set_vgpr_msb 4                        ;  msbs: dst=0 src0=0 src1=1 src2=0
	v_mul_i32_i24_e32 v14, v165, v104 /*v360*/
	s_set_vgpr_msb 0                        ;  msbs: dst=0 src0=0 src1=0 src2=0
	v_add3_u32 v8, v8, v62, v64
	s_set_vgpr_msb 4                        ;  msbs: dst=0 src0=0 src1=1 src2=0
	v_mul_i32_i24_e32 v62, v213, v186 /*v442*/
	v_mul_i32_i24_e32 v64, v214, v187 /*v443*/
	s_set_vgpr_msb 0                        ;  msbs: dst=0 src0=0 src1=0 src2=0
	v_add3_u32 v9, v9, v54, v55
	s_set_vgpr_msb 21                       ;  msbs: dst=0 src0=1 src1=1 src2=1
	v_add3_u32 v36, v166 /*v422*/, v164 /*v420*/, v165 /*v421*/
	s_set_vgpr_msb 0                        ;  msbs: dst=0 src0=0 src1=0 src2=0
	v_add3_u32 v8, v8, v66, v67
	s_set_vgpr_msb 4                        ;  msbs: dst=0 src0=0 src1=1 src2=0
	v_mul_i32_i24_e32 v66, v216, v188 /*v444*/
	v_mul_i32_i24_e32 v67, v215, v189 /*v445*/
	s_set_vgpr_msb 0                        ;  msbs: dst=0 src0=0 src1=0 src2=0
	v_add3_u32 v9, v9, v56, v58
	v_add3_u32 v8, v8, v69, v71
	s_set_vgpr_msb 4                        ;  msbs: dst=0 src0=0 src1=1 src2=0
	v_mul_i32_i24_e32 v69, v217, v190 /*v446*/
	v_mul_i32_i24_e32 v71, v218, v191 /*v447*/
	s_set_vgpr_msb 0                        ;  msbs: dst=0 src0=0 src1=0 src2=0
	v_add3_u32 v9, v9, v60, v61
	;; [unrolled: 6-line block ×5, first 2 shown]
	v_add3_u32 v8, v8, v112, v113
	s_delay_alu instid0(VALU_DEP_2) | instskip(NEXT) | instid1(VALU_DEP_2)
	v_add3_u32 v9, v9, v82, v84
	v_add3_u32 v8, v8, v11, v14
	s_set_vgpr_msb 4                        ;  msbs: dst=0 src0=0 src1=1 src2=0
	v_mul_i32_i24_e32 v14, v160, v101 /*v357*/
	s_set_vgpr_msb 0                        ;  msbs: dst=0 src0=0 src1=0 src2=0
	v_add3_u32 v9, v9, v86, v92
	v_mul_lo_u32 v8, v8, v164
	s_delay_alu instid0(VALU_DEP_2) | instskip(SKIP_3) | instid1(VALU_DEP_1)
	v_add3_u32 v10, v9, v110, v111
	s_set_vgpr_msb 1                        ;  msbs: dst=0 src0=1 src1=0 src2=0
	v_mul_i32_i24_e32 v9, v163 /*v419*/, v166
	s_set_vgpr_msb 0                        ;  msbs: dst=0 src0=0 src1=0 src2=0
	v_add3_u32 v9, v36, v9, v13
	s_set_vgpr_msb 4                        ;  msbs: dst=0 src0=0 src1=1 src2=0
	v_mul_i32_i24_e32 v13, v160, v103 /*v359*/
	s_set_vgpr_msb 0                        ;  msbs: dst=0 src0=0 src1=0 src2=0
	s_delay_alu instid0(VALU_DEP_2) | instskip(SKIP_1) | instid1(VALU_DEP_2)
	v_mul_lo_u32 v11, v9, v164
	v_cvt_f32_i32_e32 v9, v8
	v_cvt_f32_i32_e32 v8, v11
	s_set_vgpr_msb 4                        ;  msbs: dst=0 src0=0 src1=1 src2=0
	v_mul_i32_i24_e32 v11, v161, v102 /*v358*/
	s_set_vgpr_msb 0                        ;  msbs: dst=0 src0=0 src1=0 src2=0
	s_delay_alu instid0(VALU_DEP_2)
	v_pk_fma_f32 v[6:7], v[6:7], v[8:9], 0 op_sel_hi:[1,1,0]
	v_mul_i32_i24_e32 v8, v12, v162
	s_set_vgpr_msb 1                        ;  msbs: dst=0 src0=1 src1=0 src2=0
	v_mul_i32_i24_e32 v9, v160 /*v416*/, v162
	s_set_vgpr_msb 0                        ;  msbs: dst=0 src0=0 src1=0 src2=0
	v_mul_i32_i24_e32 v12, v161, v15
	v_add3_u32 v8, v10, v115, v8
	s_set_vgpr_msb 5                        ;  msbs: dst=0 src0=1 src1=1 src2=0
	v_add3_u32 v9, v162 /*v418*/, v161 /*v417*/, v9
	s_set_vgpr_msb 0                        ;  msbs: dst=0 src0=0 src1=0 src2=0
	s_delay_alu instid0(VALU_DEP_2) | instskip(NEXT) | instid1(VALU_DEP_2)
	v_add3_u32 v8, v8, v12, v14
	v_add3_u32 v9, v9, v11, v13
	s_delay_alu instid0(VALU_DEP_2) | instskip(NEXT) | instid1(VALU_DEP_2)
	v_mul_lo_u32 v8, v8, v163
	v_mul_lo_u32 v10, v9, v163
	s_delay_alu instid0(VALU_DEP_2) | instskip(NEXT) | instid1(VALU_DEP_2)
	v_cvt_f32_i32_e32 v9, v8
	v_cvt_f32_i32_e32 v8, v10
	s_delay_alu instid0(VALU_DEP_1) | instskip(NEXT) | instid1(VALU_DEP_1)
	v_pk_fma_f32 v[0:1], v[0:1], v[8:9], v[6:7]
	v_pk_fma_f32 v[0:1], v[0:1], v[100:101], v[2:3] neg_lo:[0,0,1] neg_hi:[0,0,1]
	s_delay_alu instid0(VALU_DEP_1)
	v_pk_add_f32 v[16:17], v[16:17], v[0:1]
	s_cbranch_scc1 .LBB131_8
; %bb.9:                                ;   in Loop: Header=BB131_5 Depth=1
	s_add_co_i32 s10, s10, 1
	s_delay_alu instid0(SALU_CYCLE_1)
	s_cmp_eq_u32 s10, s15
	s_barrier_signal -1
	s_barrier_wait -1
	s_cbranch_scc0 .LBB131_5
; %bb.10:
	s_clause 0x1
	scratch_load_b32 v2, off, off offset:124 th:TH_LOAD_LU
	scratch_load_b32 v3, off, off offset:128
	v_mov_b32_e32 v1, v37
.LBB131_11:
	s_wait_xcnt 0x0
	s_mov_b32 s0, exec_lo
	s_wait_loadcnt 0x0
	v_cmpx_gt_u32_e64 s4, v3
	s_cbranch_execz .LBB131_62
; %bb.12:
	v_mul_lo_u32 v5, v3, s6
	v_add_nc_u32_e32 v0, s14, v2
	s_delay_alu instid0(VALU_DEP_1)
	v_cmp_gt_u32_e32 vcc_lo, s6, v0
	s_and_saveexec_b32 s0, vcc_lo
	s_cbranch_execz .LBB131_14
; %bb.13:
	s_delay_alu instid0(VALU_DEP_3)
	v_add_nc_u32_e32 v2, v0, v5
	s_wait_kmcnt 0x0
	global_store_b32 v2, v50, s[8:9] scale_offset
.LBB131_14:
	s_wait_xcnt 0x0
	s_or_b32 exec_lo, exec_lo, s0
	v_add_nc_u32_e32 v2, 32, v0
	s_delay_alu instid0(VALU_DEP_1)
	v_cmp_gt_u32_e64 s0, s6, v2
	s_and_saveexec_b32 s1, s0
	s_cbranch_execz .LBB131_16
; %bb.15:
	v_add_nc_u32_e32 v3, v2, v5
	s_wait_kmcnt 0x0
	global_store_b32 v3, v48, s[8:9] scale_offset
.LBB131_16:
	s_wait_xcnt 0x0
	s_or_b32 exec_lo, exec_lo, s1
	v_add_nc_u32_e32 v3, 64, v0
	s_delay_alu instid0(VALU_DEP_1)
	v_cmp_gt_u32_e64 s1, s6, v3
	s_and_saveexec_b32 s2, s1
	s_cbranch_execz .LBB131_18
; %bb.17:
	v_add_nc_u32_e32 v4, v3, v5
	s_wait_kmcnt 0x0
	global_store_b32 v4, v46, s[8:9] scale_offset
.LBB131_18:
	;; [unrolled: 12-line block ×3, first 2 shown]
	s_wait_xcnt 0x0
	s_or_b32 exec_lo, exec_lo, s3
	v_add3_u32 v5, v1, s7, 8
	s_delay_alu instid0(VALU_DEP_1)
	v_cmp_gt_u32_e64 s3, s4, v5
	s_and_b32 exec_lo, exec_lo, s3
	s_cbranch_execz .LBB131_62
; %bb.21:
	v_mul_lo_u32 v5, v5, s6
	s_and_saveexec_b32 s3, vcc_lo
	s_cbranch_execnz .LBB131_63
; %bb.22:
	s_or_b32 exec_lo, exec_lo, s3
	s_and_saveexec_b32 s3, s0
	s_cbranch_execnz .LBB131_64
.LBB131_23:
	s_or_b32 exec_lo, exec_lo, s3
	s_and_saveexec_b32 s3, s1
	s_cbranch_execnz .LBB131_65
.LBB131_24:
	s_or_b32 exec_lo, exec_lo, s3
	s_and_saveexec_b32 s3, s2
	s_cbranch_execz .LBB131_26
.LBB131_25:
	v_add_nc_u32_e32 v5, v5, v4
	s_wait_kmcnt 0x0
	global_store_b32 v5, v45, s[8:9] scale_offset
.LBB131_26:
	s_wait_xcnt 0x0
	s_or_b32 exec_lo, exec_lo, s3
	v_add3_u32 v5, v1, s7, 16
	s_delay_alu instid0(VALU_DEP_1)
	v_cmp_gt_u32_e64 s3, s4, v5
	s_and_b32 exec_lo, exec_lo, s3
	s_cbranch_execz .LBB131_62
; %bb.27:
	v_mul_lo_u32 v5, v5, s6
	s_and_saveexec_b32 s3, vcc_lo
	s_cbranch_execnz .LBB131_66
; %bb.28:
	s_or_b32 exec_lo, exec_lo, s3
	s_and_saveexec_b32 s3, s0
	s_cbranch_execnz .LBB131_67
.LBB131_29:
	s_or_b32 exec_lo, exec_lo, s3
	s_and_saveexec_b32 s3, s1
	s_cbranch_execnz .LBB131_68
.LBB131_30:
	s_or_b32 exec_lo, exec_lo, s3
	s_and_saveexec_b32 s3, s2
	s_cbranch_execz .LBB131_32
.LBB131_31:
	v_add_nc_u32_e32 v5, v5, v4
	s_wait_kmcnt 0x0
	global_store_b32 v5, v32, s[8:9] scale_offset
.LBB131_32:
	s_wait_xcnt 0x0
	s_or_b32 exec_lo, exec_lo, s3
	v_add3_u32 v5, v1, s7, 24
	s_delay_alu instid0(VALU_DEP_1)
	v_cmp_gt_u32_e64 s3, s4, v5
	s_and_b32 exec_lo, exec_lo, s3
	s_cbranch_execz .LBB131_62
; %bb.33:
	v_mul_lo_u32 v5, v5, s6
	s_and_saveexec_b32 s3, vcc_lo
	s_cbranch_execnz .LBB131_69
; %bb.34:
	s_or_b32 exec_lo, exec_lo, s3
	s_and_saveexec_b32 s3, s0
	s_cbranch_execnz .LBB131_70
.LBB131_35:
	s_or_b32 exec_lo, exec_lo, s3
	s_and_saveexec_b32 s3, s1
	s_cbranch_execnz .LBB131_71
.LBB131_36:
	s_or_b32 exec_lo, exec_lo, s3
	s_and_saveexec_b32 s3, s2
	s_cbranch_execz .LBB131_38
.LBB131_37:
	v_add_nc_u32_e32 v5, v5, v4
	s_wait_kmcnt 0x0
	global_store_b32 v5, v33, s[8:9] scale_offset
.LBB131_38:
	s_wait_xcnt 0x0
	s_or_b32 exec_lo, exec_lo, s3
	v_add3_u32 v5, v1, s7, 32
	s_delay_alu instid0(VALU_DEP_1)
	v_cmp_gt_u32_e64 s3, s4, v5
	s_and_b32 exec_lo, exec_lo, s3
	s_cbranch_execz .LBB131_62
; %bb.39:
	v_mul_lo_u32 v5, v5, s6
	s_and_saveexec_b32 s3, vcc_lo
	s_cbranch_execnz .LBB131_72
; %bb.40:
	s_or_b32 exec_lo, exec_lo, s3
	s_and_saveexec_b32 s3, s0
	s_cbranch_execnz .LBB131_73
.LBB131_41:
	s_or_b32 exec_lo, exec_lo, s3
	s_and_saveexec_b32 s3, s1
	s_cbranch_execnz .LBB131_74
.LBB131_42:
	s_or_b32 exec_lo, exec_lo, s3
	s_and_saveexec_b32 s3, s2
	s_cbranch_execz .LBB131_44
.LBB131_43:
	v_add_nc_u32_e32 v5, v5, v4
	s_wait_kmcnt 0x0
	global_store_b32 v5, v24, s[8:9] scale_offset
.LBB131_44:
	s_wait_xcnt 0x0
	s_or_b32 exec_lo, exec_lo, s3
	v_add3_u32 v5, v1, s7, 40
	s_delay_alu instid0(VALU_DEP_1)
	v_cmp_gt_u32_e64 s3, s4, v5
	s_and_b32 exec_lo, exec_lo, s3
	s_cbranch_execz .LBB131_62
; %bb.45:
	v_mul_lo_u32 v5, v5, s6
	s_and_saveexec_b32 s3, vcc_lo
	s_cbranch_execnz .LBB131_75
; %bb.46:
	s_or_b32 exec_lo, exec_lo, s3
	s_and_saveexec_b32 s3, s0
	s_cbranch_execnz .LBB131_76
.LBB131_47:
	s_or_b32 exec_lo, exec_lo, s3
	s_and_saveexec_b32 s3, s1
	s_cbranch_execnz .LBB131_77
.LBB131_48:
	s_or_b32 exec_lo, exec_lo, s3
	s_and_saveexec_b32 s3, s2
	s_cbranch_execz .LBB131_50
.LBB131_49:
	v_add_nc_u32_e32 v5, v5, v4
	s_wait_kmcnt 0x0
	global_store_b32 v5, v25, s[8:9] scale_offset
.LBB131_50:
	s_wait_xcnt 0x0
	s_or_b32 exec_lo, exec_lo, s3
	v_add3_u32 v5, v1, s7, 48
	s_delay_alu instid0(VALU_DEP_1)
	v_cmp_gt_u32_e64 s3, s4, v5
	s_and_b32 exec_lo, exec_lo, s3
	s_cbranch_execz .LBB131_62
; %bb.51:
	v_mul_lo_u32 v5, v5, s6
	s_and_saveexec_b32 s3, vcc_lo
	s_cbranch_execnz .LBB131_78
; %bb.52:
	s_or_b32 exec_lo, exec_lo, s3
	s_and_saveexec_b32 s3, s0
	s_cbranch_execnz .LBB131_79
.LBB131_53:
	s_or_b32 exec_lo, exec_lo, s3
	s_and_saveexec_b32 s3, s1
	s_cbranch_execnz .LBB131_80
.LBB131_54:
	s_or_b32 exec_lo, exec_lo, s3
	s_and_saveexec_b32 s3, s2
	s_cbranch_execz .LBB131_56
.LBB131_55:
	v_add_nc_u32_e32 v5, v5, v4
	s_wait_kmcnt 0x0
	global_store_b32 v5, v16, s[8:9] scale_offset
.LBB131_56:
	s_wait_xcnt 0x0
	s_or_b32 exec_lo, exec_lo, s3
	v_add3_u32 v1, v1, s7, 56
	s_delay_alu instid0(VALU_DEP_1)
	v_cmp_gt_u32_e64 s3, s4, v1
	s_and_b32 exec_lo, exec_lo, s3
	s_cbranch_execz .LBB131_62
; %bb.57:
	v_mul_lo_u32 v1, v1, s6
	s_and_saveexec_b32 s3, vcc_lo
	s_cbranch_execnz .LBB131_81
; %bb.58:
	s_or_b32 exec_lo, exec_lo, s3
	s_and_saveexec_b32 s3, s0
	s_cbranch_execnz .LBB131_82
.LBB131_59:
	s_or_b32 exec_lo, exec_lo, s3
	s_and_saveexec_b32 s0, s1
	s_cbranch_execnz .LBB131_83
.LBB131_60:
	s_or_b32 exec_lo, exec_lo, s0
	s_delay_alu instid0(SALU_CYCLE_1)
	s_and_b32 exec_lo, exec_lo, s2
	s_cbranch_execz .LBB131_62
.LBB131_61:
	v_add_nc_u32_e32 v0, v1, v4
	s_wait_kmcnt 0x0
	global_store_b32 v0, v17, s[8:9] scale_offset
.LBB131_62:
	s_sendmsg sendmsg(MSG_DEALLOC_VGPRS)
	s_endpgm
.LBB131_63:
	s_delay_alu instid0(VALU_DEP_1)
	v_add_nc_u32_e32 v6, v5, v0
	s_wait_kmcnt 0x0
	global_store_b32 v6, v51, s[8:9] scale_offset
	s_wait_xcnt 0x0
	s_or_b32 exec_lo, exec_lo, s3
	s_and_saveexec_b32 s3, s0
	s_cbranch_execz .LBB131_23
.LBB131_64:
	s_delay_alu instid0(VALU_DEP_1)
	v_add_nc_u32_e32 v6, v5, v2
	s_wait_kmcnt 0x0
	global_store_b32 v6, v49, s[8:9] scale_offset
	s_wait_xcnt 0x0
	s_or_b32 exec_lo, exec_lo, s3
	s_and_saveexec_b32 s3, s1
	s_cbranch_execz .LBB131_24
.LBB131_65:
	s_delay_alu instid0(VALU_DEP_1)
	v_add_nc_u32_e32 v6, v5, v3
	s_wait_kmcnt 0x0
	global_store_b32 v6, v47, s[8:9] scale_offset
	s_wait_xcnt 0x0
	s_or_b32 exec_lo, exec_lo, s3
	s_and_saveexec_b32 s3, s2
	s_cbranch_execnz .LBB131_25
	s_branch .LBB131_26
.LBB131_66:
	s_delay_alu instid0(VALU_DEP_1)
	v_add_nc_u32_e32 v6, v5, v0
	s_wait_kmcnt 0x0
	global_store_b32 v6, v42, s[8:9] scale_offset
	s_wait_xcnt 0x0
	s_or_b32 exec_lo, exec_lo, s3
	s_and_saveexec_b32 s3, s0
	s_cbranch_execz .LBB131_29
.LBB131_67:
	s_delay_alu instid0(VALU_DEP_1)
	v_add_nc_u32_e32 v6, v5, v2
	s_wait_kmcnt 0x0
	global_store_b32 v6, v38, s[8:9] scale_offset
	s_wait_xcnt 0x0
	s_or_b32 exec_lo, exec_lo, s3
	s_and_saveexec_b32 s3, s1
	s_cbranch_execz .LBB131_30
.LBB131_68:
	s_delay_alu instid0(VALU_DEP_1)
	v_add_nc_u32_e32 v6, v5, v3
	s_wait_kmcnt 0x0
	global_store_b32 v6, v34, s[8:9] scale_offset
	s_wait_xcnt 0x0
	s_or_b32 exec_lo, exec_lo, s3
	s_and_saveexec_b32 s3, s2
	s_cbranch_execnz .LBB131_31
	s_branch .LBB131_32
.LBB131_69:
	s_delay_alu instid0(VALU_DEP_1)
	v_add_nc_u32_e32 v6, v5, v0
	s_wait_kmcnt 0x0
	global_store_b32 v6, v43, s[8:9] scale_offset
	s_wait_xcnt 0x0
	s_or_b32 exec_lo, exec_lo, s3
	s_and_saveexec_b32 s3, s0
	s_cbranch_execz .LBB131_35
.LBB131_70:
	s_delay_alu instid0(VALU_DEP_1)
	v_add_nc_u32_e32 v6, v5, v2
	s_wait_kmcnt 0x0
	global_store_b32 v6, v39, s[8:9] scale_offset
	s_wait_xcnt 0x0
	s_or_b32 exec_lo, exec_lo, s3
	s_and_saveexec_b32 s3, s1
	s_cbranch_execz .LBB131_36
.LBB131_71:
	s_delay_alu instid0(VALU_DEP_1)
	v_add_nc_u32_e32 v6, v5, v3
	s_wait_kmcnt 0x0
	global_store_b32 v6, v35, s[8:9] scale_offset
	s_wait_xcnt 0x0
	s_or_b32 exec_lo, exec_lo, s3
	s_and_saveexec_b32 s3, s2
	s_cbranch_execnz .LBB131_37
	s_branch .LBB131_38
.LBB131_72:
	s_delay_alu instid0(VALU_DEP_1)
	v_add_nc_u32_e32 v6, v5, v0
	s_wait_kmcnt 0x0
	global_store_b32 v6, v30, s[8:9] scale_offset
	s_wait_xcnt 0x0
	s_or_b32 exec_lo, exec_lo, s3
	s_and_saveexec_b32 s3, s0
	s_cbranch_execz .LBB131_41
.LBB131_73:
	s_delay_alu instid0(VALU_DEP_1)
	v_add_nc_u32_e32 v6, v5, v2
	s_wait_kmcnt 0x0
	global_store_b32 v6, v28, s[8:9] scale_offset
	s_wait_xcnt 0x0
	s_or_b32 exec_lo, exec_lo, s3
	s_and_saveexec_b32 s3, s1
	s_cbranch_execz .LBB131_42
.LBB131_74:
	s_delay_alu instid0(VALU_DEP_1)
	v_add_nc_u32_e32 v6, v5, v3
	s_wait_kmcnt 0x0
	global_store_b32 v6, v26, s[8:9] scale_offset
	s_wait_xcnt 0x0
	s_or_b32 exec_lo, exec_lo, s3
	s_and_saveexec_b32 s3, s2
	s_cbranch_execnz .LBB131_43
	s_branch .LBB131_44
.LBB131_75:
	s_delay_alu instid0(VALU_DEP_1)
	v_add_nc_u32_e32 v6, v5, v0
	s_wait_kmcnt 0x0
	global_store_b32 v6, v31, s[8:9] scale_offset
	s_wait_xcnt 0x0
	s_or_b32 exec_lo, exec_lo, s3
	s_and_saveexec_b32 s3, s0
	s_cbranch_execz .LBB131_47
.LBB131_76:
	s_delay_alu instid0(VALU_DEP_1)
	v_add_nc_u32_e32 v6, v5, v2
	s_wait_kmcnt 0x0
	global_store_b32 v6, v29, s[8:9] scale_offset
	s_wait_xcnt 0x0
	s_or_b32 exec_lo, exec_lo, s3
	s_and_saveexec_b32 s3, s1
	s_cbranch_execz .LBB131_48
.LBB131_77:
	s_delay_alu instid0(VALU_DEP_1)
	v_add_nc_u32_e32 v6, v5, v3
	s_wait_kmcnt 0x0
	global_store_b32 v6, v27, s[8:9] scale_offset
	s_wait_xcnt 0x0
	s_or_b32 exec_lo, exec_lo, s3
	s_and_saveexec_b32 s3, s2
	s_cbranch_execnz .LBB131_49
	s_branch .LBB131_50
.LBB131_78:
	s_delay_alu instid0(VALU_DEP_1)
	v_add_nc_u32_e32 v6, v5, v0
	s_wait_kmcnt 0x0
	global_store_b32 v6, v22, s[8:9] scale_offset
	s_wait_xcnt 0x0
	s_or_b32 exec_lo, exec_lo, s3
	s_and_saveexec_b32 s3, s0
	s_cbranch_execz .LBB131_53
.LBB131_79:
	s_delay_alu instid0(VALU_DEP_1)
	v_add_nc_u32_e32 v6, v5, v2
	s_wait_kmcnt 0x0
	global_store_b32 v6, v20, s[8:9] scale_offset
	s_wait_xcnt 0x0
	s_or_b32 exec_lo, exec_lo, s3
	s_and_saveexec_b32 s3, s1
	s_cbranch_execz .LBB131_54
.LBB131_80:
	s_delay_alu instid0(VALU_DEP_1)
	v_add_nc_u32_e32 v6, v5, v3
	s_wait_kmcnt 0x0
	global_store_b32 v6, v18, s[8:9] scale_offset
	s_wait_xcnt 0x0
	s_or_b32 exec_lo, exec_lo, s3
	s_and_saveexec_b32 s3, s2
	s_cbranch_execnz .LBB131_55
	s_branch .LBB131_56
.LBB131_81:
	s_delay_alu instid0(VALU_DEP_1)
	v_add_nc_u32_e32 v0, v1, v0
	s_wait_kmcnt 0x0
	global_store_b32 v0, v23, s[8:9] scale_offset
	s_wait_xcnt 0x0
	s_or_b32 exec_lo, exec_lo, s3
	s_and_saveexec_b32 s3, s0
	s_cbranch_execz .LBB131_59
.LBB131_82:
	s_delay_alu instid0(VALU_DEP_1)
	v_add_nc_u32_e32 v0, v1, v2
	s_wait_kmcnt 0x0
	global_store_b32 v0, v21, s[8:9] scale_offset
	s_wait_xcnt 0x0
	s_or_b32 exec_lo, exec_lo, s3
	s_and_saveexec_b32 s0, s1
	s_cbranch_execz .LBB131_60
.LBB131_83:
	s_delay_alu instid0(VALU_DEP_1) | instskip(SKIP_4) | instid1(SALU_CYCLE_1)
	v_add_nc_u32_e32 v0, v1, v3
	s_wait_kmcnt 0x0
	global_store_b32 v0, v19, s[8:9] scale_offset
	s_wait_xcnt 0x0
	s_or_b32 exec_lo, exec_lo, s0
	s_and_b32 exec_lo, exec_lo, s2
	s_cbranch_execnz .LBB131_61
	s_branch .LBB131_62
	.section	.rodata,"a",@progbits
	.p2align	6, 0x0
	.amdhsa_kernel _ZL12mul_mat_q4_KIfLb0EEvPKvS1_PT_iiiii
		.amdhsa_group_segment_fixed_size 28752
		.amdhsa_private_segment_fixed_size 136
		.amdhsa_kernarg_size 44
		.amdhsa_user_sgpr_count 2
		.amdhsa_user_sgpr_dispatch_ptr 0
		.amdhsa_user_sgpr_queue_ptr 0
		.amdhsa_user_sgpr_kernarg_segment_ptr 1
		.amdhsa_user_sgpr_dispatch_id 0
		.amdhsa_user_sgpr_kernarg_preload_length 0
		.amdhsa_user_sgpr_kernarg_preload_offset 0
		.amdhsa_user_sgpr_private_segment_size 0
		.amdhsa_wavefront_size32 1
		.amdhsa_uses_dynamic_stack 0
		.amdhsa_enable_private_segment 1
		.amdhsa_system_sgpr_workgroup_id_x 1
		.amdhsa_system_sgpr_workgroup_id_y 1
		.amdhsa_system_sgpr_workgroup_id_z 0
		.amdhsa_system_sgpr_workgroup_info 0
		.amdhsa_system_vgpr_workitem_id 1
		.amdhsa_next_free_vgpr 512
		.amdhsa_next_free_sgpr 19
		.amdhsa_named_barrier_count 0
		.amdhsa_reserve_vcc 1
		.amdhsa_float_round_mode_32 0
		.amdhsa_float_round_mode_16_64 0
		.amdhsa_float_denorm_mode_32 3
		.amdhsa_float_denorm_mode_16_64 3
		.amdhsa_fp16_overflow 0
		.amdhsa_memory_ordered 1
		.amdhsa_forward_progress 1
		.amdhsa_inst_pref_size 255
		.amdhsa_round_robin_scheduling 0
		.amdhsa_exception_fp_ieee_invalid_op 0
		.amdhsa_exception_fp_denorm_src 0
		.amdhsa_exception_fp_ieee_div_zero 0
		.amdhsa_exception_fp_ieee_overflow 0
		.amdhsa_exception_fp_ieee_underflow 0
		.amdhsa_exception_fp_ieee_inexact 0
		.amdhsa_exception_int_div_zero 0
	.end_amdhsa_kernel
	.section	.text._ZL12mul_mat_q4_KIfLb0EEvPKvS1_PT_iiiii,"axG",@progbits,_ZL12mul_mat_q4_KIfLb0EEvPKvS1_PT_iiiii,comdat
.Lfunc_end131:
	.size	_ZL12mul_mat_q4_KIfLb0EEvPKvS1_PT_iiiii, .Lfunc_end131-_ZL12mul_mat_q4_KIfLb0EEvPKvS1_PT_iiiii
                                        ; -- End function
	.set _ZL12mul_mat_q4_KIfLb0EEvPKvS1_PT_iiiii.num_vgpr, 512
	.set _ZL12mul_mat_q4_KIfLb0EEvPKvS1_PT_iiiii.num_agpr, 0
	.set _ZL12mul_mat_q4_KIfLb0EEvPKvS1_PT_iiiii.numbered_sgpr, 19
	.set _ZL12mul_mat_q4_KIfLb0EEvPKvS1_PT_iiiii.num_named_barrier, 0
	.set _ZL12mul_mat_q4_KIfLb0EEvPKvS1_PT_iiiii.private_seg_size, 136
	.set _ZL12mul_mat_q4_KIfLb0EEvPKvS1_PT_iiiii.uses_vcc, 1
	.set _ZL12mul_mat_q4_KIfLb0EEvPKvS1_PT_iiiii.uses_flat_scratch, 1
	.set _ZL12mul_mat_q4_KIfLb0EEvPKvS1_PT_iiiii.has_dyn_sized_stack, 0
	.set _ZL12mul_mat_q4_KIfLb0EEvPKvS1_PT_iiiii.has_recursion, 0
	.set _ZL12mul_mat_q4_KIfLb0EEvPKvS1_PT_iiiii.has_indirect_call, 0
	.section	.AMDGPU.csdata,"",@progbits
; Kernel info:
; codeLenInByte = 74692
; TotalNumSgprs: 21
; NumVgprs: 512
; ScratchSize: 136
; MemoryBound: 0
; FloatMode: 240
; IeeeMode: 1
; LDSByteSize: 28752 bytes/workgroup (compile time only)
; SGPRBlocks: 0
; VGPRBlocks: 31
; NumSGPRsForWavesPerEU: 21
; NumVGPRsForWavesPerEU: 512
; NamedBarCnt: 0
; Occupancy: 2
; WaveLimiterHint : 0
; COMPUTE_PGM_RSRC2:SCRATCH_EN: 1
; COMPUTE_PGM_RSRC2:USER_SGPR: 2
; COMPUTE_PGM_RSRC2:TRAP_HANDLER: 0
; COMPUTE_PGM_RSRC2:TGID_X_EN: 1
; COMPUTE_PGM_RSRC2:TGID_Y_EN: 1
; COMPUTE_PGM_RSRC2:TGID_Z_EN: 0
; COMPUTE_PGM_RSRC2:TIDIG_COMP_CNT: 1
	.section	.text._ZL12mul_mat_q4_KIfLb1EEvPKvS1_PT_iiiii,"axG",@progbits,_ZL12mul_mat_q4_KIfLb1EEvPKvS1_PT_iiiii,comdat
	.globl	_ZL12mul_mat_q4_KIfLb1EEvPKvS1_PT_iiiii ; -- Begin function _ZL12mul_mat_q4_KIfLb1EEvPKvS1_PT_iiiii
	.p2align	8
	.type	_ZL12mul_mat_q4_KIfLb1EEvPKvS1_PT_iiiii,@function
_ZL12mul_mat_q4_KIfLb1EEvPKvS1_PT_iiiii: ; @_ZL12mul_mat_q4_KIfLb1EEvPKvS1_PT_iiiii
; %bb.0:
	s_clause 0x1
	s_load_b128 s[4:7], s[0:1], 0x18
	s_load_b32 s14, s[0:1], 0x28
	s_bfe_u32 s2, ttmp6, 0x4000c
	s_bfe_u32 s8, ttmp6, 0x40010
	s_add_co_i32 s2, s2, 1
	s_and_b32 s3, ttmp6, 15
	s_mul_i32 s2, ttmp9, s2
	s_add_co_i32 s8, s8, 1
	s_add_co_i32 s3, s3, s2
	s_mul_i32 s2, ttmp7, s8
	s_bfe_u32 s8, ttmp6, 0x40004
	s_getreg_b32 s9, hwreg(HW_REG_IB_STS2, 6, 4)
	s_add_co_i32 s8, s8, s2
	s_cmp_eq_u32 s9, 0
	v_bfe_u32 v41, v0, 10, 10
	s_cselect_b32 s8, ttmp7, s8
	v_and_b32_e32 v58, 0x3ff, v0
	s_cselect_b32 s2, ttmp9, s3
	s_lshl_b32 s15, s8, 6
	s_mov_b32 s3, 0
	s_wait_kmcnt 0x0
	s_cmp_gt_i32 s4, 0xff
	s_cbranch_scc1 .LBB132_2
; %bb.1:
	v_bfe_u32 v1, v0, 10, 10
	v_and_b32_e32 v2, 0x3ff, v0
	s_delay_alu instid0(VALU_DEP_2)
	v_add_nc_u32_e32 v3, s15, v1
	s_branch .LBB132_3
.LBB132_2:
	s_mov_b32 s3, -1
                                        ; implicit-def: $vgpr1
                                        ; implicit-def: $vgpr2
                                        ; implicit-def: $vgpr3
.LBB132_3:
	s_load_b64 s[12:13], s[0:1], 0x10
	v_dual_mov_b32 v17, 0 :: v_dual_mov_b32 v16, 0
	v_dual_mov_b32 v25, 0 :: v_dual_mov_b32 v24, 0
	v_dual_mov_b32 v33, 0 :: v_dual_mov_b32 v32, 0
	v_dual_mov_b32 v45, 0 :: v_dual_mov_b32 v44, 0
	v_dual_mov_b32 v19, 0 :: v_dual_mov_b32 v18, 0
	v_dual_mov_b32 v27, 0 :: v_dual_mov_b32 v26, 0
	v_dual_mov_b32 v35, 0 :: v_dual_mov_b32 v34, 0
	v_dual_mov_b32 v47, 0 :: v_dual_mov_b32 v46, 0
	v_dual_mov_b32 v21, 0 :: v_dual_mov_b32 v20, 0
	v_dual_mov_b32 v29, 0 :: v_dual_mov_b32 v28, 0
	v_dual_mov_b32 v37, 0 :: v_dual_mov_b32 v36, 0
	v_dual_mov_b32 v49, 0 :: v_dual_mov_b32 v48, 0
	v_dual_mov_b32 v23, 0 :: v_dual_mov_b32 v22, 0
	v_dual_mov_b32 v31, 0 :: v_dual_mov_b32 v30, 0
	v_dual_mov_b32 v39, 0 :: v_dual_mov_b32 v38, 0
	v_dual_mov_b32 v51, 0 :: v_dual_mov_b32 v50, 0
	s_and_not1_b32 vcc_lo, exec_lo, s3
	s_lshl_b32 s16, s2, 7
	s_cbranch_vccnz .LBB132_11
; %bb.4:
	v_dual_add_nc_u32 v16, s15, v41 :: v_dual_lshlrev_b32 v63, 5, v41
	s_add_co_i32 s17, s6, -1
	v_bfe_u32 v29, v0, 2, 8
	v_cvt_f64_i32_e32 v[2:3], s17
	s_delay_alu instid0(VALU_DEP_3) | instskip(SKIP_2) | instid1(VALU_DEP_3)
	v_dual_add_nc_u32 v1, 8, v16 :: v_dual_add_nc_u32 v8, 16, v16
	v_dual_add_nc_u32 v14, 40, v16 :: v_dual_add_nc_u32 v18, 56, v16
	v_add_nc_u32_e32 v20, v63, v58
	v_cvt_f64_u32_e32 v[6:7], v1
	v_dual_add_nc_u32 v1, 24, v16 :: v_dual_add_nc_u32 v12, 32, v16
	v_cvt_f64_u32_e32 v[8:9], v8
	v_cvt_f64_u32_e32 v[4:5], v16
	scratch_store_b32 off, v16, off offset:192 ; 4-byte Folded Spill
	v_cvt_f64_u32_e32 v[10:11], v1
	v_add_nc_u32_e32 v1, 48, v16
	v_cvt_f64_u32_e32 v[12:13], v12
	v_cvt_f64_u32_e32 v[14:15], v14
	;; [unrolled: 1-line block ×3, first 2 shown]
	v_and_b32_e32 v20, 0x7f, v20
	s_wait_xcnt 0x0
	v_cvt_f64_u32_e32 v[16:17], v1
	v_lshl_add_u32 v29, v41, 3, v29
	s_load_b128 s[8:11], s[0:1], 0x0
	s_wait_xcnt 0x0
	s_ashr_i32 s1, s7, 31
	s_not_b32 s2, s16
	s_lshr_b32 s3, s1, 27
	s_add_co_i32 s1, s5, s2
	s_delay_alu instid0(SALU_CYCLE_1) | instskip(SKIP_3) | instid1(VALU_DEP_4)
	v_dual_add_nc_u32 v21, 8, v41 :: v_dual_min_i32 v20, s1, v20
	v_add_nc_u32_e32 v24, 32, v41
	v_and_b32_e32 v32, 0x7f, v29
	v_dual_lshlrev_b32 v1, 2, v58 :: v_dual_mov_b32 v43, 0
	v_dual_ashrrev_i32 v26, 31, v20 :: v_dual_min_i32 v25, s1, v21
	s_delay_alu instid0(VALU_DEP_4) | instskip(SKIP_1) | instid1(VALU_DEP_3)
	v_dual_add_nc_u32 v22, 16, v41 :: v_dual_min_i32 v30, s1, v24
	v_dual_add_nc_u32 v23, 24, v41 :: v_dual_add_nc_u32 v31, 40, v41
	v_lshrrev_b32_e32 v26, 27, v26
	v_dual_min_num_f64 v[6:7], v[6:7], v[2:3] :: v_dual_min_i32 v32, s1, v32
	s_delay_alu instid0(VALU_DEP_3)
	v_min_i32_e32 v28, s1, v23
	v_min_num_f64_e32 v[8:9], v[8:9], v[2:3]
	v_min_num_f64_e32 v[4:5], v[4:5], v[2:3]
	v_min_i32_e32 v27, s1, v22
	v_min_num_f64_e32 v[10:11], v[10:11], v[2:3]
	v_dual_add_nc_u32 v26, v20, v26 :: v_dual_min_i32 v33, s1, v31
	v_min_num_f64_e32 v[12:13], v[12:13], v[2:3]
	v_dual_min_num_f64 v[14:15], v[14:15], v[2:3] :: v_dual_ashrrev_i32 v35, 31, v32
	v_dual_min_num_f64 v[16:17], v[16:17], v[2:3] :: v_dual_add_nc_u32 v39, 56, v41
	v_min_num_f64_e32 v[2:3], v[18:19], v[2:3]
	v_bitop3_b32 v34, v29, 64, 0x7f bitop3:0x6c
	v_dual_ashrrev_i32 v26, 5, v26 :: v_dual_lshlrev_b32 v37, 2, v20
	v_dual_lshrrev_b32 v35, 29, v35 :: v_dual_bitop2_b32 v18, 3, v0 bitop3:0x40
	s_delay_alu instid0(VALU_DEP_3) | instskip(NEXT) | instid1(VALU_DEP_3)
	v_min_i32_e32 v34, s1, v34
	v_dual_lshlrev_b32 v26, 2, v26 :: v_dual_add_nc_u32 v19, 48, v41
	s_delay_alu instid0(VALU_DEP_3) | instskip(NEXT) | instid1(VALU_DEP_3)
	v_cmp_gt_u32_e32 vcc_lo, 2, v18
	v_dual_add_nc_u32 v35, v32, v35 :: v_dual_ashrrev_i32 v38, 31, v34
	s_delay_alu instid0(VALU_DEP_3)
	v_add3_u32 v26, v26, v37, 0x6e40
	v_add_nc_u32_e32 v37, 0x60, v58
	s_ashr_i32 s0, s4, 31
	v_bfe_u32 v40, v0, 5, 5
	s_lshr_b32 s0, s0, 24
	v_bfe_u32 v132, v0, 3, 7
	v_cvt_i32_f64_e32 v6, v[6:7]
	s_add_co_i32 s0, s4, s0
	s_add_co_i32 s4, s7, s3
	v_cvt_i32_f64_e32 v8, v[8:9]
	v_ashrrev_i32_e32 v9, 3, v35
	v_cvt_i32_f64_e32 v4, v[4:5]
	v_cvt_i32_f64_e32 v10, v[10:11]
	v_and_b32_e32 v11, 4, v1
	v_add_nc_u32_e32 v36, 0xfe, v18
	v_cvt_i32_f64_e32 v12, v[12:13]
	v_cvt_i32_f64_e32 v13, v[14:15]
	v_lshlrev_b32_e32 v14, 2, v18
	v_cvt_i32_f64_e32 v15, v[16:17]
	v_and_b32_e32 v36, 0xff, v36
	v_cvt_i32_f64_e32 v17, v[2:3]
	v_lshlrev_b32_e32 v9, 2, v9
	s_ashr_i32 s7, s0, 8
	s_ashr_i32 s0, s4, 5
	v_cndmask_b32_e32 v5, v36, v18, vcc_lo
	v_cmp_lt_u32_e32 vcc_lo, 1, v18
	v_add3_u32 v9, v9, v14, 0x6200
	v_mul_lo_u32 v90, v20, s7
	v_mul_lo_u32 v92, v32, s7
	;; [unrolled: 1-line block ×3, first 2 shown]
	v_dual_cndmask_b32 v67, 0, v11, vcc_lo :: v_dual_lshlrev_b32 v11, 4, v32
	s_mul_i32 s2, s7, s16
	v_dual_lshlrev_b32 v137, 5, v21 :: v_dual_lshlrev_b32 v140, 5, v24
	s_movk_i32 s4, 0x1080
	s_delay_alu instid0(VALU_DEP_2)
	v_add_nc_u32_e32 v9, v9, v11
	s_clause 0x1
	scratch_store_b32 off, v26, off
	scratch_store_b32 off, v58, off offset:188
	s_wait_xcnt 0x1
	v_dual_lshrrev_b32 v26, 29, v38 :: v_dual_bitop2_b32 v16, 63, v29 bitop3:0x40
	v_dual_mov_b32 v3, v43 :: v_dual_bitop2_b32 v29, 31, v0 bitop3:0x40
	v_mul_lo_u32 v73, s0, v4
	s_delay_alu instid0(VALU_DEP_3) | instskip(SKIP_3) | instid1(VALU_DEP_4)
	v_dual_add_nc_u32 v7, v34, v26 :: v_dual_bitop2_b32 v2, s15, v16 bitop3:0x54
	v_lshlrev_b32_e32 v26, 4, v34
	v_mul_lo_u32 v75, s0, v6
	v_mul_lo_u32 v77, s0, v8
	v_dual_ashrrev_i32 v7, 3, v7 :: v_dual_min_i32 v35, s17, v2
	v_dual_lshlrev_b32 v8, 7, v22 :: v_dual_bitop2_b32 v2, 28, v1 bitop3:0x40
	v_mul_lo_u32 v79, s0, v10
	s_delay_alu instid0(VALU_DEP_3)
	v_lshlrev_b32_e32 v7, 2, v7
	v_mul_lo_u32 v81, s0, v12
	v_mul_lo_u32 v83, s0, v13
	;; [unrolled: 1-line block ×4, first 2 shown]
	v_add3_u32 v7, v7, v14, 0x6200
	v_lshl_or_b32 v14, v16, 4, v14
	v_lshl_or_b32 v16, v29, 2, 0x4200
	v_mad_u32 v29, v35, s0, v18
	v_cmp_ne_u32_e64 s0, 0, v18
	s_wait_kmcnt 0x0
	v_add_nc_u64_e32 v[52:53], s[10:11], v[2:3]
	v_dual_mov_b32 v55, v43 :: v_dual_min_i32 v3, s1, v41
	v_add_nc_u32_e32 v71, 0x6a40, v14
	v_add_co_ci_u32_e64 v0, null, 0, v5, s0
	v_dual_lshlrev_b32 v13, 7, v31 :: v_dual_add_nc_u32 v14, 32, v58
	s_delay_alu instid0(VALU_DEP_2) | instskip(SKIP_2) | instid1(VALU_DEP_4)
	v_dual_lshlrev_b32 v147, 1, v5 :: v_dual_lshlrev_b32 v54, 2, v0
	v_mad_u32 v0, 0x84, v3, v1
	v_add_nc_u32_e32 v15, 64, v58
	v_dual_lshrrev_b32 v89, 3, v14 :: v_dual_lshlrev_b32 v17, 7, v39
	v_add_nc_u32_e32 v7, v7, v26
	scratch_store_b32 off, v29, off offset:4 ; 4-byte Folded Spill
	v_dual_lshlrev_b32 v4, 7, v41 :: v_dual_lshlrev_b32 v10, 7, v23
	s_wait_xcnt 0x0
	v_dual_lshlrev_b32 v29, 7, v19 :: v_dual_bitop2_b32 v38, 60, v89 bitop3:0x40
	v_dual_lshrrev_b32 v35, 3, v15 :: v_dual_lshlrev_b32 v36, 2, v40
	scratch_store_b32 off, v9, off offset:8 ; 4-byte Folded Spill
	v_dual_lshlrev_b32 v141, 5, v31 :: v_dual_lshlrev_b32 v144, 4, v14
	v_mul_lo_u32 v14, v3, s7
	scratch_store_b32 off, v0, off offset:16 ; 4-byte Folded Spill
	s_wait_xcnt 0x0
	v_mad_u32 v0, 0x84, v25, v1
	scratch_store_b32 off, v7, off offset:12 ; 4-byte Folded Spill
	s_wait_xcnt 0x0
	v_dual_lshrrev_b32 v7, 3, v37 :: v_dual_bitop2_b32 v9, 60, v35 bitop3:0x40
	v_dual_add_nc_u32 v95, v16, v4 :: v_dual_add_nc_u32 v129, v16, v13
	v_dual_lshlrev_b32 v6, 7, v21 :: v_dual_lshlrev_b32 v12, 7, v24
	s_delay_alu instid0(VALU_DEP_3) | instskip(NEXT) | instid1(VALU_DEP_2)
	v_dual_add_nc_u32 v125, v16, v8 :: v_dual_bitop2_b32 v4, 60, v7 bitop3:0x40
	v_dual_lshlrev_b32 v142, 5, v19 :: v_dual_add_nc_u32 v123, v16, v6
	v_dual_lshlrev_b32 v143, 5, v39 :: v_dual_min_i32 v6, s1, v39
	s_delay_alu instid0(VALU_DEP_3)
	v_add3_u32 v136, v1, v4, 0x6e40
	v_min_i32_e32 v4, s1, v19
	v_add_min_i32_e64 v5, 0x50, v41, s1
	scratch_store_b64 off, v[14:15], off offset:80 ; 8-byte Folded Spill
	s_wait_xcnt 0x0
	v_mul_lo_u32 v14, v25, s7
	v_cndmask_b32_e64 v2, 0, 1, vcc_lo
	v_mad_u32 v8, 0x84, v4, v1
	scratch_store_b32 off, v0, off offset:20 ; 4-byte Folded Spill
	s_wait_xcnt 0x0
	v_mad_u32 v0, 0x84, v27, v1
	v_mul_lo_u32 v4, v4, s7
	v_dual_mov_b32 v57, v43 :: v_dual_lshlrev_b32 v56, 2, v2
	v_add_min_i32_e64 v2, 0x48, v41, s1
	v_add3_u32 v135, v1, v9, 0x6e40
	v_add_min_i32_e64 v9, 0x60, v41, s1
	scratch_store_b64 off, v[14:15], off offset:88 ; 8-byte Folded Spill
	s_wait_xcnt 0x0
	v_mul_lo_u32 v14, v27, s7
	scratch_store_b32 off, v8, off offset:40 ; 4-byte Folded Spill
	s_wait_xcnt 0x0
	v_mad_u32 v8, 0x84, v6, v1
	scratch_store_b32 off, v0, off offset:24 ; 4-byte Folded Spill
	s_wait_xcnt 0x0
	v_mad_u32 v0, 0x84, v28, v1
	scratch_store_b64 off, v[4:5], off offset:128 ; 8-byte Folded Spill
	s_wait_xcnt 0x0
	v_mul_lo_u32 v4, v6, s7
	v_dual_add_nc_u32 v127, v16, v10 :: v_dual_add_nc_u32 v128, v16, v12
	v_add_min_i32_e64 v10, 0x68, v41, s1
	v_add_min_i32_e64 v11, 0x70, v41, s1
	scratch_store_b64 off, v[14:15], off offset:96 ; 8-byte Folded Spill
	s_wait_xcnt 0x0
	v_mul_lo_u32 v14, v28, s7
	v_add_min_i32_e64 v12, 0x78, v41, s1
	v_mul_lo_u32 v84, v10, s7
	scratch_store_b32 off, v0, off offset:28 ; 4-byte Folded Spill
	s_wait_xcnt 0x0
	v_mad_u32 v0, 0x84, v30, v1
	v_mul_lo_u32 v86, v11, s7
	v_mul_lo_u32 v88, v12, s7
	v_dual_add_nc_u32 v130, v16, v29 :: v_dual_lshlrev_b32 v138, 5, v22
	v_dual_add_nc_u32 v131, v16, v17 :: v_dual_lshlrev_b32 v139, 5, v23
	scratch_store_b64 off, v[14:15], off offset:104 ; 8-byte Folded Spill
	s_wait_xcnt 0x0
	v_mul_lo_u32 v14, v30, s7
	scratch_store_b32 off, v8, off offset:44 ; 4-byte Folded Spill
	v_add3_u32 v133, v36, v1, 0x6e40
	scratch_store_b32 off, v0, off offset:32 ; 4-byte Folded Spill
	s_wait_xcnt 0x0
	v_mad_u32 v0, 0x84, v33, v1
	v_add3_u32 v134, v1, v38, 0x6e40
	v_dual_lshlrev_b32 v145, 4, v15 :: v_dual_lshlrev_b32 v146, 4, v37
	s_movk_i32 s5, 0x2100
	s_movk_i32 s17, 0x3180
	v_dual_lshlrev_b32 v164, 2, v1 :: v_dual_lshlrev_b32 v165, 2, v35
	scratch_store_b64 off, v[14:15], off offset:112 ; 8-byte Folded Spill
	s_wait_xcnt 0x0
	v_mul_lo_u32 v14, v33, s7
	v_mov_b64_e32 v[50:51], 0
	scratch_store_b32 off, v0, off offset:36 ; 4-byte Folded Spill
	s_wait_xcnt 0x0
	v_add_min_i32_e64 v0, v41, 64, s1
	v_mov_b64_e32 v[38:39], 0
	v_mov_b64_e32 v[30:31], 0
	;; [unrolled: 1-line block ×4, first 2 shown]
	v_mad_u32 v8, 0x84, v0, v1
	v_mul_lo_u32 v0, v0, s7
	v_mov_b64_e32 v[36:37], 0
	v_mov_b64_e32 v[28:29], 0
	;; [unrolled: 1-line block ×9, first 2 shown]
	s_clause 0x1
	scratch_store_b32 off, v8, off offset:48
	scratch_store_b64 off, v[14:15], off offset:120
	s_wait_xcnt 0x1
	v_mad_u32 v8, 0x84, v2, v1
	scratch_store_b64 off, v[0:1], off offset:144 ; 8-byte Folded Spill
	s_wait_xcnt 0x0
	v_mul_lo_u32 v0, v2, s7
	v_mov_b64_e32 v[24:25], 0
	v_mov_b64_e32 v[16:17], 0
	s_ashr_i32 s3, s2, 31
	v_and_b32_e32 v42, 0x7c, v1
	v_dual_lshlrev_b32 v166, 2, v7 :: v_dual_lshlrev_b32 v171, 2, v132
	v_mul_u32_u24_e32 v167, 0x84, v58
	v_mad_u32_u24 v168, 0x84, v58, s4
	s_clause 0x1
	scratch_store_b32 off, v8, off offset:52
	scratch_store_b64 off, v[4:5], off offset:136
	s_wait_xcnt 0x1
	v_mad_u32 v8, 0x84, v5, v1
	scratch_store_b64 off, v[0:1], off offset:152 ; 8-byte Folded Spill
	s_wait_xcnt 0x0
	v_mul_lo_u32 v0, v5, s7
	v_mad_u32_u24 v169, 0x84, v58, s5
	v_mad_u32_u24 v170, 0x84, v58, s17
	v_lshlrev_b32_e32 v172, 2, v89
	s_mul_u64 s[2:3], s[2:3], 0x90
	s_delay_alu instid0(SALU_CYCLE_1)
	s_add_nc_u64 s[2:3], s[8:9], s[2:3]
	scratch_store_b32 off, v8, off offset:56 ; 4-byte Folded Spill
	s_wait_xcnt 0x0
	v_add_min_i32_e64 v8, 0x58, v41, s1
	scratch_store_b64 off, v[0:1], off offset:160 ; 8-byte Folded Spill
	s_mov_b32 s1, 0
	s_delay_alu instid0(SALU_CYCLE_1)
	s_mov_b32 s0, s1
	v_mad_u32 v13, 0x84, v8, v1
	s_wait_xcnt 0x0
	v_mul_lo_u32 v0, v8, s7
	scratch_store_b32 off, v13, off offset:60 ; 4-byte Folded Spill
	s_wait_xcnt 0x0
	v_mad_u32 v13, 0x84, v9, v1
	scratch_store_b64 off, v[0:1], off offset:168 ; 8-byte Folded Spill
	s_wait_xcnt 0x0
	v_mul_lo_u32 v0, v9, s7
	scratch_store_b32 off, v13, off offset:64 ; 4-byte Folded Spill
	s_wait_xcnt 0x0
	v_mad_u32 v13, 0x84, v10, v1
	s_clause 0x1
	scratch_store_b64 off, v[0:1], off offset:176
	scratch_store_b32 off, v13, off offset:68
	s_wait_xcnt 0x0
	v_mad_u32 v13, 0x84, v11, v1
	scratch_store_b32 off, v13, off offset:72 ; 4-byte Folded Spill
	s_wait_xcnt 0x0
	v_mad_u32 v13, 0x84, v12, v1
	s_clause 0x1
	scratch_store_b32 off, v41, off offset:184
	scratch_store_b32 off, v13, off offset:76
.LBB132_5:                              ; =>This Loop Header: Depth=1
                                        ;     Child Loop BB132_6 Depth 2
                                        ;     Child Loop BB132_8 Depth 2
	s_clause 0x2
	scratch_load_b64 v[12:13], off, off offset:112
	scratch_load_b64 v[14:15], off, off offset:120
	;; [unrolled: 1-line block ×3, first 2 shown]
	s_mul_u64 s[4:5], s[0:1], 0x90
	s_clause 0x3
	scratch_load_b64 v[4:5], off, off offset:80
	scratch_load_b64 v[6:7], off, off offset:88
	;; [unrolled: 1-line block ×4, first 2 shown]
	s_add_nc_u64 s[4:5], s[2:3], s[4:5]
	s_mov_b32 s9, 0
	v_mad_nc_u64_u32 v[0:1], 0x90, v40, s[4:5]
	v_mad_nc_i64_i32 v[2:3], 0x90, v92, s[4:5]
	s_delay_alu instid0(VALU_DEP_2)
	v_mad_nc_i64_i32 v[110:111], 0x90, v84, v[0:1]
	s_wait_loadcnt 0x6
	v_mad_nc_i64_i32 v[12:13], 0x90, v12, v[0:1]
	s_wait_loadcnt 0x5
	;; [unrolled: 2-line block ×3, first 2 shown]
	v_mad_nc_i64_i32 v[96:97], 0x90, v58, v[0:1]
	scratch_load_b64 v[58:59], off, off offset:136 ; 8-byte Folded Reload
	s_wait_loadcnt 0x4
	v_mad_nc_i64_i32 v[4:5], 0x90, v4, v[0:1]
	s_wait_loadcnt 0x3
	v_mad_nc_i64_i32 v[6:7], 0x90, v6, v[0:1]
	;; [unrolled: 2-line block ×4, first 2 shown]
	v_add_nc_u64_e32 v[12:13], v[12:13], v[42:43]
	v_add_nc_u64_e32 v[14:15], v[14:15], v[42:43]
	;; [unrolled: 1-line block ×7, first 2 shown]
	s_wait_loadcnt 0x0
	v_mad_nc_i64_i32 v[98:99], 0x90, v58, v[0:1]
	scratch_load_b64 v[58:59], off, off offset:144 ; 8-byte Folded Reload
	v_add_nc_u64_e32 v[98:99], v[98:99], v[42:43]
	s_wait_loadcnt 0x0
	v_mad_nc_i64_i32 v[100:101], 0x90, v58, v[0:1]
	scratch_load_b64 v[58:59], off, off offset:152 ; 8-byte Folded Reload
	s_wait_loadcnt 0x0
	v_mad_nc_i64_i32 v[102:103], 0x90, v58, v[0:1]
	scratch_load_b64 v[58:59], off, off offset:160 ; 8-byte Folded Reload
	;; [unrolled: 3-line block ×4, first 2 shown]
	s_wait_loadcnt 0x0
	s_clause 0x7
	global_load_b32 v59, v[4:5], off offset:16
	global_load_b32 v114, v[6:7], off offset:16
	;; [unrolled: 1-line block ×8, first 2 shown]
	s_wait_xcnt 0x6
	v_mad_nc_i64_i32 v[6:7], 0x90, v94, s[4:5]
	s_wait_xcnt 0x1
	v_mad_nc_i64_i32 v[96:97], 0x90, v90, s[4:5]
	v_add_nc_u64_e32 v[8:9], v[102:103], v[42:43]
	v_add_nc_u64_e32 v[102:103], v[2:3], v[54:55]
	;; [unrolled: 1-line block ×4, first 2 shown]
	s_lshl_b32 s4, s0, 3
	v_mad_nc_i64_i32 v[12:13], 0x90, v86, v[0:1]
	v_add_nc_u64_e32 v[14:15], v[106:107], v[42:43]
	v_add_nc_u64_e32 v[4:5], v[100:101], v[42:43]
	v_add_nc_u64_e32 v[100:101], v[110:111], v[42:43]
	v_add_nc_u64_e32 v[104:105], v[6:7], v[54:55]
	v_add_nc_u64_e32 v[6:7], v[6:7], v[56:57]
	s_clause 0x4
	global_load_b32 v121, v[96:97], off
	global_load_b32 v122, v[102:103], off offset:4
	global_load_b32 v124, v[2:3], off offset:4
	;; [unrolled: 1-line block ×4, first 2 shown]
	scratch_load_b32 v3, off, off offset:4  ; 4-byte Folded Reload
	v_add_nc_u32_e32 v106, s4, v132
	v_add_nc_u64_e32 v[12:13], v[12:13], v[42:43]
	s_mov_b32 s5, -1
	v_mad_nc_i64_i32 v[108:109], 0x90, v58, v[0:1]
	v_mad_nc_i64_i32 v[0:1], 0x90, v88, v[0:1]
	s_delay_alu instid0(VALU_DEP_2) | instskip(NEXT) | instid1(VALU_DEP_2)
	v_add_nc_u64_e32 v[98:99], v[108:109], v[42:43]
	v_add_nc_u64_e32 v[0:1], v[0:1], v[42:43]
	s_wait_loadcnt 0x0
	v_dual_add_nc_u32 v97, s4, v3 :: v_dual_add_nc_u32 v96, v106, v77
	v_dual_add_nc_u32 v108, v106, v83 :: v_dual_add_nc_u32 v2, v106, v73
	s_wait_xcnt 0x1
	v_dual_add_nc_u32 v6, v106, v75 :: v_dual_add_nc_u32 v107, v106, v81
	s_delay_alu instid0(VALU_DEP_3) | instskip(SKIP_2) | instid1(VALU_DEP_4)
	v_mad_nc_i64_i32 v[102:103], v96, 36, v[52:53]
	v_add_nc_u32_e32 v96, v106, v79
	v_mad_nc_i64_i32 v[2:3], v2, 36, v[52:53]
	v_mad_nc_i64_i32 v[6:7], v6, 36, v[52:53]
	v_dual_add_nc_u32 v110, v106, v85 :: v_dual_add_nc_u32 v112, v106, v87
	s_delay_alu instid0(VALU_DEP_4) | instskip(SKIP_2) | instid1(VALU_DEP_4)
	v_mad_nc_i64_i32 v[104:105], v96, 36, v[52:53]
	v_mad_nc_i64_i32 v[106:107], v107, 36, v[52:53]
	;; [unrolled: 1-line block ×5, first 2 shown]
	s_clause 0x7
	global_load_b32 v96, v[4:5], off offset:16
	global_load_b32 v174, v[8:9], off offset:16
	;; [unrolled: 1-line block ×8, first 2 shown]
	s_wait_xcnt 0x0
	v_mad_nc_u64_u32 v[0:1], v97, 36, s[10:11]
	s_clause 0x8
	global_load_b32 v4, v[2:3], off offset:4
	global_load_b32 v5, v[6:7], off offset:4
	;; [unrolled: 1-line block ×8, first 2 shown]
	global_load_b32 v14, v[0:1], off
	s_wait_xcnt 0x0
	v_ashrrev_i32_e32 v0, v67, v122
	v_dual_ashrrev_i32 v2, v147, v124 :: v_dual_ashrrev_i32 v3, v147, v173
	v_ashrrev_i32_e32 v1, v67, v126
	s_delay_alu instid0(VALU_DEP_3) | instskip(NEXT) | instid1(VALU_DEP_2)
	v_and_b32_e32 v0, 0xf0f0f0f, v0
	v_and_b32_e32 v1, 0xf0f0f0f, v1
	s_delay_alu instid0(VALU_DEP_2)
	v_and_or_b32 v0, 0x30303030, v2, v0
	scratch_load_b32 v2, off, off offset:16 ; 4-byte Folded Reload
	v_and_or_b32 v1, 0x30303030, v3, v1
	s_wait_loadcnt 0x0
	ds_store_b32 v2, v59
	scratch_load_b32 v2, off, off offset:20 ; 4-byte Folded Reload
	s_wait_loadcnt 0x0
	ds_store_b32 v2, v114
	scratch_load_b32 v2, off, off offset:24 ; 4-byte Folded Reload
	;; [unrolled: 3-line block ×15, first 2 shown]
	s_wait_loadcnt 0x0
	ds_store_b32 v2, v180
	scratch_load_b32 v2, off, off           ; 4-byte Folded Reload
	s_wait_loadcnt 0x0
	ds_store_b32 v2, v121
	ds_store_b32 v95, v4
	;; [unrolled: 1-line block ×9, first 2 shown]
	scratch_load_b32 v2, off, off offset:8  ; 4-byte Folded Reload
	s_wait_loadcnt 0x0
	ds_store_b32 v2, v0
	scratch_load_b32 v0, off, off offset:12 ; 4-byte Folded Reload
	s_wait_loadcnt 0x0
	ds_store_b32 v0, v1
	ds_store_b32 v71, v14
	s_wait_storecnt_dscnt 0x0
	s_barrier_signal -1
	s_barrier_wait -1
	ds_load_b32 v1, v133
	ds_load_b32 v3, v134 offset:128
	ds_load_b32 v5, v135 offset:256
	;; [unrolled: 1-line block ×3, first 2 shown]
	s_wait_dscnt 0x3
	v_cvt_f32_f16_e32 v0, v1
	v_lshrrev_b32_e32 v1, 16, v1
	s_wait_dscnt 0x2
	v_cvt_f32_f16_e32 v2, v3
	v_lshrrev_b32_e32 v3, 16, v3
	s_wait_dscnt 0x1
	v_cvt_f32_f16_e32 v4, v5
	s_wait_dscnt 0x0
	v_dual_lshrrev_b32 v5, 16, v5 :: v_dual_lshrrev_b32 v7, 16, v6
	v_cvt_f32_f16_e32 v6, v6
	v_cvt_f32_f16_e32 v8, v1
	;; [unrolled: 1-line block ×3, first 2 shown]
	s_delay_alu instid0(VALU_DEP_4) | instskip(SKIP_4) | instid1(VALU_DEP_4)
	v_cvt_f32_f16_e32 v12, v5
	v_cvt_f32_f16_e32 v14, v7
	v_dual_mov_b32 v1, v0 :: v_dual_mov_b32 v3, v2
	v_dual_mov_b32 v5, v4 :: v_dual_mov_b32 v7, v6
	;; [unrolled: 1-line block ×4, first 2 shown]
.LBB132_6:                              ;   Parent Loop BB132_5 Depth=1
                                        ; =>  This Inner Loop Header: Depth=2
	s_lshl_b32 s8, s9, 1
	s_lshr_b32 s17, s9, 2
	v_or_b32_e32 v59, s8, v63
	s_lshl_b32 s9, s9, 2
	s_addk_co_i32 s17, 0x6200
	s_and_b32 vcc_lo, exec_lo, s5
	s_mov_b32 s5, 0
	v_lshlrev_b32_e32 v96, 2, v59
	ds_load_b128 v[98:101], v96 offset:16896
	ds_load_b128 v[102:105], v96 offset:16912
	;; [unrolled: 1-line block ×4, first 2 shown]
	v_add_nc_u32_e32 v96, s9, v167
	ds_load_2addr_b32 v[118:119], v96 offset1:1
	ds_load_2addr_b32 v[116:117], v96 offset0:2 offset1:3
	s_wait_dscnt 0x5
	s_set_vgpr_msb 64                       ;  msbs: dst=1 src0=0 src1=0 src2=0
	v_bfe_i32 v45 /*v301*/, v98, 0, 8
	v_bfe_i32 v49 /*v305*/, v98, 8, 8
	s_wait_dscnt 0x3
	v_bfe_i32 v153 /*v409*/, v108, 0, 8
	v_bfe_i32 v154 /*v410*/, v108, 8, 8
	;; [unrolled: 1-line block ×3, first 2 shown]
	v_dual_ashrrev_i32 v174 /*v430*/, 24, v108 :: v_dual_ashrrev_i32 v172 /*v428*/, 24, v109
	s_wait_dscnt 0x2
	v_bfe_i32 v157 /*v413*/, v112, 0, 8
	v_bfe_i32 v158 /*v414*/, v112, 8, 8
	;; [unrolled: 1-line block ×3, first 2 shown]
	v_dual_ashrrev_i32 v169 /*v425*/, 24, v112 :: v_dual_ashrrev_i32 v167 /*v423*/, 24, v113
	v_bfe_i32 v159 /*v415*/, v113, 0, 8
	v_bfe_i32 v160 /*v416*/, v113, 8, 8
	;; [unrolled: 1-line block ×6, first 2 shown]
	v_dual_ashrrev_i32 v165 /*v421*/, 24, v114 :: v_dual_ashrrev_i32 v161 /*v417*/, 24, v115
	v_bfe_i32 v43 /*v299*/, v115, 0, 8
	v_bfe_i32 v42 /*v298*/, v115, 8, 8
	s_set_vgpr_msb 0                        ;  msbs: dst=0 src0=0 src1=0 src2=0
	v_bfe_i32 v108, v115, 16, 8
	ds_load_2addr_b32 v[112:113], v96 offset0:4 offset1:5
	ds_load_2addr_b32 v[114:115], v96 offset0:6 offset1:7
	s_wait_dscnt 0x3
	v_and_b32_e32 v121, 15, v118
	s_set_vgpr_msb 64                       ;  msbs: dst=1 src0=0 src1=0 src2=0
	v_bfe_i32 v48 /*v304*/, v98, 16, 8
	v_ashrrev_i32_e32 v66 /*v322*/, 24, v98
	s_set_vgpr_msb 0                        ;  msbs: dst=0 src0=0 src1=0 src2=0
	v_ashrrev_i32_e32 v110, 24, v105
	s_set_vgpr_msb 64                       ;  msbs: dst=1 src0=0 src1=0 src2=0
	v_lshrrev_b32_e32 v155 /*v411*/, 1, v59
	s_set_vgpr_msb 4                        ;  msbs: dst=0 src0=0 src1=1 src2=0
	v_mul_i32_i24_e32 v98, v121, v45 /*v301*/
	v_bfe_u32 v120, v118, 8, 4
	s_set_vgpr_msb 64                       ;  msbs: dst=1 src0=0 src1=0 src2=0
	v_bfe_u32 v108 /*v364*/, v118, 16, 4
	v_bfe_u32 v109 /*v365*/, v118, 24, 4
	v_bfe_i32 v50 /*v306*/, v99, 0, 8
	v_bfe_i32 v51 /*v307*/, v99, 8, 8
	v_bfe_i32 v52 /*v308*/, v99, 16, 8
	v_dual_ashrrev_i32 v53 /*v309*/, 24, v99 :: v_dual_ashrrev_i32 v57 /*v313*/, 24, v100
	v_bfe_i32 v54 /*v310*/, v100, 0, 8
	v_bfe_i32 v55 /*v311*/, v100, 8, 8
	;; [unrolled: 1-line block ×3, first 2 shown]
	s_set_vgpr_msb 5                        ;  msbs: dst=0 src0=1 src1=1 src2=0
	v_mul_i32_i24_e32 v99, v108 /*v364*/, v48 /*v304*/
	v_mul_i32_i24_e32 v100, v109 /*v365*/, v66 /*v322*/
	s_set_vgpr_msb 4                        ;  msbs: dst=0 src0=0 src1=1 src2=0
	v_mad_i32_i24 v98, v120, v49 /*v305*/, v98
	s_set_vgpr_msb 64                       ;  msbs: dst=1 src0=0 src1=0 src2=0
	v_dual_lshrrev_b32 v139 /*v395*/, 28, v118 :: v_dual_bitop2_b32 v110 /*v366*/, 15, v119 bitop3:0x40
	v_bfe_u32 v111 /*v367*/, v119, 8, 4
	v_bfe_u32 v112 /*v368*/, v119, 16, 4
	s_set_vgpr_msb 0                        ;  msbs: dst=0 src0=0 src1=0 src2=0
	v_add3_u32 v98, v98, v99, v100
	s_set_vgpr_msb 5                        ;  msbs: dst=0 src0=1 src1=1 src2=0
	v_mul_i32_i24_e32 v99, v110 /*v366*/, v50 /*v306*/
	s_set_vgpr_msb 64                       ;  msbs: dst=1 src0=0 src1=0 src2=0
	v_bfe_u32 v113 /*v369*/, v119, 24, 4
	s_set_vgpr_msb 5                        ;  msbs: dst=0 src0=1 src1=1 src2=0
	v_mul_i32_i24_e32 v100, v111 /*v367*/, v51 /*v307*/
	s_set_vgpr_msb 64                       ;  msbs: dst=1 src0=0 src1=0 src2=0
	v_bfe_i32 v58 /*v314*/, v101, 0, 8
	v_bfe_i32 v59 /*v315*/, v101, 8, 8
	;; [unrolled: 1-line block ×3, first 2 shown]
	v_dual_ashrrev_i32 v61 /*v317*/, 24, v101 :: v_dual_ashrrev_i32 v65 /*v321*/, 24, v102
	v_bfe_i32 v62 /*v318*/, v102, 0, 8
	v_bfe_i32 v63 /*v319*/, v102, 8, 8
	;; [unrolled: 1-line block ×3, first 2 shown]
	s_set_vgpr_msb 5                        ;  msbs: dst=0 src0=1 src1=1 src2=0
	v_mul_i32_i24_e32 v101, v112 /*v368*/, v52 /*v308*/
	v_mul_i32_i24_e32 v102, v113 /*v369*/, v53 /*v309*/
	s_set_vgpr_msb 0                        ;  msbs: dst=0 src0=0 src1=0 src2=0
	v_add3_u32 v98, v98, v100, v99
	s_wait_dscnt 0x2
	s_set_vgpr_msb 64                       ;  msbs: dst=1 src0=0 src1=0 src2=0
	v_dual_lshrrev_b32 v131 /*v387*/, 28, v119 :: v_dual_bitop2_b32 v114 /*v370*/, 15, v116 bitop3:0x40
	v_bfe_u32 v115 /*v371*/, v116, 8, 4
	v_bfe_u32 v116 /*v372*/, v116, 16, 4
	s_set_vgpr_msb 0                        ;  msbs: dst=0 src0=0 src1=0 src2=0
	v_add3_u32 v98, v98, v101, v102
	s_set_vgpr_msb 5                        ;  msbs: dst=0 src0=1 src1=1 src2=0
	v_mul_i32_i24_e32 v99, v114 /*v370*/, v54 /*v310*/
	s_set_vgpr_msb 64                       ;  msbs: dst=1 src0=0 src1=0 src2=0
	v_bfe_u32 v117 /*v373*/, v116, 24, 4
	s_set_vgpr_msb 5                        ;  msbs: dst=0 src0=1 src1=1 src2=0
	v_mul_i32_i24_e32 v100, v115 /*v371*/, v55 /*v311*/
	v_mul_i32_i24_e32 v101, v116 /*v372*/, v56 /*v312*/
	s_set_vgpr_msb 64                       ;  msbs: dst=1 src0=0 src1=0 src2=0
	v_dual_lshrrev_b32 v132 /*v388*/, 28, v116 :: v_dual_bitop2_b32 v118 /*v374*/, 15, v117 bitop3:0x40
	s_set_vgpr_msb 5                        ;  msbs: dst=0 src0=1 src1=1 src2=0
	v_mul_i32_i24_e32 v102, v117 /*v373*/, v57 /*v313*/
	s_set_vgpr_msb 0                        ;  msbs: dst=0 src0=0 src1=0 src2=0
	v_add3_u32 v98, v98, v100, v99
	s_set_vgpr_msb 64                       ;  msbs: dst=1 src0=0 src1=0 src2=0
	v_bfe_u32 v119 /*v375*/, v117, 8, 4
	s_set_vgpr_msb 5                        ;  msbs: dst=0 src0=1 src1=1 src2=0
	v_mul_i32_i24_e32 v99, v118 /*v374*/, v58 /*v314*/
	s_set_vgpr_msb 64                       ;  msbs: dst=1 src0=0 src1=0 src2=0
	v_bfe_u32 v120 /*v376*/, v117, 16, 4
	v_bfe_u32 v121 /*v377*/, v117, 24, 4
	s_set_vgpr_msb 0                        ;  msbs: dst=0 src0=0 src1=0 src2=0
	v_add3_u32 v98, v98, v101, v102
	s_set_vgpr_msb 5                        ;  msbs: dst=0 src0=1 src1=1 src2=0
	v_mul_i32_i24_e32 v100, v119 /*v375*/, v59 /*v315*/
	s_wait_dscnt 0x1
	s_set_vgpr_msb 64                       ;  msbs: dst=1 src0=0 src1=0 src2=0
	v_dual_lshrrev_b32 v133 /*v389*/, 28, v117 :: v_dual_bitop2_b32 v122 /*v378*/, 15, v112 bitop3:0x40
	s_set_vgpr_msb 5                        ;  msbs: dst=0 src0=1 src1=1 src2=0
	v_mul_i32_i24_e32 v101, v120 /*v376*/, v60 /*v316*/
	v_mul_i32_i24_e32 v102, v121 /*v377*/, v61 /*v317*/
	s_set_vgpr_msb 0                        ;  msbs: dst=0 src0=0 src1=0 src2=0
	v_add3_u32 v98, v98, v100, v99
	s_set_vgpr_msb 64                       ;  msbs: dst=1 src0=0 src1=0 src2=0
	v_bfe_u32 v123 /*v379*/, v112, 8, 4
	s_set_vgpr_msb 5                        ;  msbs: dst=0 src0=1 src1=1 src2=0
	v_mul_i32_i24_e32 v99, v122 /*v378*/, v62 /*v318*/
	s_set_vgpr_msb 64                       ;  msbs: dst=1 src0=0 src1=0 src2=0
	v_bfe_u32 v124 /*v380*/, v112, 16, 4
	v_bfe_u32 v125 /*v381*/, v112, 24, 4
	s_set_vgpr_msb 0                        ;  msbs: dst=0 src0=0 src1=0 src2=0
	v_add3_u32 v98, v98, v101, v102
	s_set_vgpr_msb 5                        ;  msbs: dst=0 src0=1 src1=1 src2=0
	v_mul_i32_i24_e32 v100, v123 /*v379*/, v63 /*v319*/
	s_set_vgpr_msb 64                       ;  msbs: dst=1 src0=0 src1=0 src2=0
	v_bfe_i32 v67 /*v323*/, v103, 0, 8
	v_bfe_i32 v68 /*v324*/, v103, 8, 8
	s_set_vgpr_msb 5                        ;  msbs: dst=0 src0=1 src1=1 src2=0
	v_mul_i32_i24_e32 v101, v124 /*v380*/, v64 /*v320*/
	v_mul_i32_i24_e32 v102, v125 /*v381*/, v65 /*v321*/
	s_set_vgpr_msb 0                        ;  msbs: dst=0 src0=0 src1=0 src2=0
	v_add3_u32 v98, v98, v100, v99
	s_set_vgpr_msb 64                       ;  msbs: dst=1 src0=0 src1=0 src2=0
	v_bfe_u32 v126 /*v382*/, v113, 8, 4
	v_dual_lshrrev_b32 v134 /*v390*/, 28, v112 :: v_dual_bitop2_b32 v127 /*v383*/, 15, v113 bitop3:0x40
	v_bfe_i32 v69 /*v325*/, v103, 16, 8
	v_dual_ashrrev_i32 v70 /*v326*/, 24, v103 :: v_dual_ashrrev_i32 v76 /*v332*/, 24, v104
	s_set_vgpr_msb 0                        ;  msbs: dst=0 src0=0 src1=0 src2=0
	v_add3_u32 v98, v98, v101, v102
	s_set_vgpr_msb 5                        ;  msbs: dst=0 src0=1 src1=1 src2=0
	v_mul_i32_i24_e32 v99, v67 /*v323*/, v127 /*v383*/
	v_mul_i32_i24_e32 v100, v68 /*v324*/, v126 /*v382*/
	s_set_vgpr_msb 64                       ;  msbs: dst=1 src0=0 src1=0 src2=0
	v_bfe_u32 v128 /*v384*/, v113, 24, 4
	v_bfe_u32 v129 /*v385*/, v113, 16, 4
	v_bfe_i32 v71 /*v327*/, v104, 0, 8
	v_bfe_i32 v73 /*v329*/, v104, 8, 8
	s_set_vgpr_msb 0                        ;  msbs: dst=0 src0=0 src1=0 src2=0
	v_add3_u32 v98, v98, v100, v99
	s_set_vgpr_msb 5                        ;  msbs: dst=0 src0=1 src1=1 src2=0
	v_mul_i32_i24_e32 v101, v70 /*v326*/, v128 /*v384*/
	v_mul_i32_i24_e32 v102, v69 /*v325*/, v129 /*v385*/
	s_wait_dscnt 0x0
	s_set_vgpr_msb 64                       ;  msbs: dst=1 src0=0 src1=0 src2=0
	v_bfe_u32 v130 /*v386*/, v114, 8, 4
	v_dual_lshrrev_b32 v135 /*v391*/, 28, v113 :: v_dual_bitop2_b32 v137 /*v393*/, 15, v114 bitop3:0x40
	v_bfe_i32 v75 /*v331*/, v104, 16, 8
	s_set_vgpr_msb 0                        ;  msbs: dst=0 src0=0 src1=0 src2=0
	v_add3_u32 v98, v98, v102, v101
	s_set_vgpr_msb 5                        ;  msbs: dst=0 src0=1 src1=1 src2=0
	v_mul_i32_i24_e32 v99, v73 /*v329*/, v130 /*v386*/
	v_mul_i32_i24_e32 v96, v71 /*v327*/, v137 /*v393*/
	s_set_vgpr_msb 64                       ;  msbs: dst=1 src0=0 src1=0 src2=0
	v_bfe_u32 v138 /*v394*/, v114, 24, 4
	v_bfe_u32 v141 /*v397*/, v114, 16, 4
	v_bfe_i32 v74 /*v330*/, v105, 0, 8
	v_bfe_i32 v72 /*v328*/, v105, 8, 8
	s_set_vgpr_msb 0                        ;  msbs: dst=0 src0=0 src1=0 src2=0
	v_add3_u32 v96, v98, v99, v96
	s_set_vgpr_msb 5                        ;  msbs: dst=0 src0=1 src1=1 src2=0
	v_mul_i32_i24_e32 v100, v76 /*v332*/, v138 /*v394*/
	v_mul_i32_i24_e32 v101, v75 /*v331*/, v141 /*v397*/
	s_set_vgpr_msb 64                       ;  msbs: dst=1 src0=0 src1=0 src2=0
	v_dual_lshrrev_b32 v136 /*v392*/, 28, v114 :: v_dual_bitop2_b32 v144 /*v400*/, 15, v115 bitop3:0x40
	v_bfe_u32 v145 /*v401*/, v115, 8, 4
	s_set_vgpr_msb 0                        ;  msbs: dst=0 src0=0 src1=0 src2=0
	v_add3_u32 v59, s17, v171, v164
	v_add3_u32 v96, v96, v101, v100
	s_set_vgpr_msb 5                        ;  msbs: dst=0 src0=1 src1=1 src2=0
	v_mul_i32_i24_e32 v98, v144 /*v400*/, v74 /*v330*/
	s_set_vgpr_msb 0                        ;  msbs: dst=0 src0=0 src1=0 src2=0
	v_lshrrev_b32_e32 v101, 28, v115
	s_set_vgpr_msb 5                        ;  msbs: dst=0 src0=1 src1=1 src2=0
	v_mul_i32_i24_e32 v99, v145 /*v401*/, v72 /*v328*/
	s_set_vgpr_msb 64                       ;  msbs: dst=1 src0=0 src1=0 src2=0
	v_bfe_i32 v44 /*v300*/, v105, 16, 8
	v_bfe_i32 v150 /*v406*/, v106, 0, 8
	;; [unrolled: 1-line block ×4, first 2 shown]
	v_add3_u32 v185 /*v441*/, v96, v99, v98
	s_set_vgpr_msb 0                        ;  msbs: dst=0 src0=0 src1=0 src2=0
	v_lshrrev_b32_e32 v99, 4, v118
	ds_load_u16 v96, v59
	ds_load_u16 v59, v59 offset:8
	s_set_vgpr_msb 64                       ;  msbs: dst=1 src0=0 src1=0 src2=0
	v_dual_ashrrev_i32 v178 /*v434*/, 24, v106 :: v_dual_ashrrev_i32 v176 /*v432*/, 24, v107
	v_bfe_i32 v151 /*v407*/, v107, 0, 8
	s_set_vgpr_msb 0                        ;  msbs: dst=0 src0=0 src1=0 src2=0
	v_lshrrev_b16 v99, 8, v99
	s_set_vgpr_msb 64                       ;  msbs: dst=1 src0=0 src1=0 src2=0
	v_bfe_i32 v152 /*v408*/, v107, 8, 8
	v_bfe_i32 v175 /*v431*/, v107, 16, 8
	;; [unrolled: 1-line block ×4, first 2 shown]
	v_and_b32_e32 v148 /*v404*/, 15, v99
	s_set_vgpr_msb 0                        ;  msbs: dst=0 src0=0 src1=0 src2=0
	v_lshrrev_b32_e32 v99, 4, v119
	s_set_vgpr_msb 64                       ;  msbs: dst=1 src0=0 src1=0 src2=0
	v_bfe_i32 v171 /*v427*/, v109, 16, 8
	v_bfe_u32 v146 /*v402*/, v115, 16, 4
	v_bfe_u32 v147 /*v403*/, v115, 24, 4
	;; [unrolled: 1-line block ×3, first 2 shown]
	s_set_vgpr_msb 0                        ;  msbs: dst=0 src0=0 src1=0 src2=0
	v_lshrrev_b16 v99, 8, v99
	s_set_vgpr_msb 64                       ;  msbs: dst=1 src0=0 src1=0 src2=0
	v_bfe_u32 v142 /*v398*/, v115, 12, 4
	v_bfe_u32 v143 /*v399*/, v115, 20, 4
	s_set_vgpr_msb 0                        ;  msbs: dst=0 src0=0 src1=0 src2=0
	v_add3_u32 v100, s17, v172, v144
	s_wait_dscnt 0x1
	v_lshrrev_b16 v98, 8, v96
	s_set_vgpr_msb 64                       ;  msbs: dst=1 src0=0 src1=0 src2=0
	v_and_b32_e32 v190 /*v446*/, 15, v99
	s_set_vgpr_msb 0                        ;  msbs: dst=0 src0=0 src1=0 src2=0
	v_lshrrev_b32_e32 v99, 4, v116
	v_and_b32_e32 v103, 0xff, v96
	s_wait_dscnt 0x0
	v_cvt_f32_ubyte0_e32 v96, v59
	s_set_vgpr_msb 0x45                     ;  msbs: dst=1 src0=1 src1=1 src2=0
	v_mul_i32_i24_e32 v181 /*v437*/, v142 /*v398*/, v42 /*v298*/
	s_set_vgpr_msb 0x41                     ;  msbs: dst=1 src0=1 src1=0 src2=0
	v_mul_i32_i24_e32 v179 /*v435*/, v143 /*v399*/, v108
	s_set_vgpr_msb 0                        ;  msbs: dst=0 src0=0 src1=0 src2=0
	v_lshrrev_b16 v99, 8, v99
	s_set_vgpr_msb 0x41                     ;  msbs: dst=1 src0=1 src1=0 src2=0
	v_mul_i32_i24_e32 v184 /*v440*/, v147 /*v403*/, v110
	s_set_vgpr_msb 0x45                     ;  msbs: dst=1 src0=1 src1=1 src2=0
	v_mul_i32_i24_e32 v180 /*v436*/, v140 /*v396*/, v43 /*v299*/
	v_mul_i32_i24_e32 v183 /*v439*/, v146 /*v402*/, v44 /*v300*/
	s_set_vgpr_msb 1                        ;  msbs: dst=0 src0=1 src1=0 src2=0
	v_mul_i32_i24_e32 v70, v161 /*v417*/, v101
	s_set_vgpr_msb 64                       ;  msbs: dst=1 src0=0 src1=0 src2=0
	v_and_b32_e32 v189 /*v445*/, 15, v99
	s_set_vgpr_msb 0                        ;  msbs: dst=0 src0=0 src1=0 src2=0
	v_lshrrev_b32_e32 v99, 4, v117
	s_delay_alu instid0(VALU_DEP_1) | instskip(SKIP_1) | instid1(VALU_DEP_1)
	v_lshrrev_b16 v99, 8, v99
	s_set_vgpr_msb 64                       ;  msbs: dst=1 src0=0 src1=0 src2=0
	v_and_b32_e32 v188 /*v444*/, 15, v99
	s_set_vgpr_msb 0                        ;  msbs: dst=0 src0=0 src1=0 src2=0
	v_lshrrev_b32_e32 v99, 4, v112
	s_delay_alu instid0(VALU_DEP_1) | instskip(SKIP_1) | instid1(VALU_DEP_1)
	v_lshrrev_b16 v99, 8, v99
	;; [unrolled: 6-line block ×4, first 2 shown]
	s_set_vgpr_msb 64                       ;  msbs: dst=1 src0=0 src1=0 src2=0
	v_and_b32_e32 v182 /*v438*/, 15, v99
	s_set_vgpr_msb 0                        ;  msbs: dst=0 src0=0 src1=0 src2=0
	v_and_b32_e32 v99, 0xffff, v98
	v_cvt_f32_ubyte1_e32 v98, v59
	v_add_nc_u32_e32 v59, s9, v168
	ds_load_2addr_b32 v[104:105], v59 offset1:1
	ds_load_2addr_b32 v[232:233], v59 offset0:4 offset1:5
	ds_load_2addr_b32 v[240:241], v59 offset0:6 offset1:7
	s_wait_dscnt 0x2
	v_and_b32_e32 v126, 15, v104
	v_bfe_u32 v124, v104, 8, 4
	v_bfe_u32 v173, v104, 16, 4
	;; [unrolled: 1-line block ×3, first 2 shown]
	v_and_b32_e32 v175, 15, v105
	s_set_vgpr_msb 4                        ;  msbs: dst=0 src0=0 src1=1 src2=0
	v_mul_i32_i24_e32 v102, v126, v45 /*v301*/
	v_bfe_u32 v176, v105, 8, 4
	v_mul_i32_i24_e32 v106, v173, v48 /*v304*/
	v_mul_i32_i24_e32 v107, v174, v66 /*v322*/
	v_bfe_u32 v177, v105, 16, 4
	v_mad_i32_i24 v102, v124, v49 /*v305*/, v102
	v_bfe_u32 v178, v105, 24, 4
	s_wait_dscnt 0x1
	s_set_vgpr_msb 0                        ;  msbs: dst=0 src0=0 src1=0 src2=0
	v_dual_lshrrev_b32 v212, 28, v105 :: v_dual_bitop2_b32 v187, 15, v232 bitop3:0x40
	s_set_vgpr_msb 4                        ;  msbs: dst=0 src0=0 src1=1 src2=0
	v_mul_i32_i24_e32 v109, v177, v52 /*v308*/
	s_set_vgpr_msb 0                        ;  msbs: dst=0 src0=0 src1=0 src2=0
	v_add3_u32 v102, v102, v106, v107
	s_set_vgpr_msb 4                        ;  msbs: dst=0 src0=0 src1=1 src2=0
	v_mul_i32_i24_e32 v106, v175, v50 /*v306*/
	v_mul_i32_i24_e32 v107, v176, v51 /*v307*/
	;; [unrolled: 1-line block ×3, first 2 shown]
	v_bfe_u32 v188, v232, 8, 4
	v_bfe_u32 v189, v232, 16, 4
	;; [unrolled: 1-line block ×3, first 2 shown]
	s_set_vgpr_msb 0                        ;  msbs: dst=0 src0=0 src1=0 src2=0
	v_add3_u32 v102, v102, v107, v106
	ds_load_2addr_b32 v[106:107], v59 offset0:2 offset1:3
	v_bfe_u32 v191, v233, 8, 4
	v_dual_lshrrev_b32 v204, 28, v104 :: v_dual_bitop2_b32 v192, 15, v233 bitop3:0x40
	v_add3_u32 v102, v102, v109, v111
	v_bfe_u32 v193, v233, 24, 4
	v_bfe_u32 v194, v233, 16, 4
	s_wait_dscnt 0x1
	v_bfe_u32 v195, v240, 8, 4
	v_and_b32_e32 v196, 15, v240
	v_bfe_u32 v197, v240, 24, 4
	v_bfe_u32 v199, v240, 16, 4
	v_and_b32_e32 v203, 15, v241
	v_bfe_u32 v206, v241, 8, 4
	v_bfe_u32 v201, v104, 4, 4
	v_bfe_u32 v198, v104, 20, 4
	v_bfe_u32 v200, v104, 12, 4
	s_set_vgpr_msb 4                        ;  msbs: dst=0 src0=0 src1=1 src2=0
	v_mul_i32_i24_e32 v104, v204, v178 /*v434*/
	v_bfe_u32 v208, v105, 4, 4
	v_bfe_u32 v210, v105, 12, 4
	;; [unrolled: 1-line block ×3, first 2 shown]
	s_wait_dscnt 0x0
	s_set_vgpr_msb 0                        ;  msbs: dst=0 src0=0 src1=0 src2=0
	v_and_b32_e32 v179, 15, v106
	v_bfe_u32 v180, v106, 8, 4
	v_bfe_u32 v181, v106, 16, 4
	;; [unrolled: 1-line block ×3, first 2 shown]
	v_and_b32_e32 v183, 15, v107
	s_set_vgpr_msb 4                        ;  msbs: dst=0 src0=0 src1=1 src2=0
	v_mul_i32_i24_e32 v109, v179, v54 /*v310*/
	v_mul_i32_i24_e32 v111, v180, v55 /*v311*/
	;; [unrolled: 1-line block ×4, first 2 shown]
	v_bfe_u32 v184, v107, 8, 4
	v_bfe_u32 v185, v107, 16, 4
	s_set_vgpr_msb 0                        ;  msbs: dst=0 src0=0 src1=0 src2=0
	v_add3_u32 v102, v102, v111, v109
	s_set_vgpr_msb 4                        ;  msbs: dst=0 src0=0 src1=1 src2=0
	v_mul_i32_i24_e32 v109, v183, v58 /*v314*/
	v_bfe_u32 v186, v107, 24, 4
	v_mul_i32_i24_e32 v111, v184, v59 /*v315*/
	s_set_vgpr_msb 0                        ;  msbs: dst=0 src0=0 src1=0 src2=0
	v_lshrrev_b32_e32 v216, 28, v106
	v_add3_u32 v102, v102, v115, v122
	s_set_vgpr_msb 4                        ;  msbs: dst=0 src0=0 src1=1 src2=0
	v_mul_i32_i24_e32 v115, v185, v60 /*v316*/
	v_mul_i32_i24_e32 v122, v186, v61 /*v317*/
	s_set_vgpr_msb 1                        ;  msbs: dst=0 src0=1 src1=0 src2=0
	v_mul_i32_i24_e32 v59, v71 /*v327*/, v196
	v_lshrrev_b32_e32 v221, 28, v107
	s_set_vgpr_msb 0                        ;  msbs: dst=0 src0=0 src1=0 src2=0
	v_add3_u32 v102, v102, v111, v109
	s_set_vgpr_msb 4                        ;  msbs: dst=0 src0=0 src1=1 src2=0
	v_mul_i32_i24_e32 v109, v187, v62 /*v318*/
	v_mul_i32_i24_e32 v111, v188, v63 /*v319*/
	;; [unrolled: 1-line block ×4, first 2 shown]
	s_set_vgpr_msb 0                        ;  msbs: dst=0 src0=0 src1=0 src2=0
	v_add3_u32 v102, v102, v115, v122
	s_set_vgpr_msb 4                        ;  msbs: dst=0 src0=0 src1=1 src2=0
	v_mul_i32_i24_e32 v115, v189, v64 /*v320*/
	v_mul_i32_i24_e32 v122, v190, v65 /*v321*/
	v_bfe_u32 v213, v106, 4, 4
	v_bfe_u32 v214, v106, 12, 4
	s_set_vgpr_msb 0                        ;  msbs: dst=0 src0=0 src1=0 src2=0
	v_add3_u32 v102, v102, v111, v109
	s_set_vgpr_msb 1                        ;  msbs: dst=0 src0=1 src1=0 src2=0
	v_mul_i32_i24_e32 v109, v67 /*v323*/, v192
	v_mul_i32_i24_e32 v111, v68 /*v324*/, v191
	s_set_vgpr_msb 4                        ;  msbs: dst=0 src0=0 src1=1 src2=0
	v_bfe_u32 v211, v106, 20, 4
	v_mul_i32_i24_e32 v219, v213, v153 /*v409*/
	s_set_vgpr_msb 0                        ;  msbs: dst=0 src0=0 src1=0 src2=0
	v_add3_u32 v102, v102, v115, v122
	s_set_vgpr_msb 1                        ;  msbs: dst=0 src0=1 src1=0 src2=0
	v_mul_i32_i24_e32 v115, v70 /*v326*/, v193
	v_mul_i32_i24_e32 v122, v69 /*v325*/, v194
	s_set_vgpr_msb 4                        ;  msbs: dst=0 src0=0 src1=1 src2=0
	v_mul_i32_i24_e32 v222, v214, v154 /*v410*/
	v_mul_i32_i24_e32 v224, v211, v173 /*v429*/
	s_set_vgpr_msb 0                        ;  msbs: dst=0 src0=0 src1=0 src2=0
	v_add3_u32 v102, v102, v111, v109
	s_set_vgpr_msb 1                        ;  msbs: dst=0 src0=1 src1=0 src2=0
	v_mul_i32_i24_e32 v109, v73 /*v329*/, v195
	v_mul_i32_i24_e32 v111, v76 /*v332*/, v197
	s_set_vgpr_msb 4                        ;  msbs: dst=0 src0=0 src1=1 src2=0
	v_mul_i32_i24_e32 v106, v216, v174 /*v430*/
	v_bfe_u32 v218, v107, 4, 4
	s_set_vgpr_msb 0                        ;  msbs: dst=0 src0=0 src1=0 src2=0
	v_add3_u32 v102, v102, v122, v115
	s_set_vgpr_msb 1                        ;  msbs: dst=0 src0=1 src1=0 src2=0
	v_mul_i32_i24_e32 v115, v75 /*v331*/, v199
	s_set_vgpr_msb 4                        ;  msbs: dst=0 src0=0 src1=1 src2=0
	v_bfe_u32 v220, v107, 12, 4
	v_bfe_u32 v215, v107, 20, 4
	v_mul_i32_i24_e32 v227, v218, v156 /*v412*/
	s_set_vgpr_msb 0                        ;  msbs: dst=0 src0=0 src1=0 src2=0
	v_add3_u32 v59, v102, v109, v59
	s_set_vgpr_msb 4                        ;  msbs: dst=0 src0=0 src1=1 src2=0
	v_mul_i32_i24_e32 v109, v203, v74 /*v330*/
	v_mul_i32_i24_e32 v228, v220, v170 /*v426*/
	;; [unrolled: 1-line block ×4, first 2 shown]
	s_set_vgpr_msb 0                        ;  msbs: dst=0 src0=0 src1=0 src2=0
	v_add3_u32 v102, v59, v115, v111
	s_set_vgpr_msb 4                        ;  msbs: dst=0 src0=0 src1=1 src2=0
	v_mul_i32_i24_e32 v111, v206, v72 /*v328*/
	v_mul_i32_i24_e32 v115, v198, v177 /*v433*/
	v_bfe_u32 v223, v232, 4, 4
	v_bfe_u32 v225, v232, 12, 4
	s_set_vgpr_msb 0                        ;  msbs: dst=0 src0=0 src1=0 src2=0
	v_dual_lshrrev_b32 v226, 28, v232 :: v_dual_lshrrev_b32 v234, 28, v233
	s_set_vgpr_msb 64                       ;  msbs: dst=1 src0=0 src1=0 src2=0
	v_add3_u32 v192 /*v448*/, v102, v111, v109
	s_set_vgpr_msb 4                        ;  msbs: dst=0 src0=0 src1=1 src2=0
	ds_load_u16 v102, v100
	ds_load_u16 v109, v100 offset:8
	v_mul_i32_i24_e32 v238, v223, v157 /*v413*/
	v_mul_i32_i24_e32 v243, v225, v158 /*v414*/
	v_bfe_u32 v229, v232, 20, 4
	s_set_vgpr_msb 1                        ;  msbs: dst=0 src0=1 src1=0 src2=0
	v_mul_i32_i24_e32 v247, v169 /*v425*/, v226
	s_set_vgpr_msb 0                        ;  msbs: dst=0 src0=0 src1=0 src2=0
	v_bfe_u32 v231, v233, 4, 4
	v_bfe_u32 v232, v233, 12, 4
	;; [unrolled: 1-line block ×3, first 2 shown]
	s_set_vgpr_msb 1                        ;  msbs: dst=0 src0=1 src1=0 src2=0
	v_mul_i32_i24_e32 v248, v168 /*v424*/, v229
	v_mul_i32_i24_e32 v233, v167 /*v423*/, v234
	;; [unrolled: 1-line block ×5, first 2 shown]
	s_set_vgpr_msb 0                        ;  msbs: dst=0 src0=0 src1=0 src2=0
	v_bfe_u32 v236, v240, 4, 4
	v_bfe_u32 v237, v240, 12, 4
	v_dual_lshrrev_b32 v239, 28, v240 :: v_dual_lshrrev_b32 v105, 28, v241
	v_bfe_u32 v242, v240, 20, 4
	s_set_vgpr_msb 1                        ;  msbs: dst=0 src0=1 src1=0 src2=0
	v_mul_i32_i24_e32 v253, v162 /*v418*/, v236
	s_wait_dscnt 0x1
	v_lshrrev_b16 v111, 8, v102
	v_and_b32_e32 v122, 0xff, v102
	s_set_vgpr_msb 4                        ;  msbs: dst=0 src0=0 src1=1 src2=0
	v_mul_i32_i24_e32 v102, v201, v150 /*v406*/
	s_wait_dscnt 0x0
	v_cvt_f32_ubyte0_e32 v100, v109
	s_set_vgpr_msb 1                        ;  msbs: dst=0 src0=1 src1=0 src2=0
	v_mul_i32_i24_e32 v252, v163 /*v419*/, v237
	v_mul_i32_i24_e32 v240, v165 /*v421*/, v239
	;; [unrolled: 1-line block ×3, first 2 shown]
	s_set_vgpr_msb 4                        ;  msbs: dst=0 src0=0 src1=1 src2=0
	v_mad_i32_i24 v102, v200, v149 /*v405*/, v102
	v_bfe_u32 v207, v241, 16, 4
	v_bfe_u32 v209, v241, 24, 4
	;; [unrolled: 1-line block ×4, first 2 shown]
	s_set_vgpr_msb 0                        ;  msbs: dst=0 src0=0 src1=0 src2=0
	v_add3_u32 v102, v102, v115, v104
	s_set_vgpr_msb 4                        ;  msbs: dst=0 src0=0 src1=1 src2=0
	v_mul_i32_i24_e32 v104, v208, v151 /*v407*/
	v_mul_i32_i24_e32 v115, v210, v152 /*v408*/
	v_bfe_u32 v246, v241, 20, 4
	v_mul_i32_i24_e32 v255, v244, v43 /*v299*/
	s_set_vgpr_msb 0x44                     ;  msbs: dst=1 src0=0 src1=1 src2=0
	v_mul_i32_i24_e32 v0 /*v256*/, v245, v42 /*v298*/
	s_set_vgpr_msb 64                       ;  msbs: dst=1 src0=0 src1=0 src2=0
	v_mul_i32_i24_e32 v191 /*v447*/, v209, v110
	s_set_vgpr_msb 0                        ;  msbs: dst=0 src0=0 src1=0 src2=0
	v_add3_u32 v102, v102, v104, v115
	v_cvt_f32_ubyte1_e32 v104, v109
	s_set_vgpr_msb 64                       ;  msbs: dst=1 src0=0 src1=0 src2=0
	v_mul_i32_i24_e32 v193 /*v449*/, v246, v108
	s_set_vgpr_msb 4                        ;  msbs: dst=0 src0=0 src1=1 src2=0
	v_mul_i32_i24_e32 v59, v207, v44 /*v300*/
	s_set_vgpr_msb 0                        ;  msbs: dst=0 src0=0 src1=0 src2=0
	v_add3_u32 v102, v102, v205, v217
	s_set_vgpr_msb 17                       ;  msbs: dst=0 src0=1 src1=0 src2=1
	s_delay_alu instid0(VALU_DEP_2) | instskip(SKIP_1) | instid1(VALU_DEP_2)
	v_add3_u32 v59, v192 /*v448*/, v59, v191 /*v447*/
	s_set_vgpr_msb 0                        ;  msbs: dst=0 src0=0 src1=0 src2=0
	v_add3_u32 v102, v102, v219, v222
	s_delay_alu instid0(VALU_DEP_2) | instskip(NEXT) | instid1(VALU_DEP_2)
	v_mul_lo_u32 v59, v59, v122
	v_add3_u32 v102, v102, v224, v106
	v_add_nc_u32_e32 v106, s9, v169
	s_delay_alu instid0(VALU_DEP_2)
	v_add3_u32 v102, v102, v227, v228
	s_set_vgpr_msb 64                       ;  msbs: dst=1 src0=0 src1=0 src2=0
	ds_load_2addr_b32 v[18:19] /*v[274:275]*/, v106 offset1:1
	ds_load_2addr_b32 v[26:27] /*v[282:283]*/, v106 offset0:2 offset1:3
	ds_load_2addr_b32 v[34:35] /*v[290:291]*/, v106 offset0:4 offset1:5
	;; [unrolled: 1-line block ×3, first 2 shown]
	s_set_vgpr_msb 0                        ;  msbs: dst=0 src0=0 src1=0 src2=0
	v_add3_u32 v102, v102, v230, v107
	v_and_b32_e32 v107, 0xffff, v111
	s_delay_alu instid0(VALU_DEP_2) | instskip(NEXT) | instid1(VALU_DEP_1)
	v_add3_u32 v102, v102, v238, v243
	v_add3_u32 v102, v102, v248, v247
	s_delay_alu instid0(VALU_DEP_1)
	v_add3_u32 v102, v102, v250, v249
	s_wait_dscnt 0x3
	s_set_vgpr_msb 4                        ;  msbs: dst=0 src0=0 src1=1 src2=0
	v_and_b32_e32 v219, 15, v18 /*v274*/
	s_set_vgpr_msb 1                        ;  msbs: dst=0 src0=1 src1=0 src2=0
	v_bfe_u32 v217, v18 /*v274*/, 8, 4
	v_bfe_u32 v222, v18 /*v274*/, 16, 4
	;; [unrolled: 1-line block ×3, first 2 shown]
	s_set_vgpr_msb 4                        ;  msbs: dst=0 src0=0 src1=1 src2=0
	v_and_b32_e32 v227, 15, v19 /*v275*/
	v_mul_i32_i24_e32 v109, v219, v45 /*v301*/
	s_set_vgpr_msb 1                        ;  msbs: dst=0 src0=1 src1=0 src2=0
	v_bfe_u32 v228, v19 /*v275*/, 8, 4
	s_set_vgpr_msb 4                        ;  msbs: dst=0 src0=0 src1=1 src2=0
	v_mul_i32_i24_e32 v111, v222, v48 /*v304*/
	v_mul_i32_i24_e32 v115, v224, v66 /*v322*/
	s_set_vgpr_msb 0                        ;  msbs: dst=0 src0=0 src1=0 src2=0
	v_add3_u32 v102, v102, v251, v233
	s_set_vgpr_msb 4                        ;  msbs: dst=0 src0=0 src1=1 src2=0
	v_mad_i32_i24 v109, v217, v49 /*v305*/, v109
	s_set_vgpr_msb 1                        ;  msbs: dst=0 src0=1 src1=0 src2=0
	v_bfe_u32 v230, v19 /*v275*/, 16, 4
	v_bfe_u32 v233, v19 /*v275*/, 24, 4
	s_wait_dscnt 0x2
	v_bfe_u32 v241, v26 /*v282*/, 16, 4
	s_set_vgpr_msb 0                        ;  msbs: dst=0 src0=0 src1=0 src2=0
	v_add3_u32 v102, v102, v253, v252
	v_add3_u32 v109, v109, v111, v115
	s_set_vgpr_msb 4                        ;  msbs: dst=0 src0=0 src1=1 src2=0
	v_mul_i32_i24_e32 v111, v227, v50 /*v306*/
	v_mul_i32_i24_e32 v115, v228, v51 /*v307*/
	;; [unrolled: 1-line block ×4, first 2 shown]
	s_set_vgpr_msb 0                        ;  msbs: dst=0 src0=0 src1=0 src2=0
	v_add3_u32 v102, v102, v254, v240
	s_set_vgpr_msb 1                        ;  msbs: dst=0 src0=1 src1=0 src2=0
	v_bfe_u32 v240, v26 /*v282*/, 8, 4
	s_set_vgpr_msb 0                        ;  msbs: dst=0 src0=0 src1=0 src2=0
	v_add3_u32 v109, v109, v115, v111
	s_set_vgpr_msb 1                        ;  msbs: dst=0 src0=1 src1=0 src2=0
	v_bfe_u32 v243, v26 /*v282*/, 24, 4
	v_bfe_u32 v248, v27 /*v283*/, 8, 4
	;; [unrolled: 1-line block ×3, first 2 shown]
	s_set_vgpr_msb 4                        ;  msbs: dst=0 src0=0 src1=1 src2=0
	v_mul_i32_i24_e32 v115, v240, v55 /*v311*/
	s_set_vgpr_msb 0                        ;  msbs: dst=0 src0=0 src1=0 src2=0
	v_add3_u32 v109, v109, v205, v238
	s_set_vgpr_msb 4                        ;  msbs: dst=0 src0=0 src1=1 src2=0
	v_and_b32_e32 v238, 15, v26 /*v282*/
	v_mul_i32_i24_e32 v205, v241, v56 /*v312*/
	v_mul_i32_i24_e32 v247, v243, v57 /*v313*/
	s_set_vgpr_msb 1                        ;  msbs: dst=0 src0=1 src1=0 src2=0
	v_bfe_u32 v250, v27 /*v283*/, 24, 4
	s_wait_dscnt 0x1
	v_bfe_u32 v252, v34 /*v290*/, 8, 4
	s_set_vgpr_msb 4                        ;  msbs: dst=0 src0=0 src1=1 src2=0
	v_mul_i32_i24_e32 v111, v238, v54 /*v310*/
	s_set_vgpr_msb 1                        ;  msbs: dst=0 src0=1 src1=0 src2=0
	v_bfe_u32 v253, v34 /*v290*/, 16, 4
	v_bfe_u32 v254, v34 /*v290*/, 24, 4
	s_set_vgpr_msb 4                        ;  msbs: dst=0 src0=0 src1=1 src2=0
	v_mul_i32_i24_e32 v251, v250, v61 /*v317*/
	s_set_vgpr_msb 0x50                     ;  msbs: dst=1 src0=0 src1=0 src2=1
	v_add3_u32 v194 /*v450*/, v102, v255, v0 /*v256*/
	s_set_vgpr_msb 0                        ;  msbs: dst=0 src0=0 src1=0 src2=0
	v_add3_u32 v109, v109, v115, v111
	s_set_vgpr_msb 4                        ;  msbs: dst=0 src0=0 src1=1 src2=0
	v_mul_i32_i24_e32 v115, v248, v59 /*v315*/
	v_mul_i32_i24_e32 v255, v254, v65 /*v321*/
	s_set_vgpr_msb 0x44                     ;  msbs: dst=1 src0=0 src1=1 src2=0
	v_dual_lshrrev_b32 v12 /*v268*/, 28, v18 /*v274*/ :: v_dual_bitop2_b32 v0 /*v256*/, 15, v35 /*v291*/ bitop3:0x40
	s_set_vgpr_msb 0                        ;  msbs: dst=0 src0=0 src1=0 src2=0
	v_add3_u32 v109, v109, v205, v247
	s_set_vgpr_msb 4                        ;  msbs: dst=0 src0=0 src1=1 src2=0
	v_and_b32_e32 v247, 15, v27 /*v283*/
	v_mul_i32_i24_e32 v205, v249, v60 /*v316*/
	s_set_vgpr_msb 0x41                     ;  msbs: dst=1 src0=1 src1=0 src2=0
	v_bfe_u32 v1 /*v257*/, v35 /*v291*/, 24, 4
	v_bfe_u32 v2 /*v258*/, v35 /*v291*/, 16, 4
	s_wait_dscnt 0x0
	s_set_vgpr_msb 0x44                     ;  msbs: dst=1 src0=0 src1=1 src2=0
	v_and_b32_e32 v4 /*v260*/, 15, v46 /*v302*/
	s_set_vgpr_msb 4                        ;  msbs: dst=0 src0=0 src1=1 src2=0
	v_mul_i32_i24_e32 v111, v247, v58 /*v314*/
	s_set_vgpr_msb 0x45                     ;  msbs: dst=1 src0=1 src1=1 src2=0
	v_bfe_u32 v5 /*v261*/, v46 /*v302*/, 24, 4
	v_bfe_u32 v7 /*v263*/, v46 /*v302*/, 16, 4
	v_mul_i32_i24_e32 v3 /*v259*/, v69 /*v325*/, v2 /*v258*/
	s_set_vgpr_msb 5                        ;  msbs: dst=0 src0=1 src1=1 src2=0
	v_mul_i32_i24_e32 v106, v71 /*v327*/, v4 /*v260*/
	s_set_vgpr_msb 0                        ;  msbs: dst=0 src0=0 src1=0 src2=0
	v_add3_u32 v109, v109, v115, v111
	s_set_vgpr_msb 4                        ;  msbs: dst=0 src0=0 src1=1 src2=0
	v_mul_i32_i24_e32 v115, v252, v63 /*v319*/
	s_set_vgpr_msb 0x44                     ;  msbs: dst=1 src0=0 src1=1 src2=0
	v_dual_lshrrev_b32 v23 /*v279*/, 28, v26 /*v282*/ :: v_dual_bitop2_b32 v11 /*v267*/, 15, v47 /*v303*/ bitop3:0x40
	s_set_vgpr_msb 0x41                     ;  msbs: dst=1 src0=1 src1=0 src2=0
	v_bfe_u32 v13 /*v269*/, v47 /*v303*/, 8, 4
	s_set_vgpr_msb 0                        ;  msbs: dst=0 src0=0 src1=0 src2=0
	v_add3_u32 v109, v109, v205, v251
	s_set_vgpr_msb 4                        ;  msbs: dst=0 src0=0 src1=1 src2=0
	v_and_b32_e32 v251, 15, v34 /*v290*/
	v_mul_i32_i24_e32 v205, v253, v64 /*v320*/
	s_set_vgpr_msb 0                        ;  msbs: dst=0 src0=0 src1=0 src2=0
	v_add3_u32 v102, s17, v165, v145
	s_set_vgpr_msb 0x41                     ;  msbs: dst=1 src0=1 src1=0 src2=0
	v_bfe_u32 v9 /*v265*/, v18 /*v274*/, 4, 4
	v_bfe_u32 v6 /*v262*/, v18 /*v274*/, 20, 4
	s_set_vgpr_msb 4                        ;  msbs: dst=0 src0=0 src1=1 src2=0
	v_mul_i32_i24_e32 v111, v251, v62 /*v318*/
	s_set_vgpr_msb 0x45                     ;  msbs: dst=1 src0=1 src1=1 src2=0
	v_bfe_u32 v8 /*v264*/, v18 /*v274*/, 12, 4
	v_mul_i32_i24_e32 v10 /*v266*/, v12 /*v268*/, v178 /*v434*/
	v_bfe_u32 v15 /*v271*/, v19 /*v275*/, 4, 4
	v_bfe_u32 v17 /*v273*/, v19 /*v275*/, 12, 4
	s_set_vgpr_msb 0                        ;  msbs: dst=0 src0=0 src1=0 src2=0
	v_add3_u32 v109, v109, v115, v111
	s_set_vgpr_msb 5                        ;  msbs: dst=0 src0=1 src1=1 src2=0
	v_mul_i32_i24_e32 v111, v67 /*v323*/, v0 /*v256*/
	s_set_vgpr_msb 0x45                     ;  msbs: dst=1 src0=1 src1=1 src2=0
	v_bfe_u32 v20 /*v276*/, v26 /*v282*/, 4, 4
	v_mul_i32_i24_e32 v77 /*v333*/, v15 /*v271*/, v151 /*v407*/
	v_mul_i32_i24_e32 v78 /*v334*/, v17 /*v273*/, v152 /*v408*/
	s_set_vgpr_msb 0                        ;  msbs: dst=0 src0=0 src1=0 src2=0
	v_add3_u32 v109, v109, v205, v255
	s_set_vgpr_msb 5                        ;  msbs: dst=0 src0=1 src1=1 src2=0
	v_bfe_u32 v255, v35 /*v291*/, 8, 4
	v_mul_i32_i24_e32 v205, v70 /*v326*/, v1 /*v257*/
	s_set_vgpr_msb 0x45                     ;  msbs: dst=1 src0=1 src1=1 src2=0
	v_bfe_u32 v21 /*v277*/, v26 /*v282*/, 12, 4
	v_bfe_u32 v18 /*v274*/, v26 /*v282*/, 20, 4
	v_mul_i32_i24_e32 v81 /*v337*/, v20 /*v276*/, v153 /*v409*/
	s_set_vgpr_msb 1                        ;  msbs: dst=0 src0=1 src1=0 src2=0
	v_mul_i32_i24_e32 v115, v68 /*v324*/, v255
	s_set_vgpr_msb 0x45                     ;  msbs: dst=1 src0=1 src1=1 src2=0
	v_mul_i32_i24_e32 v84 /*v340*/, v23 /*v279*/, v174 /*v430*/
	v_mul_i32_i24_e32 v82 /*v338*/, v21 /*v277*/, v154 /*v410*/
	;; [unrolled: 1-line block ×3, first 2 shown]
	v_bfe_u32 v24 /*v280*/, v27 /*v283*/, 4, 4
	s_set_vgpr_msb 0                        ;  msbs: dst=0 src0=0 src1=0 src2=0
	v_add3_u32 v109, v109, v115, v111
	s_set_vgpr_msb 5                        ;  msbs: dst=0 src0=1 src1=1 src2=0
	v_mul_i32_i24_e32 v115, v76 /*v332*/, v5 /*v261*/
	s_set_vgpr_msb 0x45                     ;  msbs: dst=1 src0=1 src1=1 src2=0
	v_bfe_u32 v25 /*v281*/, v27 /*v283*/, 12, 4
	v_bfe_u32 v22 /*v278*/, v27 /*v283*/, 20, 4
	v_mul_i32_i24_e32 v85 /*v341*/, v24 /*v280*/, v156 /*v412*/
	s_set_vgpr_msb 4                        ;  msbs: dst=0 src0=0 src1=1 src2=0
	v_add3_u32 v109, v109, v3 /*v259*/, v205
	s_set_vgpr_msb 0x41                     ;  msbs: dst=1 src0=1 src1=0 src2=0
	v_bfe_u32 v3 /*v259*/, v46 /*v302*/, 8, 4
	s_set_vgpr_msb 5                        ;  msbs: dst=0 src0=1 src1=1 src2=0
	v_mul_i32_i24_e32 v205, v75 /*v331*/, v7 /*v263*/
	s_set_vgpr_msb 0x45                     ;  msbs: dst=1 src0=1 src1=1 src2=0
	v_mul_i32_i24_e32 v86 /*v342*/, v25 /*v281*/, v170 /*v426*/
	v_dual_lshrrev_b32 v26 /*v282*/, 28, v27 /*v283*/ :: v_dual_lshrrev_b32 v29 /*v285*/, 28, v34 /*v290*/
	s_set_vgpr_msb 5                        ;  msbs: dst=0 src0=1 src1=1 src2=0
	v_mul_i32_i24_e32 v111, v73 /*v329*/, v3 /*v259*/
	s_set_vgpr_msb 0x45                     ;  msbs: dst=1 src0=1 src1=1 src2=0
	v_mul_i32_i24_e32 v87 /*v343*/, v22 /*v278*/, v171 /*v427*/
	v_bfe_u32 v27 /*v283*/, v34 /*v290*/, 4, 4
	v_mul_i32_i24_e32 v88 /*v344*/, v26 /*v282*/, v172 /*v428*/
	v_bfe_u32 v28 /*v284*/, v34 /*v290*/, 12, 4
	s_set_vgpr_msb 0                        ;  msbs: dst=0 src0=0 src1=0 src2=0
	v_add3_u32 v106, v109, v111, v106
	s_set_vgpr_msb 5                        ;  msbs: dst=0 src0=1 src1=1 src2=0
	v_mul_i32_i24_e32 v109, v11 /*v267*/, v74 /*v330*/
	v_mul_i32_i24_e32 v111, v13 /*v269*/, v72 /*v328*/
	s_set_vgpr_msb 0x45                     ;  msbs: dst=1 src0=1 src1=1 src2=0
	v_mul_i32_i24_e32 v89 /*v345*/, v27 /*v283*/, v157 /*v413*/
	v_mul_i32_i24_e32 v90 /*v346*/, v28 /*v284*/, v158 /*v414*/
	s_set_vgpr_msb 0                        ;  msbs: dst=0 src0=0 src1=0 src2=0
	v_add3_u32 v106, v106, v205, v115
	s_set_vgpr_msb 0x45                     ;  msbs: dst=1 src0=1 src1=1 src2=0
	v_bfe_u32 v30 /*v286*/, v34 /*v290*/, 20, 4
	v_mul_i32_i24_e32 v91 /*v347*/, v169 /*v425*/, v29 /*v285*/
	v_bfe_u32 v31 /*v287*/, v35 /*v291*/, 4, 4
	v_bfe_u32 v32 /*v288*/, v35 /*v291*/, 12, 4
	s_set_vgpr_msb 64                       ;  msbs: dst=1 src0=0 src1=0 src2=0
	v_add3_u32 v197 /*v453*/, v106, v111, v109
	s_set_vgpr_msb 0                        ;  msbs: dst=0 src0=0 src1=0 src2=0
	ds_load_u16 v106, v102
	ds_load_u16 v115, v102 offset:8
	s_set_vgpr_msb 5                        ;  msbs: dst=0 src0=1 src1=1 src2=0
	v_mul_i32_i24_e32 v109, v6 /*v262*/, v177 /*v433*/
	s_set_vgpr_msb 0x45                     ;  msbs: dst=1 src0=1 src1=1 src2=0
	v_mul_i32_i24_e32 v92 /*v348*/, v168 /*v424*/, v30 /*v286*/
	v_mul_i32_i24_e32 v93 /*v349*/, v160 /*v416*/, v32 /*v288*/
	;; [unrolled: 1-line block ×3, first 2 shown]
	v_dual_lshrrev_b32 v33 /*v289*/, 28, v35 /*v291*/ :: v_dual_lshrrev_b32 v37 /*v293*/, 28, v46 /*v302*/
	v_bfe_u32 v34 /*v290*/, v35 /*v291*/, 20, 4
	v_bfe_u32 v35 /*v291*/, v46 /*v302*/, 4, 4
	;; [unrolled: 1-line block ×3, first 2 shown]
	s_delay_alu instid0(VALU_DEP_4)
	v_mul_i32_i24_e32 v95 /*v351*/, v167 /*v423*/, v33 /*v289*/
	v_bfe_u32 v38 /*v294*/, v46 /*v302*/, 20, 4
	v_mul_i32_i24_e32 v96 /*v352*/, v166 /*v422*/, v34 /*v290*/
	v_mul_i32_i24_e32 v98 /*v354*/, v162 /*v418*/, v35 /*v291*/
	;; [unrolled: 1-line block ×5, first 2 shown]
	v_bfe_u32 v39 /*v295*/, v47 /*v303*/, 4, 4
	v_bfe_u32 v40 /*v296*/, v47 /*v303*/, 12, 4
	s_wait_dscnt 0x1
	s_set_vgpr_msb 0                        ;  msbs: dst=0 src0=0 src1=0 src2=0
	v_lshrrev_b16 v111, 8, v106
	v_and_b32_e32 v205, 0xff, v106
	s_set_vgpr_msb 5                        ;  msbs: dst=0 src0=1 src1=1 src2=0
	v_mul_i32_i24_e32 v106, v9 /*v265*/, v150 /*v406*/
	s_set_vgpr_msb 0x45                     ;  msbs: dst=1 src0=1 src1=1 src2=0
	v_mul_i32_i24_e32 v100 /*v356*/, v39 /*v295*/, v43 /*v299*/
	v_mul_i32_i24_e32 v101 /*v357*/, v40 /*v296*/, v42 /*v298*/
	v_bfe_u32 v14 /*v270*/, v47 /*v303*/, 16, 4
	v_bfe_u32 v16 /*v272*/, v47 /*v303*/, 24, 4
	s_set_vgpr_msb 5                        ;  msbs: dst=0 src0=1 src1=1 src2=0
	v_mad_i32_i24 v106, v8 /*v264*/, v149 /*v405*/, v106
	s_set_vgpr_msb 0x41                     ;  msbs: dst=1 src0=1 src1=0 src2=0
	v_bfe_u32 v41 /*v297*/, v47 /*v303*/, 20, 4
	s_wait_dscnt 0x0
	s_set_vgpr_msb 0                        ;  msbs: dst=0 src0=0 src1=0 src2=0
	v_cvt_f32_ubyte0_e32 v102, v115
	s_set_vgpr_msb 0x45                     ;  msbs: dst=1 src0=1 src1=1 src2=0
	v_mul_i32_i24_e32 v195 /*v451*/, v14 /*v270*/, v44 /*v300*/
	s_set_vgpr_msb 0x41                     ;  msbs: dst=1 src0=1 src1=0 src2=0
	v_mul_i32_i24_e32 v196 /*v452*/, v16 /*v272*/, v110
	s_set_vgpr_msb 16                       ;  msbs: dst=0 src0=0 src1=0 src2=1
	v_add3_u32 v106, v106, v109, v10 /*v266*/
	s_set_vgpr_msb 0x41                     ;  msbs: dst=1 src0=1 src1=0 src2=0
	v_bfe_u32 v10 /*v266*/, v19 /*v275*/, 20, 4
	s_set_vgpr_msb 0x44                     ;  msbs: dst=1 src0=0 src1=1 src2=0
	v_lshrrev_b32_e32 v19 /*v275*/, 28, v19 /*v275*/
	s_set_vgpr_msb 4                        ;  msbs: dst=0 src0=0 src1=1 src2=0
	v_lshrrev_b32_e32 v109, 28, v47 /*v303*/
	s_set_vgpr_msb 0x41                     ;  msbs: dst=1 src0=1 src1=0 src2=0
	v_mul_i32_i24_e32 v198 /*v454*/, v41 /*v297*/, v108
	s_set_vgpr_msb 20                       ;  msbs: dst=0 src0=0 src1=1 src2=1
	v_add3_u32 v106, v106, v77 /*v333*/, v78 /*v334*/
	s_set_vgpr_msb 0x45                     ;  msbs: dst=1 src0=1 src1=1 src2=0
	v_mul_i32_i24_e32 v79 /*v335*/, v10 /*v266*/, v175 /*v431*/
	v_mul_i32_i24_e32 v80 /*v336*/, v19 /*v275*/, v176 /*v432*/
	s_set_vgpr_msb 64                       ;  msbs: dst=1 src0=0 src1=0 src2=0
	v_add_nc_u32_e32 v77 /*v333*/, s9, v170
	s_set_vgpr_msb 0                        ;  msbs: dst=0 src0=0 src1=0 src2=0
	v_and_b32_e32 v111, 0xffff, v111
	s_mov_b32 s9, 8
	s_set_vgpr_msb 20                       ;  msbs: dst=0 src0=0 src1=1 src2=1
	v_add3_u32 v106, v106, v79 /*v335*/, v80 /*v336*/
	s_set_vgpr_msb 0x41                     ;  msbs: dst=1 src0=1 src1=0 src2=0
	ds_load_2addr_b32 v[204:205] /*v[460:461]*/, v77 /*v333*/ offset0:6 offset1:7
	s_set_vgpr_msb 20                       ;  msbs: dst=0 src0=0 src1=1 src2=1
	v_add3_u32 v106, v106, v81 /*v337*/, v82 /*v338*/
	s_delay_alu instid0(VALU_DEP_1) | instskip(NEXT) | instid1(VALU_DEP_1)
	v_add3_u32 v106, v106, v83 /*v339*/, v84 /*v340*/
	v_add3_u32 v106, v106, v85 /*v341*/, v86 /*v342*/
	s_set_vgpr_msb 0x41                     ;  msbs: dst=1 src0=1 src1=0 src2=0
	ds_load_2addr_b32 v[84:85] /*v[340:341]*/, v77 /*v333*/ offset1:1
	s_set_vgpr_msb 20                       ;  msbs: dst=0 src0=0 src1=1 src2=1
	v_add3_u32 v106, v106, v87 /*v343*/, v88 /*v344*/
	s_wait_dscnt 0x1
	s_set_vgpr_msb 0x41                     ;  msbs: dst=1 src0=1 src1=0 src2=0
	v_bfe_u32 v106 /*v362*/, v205 /*v461*/, 12, 4
	v_bfe_u32 v107 /*v363*/, v205 /*v461*/, 20, 4
	;; [unrolled: 1-line block ×4, first 2 shown]
	s_set_vgpr_msb 20                       ;  msbs: dst=0 src0=0 src1=1 src2=1
	v_add3_u32 v106, v106, v89 /*v345*/, v90 /*v346*/
	s_set_vgpr_msb 0x45                     ;  msbs: dst=1 src0=1 src1=1 src2=0
	v_mul_i32_i24_e32 v231 /*v487*/, v106 /*v362*/, v42 /*v298*/
	s_set_vgpr_msb 0x41                     ;  msbs: dst=1 src0=1 src1=0 src2=0
	v_mul_i32_i24_e32 v203 /*v459*/, v107 /*v363*/, v108
	v_mul_i32_i24_e32 v201 /*v457*/, v82 /*v338*/, v110
	s_set_vgpr_msb 0x45                     ;  msbs: dst=1 src0=1 src1=1 src2=0
	v_mul_i32_i24_e32 v228 /*v484*/, v163 /*v419*/, v102 /*v358*/
	s_set_vgpr_msb 20                       ;  msbs: dst=0 src0=0 src1=1 src2=1
	v_add3_u32 v106, v106, v92 /*v348*/, v91 /*v347*/
	s_set_vgpr_msb 0x41                     ;  msbs: dst=1 src0=1 src1=0 src2=0
	v_bfe_u32 v104 /*v360*/, v204 /*v460*/, 20, 4
	v_bfe_u32 v105 /*v361*/, v205 /*v461*/, 4, 4
	s_set_vgpr_msb 0x44                     ;  msbs: dst=1 src0=0 src1=1 src2=0
	v_dual_lshrrev_b32 v103 /*v359*/, 28, v204 /*v460*/ :: v_dual_lshrrev_b32 v42 /*v298*/, 28, v205 /*v461*/
	s_set_vgpr_msb 20                       ;  msbs: dst=0 src0=0 src1=1 src2=1
	v_add3_u32 v106, v106, v94 /*v350*/, v93 /*v349*/
	s_set_vgpr_msb 0x45                     ;  msbs: dst=1 src0=1 src1=1 src2=0
	ds_load_2addr_b32 v[92:93] /*v[348:349]*/, v77 /*v333*/ offset0:2 offset1:3
	v_mul_i32_i24_e32 v230 /*v486*/, v164 /*v420*/, v104 /*v360*/
	v_mul_i32_i24_e32 v43 /*v299*/, v105 /*v361*/, v43 /*v299*/
	s_set_vgpr_msb 20                       ;  msbs: dst=0 src0=0 src1=1 src2=1
	v_add3_u32 v106, v106, v96 /*v352*/, v95 /*v351*/
	s_delay_alu instid0(VALU_DEP_1) | instskip(NEXT) | instid1(VALU_DEP_1)
	v_add3_u32 v106, v106, v98 /*v354*/, v97 /*v353*/
	v_add3_u32 v106, v106, v99 /*v355*/, v46 /*v302*/
	s_set_vgpr_msb 0x54                     ;  msbs: dst=1 src0=0 src1=1 src2=1
	s_delay_alu instid0(VALU_DEP_1)
	v_add3_u32 v199 /*v455*/, v106, v100 /*v356*/, v101 /*v357*/
	s_set_vgpr_msb 0x41                     ;  msbs: dst=1 src0=1 src1=0 src2=0
	ds_load_2addr_b32 v[100:101] /*v[356:357]*/, v77 /*v333*/ offset0:4 offset1:5
	s_wait_dscnt 0x2
	s_set_vgpr_msb 0x44                     ;  msbs: dst=1 src0=0 src1=1 src2=0
	v_and_b32_e32 v46 /*v302*/, 15, v84 /*v340*/
	s_set_vgpr_msb 0x41                     ;  msbs: dst=1 src0=1 src1=0 src2=0
	v_bfe_u32 v47 /*v303*/, v84 /*v340*/, 16, 4
	s_wait_dscnt 0x1
	s_set_vgpr_msb 0x44                     ;  msbs: dst=1 src0=0 src1=1 src2=0
	v_lshrrev_b32_e32 v89 /*v345*/, 28, v92 /*v348*/
	s_set_vgpr_msb 0x55                     ;  msbs: dst=1 src0=1 src1=1 src2=1
	v_bfe_u32 v86 /*v342*/, v92 /*v348*/, 4, 4
	v_bfe_u32 v87 /*v343*/, v92 /*v348*/, 12, 4
	v_mul_i32_i24_e32 v78 /*v334*/, v46 /*v302*/, v45 /*v301*/
	v_bfe_u32 v45 /*v301*/, v84 /*v340*/, 8, 4
	v_mul_i32_i24_e32 v79 /*v335*/, v47 /*v303*/, v48 /*v304*/
	;; [unrolled: 2-line block ×3, first 2 shown]
	v_mul_i32_i24_e32 v213 /*v469*/, v87 /*v343*/, v154 /*v410*/
	v_mad_i32_i24 v49 /*v305*/, v45 /*v301*/, v49 /*v305*/, v78 /*v334*/
	v_mul_i32_i24_e32 v215 /*v471*/, v89 /*v345*/, v174 /*v430*/
	v_mul_i32_i24_e32 v66 /*v322*/, v48 /*v304*/, v66 /*v322*/
	v_bfe_u32 v90 /*v346*/, v93 /*v349*/, 4, 4
	v_bfe_u32 v91 /*v347*/, v93 /*v349*/, 12, 4
	v_bfe_u32 v88 /*v344*/, v93 /*v349*/, 20, 4
	s_set_vgpr_msb 0                        ;  msbs: dst=0 src0=0 src1=0 src2=0
	v_cvt_f32_ubyte1_e32 v106, v115
	s_set_vgpr_msb 0x55                     ;  msbs: dst=1 src0=1 src1=1 src2=1
	v_add3_u32 v66 /*v322*/, v49 /*v305*/, v79 /*v335*/, v66 /*v322*/
	s_wait_dscnt 0x0
	v_dual_lshrrev_b32 v95 /*v351*/, 28, v100 /*v356*/ :: v_dual_bitop2_b32 v49 /*v305*/, 15, v85 /*v341*/ bitop3:0x40
	v_lshrrev_b32_e32 v99 /*v355*/, 28, v101 /*v357*/
	v_mul_i32_i24_e32 v216 /*v472*/, v90 /*v346*/, v156 /*v412*/
	v_mul_i32_i24_e32 v217 /*v473*/, v91 /*v347*/, v170 /*v426*/
	s_delay_alu instid0(VALU_DEP_4)
	v_mul_i32_i24_e32 v78 /*v334*/, v49 /*v305*/, v50 /*v306*/
	v_bfe_u32 v50 /*v306*/, v85 /*v341*/, 8, 4
	v_mul_i32_i24_e32 v218 /*v474*/, v88 /*v344*/, v171 /*v427*/
	v_bfe_u32 v94 /*v350*/, v100 /*v356*/, 12, 4
	v_bfe_u32 v96 /*v352*/, v100 /*v356*/, 20, 4
	v_mul_i32_i24_e32 v222 /*v478*/, v169 /*v425*/, v95 /*v351*/
	v_mul_i32_i24_e32 v79 /*v335*/, v50 /*v306*/, v51 /*v307*/
	v_bfe_u32 v51 /*v307*/, v85 /*v341*/, 16, 4
	v_mul_i32_i24_e32 v221 /*v477*/, v94 /*v350*/, v158 /*v414*/
	v_mul_i32_i24_e32 v223 /*v479*/, v168 /*v424*/, v96 /*v352*/
	v_bfe_u32 v97 /*v353*/, v101 /*v357*/, 4, 4
	v_add3_u32 v66 /*v322*/, v66 /*v322*/, v79 /*v335*/, v78 /*v334*/
	v_mul_i32_i24_e32 v80 /*v336*/, v51 /*v307*/, v52 /*v308*/
	v_bfe_u32 v52 /*v308*/, v85 /*v341*/, 24, 4
	v_bfe_u32 v98 /*v354*/, v101 /*v357*/, 12, 4
	s_set_vgpr_msb 0                        ;  msbs: dst=0 src0=0 src1=0 src2=0
	v_add3_u32 v115, s17, v166, v146
	s_set_vgpr_msb 0x45                     ;  msbs: dst=1 src0=1 src1=1 src2=0
	v_mul_i32_i24_e32 v225 /*v481*/, v159 /*v415*/, v97 /*v353*/
	s_set_vgpr_msb 0                        ;  msbs: dst=0 src0=0 src1=0 src2=0
	ds_load_u16 v110, v115
	ds_load_u16 v115, v115 offset:8
	s_set_vgpr_msb 0x55                     ;  msbs: dst=1 src0=1 src1=1 src2=1
	v_mul_i32_i24_e32 v53 /*v309*/, v52 /*v308*/, v53 /*v309*/
	v_mul_i32_i24_e32 v224 /*v480*/, v160 /*v416*/, v98 /*v354*/
	;; [unrolled: 1-line block ×5, first 2 shown]
	v_add3_u32 v66 /*v322*/, v66 /*v322*/, v80 /*v336*/, v53 /*v309*/
	v_and_b32_e32 v53 /*v309*/, 15, v92 /*v348*/
	s_delay_alu instid0(VALU_DEP_1) | instskip(SKIP_1) | instid1(VALU_DEP_1)
	v_mul_i32_i24_e32 v78 /*v334*/, v53 /*v309*/, v54 /*v310*/
	v_bfe_u32 v54 /*v310*/, v92 /*v348*/, 8, 4
	v_mul_i32_i24_e32 v79 /*v335*/, v54 /*v310*/, v55 /*v311*/
	v_bfe_u32 v55 /*v311*/, v92 /*v348*/, 16, 4
	s_wait_dscnt 0x1
	s_set_vgpr_msb 64                       ;  msbs: dst=1 src0=0 src1=0 src2=0
	v_lshrrev_b16 v206 /*v462*/, 8, v110
	s_set_vgpr_msb 0x55                     ;  msbs: dst=1 src0=1 src1=1 src2=1
	v_add3_u32 v66 /*v322*/, v66 /*v322*/, v79 /*v335*/, v78 /*v334*/
	v_mul_i32_i24_e32 v80 /*v336*/, v55 /*v311*/, v56 /*v312*/
	v_bfe_u32 v56 /*v312*/, v92 /*v348*/, 24, 4
	s_delay_alu instid0(VALU_DEP_1) | instskip(NEXT) | instid1(VALU_DEP_1)
	v_mul_i32_i24_e32 v57 /*v313*/, v56 /*v312*/, v57 /*v313*/
	v_add3_u32 v66 /*v322*/, v66 /*v322*/, v80 /*v336*/, v57 /*v313*/
	v_and_b32_e32 v57 /*v313*/, 15, v93 /*v349*/
	s_delay_alu instid0(VALU_DEP_1) | instskip(SKIP_1) | instid1(VALU_DEP_1)
	v_mul_i32_i24_e32 v78 /*v334*/, v57 /*v313*/, v58 /*v314*/
	v_bfe_u32 v58 /*v314*/, v93 /*v349*/, 8, 4
	v_mul_i32_i24_e32 v79 /*v335*/, v58 /*v314*/, v59 /*v315*/
	v_bfe_u32 v59 /*v315*/, v93 /*v349*/, 16, 4
	s_delay_alu instid0(VALU_DEP_2) | instskip(NEXT) | instid1(VALU_DEP_2)
	v_add3_u32 v66 /*v322*/, v66 /*v322*/, v79 /*v335*/, v78 /*v334*/
	v_mul_i32_i24_e32 v80 /*v336*/, v59 /*v315*/, v60 /*v316*/
	v_bfe_u32 v60 /*v316*/, v93 /*v349*/, 24, 4
	s_delay_alu instid0(VALU_DEP_1) | instskip(NEXT) | instid1(VALU_DEP_1)
	v_mul_i32_i24_e32 v61 /*v317*/, v60 /*v316*/, v61 /*v317*/
	v_add3_u32 v66 /*v322*/, v66 /*v322*/, v80 /*v336*/, v61 /*v317*/
	v_and_b32_e32 v61 /*v317*/, 15, v100 /*v356*/
	s_delay_alu instid0(VALU_DEP_1) | instskip(SKIP_1) | instid1(VALU_DEP_1)
	v_mul_i32_i24_e32 v78 /*v334*/, v61 /*v317*/, v62 /*v318*/
	v_bfe_u32 v62 /*v318*/, v100 /*v356*/, 8, 4
	v_mul_i32_i24_e32 v79 /*v335*/, v62 /*v318*/, v63 /*v319*/
	v_bfe_u32 v63 /*v319*/, v100 /*v356*/, 16, 4
	s_delay_alu instid0(VALU_DEP_2) | instskip(NEXT) | instid1(VALU_DEP_2)
	v_add3_u32 v66 /*v322*/, v66 /*v322*/, v79 /*v335*/, v78 /*v334*/
	v_mul_i32_i24_e32 v80 /*v336*/, v63 /*v319*/, v64 /*v320*/
	v_bfe_u32 v64 /*v320*/, v100 /*v356*/, 24, 4
	s_delay_alu instid0(VALU_DEP_1) | instskip(NEXT) | instid1(VALU_DEP_1)
	v_mul_i32_i24_e32 v65 /*v321*/, v64 /*v320*/, v65 /*v321*/
	v_add3_u32 v78 /*v334*/, v66 /*v322*/, v80 /*v336*/, v65 /*v321*/
	v_bfe_u32 v65 /*v321*/, v101 /*v357*/, 8, 4
	v_and_b32_e32 v66 /*v322*/, 15, v101 /*v357*/
	s_delay_alu instid0(VALU_DEP_2) | instskip(NEXT) | instid1(VALU_DEP_2)
	v_mul_i32_i24_e32 v80 /*v336*/, v68 /*v324*/, v65 /*v321*/
	v_mul_i32_i24_e32 v79 /*v335*/, v67 /*v323*/, v66 /*v322*/
	v_bfe_u32 v67 /*v323*/, v101 /*v357*/, 24, 4
	v_bfe_u32 v68 /*v324*/, v101 /*v357*/, 16, 4
	s_delay_alu instid0(VALU_DEP_3) | instskip(NEXT) | instid1(VALU_DEP_3)
	v_add3_u32 v78 /*v334*/, v78 /*v334*/, v80 /*v336*/, v79 /*v335*/
	v_mul_i32_i24_e32 v70 /*v326*/, v70 /*v326*/, v67 /*v323*/
	s_delay_alu instid0(VALU_DEP_3) | instskip(SKIP_1) | instid1(VALU_DEP_2)
	v_mul_i32_i24_e32 v69 /*v325*/, v69 /*v325*/, v68 /*v324*/
	v_bfe_u32 v80 /*v336*/, v205 /*v461*/, 16, 4
	v_add3_u32 v78 /*v334*/, v78 /*v334*/, v69 /*v325*/, v70 /*v326*/
	v_bfe_u32 v69 /*v325*/, v204 /*v460*/, 8, 4
	v_and_b32_e32 v70 /*v326*/, 15, v204 /*v460*/
	s_delay_alu instid0(VALU_DEP_4)
	v_mul_i32_i24_e32 v200 /*v456*/, v80 /*v336*/, v44 /*v300*/
	s_set_vgpr_msb 64                       ;  msbs: dst=1 src0=0 src1=0 src2=0
	v_and_b32_e32 v44 /*v300*/, 0xff, v110
	s_wait_dscnt 0x0
	s_set_vgpr_msb 0                        ;  msbs: dst=0 src0=0 src1=0 src2=0
	v_cvt_f32_ubyte0_e32 v110, v115
	s_set_vgpr_msb 0x55                     ;  msbs: dst=1 src0=1 src1=1 src2=1
	v_mul_i32_i24_e32 v79 /*v335*/, v73 /*v329*/, v69 /*v325*/
	v_mul_i32_i24_e32 v77 /*v333*/, v71 /*v327*/, v70 /*v326*/
	v_bfe_u32 v71 /*v327*/, v204 /*v460*/, 24, 4
	v_bfe_u32 v73 /*v329*/, v204 /*v460*/, 16, 4
	s_delay_alu instid0(VALU_DEP_3) | instskip(NEXT) | instid1(VALU_DEP_3)
	v_add3_u32 v77 /*v333*/, v78 /*v334*/, v79 /*v335*/, v77 /*v333*/
	v_mul_i32_i24_e32 v76 /*v332*/, v76 /*v332*/, v71 /*v327*/
	s_delay_alu instid0(VALU_DEP_3) | instskip(SKIP_2) | instid1(VALU_DEP_3)
	v_mul_i32_i24_e32 v75 /*v331*/, v75 /*v331*/, v73 /*v329*/
	v_bfe_u32 v79 /*v335*/, v205 /*v461*/, 8, 4
	v_lshrrev_b32_e32 v78 /*v334*/, 28, v84 /*v340*/
	v_add3_u32 v75 /*v331*/, v77 /*v333*/, v75 /*v331*/, v76 /*v332*/
	v_and_b32_e32 v77 /*v333*/, 15, v205 /*v461*/
	s_delay_alu instid0(VALU_DEP_4) | instskip(NEXT) | instid1(VALU_DEP_4)
	v_mul_i32_i24_e32 v72 /*v328*/, v79 /*v335*/, v72 /*v328*/
	v_mul_i32_i24_e32 v83 /*v339*/, v78 /*v334*/, v178 /*v434*/
	s_delay_alu instid0(VALU_DEP_3) | instskip(NEXT) | instid1(VALU_DEP_1)
	v_mul_i32_i24_e32 v74 /*v330*/, v77 /*v333*/, v74 /*v330*/
	v_add3_u32 v202 /*v458*/, v75 /*v331*/, v72 /*v328*/, v74 /*v330*/
	v_bfe_u32 v75 /*v331*/, v84 /*v340*/, 4, 4
	v_bfe_u32 v72 /*v328*/, v84 /*v340*/, 20, 4
	;; [unrolled: 1-line block ×4, first 2 shown]
	v_lshrrev_b32_e32 v92 /*v348*/, 28, v93 /*v349*/
	v_mul_i32_i24_e32 v76 /*v332*/, v75 /*v331*/, v150 /*v406*/
	v_mul_i32_i24_e32 v81 /*v337*/, v72 /*v328*/, v177 /*v433*/
	v_bfe_u32 v93 /*v349*/, v100 /*v356*/, 4, 4
	v_mul_i32_i24_e32 v214 /*v470*/, v84 /*v340*/, v173 /*v429*/
	v_mul_i32_i24_e32 v219 /*v475*/, v92 /*v348*/, v172 /*v428*/
	v_mad_i32_i24 v76 /*v332*/, v74 /*v330*/, v149 /*v405*/, v76 /*v332*/
	v_bfe_u32 v100 /*v356*/, v101 /*v357*/, 20, 4
	v_mul_i32_i24_e32 v220 /*v476*/, v93 /*v349*/, v157 /*v413*/
	v_bfe_u32 v101 /*v357*/, v204 /*v460*/, 4, 4
	v_mul_i32_i24_e32 v204 /*v460*/, v165 /*v421*/, v103 /*v359*/
	v_add3_u32 v207 /*v463*/, v76 /*v332*/, v81 /*v337*/, v83 /*v339*/
	v_bfe_u32 v81 /*v337*/, v85 /*v341*/, 4, 4
	v_bfe_u32 v83 /*v339*/, v85 /*v341*/, 12, 4
	;; [unrolled: 1-line block ×3, first 2 shown]
	v_lshrrev_b32_e32 v85 /*v341*/, 28, v85 /*v341*/
	v_mul_i32_i24_e32 v227 /*v483*/, v166 /*v422*/, v100 /*v356*/
	v_mul_i32_i24_e32 v208 /*v464*/, v81 /*v337*/, v151 /*v407*/
	;; [unrolled: 1-line block ×7, first 2 shown]
	s_set_vgpr_msb 21                       ;  msbs: dst=0 src0=1 src1=1 src2=1
	v_add3_u32 v108, v207 /*v463*/, v208 /*v464*/, v209 /*v465*/
	s_set_vgpr_msb 0x45                     ;  msbs: dst=1 src0=1 src1=1 src2=0
	v_mul_i32_i24_e32 v165 /*v421*/, v136 /*v392*/, v165 /*v421*/
	s_set_vgpr_msb 20                       ;  msbs: dst=0 src0=0 src1=1 src2=1
	s_delay_alu instid0(VALU_DEP_2) | instskip(NEXT) | instid1(VALU_DEP_1)
	v_add3_u32 v108, v108, v210 /*v466*/, v211 /*v467*/
	v_add3_u32 v108, v108, v212 /*v468*/, v213 /*v469*/
	s_delay_alu instid0(VALU_DEP_1) | instskip(NEXT) | instid1(VALU_DEP_1)
	v_add3_u32 v108, v108, v214 /*v470*/, v215 /*v471*/
	v_add3_u32 v108, v108, v216 /*v472*/, v217 /*v473*/
	s_delay_alu instid0(VALU_DEP_1) | instskip(NEXT) | instid1(VALU_DEP_1)
	;; [unrolled: 3-line block ×4, first 2 shown]
	v_add3_u32 v108, v108, v227 /*v483*/, v226 /*v482*/
	v_add3_u32 v108, v108, v229 /*v485*/, v228 /*v484*/
	s_delay_alu instid0(VALU_DEP_1) | instskip(SKIP_1) | instid1(VALU_DEP_1)
	v_add3_u32 v108, v108, v230 /*v486*/, v204 /*v460*/
	s_set_vgpr_msb 0x54                     ;  msbs: dst=1 src0=0 src1=1 src2=1
	v_add3_u32 v204 /*v460*/, v108, v43 /*v299*/, v231 /*v487*/
	s_set_vgpr_msb 0                        ;  msbs: dst=0 src0=0 src1=0 src2=0
	v_cvt_f32_ubyte1_e32 v108, v115
	v_or_b32_e32 v115, s8, v137
	s_set_vgpr_msb 0x44                     ;  msbs: dst=1 src0=0 src1=1 src2=0
	v_and_b32_e32 v43 /*v299*/, 0xffff, v206 /*v462*/
	s_set_vgpr_msb 0x41                     ;  msbs: dst=1 src0=1 src1=0 src2=0
	s_delay_alu instid0(VALU_DEP_2)
	v_dual_lshlrev_b32 v205 /*v461*/, 2, v115 :: v_dual_lshrrev_b32 v222 /*v478*/, 1, v115
	ds_load_b128 v[206:209] /*v[462:465]*/, v205 /*v461*/ offset:16896
	ds_load_b128 v[210:213] /*v[466:469]*/, v205 /*v461*/ offset:16912
	;; [unrolled: 1-line block ×4, first 2 shown]
	s_wait_dscnt 0x3
	v_bfe_i32 v205 /*v461*/, v206 /*v462*/, 0, 8
	v_bfe_i32 v223 /*v479*/, v206 /*v462*/, 8, 8
	v_bfe_i32 v224 /*v480*/, v206 /*v462*/, 16, 8
	s_set_vgpr_msb 0x44                     ;  msbs: dst=1 src0=0 src1=1 src2=0
	v_ashrrev_i32_e32 v206 /*v462*/, 24, v206 /*v462*/
	s_set_vgpr_msb 0x41                     ;  msbs: dst=1 src0=1 src1=0 src2=0
	v_bfe_i32 v225 /*v481*/, v207 /*v463*/, 0, 8
	s_set_vgpr_msb 1                        ;  msbs: dst=0 src0=1 src1=0 src2=0
	v_mul_i32_i24_e32 v115, v205 /*v461*/, v121
	s_set_vgpr_msb 0x41                     ;  msbs: dst=1 src0=1 src1=0 src2=0
	v_bfe_i32 v226 /*v482*/, v207 /*v463*/, 8, 8
	v_bfe_i32 v227 /*v483*/, v207 /*v463*/, 16, 8
	s_set_vgpr_msb 0x45                     ;  msbs: dst=1 src0=1 src1=1 src2=0
	v_ashrrev_i32_e32 v207 /*v463*/, 24, v207 /*v463*/
	v_mul_i32_i24_e32 v246 /*v502*/, v224 /*v480*/, v108 /*v364*/
	v_mul_i32_i24_e32 v247 /*v503*/, v206 /*v462*/, v109 /*v365*/
	s_set_vgpr_msb 1                        ;  msbs: dst=0 src0=1 src1=0 src2=0
	v_mad_i32_i24 v115, v223 /*v479*/, v120, v115
	s_set_vgpr_msb 0x45                     ;  msbs: dst=1 src0=1 src1=1 src2=0
	v_bfe_i32 v228 /*v484*/, v208 /*v464*/, 0, 8
	v_bfe_i32 v229 /*v485*/, v208 /*v464*/, 8, 8
	v_mul_i32_i24_e32 v248 /*v504*/, v227 /*v483*/, v112 /*v368*/
	v_mul_i32_i24_e32 v249 /*v505*/, v207 /*v463*/, v113 /*v369*/
	s_set_vgpr_msb 20                       ;  msbs: dst=0 src0=0 src1=1 src2=1
	v_add3_u32 v115, v115, v246 /*v502*/, v247 /*v503*/
	s_set_vgpr_msb 0x45                     ;  msbs: dst=1 src0=1 src1=1 src2=0
	v_mul_i32_i24_e32 v246 /*v502*/, v225 /*v481*/, v110 /*v366*/
	v_mul_i32_i24_e32 v247 /*v503*/, v226 /*v482*/, v111 /*v367*/
	v_bfe_i32 v230 /*v486*/, v208 /*v464*/, 16, 8
	v_ashrrev_i32_e32 v208 /*v464*/, 24, v208 /*v464*/
	v_mul_i32_i24_e32 v250 /*v506*/, v228 /*v484*/, v114 /*v370*/
	v_mul_i32_i24_e32 v251 /*v507*/, v229 /*v485*/, v115 /*v371*/
	s_set_vgpr_msb 20                       ;  msbs: dst=0 src0=0 src1=1 src2=1
	v_add3_u32 v115, v115, v246 /*v502*/, v247 /*v503*/
	s_set_vgpr_msb 0x41                     ;  msbs: dst=1 src0=1 src1=0 src2=0
	v_bfe_i32 v231 /*v487*/, v209 /*v465*/, 0, 8
	v_bfe_i32 v232 /*v488*/, v209 /*v465*/, 8, 8
	;; [unrolled: 1-line block ×3, first 2 shown]
	s_set_vgpr_msb 0x44                     ;  msbs: dst=1 src0=0 src1=1 src2=0
	v_ashrrev_i32_e32 v209 /*v465*/, 24, v209 /*v465*/
	s_set_vgpr_msb 20                       ;  msbs: dst=0 src0=0 src1=1 src2=1
	v_add3_u32 v115, v115, v248 /*v504*/, v249 /*v505*/
	s_set_vgpr_msb 0x45                     ;  msbs: dst=1 src0=1 src1=1 src2=0
	v_mul_i32_i24_e32 v252 /*v508*/, v230 /*v486*/, v116 /*v372*/
	v_mul_i32_i24_e32 v253 /*v509*/, v208 /*v464*/, v117 /*v373*/
	;; [unrolled: 1-line block ×4, first 2 shown]
	s_set_vgpr_msb 20                       ;  msbs: dst=0 src0=0 src1=1 src2=1
	v_add3_u32 v115, v115, v250 /*v506*/, v251 /*v507*/
	s_wait_dscnt 0x2
	s_set_vgpr_msb 0x41                     ;  msbs: dst=1 src0=1 src1=0 src2=0
	v_bfe_i32 v234 /*v490*/, v210 /*v466*/, 0, 8
	v_bfe_i32 v235 /*v491*/, v210 /*v466*/, 8, 8
	s_set_vgpr_msb 5                        ;  msbs: dst=0 src0=1 src1=1 src2=0
	v_mul_i32_i24_e32 v61, v233 /*v489*/, v120 /*v376*/
	v_mul_i32_i24_e32 v41, v209 /*v465*/, v121 /*v377*/
	s_set_vgpr_msb 20                       ;  msbs: dst=0 src0=0 src1=1 src2=1
	v_add3_u32 v115, v115, v252 /*v508*/, v253 /*v509*/
	s_set_vgpr_msb 0x41                     ;  msbs: dst=1 src0=1 src1=0 src2=0
	v_bfe_i32 v236 /*v492*/, v210 /*v466*/, 16, 8
	s_set_vgpr_msb 0x44                     ;  msbs: dst=1 src0=0 src1=1 src2=0
	v_ashrrev_i32_e32 v210 /*v466*/, 24, v210 /*v466*/
	s_set_vgpr_msb 5                        ;  msbs: dst=0 src0=1 src1=1 src2=0
	v_mul_i32_i24_e32 v65, v234 /*v490*/, v122 /*v378*/
	v_mul_i32_i24_e32 v69, v235 /*v491*/, v123 /*v379*/
	s_set_vgpr_msb 20                       ;  msbs: dst=0 src0=0 src1=1 src2=1
	v_add3_u32 v115, v115, v254 /*v510*/, v255 /*v511*/
	s_set_vgpr_msb 0x41                     ;  msbs: dst=1 src0=1 src1=0 src2=0
	v_bfe_i32 v237 /*v493*/, v211 /*v467*/, 0, 8
	v_bfe_i32 v238 /*v494*/, v211 /*v467*/, 8, 8
	;; [unrolled: 1-line block ×3, first 2 shown]
	s_set_vgpr_msb 0x44                     ;  msbs: dst=1 src0=0 src1=1 src2=0
	v_ashrrev_i32_e32 v211 /*v467*/, 24, v211 /*v467*/
	s_set_vgpr_msb 0                        ;  msbs: dst=0 src0=0 src1=0 src2=0
	v_add3_u32 v41, v115, v61, v41
	s_set_vgpr_msb 5                        ;  msbs: dst=0 src0=1 src1=1 src2=0
	v_mul_i32_i24_e32 v91, v236 /*v492*/, v124 /*v380*/
	v_mul_i32_i24_e32 v93, v210 /*v466*/, v125 /*v381*/
	;; [unrolled: 1-line block ×4, first 2 shown]
	s_set_vgpr_msb 0                        ;  msbs: dst=0 src0=0 src1=0 src2=0
	v_add3_u32 v41, v41, v65, v69
	s_set_vgpr_msb 0x41                     ;  msbs: dst=1 src0=1 src1=0 src2=0
	v_bfe_i32 v240 /*v496*/, v212 /*v468*/, 0, 8
	v_bfe_i32 v241 /*v497*/, v212 /*v468*/, 8, 8
	s_set_vgpr_msb 5                        ;  msbs: dst=0 src0=1 src1=1 src2=0
	v_mul_i32_i24_e32 v150, v129 /*v385*/, v239 /*v495*/
	v_mul_i32_i24_e32 v151, v128 /*v384*/, v211 /*v467*/
	s_set_vgpr_msb 0                        ;  msbs: dst=0 src0=0 src1=0 src2=0
	v_add3_u32 v41, v41, v91, v93
	s_set_vgpr_msb 4                        ;  msbs: dst=0 src0=0 src1=1 src2=0
	v_and_b32_e32 v115, 0xffff, v148 /*v404*/
	s_set_vgpr_msb 64                       ;  msbs: dst=1 src0=0 src1=0 src2=0
	v_bfe_u32 v148 /*v404*/, v118, 20, 4
	s_set_vgpr_msb 0                        ;  msbs: dst=0 src0=0 src1=0 src2=0
	v_bfe_u32 v118, v118, 4, 4
	s_set_vgpr_msb 0x41                     ;  msbs: dst=1 src0=1 src1=0 src2=0
	v_bfe_i32 v242 /*v498*/, v212 /*v468*/, 16, 8
	s_set_vgpr_msb 0                        ;  msbs: dst=0 src0=0 src1=0 src2=0
	v_add3_u32 v41, v41, v148, v149
	s_set_vgpr_msb 0x44                     ;  msbs: dst=1 src0=0 src1=1 src2=0
	v_ashrrev_i32_e32 v212 /*v468*/, 24, v212 /*v468*/
	s_set_vgpr_msb 5                        ;  msbs: dst=0 src0=1 src1=1 src2=0
	v_mul_i32_i24_e32 v152, v137 /*v393*/, v240 /*v496*/
	v_mul_i32_i24_e32 v153, v130 /*v386*/, v241 /*v497*/
	s_set_vgpr_msb 4                        ;  msbs: dst=0 src0=0 src1=1 src2=0
	v_mul_i32_i24_e32 v61, v118, v150 /*v406*/
	s_set_vgpr_msb 0                        ;  msbs: dst=0 src0=0 src1=0 src2=0
	v_add3_u32 v41, v41, v150, v151
	s_set_vgpr_msb 0x41                     ;  msbs: dst=1 src0=1 src1=0 src2=0
	v_bfe_i32 v243 /*v499*/, v213 /*v469*/, 0, 8
	v_bfe_i32 v244 /*v500*/, v213 /*v469*/, 8, 8
	;; [unrolled: 1-line block ×3, first 2 shown]
	s_set_vgpr_msb 0x44                     ;  msbs: dst=1 src0=0 src1=1 src2=0
	v_ashrrev_i32_e32 v213 /*v469*/, 24, v213 /*v469*/
	s_set_vgpr_msb 5                        ;  msbs: dst=0 src0=1 src1=1 src2=0
	v_mul_i32_i24_e32 v154, v141 /*v397*/, v242 /*v498*/
	v_mul_i32_i24_e32 v155, v138 /*v394*/, v212 /*v468*/
	s_set_vgpr_msb 0                        ;  msbs: dst=0 src0=0 src1=0 src2=0
	v_add3_u32 v41, v41, v152, v153
	s_set_vgpr_msb 5                        ;  msbs: dst=0 src0=1 src1=1 src2=0
	v_mul_i32_i24_e32 v65, v148 /*v404*/, v177 /*v433*/
	v_mul_i32_i24_e32 v69, v139 /*v395*/, v178 /*v434*/
	s_set_vgpr_msb 4                        ;  msbs: dst=0 src0=0 src1=1 src2=0
	v_mad_i32_i24 v61, v115, v149 /*v405*/, v61
	s_set_vgpr_msb 0x44                     ;  msbs: dst=1 src0=0 src1=1 src2=0
	v_bfe_u32 v149 /*v405*/, v119, 20, 4
	v_and_b32_e32 v150 /*v406*/, 0xffff, v190 /*v446*/
	s_set_vgpr_msb 0                        ;  msbs: dst=0 src0=0 src1=0 src2=0
	v_bfe_u32 v119, v119, 4, 4
	s_set_vgpr_msb 5                        ;  msbs: dst=0 src0=1 src1=1 src2=0
	v_mul_i32_i24_e32 v156, v243 /*v499*/, v144 /*v400*/
	v_mul_i32_i24_e32 v157, v244 /*v500*/, v145 /*v401*/
	s_set_vgpr_msb 0                        ;  msbs: dst=0 src0=0 src1=0 src2=0
	v_add3_u32 v41, v41, v154, v155
	v_add3_u32 v61, v61, v65, v69
	s_set_vgpr_msb 4                        ;  msbs: dst=0 src0=0 src1=1 src2=0
	v_mul_i32_i24_e32 v154, v119, v151 /*v407*/
	s_set_vgpr_msb 5                        ;  msbs: dst=0 src0=1 src1=1 src2=0
	v_mul_i32_i24_e32 v155, v150 /*v406*/, v152 /*v408*/
	s_set_vgpr_msb 64                       ;  msbs: dst=1 src0=0 src1=0 src2=0
	v_bfe_u32 v151 /*v407*/, v116, 20, 4
	s_set_vgpr_msb 0                        ;  msbs: dst=0 src0=0 src1=0 src2=0
	v_add3_u32 v41, v41, v156, v157
	s_set_vgpr_msb 5                        ;  msbs: dst=0 src0=1 src1=1 src2=0
	v_mul_i32_i24_e32 v156, v149 /*v405*/, v175 /*v431*/
	v_mul_i32_i24_e32 v157, v131 /*v387*/, v176 /*v432*/
	s_set_vgpr_msb 0                        ;  msbs: dst=0 src0=0 src1=0 src2=0
	v_add3_u32 v61, v61, v154, v155
	s_set_vgpr_msb 0x44                     ;  msbs: dst=1 src0=0 src1=1 src2=0
	v_and_b32_e32 v152 /*v408*/, 0xffff, v189 /*v445*/
	s_set_vgpr_msb 0                        ;  msbs: dst=0 src0=0 src1=0 src2=0
	v_bfe_u32 v116, v116, 4, 4
	s_set_vgpr_msb 0x45                     ;  msbs: dst=1 src0=1 src1=1 src2=0
	v_mul_i32_i24_e32 v173 /*v429*/, v151 /*v407*/, v173 /*v429*/
	s_set_vgpr_msb 5                        ;  msbs: dst=0 src0=1 src1=1 src2=0
	v_mul_i32_i24_e32 v158, v245 /*v501*/, v146 /*v402*/
	s_set_vgpr_msb 0                        ;  msbs: dst=0 src0=0 src1=0 src2=0
	v_add3_u32 v61, v61, v156, v157
	s_set_vgpr_msb 0x45                     ;  msbs: dst=1 src0=1 src1=1 src2=0
	v_mul_i32_i24_e32 v154 /*v410*/, v152 /*v408*/, v154 /*v410*/
	s_set_vgpr_msb 0x44                     ;  msbs: dst=1 src0=0 src1=1 src2=0
	v_mul_i32_i24_e32 v153 /*v409*/, v116, v153 /*v409*/
	s_set_vgpr_msb 5                        ;  msbs: dst=0 src0=1 src1=1 src2=0
	v_mul_i32_i24_e32 v159, v213 /*v469*/, v147 /*v403*/
	s_wait_dscnt 0x0
	v_bfe_i32 v163, v221 /*v477*/, 0, 8
	v_bfe_i32 v58, v221 /*v477*/, 8, 8
	v_bfe_i32 v60, v221 /*v477*/, 16, 8
	s_set_vgpr_msb 20                       ;  msbs: dst=0 src0=0 src1=1 src2=1
	v_add3_u32 v61, v61, v153 /*v409*/, v154 /*v410*/
	s_set_vgpr_msb 0x44                     ;  msbs: dst=1 src0=0 src1=1 src2=0
	v_bfe_u32 v153 /*v409*/, v117, 20, 4
	v_and_b32_e32 v154 /*v410*/, 0xffff, v188 /*v444*/
	s_set_vgpr_msb 0                        ;  msbs: dst=0 src0=0 src1=0 src2=0
	v_bfe_u32 v117, v117, 4, 4
	v_add3_u32 v41, v41, v158, v159
	s_set_vgpr_msb 20                       ;  msbs: dst=0 src0=0 src1=1 src2=1
	v_add3_u32 v61, v61, v173 /*v429*/, v174 /*v430*/
	s_set_vgpr_msb 0x45                     ;  msbs: dst=1 src0=1 src1=1 src2=0
	v_mul_i32_i24_e32 v171 /*v427*/, v153 /*v409*/, v171 /*v427*/
	v_mul_i32_i24_e32 v170 /*v426*/, v154 /*v410*/, v170 /*v426*/
	s_set_vgpr_msb 0x44                     ;  msbs: dst=1 src0=0 src1=1 src2=0
	v_mul_i32_i24_e32 v156 /*v412*/, v117, v156 /*v412*/
	s_set_vgpr_msb 21                       ;  msbs: dst=0 src0=1 src1=1 src2=1
	v_add3_u32 v158, v185 /*v441*/, v183 /*v439*/, v184 /*v440*/
	s_set_vgpr_msb 0                        ;  msbs: dst=0 src0=0 src1=0 src2=0
	v_mul_lo_u32 v41, v41, v103
	s_set_vgpr_msb 0x44                     ;  msbs: dst=1 src0=0 src1=1 src2=0
	v_ashrrev_i32_e32 v221 /*v477*/, 24, v221 /*v477*/
	s_set_vgpr_msb 20                       ;  msbs: dst=0 src0=0 src1=1 src2=1
	v_lshrrev_b16 v69, 8, v215 /*v471*/
	v_add3_u32 v61, v61, v156 /*v412*/, v170 /*v426*/
	s_set_vgpr_msb 0                        ;  msbs: dst=0 src0=0 src1=0 src2=0
	v_mul_lo_u32 v158, v158, v103
	s_set_vgpr_msb 20                       ;  msbs: dst=0 src0=0 src1=1 src2=1
	v_lshrrev_b16 v65, 8, v214 /*v470*/
	v_lshrrev_b16 v91, 8, v216 /*v472*/
	;; [unrolled: 1-line block ×3, first 2 shown]
	v_add3_u32 v61, v61, v171 /*v427*/, v172 /*v428*/
	s_set_vgpr_msb 0x41                     ;  msbs: dst=1 src0=1 src1=0 src2=0
	ds_load_b64 v[170:171] /*v[426:427]*/, v155 /*v411*/ offset:27200
	ds_load_b64 v[172:173] /*v[428:429]*/, v222 /*v478*/ offset:27200
	s_set_vgpr_msb 0x44                     ;  msbs: dst=1 src0=0 src1=1 src2=0
	v_ashrrev_i32_e32 v251 /*v507*/, 24, v217 /*v473*/
	s_set_vgpr_msb 4                        ;  msbs: dst=0 src0=0 src1=1 src2=0
	v_ashrrev_i32_e32 v148, 24, v214 /*v470*/
	s_set_vgpr_msb 1                        ;  msbs: dst=0 src0=1 src1=0 src2=0
	v_bfe_i32 v149, v214 /*v470*/, 16, 8
	v_bfe_i32 v150, v214 /*v470*/, 0, 8
	s_set_vgpr_msb 0x44                     ;  msbs: dst=1 src0=0 src1=1 src2=0
	v_ashrrev_i32_e32 v178 /*v434*/, 24, v215 /*v471*/
	s_set_vgpr_msb 0x41                     ;  msbs: dst=1 src0=1 src1=0 src2=0
	v_bfe_i32 v190 /*v446*/, v215 /*v471*/, 16, 8
	s_set_vgpr_msb 0                        ;  msbs: dst=0 src0=0 src1=0 src2=0
	v_bfe_i32 v69, v69, 0, 8
	s_set_vgpr_msb 0x41                     ;  msbs: dst=1 src0=1 src1=0 src2=0
	v_bfe_i32 v214 /*v470*/, v215 /*v471*/, 0, 8
	s_set_vgpr_msb 0x44                     ;  msbs: dst=1 src0=0 src1=1 src2=0
	v_ashrrev_i32_e32 v215 /*v471*/, 24, v216 /*v472*/
	s_set_vgpr_msb 4                        ;  msbs: dst=0 src0=0 src1=1 src2=0
	v_bfe_i32 v65, v65, 0, 8
	v_mul_i32_i24_e32 v153, v148, v139 /*v395*/
	v_mul_i32_i24_e32 v155, v69, v150 /*v406*/
	s_set_vgpr_msb 5                        ;  msbs: dst=0 src0=1 src1=1 src2=0
	v_mul_i32_i24_e32 v157, v178 /*v434*/, v131 /*v387*/
	s_set_vgpr_msb 0x41                     ;  msbs: dst=1 src0=1 src1=0 src2=0
	v_bfe_i32 v246 /*v502*/, v216 /*v472*/, 16, 8
	s_set_vgpr_msb 0                        ;  msbs: dst=0 src0=0 src1=0 src2=0
	v_bfe_i32 v91, v91, 0, 8
	s_set_vgpr_msb 0x45                     ;  msbs: dst=1 src0=1 src1=1 src2=0
	v_bfe_i32 v216 /*v472*/, v216 /*v472*/, 0, 8
	v_mul_i32_i24_e32 v250 /*v506*/, v215 /*v471*/, v132 /*v388*/
	s_set_vgpr_msb 0                        ;  msbs: dst=0 src0=0 src1=0 src2=0
	v_bfe_i32 v93, v93, 0, 8
	s_wait_dscnt 0x0
	s_set_vgpr_msb 0x44                     ;  msbs: dst=1 src0=0 src1=1 src2=0
	v_dual_lshrrev_b32 v155 /*v411*/, 16, v170 /*v426*/ :: v_dual_lshrrev_b32 v156 /*v412*/, 16, v172 /*v428*/
	s_set_vgpr_msb 0x41                     ;  msbs: dst=1 src0=1 src1=0 src2=0
	v_cvt_f32_f16_e64 v174 /*v430*/, v170 /*v426*/
	v_cvt_f32_f16_e64 v188 /*v444*/, v171 /*v427*/
	;; [unrolled: 1-line block ×5, first 2 shown]
	s_set_vgpr_msb 0x44                     ;  msbs: dst=1 src0=0 src1=1 src2=0
	v_dual_lshrrev_b32 v155 /*v411*/, 16, v171 /*v427*/ :: v_dual_lshrrev_b32 v156 /*v412*/, 16, v173 /*v429*/
	s_set_vgpr_msb 0x41                     ;  msbs: dst=1 src0=1 src1=0 src2=0
	v_cvt_f32_f16_e64 v189 /*v445*/, v173 /*v429*/
	s_set_vgpr_msb 64                       ;  msbs: dst=1 src0=0 src1=0 src2=0
	v_cvt_f32_i32_e32 v173 /*v429*/, v41
	v_cvt_f32_i32_e32 v172 /*v428*/, v158
	s_set_vgpr_msb 0x41                     ;  msbs: dst=1 src0=1 src1=0 src2=0
	v_cvt_f32_f16_e64 v170 /*v426*/, v155 /*v411*/
	v_cvt_f32_f16_e64 v171 /*v427*/, v156 /*v412*/
	s_set_vgpr_msb 0x44                     ;  msbs: dst=1 src0=0 src1=1 src2=0
	v_bfe_u32 v155 /*v411*/, v112, 20, 4
	v_and_b32_e32 v156 /*v412*/, 0xffff, v187 /*v443*/
	s_set_vgpr_msb 0                        ;  msbs: dst=0 src0=0 src1=0 src2=0
	v_bfe_u32 v112, v112, 4, 4
	s_set_vgpr_msb 0x44                     ;  msbs: dst=1 src0=0 src1=1 src2=0
	v_lshrrev_b16 v222 /*v478*/, 8, v218 /*v474*/
	s_set_vgpr_msb 5                        ;  msbs: dst=0 src0=1 src1=1 src2=0
	v_lshrrev_b16 v161, 8, v219 /*v475*/
	v_mul_i32_i24_e32 v159, v155 /*v411*/, v168 /*v424*/
	v_mul_i32_i24_e32 v158, v156 /*v412*/, v158 /*v414*/
	s_set_vgpr_msb 4                        ;  msbs: dst=0 src0=0 src1=1 src2=0
	v_mul_i32_i24_e32 v41, v112, v157 /*v413*/
	s_set_vgpr_msb 0x45                     ;  msbs: dst=1 src0=1 src1=1 src2=0
	v_mul_i32_i24_e32 v157 /*v413*/, v134 /*v390*/, v169 /*v425*/
	v_and_b32_e32 v158 /*v414*/, 0xffff, v186 /*v442*/
	s_set_vgpr_msb 0                        ;  msbs: dst=0 src0=0 src1=0 src2=0
	v_mul_i32_i24_e32 v151, v150, v118
	s_set_vgpr_msb 4                        ;  msbs: dst=0 src0=0 src1=1 src2=0
	v_mul_i32_i24_e32 v152, v149, v148 /*v404*/
	s_set_vgpr_msb 0                        ;  msbs: dst=0 src0=0 src1=0 src2=0
	v_add3_u32 v41, v61, v41, v158
	s_set_vgpr_msb 4                        ;  msbs: dst=0 src0=0 src1=1 src2=0
	v_ashrrev_i32_e32 v61, 24, v218 /*v474*/
	s_set_vgpr_msb 0x45                     ;  msbs: dst=1 src0=1 src1=1 src2=0
	v_mul_i32_i24_e32 v160 /*v416*/, v158 /*v414*/, v160 /*v416*/
	s_set_vgpr_msb 1                        ;  msbs: dst=0 src0=1 src1=0 src2=0
	v_mul_i32_i24_e32 v154, v214 /*v470*/, v119
	s_set_vgpr_msb 5                        ;  msbs: dst=0 src0=1 src1=1 src2=0
	v_mul_i32_i24_e32 v156, v190 /*v446*/, v149 /*v405*/
	s_set_vgpr_msb 16                       ;  msbs: dst=0 src0=0 src1=0 src2=1
	v_add3_u32 v41, v41, v159, v157 /*v413*/
	s_set_vgpr_msb 64                       ;  msbs: dst=1 src0=0 src1=0 src2=0
	v_bfe_u32 v157 /*v413*/, v113, 20, 4
	s_set_vgpr_msb 0                        ;  msbs: dst=0 src0=0 src1=0 src2=0
	v_bfe_u32 v113, v113, 4, 4
	s_set_vgpr_msb 0x41                     ;  msbs: dst=1 src0=1 src1=0 src2=0
	v_mul_i32_i24_e32 v247 /*v503*/, v216 /*v472*/, v116
	s_set_vgpr_msb 0x44                     ;  msbs: dst=1 src0=0 src1=1 src2=0
	v_mul_i32_i24_e32 v248 /*v504*/, v91, v152 /*v408*/
	s_set_vgpr_msb 0x45                     ;  msbs: dst=1 src0=1 src1=1 src2=0
	v_mul_i32_i24_e32 v249 /*v505*/, v246 /*v502*/, v151 /*v407*/
	v_mul_i32_i24_e32 v166 /*v422*/, v157 /*v413*/, v166 /*v422*/
	s_set_vgpr_msb 0x44                     ;  msbs: dst=1 src0=0 src1=1 src2=0
	v_mul_i32_i24_e32 v159 /*v415*/, v113, v159 /*v415*/
	s_set_vgpr_msb 0x41                     ;  msbs: dst=1 src0=1 src1=0 src2=0
	v_bfe_i32 v252 /*v508*/, v217 /*v473*/, 16, 8
	v_bfe_i32 v217 /*v473*/, v217 /*v473*/, 0, 8
	s_set_vgpr_msb 0x44                     ;  msbs: dst=1 src0=0 src1=1 src2=0
	v_mul_i32_i24_e32 v254 /*v510*/, v93, v154 /*v410*/
	s_set_vgpr_msb 5                        ;  msbs: dst=0 src0=1 src1=1 src2=0
	v_mul_i32_i24_e32 v160, v251 /*v507*/, v133 /*v389*/
	s_set_vgpr_msb 20                       ;  msbs: dst=0 src0=0 src1=1 src2=1
	v_add3_u32 v41, v41, v159 /*v415*/, v160 /*v416*/
	s_set_vgpr_msb 0x44                     ;  msbs: dst=1 src0=0 src1=1 src2=0
	v_bfe_u32 v159 /*v415*/, v114, 20, 4
	v_and_b32_e32 v160 /*v416*/, 0xffff, v182 /*v438*/
	s_set_vgpr_msb 20                       ;  msbs: dst=0 src0=0 src1=1 src2=1
	v_bfe_u32 v114, v114, 4, 4
	v_lshrrev_b16 v162, 8, v220 /*v476*/
	v_add3_u32 v41, v41, v166 /*v422*/, v167 /*v423*/
	s_set_vgpr_msb 1                        ;  msbs: dst=0 src0=1 src1=0 src2=0
	v_bfe_i32 v158, v218 /*v474*/, 16, 8
	s_set_vgpr_msb 0x45                     ;  msbs: dst=1 src0=1 src1=1 src2=0
	v_mul_i32_i24_e32 v163 /*v419*/, v160 /*v416*/, v163 /*v419*/
	s_set_vgpr_msb 0x44                     ;  msbs: dst=1 src0=0 src1=1 src2=0
	v_mul_i32_i24_e32 v162 /*v418*/, v114, v162 /*v418*/
	s_set_vgpr_msb 1                        ;  msbs: dst=0 src0=1 src1=0 src2=0
	v_bfe_i32 v159, v222 /*v478*/, 0, 8
	s_set_vgpr_msb 0x41                     ;  msbs: dst=1 src0=1 src1=0 src2=0
	v_bfe_i32 v168 /*v424*/, v218 /*v474*/, 0, 8
	s_set_vgpr_msb 0x44                     ;  msbs: dst=1 src0=0 src1=1 src2=0
	v_mul_i32_i24_e32 v218 /*v474*/, v61, v134 /*v390*/
	v_dual_ashrrev_i32 v186 /*v442*/, 24, v219 /*v475*/ :: v_dual_ashrrev_i32 v182 /*v438*/, 24, v220 /*v476*/
	s_set_vgpr_msb 0                        ;  msbs: dst=0 src0=0 src1=0 src2=0
	v_bfe_i32 v161, v161, 0, 8
	s_set_vgpr_msb 0x45                     ;  msbs: dst=1 src0=1 src1=1 src2=0
	v_mul_i32_i24_e32 v164 /*v420*/, v159 /*v415*/, v164 /*v420*/
	s_set_vgpr_msb 20                       ;  msbs: dst=0 src0=0 src1=1 src2=1
	v_add3_u32 v41, v41, v162 /*v418*/, v163 /*v419*/
	s_set_vgpr_msb 0                        ;  msbs: dst=0 src0=0 src1=0 src2=0
	v_mad_i32_i24 v155, v65, v115, v155
	s_set_vgpr_msb 16                       ;  msbs: dst=0 src0=0 src1=0 src2=1
	v_add3_u32 v153, v153, v157, v250 /*v506*/
	s_set_vgpr_msb 0x41                     ;  msbs: dst=1 src0=1 src1=0 src2=0
	v_mul_i32_i24_e32 v253 /*v509*/, v217 /*v473*/, v117
	s_set_vgpr_msb 0x45                     ;  msbs: dst=1 src0=1 src1=1 src2=0
	v_mul_i32_i24_e32 v255 /*v511*/, v252 /*v508*/, v153 /*v409*/
	s_set_vgpr_msb 0x41                     ;  msbs: dst=1 src0=1 src1=0 src2=0
	v_mul_i32_i24_e32 v169 /*v425*/, v168 /*v424*/, v112
	s_set_vgpr_msb 0x44                     ;  msbs: dst=1 src0=0 src1=1 src2=0
	v_mul_i32_i24_e32 v183 /*v439*/, v159, v156 /*v412*/
	v_mul_i32_i24_e32 v187 /*v443*/, v158, v155 /*v411*/
	s_set_vgpr_msb 0x41                     ;  msbs: dst=1 src0=1 src1=0 src2=0
	v_bfe_i32 v222 /*v478*/, v219 /*v475*/, 16, 8
	v_bfe_i32 v219 /*v475*/, v219 /*v475*/, 0, 8
	s_set_vgpr_msb 0x44                     ;  msbs: dst=1 src0=0 src1=1 src2=0
	v_mul_i32_i24_e32 v167 /*v423*/, v161, v158 /*v414*/
	s_set_vgpr_msb 5                        ;  msbs: dst=0 src0=1 src1=1 src2=0
	v_mul_i32_i24_e32 v64, v186 /*v442*/, v135 /*v391*/
	v_bfe_i32 v66, v220 /*v476*/, 16, 8
	s_set_vgpr_msb 0                        ;  msbs: dst=0 src0=0 src1=0 src2=0
	v_bfe_i32 v162, v162, 0, 8
	s_set_vgpr_msb 0x41                     ;  msbs: dst=1 src0=1 src1=0 src2=0
	v_bfe_i32 v220 /*v476*/, v220 /*v476*/, 0, 8
	s_set_vgpr_msb 20                       ;  msbs: dst=0 src0=0 src1=1 src2=1
	v_add3_u32 v41, v41, v164 /*v420*/, v165 /*v421*/
	s_set_vgpr_msb 0x45                     ;  msbs: dst=1 src0=1 src1=1 src2=0
	v_mul_i32_i24_e32 v165 /*v421*/, v182 /*v438*/, v136 /*v392*/
	s_set_vgpr_msb 16                       ;  msbs: dst=0 src0=0 src1=0 src2=1
	v_add3_u32 v152, v152, v156, v249 /*v505*/
	v_add3_u32 v151, v151, v154, v247 /*v503*/
	s_set_vgpr_msb 20                       ;  msbs: dst=0 src0=0 src1=1 src2=1
	v_add3_u32 v154, v155, v248 /*v504*/, v254 /*v510*/
	s_set_vgpr_msb 16                       ;  msbs: dst=0 src0=0 src1=0 src2=1
	v_add3_u32 v153, v153, v160, v218 /*v474*/
	s_set_vgpr_msb 0x41                     ;  msbs: dst=1 src0=1 src1=0 src2=0
	v_mul_i32_i24_e32 v166 /*v422*/, v219 /*v475*/, v113
	s_set_vgpr_msb 5                        ;  msbs: dst=0 src0=1 src1=1 src2=0
	v_mul_i32_i24_e32 v62, v222 /*v478*/, v157 /*v413*/
	s_set_vgpr_msb 0x41                     ;  msbs: dst=1 src0=1 src1=0 src2=0
	v_mul_i32_i24_e32 v162 /*v418*/, v220 /*v476*/, v114
	s_set_vgpr_msb 0x44                     ;  msbs: dst=1 src0=0 src1=1 src2=0
	v_mul_i32_i24_e32 v163 /*v419*/, v162, v160 /*v416*/
	v_mul_i32_i24_e32 v164 /*v420*/, v66, v159 /*v415*/
	s_set_vgpr_msb 20                       ;  msbs: dst=0 src0=0 src1=1 src2=1
	v_add3_u32 v151, v151, v253 /*v509*/, v169 /*v425*/
	v_add3_u32 v152, v152, v255 /*v511*/, v187 /*v443*/
	;; [unrolled: 1-line block ×3, first 2 shown]
	s_set_vgpr_msb 16                       ;  msbs: dst=0 src0=0 src1=0 src2=1
	v_add3_u32 v64, v153, v64, v165 /*v421*/
	s_set_vgpr_msb 20                       ;  msbs: dst=0 src0=0 src1=1 src2=1
	v_add3_u32 v41, v41, v180 /*v436*/, v181 /*v437*/
	v_add3_u32 v151, v151, v166 /*v422*/, v162 /*v418*/
	s_set_vgpr_msb 16                       ;  msbs: dst=0 src0=0 src1=0 src2=1
	v_add3_u32 v62, v152, v62, v164 /*v420*/
	s_set_vgpr_msb 0x44                     ;  msbs: dst=1 src0=0 src1=1 src2=0
	v_mul_i32_i24_e32 v180 /*v436*/, v163, v140 /*v396*/
	s_set_vgpr_msb 4                        ;  msbs: dst=0 src0=0 src1=1 src2=0
	v_add3_u32 v64, v154, v163 /*v419*/, v64
	s_set_vgpr_msb 0x44                     ;  msbs: dst=1 src0=0 src1=1 src2=0
	v_mul_i32_i24_e32 v181 /*v437*/, v58, v142 /*v398*/
	s_set_vgpr_msb 4                        ;  msbs: dst=0 src0=0 src1=1 src2=0
	v_mul_i32_i24_e32 v68, v60, v143 /*v399*/
	s_set_vgpr_msb 1                        ;  msbs: dst=0 src0=1 src1=0 src2=0
	v_mul_i32_i24_e32 v72, v221 /*v477*/, v101
	s_set_vgpr_msb 4                        ;  msbs: dst=0 src0=0 src1=1 src2=0
	v_add3_u32 v41, v41, v179 /*v435*/, v70
	s_set_vgpr_msb 0                        ;  msbs: dst=0 src0=0 src1=0 src2=0
	v_add3_u32 v62, v151, v62, v64
	s_set_vgpr_msb 1                        ;  msbs: dst=0 src0=1 src1=0 src2=0
	v_mul_i32_i24_e32 v64, v206 /*v462*/, v174
	v_mul_i32_i24_e32 v70, v207 /*v463*/, v178
	s_set_vgpr_msb 0x44                     ;  msbs: dst=1 src0=0 src1=1 src2=0
	v_pk_fma_f32 v[184:185] /*v[440:441]*/, v[96:97], v[176:177] /*v[432:433]*/, 0 op_sel_hi:[0,1,0]
	s_set_vgpr_msb 0                        ;  msbs: dst=0 src0=0 src1=0 src2=0
	v_mul_lo_u32 v41, v41, v99
	s_set_vgpr_msb 20                       ;  msbs: dst=0 src0=0 src1=1 src2=1
	v_add3_u32 v62, v62, v180 /*v436*/, v181 /*v437*/
	s_set_vgpr_msb 1                        ;  msbs: dst=0 src0=1 src1=0 src2=0
	v_mul_i32_i24_e32 v151, v229 /*v485*/, v180
	s_set_vgpr_msb 0x45                     ;  msbs: dst=1 src0=1 src1=1 src2=0
	v_pk_fma_f32 v[172:173] /*v[428:429]*/, v[174:175] /*v[430:431]*/, v[172:173] /*v[428:429]*/, 0 op_sel_hi:[1,1,0]
	s_set_vgpr_msb 0x54                     ;  msbs: dst=1 src0=0 src1=1 src2=1
	v_pk_fma_f32 v[164:165] /*v[420:421]*/, v[98:99], v[170:171] /*v[426:427]*/, v[184:185] /*v[440:441]*/ op_sel_hi:[0,1,1]
	s_set_vgpr_msb 1                        ;  msbs: dst=0 src0=1 src1=0 src2=0
	v_mul_i32_i24_e32 v152, v230 /*v486*/, v181
	s_set_vgpr_msb 0                        ;  msbs: dst=0 src0=0 src1=0 src2=0
	v_add3_u32 v62, v62, v68, v72
	s_set_vgpr_msb 1                        ;  msbs: dst=0 src0=1 src1=0 src2=0
	v_mul_i32_i24_e32 v68, v227 /*v483*/, v177
	v_mul_i32_i24_e32 v72, v228 /*v484*/, v179
	;; [unrolled: 1-line block ×3, first 2 shown]
	s_set_vgpr_msb 0x41                     ;  msbs: dst=1 src0=1 src1=0 src2=0
	v_pk_mul_f32 v[164:165] /*v[420:421]*/, v[164:165] /*v[420:421]*/, v[8:9]
	s_set_vgpr_msb 0                        ;  msbs: dst=0 src0=0 src1=0 src2=0
	v_mul_lo_u32 v62, v62, v99
	s_set_vgpr_msb 64                       ;  msbs: dst=1 src0=0 src1=0 src2=0
	v_cvt_f32_i32_e32 v162 /*v418*/, v41
	s_set_vgpr_msb 1                        ;  msbs: dst=0 src0=1 src1=0 src2=0
	v_mul_i32_i24_e32 v41, v205 /*v461*/, v126
	v_mul_i32_i24_e32 v154, v231 /*v487*/, v183
	;; [unrolled: 1-line block ×5, first 2 shown]
	v_mad_i32_i24 v41, v223 /*v479*/, v124, v41
	v_mul_i32_i24_e32 v160, v234 /*v490*/, v187
	s_set_vgpr_msb 0x44                     ;  msbs: dst=1 src0=0 src1=1 src2=0
	v_mul_i32_i24_e32 v166 /*v422*/, v191, v238 /*v494*/
	v_mul_i32_i24_e32 v167 /*v423*/, v194, v239 /*v495*/
	v_cvt_f32_i32_e32 v163 /*v419*/, v62
	s_set_vgpr_msb 1                        ;  msbs: dst=0 src0=1 src1=0 src2=0
	v_mul_i32_i24_e32 v62, v224 /*v480*/, v173
	s_set_vgpr_msb 0x44                     ;  msbs: dst=1 src0=0 src1=1 src2=0
	v_mul_i32_i24_e32 v169 /*v425*/, v193, v211 /*v467*/
	v_mul_i32_i24_e32 v179 /*v435*/, v199, v242 /*v498*/
	;; [unrolled: 1-line block ×3, first 2 shown]
	s_set_vgpr_msb 0x55                     ;  msbs: dst=1 src0=1 src1=1 src2=1
	v_pk_fma_f32 v[162:163] /*v[418:419]*/, v[188:189] /*v[444:445]*/, v[162:163] /*v[418:419]*/, v[172:173] /*v[428:429]*/
	s_set_vgpr_msb 0                        ;  msbs: dst=0 src0=0 src1=0 src2=0
	v_add3_u32 v41, v41, v62, v64
	s_set_vgpr_msb 1                        ;  msbs: dst=0 src0=1 src1=0 src2=0
	v_mul_i32_i24_e32 v62, v225 /*v481*/, v175
	v_mul_i32_i24_e32 v64, v226 /*v482*/, v176
	s_set_vgpr_msb 0x44                     ;  msbs: dst=1 src0=0 src1=1 src2=0
	v_mul_i32_i24_e32 v172 /*v428*/, v196, v240 /*v496*/
	s_set_vgpr_msb 0x51                     ;  msbs: dst=1 src0=1 src1=0 src2=1
	v_pk_fma_f32 v[162:163] /*v[418:419]*/, v[162:163] /*v[418:419]*/, v[0:1], v[164:165] /*v[420:421]*/ neg_lo:[0,0,1] neg_hi:[0,0,1]
	v_mul_i32_i24_e32 v164 /*v420*/, v210 /*v466*/, v190
	s_set_vgpr_msb 0x44                     ;  msbs: dst=1 src0=0 src1=1 src2=0
	v_mul_i32_i24_e32 v165 /*v421*/, v192, v237 /*v493*/
	s_set_vgpr_msb 0                        ;  msbs: dst=0 src0=0 src1=0 src2=0
	v_add3_u32 v41, v41, v62, v64
	v_mul_i32_i24_e32 v62, v150, v201
	v_mul_i32_i24_e32 v64, v149, v198
	s_set_vgpr_msb 4                        ;  msbs: dst=0 src0=0 src1=1 src2=0
	v_pk_add_f32 v[50:51], v[50:51], v[162:163] /*v[418:419]*/
	s_set_vgpr_msb 0x41                     ;  msbs: dst=1 src0=1 src1=0 src2=0
	v_mul_i32_i24_e32 v162 /*v418*/, v235 /*v491*/, v188
	s_set_vgpr_msb 0                        ;  msbs: dst=0 src0=0 src1=0 src2=0
	v_add3_u32 v41, v41, v68, v70
	v_mul_i32_i24_e32 v68, v148, v204
	v_mad_i32_i24 v62, v65, v200, v62
	s_set_vgpr_msb 1                        ;  msbs: dst=0 src0=1 src1=0 src2=0
	v_mul_i32_i24_e32 v70, v190 /*v446*/, v202
	s_set_vgpr_msb 0x41                     ;  msbs: dst=1 src0=1 src1=0 src2=0
	v_mul_i32_i24_e32 v163 /*v419*/, v236 /*v492*/, v189
	s_set_vgpr_msb 0                        ;  msbs: dst=0 src0=0 src1=0 src2=0
	v_add3_u32 v41, v41, v72, v151
	s_set_vgpr_msb 1                        ;  msbs: dst=0 src0=1 src1=0 src2=0
	v_mul_i32_i24_e32 v72, v178 /*v434*/, v212
	s_set_vgpr_msb 0                        ;  msbs: dst=0 src0=0 src1=0 src2=0
	v_add3_u32 v62, v62, v64, v68
	s_set_vgpr_msb 1                        ;  msbs: dst=0 src0=1 src1=0 src2=0
	v_mul_i32_i24_e32 v64, v214 /*v470*/, v208
	s_set_vgpr_msb 0                        ;  msbs: dst=0 src0=0 src1=0 src2=0
	v_mul_i32_i24_e32 v68, v69, v210
	v_add3_u32 v41, v41, v152, v153
	s_set_vgpr_msb 1                        ;  msbs: dst=0 src0=1 src1=0 src2=0
	v_mul_i32_i24_e32 v151, v216 /*v472*/, v213
	s_set_vgpr_msb 0                        ;  msbs: dst=0 src0=0 src1=0 src2=0
	v_mul_i32_i24_e32 v152, v91, v214
	s_set_vgpr_msb 1                        ;  msbs: dst=0 src0=1 src1=0 src2=0
	v_mul_i32_i24_e32 v153, v246 /*v502*/, v211
	s_set_vgpr_msb 0                        ;  msbs: dst=0 src0=0 src1=0 src2=0
	v_add3_u32 v62, v62, v64, v68
	v_add3_u32 v41, v41, v154, v155
	s_set_vgpr_msb 1                        ;  msbs: dst=0 src0=1 src1=0 src2=0
	v_mul_i32_i24_e32 v154, v215 /*v471*/, v216
	v_mul_i32_i24_e32 v155, v217 /*v473*/, v218
	s_set_vgpr_msb 0x44                     ;  msbs: dst=1 src0=0 src1=1 src2=0
	v_mul_i32_i24_e32 v173 /*v429*/, v195, v241 /*v497*/
	s_set_vgpr_msb 0                        ;  msbs: dst=0 src0=0 src1=0 src2=0
	v_add3_u32 v62, v62, v70, v72
	v_add3_u32 v41, v41, v156, v157
	v_mul_i32_i24_e32 v156, v93, v220
	s_set_vgpr_msb 1                        ;  msbs: dst=0 src0=1 src1=0 src2=0
	v_mul_i32_i24_e32 v157, v252 /*v508*/, v215
	s_set_vgpr_msb 0x41                     ;  msbs: dst=1 src0=1 src1=0 src2=0
	v_mul_i32_i24_e32 v181 /*v437*/, v243 /*v499*/, v203
	s_set_vgpr_msb 0                        ;  msbs: dst=0 src0=0 src1=0 src2=0
	v_add3_u32 v62, v62, v151, v152
	s_set_vgpr_msb 16                       ;  msbs: dst=0 src0=0 src1=0 src2=1
	v_add3_u32 v41, v41, v160, v162 /*v418*/
	s_set_vgpr_msb 1                        ;  msbs: dst=0 src0=1 src1=0 src2=0
	v_mul_i32_i24_e32 v160, v251 /*v507*/, v221
	s_set_vgpr_msb 0x41                     ;  msbs: dst=1 src0=1 src1=0 src2=0
	v_mul_i32_i24_e32 v162 /*v418*/, v168 /*v424*/, v223
	v_mul_i32_i24_e32 v183 /*v439*/, v244 /*v500*/, v206
	s_set_vgpr_msb 0                        ;  msbs: dst=0 src0=0 src1=0 src2=0
	v_add3_u32 v62, v62, v153, v154
	s_set_vgpr_msb 20                       ;  msbs: dst=0 src0=0 src1=1 src2=1
	v_add3_u32 v41, v41, v163 /*v419*/, v164 /*v420*/
	s_set_vgpr_msb 64                       ;  msbs: dst=1 src0=0 src1=0 src2=0
	v_mul_i32_i24_e32 v163 /*v419*/, v159, v225
	v_mul_i32_i24_e32 v164 /*v420*/, v158, v229
	s_set_vgpr_msb 0x41                     ;  msbs: dst=1 src0=1 src1=0 src2=0
	v_mul_i32_i24_e32 v184 /*v440*/, v245 /*v501*/, v207
	s_set_vgpr_msb 0                        ;  msbs: dst=0 src0=0 src1=0 src2=0
	v_add3_u32 v62, v62, v155, v156
	s_set_vgpr_msb 20                       ;  msbs: dst=0 src0=0 src1=1 src2=1
	v_add3_u32 v41, v41, v165 /*v421*/, v166 /*v422*/
	s_set_vgpr_msb 64                       ;  msbs: dst=1 src0=0 src1=0 src2=0
	v_mul_i32_i24_e32 v165 /*v421*/, v61, v226
	s_set_vgpr_msb 0x41                     ;  msbs: dst=1 src0=1 src1=0 src2=0
	v_mul_i32_i24_e32 v166 /*v422*/, v219 /*v475*/, v231
	v_mul_i32_i24_e32 v185 /*v441*/, v213 /*v469*/, v209
	s_set_vgpr_msb 0                        ;  msbs: dst=0 src0=0 src1=0 src2=0
	v_add3_u32 v62, v62, v157, v160
	s_set_vgpr_msb 20                       ;  msbs: dst=0 src0=0 src1=1 src2=1
	v_add3_u32 v41, v41, v167 /*v423*/, v169 /*v425*/
	s_set_vgpr_msb 64                       ;  msbs: dst=1 src0=0 src1=0 src2=0
	v_mul_i32_i24_e32 v167 /*v423*/, v161, v232
	s_set_vgpr_msb 0x41                     ;  msbs: dst=1 src0=1 src1=0 src2=0
	v_mul_i32_i24_e32 v169 /*v425*/, v222 /*v478*/, v235
	s_set_vgpr_msb 64                       ;  msbs: dst=1 src0=0 src1=0 src2=0
	v_mul_i32_i24_e32 v187 /*v443*/, v58, v245
	s_set_vgpr_msb 20                       ;  msbs: dst=0 src0=0 src1=1 src2=1
	v_add3_u32 v62, v62, v162 /*v418*/, v163 /*v419*/
	v_add3_u32 v41, v41, v172 /*v428*/, v173 /*v429*/
	s_set_vgpr_msb 0x41                     ;  msbs: dst=1 src0=1 src1=0 src2=0
	v_mul_i32_i24_e32 v172 /*v428*/, v186 /*v442*/, v234
	v_mul_i32_i24_e32 v173 /*v429*/, v220 /*v476*/, v236
	s_set_vgpr_msb 64                       ;  msbs: dst=1 src0=0 src1=0 src2=0
	v_mul_i32_i24_e32 v218 /*v474*/, v60, v246
	s_set_vgpr_msb 20                       ;  msbs: dst=0 src0=0 src1=1 src2=1
	v_add3_u32 v62, v62, v164 /*v420*/, v165 /*v421*/
	v_add3_u32 v41, v41, v179 /*v435*/, v180 /*v436*/
	s_set_vgpr_msb 64                       ;  msbs: dst=1 src0=0 src1=0 src2=0
	v_mul_i32_i24_e32 v179 /*v435*/, v162, v237
	v_mul_i32_i24_e32 v180 /*v436*/, v66, v242
	v_cvt_f32_i32_e32 v162 /*v418*/, v59
	s_set_vgpr_msb 20                       ;  msbs: dst=0 src0=0 src1=1 src2=1
	v_add3_u32 v62, v62, v166 /*v422*/, v167 /*v423*/
	v_add3_u32 v41, v41, v181 /*v437*/, v183 /*v439*/
	s_set_vgpr_msb 0x41                     ;  msbs: dst=1 src0=1 src1=0 src2=0
	v_mul_i32_i24_e32 v181 /*v437*/, v182 /*v438*/, v239
	s_set_vgpr_msb 64                       ;  msbs: dst=1 src0=0 src1=0 src2=0
	v_mul_i32_i24_e32 v183 /*v439*/, v163, v244
	s_set_vgpr_msb 1                        ;  msbs: dst=0 src0=1 src1=0 src2=0
	v_mul_i32_i24_e32 v59, v161 /*v417*/, v105
	s_set_vgpr_msb 20                       ;  msbs: dst=0 src0=0 src1=1 src2=1
	v_add3_u32 v62, v62, v169 /*v425*/, v172 /*v428*/
	v_add3_u32 v41, v41, v184 /*v440*/, v185 /*v441*/
	s_set_vgpr_msb 1                        ;  msbs: dst=0 src0=1 src1=0 src2=0
	v_mul_i32_i24_e32 v64, v227 /*v483*/, v230
	v_mul_i32_i24_e32 v68, v207 /*v463*/, v233
	s_set_vgpr_msb 5                        ;  msbs: dst=0 src0=1 src1=1 src2=0
	v_add3_u32 v59, v194 /*v450*/, v193 /*v449*/, v59
	s_set_vgpr_msb 20                       ;  msbs: dst=0 src0=0 src1=1 src2=1
	v_add3_u32 v62, v62, v173 /*v429*/, v179 /*v435*/
	s_set_vgpr_msb 0                        ;  msbs: dst=0 src0=0 src1=0 src2=0
	v_mul_lo_u32 v41, v41, v122
	s_set_vgpr_msb 1                        ;  msbs: dst=0 src0=1 src1=0 src2=0
	v_mul_i32_i24_e32 v70, v228 /*v484*/, v238
	v_mul_i32_i24_e32 v72, v229 /*v485*/, v240
	s_set_vgpr_msb 0                        ;  msbs: dst=0 src0=0 src1=0 src2=0
	v_mul_lo_u32 v59, v59, v107
	s_set_vgpr_msb 20                       ;  msbs: dst=0 src0=0 src1=1 src2=1
	v_add3_u32 v62, v62, v180 /*v436*/, v181 /*v437*/
	s_set_vgpr_msb 0x44                     ;  msbs: dst=1 src0=0 src1=1 src2=0
	v_pk_fma_f32 v[164:165] /*v[420:421]*/, v[100:101], v[176:177] /*v[432:433]*/, 0 op_sel_hi:[0,1,0]
	s_set_vgpr_msb 1                        ;  msbs: dst=0 src0=1 src1=0 src2=0
	v_mul_i32_i24_e32 v151, v230 /*v486*/, v241
	v_mul_i32_i24_e32 v152, v208 /*v464*/, v243
	;; [unrolled: 1-line block ×3, first 2 shown]
	s_set_vgpr_msb 20                       ;  msbs: dst=0 src0=0 src1=1 src2=1
	v_add3_u32 v62, v62, v183 /*v439*/, v187 /*v443*/
	s_set_vgpr_msb 0x54                     ;  msbs: dst=1 src0=0 src1=1 src2=1
	v_pk_fma_f32 v[164:165] /*v[420:421]*/, v[104:105], v[170:171] /*v[426:427]*/, v[164:165] /*v[420:421]*/ op_sel_hi:[0,1,1]
	v_cvt_f32_i32_e32 v163 /*v419*/, v41
	s_set_vgpr_msb 1                        ;  msbs: dst=0 src0=1 src1=0 src2=0
	v_mul_i32_i24_e32 v41, v221 /*v477*/, v105
	v_mul_i32_i24_e32 v154, v232 /*v488*/, v248
	s_set_vgpr_msb 64                       ;  msbs: dst=1 src0=0 src1=0 src2=0
	v_cvt_f32_i32_e32 v166 /*v422*/, v59
	s_set_vgpr_msb 1                        ;  msbs: dst=0 src0=1 src1=0 src2=0
	v_mul_i32_i24_e32 v59, v224 /*v480*/, v222
	s_set_vgpr_msb 0x45                     ;  msbs: dst=1 src0=1 src1=1 src2=0
	v_pk_fma_f32 v[162:163] /*v[418:419]*/, v[174:175] /*v[430:431]*/, v[162:163] /*v[418:419]*/, 0 op_sel_hi:[1,1,0]
	s_set_vgpr_msb 4                        ;  msbs: dst=0 src0=0 src1=1 src2=0
	v_add3_u32 v41, v62, v218 /*v474*/, v41
	s_set_vgpr_msb 1                        ;  msbs: dst=0 src0=1 src1=0 src2=0
	v_mul_i32_i24_e32 v62, v206 /*v462*/, v224
	s_set_vgpr_msb 0x41                     ;  msbs: dst=1 src0=1 src1=0 src2=0
	v_pk_mul_f32 v[164:165] /*v[420:421]*/, v[164:165] /*v[420:421]*/, v[10:11]
	s_set_vgpr_msb 1                        ;  msbs: dst=0 src0=1 src1=0 src2=0
	v_mul_i32_i24_e32 v155, v233 /*v489*/, v249
	v_mul_i32_i24_e32 v156, v209 /*v465*/, v250
	s_set_vgpr_msb 0                        ;  msbs: dst=0 src0=0 src1=0 src2=0
	v_mul_lo_u32 v41, v41, v107
	s_set_vgpr_msb 1                        ;  msbs: dst=0 src0=1 src1=0 src2=0
	v_mul_i32_i24_e32 v157, v234 /*v490*/, v251
	v_mul_i32_i24_e32 v160, v235 /*v491*/, v252
	s_set_vgpr_msb 0x45                     ;  msbs: dst=1 src0=1 src1=1 src2=0
	v_mul_i32_i24_e32 v169 /*v425*/, v4 /*v260*/, v240 /*v496*/
	v_mul_i32_i24_e32 v172 /*v428*/, v3 /*v259*/, v241 /*v497*/
	;; [unrolled: 1-line block ×8, first 2 shown]
	s_set_vgpr_msb 64                       ;  msbs: dst=1 src0=0 src1=0 src2=0
	v_cvt_f32_i32_e32 v167 /*v423*/, v41
	s_set_vgpr_msb 1                        ;  msbs: dst=0 src0=1 src1=0 src2=0
	v_mul_i32_i24_e32 v41, v205 /*v461*/, v219
	s_set_vgpr_msb 0x44                     ;  msbs: dst=1 src0=0 src1=1 src2=0
	v_mul_i32_i24_e32 v185 /*v441*/, v58, v40 /*v296*/
	v_mul_i32_i24_e32 v187 /*v443*/, v60, v41 /*v297*/
	s_set_vgpr_msb 4                        ;  msbs: dst=0 src0=0 src1=1 src2=0
	v_mul_i32_i24_e32 v58, v58, v106 /*v362*/
	s_set_vgpr_msb 0x55                     ;  msbs: dst=1 src0=1 src1=1 src2=1
	v_pk_fma_f32 v[162:163] /*v[418:419]*/, v[188:189] /*v[444:445]*/, v[166:167] /*v[422:423]*/, v[162:163] /*v[418:419]*/
	s_set_vgpr_msb 1                        ;  msbs: dst=0 src0=1 src1=0 src2=0
	v_mad_i32_i24 v41, v223 /*v479*/, v217, v41
	s_set_vgpr_msb 0x45                     ;  msbs: dst=1 src0=1 src1=1 src2=0
	v_mul_i32_i24_e32 v166 /*v422*/, v2 /*v258*/, v239 /*v495*/
	v_mul_i32_i24_e32 v167 /*v423*/, v1 /*v257*/, v211 /*v467*/
	s_set_vgpr_msb 4                        ;  msbs: dst=0 src0=0 src1=1 src2=0
	v_mul_i32_i24_e32 v60, v60, v107 /*v363*/
	s_set_vgpr_msb 0x51                     ;  msbs: dst=1 src0=1 src1=0 src2=1
	v_pk_fma_f32 v[162:163] /*v[418:419]*/, v[162:163] /*v[418:419]*/, v[2:3], v[164:165] /*v[420:421]*/ neg_lo:[0,0,1] neg_hi:[0,0,1]
	s_set_vgpr_msb 0                        ;  msbs: dst=0 src0=0 src1=0 src2=0
	v_add3_u32 v41, v41, v59, v62
	s_set_vgpr_msb 1                        ;  msbs: dst=0 src0=1 src1=0 src2=0
	v_mul_i32_i24_e32 v59, v225 /*v481*/, v227
	v_mul_i32_i24_e32 v62, v226 /*v482*/, v228
	s_set_vgpr_msb 0x45                     ;  msbs: dst=1 src0=1 src1=1 src2=0
	v_mul_i32_i24_e32 v164 /*v420*/, v0 /*v256*/, v237 /*v493*/
	s_set_vgpr_msb 4                        ;  msbs: dst=0 src0=0 src1=1 src2=0
	v_pk_add_f32 v[48:49], v[48:49], v[162:163] /*v[418:419]*/
	s_set_vgpr_msb 0x41                     ;  msbs: dst=1 src0=1 src1=0 src2=0
	v_mul_i32_i24_e32 v162 /*v418*/, v236 /*v492*/, v253
	v_mul_i32_i24_e32 v163 /*v419*/, v210 /*v466*/, v254
	s_set_vgpr_msb 0                        ;  msbs: dst=0 src0=0 src1=0 src2=0
	v_add3_u32 v41, v41, v59, v62
	s_set_vgpr_msb 4                        ;  msbs: dst=0 src0=0 src1=1 src2=0
	v_mul_i32_i24_e32 v59, v150, v9 /*v265*/
	v_mul_i32_i24_e32 v62, v149, v6 /*v262*/
	s_set_vgpr_msb 0x44                     ;  msbs: dst=1 src0=0 src1=1 src2=0
	v_mul_i32_i24_e32 v165 /*v421*/, v255, v238 /*v494*/
	s_set_vgpr_msb 0                        ;  msbs: dst=0 src0=0 src1=0 src2=0
	v_add3_u32 v41, v41, v64, v68
	s_set_vgpr_msb 4                        ;  msbs: dst=0 src0=0 src1=1 src2=0
	v_mul_i32_i24_e32 v64, v148, v12 /*v268*/
	v_mad_i32_i24 v59, v65, v8 /*v264*/, v59
	s_set_vgpr_msb 5                        ;  msbs: dst=0 src0=1 src1=1 src2=0
	v_mul_i32_i24_e32 v68, v190 /*v446*/, v10 /*v266*/
	s_set_vgpr_msb 0                        ;  msbs: dst=0 src0=0 src1=0 src2=0
	v_add3_u32 v41, v41, v70, v72
	s_set_vgpr_msb 5                        ;  msbs: dst=0 src0=1 src1=1 src2=0
	v_mul_i32_i24_e32 v70, v178 /*v434*/, v19 /*v275*/
	s_set_vgpr_msb 0                        ;  msbs: dst=0 src0=0 src1=0 src2=0
	v_add3_u32 v59, v59, v62, v64
	s_set_vgpr_msb 5                        ;  msbs: dst=0 src0=1 src1=1 src2=0
	v_mul_i32_i24_e32 v62, v214 /*v470*/, v15 /*v271*/
	s_set_vgpr_msb 4                        ;  msbs: dst=0 src0=0 src1=1 src2=0
	v_mul_i32_i24_e32 v64, v69, v17 /*v273*/
	s_set_vgpr_msb 0                        ;  msbs: dst=0 src0=0 src1=0 src2=0
	v_add3_u32 v41, v41, v151, v152
	s_set_vgpr_msb 5                        ;  msbs: dst=0 src0=1 src1=1 src2=0
	v_mul_i32_i24_e32 v72, v216 /*v472*/, v20 /*v276*/
	s_set_vgpr_msb 4                        ;  msbs: dst=0 src0=0 src1=1 src2=0
	v_mul_i32_i24_e32 v151, v91, v21 /*v277*/
	s_set_vgpr_msb 5                        ;  msbs: dst=0 src0=1 src1=1 src2=0
	v_mul_i32_i24_e32 v152, v246 /*v502*/, v18 /*v274*/
	s_set_vgpr_msb 0                        ;  msbs: dst=0 src0=0 src1=0 src2=0
	v_add3_u32 v59, v59, v62, v64
	v_add3_u32 v41, v41, v153, v154
	s_set_vgpr_msb 21                       ;  msbs: dst=0 src0=1 src1=1 src2=1
	v_mul_i32_i24_e32 v153, v215 /*v471*/, v23 /*v279*/
	v_mul_i32_i24_e32 v154, v217 /*v473*/, v24 /*v280*/
	v_add3_u32 v62, v197 /*v453*/, v195 /*v451*/, v196 /*v452*/
	s_set_vgpr_msb 0                        ;  msbs: dst=0 src0=0 src1=0 src2=0
	v_add3_u32 v59, v59, v68, v70
	v_add3_u32 v41, v41, v155, v156
	s_set_vgpr_msb 4                        ;  msbs: dst=0 src0=0 src1=1 src2=0
	v_mul_i32_i24_e32 v155, v93, v25 /*v281*/
	s_set_vgpr_msb 5                        ;  msbs: dst=0 src0=1 src1=1 src2=0
	v_mul_i32_i24_e32 v156, v252 /*v508*/, v22 /*v278*/
	s_set_vgpr_msb 0                        ;  msbs: dst=0 src0=0 src1=0 src2=0
	v_mul_lo_u32 v62, v62, v205
	v_add3_u32 v59, v59, v72, v151
	v_add3_u32 v41, v41, v157, v160
	s_set_vgpr_msb 5                        ;  msbs: dst=0 src0=1 src1=1 src2=0
	v_mul_i32_i24_e32 v157, v251 /*v507*/, v26 /*v282*/
	v_mul_i32_i24_e32 v160, v168 /*v424*/, v27 /*v283*/
	v_mul_i32_i24_e32 v64, v227 /*v483*/, v51 /*v307*/
	s_set_vgpr_msb 0                        ;  msbs: dst=0 src0=0 src1=0 src2=0
	v_add3_u32 v59, v59, v152, v153
	s_set_vgpr_msb 20                       ;  msbs: dst=0 src0=0 src1=1 src2=1
	v_add3_u32 v41, v41, v162 /*v418*/, v163 /*v419*/
	s_set_vgpr_msb 0x44                     ;  msbs: dst=1 src0=0 src1=1 src2=0
	v_mul_i32_i24_e32 v162 /*v418*/, v159, v28 /*v284*/
	v_mul_i32_i24_e32 v163 /*v419*/, v158, v30 /*v286*/
	s_set_vgpr_msb 5                        ;  msbs: dst=0 src0=1 src1=1 src2=0
	v_mul_i32_i24_e32 v68, v207 /*v463*/, v52 /*v308*/
	s_set_vgpr_msb 0                        ;  msbs: dst=0 src0=0 src1=0 src2=0
	v_add3_u32 v59, v59, v154, v155
	s_set_vgpr_msb 20                       ;  msbs: dst=0 src0=0 src1=1 src2=1
	v_add3_u32 v41, v41, v164 /*v420*/, v165 /*v421*/
	s_set_vgpr_msb 0x44                     ;  msbs: dst=1 src0=0 src1=1 src2=0
	v_mul_i32_i24_e32 v164 /*v420*/, v61, v29 /*v285*/
	s_set_vgpr_msb 0x45                     ;  msbs: dst=1 src0=1 src1=1 src2=0
	v_mul_i32_i24_e32 v165 /*v421*/, v219 /*v475*/, v31 /*v287*/
	s_set_vgpr_msb 5                        ;  msbs: dst=0 src0=1 src1=1 src2=0
	v_mul_i32_i24_e32 v70, v228 /*v484*/, v53 /*v309*/
	s_set_vgpr_msb 0                        ;  msbs: dst=0 src0=0 src1=0 src2=0
	v_add3_u32 v59, v59, v156, v157
	s_set_vgpr_msb 20                       ;  msbs: dst=0 src0=0 src1=1 src2=1
	v_add3_u32 v41, v41, v166 /*v422*/, v167 /*v423*/
	s_set_vgpr_msb 0x44                     ;  msbs: dst=1 src0=0 src1=1 src2=0
	v_mul_i32_i24_e32 v166 /*v422*/, v161, v32 /*v288*/
	s_set_vgpr_msb 0x45                     ;  msbs: dst=1 src0=1 src1=1 src2=0
	v_mul_i32_i24_e32 v167 /*v423*/, v222 /*v478*/, v34 /*v290*/
	s_set_vgpr_msb 5                        ;  msbs: dst=0 src0=1 src1=1 src2=0
	v_mul_i32_i24_e32 v72, v229 /*v485*/, v54 /*v310*/
	s_set_vgpr_msb 16                       ;  msbs: dst=0 src0=0 src1=0 src2=1
	v_add3_u32 v59, v59, v160, v162 /*v418*/
	s_set_vgpr_msb 20                       ;  msbs: dst=0 src0=0 src1=1 src2=1
	v_add3_u32 v41, v41, v169 /*v425*/, v172 /*v428*/
	s_set_vgpr_msb 0x45                     ;  msbs: dst=1 src0=1 src1=1 src2=0
	v_mul_i32_i24_e32 v169 /*v425*/, v186 /*v442*/, v33 /*v289*/
	v_mul_i32_i24_e32 v172 /*v428*/, v220 /*v476*/, v35 /*v291*/
	s_set_vgpr_msb 64                       ;  msbs: dst=1 src0=0 src1=0 src2=0
	v_cvt_f32_i32_e32 v162 /*v418*/, v62
	s_set_vgpr_msb 20                       ;  msbs: dst=0 src0=0 src1=1 src2=1
	v_add3_u32 v59, v59, v163 /*v419*/, v164 /*v420*/
	v_add3_u32 v41, v41, v173 /*v429*/, v179 /*v435*/
	s_set_vgpr_msb 0x44                     ;  msbs: dst=1 src0=0 src1=1 src2=0
	v_mul_i32_i24_e32 v173 /*v429*/, v162, v36 /*v292*/
	v_mul_i32_i24_e32 v179 /*v435*/, v66, v38 /*v294*/
	s_set_vgpr_msb 1                        ;  msbs: dst=0 src0=1 src1=0 src2=0
	v_mul_i32_i24_e32 v62, v161 /*v417*/, v109
	s_set_vgpr_msb 20                       ;  msbs: dst=0 src0=0 src1=1 src2=1
	v_add3_u32 v59, v59, v165 /*v421*/, v166 /*v422*/
	v_add3_u32 v41, v41, v180 /*v436*/, v181 /*v437*/
	s_set_vgpr_msb 0x45                     ;  msbs: dst=1 src0=1 src1=1 src2=0
	v_mul_i32_i24_e32 v180 /*v436*/, v182 /*v438*/, v37 /*v293*/
	s_set_vgpr_msb 0x44                     ;  msbs: dst=1 src0=0 src1=1 src2=0
	v_mul_i32_i24_e32 v181 /*v437*/, v163, v39 /*v295*/
	s_set_vgpr_msb 5                        ;  msbs: dst=0 src0=1 src1=1 src2=0
	v_add3_u32 v62, v199 /*v455*/, v198 /*v454*/, v62
	s_set_vgpr_msb 20                       ;  msbs: dst=0 src0=0 src1=1 src2=1
	v_add3_u32 v59, v59, v167 /*v423*/, v169 /*v425*/
	v_add3_u32 v41, v41, v183 /*v439*/, v184 /*v440*/
	s_set_vgpr_msb 0x44                     ;  msbs: dst=1 src0=0 src1=1 src2=0
	v_pk_fma_f32 v[164:165] /*v[420:421]*/, v[102:103], v[176:177] /*v[432:433]*/, 0 op_sel_hi:[0,1,0]
	s_set_vgpr_msb 5                        ;  msbs: dst=0 src0=1 src1=1 src2=0
	v_mul_i32_i24_e32 v151, v230 /*v486*/, v55 /*v311*/
	v_mul_i32_i24_e32 v152, v208 /*v464*/, v56 /*v312*/
	s_set_vgpr_msb 20                       ;  msbs: dst=0 src0=0 src1=1 src2=1
	v_add3_u32 v59, v59, v172 /*v428*/, v173 /*v429*/
	s_set_vgpr_msb 0                        ;  msbs: dst=0 src0=0 src1=0 src2=0
	v_mul_lo_u32 v41, v41, v205
	s_set_vgpr_msb 0x54                     ;  msbs: dst=1 src0=0 src1=1 src2=1
	v_pk_fma_f32 v[164:165] /*v[420:421]*/, v[106:107], v[170:171] /*v[426:427]*/, v[164:165] /*v[420:421]*/ op_sel_hi:[0,1,1]
	s_set_vgpr_msb 5                        ;  msbs: dst=0 src0=1 src1=1 src2=0
	v_mul_i32_i24_e32 v153, v231 /*v487*/, v57 /*v313*/
	v_mul_i32_i24_e32 v154, v232 /*v488*/, v58 /*v314*/
	s_set_vgpr_msb 20                       ;  msbs: dst=0 src0=0 src1=1 src2=1
	v_add3_u32 v59, v59, v179 /*v435*/, v180 /*v436*/
	s_set_vgpr_msb 5                        ;  msbs: dst=0 src0=1 src1=1 src2=0
	v_mul_i32_i24_e32 v155, v233 /*v489*/, v59 /*v315*/
	s_set_vgpr_msb 0x41                     ;  msbs: dst=1 src0=1 src1=0 src2=0
	v_pk_mul_f32 v[164:165] /*v[420:421]*/, v[164:165] /*v[420:421]*/, v[12:13]
	s_set_vgpr_msb 5                        ;  msbs: dst=0 src0=1 src1=1 src2=0
	v_mul_i32_i24_e32 v156, v209 /*v465*/, v60 /*v316*/
	s_set_vgpr_msb 20                       ;  msbs: dst=0 src0=0 src1=1 src2=1
	v_mul_i32_i24_e32 v93, v93, v91 /*v347*/
	v_add3_u32 v59, v59, v181 /*v437*/, v185 /*v441*/
	s_set_vgpr_msb 5                        ;  msbs: dst=0 src0=1 src1=1 src2=0
	v_mul_i32_i24_e32 v157, v234 /*v490*/, v61 /*v317*/
	s_set_vgpr_msb 64                       ;  msbs: dst=1 src0=0 src1=0 src2=0
	v_cvt_f32_i32_e32 v163 /*v419*/, v41
	s_set_vgpr_msb 1                        ;  msbs: dst=0 src0=1 src1=0 src2=0
	v_mul_i32_i24_e32 v41, v221 /*v477*/, v109
	s_set_vgpr_msb 5                        ;  msbs: dst=0 src0=1 src1=1 src2=0
	v_mul_i32_i24_e32 v160, v235 /*v491*/, v62 /*v318*/
	s_set_vgpr_msb 4                        ;  msbs: dst=0 src0=0 src1=1 src2=0
	v_mul_i32_i24_e32 v61, v61, v95 /*v351*/
	s_set_vgpr_msb 0x45                     ;  msbs: dst=1 src0=1 src1=1 src2=0
	v_mul_i32_i24_e32 v169 /*v425*/, v70 /*v326*/, v240 /*v496*/
	v_pk_fma_f32 v[162:163] /*v[418:419]*/, v[174:175] /*v[430:431]*/, v[162:163] /*v[418:419]*/, 0 op_sel_hi:[1,1,0]
	s_set_vgpr_msb 4                        ;  msbs: dst=0 src0=0 src1=1 src2=0
	v_add3_u32 v41, v59, v187 /*v443*/, v41
	s_set_vgpr_msb 0                        ;  msbs: dst=0 src0=0 src1=0 src2=0
	v_mul_lo_u32 v59, v62, v111
	s_set_vgpr_msb 5                        ;  msbs: dst=0 src0=1 src1=1 src2=0
	v_mul_i32_i24_e32 v62, v206 /*v462*/, v48 /*v304*/
	s_set_vgpr_msb 0x45                     ;  msbs: dst=1 src0=1 src1=1 src2=0
	v_mul_i32_i24_e32 v172 /*v428*/, v69 /*v325*/, v241 /*v497*/
	v_mul_i32_i24_e32 v173 /*v429*/, v73 /*v329*/, v242 /*v498*/
	s_set_vgpr_msb 0                        ;  msbs: dst=0 src0=0 src1=0 src2=0
	v_mul_lo_u32 v41, v41, v111
	s_set_vgpr_msb 0x45                     ;  msbs: dst=1 src0=1 src1=1 src2=0
	v_mul_i32_i24_e32 v179 /*v435*/, v71 /*v327*/, v212 /*v468*/
	v_mul_i32_i24_e32 v180 /*v436*/, v243 /*v499*/, v77 /*v333*/
	v_mul_i32_i24_e32 v181 /*v437*/, v244 /*v500*/, v79 /*v335*/
	s_set_vgpr_msb 4                        ;  msbs: dst=0 src0=0 src1=1 src2=0
	v_mul_i32_i24_e32 v66, v66, v104 /*v360*/
	s_set_vgpr_msb 0x45                     ;  msbs: dst=1 src0=1 src1=1 src2=0
	v_mul_i32_i24_e32 v183 /*v439*/, v245 /*v501*/, v80 /*v336*/
	v_mul_i32_i24_e32 v184 /*v440*/, v213 /*v469*/, v82 /*v338*/
	s_set_vgpr_msb 64                       ;  msbs: dst=1 src0=0 src1=0 src2=0
	v_cvt_f32_i32_e32 v166 /*v422*/, v59
	s_set_vgpr_msb 5                        ;  msbs: dst=0 src0=1 src1=1 src2=0
	v_mul_i32_i24_e32 v59, v224 /*v480*/, v47 /*v303*/
	s_set_vgpr_msb 64                       ;  msbs: dst=1 src0=0 src1=0 src2=0
	v_cvt_f32_i32_e32 v167 /*v423*/, v41
	s_set_vgpr_msb 5                        ;  msbs: dst=0 src0=1 src1=1 src2=0
	v_mul_i32_i24_e32 v41, v205 /*v461*/, v46 /*v302*/
	s_set_vgpr_msb 0x55                     ;  msbs: dst=1 src0=1 src1=1 src2=1
	s_delay_alu instid0(VALU_DEP_2) | instskip(SKIP_1) | instid1(VALU_DEP_2)
	v_pk_fma_f32 v[162:163] /*v[418:419]*/, v[188:189] /*v[444:445]*/, v[166:167] /*v[422:423]*/, v[162:163] /*v[418:419]*/
	s_set_vgpr_msb 5                        ;  msbs: dst=0 src0=1 src1=1 src2=0
	v_mad_i32_i24 v41, v223 /*v479*/, v45 /*v301*/, v41
	s_set_vgpr_msb 0x45                     ;  msbs: dst=1 src0=1 src1=1 src2=0
	v_mul_i32_i24_e32 v166 /*v422*/, v68 /*v324*/, v239 /*v495*/
	v_mul_i32_i24_e32 v167 /*v423*/, v67 /*v323*/, v211 /*v467*/
	s_set_vgpr_msb 0x51                     ;  msbs: dst=1 src0=1 src1=0 src2=1
	v_pk_fma_f32 v[162:163] /*v[418:419]*/, v[162:163] /*v[418:419]*/, v[4:5], v[164:165] /*v[420:421]*/ neg_lo:[0,0,1] neg_hi:[0,0,1]
	s_set_vgpr_msb 0                        ;  msbs: dst=0 src0=0 src1=0 src2=0
	v_add3_u32 v41, v41, v59, v62
	s_set_vgpr_msb 5                        ;  msbs: dst=0 src0=1 src1=1 src2=0
	v_mul_i32_i24_e32 v59, v225 /*v481*/, v49 /*v305*/
	v_mul_i32_i24_e32 v62, v226 /*v482*/, v50 /*v306*/
	s_set_vgpr_msb 0x45                     ;  msbs: dst=1 src0=1 src1=1 src2=0
	v_mul_i32_i24_e32 v164 /*v420*/, v66 /*v322*/, v237 /*v493*/
	s_set_vgpr_msb 4                        ;  msbs: dst=0 src0=0 src1=1 src2=0
	v_pk_add_f32 v[46:47], v[46:47], v[162:163] /*v[418:419]*/
	s_set_vgpr_msb 0x45                     ;  msbs: dst=1 src0=1 src1=1 src2=0
	v_mul_i32_i24_e32 v162 /*v418*/, v236 /*v492*/, v63 /*v319*/
	v_mul_i32_i24_e32 v163 /*v419*/, v210 /*v466*/, v64 /*v320*/
	s_set_vgpr_msb 0                        ;  msbs: dst=0 src0=0 src1=0 src2=0
	v_add3_u32 v41, v41, v59, v62
	s_set_vgpr_msb 4                        ;  msbs: dst=0 src0=0 src1=1 src2=0
	v_mul_i32_i24_e32 v59, v150, v75 /*v331*/
	v_mul_i32_i24_e32 v62, v149, v72 /*v328*/
	s_set_vgpr_msb 5                        ;  msbs: dst=0 src0=1 src1=1 src2=0
	v_mul_i32_i24_e32 v149, v252 /*v508*/, v88 /*v344*/
	v_mul_i32_i24_e32 v150, v251 /*v507*/, v92 /*v348*/
	s_set_vgpr_msb 0                        ;  msbs: dst=0 src0=0 src1=0 src2=0
	v_add3_u32 v41, v41, v64, v68
	s_set_vgpr_msb 4                        ;  msbs: dst=0 src0=0 src1=1 src2=0
	v_mul_i32_i24_e32 v64, v148, v78 /*v334*/
	v_mad_i32_i24 v59, v65, v74 /*v330*/, v59
	s_set_vgpr_msb 5                        ;  msbs: dst=0 src0=1 src1=1 src2=0
	v_mul_i32_i24_e32 v65, v190 /*v446*/, v76 /*v332*/
	v_mul_i32_i24_e32 v68, v178 /*v434*/, v85 /*v341*/
	s_set_vgpr_msb 0                        ;  msbs: dst=0 src0=0 src1=0 src2=0
	v_add3_u32 v41, v41, v70, v72
	s_set_vgpr_msb 4                        ;  msbs: dst=0 src0=0 src1=1 src2=0
	v_mul_i32_i24_e32 v70, v91, v87 /*v343*/
	s_set_vgpr_msb 0                        ;  msbs: dst=0 src0=0 src1=0 src2=0
	v_add3_u32 v59, v59, v62, v64
	s_set_vgpr_msb 5                        ;  msbs: dst=0 src0=1 src1=1 src2=0
	v_mul_i32_i24_e32 v62, v214 /*v470*/, v81 /*v337*/
	s_set_vgpr_msb 4                        ;  msbs: dst=0 src0=0 src1=1 src2=0
	v_mul_i32_i24_e32 v64, v69, v83 /*v339*/
	s_set_vgpr_msb 5                        ;  msbs: dst=0 src0=1 src1=1 src2=0
	v_mul_i32_i24_e32 v69, v216 /*v472*/, v86 /*v342*/
	s_set_vgpr_msb 0                        ;  msbs: dst=0 src0=0 src1=0 src2=0
	v_add3_u32 v41, v41, v151, v152
	s_set_vgpr_msb 5                        ;  msbs: dst=0 src0=1 src1=1 src2=0
	v_mul_i32_i24_e32 v72, v246 /*v502*/, v84 /*v340*/
	v_mul_i32_i24_e32 v91, v215 /*v471*/, v89 /*v345*/
	s_set_vgpr_msb 0                        ;  msbs: dst=0 src0=0 src1=0 src2=0
	v_add3_u32 v59, v59, v62, v64
	s_set_vgpr_msb 5                        ;  msbs: dst=0 src0=1 src1=1 src2=0
	v_mul_i32_i24_e32 v148, v217 /*v473*/, v90 /*v346*/
	s_set_vgpr_msb 0                        ;  msbs: dst=0 src0=0 src1=0 src2=0
	v_add3_u32 v41, v41, v153, v154
	s_set_vgpr_msb 5                        ;  msbs: dst=0 src0=1 src1=1 src2=0
	v_mul_i32_i24_e32 v151, v168 /*v424*/, v93 /*v349*/
	s_set_vgpr_msb 4                        ;  msbs: dst=0 src0=0 src1=1 src2=0
	v_mul_i32_i24_e32 v152, v159, v94 /*v350*/
	s_set_vgpr_msb 0                        ;  msbs: dst=0 src0=0 src1=0 src2=0
	v_add3_u32 v59, v59, v65, v68
	s_set_vgpr_msb 0x45                     ;  msbs: dst=1 src0=1 src1=1 src2=0
	v_mul_i32_i24_e32 v165 /*v421*/, v65 /*v321*/, v238 /*v494*/
	s_set_vgpr_msb 0                        ;  msbs: dst=0 src0=0 src1=0 src2=0
	v_add3_u32 v41, v41, v155, v156
	s_set_vgpr_msb 4                        ;  msbs: dst=0 src0=0 src1=1 src2=0
	v_mul_i32_i24_e32 v153, v158, v96 /*v352*/
	s_set_vgpr_msb 5                        ;  msbs: dst=0 src0=1 src1=1 src2=0
	v_mul_i32_i24_e32 v154, v219 /*v475*/, v97 /*v353*/
	s_set_vgpr_msb 0                        ;  msbs: dst=0 src0=0 src1=0 src2=0
	v_add3_u32 v59, v59, v69, v70
	s_set_vgpr_msb 4                        ;  msbs: dst=0 src0=0 src1=1 src2=0
	v_mul_i32_i24_e32 v155, v161, v98 /*v354*/
	s_set_vgpr_msb 0                        ;  msbs: dst=0 src0=0 src1=0 src2=0
	v_add3_u32 v41, v41, v157, v160
	s_set_vgpr_msb 5                        ;  msbs: dst=0 src0=1 src1=1 src2=0
	v_mul_i32_i24_e32 v156, v222 /*v478*/, v100 /*v356*/
	v_mul_i32_i24_e32 v157, v186 /*v442*/, v99 /*v355*/
	s_set_vgpr_msb 0                        ;  msbs: dst=0 src0=0 src1=0 src2=0
	v_add3_u32 v59, v59, v72, v91
	s_set_vgpr_msb 5                        ;  msbs: dst=0 src0=1 src1=1 src2=0
	v_mul_i32_i24_e32 v158, v220 /*v476*/, v101 /*v357*/
	s_set_vgpr_msb 20                       ;  msbs: dst=0 src0=0 src1=1 src2=1
	v_add3_u32 v41, v41, v162 /*v418*/, v163 /*v419*/
	v_mul_i32_i24_e32 v159, v162, v102 /*v358*/
	s_set_vgpr_msb 5                        ;  msbs: dst=0 src0=1 src1=1 src2=0
	v_mul_i32_i24_e32 v160, v182 /*v438*/, v103 /*v359*/
	s_set_vgpr_msb 0                        ;  msbs: dst=0 src0=0 src1=0 src2=0
	v_add3_u32 v59, v59, v148, v93
	s_set_vgpr_msb 20                       ;  msbs: dst=0 src0=0 src1=1 src2=1
	v_mul_i32_i24_e32 v161, v163, v105 /*v361*/
	v_add3_u32 v41, v41, v164 /*v420*/, v165 /*v421*/
	s_set_vgpr_msb 0x44                     ;  msbs: dst=1 src0=0 src1=1 src2=0
	v_pk_fma_f32 v[164:165] /*v[420:421]*/, v[110:111], v[176:177] /*v[432:433]*/, 0 op_sel_hi:[0,1,0]
	s_set_vgpr_msb 0                        ;  msbs: dst=0 src0=0 src1=0 src2=0
	v_add3_u32 v59, v59, v149, v150
	s_set_vgpr_msb 20                       ;  msbs: dst=0 src0=0 src1=1 src2=1
	v_add3_u32 v41, v41, v166 /*v422*/, v167 /*v423*/
	s_set_vgpr_msb 0x54                     ;  msbs: dst=1 src0=0 src1=1 src2=1
	v_pk_fma_f32 v[164:165] /*v[420:421]*/, v[108:109], v[170:171] /*v[426:427]*/, v[164:165] /*v[420:421]*/ op_sel_hi:[0,1,1]
	s_set_vgpr_msb 0                        ;  msbs: dst=0 src0=0 src1=0 src2=0
	v_add3_u32 v59, v59, v151, v152
	s_set_vgpr_msb 20                       ;  msbs: dst=0 src0=0 src1=1 src2=1
	v_add3_u32 v41, v41, v169 /*v425*/, v172 /*v428*/
	s_set_vgpr_msb 0x41                     ;  msbs: dst=1 src0=1 src1=0 src2=0
	v_pk_mul_f32 v[164:165] /*v[420:421]*/, v[164:165] /*v[420:421]*/, v[14:15]
	s_set_vgpr_msb 0                        ;  msbs: dst=0 src0=0 src1=0 src2=0
	v_add3_u32 v59, v59, v153, v61
	s_set_vgpr_msb 20                       ;  msbs: dst=0 src0=0 src1=1 src2=1
	v_add3_u32 v41, v41, v173 /*v429*/, v179 /*v435*/
	s_set_vgpr_msb 0                        ;  msbs: dst=0 src0=0 src1=0 src2=0
	s_delay_alu instid0(VALU_DEP_2) | instskip(SKIP_1) | instid1(VALU_DEP_2)
	v_add3_u32 v59, v59, v154, v155
	s_set_vgpr_msb 20                       ;  msbs: dst=0 src0=0 src1=1 src2=1
	v_add3_u32 v41, v41, v180 /*v436*/, v181 /*v437*/
	s_set_vgpr_msb 0                        ;  msbs: dst=0 src0=0 src1=0 src2=0
	s_delay_alu instid0(VALU_DEP_2) | instskip(SKIP_1) | instid1(VALU_DEP_2)
	;; [unrolled: 5-line block ×3, first 2 shown]
	v_add3_u32 v59, v59, v158, v159
	s_set_vgpr_msb 4                        ;  msbs: dst=0 src0=0 src1=1 src2=0
	v_mul_lo_u32 v41, v41, v44 /*v300*/
	s_set_vgpr_msb 0                        ;  msbs: dst=0 src0=0 src1=0 src2=0
	s_delay_alu instid0(VALU_DEP_2) | instskip(NEXT) | instid1(VALU_DEP_1)
	v_add3_u32 v59, v59, v66, v160
	v_add3_u32 v58, v59, v161, v58
	s_set_vgpr_msb 21                       ;  msbs: dst=0 src0=1 src1=1 src2=1
	v_add3_u32 v59, v202 /*v458*/, v200 /*v456*/, v201 /*v457*/
	s_set_vgpr_msb 64                       ;  msbs: dst=1 src0=0 src1=0 src2=0
	s_delay_alu instid0(VALU_DEP_4)
	v_cvt_f32_i32_e32 v163 /*v419*/, v41
	s_set_vgpr_msb 5                        ;  msbs: dst=0 src0=1 src1=1 src2=0
	v_mul_i32_i24_e32 v41, v221 /*v477*/, v42 /*v298*/
	s_set_vgpr_msb 4                        ;  msbs: dst=0 src0=0 src1=1 src2=0
	v_mul_lo_u32 v59, v59, v44 /*v300*/
	s_set_vgpr_msb 0                        ;  msbs: dst=0 src0=0 src1=0 src2=0
	s_delay_alu instid0(VALU_DEP_2) | instskip(SKIP_1) | instid1(VALU_DEP_1)
	v_add3_u32 v41, v58, v60, v41
	s_set_vgpr_msb 4                        ;  msbs: dst=0 src0=0 src1=1 src2=0
	v_mul_lo_u32 v41, v41, v43 /*v299*/
	s_set_vgpr_msb 64                       ;  msbs: dst=1 src0=0 src1=0 src2=0
	s_delay_alu instid0(VALU_DEP_3) | instskip(SKIP_3) | instid1(VALU_DEP_2)
	v_cvt_f32_i32_e32 v162 /*v418*/, v59
	s_set_vgpr_msb 5                        ;  msbs: dst=0 src0=1 src1=1 src2=0
	v_mul_i32_i24_e32 v59, v161 /*v417*/, v42 /*v298*/
	s_set_vgpr_msb 0x45                     ;  msbs: dst=1 src0=1 src1=1 src2=0
	v_pk_fma_f32 v[162:163] /*v[418:419]*/, v[174:175] /*v[430:431]*/, v[162:163] /*v[418:419]*/, 0 op_sel_hi:[1,1,0]
	s_set_vgpr_msb 5                        ;  msbs: dst=0 src0=1 src1=1 src2=0
	s_delay_alu instid0(VALU_DEP_2)
	v_add3_u32 v59, v204 /*v460*/, v203 /*v459*/, v59
	s_set_vgpr_msb 64                       ;  msbs: dst=1 src0=0 src1=0 src2=0
	v_cvt_f32_i32_e32 v167 /*v423*/, v41
	s_set_vgpr_msb 0                        ;  msbs: dst=0 src0=0 src1=0 src2=0
	v_or_b32_e32 v41, s8, v138
	s_set_vgpr_msb 4                        ;  msbs: dst=0 src0=0 src1=1 src2=0
	v_mul_lo_u32 v58, v59, v43 /*v299*/
	s_set_vgpr_msb 64                       ;  msbs: dst=1 src0=0 src1=0 src2=0
	s_delay_alu instid0(VALU_DEP_2) | instskip(NEXT) | instid1(VALU_DEP_2)
	v_lshrrev_b32_e32 v161 /*v417*/, 1, v41
	v_cvt_f32_i32_e32 v166 /*v422*/, v58
	s_set_vgpr_msb 0                        ;  msbs: dst=0 src0=0 src1=0 src2=0
	v_lshlrev_b32_e32 v58, 2, v41
	s_set_vgpr_msb 0x55                     ;  msbs: dst=1 src0=1 src1=1 src2=1
	s_delay_alu instid0(VALU_DEP_2) | instskip(SKIP_1) | instid1(VALU_DEP_1)
	v_pk_fma_f32 v[162:163] /*v[418:419]*/, v[188:189] /*v[444:445]*/, v[166:167] /*v[422:423]*/, v[162:163] /*v[418:419]*/
	s_set_vgpr_msb 0x51                     ;  msbs: dst=1 src0=1 src1=0 src2=1
	v_pk_fma_f32 v[162:163] /*v[418:419]*/, v[162:163] /*v[418:419]*/, v[6:7], v[164:165] /*v[420:421]*/ neg_lo:[0,0,1] neg_hi:[0,0,1]
	s_set_vgpr_msb 4                        ;  msbs: dst=0 src0=0 src1=1 src2=0
	s_delay_alu instid0(VALU_DEP_1)
	v_pk_add_f32 v[44:45], v[44:45], v[162:163] /*v[418:419]*/
	s_set_vgpr_msb 64                       ;  msbs: dst=1 src0=0 src1=0 src2=0
	ds_load_b128 v[162:165] /*v[418:421]*/, v58 offset:16896
	ds_load_b128 v[166:169] /*v[422:425]*/, v58 offset:16912
	;; [unrolled: 1-line block ×4, first 2 shown]
	s_wait_dscnt 0x3
	s_set_vgpr_msb 1                        ;  msbs: dst=0 src0=1 src1=0 src2=0
	v_bfe_i32 v41, v162 /*v418*/, 0, 8
	v_bfe_i32 v58, v162 /*v418*/, 8, 8
	;; [unrolled: 1-line block ×3, first 2 shown]
	s_set_vgpr_msb 4                        ;  msbs: dst=0 src0=0 src1=1 src2=0
	v_dual_ashrrev_i32 v61, 24, v162 /*v418*/ :: v_dual_ashrrev_i32 v149, 24, v165 /*v421*/
	s_set_vgpr_msb 1                        ;  msbs: dst=0 src0=1 src1=0 src2=0
	v_bfe_i32 v68, v164 /*v420*/, 0, 8
	v_bfe_i32 v69, v164 /*v420*/, 8, 8
	;; [unrolled: 1-line block ×3, first 2 shown]
	s_set_vgpr_msb 4                        ;  msbs: dst=0 src0=0 src1=1 src2=0
	v_ashrrev_i32_e32 v72, 24, v164 /*v420*/
	s_set_vgpr_msb 64                       ;  msbs: dst=1 src0=0 src1=0 src2=0
	v_mul_i32_i24_e32 v164 /*v420*/, v41, v121
	s_set_vgpr_msb 1                        ;  msbs: dst=0 src0=1 src1=0 src2=0
	v_bfe_i32 v62, v163 /*v419*/, 0, 8
	v_bfe_i32 v64, v163 /*v419*/, 8, 8
	;; [unrolled: 1-line block ×5, first 2 shown]
	s_wait_dscnt 0x2
	v_bfe_i32 v150, v166 /*v422*/, 0, 8
	v_bfe_i32 v151, v166 /*v422*/, 8, 8
	;; [unrolled: 1-line block ×3, first 2 shown]
	s_set_vgpr_msb 4                        ;  msbs: dst=0 src0=0 src1=1 src2=0
	v_dual_ashrrev_i32 v153, 24, v166 /*v422*/ :: v_dual_ashrrev_i32 v157, 24, v167 /*v423*/
	s_set_vgpr_msb 0x44                     ;  msbs: dst=1 src0=0 src1=1 src2=0
	v_mul_i32_i24_e32 v165 /*v421*/, v60, v108 /*v364*/
	v_mul_i32_i24_e32 v166 /*v422*/, v61, v109 /*v365*/
	s_set_vgpr_msb 0x50                     ;  msbs: dst=1 src0=0 src1=0 src2=1
	v_mad_i32_i24 v164 /*v420*/, v58, v120, v164 /*v420*/
	s_set_vgpr_msb 1                        ;  msbs: dst=0 src0=1 src1=0 src2=0
	v_bfe_i32 v65, v163 /*v419*/, 16, 8
	s_set_vgpr_msb 4                        ;  msbs: dst=0 src0=0 src1=1 src2=0
	v_ashrrev_i32_e32 v66, 24, v163 /*v419*/
	s_set_vgpr_msb 1                        ;  msbs: dst=0 src0=1 src1=0 src2=0
	v_bfe_i32 v154, v167 /*v423*/, 0, 8
	v_bfe_i32 v155, v167 /*v423*/, 8, 8
	s_set_vgpr_msb 0x55                     ;  msbs: dst=1 src0=1 src1=1 src2=1
	v_add3_u32 v164 /*v420*/, v164 /*v420*/, v165 /*v421*/, v166 /*v422*/
	s_set_vgpr_msb 0x44                     ;  msbs: dst=1 src0=0 src1=1 src2=0
	v_mul_i32_i24_e32 v165 /*v421*/, v62, v110 /*v366*/
	v_mul_i32_i24_e32 v166 /*v422*/, v64, v111 /*v367*/
	s_set_vgpr_msb 1                        ;  msbs: dst=0 src0=1 src1=0 src2=0
	v_bfe_i32 v156, v167 /*v423*/, 16, 8
	v_bfe_i32 v162, v169 /*v425*/, 0, 8
	;; [unrolled: 1-line block ×3, first 2 shown]
	s_set_vgpr_msb 0x41                     ;  msbs: dst=1 src0=1 src1=0 src2=0
	v_bfe_i32 v162 /*v418*/, v169 /*v425*/, 16, 8
	s_wait_dscnt 0x1
	s_set_vgpr_msb 0x44                     ;  msbs: dst=1 src0=0 src1=1 src2=0
	v_dual_ashrrev_i32 v163 /*v419*/, 24, v169 /*v425*/ :: v_dual_ashrrev_i32 v184 /*v440*/, 24, v170 /*v426*/
	v_mul_i32_i24_e32 v167 /*v423*/, v65, v112 /*v368*/
	v_mul_i32_i24_e32 v169 /*v425*/, v66, v113 /*v369*/
	s_set_vgpr_msb 0x55                     ;  msbs: dst=1 src0=1 src1=1 src2=1
	v_add3_u32 v164 /*v420*/, v164 /*v420*/, v165 /*v421*/, v166 /*v422*/
	s_set_vgpr_msb 1                        ;  msbs: dst=0 src0=1 src1=0 src2=0
	v_bfe_i32 v158, v168 /*v424*/, 0, 8
	v_bfe_i32 v159, v168 /*v424*/, 8, 8
	;; [unrolled: 1-line block ×3, first 2 shown]
	s_wait_dscnt 0x0
	s_set_vgpr_msb 4                        ;  msbs: dst=0 src0=0 src1=1 src2=0
	v_dual_ashrrev_i32 v161, 24, v168 /*v424*/ :: v_dual_ashrrev_i32 v59, 24, v177 /*v433*/
	s_set_vgpr_msb 0x41                     ;  msbs: dst=1 src0=1 src1=0 src2=0
	v_bfe_i32 v168 /*v424*/, v170 /*v426*/, 0, 8
	v_bfe_i32 v182 /*v438*/, v170 /*v426*/, 8, 8
	v_bfe_i32 v183 /*v439*/, v170 /*v426*/, 16, 8
	v_bfe_i32 v185 /*v441*/, v171 /*v427*/, 0, 8
	v_bfe_i32 v186 /*v442*/, v171 /*v427*/, 8, 8
	v_bfe_i32 v187 /*v443*/, v171 /*v427*/, 16, 8
	s_set_vgpr_msb 0x44                     ;  msbs: dst=1 src0=0 src1=1 src2=0
	v_dual_ashrrev_i32 v171 /*v427*/, 24, v171 /*v427*/ :: v_dual_ashrrev_i32 v191 /*v447*/, 24, v172 /*v428*/
	s_set_vgpr_msb 0x41                     ;  msbs: dst=1 src0=1 src1=0 src2=0
	v_bfe_i32 v188 /*v444*/, v172 /*v428*/, 0, 8
	v_bfe_i32 v189 /*v445*/, v172 /*v428*/, 8, 8
	;; [unrolled: 1-line block ×3, first 2 shown]
	s_set_vgpr_msb 0x44                     ;  msbs: dst=1 src0=0 src1=1 src2=0
	v_mul_i32_i24_e32 v170 /*v426*/, v68, v114 /*v370*/
	v_mul_i32_i24_e32 v172 /*v428*/, v69, v115 /*v371*/
	s_set_vgpr_msb 0x55                     ;  msbs: dst=1 src0=1 src1=1 src2=1
	v_add3_u32 v164 /*v420*/, v164 /*v420*/, v167 /*v423*/, v169 /*v425*/
	v_bfe_i32 v192 /*v448*/, v173 /*v429*/, 0, 8
	v_bfe_i32 v193 /*v449*/, v173 /*v429*/, 8, 8
	;; [unrolled: 1-line block ×3, first 2 shown]
	v_dual_ashrrev_i32 v195 /*v451*/, 24, v173 /*v429*/ :: v_dual_ashrrev_i32 v199 /*v455*/, 24, v174 /*v430*/
	v_dual_ashrrev_i32 v203 /*v459*/, 24, v175 /*v431*/ :: v_dual_ashrrev_i32 v207 /*v463*/, 24, v176 /*v432*/
	v_bfe_i32 v204 /*v460*/, v176 /*v432*/, 0, 8
	v_bfe_i32 v205 /*v461*/, v176 /*v432*/, 8, 8
	;; [unrolled: 1-line block ×3, first 2 shown]
	s_set_vgpr_msb 0x44                     ;  msbs: dst=1 src0=0 src1=1 src2=0
	v_mul_i32_i24_e32 v173 /*v429*/, v70, v116 /*v372*/
	v_mul_i32_i24_e32 v176 /*v432*/, v72, v117 /*v373*/
	s_set_vgpr_msb 0x55                     ;  msbs: dst=1 src0=1 src1=1 src2=1
	v_add3_u32 v164 /*v420*/, v164 /*v420*/, v170 /*v426*/, v172 /*v428*/
	v_bfe_i32 v208 /*v464*/, v177 /*v433*/, 0, 8
	v_bfe_i32 v209 /*v465*/, v177 /*v433*/, 8, 8
	;; [unrolled: 1-line block ×3, first 2 shown]
	s_set_vgpr_msb 0x44                     ;  msbs: dst=1 src0=0 src1=1 src2=0
	v_mul_i32_i24_e32 v177 /*v433*/, v91, v118 /*v374*/
	v_mul_i32_i24_e32 v178 /*v434*/, v93, v119 /*v375*/
	s_set_vgpr_msb 0x55                     ;  msbs: dst=1 src0=1 src1=1 src2=1
	v_add3_u32 v164 /*v420*/, v164 /*v420*/, v173 /*v429*/, v176 /*v432*/
	s_set_vgpr_msb 0x44                     ;  msbs: dst=1 src0=0 src1=1 src2=0
	v_mul_i32_i24_e32 v179 /*v435*/, v148, v120 /*v376*/
	v_mul_i32_i24_e32 v180 /*v436*/, v149, v121 /*v377*/
	;; [unrolled: 1-line block ×4, first 2 shown]
	s_set_vgpr_msb 0x55                     ;  msbs: dst=1 src0=1 src1=1 src2=1
	v_add3_u32 v164 /*v420*/, v164 /*v420*/, v177 /*v433*/, v178 /*v434*/
	s_set_vgpr_msb 0x44                     ;  msbs: dst=1 src0=0 src1=1 src2=0
	v_mul_i32_i24_e32 v212 /*v468*/, v152, v124 /*v380*/
	v_mul_i32_i24_e32 v213 /*v469*/, v153, v125 /*v381*/
	s_set_vgpr_msb 0x41                     ;  msbs: dst=1 src0=1 src1=0 src2=0
	v_mul_i32_i24_e32 v214 /*v470*/, v127 /*v383*/, v154
	v_mul_i32_i24_e32 v215 /*v471*/, v126 /*v382*/, v155
	s_set_vgpr_msb 0x55                     ;  msbs: dst=1 src0=1 src1=1 src2=1
	v_add3_u32 v164 /*v420*/, v164 /*v420*/, v179 /*v435*/, v180 /*v436*/
	s_set_vgpr_msb 0x41                     ;  msbs: dst=1 src0=1 src1=0 src2=0
	v_mul_i32_i24_e32 v216 /*v472*/, v129 /*v385*/, v156
	v_mul_i32_i24_e32 v217 /*v473*/, v128 /*v384*/, v157
	;; [unrolled: 1-line block ×4, first 2 shown]
	s_set_vgpr_msb 0x55                     ;  msbs: dst=1 src0=1 src1=1 src2=1
	v_add3_u32 v164 /*v420*/, v164 /*v420*/, v181 /*v437*/, v211 /*v467*/
	s_set_vgpr_msb 0x41                     ;  msbs: dst=1 src0=1 src1=0 src2=0
	v_mul_i32_i24_e32 v220 /*v476*/, v141 /*v397*/, v160
	v_mul_i32_i24_e32 v221 /*v477*/, v138 /*v394*/, v161
	s_set_vgpr_msb 0x44                     ;  msbs: dst=1 src0=0 src1=1 src2=0
	v_mul_i32_i24_e32 v222 /*v478*/, v162, v144 /*v400*/
	v_mul_i32_i24_e32 v223 /*v479*/, v163, v145 /*v401*/
	s_set_vgpr_msb 0x55                     ;  msbs: dst=1 src0=1 src1=1 src2=1
	v_add3_u32 v164 /*v420*/, v164 /*v420*/, v212 /*v468*/, v213 /*v469*/
	v_mul_i32_i24_e32 v165 /*v421*/, v148 /*v404*/, v183 /*v439*/
	v_mul_i32_i24_e32 v166 /*v422*/, v139 /*v395*/, v184 /*v440*/
	;; [unrolled: 1-line block ×4, first 2 shown]
	v_add3_u32 v164 /*v420*/, v164 /*v420*/, v214 /*v470*/, v215 /*v471*/
	s_set_vgpr_msb 0x44                     ;  msbs: dst=1 src0=0 src1=1 src2=0
	v_mul_i32_i24_e32 v170 /*v426*/, v116, v188 /*v444*/
	s_set_vgpr_msb 0x55                     ;  msbs: dst=1 src0=1 src1=1 src2=1
	v_mul_i32_i24_e32 v172 /*v428*/, v152 /*v408*/, v189 /*v445*/
	v_mul_i32_i24_e32 v173 /*v429*/, v151 /*v407*/, v190 /*v446*/
	v_mul_i32_i24_e32 v176 /*v432*/, v132 /*v388*/, v191 /*v447*/
	v_add3_u32 v164 /*v420*/, v164 /*v420*/, v216 /*v472*/, v217 /*v473*/
	s_set_vgpr_msb 0x44                     ;  msbs: dst=1 src0=0 src1=1 src2=0
	v_mul_i32_i24_e32 v178 /*v434*/, v117, v192 /*v448*/
	s_set_vgpr_msb 0x55                     ;  msbs: dst=1 src0=1 src1=1 src2=1
	v_mul_i32_i24_e32 v179 /*v435*/, v154 /*v410*/, v193 /*v449*/
	v_bfe_i32 v196 /*v452*/, v174 /*v430*/, 0, 8
	v_bfe_i32 v197 /*v453*/, v174 /*v430*/, 8, 8
	v_add3_u32 v164 /*v420*/, v164 /*v420*/, v218 /*v474*/, v219 /*v475*/
	v_mul_i32_i24_e32 v181 /*v437*/, v153 /*v409*/, v194 /*v450*/
	v_mul_i32_i24_e32 v211 /*v467*/, v133 /*v389*/, v195 /*v451*/
	v_bfe_i32 v198 /*v454*/, v174 /*v430*/, 16, 8
	s_set_vgpr_msb 0x44                     ;  msbs: dst=1 src0=0 src1=1 src2=0
	v_mul_i32_i24_e32 v212 /*v468*/, v112, v196 /*v452*/
	s_set_vgpr_msb 0x55                     ;  msbs: dst=1 src0=1 src1=1 src2=1
	v_add3_u32 v164 /*v420*/, v164 /*v420*/, v220 /*v476*/, v221 /*v477*/
	v_mul_i32_i24_e32 v213 /*v469*/, v156 /*v412*/, v197 /*v453*/
	v_bfe_i32 v200 /*v456*/, v175 /*v431*/, 0, 8
	v_bfe_i32 v201 /*v457*/, v175 /*v431*/, 8, 8
	v_mul_i32_i24_e32 v214 /*v470*/, v155 /*v411*/, v198 /*v454*/
	v_add3_u32 v177 /*v433*/, v164 /*v420*/, v222 /*v478*/, v223 /*v479*/
	s_set_vgpr_msb 0x44                     ;  msbs: dst=1 src0=0 src1=1 src2=0
	v_mul_i32_i24_e32 v164 /*v420*/, v118, v168 /*v424*/
	s_set_vgpr_msb 0x45                     ;  msbs: dst=1 src0=1 src1=1 src2=0
	v_mul_i32_i24_e32 v215 /*v471*/, v134 /*v390*/, v199 /*v455*/
	v_bfe_i32 v202 /*v458*/, v175 /*v431*/, 16, 8
	s_set_vgpr_msb 0x44                     ;  msbs: dst=1 src0=0 src1=1 src2=0
	v_mul_i32_i24_e32 v216 /*v472*/, v113, v200 /*v456*/
	s_set_vgpr_msb 0x45                     ;  msbs: dst=1 src0=1 src1=1 src2=0
	v_mul_i32_i24_e32 v217 /*v473*/, v158 /*v414*/, v201 /*v457*/
	s_set_vgpr_msb 0x54                     ;  msbs: dst=1 src0=0 src1=1 src2=1
	v_mad_i32_i24 v164 /*v420*/, v115, v182 /*v438*/, v164 /*v420*/
	s_set_vgpr_msb 0x45                     ;  msbs: dst=1 src0=1 src1=1 src2=0
	v_mul_i32_i24_e32 v219 /*v475*/, v135 /*v391*/, v203 /*v459*/
	v_mul_i32_i24_e32 v218 /*v474*/, v157 /*v413*/, v202 /*v458*/
	s_set_vgpr_msb 0x44                     ;  msbs: dst=1 src0=0 src1=1 src2=0
	v_mul_i32_i24_e32 v220 /*v476*/, v114, v204 /*v460*/
	s_set_vgpr_msb 0x55                     ;  msbs: dst=1 src0=1 src1=1 src2=1
	v_mul_i32_i24_e32 v221 /*v477*/, v160 /*v416*/, v205 /*v461*/
	v_add3_u32 v164 /*v420*/, v164 /*v420*/, v165 /*v421*/, v166 /*v422*/
	s_set_vgpr_msb 0x44                     ;  msbs: dst=1 src0=0 src1=1 src2=0
	v_mul_i32_i24_e32 v165 /*v421*/, v119, v185 /*v441*/
	s_set_vgpr_msb 0x55                     ;  msbs: dst=1 src0=1 src1=1 src2=1
	v_mul_i32_i24_e32 v166 /*v422*/, v150 /*v406*/, v186 /*v442*/
	v_mul_i32_i24_e32 v222 /*v478*/, v159 /*v415*/, v206 /*v462*/
	;; [unrolled: 1-line block ×5, first 2 shown]
	v_add3_u32 v164 /*v420*/, v164 /*v420*/, v165 /*v421*/, v166 /*v422*/
	s_set_vgpr_msb 64                       ;  msbs: dst=1 src0=0 src1=0 src2=0
	v_mul_i32_i24_e32 v165 /*v421*/, v60, v173
	v_mul_i32_i24_e32 v166 /*v422*/, v61, v174
	;; [unrolled: 1-line block ×4, first 2 shown]
	s_set_vgpr_msb 0x55                     ;  msbs: dst=1 src0=1 src1=1 src2=1
	v_add3_u32 v164 /*v420*/, v164 /*v420*/, v167 /*v423*/, v169 /*v425*/
	s_set_vgpr_msb 64                       ;  msbs: dst=1 src0=0 src1=0 src2=0
	v_mul_i32_i24_e32 v167 /*v423*/, v65, v177
	v_mul_i32_i24_e32 v228 /*v484*/, v163, v206
	s_set_vgpr_msb 0x41                     ;  msbs: dst=1 src0=1 src1=0 src2=0
	v_mul_i32_i24_e32 v229 /*v485*/, v208 /*v464*/, v244
	v_mul_i32_i24_e32 v230 /*v486*/, v209 /*v465*/, v245
	s_set_vgpr_msb 0x55                     ;  msbs: dst=1 src0=1 src1=1 src2=1
	v_add3_u32 v164 /*v420*/, v164 /*v420*/, v170 /*v426*/, v172 /*v428*/
	s_set_vgpr_msb 64                       ;  msbs: dst=1 src0=0 src1=0 src2=0
	v_mul_i32_i24_e32 v172 /*v428*/, v66, v178
	s_set_vgpr_msb 0x41                     ;  msbs: dst=1 src0=1 src1=0 src2=0
	v_mul_i32_i24_e32 v231 /*v487*/, v5 /*v261*/, v161
	s_set_vgpr_msb 0x44                     ;  msbs: dst=1 src0=0 src1=1 src2=0
	v_mul_i32_i24_e32 v232 /*v488*/, v162, v11 /*v267*/
	v_mul_i32_i24_e32 v233 /*v489*/, v163, v13 /*v269*/
	s_set_vgpr_msb 0x55                     ;  msbs: dst=1 src0=1 src1=1 src2=1
	v_add3_u32 v164 /*v420*/, v164 /*v420*/, v173 /*v429*/, v176 /*v432*/
	s_set_vgpr_msb 64                       ;  msbs: dst=1 src0=0 src1=0 src2=0
	v_mul_i32_i24_e32 v173 /*v429*/, v68, v179
	v_mul_i32_i24_e32 v176 /*v432*/, v69, v180
	s_set_vgpr_msb 0x55                     ;  msbs: dst=1 src0=1 src1=1 src2=1
	v_mul_i32_i24_e32 v234 /*v490*/, v208 /*v464*/, v39 /*v295*/
	v_mul_i32_i24_e32 v235 /*v491*/, v209 /*v465*/, v40 /*v296*/
	v_add3_u32 v164 /*v420*/, v164 /*v420*/, v178 /*v434*/, v179 /*v435*/
	s_set_vgpr_msb 64                       ;  msbs: dst=1 src0=0 src1=0 src2=0
	v_mul_i32_i24_e32 v178 /*v434*/, v70, v181
	v_mul_i32_i24_e32 v179 /*v435*/, v72, v182
	s_set_vgpr_msb 0x55                     ;  msbs: dst=1 src0=1 src1=1 src2=1
	v_mul_i32_i24_e32 v180 /*v436*/, v210 /*v466*/, v143 /*v399*/
	v_mul_i32_i24_e32 v174 /*v430*/, v162 /*v418*/, v146 /*v402*/
	v_add3_u32 v164 /*v420*/, v164 /*v420*/, v181 /*v437*/, v211 /*v467*/
	s_set_vgpr_msb 64                       ;  msbs: dst=1 src0=0 src1=0 src2=0
	v_mul_i32_i24_e32 v211 /*v467*/, v91, v183
	s_set_vgpr_msb 0x45                     ;  msbs: dst=1 src0=1 src1=1 src2=0
	v_mul_i32_i24_e32 v175 /*v431*/, v163 /*v419*/, v147 /*v403*/
	s_set_vgpr_msb 0x41                     ;  msbs: dst=1 src0=1 src1=0 src2=0
	v_mul_i32_i24_e32 v169 /*v425*/, v162 /*v418*/, v207
	v_mul_i32_i24_e32 v170 /*v426*/, v163 /*v419*/, v209
	s_set_vgpr_msb 0x55                     ;  msbs: dst=1 src0=1 src1=1 src2=1
	v_add3_u32 v164 /*v420*/, v164 /*v420*/, v212 /*v468*/, v213 /*v469*/
	s_set_vgpr_msb 64                       ;  msbs: dst=1 src0=0 src1=0 src2=0
	v_mul_i32_i24_e32 v212 /*v468*/, v93, v184
	v_mul_i32_i24_e32 v213 /*v469*/, v148, v185
	s_set_vgpr_msb 0x55                     ;  msbs: dst=1 src0=1 src1=1 src2=1
	v_add3_u32 v164 /*v420*/, v164 /*v420*/, v214 /*v470*/, v215 /*v471*/
	s_set_vgpr_msb 64                       ;  msbs: dst=1 src0=0 src1=0 src2=0
	v_mul_i32_i24_e32 v214 /*v470*/, v149, v186
	v_mul_i32_i24_e32 v215 /*v471*/, v150, v187
	;; [unrolled: 5-line block ×6, first 2 shown]
	s_set_vgpr_msb 0x55                     ;  msbs: dst=1 src0=1 src1=1 src2=1
	v_add3_u32 v181 /*v437*/, v164 /*v420*/, v224 /*v480*/, v225 /*v481*/
	s_set_vgpr_msb 0x50                     ;  msbs: dst=1 src0=0 src1=0 src2=1
	v_mul_i32_i24_e32 v164 /*v420*/, v41, v126
	v_mul_i32_i24_e32 v224 /*v480*/, v195, v159
	;; [unrolled: 1-line block ×3, first 2 shown]
	s_delay_alu instid0(VALU_DEP_3) | instskip(SKIP_1) | instid1(VALU_DEP_1)
	v_mad_i32_i24 v164 /*v420*/, v58, v124, v164 /*v420*/
	s_set_vgpr_msb 0x55                     ;  msbs: dst=1 src0=1 src1=1 src2=1
	v_add3_u32 v164 /*v420*/, v164 /*v420*/, v165 /*v421*/, v166 /*v422*/
	s_set_vgpr_msb 64                       ;  msbs: dst=1 src0=0 src1=0 src2=0
	v_mul_i32_i24_e32 v165 /*v421*/, v62, v175
	v_mul_i32_i24_e32 v166 /*v422*/, v64, v176
	s_set_vgpr_msb 0x55                     ;  msbs: dst=1 src0=1 src1=1 src2=1
	s_delay_alu instid0(VALU_DEP_1)
	v_add3_u32 v164 /*v420*/, v164 /*v420*/, v165 /*v421*/, v166 /*v422*/
	s_set_vgpr_msb 0x41                     ;  msbs: dst=1 src0=1 src1=0 src2=0
	v_mul_i32_i24_e32 v165 /*v421*/, v183 /*v439*/, v198
	v_mul_i32_i24_e32 v166 /*v422*/, v184 /*v440*/, v204
	s_set_vgpr_msb 0x55                     ;  msbs: dst=1 src0=1 src1=1 src2=1
	v_add3_u32 v164 /*v420*/, v164 /*v420*/, v167 /*v423*/, v172 /*v428*/
	s_set_vgpr_msb 0x41                     ;  msbs: dst=1 src0=1 src1=0 src2=0
	v_mul_i32_i24_e32 v167 /*v423*/, v187 /*v443*/, v202
	s_set_vgpr_msb 0x55                     ;  msbs: dst=1 src0=1 src1=1 src2=1
	s_delay_alu instid0(VALU_DEP_2)
	v_add3_u32 v164 /*v420*/, v164 /*v420*/, v173 /*v429*/, v176 /*v432*/
	s_set_vgpr_msb 0x41                     ;  msbs: dst=1 src0=1 src1=0 src2=0
	v_mul_i32_i24_e32 v173 /*v429*/, v171 /*v427*/, v212
	v_mul_i32_i24_e32 v176 /*v432*/, v188 /*v444*/, v213
	s_set_vgpr_msb 0x55                     ;  msbs: dst=1 src0=1 src1=1 src2=1
	v_add3_u32 v164 /*v420*/, v164 /*v420*/, v178 /*v434*/, v179 /*v435*/
	s_set_vgpr_msb 0x41                     ;  msbs: dst=1 src0=1 src1=0 src2=0
	v_mul_i32_i24_e32 v179 /*v435*/, v189 /*v445*/, v214
	v_mul_i32_i24_e32 v178 /*v434*/, v210 /*v466*/, v246
	s_set_vgpr_msb 0x55                     ;  msbs: dst=1 src0=1 src1=1 src2=1
	;; [unrolled: 5-line block ×6, first 2 shown]
	v_add3_u32 v164 /*v420*/, v164 /*v420*/, v219 /*v475*/, v220 /*v476*/
	s_set_vgpr_msb 0x44                     ;  msbs: dst=1 src0=0 src1=1 src2=0
	v_mul_i32_i24_e32 v219 /*v475*/, v229, v198 /*v454*/
	v_mul_i32_i24_e32 v220 /*v476*/, v226, v199 /*v455*/
	s_set_vgpr_msb 0x55                     ;  msbs: dst=1 src0=1 src1=1 src2=1
	v_add3_u32 v164 /*v420*/, v164 /*v420*/, v221 /*v477*/, v222 /*v478*/
	s_set_vgpr_msb 0x44                     ;  msbs: dst=1 src0=0 src1=1 src2=0
	v_mul_i32_i24_e32 v221 /*v477*/, v231, v200 /*v456*/
	v_mul_i32_i24_e32 v222 /*v478*/, v232, v201 /*v457*/
	s_set_vgpr_msb 0x55                     ;  msbs: dst=1 src0=1 src1=1 src2=1
	;; [unrolled: 5-line block ×4, first 2 shown]
	v_add3_u32 v172 /*v428*/, v164 /*v420*/, v227 /*v483*/, v228 /*v484*/
	s_set_vgpr_msb 0x41                     ;  msbs: dst=1 src0=1 src1=0 src2=0
	v_mul_i32_i24_e32 v164 /*v420*/, v168 /*v424*/, v201
	s_set_vgpr_msb 0x44                     ;  msbs: dst=1 src0=0 src1=1 src2=0
	v_mul_i32_i24_e32 v227 /*v483*/, v242, v206 /*v462*/
	v_mul_i32_i24_e32 v228 /*v484*/, v239, v207 /*v463*/
	s_set_vgpr_msb 0x55                     ;  msbs: dst=1 src0=1 src1=1 src2=1
	v_add3_u32 v169 /*v425*/, v172 /*v428*/, v169 /*v425*/, v170 /*v426*/
	s_set_vgpr_msb 0x51                     ;  msbs: dst=1 src0=1 src1=0 src2=1
	v_mad_i32_i24 v164 /*v420*/, v182 /*v438*/, v200, v164 /*v420*/
	s_delay_alu instid0(VALU_DEP_2) | instskip(SKIP_1) | instid1(VALU_DEP_2)
	v_mul_lo_u32 v169 /*v425*/, v169 /*v425*/, v122
	s_set_vgpr_msb 0x55                     ;  msbs: dst=1 src0=1 src1=1 src2=1
	v_add3_u32 v164 /*v420*/, v164 /*v420*/, v165 /*v421*/, v166 /*v422*/
	s_set_vgpr_msb 0x41                     ;  msbs: dst=1 src0=1 src1=0 src2=0
	v_mul_i32_i24_e32 v165 /*v421*/, v185 /*v441*/, v208
	v_mul_i32_i24_e32 v166 /*v422*/, v186 /*v442*/, v210
	s_set_vgpr_msb 0x55                     ;  msbs: dst=1 src0=1 src1=1 src2=1
	s_delay_alu instid0(VALU_DEP_1)
	v_add3_u32 v164 /*v420*/, v164 /*v420*/, v165 /*v421*/, v166 /*v422*/
	s_set_vgpr_msb 64                       ;  msbs: dst=1 src0=0 src1=0 src2=0
	v_mul_i32_i24_e32 v165 /*v421*/, v60, v222
	v_mul_i32_i24_e32 v166 /*v422*/, v61, v224
	s_set_vgpr_msb 4                        ;  msbs: dst=0 src0=0 src1=1 src2=0
	v_mul_i32_i24_e32 v60, v60, v47 /*v303*/
	v_mul_i32_i24_e32 v61, v61, v48 /*v304*/
	s_set_vgpr_msb 0x55                     ;  msbs: dst=1 src0=1 src1=1 src2=1
	v_add3_u32 v164 /*v420*/, v164 /*v420*/, v167 /*v423*/, v173 /*v429*/
	s_set_vgpr_msb 64                       ;  msbs: dst=1 src0=0 src1=0 src2=0
	v_mul_i32_i24_e32 v167 /*v423*/, v62, v227
	v_mul_i32_i24_e32 v173 /*v429*/, v64, v228
	s_set_vgpr_msb 0x55                     ;  msbs: dst=1 src0=1 src1=1 src2=1
	v_add3_u32 v164 /*v420*/, v164 /*v420*/, v176 /*v432*/, v179 /*v435*/
	s_set_vgpr_msb 64                       ;  msbs: dst=1 src0=0 src1=0 src2=0
	v_mul_i32_i24_e32 v176 /*v432*/, v65, v230
	s_set_vgpr_msb 0x55                     ;  msbs: dst=1 src0=1 src1=1 src2=1
	s_delay_alu instid0(VALU_DEP_2)
	v_add3_u32 v164 /*v420*/, v164 /*v420*/, v211 /*v467*/, v212 /*v468*/
	s_set_vgpr_msb 64                       ;  msbs: dst=1 src0=0 src1=0 src2=0
	v_mul_i32_i24_e32 v211 /*v467*/, v66, v233
	v_mul_i32_i24_e32 v212 /*v468*/, v68, v238
	s_set_vgpr_msb 0x55                     ;  msbs: dst=1 src0=1 src1=1 src2=1
	v_add3_u32 v164 /*v420*/, v164 /*v420*/, v213 /*v469*/, v214 /*v470*/
	s_set_vgpr_msb 64                       ;  msbs: dst=1 src0=0 src1=0 src2=0
	v_mul_i32_i24_e32 v213 /*v469*/, v69, v240
	v_mul_i32_i24_e32 v214 /*v470*/, v70, v241
	s_set_vgpr_msb 0x55                     ;  msbs: dst=1 src0=1 src1=1 src2=1
	;; [unrolled: 5-line block ×6, first 2 shown]
	v_add3_u32 v164 /*v420*/, v164 /*v420*/, v223 /*v479*/, v224 /*v480*/
	s_set_vgpr_msb 64                       ;  msbs: dst=1 src0=0 src1=0 src2=0
	v_mul_i32_i24_e32 v223 /*v479*/, v153, v254
	s_set_vgpr_msb 0x41                     ;  msbs: dst=1 src0=1 src1=0 src2=0
	v_mul_i32_i24_e32 v224 /*v480*/, v0 /*v256*/, v154
	s_set_vgpr_msb 0x55                     ;  msbs: dst=1 src0=1 src1=1 src2=1
	v_add3_u32 v164 /*v420*/, v164 /*v420*/, v225 /*v481*/, v226 /*v482*/
	s_set_vgpr_msb 64                       ;  msbs: dst=1 src0=0 src1=0 src2=0
	v_mul_i32_i24_e32 v225 /*v481*/, v255, v155
	s_set_vgpr_msb 0x41                     ;  msbs: dst=1 src0=1 src1=0 src2=0
	v_mul_i32_i24_e32 v226 /*v482*/, v2 /*v258*/, v156
	s_set_vgpr_msb 0x55                     ;  msbs: dst=1 src0=1 src1=1 src2=1
	v_add3_u32 v164 /*v420*/, v164 /*v420*/, v227 /*v483*/, v228 /*v484*/
	s_set_vgpr_msb 0x41                     ;  msbs: dst=1 src0=1 src1=0 src2=0
	v_mul_i32_i24_e32 v227 /*v483*/, v1 /*v257*/, v157
	v_mul_i32_i24_e32 v228 /*v484*/, v4 /*v260*/, v158
	s_set_vgpr_msb 0x55                     ;  msbs: dst=1 src0=1 src1=1 src2=1
	v_add3_u32 v179 /*v435*/, v164 /*v420*/, v229 /*v485*/, v230 /*v486*/
	s_set_vgpr_msb 64                       ;  msbs: dst=1 src0=0 src1=0 src2=0
	v_mul_i32_i24_e32 v164 /*v420*/, v41, v219
	s_set_vgpr_msb 0x41                     ;  msbs: dst=1 src0=1 src1=0 src2=0
	v_mul_i32_i24_e32 v229 /*v485*/, v3 /*v259*/, v159
	v_mul_i32_i24_e32 v230 /*v486*/, v7 /*v263*/, v160
	s_set_vgpr_msb 4                        ;  msbs: dst=0 src0=0 src1=1 src2=0
	v_mul_i32_i24_e32 v41, v41, v46 /*v302*/
	s_set_vgpr_msb 0x50                     ;  msbs: dst=1 src0=0 src1=0 src2=1
	v_mad_i32_i24 v164 /*v420*/, v58, v217, v164 /*v420*/
	s_set_vgpr_msb 4                        ;  msbs: dst=0 src0=0 src1=1 src2=0
	s_delay_alu instid0(VALU_DEP_2)
	v_mad_i32_i24 v41, v58, v45 /*v301*/, v41
	v_mul_i32_i24_e32 v58, v62, v49 /*v305*/
	s_set_vgpr_msb 0x55                     ;  msbs: dst=1 src0=1 src1=1 src2=1
	v_add3_u32 v164 /*v420*/, v164 /*v420*/, v165 /*v421*/, v166 /*v422*/
	s_set_vgpr_msb 4                        ;  msbs: dst=0 src0=0 src1=1 src2=0
	v_mul_i32_i24_e32 v62, v66, v52 /*v308*/
	v_mul_i32_i24_e32 v66, v70, v55 /*v311*/
	s_set_vgpr_msb 0                        ;  msbs: dst=0 src0=0 src1=0 src2=0
	v_add3_u32 v41, v41, v60, v61
	s_set_vgpr_msb 4                        ;  msbs: dst=0 src0=0 src1=1 src2=0
	v_mul_i32_i24_e32 v60, v64, v50 /*v306*/
	s_set_vgpr_msb 0x55                     ;  msbs: dst=1 src0=1 src1=1 src2=1
	v_add3_u32 v164 /*v420*/, v164 /*v420*/, v167 /*v423*/, v173 /*v429*/
	v_mul_i32_i24_e32 v173 /*v429*/, v183 /*v439*/, v6 /*v262*/
	s_set_vgpr_msb 4                        ;  msbs: dst=0 src0=0 src1=1 src2=0
	v_mul_i32_i24_e32 v61, v65, v51 /*v307*/
	v_mul_i32_i24_e32 v64, v68, v53 /*v309*/
	s_set_vgpr_msb 0                        ;  msbs: dst=0 src0=0 src1=0 src2=0
	v_add3_u32 v41, v41, v58, v60
	s_set_vgpr_msb 0x55                     ;  msbs: dst=1 src0=1 src1=1 src2=1
	v_add3_u32 v164 /*v420*/, v164 /*v420*/, v176 /*v432*/, v211 /*v467*/
	v_mul_i32_i24_e32 v176 /*v432*/, v184 /*v440*/, v12 /*v268*/
	v_mul_i32_i24_e32 v211 /*v467*/, v186 /*v442*/, v17 /*v273*/
	s_set_vgpr_msb 4                        ;  msbs: dst=0 src0=0 src1=1 src2=0
	v_mul_i32_i24_e32 v65, v69, v54 /*v310*/
	s_set_vgpr_msb 0                        ;  msbs: dst=0 src0=0 src1=0 src2=0
	v_add3_u32 v41, v41, v61, v62
	s_set_vgpr_msb 0x55                     ;  msbs: dst=1 src0=1 src1=1 src2=1
	v_add3_u32 v164 /*v420*/, v164 /*v420*/, v212 /*v468*/, v213 /*v469*/
	v_mul_i32_i24_e32 v212 /*v468*/, v187 /*v443*/, v10 /*v266*/
	v_mul_i32_i24_e32 v213 /*v469*/, v171 /*v427*/, v19 /*v275*/
	s_set_vgpr_msb 4                        ;  msbs: dst=0 src0=0 src1=1 src2=0
	v_mul_i32_i24_e32 v68, v72, v56 /*v312*/
	s_set_vgpr_msb 0                        ;  msbs: dst=0 src0=0 src1=0 src2=0
	v_add3_u32 v41, v41, v64, v65
	s_set_vgpr_msb 0x55                     ;  msbs: dst=1 src0=1 src1=1 src2=1
	v_add3_u32 v164 /*v420*/, v164 /*v420*/, v214 /*v470*/, v215 /*v471*/
	v_mul_i32_i24_e32 v214 /*v470*/, v188 /*v444*/, v20 /*v276*/
	v_mul_i32_i24_e32 v215 /*v471*/, v189 /*v445*/, v21 /*v277*/
	s_set_vgpr_msb 4                        ;  msbs: dst=0 src0=0 src1=1 src2=0
	v_mul_i32_i24_e32 v69, v91, v57 /*v313*/
	v_mul_i32_i24_e32 v70, v93, v58 /*v314*/
	s_set_vgpr_msb 0x55                     ;  msbs: dst=1 src0=1 src1=1 src2=1
	v_add3_u32 v164 /*v420*/, v164 /*v420*/, v216 /*v472*/, v217 /*v473*/
	v_mul_i32_i24_e32 v216 /*v472*/, v190 /*v446*/, v18 /*v274*/
	v_mul_i32_i24_e32 v217 /*v473*/, v191 /*v447*/, v23 /*v279*/
	s_set_vgpr_msb 0                        ;  msbs: dst=0 src0=0 src1=0 src2=0
	v_add3_u32 v41, v41, v66, v68
	s_set_vgpr_msb 4                        ;  msbs: dst=0 src0=0 src1=1 src2=0
	v_mul_i32_i24_e32 v72, v148, v59 /*v315*/
	s_set_vgpr_msb 0x55                     ;  msbs: dst=1 src0=1 src1=1 src2=1
	v_add3_u32 v164 /*v420*/, v164 /*v420*/, v218 /*v474*/, v219 /*v475*/
	v_mul_i32_i24_e32 v218 /*v474*/, v192 /*v448*/, v24 /*v280*/
	v_mul_i32_i24_e32 v219 /*v475*/, v193 /*v449*/, v25 /*v281*/
	s_set_vgpr_msb 4                        ;  msbs: dst=0 src0=0 src1=1 src2=0
	v_mul_i32_i24_e32 v91, v149, v60 /*v316*/
	s_set_vgpr_msb 0                        ;  msbs: dst=0 src0=0 src1=0 src2=0
	v_add3_u32 v41, v41, v69, v70
	s_set_vgpr_msb 0x55                     ;  msbs: dst=1 src0=1 src1=1 src2=1
	v_add3_u32 v164 /*v420*/, v164 /*v420*/, v220 /*v476*/, v221 /*v477*/
	v_mul_i32_i24_e32 v220 /*v476*/, v194 /*v450*/, v22 /*v278*/
	v_mul_i32_i24_e32 v221 /*v477*/, v195 /*v451*/, v26 /*v282*/
	s_set_vgpr_msb 4                        ;  msbs: dst=0 src0=0 src1=1 src2=0
	v_mul_i32_i24_e32 v93, v150, v61 /*v317*/
	v_mul_i32_i24_e32 v148, v151, v62 /*v318*/
	s_set_vgpr_msb 0x55                     ;  msbs: dst=1 src0=1 src1=1 src2=1
	v_add3_u32 v164 /*v420*/, v164 /*v420*/, v222 /*v478*/, v223 /*v479*/
	v_mul_i32_i24_e32 v222 /*v478*/, v196 /*v452*/, v27 /*v283*/
	v_mul_i32_i24_e32 v223 /*v479*/, v197 /*v453*/, v28 /*v284*/
	s_set_vgpr_msb 0                        ;  msbs: dst=0 src0=0 src1=0 src2=0
	v_add3_u32 v41, v41, v72, v91
	s_set_vgpr_msb 4                        ;  msbs: dst=0 src0=0 src1=1 src2=0
	v_mul_i32_i24_e32 v149, v152, v63 /*v319*/
	s_set_vgpr_msb 0x55                     ;  msbs: dst=1 src0=1 src1=1 src2=1
	v_add3_u32 v164 /*v420*/, v164 /*v420*/, v224 /*v480*/, v225 /*v481*/
	v_mul_i32_i24_e32 v224 /*v480*/, v30 /*v286*/, v198 /*v454*/
	v_mul_i32_i24_e32 v225 /*v481*/, v29 /*v285*/, v199 /*v455*/
	s_set_vgpr_msb 4                        ;  msbs: dst=0 src0=0 src1=1 src2=0
	v_mul_i32_i24_e32 v150, v153, v64 /*v320*/
	s_set_vgpr_msb 0                        ;  msbs: dst=0 src0=0 src1=0 src2=0
	v_add3_u32 v41, v41, v93, v148
	s_set_vgpr_msb 0x55                     ;  msbs: dst=1 src0=1 src1=1 src2=1
	v_add3_u32 v164 /*v420*/, v164 /*v420*/, v226 /*v482*/, v227 /*v483*/
	v_mul_i32_i24_e32 v226 /*v482*/, v31 /*v287*/, v200 /*v456*/
	v_mul_i32_i24_e32 v227 /*v483*/, v32 /*v288*/, v201 /*v457*/
	s_set_vgpr_msb 1                        ;  msbs: dst=0 src0=1 src1=0 src2=0
	v_mul_i32_i24_e32 v151, v66 /*v322*/, v154
	v_mul_i32_i24_e32 v152, v65 /*v321*/, v155
	s_set_vgpr_msb 0x55                     ;  msbs: dst=1 src0=1 src1=1 src2=1
	v_add3_u32 v164 /*v420*/, v164 /*v420*/, v228 /*v484*/, v229 /*v485*/
	s_set_vgpr_msb 0                        ;  msbs: dst=0 src0=0 src1=0 src2=0
	v_add3_u32 v41, v41, v149, v150
	s_set_vgpr_msb 0x45                     ;  msbs: dst=1 src0=1 src1=1 src2=0
	v_mul_i32_i24_e32 v228 /*v484*/, v34 /*v290*/, v202 /*v458*/
	v_mul_i32_i24_e32 v229 /*v485*/, v33 /*v289*/, v203 /*v459*/
	s_set_vgpr_msb 1                        ;  msbs: dst=0 src0=1 src1=0 src2=0
	v_mul_i32_i24_e32 v153, v68 /*v324*/, v156
	s_set_vgpr_msb 0x55                     ;  msbs: dst=1 src0=1 src1=1 src2=1
	v_add3_u32 v164 /*v420*/, v164 /*v420*/, v230 /*v486*/, v231 /*v487*/
	s_set_vgpr_msb 1                        ;  msbs: dst=0 src0=1 src1=0 src2=0
	v_mul_i32_i24_e32 v154, v67 /*v323*/, v157
	s_set_vgpr_msb 0                        ;  msbs: dst=0 src0=0 src1=0 src2=0
	v_add3_u32 v41, v41, v151, v152
	s_set_vgpr_msb 0x55                     ;  msbs: dst=1 src0=1 src1=1 src2=1
	v_mul_i32_i24_e32 v230 /*v486*/, v35 /*v291*/, v204 /*v460*/
	v_mul_i32_i24_e32 v231 /*v487*/, v36 /*v292*/, v205 /*v461*/
	v_add3_u32 v167 /*v423*/, v164 /*v420*/, v232 /*v488*/, v233 /*v489*/
	v_mul_i32_i24_e32 v164 /*v420*/, v168 /*v424*/, v9 /*v265*/
	s_set_vgpr_msb 1                        ;  msbs: dst=0 src0=1 src1=0 src2=0
	v_mul_i32_i24_e32 v155, v70 /*v326*/, v158
	v_mul_i32_i24_e32 v156, v69 /*v325*/, v159
	s_set_vgpr_msb 0                        ;  msbs: dst=0 src0=0 src1=0 src2=0
	v_add3_u32 v41, v41, v153, v154
	s_set_vgpr_msb 0x55                     ;  msbs: dst=1 src0=1 src1=1 src2=1
	v_mul_i32_i24_e32 v232 /*v488*/, v38 /*v294*/, v206 /*v462*/
	v_mad_i32_i24 v164 /*v420*/, v182 /*v438*/, v8 /*v264*/, v164 /*v420*/
	v_mul_i32_i24_e32 v233 /*v489*/, v37 /*v293*/, v207 /*v463*/
	s_set_vgpr_msb 1                        ;  msbs: dst=0 src0=1 src1=0 src2=0
	v_mul_i32_i24_e32 v157, v73 /*v329*/, v160
	v_mul_i32_i24_e32 v158, v71 /*v327*/, v161
	s_set_vgpr_msb 0                        ;  msbs: dst=0 src0=0 src1=0 src2=0
	v_add3_u32 v41, v41, v155, v156
	s_set_vgpr_msb 0x55                     ;  msbs: dst=1 src0=1 src1=1 src2=1
	v_add3_u32 v164 /*v420*/, v164 /*v420*/, v173 /*v429*/, v176 /*v432*/
	v_mul_i32_i24_e32 v176 /*v432*/, v185 /*v441*/, v15 /*v271*/
	s_set_vgpr_msb 4                        ;  msbs: dst=0 src0=0 src1=1 src2=0
	v_mul_i32_i24_e32 v159, v162, v77 /*v333*/
	v_mul_i32_i24_e32 v160, v163, v79 /*v335*/
	s_set_vgpr_msb 0                        ;  msbs: dst=0 src0=0 src1=0 src2=0
	v_add3_u32 v41, v41, v157, v158
	s_set_vgpr_msb 5                        ;  msbs: dst=0 src0=1 src1=1 src2=0
	v_mul_i32_i24_e32 v58, v183 /*v439*/, v72 /*v328*/
	s_set_vgpr_msb 0x55                     ;  msbs: dst=1 src0=1 src1=1 src2=1
	v_add3_u32 v164 /*v420*/, v164 /*v420*/, v176 /*v432*/, v211 /*v467*/
	s_set_vgpr_msb 5                        ;  msbs: dst=0 src0=1 src1=1 src2=0
	v_mul_i32_i24_e32 v60, v184 /*v440*/, v78 /*v334*/
	v_mul_i32_i24_e32 v61, v187 /*v443*/, v76 /*v332*/
	v_mul_i32_i24_e32 v62, v171 /*v427*/, v85 /*v341*/
	v_mul_i32_i24_e32 v64, v188 /*v444*/, v86 /*v342*/
	s_set_vgpr_msb 0x55                     ;  msbs: dst=1 src0=1 src1=1 src2=1
	v_add3_u32 v164 /*v420*/, v164 /*v420*/, v212 /*v468*/, v213 /*v469*/
	s_set_vgpr_msb 5                        ;  msbs: dst=0 src0=1 src1=1 src2=0
	v_mul_i32_i24_e32 v65, v189 /*v445*/, v87 /*v343*/
	v_mul_i32_i24_e32 v66, v190 /*v446*/, v84 /*v340*/
	v_mul_i32_i24_e32 v68, v191 /*v447*/, v89 /*v345*/
	;; [unrolled: 7-line block ×6, first 2 shown]
	s_set_vgpr_msb 0x55                     ;  msbs: dst=1 src0=1 src1=1 src2=1
	v_mul_i32_i24_e32 v173 /*v429*/, v210 /*v466*/, v41 /*v297*/
	v_add3_u32 v164 /*v420*/, v164 /*v420*/, v222 /*v478*/, v223 /*v479*/
	v_mul_i32_i24_e32 v165 /*v421*/, v162 /*v418*/, v14 /*v270*/
	v_mul_i32_i24_e32 v166 /*v422*/, v163 /*v419*/, v16 /*v272*/
	;; [unrolled: 1-line block ×4, first 2 shown]
	v_add3_u32 v164 /*v420*/, v164 /*v420*/, v224 /*v480*/, v225 /*v481*/
	s_delay_alu instid0(VALU_DEP_4) | instskip(NEXT) | instid1(VALU_DEP_2)
	v_add3_u32 v165 /*v421*/, v167 /*v423*/, v165 /*v421*/, v166 /*v422*/
	v_add3_u32 v164 /*v420*/, v164 /*v420*/, v226 /*v482*/, v227 /*v483*/
	s_set_vgpr_msb 0x41                     ;  msbs: dst=1 src0=1 src1=0 src2=0
	s_delay_alu instid0(VALU_DEP_2) | instskip(SKIP_1) | instid1(VALU_DEP_2)
	v_mul_lo_u32 v165 /*v421*/, v165 /*v421*/, v205
	s_set_vgpr_msb 0x55                     ;  msbs: dst=1 src0=1 src1=1 src2=1
	v_add3_u32 v164 /*v420*/, v164 /*v420*/, v228 /*v484*/, v229 /*v485*/
	s_delay_alu instid0(VALU_DEP_1) | instskip(NEXT) | instid1(VALU_DEP_3)
	v_add3_u32 v164 /*v420*/, v164 /*v420*/, v230 /*v486*/, v231 /*v487*/
	v_cvt_f32_i32_e32 v166 /*v422*/, v165 /*v421*/
	s_delay_alu instid0(VALU_DEP_2) | instskip(NEXT) | instid1(VALU_DEP_1)
	v_add3_u32 v164 /*v420*/, v164 /*v420*/, v232 /*v488*/, v233 /*v489*/
	v_add3_u32 v176 /*v432*/, v164 /*v420*/, v234 /*v490*/, v235 /*v491*/
	s_set_vgpr_msb 64                       ;  msbs: dst=1 src0=0 src1=0 src2=0
	v_add3_u32 v164 /*v420*/, v41, v159, v160
	s_set_vgpr_msb 5                        ;  msbs: dst=0 src0=1 src1=1 src2=0
	v_mul_i32_i24_e32 v41, v168 /*v424*/, v75 /*v331*/
	v_mul_i32_i24_e32 v159, v208 /*v464*/, v105 /*v361*/
	;; [unrolled: 1-line block ×3, first 2 shown]
	s_set_vgpr_msb 0x45                     ;  msbs: dst=1 src0=1 src1=1 src2=0
	v_mul_i32_i24_e32 v168 /*v424*/, v210 /*v466*/, v107 /*v363*/
	s_set_vgpr_msb 5                        ;  msbs: dst=0 src0=1 src1=1 src2=0
	v_mad_i32_i24 v41, v182 /*v438*/, v74 /*v330*/, v41
	s_set_vgpr_msb 0                        ;  msbs: dst=0 src0=0 src1=0 src2=0
	s_delay_alu instid0(VALU_DEP_1) | instskip(SKIP_4) | instid1(VALU_DEP_1)
	v_add3_u32 v41, v41, v58, v60
	s_set_vgpr_msb 5                        ;  msbs: dst=0 src0=1 src1=1 src2=0
	v_mul_i32_i24_e32 v58, v185 /*v441*/, v81 /*v337*/
	v_mul_i32_i24_e32 v60, v186 /*v442*/, v83 /*v339*/
	s_set_vgpr_msb 0                        ;  msbs: dst=0 src0=0 src1=0 src2=0
	v_add3_u32 v41, v41, v58, v60
	s_delay_alu instid0(VALU_DEP_1) | instskip(NEXT) | instid1(VALU_DEP_1)
	v_add3_u32 v41, v41, v61, v62
	v_add3_u32 v41, v41, v64, v65
	s_delay_alu instid0(VALU_DEP_1) | instskip(NEXT) | instid1(VALU_DEP_1)
	v_add3_u32 v41, v41, v66, v68
	;; [unrolled: 3-line block ×5, first 2 shown]
	v_add3_u32 v41, v41, v155, v156
	s_delay_alu instid0(VALU_DEP_1) | instskip(SKIP_1) | instid1(VALU_DEP_1)
	v_add3_u32 v41, v41, v157, v158
	s_set_vgpr_msb 64                       ;  msbs: dst=1 src0=0 src1=0 src2=0
	v_add3_u32 v171 /*v427*/, v41, v159, v160
	s_set_vgpr_msb 0                        ;  msbs: dst=0 src0=0 src1=0 src2=0
	v_or_b32_e32 v41, s8, v139
	s_delay_alu instid0(VALU_DEP_1)
	v_dual_lshlrev_b32 v58, 2, v41 :: v_dual_lshrrev_b32 v41, 1, v41
	s_set_vgpr_msb 64                       ;  msbs: dst=1 src0=0 src1=0 src2=0
	ds_load_b128 v[182:185] /*v[438:441]*/, v58 offset:16896
	ds_load_b128 v[186:189] /*v[442:445]*/, v58 offset:16912
	;; [unrolled: 1-line block ×4, first 2 shown]
	s_wait_dscnt 0x3
	s_set_vgpr_msb 1                        ;  msbs: dst=0 src0=1 src1=0 src2=0
	v_bfe_i32 v58, v182 /*v438*/, 0, 8
	v_bfe_i32 v60, v182 /*v438*/, 8, 8
	;; [unrolled: 1-line block ×3, first 2 shown]
	s_set_vgpr_msb 4                        ;  msbs: dst=0 src0=0 src1=1 src2=0
	v_dual_ashrrev_i32 v62, 24, v182 /*v438*/ :: v_dual_ashrrev_i32 v68, 24, v183 /*v439*/
	s_set_vgpr_msb 64                       ;  msbs: dst=1 src0=0 src1=0 src2=0
	v_mul_i32_i24_e32 v182 /*v438*/, v58, v121
	s_set_vgpr_msb 1                        ;  msbs: dst=0 src0=1 src1=0 src2=0
	v_bfe_i32 v64, v183 /*v439*/, 0, 8
	v_bfe_i32 v65, v183 /*v439*/, 8, 8
	;; [unrolled: 1-line block ×6, first 2 shown]
	s_set_vgpr_msb 4                        ;  msbs: dst=0 src0=0 src1=1 src2=0
	v_dual_ashrrev_i32 v91, 24, v184 /*v440*/ :: v_dual_ashrrev_i32 v150, 24, v185 /*v441*/
	s_set_vgpr_msb 0x44                     ;  msbs: dst=1 src0=0 src1=1 src2=0
	v_mul_i32_i24_e32 v183 /*v439*/, v61, v108 /*v364*/
	v_mul_i32_i24_e32 v184 /*v440*/, v62, v109 /*v365*/
	s_set_vgpr_msb 0x50                     ;  msbs: dst=1 src0=0 src1=0 src2=1
	v_mad_i32_i24 v182 /*v438*/, v60, v120, v182 /*v438*/
	s_set_vgpr_msb 1                        ;  msbs: dst=0 src0=1 src1=0 src2=0
	v_bfe_i32 v93, v185 /*v441*/, 0, 8
	v_bfe_i32 v148, v185 /*v441*/, 8, 8
	v_bfe_i32 v149, v185 /*v441*/, 16, 8
	s_wait_dscnt 0x2
	v_bfe_i32 v151, v186 /*v442*/, 0, 8
	s_set_vgpr_msb 0x55                     ;  msbs: dst=1 src0=1 src1=1 src2=1
	v_add3_u32 v182 /*v438*/, v182 /*v438*/, v183 /*v439*/, v184 /*v440*/
	s_set_vgpr_msb 0x44                     ;  msbs: dst=1 src0=0 src1=1 src2=0
	v_mul_i32_i24_e32 v183 /*v439*/, v64, v110 /*v366*/
	v_mul_i32_i24_e32 v184 /*v440*/, v65, v111 /*v367*/
	s_set_vgpr_msb 1                        ;  msbs: dst=0 src0=1 src1=0 src2=0
	v_bfe_i32 v152, v186 /*v442*/, 8, 8
	v_bfe_i32 v153, v186 /*v442*/, 16, 8
	s_set_vgpr_msb 4                        ;  msbs: dst=0 src0=0 src1=1 src2=0
	v_dual_ashrrev_i32 v154, 24, v186 /*v442*/ :: v_dual_ashrrev_i32 v158, 24, v187 /*v443*/
	s_set_vgpr_msb 0x44                     ;  msbs: dst=1 src0=0 src1=1 src2=0
	v_mul_i32_i24_e32 v185 /*v441*/, v66, v112 /*v368*/
	v_mul_i32_i24_e32 v186 /*v442*/, v68, v113 /*v369*/
	s_set_vgpr_msb 0x55                     ;  msbs: dst=1 src0=1 src1=1 src2=1
	v_add3_u32 v182 /*v438*/, v182 /*v438*/, v183 /*v439*/, v184 /*v440*/
	s_set_vgpr_msb 1                        ;  msbs: dst=0 src0=1 src1=0 src2=0
	v_bfe_i32 v155, v187 /*v443*/, 0, 8
	v_bfe_i32 v156, v187 /*v443*/, 8, 8
	;; [unrolled: 1-line block ×6, first 2 shown]
	s_set_vgpr_msb 4                        ;  msbs: dst=0 src0=0 src1=1 src2=0
	v_ashrrev_i32_e32 v162, 24, v188 /*v444*/
	s_set_vgpr_msb 0x44                     ;  msbs: dst=1 src0=0 src1=1 src2=0
	v_mul_i32_i24_e32 v187 /*v443*/, v69, v114 /*v370*/
	v_mul_i32_i24_e32 v188 /*v444*/, v70, v115 /*v371*/
	s_set_vgpr_msb 0x55                     ;  msbs: dst=1 src0=1 src1=1 src2=1
	v_add3_u32 v182 /*v438*/, v182 /*v438*/, v185 /*v441*/, v186 /*v442*/
	s_set_vgpr_msb 1                        ;  msbs: dst=0 src0=1 src1=0 src2=0
	v_bfe_i32 v163, v189 /*v445*/, 0, 8
	s_set_vgpr_msb 0x41                     ;  msbs: dst=1 src0=1 src1=0 src2=0
	v_bfe_i32 v198 /*v454*/, v189 /*v445*/, 8, 8
	v_bfe_i32 v199 /*v455*/, v189 /*v445*/, 16, 8
	s_wait_dscnt 0x1
	s_set_vgpr_msb 0x44                     ;  msbs: dst=1 src0=0 src1=1 src2=0
	v_dual_ashrrev_i32 v200 /*v456*/, 24, v189 /*v445*/ :: v_dual_ashrrev_i32 v204 /*v460*/, 24, v190 /*v446*/
	s_set_vgpr_msb 0x41                     ;  msbs: dst=1 src0=1 src1=0 src2=0
	v_bfe_i32 v201 /*v457*/, v190 /*v446*/, 0, 8
	v_bfe_i32 v202 /*v458*/, v190 /*v446*/, 8, 8
	;; [unrolled: 1-line block ×3, first 2 shown]
	s_set_vgpr_msb 0x44                     ;  msbs: dst=1 src0=0 src1=1 src2=0
	v_mul_i32_i24_e32 v189 /*v445*/, v72, v116 /*v372*/
	v_mul_i32_i24_e32 v190 /*v446*/, v91, v117 /*v373*/
	s_set_vgpr_msb 0x55                     ;  msbs: dst=1 src0=1 src1=1 src2=1
	v_add3_u32 v182 /*v438*/, v182 /*v438*/, v187 /*v443*/, v188 /*v444*/
	v_bfe_i32 v205 /*v461*/, v191 /*v447*/, 0, 8
	v_bfe_i32 v206 /*v462*/, v191 /*v447*/, 8, 8
	;; [unrolled: 1-line block ×3, first 2 shown]
	v_ashrrev_i32_e32 v208 /*v464*/, 24, v191 /*v447*/
	s_set_vgpr_msb 0x44                     ;  msbs: dst=1 src0=0 src1=1 src2=0
	v_mul_i32_i24_e32 v191 /*v447*/, v93, v118 /*v374*/
	v_mul_i32_i24_e32 v227 /*v483*/, v148, v119 /*v375*/
	s_set_vgpr_msb 0x55                     ;  msbs: dst=1 src0=1 src1=1 src2=1
	v_add3_u32 v182 /*v438*/, v182 /*v438*/, v189 /*v445*/, v190 /*v446*/
	s_set_vgpr_msb 0x44                     ;  msbs: dst=1 src0=0 src1=1 src2=0
	v_mul_i32_i24_e32 v228 /*v484*/, v149, v120 /*v376*/
	v_mul_i32_i24_e32 v229 /*v485*/, v150, v121 /*v377*/
	;; [unrolled: 1-line block ×4, first 2 shown]
	s_set_vgpr_msb 0x55                     ;  msbs: dst=1 src0=1 src1=1 src2=1
	v_add3_u32 v182 /*v438*/, v182 /*v438*/, v191 /*v447*/, v227 /*v483*/
	s_set_vgpr_msb 0x44                     ;  msbs: dst=1 src0=0 src1=1 src2=0
	v_mul_i32_i24_e32 v232 /*v488*/, v153, v124 /*v380*/
	v_mul_i32_i24_e32 v233 /*v489*/, v154, v125 /*v381*/
	s_set_vgpr_msb 0x41                     ;  msbs: dst=1 src0=1 src1=0 src2=0
	v_mul_i32_i24_e32 v234 /*v490*/, v127 /*v383*/, v155
	v_mul_i32_i24_e32 v235 /*v491*/, v126 /*v382*/, v156
	s_set_vgpr_msb 0x55                     ;  msbs: dst=1 src0=1 src1=1 src2=1
	v_add3_u32 v182 /*v438*/, v182 /*v438*/, v228 /*v484*/, v229 /*v485*/
	s_set_vgpr_msb 0x41                     ;  msbs: dst=1 src0=1 src1=0 src2=0
	v_mul_i32_i24_e32 v236 /*v492*/, v129 /*v385*/, v157
	v_mul_i32_i24_e32 v237 /*v493*/, v128 /*v384*/, v158
	;; [unrolled: 1-line block ×4, first 2 shown]
	s_set_vgpr_msb 0x55                     ;  msbs: dst=1 src0=1 src1=1 src2=1
	v_add3_u32 v182 /*v438*/, v182 /*v438*/, v230 /*v486*/, v231 /*v487*/
	s_set_vgpr_msb 0x41                     ;  msbs: dst=1 src0=1 src1=0 src2=0
	v_mul_i32_i24_e32 v240 /*v496*/, v141 /*v397*/, v161
	v_mul_i32_i24_e32 v241 /*v497*/, v138 /*v394*/, v162
	s_set_vgpr_msb 0x44                     ;  msbs: dst=1 src0=0 src1=1 src2=0
	v_mul_i32_i24_e32 v242 /*v498*/, v163, v144 /*v400*/
	s_set_vgpr_msb 0x55                     ;  msbs: dst=1 src0=1 src1=1 src2=1
	v_mul_i32_i24_e32 v243 /*v499*/, v198 /*v454*/, v145 /*v401*/
	v_add3_u32 v182 /*v438*/, v182 /*v438*/, v232 /*v488*/, v233 /*v489*/
	v_mul_i32_i24_e32 v183 /*v439*/, v148 /*v404*/, v203 /*v459*/
	v_mul_i32_i24_e32 v184 /*v440*/, v139 /*v395*/, v204 /*v460*/
	v_bfe_i32 v209 /*v465*/, v192 /*v448*/, 0, 8
	v_bfe_i32 v210 /*v466*/, v192 /*v448*/, 8, 8
	v_add3_u32 v182 /*v438*/, v182 /*v438*/, v234 /*v490*/, v235 /*v491*/
	v_bfe_i32 v211 /*v467*/, v192 /*v448*/, 16, 8
	v_ashrrev_i32_e32 v192 /*v448*/, 24, v192 /*v448*/
	v_mul_i32_i24_e32 v185 /*v441*/, v149 /*v405*/, v207 /*v463*/
	v_mul_i32_i24_e32 v186 /*v442*/, v131 /*v387*/, v208 /*v464*/
	v_add3_u32 v182 /*v438*/, v182 /*v438*/, v236 /*v492*/, v237 /*v493*/
	s_set_vgpr_msb 0x44                     ;  msbs: dst=1 src0=0 src1=1 src2=0
	v_mul_i32_i24_e32 v187 /*v443*/, v116, v209 /*v465*/
	s_set_vgpr_msb 0x55                     ;  msbs: dst=1 src0=1 src1=1 src2=1
	v_mul_i32_i24_e32 v188 /*v444*/, v152 /*v408*/, v210 /*v466*/
	v_bfe_i32 v212 /*v468*/, v193 /*v449*/, 0, 8
	v_bfe_i32 v213 /*v469*/, v193 /*v449*/, 8, 8
	v_add3_u32 v182 /*v438*/, v182 /*v438*/, v238 /*v494*/, v239 /*v495*/
	v_mul_i32_i24_e32 v189 /*v445*/, v151 /*v407*/, v211 /*v467*/
	v_mul_i32_i24_e32 v190 /*v446*/, v132 /*v388*/, v192 /*v448*/
	v_bfe_i32 v214 /*v470*/, v193 /*v449*/, 16, 8
	v_ashrrev_i32_e32 v193 /*v449*/, 24, v193 /*v449*/
	v_add3_u32 v182 /*v438*/, v182 /*v438*/, v240 /*v496*/, v241 /*v497*/
	s_set_vgpr_msb 0x44                     ;  msbs: dst=1 src0=0 src1=1 src2=0
	v_mul_i32_i24_e32 v191 /*v447*/, v117, v212 /*v468*/
	s_set_vgpr_msb 0x55                     ;  msbs: dst=1 src0=1 src1=1 src2=1
	v_mul_i32_i24_e32 v228 /*v484*/, v154 /*v410*/, v213 /*v469*/
	s_wait_dscnt 0x0
	v_bfe_i32 v215 /*v471*/, v194 /*v450*/, 0, 8
	v_bfe_i32 v216 /*v472*/, v194 /*v450*/, 8, 8
	v_add3_u32 v227 /*v483*/, v182 /*v438*/, v242 /*v498*/, v243 /*v499*/
	s_set_vgpr_msb 0x44                     ;  msbs: dst=1 src0=0 src1=1 src2=0
	v_mul_i32_i24_e32 v182 /*v438*/, v118, v201 /*v457*/
	s_set_vgpr_msb 0x41                     ;  msbs: dst=1 src0=1 src1=0 src2=0
	v_bfe_i32 v217 /*v473*/, v194 /*v450*/, 16, 8
	s_set_vgpr_msb 0x45                     ;  msbs: dst=1 src0=1 src1=1 src2=0
	v_ashrrev_i32_e32 v194 /*v450*/, 24, v194 /*v450*/
	v_mul_i32_i24_e32 v229 /*v485*/, v153 /*v409*/, v214 /*v470*/
	v_mul_i32_i24_e32 v230 /*v486*/, v133 /*v389*/, v193 /*v449*/
	s_set_vgpr_msb 0x54                     ;  msbs: dst=1 src0=0 src1=1 src2=1
	v_mad_i32_i24 v182 /*v438*/, v115, v202 /*v458*/, v182 /*v438*/
	v_mul_i32_i24_e32 v231 /*v487*/, v112, v215 /*v471*/
	s_set_vgpr_msb 0x55                     ;  msbs: dst=1 src0=1 src1=1 src2=1
	v_mul_i32_i24_e32 v232 /*v488*/, v156 /*v412*/, v216 /*v472*/
	v_bfe_i32 v218 /*v474*/, v195 /*v451*/, 0, 8
	v_bfe_i32 v219 /*v475*/, v195 /*v451*/, 8, 8
	v_add3_u32 v182 /*v438*/, v182 /*v438*/, v183 /*v439*/, v184 /*v440*/
	s_set_vgpr_msb 0x44                     ;  msbs: dst=1 src0=0 src1=1 src2=0
	v_mul_i32_i24_e32 v183 /*v439*/, v119, v205 /*v461*/
	s_set_vgpr_msb 0x55                     ;  msbs: dst=1 src0=1 src1=1 src2=1
	v_mul_i32_i24_e32 v184 /*v440*/, v150 /*v406*/, v206 /*v462*/
	v_mul_i32_i24_e32 v233 /*v489*/, v155 /*v411*/, v217 /*v473*/
	;; [unrolled: 1-line block ×3, first 2 shown]
	v_bfe_i32 v220 /*v476*/, v195 /*v451*/, 16, 8
	v_ashrrev_i32_e32 v195 /*v451*/, 24, v195 /*v451*/
	v_add3_u32 v182 /*v438*/, v182 /*v438*/, v183 /*v439*/, v184 /*v440*/
	s_set_vgpr_msb 0x44                     ;  msbs: dst=1 src0=0 src1=1 src2=0
	v_mul_i32_i24_e32 v235 /*v491*/, v113, v218 /*v474*/
	s_set_vgpr_msb 0x55                     ;  msbs: dst=1 src0=1 src1=1 src2=1
	v_mul_i32_i24_e32 v236 /*v492*/, v158 /*v414*/, v219 /*v475*/
	v_bfe_i32 v221 /*v477*/, v196 /*v452*/, 0, 8
	v_bfe_i32 v222 /*v478*/, v196 /*v452*/, 8, 8
	v_add3_u32 v182 /*v438*/, v182 /*v438*/, v185 /*v441*/, v186 /*v442*/
	v_bfe_i32 v223 /*v479*/, v196 /*v452*/, 16, 8
	v_ashrrev_i32_e32 v196 /*v452*/, 24, v196 /*v452*/
	v_mul_i32_i24_e32 v237 /*v493*/, v157 /*v413*/, v220 /*v476*/
	v_mul_i32_i24_e32 v238 /*v494*/, v135 /*v391*/, v195 /*v451*/
	v_add3_u32 v182 /*v438*/, v182 /*v438*/, v187 /*v443*/, v188 /*v444*/
	s_set_vgpr_msb 0x44                     ;  msbs: dst=1 src0=0 src1=1 src2=0
	v_mul_i32_i24_e32 v239 /*v495*/, v114, v221 /*v477*/
	s_set_vgpr_msb 0x55                     ;  msbs: dst=1 src0=1 src1=1 src2=1
	v_mul_i32_i24_e32 v240 /*v496*/, v160 /*v416*/, v222 /*v478*/
	v_bfe_i32 v224 /*v480*/, v197 /*v453*/, 0, 8
	v_bfe_i32 v225 /*v481*/, v197 /*v453*/, 8, 8
	v_add3_u32 v182 /*v438*/, v182 /*v438*/, v189 /*v445*/, v190 /*v446*/
	v_mul_i32_i24_e32 v241 /*v497*/, v159 /*v415*/, v223 /*v479*/
	v_mul_i32_i24_e32 v242 /*v498*/, v136 /*v392*/, v196 /*v452*/
	;; [unrolled: 1-line block ×4, first 2 shown]
	v_add3_u32 v182 /*v438*/, v182 /*v438*/, v191 /*v447*/, v228 /*v484*/
	s_set_vgpr_msb 64                       ;  msbs: dst=1 src0=0 src1=0 src2=0
	ds_load_b64 v[184:185] /*v[440:441]*/, v41 offset:27200
	s_set_vgpr_msb 0x55                     ;  msbs: dst=1 src0=1 src1=1 src2=1
	v_bfe_i32 v226 /*v482*/, v197 /*v453*/, 16, 8
	v_mul_i32_i24_e32 v244 /*v500*/, v199 /*v455*/, v146 /*v402*/
	v_mul_i32_i24_e32 v245 /*v501*/, v200 /*v456*/, v147 /*v403*/
	v_add3_u32 v182 /*v438*/, v182 /*v438*/, v229 /*v485*/, v230 /*v486*/
	s_set_vgpr_msb 64                       ;  msbs: dst=1 src0=0 src1=0 src2=0
	v_mul_i32_i24_e32 v229 /*v485*/, v149, v185
	s_set_vgpr_msb 0x45                     ;  msbs: dst=1 src0=1 src1=1 src2=0
	v_mul_i32_i24_e32 v247 /*v503*/, v226 /*v482*/, v143 /*v399*/
	s_set_vgpr_msb 64                       ;  msbs: dst=1 src0=0 src1=0 src2=0
	v_mul_i32_i24_e32 v230 /*v486*/, v150, v186
	s_set_vgpr_msb 0x41                     ;  msbs: dst=1 src0=1 src1=0 src2=0
	v_mul_i32_i24_e32 v248 /*v504*/, v226 /*v482*/, v246
	s_set_vgpr_msb 0x55                     ;  msbs: dst=1 src0=1 src1=1 src2=1
	v_add3_u32 v182 /*v438*/, v182 /*v438*/, v231 /*v487*/, v232 /*v488*/
	s_set_vgpr_msb 64                       ;  msbs: dst=1 src0=0 src1=0 src2=0
	v_mul_i32_i24_e32 v231 /*v487*/, v151, v187
	v_mul_i32_i24_e32 v232 /*v488*/, v152, v188
	;; [unrolled: 1-line block ×4, first 2 shown]
	s_set_vgpr_msb 0x55                     ;  msbs: dst=1 src0=1 src1=1 src2=1
	v_add3_u32 v182 /*v438*/, v182 /*v438*/, v233 /*v489*/, v234 /*v490*/
	s_set_vgpr_msb 64                       ;  msbs: dst=1 src0=0 src1=0 src2=0
	v_mul_i32_i24_e32 v233 /*v489*/, v153, v189
	v_mul_i32_i24_e32 v234 /*v490*/, v154, v190
	s_set_vgpr_msb 0x55                     ;  msbs: dst=1 src0=1 src1=1 src2=1
	v_add3_u32 v182 /*v438*/, v182 /*v438*/, v235 /*v491*/, v236 /*v492*/
	s_wait_dscnt 0x0
	s_set_vgpr_msb 4                        ;  msbs: dst=0 src0=0 src1=1 src2=0
	v_lshrrev_b32_e32 v41, 16, v184 /*v440*/
	s_set_vgpr_msb 0x41                     ;  msbs: dst=1 src0=1 src1=0 src2=0
	v_cvt_f32_f16_e64 v187 /*v443*/, v184 /*v440*/
	v_cvt_f32_f16_e64 v191 /*v447*/, v185 /*v441*/
	s_set_vgpr_msb 64                       ;  msbs: dst=1 src0=0 src1=0 src2=0
	v_mul_i32_i24_e32 v235 /*v491*/, v192, v155
	s_set_vgpr_msb 0x55                     ;  msbs: dst=1 src0=1 src1=1 src2=1
	v_add3_u32 v182 /*v438*/, v182 /*v438*/, v237 /*v493*/, v238 /*v494*/
	s_set_vgpr_msb 64                       ;  msbs: dst=1 src0=0 src1=0 src2=0
	v_cvt_f32_f16_e64 v189 /*v445*/, v41
	v_mul_i32_i24_e32 v236 /*v492*/, v191, v156
	v_mul_i32_i24_e32 v237 /*v493*/, v194, v157
	;; [unrolled: 1-line block ×3, first 2 shown]
	s_set_vgpr_msb 0x55                     ;  msbs: dst=1 src0=1 src1=1 src2=1
	v_add3_u32 v182 /*v438*/, v182 /*v438*/, v239 /*v495*/, v240 /*v496*/
	s_set_vgpr_msb 64                       ;  msbs: dst=1 src0=0 src1=0 src2=0
	v_mul_i32_i24_e32 v239 /*v495*/, v196, v159
	v_mul_i32_i24_e32 v240 /*v496*/, v195, v160
	s_set_vgpr_msb 0x55                     ;  msbs: dst=1 src0=1 src1=1 src2=1
	v_add3_u32 v182 /*v438*/, v182 /*v438*/, v241 /*v497*/, v242 /*v498*/
	s_set_vgpr_msb 64                       ;  msbs: dst=1 src0=0 src1=0 src2=0
	v_mul_i32_i24_e32 v241 /*v497*/, v199, v161
	s_set_vgpr_msb 0x55                     ;  msbs: dst=1 src0=1 src1=1 src2=1
	s_delay_alu instid0(VALU_DEP_2)
	v_add3_u32 v228 /*v484*/, v182 /*v438*/, v243 /*v499*/, v246 /*v502*/
	ds_load_b64 v[182:183] /*v[438:439]*/, v161 /*v417*/ offset:27200
	v_ashrrev_i32_e32 v197 /*v453*/, 24, v197 /*v453*/
	s_set_vgpr_msb 64                       ;  msbs: dst=1 src0=0 src1=0 src2=0
	v_mul_i32_i24_e32 v243 /*v499*/, v163, v203
	s_set_vgpr_msb 0x41                     ;  msbs: dst=1 src0=1 src1=0 src2=0
	v_mul_i32_i24_e32 v246 /*v502*/, v200 /*v456*/, v209
	s_wait_dscnt 0x0
	s_set_vgpr_msb 0x44                     ;  msbs: dst=1 src0=0 src1=1 src2=0
	v_lshrrev_b32_e32 v161 /*v417*/, 16, v182 /*v438*/
	s_set_vgpr_msb 4                        ;  msbs: dst=0 src0=0 src1=1 src2=0
	v_lshrrev_b32_e32 v41, 16, v183 /*v439*/
	s_set_vgpr_msb 0x41                     ;  msbs: dst=1 src0=1 src1=0 src2=0
	v_cvt_f32_f16_e64 v186 /*v442*/, v182 /*v438*/
	v_cvt_f32_f16_e64 v190 /*v446*/, v183 /*v439*/
	s_set_vgpr_msb 64                       ;  msbs: dst=1 src0=0 src1=0 src2=0
	v_mul_i32_i24_e32 v242 /*v498*/, v197, v162
	s_set_vgpr_msb 0x41                     ;  msbs: dst=1 src0=1 src1=0 src2=0
	v_cvt_f32_f16_e64 v188 /*v444*/, v161 /*v417*/
	s_set_vgpr_msb 0x44                     ;  msbs: dst=1 src0=0 src1=1 src2=0
	v_lshrrev_b32_e32 v161 /*v417*/, 16, v185 /*v441*/
	v_cvt_f32_f16_e64 v182 /*v438*/, v41
	s_set_vgpr_msb 21                       ;  msbs: dst=0 src0=1 src1=1 src2=1
	v_add3_u32 v41, v227 /*v483*/, v244 /*v500*/, v245 /*v501*/
	s_set_vgpr_msb 64                       ;  msbs: dst=1 src0=0 src1=0 src2=0
	v_mul_i32_i24_e32 v227 /*v483*/, v93, v183
	s_set_vgpr_msb 0x44                     ;  msbs: dst=1 src0=0 src1=1 src2=0
	v_pk_fma_f32 v[184:185] /*v[440:441]*/, v[96:97], v[188:189] /*v[444:445]*/, 0 op_sel_hi:[0,1,0]
	s_set_vgpr_msb 0x55                     ;  msbs: dst=1 src0=1 src1=1 src2=1
	v_cvt_f32_f16_e64 v183 /*v439*/, v161 /*v417*/
	v_add3_u32 v161 /*v417*/, v177 /*v433*/, v174 /*v430*/, v175 /*v431*/
	s_set_vgpr_msb 0                        ;  msbs: dst=0 src0=0 src1=0 src2=0
	v_mul_lo_u32 v41, v41, v103
	s_set_vgpr_msb 64                       ;  msbs: dst=1 src0=0 src1=0 src2=0
	v_mul_i32_i24_e32 v177 /*v433*/, v68, v178
	s_set_vgpr_msb 0x41                     ;  msbs: dst=1 src0=1 src1=0 src2=0
	v_mul_i32_i24_e32 v244 /*v500*/, v198 /*v454*/, v206
	v_mul_i32_i24_e32 v245 /*v501*/, v199 /*v455*/, v207
	v_mul_lo_u32 v161 /*v417*/, v161 /*v417*/, v103
	v_mul_i32_i24_e32 v165 /*v421*/, v197 /*v453*/, v109
	s_set_vgpr_msb 64                       ;  msbs: dst=1 src0=0 src1=0 src2=0
	v_cvt_f32_i32_e32 v175 /*v431*/, v41
	s_set_vgpr_msb 0                        ;  msbs: dst=0 src0=0 src1=0 src2=0
	v_mul_i32_i24_e32 v41, v59, v101
	s_set_vgpr_msb 0x41                     ;  msbs: dst=1 src0=1 src1=0 src2=0
	s_delay_alu instid0(VALU_DEP_4)
	v_cvt_f32_i32_e32 v174 /*v430*/, v161 /*v417*/
	v_mul_i32_i24_e32 v161 /*v417*/, v197 /*v453*/, v101
	s_set_vgpr_msb 5                        ;  msbs: dst=0 src0=1 src1=1 src2=0
	v_add3_u32 v41, v181 /*v437*/, v180 /*v436*/, v41
	s_set_vgpr_msb 0x55                     ;  msbs: dst=1 src0=1 src1=1 src2=1
	v_pk_fma_f32 v[174:175] /*v[430:431]*/, v[186:187] /*v[442:443]*/, v[174:175] /*v[430:431]*/, 0 op_sel_hi:[1,1,0]
	v_add3_u32 v161 /*v417*/, v228 /*v484*/, v247 /*v503*/, v161 /*v417*/
	s_set_vgpr_msb 0                        ;  msbs: dst=0 src0=0 src1=0 src2=0
	v_mul_lo_u32 v41, v41, v99
	s_set_vgpr_msb 64                       ;  msbs: dst=1 src0=0 src1=0 src2=0
	v_mul_i32_i24_e32 v228 /*v484*/, v148, v184
	s_set_vgpr_msb 0x41                     ;  msbs: dst=1 src0=1 src1=0 src2=0
	v_mul_i32_i24_e32 v247 /*v503*/, v225 /*v481*/, v245
	v_mul_lo_u32 v161 /*v417*/, v161 /*v417*/, v99
	s_set_vgpr_msb 64                       ;  msbs: dst=1 src0=0 src1=0 src2=0
	s_delay_alu instid0(VALU_DEP_4) | instskip(SKIP_3) | instid1(VALU_DEP_3)
	v_cvt_f32_i32_e32 v180 /*v436*/, v41
	s_set_vgpr_msb 0                        ;  msbs: dst=0 src0=0 src1=0 src2=0
	v_mul_i32_i24_e32 v41, v58, v126
	s_set_vgpr_msb 0x41                     ;  msbs: dst=1 src0=1 src1=0 src2=0
	v_cvt_f32_i32_e32 v181 /*v437*/, v161 /*v417*/
	s_set_vgpr_msb 64                       ;  msbs: dst=1 src0=0 src1=0 src2=0
	v_mul_i32_i24_e32 v161 /*v417*/, v61, v173
	s_set_vgpr_msb 0                        ;  msbs: dst=0 src0=0 src1=0 src2=0
	v_mad_i32_i24 v41, v60, v124, v41
	s_set_vgpr_msb 0x55                     ;  msbs: dst=1 src0=1 src1=1 src2=1
	v_pk_fma_f32 v[174:175] /*v[430:431]*/, v[190:191] /*v[446:447]*/, v[180:181] /*v[436:437]*/, v[174:175] /*v[430:431]*/
	s_set_vgpr_msb 0x54                     ;  msbs: dst=1 src0=0 src1=1 src2=1
	v_pk_fma_f32 v[180:181] /*v[436:437]*/, v[98:99], v[182:183] /*v[438:439]*/, v[184:185] /*v[440:441]*/ op_sel_hi:[0,1,1]
	s_set_vgpr_msb 64                       ;  msbs: dst=1 src0=0 src1=0 src2=0
	v_mul_i32_i24_e32 v184 /*v440*/, v72, v181
	v_mul_i32_i24_e32 v185 /*v441*/, v91, v182
	s_set_vgpr_msb 0x51                     ;  msbs: dst=1 src0=1 src1=0 src2=1
	v_pk_mul_f32 v[180:181] /*v[436:437]*/, v[180:181] /*v[436:437]*/, v[8:9]
	s_delay_alu instid0(VALU_DEP_1)
	v_pk_fma_f32 v[174:175] /*v[430:431]*/, v[174:175] /*v[430:431]*/, v[0:1], v[180:181] /*v[436:437]*/ neg_lo:[0,0,1] neg_hi:[0,0,1]
	s_set_vgpr_msb 64                       ;  msbs: dst=1 src0=0 src1=0 src2=0
	v_mul_i32_i24_e32 v180 /*v436*/, v69, v179
	v_mul_i32_i24_e32 v181 /*v437*/, v70, v180
	s_set_vgpr_msb 4                        ;  msbs: dst=0 src0=0 src1=1 src2=0
	v_pk_add_f32 v[38:39], v[38:39], v[174:175] /*v[430:431]*/
	s_set_vgpr_msb 64                       ;  msbs: dst=1 src0=0 src1=0 src2=0
	v_mul_i32_i24_e32 v174 /*v430*/, v62, v174
	v_mul_i32_i24_e32 v175 /*v431*/, v66, v177
	s_set_vgpr_msb 20                       ;  msbs: dst=0 src0=0 src1=1 src2=1
	s_delay_alu instid0(VALU_DEP_2) | instskip(SKIP_4) | instid1(VALU_DEP_1)
	v_add3_u32 v41, v41, v161 /*v417*/, v174 /*v430*/
	s_set_vgpr_msb 64                       ;  msbs: dst=1 src0=0 src1=0 src2=0
	v_mul_i32_i24_e32 v161 /*v417*/, v64, v175
	v_mul_i32_i24_e32 v174 /*v430*/, v65, v176
	s_set_vgpr_msb 20                       ;  msbs: dst=0 src0=0 src1=1 src2=1
	v_add3_u32 v41, v41, v161 /*v417*/, v174 /*v430*/
	s_set_vgpr_msb 0x41                     ;  msbs: dst=1 src0=1 src1=0 src2=0
	v_mul_i32_i24_e32 v161 /*v417*/, v201 /*v457*/, v201
	v_mul_i32_i24_e32 v174 /*v430*/, v203 /*v459*/, v198
	s_set_vgpr_msb 20                       ;  msbs: dst=0 src0=0 src1=1 src2=1
	v_add3_u32 v41, v41, v175 /*v431*/, v177 /*v433*/
	s_set_vgpr_msb 0x51                     ;  msbs: dst=1 src0=1 src1=0 src2=1
	v_mul_i32_i24_e32 v175 /*v431*/, v204 /*v460*/, v204
	v_mad_i32_i24 v161 /*v417*/, v202 /*v458*/, v200, v161 /*v417*/
	v_mul_i32_i24_e32 v177 /*v433*/, v207 /*v463*/, v202
	s_set_vgpr_msb 20                       ;  msbs: dst=0 src0=0 src1=1 src2=1
	v_add3_u32 v41, v41, v180 /*v436*/, v181 /*v437*/
	s_set_vgpr_msb 0x41                     ;  msbs: dst=1 src0=1 src1=0 src2=0
	v_mul_i32_i24_e32 v180 /*v436*/, v208 /*v464*/, v212
	s_set_vgpr_msb 0x55                     ;  msbs: dst=1 src0=1 src1=1 src2=1
	v_add3_u32 v161 /*v417*/, v161 /*v417*/, v174 /*v430*/, v175 /*v431*/
	s_set_vgpr_msb 0x41                     ;  msbs: dst=1 src0=1 src1=0 src2=0
	v_mul_i32_i24_e32 v174 /*v430*/, v205 /*v461*/, v208
	v_mul_i32_i24_e32 v175 /*v431*/, v206 /*v462*/, v210
	s_set_vgpr_msb 20                       ;  msbs: dst=0 src0=0 src1=1 src2=1
	v_add3_u32 v41, v41, v184 /*v440*/, v185 /*v441*/
	s_set_vgpr_msb 0x41                     ;  msbs: dst=1 src0=1 src1=0 src2=0
	v_mul_i32_i24_e32 v181 /*v437*/, v209 /*v465*/, v213
	v_mul_i32_i24_e32 v184 /*v440*/, v210 /*v466*/, v214
	;; [unrolled: 1-line block ×3, first 2 shown]
	s_set_vgpr_msb 0x55                     ;  msbs: dst=1 src0=1 src1=1 src2=1
	v_add3_u32 v161 /*v417*/, v161 /*v417*/, v174 /*v430*/, v175 /*v431*/
	s_set_vgpr_msb 20                       ;  msbs: dst=0 src0=0 src1=1 src2=1
	v_add3_u32 v41, v41, v227 /*v483*/, v228 /*v484*/
	s_set_vgpr_msb 0x41                     ;  msbs: dst=1 src0=1 src1=0 src2=0
	v_mul_i32_i24_e32 v227 /*v483*/, v192 /*v448*/, v216
	v_mul_i32_i24_e32 v228 /*v484*/, v212 /*v468*/, v218
	v_cvt_f32_i32_e32 v174 /*v430*/, v169 /*v425*/
	s_set_vgpr_msb 0x55                     ;  msbs: dst=1 src0=1 src1=1 src2=1
	v_add3_u32 v161 /*v417*/, v161 /*v417*/, v177 /*v433*/, v180 /*v436*/
	s_set_vgpr_msb 20                       ;  msbs: dst=0 src0=0 src1=1 src2=1
	v_add3_u32 v41, v41, v229 /*v485*/, v230 /*v486*/
	s_set_vgpr_msb 0x41                     ;  msbs: dst=1 src0=1 src1=0 src2=0
	v_mul_i32_i24_e32 v229 /*v485*/, v213 /*v469*/, v220
	v_mul_i32_i24_e32 v230 /*v486*/, v214 /*v470*/, v215
	;; [unrolled: 1-line block ×3, first 2 shown]
	s_set_vgpr_msb 0x55                     ;  msbs: dst=1 src0=1 src1=1 src2=1
	v_add3_u32 v161 /*v417*/, v161 /*v417*/, v181 /*v437*/, v184 /*v440*/
	s_set_vgpr_msb 20                       ;  msbs: dst=0 src0=0 src1=1 src2=1
	v_add3_u32 v41, v41, v231 /*v487*/, v232 /*v488*/
	s_set_vgpr_msb 0x41                     ;  msbs: dst=1 src0=1 src1=0 src2=0
	v_mul_i32_i24_e32 v231 /*v487*/, v193 /*v449*/, v221
	v_mul_i32_i24_e32 v232 /*v488*/, v215 /*v471*/, v223
	s_set_vgpr_msb 0x44                     ;  msbs: dst=1 src0=0 src1=1 src2=0
	v_pk_fma_f32 v[180:181] /*v[436:437]*/, v[100:101], v[188:189] /*v[444:445]*/, 0 op_sel_hi:[0,1,0]
	s_set_vgpr_msb 0x55                     ;  msbs: dst=1 src0=1 src1=1 src2=1
	v_add3_u32 v161 /*v417*/, v161 /*v417*/, v185 /*v441*/, v227 /*v483*/
	s_set_vgpr_msb 20                       ;  msbs: dst=0 src0=0 src1=1 src2=1
	v_add3_u32 v41, v41, v233 /*v489*/, v234 /*v490*/
	s_set_vgpr_msb 0x41                     ;  msbs: dst=1 src0=1 src1=0 src2=0
	v_mul_i32_i24_e32 v233 /*v489*/, v216 /*v472*/, v225
	s_set_vgpr_msb 0x44                     ;  msbs: dst=1 src0=0 src1=1 src2=0
	v_mul_i32_i24_e32 v234 /*v490*/, v229, v217 /*v473*/
	s_set_vgpr_msb 64                       ;  msbs: dst=1 src0=0 src1=0 src2=0
	v_mul_i32_i24_e32 v177 /*v433*/, v72, v241
	s_set_vgpr_msb 0x55                     ;  msbs: dst=1 src0=1 src1=1 src2=1
	v_add3_u32 v161 /*v417*/, v161 /*v417*/, v228 /*v484*/, v229 /*v485*/
	s_set_vgpr_msb 20                       ;  msbs: dst=0 src0=0 src1=1 src2=1
	v_add3_u32 v41, v41, v235 /*v491*/, v236 /*v492*/
	s_set_vgpr_msb 0x44                     ;  msbs: dst=1 src0=0 src1=1 src2=0
	v_mul_i32_i24_e32 v235 /*v491*/, v226, v194 /*v450*/
	v_mul_i32_i24_e32 v236 /*v492*/, v231, v218 /*v474*/
	s_set_vgpr_msb 64                       ;  msbs: dst=1 src0=0 src1=0 src2=0
	v_mul_i32_i24_e32 v184 /*v440*/, v150, v250
	s_set_vgpr_msb 0x55                     ;  msbs: dst=1 src0=1 src1=1 src2=1
	v_add3_u32 v161 /*v417*/, v161 /*v417*/, v230 /*v486*/, v231 /*v487*/
	s_set_vgpr_msb 20                       ;  msbs: dst=0 src0=0 src1=1 src2=1
	v_add3_u32 v41, v41, v237 /*v493*/, v238 /*v494*/
	s_set_vgpr_msb 0x44                     ;  msbs: dst=1 src0=0 src1=1 src2=0
	v_mul_i32_i24_e32 v237 /*v493*/, v232, v219 /*v475*/
	v_mul_i32_i24_e32 v238 /*v494*/, v235, v220 /*v476*/
	s_set_vgpr_msb 64                       ;  msbs: dst=1 src0=0 src1=0 src2=0
	v_mul_i32_i24_e32 v185 /*v441*/, v151, v251
	s_set_vgpr_msb 0x55                     ;  msbs: dst=1 src0=1 src1=1 src2=1
	v_add3_u32 v161 /*v417*/, v161 /*v417*/, v232 /*v488*/, v233 /*v489*/
	s_set_vgpr_msb 20                       ;  msbs: dst=0 src0=0 src1=1 src2=1
	v_add3_u32 v41, v41, v239 /*v495*/, v240 /*v496*/
	s_set_vgpr_msb 0x44                     ;  msbs: dst=1 src0=0 src1=1 src2=0
	v_mul_i32_i24_e32 v239 /*v495*/, v234, v195 /*v451*/
	v_mul_i32_i24_e32 v240 /*v496*/, v236, v221 /*v477*/
	s_set_vgpr_msb 64                       ;  msbs: dst=1 src0=0 src1=0 src2=0
	v_mul_i32_i24_e32 v227 /*v483*/, v152, v252
	s_set_vgpr_msb 0x55                     ;  msbs: dst=1 src0=1 src1=1 src2=1
	v_add3_u32 v161 /*v417*/, v161 /*v417*/, v234 /*v490*/, v235 /*v491*/
	s_set_vgpr_msb 20                       ;  msbs: dst=0 src0=0 src1=1 src2=1
	v_add3_u32 v41, v41, v241 /*v497*/, v242 /*v498*/
	s_set_vgpr_msb 0x44                     ;  msbs: dst=1 src0=0 src1=1 src2=0
	v_mul_i32_i24_e32 v241 /*v497*/, v237, v222 /*v478*/
	v_mul_i32_i24_e32 v242 /*v498*/, v242, v223 /*v479*/
	s_set_vgpr_msb 64                       ;  msbs: dst=1 src0=0 src1=0 src2=0
	v_mul_i32_i24_e32 v228 /*v484*/, v153, v253
	s_set_vgpr_msb 0x55                     ;  msbs: dst=1 src0=1 src1=1 src2=1
	v_add3_u32 v161 /*v417*/, v161 /*v417*/, v236 /*v492*/, v237 /*v493*/
	s_set_vgpr_msb 20                       ;  msbs: dst=0 src0=0 src1=1 src2=1
	v_add3_u32 v41, v41, v243 /*v499*/, v244 /*v500*/
	s_set_vgpr_msb 0x44                     ;  msbs: dst=1 src0=0 src1=1 src2=0
	v_mul_i32_i24_e32 v243 /*v499*/, v239, v196 /*v452*/
	s_set_vgpr_msb 0x41                     ;  msbs: dst=1 src0=1 src1=0 src2=0
	v_mul_i32_i24_e32 v244 /*v500*/, v224 /*v480*/, v244
	s_set_vgpr_msb 64                       ;  msbs: dst=1 src0=0 src1=0 src2=0
	v_mul_i32_i24_e32 v229 /*v485*/, v154, v254
	s_set_vgpr_msb 0x55                     ;  msbs: dst=1 src0=1 src1=1 src2=1
	v_add3_u32 v161 /*v417*/, v161 /*v417*/, v238 /*v494*/, v239 /*v495*/
	s_set_vgpr_msb 20                       ;  msbs: dst=0 src0=0 src1=1 src2=1
	v_add3_u32 v41, v41, v245 /*v501*/, v246 /*v502*/
	s_set_vgpr_msb 0x41                     ;  msbs: dst=1 src0=1 src1=0 src2=0
	v_mul_i32_i24_e32 v230 /*v486*/, v0 /*v256*/, v155
	s_set_vgpr_msb 64                       ;  msbs: dst=1 src0=0 src1=0 src2=0
	v_mul_i32_i24_e32 v231 /*v487*/, v255, v156
	s_set_vgpr_msb 0x41                     ;  msbs: dst=1 src0=1 src1=0 src2=0
	v_mul_i32_i24_e32 v232 /*v488*/, v2 /*v258*/, v157
	s_set_vgpr_msb 0x55                     ;  msbs: dst=1 src0=1 src1=1 src2=1
	v_add3_u32 v161 /*v417*/, v161 /*v417*/, v240 /*v496*/, v241 /*v497*/
	s_set_vgpr_msb 0                        ;  msbs: dst=0 src0=0 src1=0 src2=0
	v_mul_lo_u32 v41, v41, v122
	s_set_vgpr_msb 0x41                     ;  msbs: dst=1 src0=1 src1=0 src2=0
	v_mul_i32_i24_e32 v233 /*v489*/, v1 /*v257*/, v158
	v_mul_i32_i24_e32 v234 /*v490*/, v4 /*v260*/, v159
	;; [unrolled: 1-line block ×3, first 2 shown]
	s_set_vgpr_msb 0x55                     ;  msbs: dst=1 src0=1 src1=1 src2=1
	v_add3_u32 v161 /*v417*/, v161 /*v417*/, v242 /*v498*/, v243 /*v499*/
	s_set_vgpr_msb 0x41                     ;  msbs: dst=1 src0=1 src1=0 src2=0
	v_mul_i32_i24_e32 v236 /*v492*/, v7 /*v263*/, v161
	v_mul_i32_i24_e32 v237 /*v493*/, v5 /*v261*/, v162
	s_set_vgpr_msb 0x44                     ;  msbs: dst=1 src0=0 src1=1 src2=0
	v_mul_i32_i24_e32 v238 /*v494*/, v163, v11 /*v267*/
	s_set_vgpr_msb 0x55                     ;  msbs: dst=1 src0=1 src1=1 src2=1
	v_mul_i32_i24_e32 v239 /*v495*/, v198 /*v454*/, v13 /*v269*/
	v_add3_u32 v161 /*v417*/, v161 /*v417*/, v244 /*v500*/, v247 /*v503*/
	v_mul_i32_i24_e32 v240 /*v496*/, v199 /*v455*/, v14 /*v270*/
	s_set_vgpr_msb 64                       ;  msbs: dst=1 src0=0 src1=0 src2=0
	v_cvt_f32_i32_e32 v175 /*v431*/, v41
	s_set_vgpr_msb 0                        ;  msbs: dst=0 src0=0 src1=0 src2=0
	v_mul_i32_i24_e32 v41, v59, v105
	s_set_vgpr_msb 0x55                     ;  msbs: dst=1 src0=1 src1=1 src2=1
	v_mul_i32_i24_e32 v241 /*v497*/, v200 /*v456*/, v16 /*v272*/
	v_add3_u32 v161 /*v417*/, v161 /*v417*/, v248 /*v504*/, v169 /*v425*/
	s_set_vgpr_msb 64                       ;  msbs: dst=1 src0=0 src1=0 src2=0
	v_mul_i32_i24_e32 v169 /*v425*/, v62, v224
	s_set_vgpr_msb 0x45                     ;  msbs: dst=1 src0=1 src1=1 src2=0
	v_pk_fma_f32 v[174:175] /*v[430:431]*/, v[186:187] /*v[442:443]*/, v[174:175] /*v[430:431]*/, 0 op_sel_hi:[1,1,0]
	s_set_vgpr_msb 5                        ;  msbs: dst=0 src0=1 src1=1 src2=0
	v_add3_u32 v41, v179 /*v435*/, v178 /*v434*/, v41
	s_set_vgpr_msb 0x45                     ;  msbs: dst=1 src0=1 src1=1 src2=0
	v_mul_i32_i24_e32 v242 /*v498*/, v225 /*v481*/, v40 /*v296*/
	s_set_vgpr_msb 0x41                     ;  msbs: dst=1 src0=1 src1=0 src2=0
	v_mul_lo_u32 v161 /*v417*/, v161 /*v417*/, v107
	s_set_vgpr_msb 0x45                     ;  msbs: dst=1 src0=1 src1=1 src2=0
	v_mul_i32_i24_e32 v243 /*v499*/, v226 /*v482*/, v41 /*v297*/
	s_set_vgpr_msb 0                        ;  msbs: dst=0 src0=0 src1=0 src2=0
	v_mul_lo_u32 v41, v41, v107
	s_set_vgpr_msb 0x41                     ;  msbs: dst=1 src0=1 src1=0 src2=0
	s_delay_alu instid0(VALU_DEP_3) | instskip(SKIP_2) | instid1(VALU_DEP_3)
	v_cvt_f32_i32_e32 v179 /*v435*/, v161 /*v417*/
	s_set_vgpr_msb 64                       ;  msbs: dst=1 src0=0 src1=0 src2=0
	v_mul_i32_i24_e32 v161 /*v417*/, v61, v222
	v_cvt_f32_i32_e32 v178 /*v434*/, v41
	s_set_vgpr_msb 0                        ;  msbs: dst=0 src0=0 src1=0 src2=0
	v_mul_i32_i24_e32 v41, v58, v219
	s_set_vgpr_msb 0x55                     ;  msbs: dst=1 src0=1 src1=1 src2=1
	s_delay_alu instid0(VALU_DEP_2)
	v_pk_fma_f32 v[174:175] /*v[430:431]*/, v[190:191] /*v[446:447]*/, v[178:179] /*v[434:435]*/, v[174:175] /*v[430:431]*/
	s_set_vgpr_msb 0x54                     ;  msbs: dst=1 src0=0 src1=1 src2=1
	v_pk_fma_f32 v[178:179] /*v[434:435]*/, v[104:105], v[182:183] /*v[438:439]*/, v[180:181] /*v[436:437]*/ op_sel_hi:[0,1,1]
	s_set_vgpr_msb 0                        ;  msbs: dst=0 src0=0 src1=0 src2=0
	v_mad_i32_i24 v41, v60, v217, v41
	s_set_vgpr_msb 64                       ;  msbs: dst=1 src0=0 src1=0 src2=0
	v_mul_i32_i24_e32 v180 /*v436*/, v148, v248
	v_mul_i32_i24_e32 v181 /*v437*/, v149, v249
	s_set_vgpr_msb 0x41                     ;  msbs: dst=1 src0=1 src1=0 src2=0
	v_pk_mul_f32 v[178:179] /*v[434:435]*/, v[178:179] /*v[434:435]*/, v[10:11]
	s_set_vgpr_msb 20                       ;  msbs: dst=0 src0=0 src1=1 src2=1
	v_add3_u32 v41, v41, v161 /*v417*/, v169 /*v425*/
	s_set_vgpr_msb 64                       ;  msbs: dst=1 src0=0 src1=0 src2=0
	v_mul_i32_i24_e32 v161 /*v417*/, v64, v227
	v_mul_i32_i24_e32 v169 /*v425*/, v65, v228
	s_set_vgpr_msb 0x51                     ;  msbs: dst=1 src0=1 src1=0 src2=1
	v_pk_fma_f32 v[174:175] /*v[430:431]*/, v[174:175] /*v[430:431]*/, v[2:3], v[178:179] /*v[434:435]*/ neg_lo:[0,0,1] neg_hi:[0,0,1]
	s_set_vgpr_msb 64                       ;  msbs: dst=1 src0=0 src1=0 src2=0
	v_mul_i32_i24_e32 v178 /*v434*/, v91, v243
	v_mul_i32_i24_e32 v179 /*v435*/, v93, v247
	s_set_vgpr_msb 20                       ;  msbs: dst=0 src0=0 src1=1 src2=1
	v_add3_u32 v41, v41, v161 /*v417*/, v169 /*v425*/
	s_set_vgpr_msb 0x45                     ;  msbs: dst=1 src0=1 src1=1 src2=0
	v_mul_i32_i24_e32 v161 /*v417*/, v201 /*v457*/, v9 /*v265*/
	s_set_vgpr_msb 4                        ;  msbs: dst=0 src0=0 src1=1 src2=0
	v_pk_add_f32 v[36:37], v[36:37], v[174:175] /*v[430:431]*/
	s_set_vgpr_msb 64                       ;  msbs: dst=1 src0=0 src1=0 src2=0
	v_mul_i32_i24_e32 v174 /*v430*/, v69, v238
	v_mul_i32_i24_e32 v175 /*v431*/, v70, v240
	s_set_vgpr_msb 20                       ;  msbs: dst=0 src0=0 src1=1 src2=1
	v_add3_u32 v41, v41, v170 /*v426*/, v172 /*v428*/
	s_set_vgpr_msb 0x55                     ;  msbs: dst=1 src0=1 src1=1 src2=1
	v_mul_i32_i24_e32 v169 /*v425*/, v203 /*v459*/, v6 /*v262*/
	v_mul_i32_i24_e32 v170 /*v426*/, v204 /*v460*/, v12 /*v268*/
	v_mad_i32_i24 v161 /*v417*/, v202 /*v458*/, v8 /*v264*/, v161 /*v417*/
	v_mul_i32_i24_e32 v172 /*v428*/, v207 /*v463*/, v10 /*v266*/
	s_set_vgpr_msb 20                       ;  msbs: dst=0 src0=0 src1=1 src2=1
	v_add3_u32 v41, v41, v174 /*v430*/, v175 /*v431*/
	s_set_vgpr_msb 0x55                     ;  msbs: dst=1 src0=1 src1=1 src2=1
	v_mul_i32_i24_e32 v174 /*v430*/, v208 /*v464*/, v19 /*v275*/
	v_mul_i32_i24_e32 v175 /*v431*/, v209 /*v465*/, v20 /*v276*/
	v_add3_u32 v161 /*v417*/, v161 /*v417*/, v169 /*v425*/, v170 /*v426*/
	v_mul_i32_i24_e32 v169 /*v425*/, v205 /*v461*/, v15 /*v271*/
	s_set_vgpr_msb 20                       ;  msbs: dst=0 src0=0 src1=1 src2=1
	v_add3_u32 v41, v41, v177 /*v433*/, v178 /*v434*/
	s_set_vgpr_msb 0x45                     ;  msbs: dst=1 src0=1 src1=1 src2=0
	v_mul_i32_i24_e32 v170 /*v426*/, v206 /*v462*/, v17 /*v273*/
	v_mul_i32_i24_e32 v177 /*v433*/, v210 /*v466*/, v21 /*v277*/
	;; [unrolled: 1-line block ×3, first 2 shown]
	s_set_vgpr_msb 20                       ;  msbs: dst=0 src0=0 src1=1 src2=1
	v_add3_u32 v41, v41, v179 /*v435*/, v180 /*v436*/
	s_set_vgpr_msb 0x55                     ;  msbs: dst=1 src0=1 src1=1 src2=1
	v_add3_u32 v161 /*v417*/, v161 /*v417*/, v169 /*v425*/, v170 /*v426*/
	v_mul_i32_i24_e32 v179 /*v435*/, v192 /*v448*/, v23 /*v279*/
	v_mul_i32_i24_e32 v180 /*v436*/, v212 /*v468*/, v24 /*v280*/
	s_set_vgpr_msb 20                       ;  msbs: dst=0 src0=0 src1=1 src2=1
	v_add3_u32 v41, v41, v181 /*v437*/, v184 /*v440*/
	s_set_vgpr_msb 0x55                     ;  msbs: dst=1 src0=1 src1=1 src2=1
	v_add3_u32 v161 /*v417*/, v161 /*v417*/, v172 /*v428*/, v174 /*v430*/
	v_mul_i32_i24_e32 v181 /*v437*/, v213 /*v469*/, v25 /*v281*/
	v_mul_i32_i24_e32 v184 /*v440*/, v214 /*v470*/, v22 /*v278*/
	;; [unrolled: 6-line block ×3, first 2 shown]
	s_set_vgpr_msb 0x44                     ;  msbs: dst=1 src0=0 src1=1 src2=0
	v_pk_fma_f32 v[174:175] /*v[430:431]*/, v[102:103], v[188:189] /*v[444:445]*/, 0 op_sel_hi:[0,1,0]
	s_set_vgpr_msb 20                       ;  msbs: dst=0 src0=0 src1=1 src2=1
	v_add3_u32 v41, v41, v228 /*v484*/, v229 /*v485*/
	s_set_vgpr_msb 0x55                     ;  msbs: dst=1 src0=1 src1=1 src2=1
	v_add3_u32 v161 /*v417*/, v161 /*v417*/, v178 /*v434*/, v179 /*v435*/
	v_mul_i32_i24_e32 v228 /*v484*/, v216 /*v472*/, v28 /*v284*/
	v_mul_i32_i24_e32 v229 /*v485*/, v30 /*v286*/, v217 /*v473*/
	s_set_vgpr_msb 20                       ;  msbs: dst=0 src0=0 src1=1 src2=1
	v_add3_u32 v41, v41, v230 /*v486*/, v231 /*v487*/
	s_set_vgpr_msb 0x55                     ;  msbs: dst=1 src0=1 src1=1 src2=1
	v_add3_u32 v161 /*v417*/, v161 /*v417*/, v180 /*v436*/, v181 /*v437*/
	v_mul_i32_i24_e32 v230 /*v486*/, v29 /*v285*/, v194 /*v450*/
	v_mul_i32_i24_e32 v231 /*v487*/, v31 /*v287*/, v218 /*v474*/
	;; [unrolled: 6-line block ×6, first 2 shown]
	s_set_vgpr_msb 20                       ;  msbs: dst=0 src0=0 src1=1 src2=1
	v_add3_u32 v41, v41, v240 /*v496*/, v241 /*v497*/
	s_set_vgpr_msb 0x55                     ;  msbs: dst=1 src0=1 src1=1 src2=1
	v_add3_u32 v161 /*v417*/, v161 /*v417*/, v233 /*v489*/, v234 /*v490*/
	s_set_vgpr_msb 0                        ;  msbs: dst=0 src0=0 src1=0 src2=0
	s_delay_alu instid0(VALU_DEP_2) | instskip(SKIP_1) | instid1(VALU_DEP_2)
	v_mul_lo_u32 v41, v41, v205
	s_set_vgpr_msb 0x55                     ;  msbs: dst=1 src0=1 src1=1 src2=1
	v_add3_u32 v161 /*v417*/, v161 /*v417*/, v235 /*v491*/, v236 /*v492*/
	s_delay_alu instid0(VALU_DEP_1) | instskip(SKIP_1) | instid1(VALU_DEP_3)
	v_add3_u32 v161 /*v417*/, v161 /*v417*/, v237 /*v493*/, v238 /*v494*/
	s_set_vgpr_msb 64                       ;  msbs: dst=1 src0=0 src1=0 src2=0
	v_cvt_f32_i32_e32 v167 /*v423*/, v41
	s_set_vgpr_msb 0                        ;  msbs: dst=0 src0=0 src1=0 src2=0
	v_mul_i32_i24_e32 v41, v59, v109
	s_set_vgpr_msb 0x55                     ;  msbs: dst=1 src0=1 src1=1 src2=1
	v_add3_u32 v161 /*v417*/, v161 /*v417*/, v239 /*v495*/, v242 /*v498*/
	v_pk_fma_f32 v[166:167] /*v[422:423]*/, v[186:187] /*v[442:443]*/, v[166:167] /*v[422:423]*/, 0 op_sel_hi:[1,1,0]
	s_set_vgpr_msb 5                        ;  msbs: dst=0 src0=1 src1=1 src2=0
	v_add3_u32 v41, v176 /*v432*/, v173 /*v429*/, v41
	s_set_vgpr_msb 0x55                     ;  msbs: dst=1 src0=1 src1=1 src2=1
	v_add3_u32 v161 /*v417*/, v161 /*v417*/, v243 /*v499*/, v165 /*v421*/
	s_set_vgpr_msb 0                        ;  msbs: dst=0 src0=0 src1=0 src2=0
	s_delay_alu instid0(VALU_DEP_2) | instskip(SKIP_1) | instid1(VALU_DEP_2)
	v_mul_lo_u32 v41, v41, v111
	s_set_vgpr_msb 0x41                     ;  msbs: dst=1 src0=1 src1=0 src2=0
	v_mul_lo_u32 v161 /*v417*/, v161 /*v417*/, v111
	s_set_vgpr_msb 64                       ;  msbs: dst=1 src0=0 src1=0 src2=0
	s_delay_alu instid0(VALU_DEP_2)
	v_cvt_f32_i32_e32 v172 /*v428*/, v41
	s_set_vgpr_msb 4                        ;  msbs: dst=0 src0=0 src1=1 src2=0
	v_mul_i32_i24_e32 v41, v58, v46 /*v302*/
	v_mul_i32_i24_e32 v58, v61, v47 /*v303*/
	;; [unrolled: 1-line block ×5, first 2 shown]
	v_mad_i32_i24 v41, v60, v45 /*v301*/, v41
	v_mul_i32_i24_e32 v60, v65, v50 /*v306*/
	v_mul_i32_i24_e32 v65, v70, v54 /*v310*/
	;; [unrolled: 1-line block ×4, first 2 shown]
	s_set_vgpr_msb 0                        ;  msbs: dst=0 src0=0 src1=0 src2=0
	v_add3_u32 v41, v41, v58, v61
	s_set_vgpr_msb 4                        ;  msbs: dst=0 src0=0 src1=1 src2=0
	v_mul_i32_i24_e32 v58, v64, v49 /*v305*/
	v_mul_i32_i24_e32 v61, v66, v51 /*v307*/
	;; [unrolled: 1-line block ×5, first 2 shown]
	s_set_vgpr_msb 0                        ;  msbs: dst=0 src0=0 src1=0 src2=0
	v_add3_u32 v41, v41, v58, v60
	s_set_vgpr_msb 5                        ;  msbs: dst=0 src0=1 src1=1 src2=0
	v_mul_i32_i24_e32 v58, v201 /*v457*/, v75 /*v331*/
	v_mul_i32_i24_e32 v60, v203 /*v459*/, v72 /*v328*/
	s_set_vgpr_msb 4                        ;  msbs: dst=0 src0=0 src1=1 src2=0
	v_mul_i32_i24_e32 v72, v149, v59 /*v315*/
	v_mul_i32_i24_e32 v93, v151, v61 /*v317*/
	s_set_vgpr_msb 0                        ;  msbs: dst=0 src0=0 src1=0 src2=0
	v_add3_u32 v41, v41, v61, v62
	s_set_vgpr_msb 5                        ;  msbs: dst=0 src0=1 src1=1 src2=0
	v_mul_i32_i24_e32 v61, v204 /*v460*/, v78 /*v334*/
	v_mad_i32_i24 v58, v202 /*v458*/, v74 /*v330*/, v58
	v_mul_i32_i24_e32 v62, v207 /*v463*/, v76 /*v332*/
	s_set_vgpr_msb 4                        ;  msbs: dst=0 src0=0 src1=1 src2=0
	v_mul_i32_i24_e32 v148, v152, v62 /*v318*/
	s_set_vgpr_msb 0                        ;  msbs: dst=0 src0=0 src1=0 src2=0
	v_add3_u32 v41, v41, v64, v65
	s_set_vgpr_msb 5                        ;  msbs: dst=0 src0=1 src1=1 src2=0
	v_mul_i32_i24_e32 v64, v208 /*v464*/, v85 /*v341*/
	s_set_vgpr_msb 0                        ;  msbs: dst=0 src0=0 src1=0 src2=0
	v_add3_u32 v58, v58, v60, v61
	s_set_vgpr_msb 5                        ;  msbs: dst=0 src0=1 src1=1 src2=0
	v_mul_i32_i24_e32 v60, v205 /*v461*/, v81 /*v337*/
	v_mul_i32_i24_e32 v61, v206 /*v462*/, v83 /*v339*/
	s_set_vgpr_msb 0                        ;  msbs: dst=0 src0=0 src1=0 src2=0
	v_add3_u32 v41, v41, v66, v68
	s_set_vgpr_msb 5                        ;  msbs: dst=0 src0=1 src1=1 src2=0
	v_mul_i32_i24_e32 v65, v209 /*v465*/, v86 /*v342*/
	v_mul_i32_i24_e32 v66, v210 /*v466*/, v87 /*v343*/
	s_set_vgpr_msb 4                        ;  msbs: dst=0 src0=0 src1=1 src2=0
	v_mul_i32_i24_e32 v149, v153, v63 /*v319*/
	s_set_vgpr_msb 0                        ;  msbs: dst=0 src0=0 src1=0 src2=0
	v_add3_u32 v58, v58, v60, v61
	v_add3_u32 v41, v41, v69, v70
	s_set_vgpr_msb 4                        ;  msbs: dst=0 src0=0 src1=1 src2=0
	v_mul_i32_i24_e32 v150, v154, v64 /*v320*/
	s_set_vgpr_msb 5                        ;  msbs: dst=0 src0=1 src1=1 src2=0
	v_mul_i32_i24_e32 v68, v211 /*v467*/, v84 /*v340*/
	v_mul_i32_i24_e32 v69, v192 /*v448*/, v89 /*v345*/
	s_set_vgpr_msb 0                        ;  msbs: dst=0 src0=0 src1=0 src2=0
	v_add3_u32 v58, v58, v62, v64
	v_add3_u32 v41, v41, v72, v91
	s_set_vgpr_msb 1                        ;  msbs: dst=0 src0=1 src1=0 src2=0
	v_mul_i32_i24_e32 v151, v66 /*v322*/, v155
	v_mul_i32_i24_e32 v152, v65 /*v321*/, v156
	s_set_vgpr_msb 5                        ;  msbs: dst=0 src0=1 src1=1 src2=0
	v_mul_i32_i24_e32 v70, v212 /*v468*/, v90 /*v346*/
	s_set_vgpr_msb 0                        ;  msbs: dst=0 src0=0 src1=0 src2=0
	v_add3_u32 v58, v58, v65, v66
	v_add3_u32 v41, v41, v93, v148
	s_set_vgpr_msb 5                        ;  msbs: dst=0 src0=1 src1=1 src2=0
	v_mul_i32_i24_e32 v72, v213 /*v469*/, v91 /*v347*/
	s_set_vgpr_msb 1                        ;  msbs: dst=0 src0=1 src1=0 src2=0
	v_mul_i32_i24_e32 v153, v68 /*v324*/, v157
	v_mul_i32_i24_e32 v154, v67 /*v323*/, v158
	s_set_vgpr_msb 0                        ;  msbs: dst=0 src0=0 src1=0 src2=0
	v_add3_u32 v58, v58, v68, v69
	v_add3_u32 v41, v41, v149, v150
	s_set_vgpr_msb 5                        ;  msbs: dst=0 src0=1 src1=1 src2=0
	v_mul_i32_i24_e32 v91, v214 /*v470*/, v88 /*v344*/
	v_mul_i32_i24_e32 v93, v193 /*v449*/, v92 /*v348*/
	s_set_vgpr_msb 1                        ;  msbs: dst=0 src0=1 src1=0 src2=0
	v_mul_i32_i24_e32 v155, v70 /*v326*/, v159
	s_set_vgpr_msb 0                        ;  msbs: dst=0 src0=0 src1=0 src2=0
	v_add3_u32 v58, v58, v70, v72
	v_add3_u32 v41, v41, v151, v152
	s_set_vgpr_msb 1                        ;  msbs: dst=0 src0=1 src1=0 src2=0
	v_mul_i32_i24_e32 v156, v69 /*v325*/, v160
	s_set_vgpr_msb 5                        ;  msbs: dst=0 src0=1 src1=1 src2=0
	v_mul_i32_i24_e32 v148, v215 /*v471*/, v93 /*v349*/
	v_mul_i32_i24_e32 v149, v216 /*v472*/, v94 /*v350*/
	s_set_vgpr_msb 0                        ;  msbs: dst=0 src0=0 src1=0 src2=0
	v_add3_u32 v58, v58, v91, v93
	v_add3_u32 v41, v41, v153, v154
	s_set_vgpr_msb 1                        ;  msbs: dst=0 src0=1 src1=0 src2=0
	v_mul_i32_i24_e32 v157, v73 /*v329*/, v161
	v_mul_i32_i24_e32 v158, v71 /*v327*/, v162
	s_set_vgpr_msb 5                        ;  msbs: dst=0 src0=1 src1=1 src2=0
	v_mul_i32_i24_e32 v150, v96 /*v352*/, v217 /*v473*/
	v_mul_i32_i24_e32 v151, v95 /*v351*/, v194 /*v450*/
	s_set_vgpr_msb 0                        ;  msbs: dst=0 src0=0 src1=0 src2=0
	v_add3_u32 v41, v41, v155, v156
	v_add3_u32 v58, v58, v148, v149
	s_set_vgpr_msb 4                        ;  msbs: dst=0 src0=0 src1=1 src2=0
	v_mul_i32_i24_e32 v159, v163, v77 /*v333*/
	s_set_vgpr_msb 5                        ;  msbs: dst=0 src0=1 src1=1 src2=0
	v_mul_i32_i24_e32 v160, v198 /*v454*/, v79 /*v335*/
	v_mul_i32_i24_e32 v152, v97 /*v353*/, v218 /*v474*/
	s_set_vgpr_msb 0                        ;  msbs: dst=0 src0=0 src1=0 src2=0
	v_add3_u32 v41, v41, v157, v158
	s_set_vgpr_msb 5                        ;  msbs: dst=0 src0=1 src1=1 src2=0
	v_mul_i32_i24_e32 v153, v98 /*v354*/, v219 /*v475*/
	s_set_vgpr_msb 0                        ;  msbs: dst=0 src0=0 src1=0 src2=0
	v_add3_u32 v58, v58, v150, v151
	s_set_vgpr_msb 5                        ;  msbs: dst=0 src0=1 src1=1 src2=0
	v_mul_i32_i24_e32 v161, v199 /*v455*/, v80 /*v336*/
	v_mul_i32_i24_e32 v162, v200 /*v456*/, v82 /*v338*/
	s_set_vgpr_msb 0                        ;  msbs: dst=0 src0=0 src1=0 src2=0
	v_add3_u32 v41, v41, v159, v160
	s_set_vgpr_msb 5                        ;  msbs: dst=0 src0=1 src1=1 src2=0
	v_mul_i32_i24_e32 v154, v100 /*v356*/, v220 /*v476*/
	;; [unrolled: 5-line block ×3, first 2 shown]
	s_set_vgpr_msb 0                        ;  msbs: dst=0 src0=0 src1=0 src2=0
	v_add3_u32 v41, v41, v161, v162
	s_set_vgpr_msb 5                        ;  msbs: dst=0 src0=1 src1=1 src2=0
	v_mul_i32_i24_e32 v157, v102 /*v358*/, v222 /*v478*/
	v_mul_i32_i24_e32 v158, v104 /*v360*/, v223 /*v479*/
	s_set_vgpr_msb 0                        ;  msbs: dst=0 src0=0 src1=0 src2=0
	v_add3_u32 v58, v58, v154, v155
	s_set_vgpr_msb 5                        ;  msbs: dst=0 src0=1 src1=1 src2=0
	v_mul_i32_i24_e32 v159, v103 /*v359*/, v196 /*v452*/
	s_set_vgpr_msb 4                        ;  msbs: dst=0 src0=0 src1=1 src2=0
	v_mul_lo_u32 v41, v41, v44 /*v300*/
	s_set_vgpr_msb 5                        ;  msbs: dst=0 src0=1 src1=1 src2=0
	v_mul_i32_i24_e32 v160, v224 /*v480*/, v105 /*v361*/
	v_mul_i32_i24_e32 v163, v225 /*v481*/, v106 /*v362*/
	s_set_vgpr_msb 0                        ;  msbs: dst=0 src0=0 src1=0 src2=0
	v_add3_u32 v58, v58, v156, v157
	s_set_vgpr_msb 0x45                     ;  msbs: dst=1 src0=1 src1=1 src2=0
	v_cvt_f32_i32_e32 v173 /*v429*/, v161 /*v417*/
	v_mul_i32_i24_e32 v161 /*v417*/, v226 /*v482*/, v107 /*v363*/
	s_set_vgpr_msb 21                       ;  msbs: dst=0 src0=1 src1=1 src2=1
	v_add3_u32 v60, v164 /*v420*/, v162 /*v418*/, v163 /*v419*/
	s_set_vgpr_msb 0x44                     ;  msbs: dst=1 src0=0 src1=1 src2=0
	v_pk_fma_f32 v[164:165] /*v[420:421]*/, v[110:111], v[188:189] /*v[444:445]*/, 0 op_sel_hi:[0,1,0]
	s_set_vgpr_msb 0                        ;  msbs: dst=0 src0=0 src1=0 src2=0
	v_add3_u32 v58, v58, v158, v159
	s_set_vgpr_msb 0x55                     ;  msbs: dst=1 src0=1 src1=1 src2=1
	v_pk_fma_f32 v[166:167] /*v[422:423]*/, v[190:191] /*v[446:447]*/, v[172:173] /*v[428:429]*/, v[166:167] /*v[422:423]*/
	s_set_vgpr_msb 0x54                     ;  msbs: dst=1 src0=0 src1=1 src2=1
	v_pk_fma_f32 v[172:173] /*v[428:429]*/, v[106:107], v[182:183] /*v[438:439]*/, v[174:175] /*v[430:431]*/ op_sel_hi:[0,1,1]
	v_cvt_f32_i32_e32 v163 /*v419*/, v41
	s_set_vgpr_msb 4                        ;  msbs: dst=0 src0=0 src1=1 src2=0
	v_mul_i32_i24_e32 v41, v59, v42 /*v298*/
	s_set_vgpr_msb 0                        ;  msbs: dst=0 src0=0 src1=0 src2=0
	v_add3_u32 v58, v58, v160, v163
	s_set_vgpr_msb 5                        ;  msbs: dst=0 src0=1 src1=1 src2=0
	v_mul_i32_i24_e32 v59, v197 /*v453*/, v42 /*v298*/
	s_set_vgpr_msb 4                        ;  msbs: dst=0 src0=0 src1=1 src2=0
	v_mul_lo_u32 v60, v60, v44 /*v300*/
	s_set_vgpr_msb 0x41                     ;  msbs: dst=1 src0=1 src1=0 src2=0
	v_pk_mul_f32 v[172:173] /*v[428:429]*/, v[172:173] /*v[428:429]*/, v[12:13]
	s_set_vgpr_msb 5                        ;  msbs: dst=0 src0=1 src1=1 src2=0
	v_add3_u32 v41, v171 /*v427*/, v168 /*v424*/, v41
	s_set_vgpr_msb 0x54                     ;  msbs: dst=1 src0=0 src1=1 src2=1
	v_pk_fma_f32 v[164:165] /*v[420:421]*/, v[108:109], v[182:183] /*v[438:439]*/, v[164:165] /*v[420:421]*/ op_sel_hi:[0,1,1]
	s_set_vgpr_msb 4                        ;  msbs: dst=0 src0=0 src1=1 src2=0
	v_add3_u32 v58, v58, v161 /*v417*/, v59
	s_set_vgpr_msb 0x51                     ;  msbs: dst=1 src0=1 src1=0 src2=1
	v_pk_fma_f32 v[166:167] /*v[422:423]*/, v[166:167] /*v[422:423]*/, v[4:5], v[172:173] /*v[428:429]*/ neg_lo:[0,0,1] neg_hi:[0,0,1]
	s_set_vgpr_msb 4                        ;  msbs: dst=0 src0=0 src1=1 src2=0
	v_mul_lo_u32 v41, v41, v43 /*v299*/
	s_set_vgpr_msb 0x41                     ;  msbs: dst=1 src0=1 src1=0 src2=0
	v_pk_mul_f32 v[164:165] /*v[420:421]*/, v[164:165] /*v[420:421]*/, v[14:15]
	s_set_vgpr_msb 4                        ;  msbs: dst=0 src0=0 src1=1 src2=0
	v_mul_lo_u32 v58, v58, v43 /*v299*/
	s_set_vgpr_msb 64                       ;  msbs: dst=1 src0=0 src1=0 src2=0
	v_cvt_f32_i32_e32 v162 /*v418*/, v60
	s_set_vgpr_msb 4                        ;  msbs: dst=0 src0=0 src1=1 src2=0
	v_pk_add_f32 v[34:35], v[34:35], v[166:167] /*v[422:423]*/
	s_set_vgpr_msb 0x45                     ;  msbs: dst=1 src0=1 src1=1 src2=0
	s_delay_alu instid0(VALU_DEP_2)
	v_pk_fma_f32 v[162:163] /*v[418:419]*/, v[186:187] /*v[442:443]*/, v[162:163] /*v[418:419]*/, 0 op_sel_hi:[1,1,0]
	s_set_vgpr_msb 64                       ;  msbs: dst=1 src0=0 src1=0 src2=0
	v_cvt_f32_i32_e32 v166 /*v422*/, v41
	s_set_vgpr_msb 0                        ;  msbs: dst=0 src0=0 src1=0 src2=0
	v_or_b32_e32 v41, s8, v140
	s_set_vgpr_msb 64                       ;  msbs: dst=1 src0=0 src1=0 src2=0
	v_cvt_f32_i32_e32 v167 /*v423*/, v58
	s_set_vgpr_msb 0                        ;  msbs: dst=0 src0=0 src1=0 src2=0
	s_delay_alu instid0(VALU_DEP_2) | instskip(SKIP_1) | instid1(VALU_DEP_2)
	v_lshlrev_b32_e32 v58, 2, v41
	s_set_vgpr_msb 0x55                     ;  msbs: dst=1 src0=1 src1=1 src2=1
	v_pk_fma_f32 v[162:163] /*v[418:419]*/, v[190:191] /*v[446:447]*/, v[166:167] /*v[422:423]*/, v[162:163] /*v[418:419]*/
	s_set_vgpr_msb 0x51                     ;  msbs: dst=1 src0=1 src1=0 src2=1
	v_lshrrev_b32_e32 v161 /*v417*/, 1, v41
	s_delay_alu instid0(VALU_DEP_2) | instskip(SKIP_1) | instid1(VALU_DEP_1)
	v_pk_fma_f32 v[162:163] /*v[418:419]*/, v[162:163] /*v[418:419]*/, v[6:7], v[164:165] /*v[420:421]*/ neg_lo:[0,0,1] neg_hi:[0,0,1]
	s_set_vgpr_msb 4                        ;  msbs: dst=0 src0=0 src1=1 src2=0
	v_pk_add_f32 v[32:33], v[32:33], v[162:163] /*v[418:419]*/
	s_set_vgpr_msb 64                       ;  msbs: dst=1 src0=0 src1=0 src2=0
	ds_load_b128 v[162:165] /*v[418:421]*/, v58 offset:16896
	ds_load_b128 v[166:169] /*v[422:425]*/, v58 offset:16912
	;; [unrolled: 1-line block ×4, first 2 shown]
	s_wait_dscnt 0x3
	s_set_vgpr_msb 1                        ;  msbs: dst=0 src0=1 src1=0 src2=0
	v_bfe_i32 v41, v162 /*v418*/, 0, 8
	v_bfe_i32 v58, v162 /*v418*/, 8, 8
	;; [unrolled: 1-line block ×3, first 2 shown]
	s_set_vgpr_msb 4                        ;  msbs: dst=0 src0=0 src1=1 src2=0
	v_dual_ashrrev_i32 v61, 24, v162 /*v418*/ :: v_dual_ashrrev_i32 v66, 24, v163 /*v419*/
	v_ashrrev_i32_e32 v72, 24, v164 /*v420*/
	s_set_vgpr_msb 1                        ;  msbs: dst=0 src0=1 src1=0 src2=0
	v_bfe_i32 v68, v164 /*v420*/, 0, 8
	v_bfe_i32 v69, v164 /*v420*/, 8, 8
	;; [unrolled: 1-line block ×3, first 2 shown]
	s_set_vgpr_msb 64                       ;  msbs: dst=1 src0=0 src1=0 src2=0
	v_mul_i32_i24_e32 v164 /*v420*/, v41, v121
	s_set_vgpr_msb 1                        ;  msbs: dst=0 src0=1 src1=0 src2=0
	v_bfe_i32 v62, v163 /*v419*/, 0, 8
	v_bfe_i32 v64, v163 /*v419*/, 8, 8
	;; [unrolled: 1-line block ×5, first 2 shown]
	s_wait_dscnt 0x2
	s_set_vgpr_msb 4                        ;  msbs: dst=0 src0=0 src1=1 src2=0
	v_dual_ashrrev_i32 v149, 24, v165 /*v421*/ :: v_dual_ashrrev_i32 v153, 24, v166 /*v422*/
	s_set_vgpr_msb 1                        ;  msbs: dst=0 src0=1 src1=0 src2=0
	v_bfe_i32 v150, v166 /*v422*/, 0, 8
	v_bfe_i32 v151, v166 /*v422*/, 8, 8
	;; [unrolled: 1-line block ×3, first 2 shown]
	s_set_vgpr_msb 0x44                     ;  msbs: dst=1 src0=0 src1=1 src2=0
	v_mul_i32_i24_e32 v165 /*v421*/, v60, v108 /*v364*/
	v_mul_i32_i24_e32 v166 /*v422*/, v61, v109 /*v365*/
	s_set_vgpr_msb 0x50                     ;  msbs: dst=1 src0=0 src1=0 src2=1
	v_mad_i32_i24 v164 /*v420*/, v58, v120, v164 /*v420*/
	s_set_vgpr_msb 1                        ;  msbs: dst=0 src0=1 src1=0 src2=0
	v_bfe_i32 v65, v163 /*v419*/, 16, 8
	v_bfe_i32 v154, v167 /*v423*/, 0, 8
	;; [unrolled: 1-line block ×4, first 2 shown]
	s_set_vgpr_msb 0x55                     ;  msbs: dst=1 src0=1 src1=1 src2=1
	v_add3_u32 v164 /*v420*/, v164 /*v420*/, v165 /*v421*/, v166 /*v422*/
	s_set_vgpr_msb 0x44                     ;  msbs: dst=1 src0=0 src1=1 src2=0
	v_mul_i32_i24_e32 v165 /*v421*/, v62, v110 /*v366*/
	v_mul_i32_i24_e32 v166 /*v422*/, v64, v111 /*v367*/
	s_set_vgpr_msb 4                        ;  msbs: dst=0 src0=0 src1=1 src2=0
	v_dual_ashrrev_i32 v157, 24, v167 /*v423*/ :: v_dual_ashrrev_i32 v161, 24, v168 /*v424*/
	s_set_vgpr_msb 1                        ;  msbs: dst=0 src0=1 src1=0 src2=0
	v_bfe_i32 v162, v169 /*v425*/, 0, 8
	v_bfe_i32 v163, v169 /*v425*/, 8, 8
	s_set_vgpr_msb 0x41                     ;  msbs: dst=1 src0=1 src1=0 src2=0
	v_bfe_i32 v162 /*v418*/, v169 /*v425*/, 16, 8
	s_set_vgpr_msb 0x44                     ;  msbs: dst=1 src0=0 src1=1 src2=0
	v_ashrrev_i32_e32 v163 /*v419*/, 24, v169 /*v425*/
	v_mul_i32_i24_e32 v167 /*v423*/, v65, v112 /*v368*/
	v_mul_i32_i24_e32 v169 /*v425*/, v66, v113 /*v369*/
	s_set_vgpr_msb 0x55                     ;  msbs: dst=1 src0=1 src1=1 src2=1
	v_add3_u32 v164 /*v420*/, v164 /*v420*/, v165 /*v421*/, v166 /*v422*/
	s_set_vgpr_msb 1                        ;  msbs: dst=0 src0=1 src1=0 src2=0
	v_bfe_i32 v158, v168 /*v424*/, 0, 8
	v_bfe_i32 v159, v168 /*v424*/, 8, 8
	;; [unrolled: 1-line block ×3, first 2 shown]
	s_wait_dscnt 0x1
	s_set_vgpr_msb 0x41                     ;  msbs: dst=1 src0=1 src1=0 src2=0
	v_bfe_i32 v168 /*v424*/, v170 /*v426*/, 0, 8
	v_bfe_i32 v182 /*v438*/, v170 /*v426*/, 8, 8
	;; [unrolled: 1-line block ×3, first 2 shown]
	s_set_vgpr_msb 0x44                     ;  msbs: dst=1 src0=0 src1=1 src2=0
	v_ashrrev_i32_e32 v184 /*v440*/, 24, v170 /*v426*/
	s_set_vgpr_msb 0x41                     ;  msbs: dst=1 src0=1 src1=0 src2=0
	v_bfe_i32 v188 /*v444*/, v172 /*v428*/, 0, 8
	v_bfe_i32 v189 /*v445*/, v172 /*v428*/, 8, 8
	;; [unrolled: 1-line block ×3, first 2 shown]
	s_set_vgpr_msb 0x44                     ;  msbs: dst=1 src0=0 src1=1 src2=0
	v_dual_ashrrev_i32 v191 /*v447*/, 24, v172 /*v428*/ :: v_dual_ashrrev_i32 v195 /*v451*/, 24, v173 /*v429*/
	v_mul_i32_i24_e32 v170 /*v426*/, v68, v114 /*v370*/
	v_mul_i32_i24_e32 v172 /*v428*/, v69, v115 /*v371*/
	s_set_vgpr_msb 0x55                     ;  msbs: dst=1 src0=1 src1=1 src2=1
	v_add3_u32 v164 /*v420*/, v164 /*v420*/, v167 /*v423*/, v169 /*v425*/
	v_bfe_i32 v192 /*v448*/, v173 /*v429*/, 0, 8
	v_bfe_i32 v193 /*v449*/, v173 /*v429*/, 8, 8
	;; [unrolled: 1-line block ×3, first 2 shown]
	s_wait_dscnt 0x0
	v_bfe_i32 v204 /*v460*/, v176 /*v432*/, 0, 8
	v_bfe_i32 v205 /*v461*/, v176 /*v432*/, 8, 8
	;; [unrolled: 1-line block ×3, first 2 shown]
	v_ashrrev_i32_e32 v207 /*v463*/, 24, v176 /*v432*/
	s_set_vgpr_msb 0x44                     ;  msbs: dst=1 src0=0 src1=1 src2=0
	v_mul_i32_i24_e32 v173 /*v429*/, v70, v116 /*v372*/
	v_mul_i32_i24_e32 v176 /*v432*/, v72, v117 /*v373*/
	s_set_vgpr_msb 0x55                     ;  msbs: dst=1 src0=1 src1=1 src2=1
	v_add3_u32 v164 /*v420*/, v164 /*v420*/, v170 /*v426*/, v172 /*v428*/
	v_bfe_i32 v208 /*v464*/, v177 /*v433*/, 0, 8
	v_bfe_i32 v209 /*v465*/, v177 /*v433*/, 8, 8
	;; [unrolled: 1-line block ×3, first 2 shown]
	s_set_vgpr_msb 4                        ;  msbs: dst=0 src0=0 src1=1 src2=0
	v_ashrrev_i32_e32 v59, 24, v177 /*v433*/
	s_set_vgpr_msb 0x44                     ;  msbs: dst=1 src0=0 src1=1 src2=0
	v_mul_i32_i24_e32 v177 /*v433*/, v91, v118 /*v374*/
	v_mul_i32_i24_e32 v178 /*v434*/, v93, v119 /*v375*/
	s_set_vgpr_msb 0x55                     ;  msbs: dst=1 src0=1 src1=1 src2=1
	v_add3_u32 v164 /*v420*/, v164 /*v420*/, v173 /*v429*/, v176 /*v432*/
	s_set_vgpr_msb 0x44                     ;  msbs: dst=1 src0=0 src1=1 src2=0
	v_mul_i32_i24_e32 v179 /*v435*/, v148, v120 /*v376*/
	v_mul_i32_i24_e32 v180 /*v436*/, v149, v121 /*v377*/
	;; [unrolled: 1-line block ×4, first 2 shown]
	s_set_vgpr_msb 0x55                     ;  msbs: dst=1 src0=1 src1=1 src2=1
	v_add3_u32 v164 /*v420*/, v164 /*v420*/, v177 /*v433*/, v178 /*v434*/
	s_set_vgpr_msb 0x44                     ;  msbs: dst=1 src0=0 src1=1 src2=0
	v_mul_i32_i24_e32 v212 /*v468*/, v152, v124 /*v380*/
	v_mul_i32_i24_e32 v213 /*v469*/, v153, v125 /*v381*/
	s_set_vgpr_msb 0x41                     ;  msbs: dst=1 src0=1 src1=0 src2=0
	v_mul_i32_i24_e32 v214 /*v470*/, v127 /*v383*/, v154
	v_mul_i32_i24_e32 v215 /*v471*/, v126 /*v382*/, v155
	s_set_vgpr_msb 0x55                     ;  msbs: dst=1 src0=1 src1=1 src2=1
	v_add3_u32 v164 /*v420*/, v164 /*v420*/, v179 /*v435*/, v180 /*v436*/
	s_set_vgpr_msb 0x41                     ;  msbs: dst=1 src0=1 src1=0 src2=0
	v_mul_i32_i24_e32 v216 /*v472*/, v129 /*v385*/, v156
	v_mul_i32_i24_e32 v217 /*v473*/, v128 /*v384*/, v157
	;; [unrolled: 1-line block ×4, first 2 shown]
	s_set_vgpr_msb 0x55                     ;  msbs: dst=1 src0=1 src1=1 src2=1
	v_add3_u32 v164 /*v420*/, v164 /*v420*/, v181 /*v437*/, v211 /*v467*/
	s_set_vgpr_msb 0x41                     ;  msbs: dst=1 src0=1 src1=0 src2=0
	v_mul_i32_i24_e32 v220 /*v476*/, v141 /*v397*/, v160
	v_mul_i32_i24_e32 v221 /*v477*/, v138 /*v394*/, v161
	s_set_vgpr_msb 0x44                     ;  msbs: dst=1 src0=0 src1=1 src2=0
	v_mul_i32_i24_e32 v222 /*v478*/, v162, v144 /*v400*/
	v_mul_i32_i24_e32 v223 /*v479*/, v163, v145 /*v401*/
	s_set_vgpr_msb 0x55                     ;  msbs: dst=1 src0=1 src1=1 src2=1
	v_add3_u32 v164 /*v420*/, v164 /*v420*/, v212 /*v468*/, v213 /*v469*/
	v_bfe_i32 v185 /*v441*/, v171 /*v427*/, 0, 8
	v_bfe_i32 v186 /*v442*/, v171 /*v427*/, 8, 8
	v_mul_i32_i24_e32 v165 /*v421*/, v148 /*v404*/, v183 /*v439*/
	v_mul_i32_i24_e32 v166 /*v422*/, v139 /*v395*/, v184 /*v440*/
	v_add3_u32 v164 /*v420*/, v164 /*v420*/, v214 /*v470*/, v215 /*v471*/
	v_bfe_i32 v187 /*v443*/, v171 /*v427*/, 16, 8
	v_ashrrev_i32_e32 v171 /*v427*/, 24, v171 /*v427*/
	s_set_vgpr_msb 0x44                     ;  msbs: dst=1 src0=0 src1=1 src2=0
	v_mul_i32_i24_e32 v170 /*v426*/, v116, v188 /*v444*/
	s_set_vgpr_msb 0x55                     ;  msbs: dst=1 src0=1 src1=1 src2=1
	v_mul_i32_i24_e32 v172 /*v428*/, v152 /*v408*/, v189 /*v445*/
	v_add3_u32 v164 /*v420*/, v164 /*v420*/, v216 /*v472*/, v217 /*v473*/
	v_mul_i32_i24_e32 v167 /*v423*/, v149 /*v405*/, v187 /*v443*/
	v_mul_i32_i24_e32 v169 /*v425*/, v131 /*v387*/, v171 /*v427*/
	;; [unrolled: 1-line block ×4, first 2 shown]
	v_add3_u32 v164 /*v420*/, v164 /*v420*/, v218 /*v474*/, v219 /*v475*/
	s_set_vgpr_msb 0x44                     ;  msbs: dst=1 src0=0 src1=1 src2=0
	v_mul_i32_i24_e32 v178 /*v434*/, v117, v192 /*v448*/
	s_set_vgpr_msb 0x55                     ;  msbs: dst=1 src0=1 src1=1 src2=1
	v_mul_i32_i24_e32 v179 /*v435*/, v154 /*v410*/, v193 /*v449*/
	v_bfe_i32 v196 /*v452*/, v174 /*v430*/, 0, 8
	v_bfe_i32 v197 /*v453*/, v174 /*v430*/, 8, 8
	v_add3_u32 v164 /*v420*/, v164 /*v420*/, v220 /*v476*/, v221 /*v477*/
	v_mul_i32_i24_e32 v181 /*v437*/, v153 /*v409*/, v194 /*v450*/
	v_mul_i32_i24_e32 v211 /*v467*/, v133 /*v389*/, v195 /*v451*/
	v_bfe_i32 v198 /*v454*/, v174 /*v430*/, 16, 8
	v_dual_ashrrev_i32 v199 /*v455*/, 24, v174 /*v430*/ :: v_dual_ashrrev_i32 v203 /*v459*/, 24, v175 /*v431*/
	v_add3_u32 v177 /*v433*/, v164 /*v420*/, v222 /*v478*/, v223 /*v479*/
	s_set_vgpr_msb 0x44                     ;  msbs: dst=1 src0=0 src1=1 src2=0
	v_mul_i32_i24_e32 v164 /*v420*/, v118, v168 /*v424*/
	v_mul_i32_i24_e32 v212 /*v468*/, v112, v196 /*v452*/
	s_set_vgpr_msb 0x45                     ;  msbs: dst=1 src0=1 src1=1 src2=0
	v_mul_i32_i24_e32 v213 /*v469*/, v156 /*v412*/, v197 /*v453*/
	v_bfe_i32 v200 /*v456*/, v175 /*v431*/, 0, 8
	v_bfe_i32 v201 /*v457*/, v175 /*v431*/, 8, 8
	s_set_vgpr_msb 0x54                     ;  msbs: dst=1 src0=0 src1=1 src2=1
	v_mad_i32_i24 v164 /*v420*/, v115, v182 /*v438*/, v164 /*v420*/
	s_set_vgpr_msb 0x45                     ;  msbs: dst=1 src0=1 src1=1 src2=0
	v_mul_i32_i24_e32 v214 /*v470*/, v155 /*v411*/, v198 /*v454*/
	v_mul_i32_i24_e32 v215 /*v471*/, v134 /*v390*/, v199 /*v455*/
	v_bfe_i32 v202 /*v458*/, v175 /*v431*/, 16, 8
	s_set_vgpr_msb 0x44                     ;  msbs: dst=1 src0=0 src1=1 src2=0
	v_mul_i32_i24_e32 v216 /*v472*/, v113, v200 /*v456*/
	s_set_vgpr_msb 0x55                     ;  msbs: dst=1 src0=1 src1=1 src2=1
	v_add3_u32 v164 /*v420*/, v164 /*v420*/, v165 /*v421*/, v166 /*v422*/
	s_set_vgpr_msb 0x44                     ;  msbs: dst=1 src0=0 src1=1 src2=0
	v_mul_i32_i24_e32 v165 /*v421*/, v119, v185 /*v441*/
	s_set_vgpr_msb 0x45                     ;  msbs: dst=1 src0=1 src1=1 src2=0
	v_mul_i32_i24_e32 v166 /*v422*/, v150 /*v406*/, v186 /*v442*/
	v_mul_i32_i24_e32 v217 /*v473*/, v158 /*v414*/, v201 /*v457*/
	;; [unrolled: 1-line block ×4, first 2 shown]
	s_set_vgpr_msb 0x44                     ;  msbs: dst=1 src0=0 src1=1 src2=0
	v_mul_i32_i24_e32 v220 /*v476*/, v114, v204 /*v460*/
	s_set_vgpr_msb 0x55                     ;  msbs: dst=1 src0=1 src1=1 src2=1
	v_add3_u32 v164 /*v420*/, v164 /*v420*/, v165 /*v421*/, v166 /*v422*/
	v_mul_i32_i24_e32 v221 /*v477*/, v160 /*v416*/, v205 /*v461*/
	v_mul_i32_i24_e32 v222 /*v478*/, v159 /*v415*/, v206 /*v462*/
	;; [unrolled: 1-line block ×4, first 2 shown]
	v_add3_u32 v164 /*v420*/, v164 /*v420*/, v167 /*v423*/, v169 /*v425*/
	v_mul_i32_i24_e32 v225 /*v481*/, v209 /*v465*/, v142 /*v398*/
	s_set_vgpr_msb 64                       ;  msbs: dst=1 src0=0 src1=0 src2=0
	v_mul_i32_i24_e32 v165 /*v421*/, v60, v173
	v_mul_i32_i24_e32 v166 /*v422*/, v61, v174
	;; [unrolled: 1-line block ×3, first 2 shown]
	s_set_vgpr_msb 0x55                     ;  msbs: dst=1 src0=1 src1=1 src2=1
	v_add3_u32 v164 /*v420*/, v164 /*v420*/, v170 /*v426*/, v172 /*v428*/
	s_set_vgpr_msb 64                       ;  msbs: dst=1 src0=0 src1=0 src2=0
	v_mul_i32_i24_e32 v172 /*v428*/, v66, v178
	v_mul_i32_i24_e32 v226 /*v482*/, v197, v161
	;; [unrolled: 1-line block ×4, first 2 shown]
	s_set_vgpr_msb 0x55                     ;  msbs: dst=1 src0=1 src1=1 src2=1
	v_add3_u32 v164 /*v420*/, v164 /*v420*/, v173 /*v429*/, v176 /*v432*/
	s_set_vgpr_msb 64                       ;  msbs: dst=1 src0=0 src1=0 src2=0
	v_mul_i32_i24_e32 v173 /*v429*/, v68, v179
	v_mul_i32_i24_e32 v176 /*v432*/, v69, v180
	s_set_vgpr_msb 0x41                     ;  msbs: dst=1 src0=1 src1=0 src2=0
	v_mul_i32_i24_e32 v229 /*v485*/, v208 /*v464*/, v244
	v_mul_i32_i24_e32 v230 /*v486*/, v209 /*v465*/, v245
	s_set_vgpr_msb 0x55                     ;  msbs: dst=1 src0=1 src1=1 src2=1
	v_add3_u32 v164 /*v420*/, v164 /*v420*/, v178 /*v434*/, v179 /*v435*/
	s_set_vgpr_msb 64                       ;  msbs: dst=1 src0=0 src1=0 src2=0
	v_mul_i32_i24_e32 v178 /*v434*/, v70, v181
	v_mul_i32_i24_e32 v179 /*v435*/, v72, v182
	s_set_vgpr_msb 0x41                     ;  msbs: dst=1 src0=1 src1=0 src2=0
	v_mul_i32_i24_e32 v231 /*v487*/, v5 /*v261*/, v161
	s_set_vgpr_msb 0x44                     ;  msbs: dst=1 src0=0 src1=1 src2=0
	v_mul_i32_i24_e32 v232 /*v488*/, v162, v11 /*v267*/
	s_set_vgpr_msb 0x55                     ;  msbs: dst=1 src0=1 src1=1 src2=1
	v_add3_u32 v164 /*v420*/, v164 /*v420*/, v181 /*v437*/, v211 /*v467*/
	s_set_vgpr_msb 64                       ;  msbs: dst=1 src0=0 src1=0 src2=0
	v_mul_i32_i24_e32 v211 /*v467*/, v91, v183
	s_set_vgpr_msb 0x44                     ;  msbs: dst=1 src0=0 src1=1 src2=0
	v_mul_i32_i24_e32 v233 /*v489*/, v163, v13 /*v269*/
	s_set_vgpr_msb 0x55                     ;  msbs: dst=1 src0=1 src1=1 src2=1
	v_mul_i32_i24_e32 v234 /*v490*/, v208 /*v464*/, v39 /*v295*/
	v_mul_i32_i24_e32 v235 /*v491*/, v209 /*v465*/, v40 /*v296*/
	v_add3_u32 v164 /*v420*/, v164 /*v420*/, v212 /*v468*/, v213 /*v469*/
	s_set_vgpr_msb 64                       ;  msbs: dst=1 src0=0 src1=0 src2=0
	v_mul_i32_i24_e32 v212 /*v468*/, v93, v184
	v_mul_i32_i24_e32 v213 /*v469*/, v148, v185
	s_set_vgpr_msb 0x55                     ;  msbs: dst=1 src0=1 src1=1 src2=1
	v_mul_i32_i24_e32 v180 /*v436*/, v210 /*v466*/, v143 /*v399*/
	v_mul_i32_i24_e32 v174 /*v430*/, v162 /*v418*/, v146 /*v402*/
	v_add3_u32 v164 /*v420*/, v164 /*v420*/, v214 /*v470*/, v215 /*v471*/
	s_set_vgpr_msb 64                       ;  msbs: dst=1 src0=0 src1=0 src2=0
	v_mul_i32_i24_e32 v214 /*v470*/, v149, v186
	v_mul_i32_i24_e32 v215 /*v471*/, v150, v187
	s_set_vgpr_msb 0x45                     ;  msbs: dst=1 src0=1 src1=1 src2=0
	v_mul_i32_i24_e32 v175 /*v431*/, v163 /*v419*/, v147 /*v403*/
	s_set_vgpr_msb 0x41                     ;  msbs: dst=1 src0=1 src1=0 src2=0
	v_mul_i32_i24_e32 v169 /*v425*/, v162 /*v418*/, v207
	s_set_vgpr_msb 0x55                     ;  msbs: dst=1 src0=1 src1=1 src2=1
	v_add3_u32 v164 /*v420*/, v164 /*v420*/, v216 /*v472*/, v217 /*v473*/
	s_set_vgpr_msb 64                       ;  msbs: dst=1 src0=0 src1=0 src2=0
	v_mul_i32_i24_e32 v216 /*v472*/, v151, v188
	v_mul_i32_i24_e32 v217 /*v473*/, v152, v189
	s_set_vgpr_msb 0x41                     ;  msbs: dst=1 src0=1 src1=0 src2=0
	v_mul_i32_i24_e32 v170 /*v426*/, v163 /*v419*/, v209
	s_set_vgpr_msb 0x55                     ;  msbs: dst=1 src0=1 src1=1 src2=1
	v_add3_u32 v164 /*v420*/, v164 /*v420*/, v218 /*v474*/, v219 /*v475*/
	s_set_vgpr_msb 64                       ;  msbs: dst=1 src0=0 src1=0 src2=0
	v_mul_i32_i24_e32 v218 /*v474*/, v153, v190
	v_mul_i32_i24_e32 v219 /*v475*/, v192, v154
	s_set_vgpr_msb 0x55                     ;  msbs: dst=1 src0=1 src1=1 src2=1
	v_add3_u32 v164 /*v420*/, v164 /*v420*/, v220 /*v476*/, v221 /*v477*/
	s_set_vgpr_msb 64                       ;  msbs: dst=1 src0=0 src1=0 src2=0
	v_mul_i32_i24_e32 v220 /*v476*/, v191, v155
	v_mul_i32_i24_e32 v221 /*v477*/, v194, v156
	;; [unrolled: 5-line block ×3, first 2 shown]
	s_set_vgpr_msb 0x55                     ;  msbs: dst=1 src0=1 src1=1 src2=1
	v_add3_u32 v181 /*v437*/, v164 /*v420*/, v224 /*v480*/, v225 /*v481*/
	s_set_vgpr_msb 0x50                     ;  msbs: dst=1 src0=0 src1=0 src2=1
	v_mul_i32_i24_e32 v164 /*v420*/, v41, v126
	v_mul_i32_i24_e32 v224 /*v480*/, v195, v159
	v_mul_i32_i24_e32 v225 /*v481*/, v199, v160
	s_delay_alu instid0(VALU_DEP_3) | instskip(SKIP_1) | instid1(VALU_DEP_1)
	v_mad_i32_i24 v164 /*v420*/, v58, v124, v164 /*v420*/
	s_set_vgpr_msb 0x55                     ;  msbs: dst=1 src0=1 src1=1 src2=1
	v_add3_u32 v164 /*v420*/, v164 /*v420*/, v165 /*v421*/, v166 /*v422*/
	s_set_vgpr_msb 64                       ;  msbs: dst=1 src0=0 src1=0 src2=0
	v_mul_i32_i24_e32 v165 /*v421*/, v62, v175
	v_mul_i32_i24_e32 v166 /*v422*/, v64, v176
	s_set_vgpr_msb 0x55                     ;  msbs: dst=1 src0=1 src1=1 src2=1
	s_delay_alu instid0(VALU_DEP_1)
	v_add3_u32 v164 /*v420*/, v164 /*v420*/, v165 /*v421*/, v166 /*v422*/
	s_set_vgpr_msb 0x41                     ;  msbs: dst=1 src0=1 src1=0 src2=0
	v_mul_i32_i24_e32 v165 /*v421*/, v183 /*v439*/, v198
	v_mul_i32_i24_e32 v166 /*v422*/, v184 /*v440*/, v204
	s_set_vgpr_msb 0x55                     ;  msbs: dst=1 src0=1 src1=1 src2=1
	v_add3_u32 v164 /*v420*/, v164 /*v420*/, v167 /*v423*/, v172 /*v428*/
	s_set_vgpr_msb 0x41                     ;  msbs: dst=1 src0=1 src1=0 src2=0
	v_mul_i32_i24_e32 v167 /*v423*/, v187 /*v443*/, v202
	s_set_vgpr_msb 0x55                     ;  msbs: dst=1 src0=1 src1=1 src2=1
	s_delay_alu instid0(VALU_DEP_2)
	v_add3_u32 v164 /*v420*/, v164 /*v420*/, v173 /*v429*/, v176 /*v432*/
	s_set_vgpr_msb 0x41                     ;  msbs: dst=1 src0=1 src1=0 src2=0
	v_mul_i32_i24_e32 v173 /*v429*/, v171 /*v427*/, v212
	v_mul_i32_i24_e32 v176 /*v432*/, v188 /*v444*/, v213
	s_set_vgpr_msb 0x55                     ;  msbs: dst=1 src0=1 src1=1 src2=1
	v_add3_u32 v164 /*v420*/, v164 /*v420*/, v178 /*v434*/, v179 /*v435*/
	s_set_vgpr_msb 0x41                     ;  msbs: dst=1 src0=1 src1=0 src2=0
	v_mul_i32_i24_e32 v179 /*v435*/, v189 /*v445*/, v214
	v_mul_i32_i24_e32 v178 /*v434*/, v210 /*v466*/, v246
	s_set_vgpr_msb 0x55                     ;  msbs: dst=1 src0=1 src1=1 src2=1
	;; [unrolled: 5-line block ×6, first 2 shown]
	v_add3_u32 v164 /*v420*/, v164 /*v420*/, v219 /*v475*/, v220 /*v476*/
	s_set_vgpr_msb 0x44                     ;  msbs: dst=1 src0=0 src1=1 src2=0
	v_mul_i32_i24_e32 v219 /*v475*/, v229, v198 /*v454*/
	v_mul_i32_i24_e32 v220 /*v476*/, v226, v199 /*v455*/
	s_set_vgpr_msb 0x55                     ;  msbs: dst=1 src0=1 src1=1 src2=1
	v_add3_u32 v164 /*v420*/, v164 /*v420*/, v221 /*v477*/, v222 /*v478*/
	s_set_vgpr_msb 0x44                     ;  msbs: dst=1 src0=0 src1=1 src2=0
	v_mul_i32_i24_e32 v221 /*v477*/, v231, v200 /*v456*/
	v_mul_i32_i24_e32 v222 /*v478*/, v232, v201 /*v457*/
	s_set_vgpr_msb 0x55                     ;  msbs: dst=1 src0=1 src1=1 src2=1
	;; [unrolled: 5-line block ×4, first 2 shown]
	v_add3_u32 v172 /*v428*/, v164 /*v420*/, v227 /*v483*/, v228 /*v484*/
	s_set_vgpr_msb 0x41                     ;  msbs: dst=1 src0=1 src1=0 src2=0
	v_mul_i32_i24_e32 v164 /*v420*/, v168 /*v424*/, v201
	s_set_vgpr_msb 0x44                     ;  msbs: dst=1 src0=0 src1=1 src2=0
	v_mul_i32_i24_e32 v227 /*v483*/, v242, v206 /*v462*/
	v_mul_i32_i24_e32 v228 /*v484*/, v239, v207 /*v463*/
	s_set_vgpr_msb 0x55                     ;  msbs: dst=1 src0=1 src1=1 src2=1
	v_add3_u32 v169 /*v425*/, v172 /*v428*/, v169 /*v425*/, v170 /*v426*/
	s_set_vgpr_msb 0x51                     ;  msbs: dst=1 src0=1 src1=0 src2=1
	v_mad_i32_i24 v164 /*v420*/, v182 /*v438*/, v200, v164 /*v420*/
	s_delay_alu instid0(VALU_DEP_2) | instskip(SKIP_1) | instid1(VALU_DEP_2)
	v_mul_lo_u32 v169 /*v425*/, v169 /*v425*/, v122
	s_set_vgpr_msb 0x55                     ;  msbs: dst=1 src0=1 src1=1 src2=1
	v_add3_u32 v164 /*v420*/, v164 /*v420*/, v165 /*v421*/, v166 /*v422*/
	s_set_vgpr_msb 0x41                     ;  msbs: dst=1 src0=1 src1=0 src2=0
	v_mul_i32_i24_e32 v165 /*v421*/, v185 /*v441*/, v208
	v_mul_i32_i24_e32 v166 /*v422*/, v186 /*v442*/, v210
	s_set_vgpr_msb 0x55                     ;  msbs: dst=1 src0=1 src1=1 src2=1
	s_delay_alu instid0(VALU_DEP_1)
	v_add3_u32 v164 /*v420*/, v164 /*v420*/, v165 /*v421*/, v166 /*v422*/
	s_set_vgpr_msb 64                       ;  msbs: dst=1 src0=0 src1=0 src2=0
	v_mul_i32_i24_e32 v165 /*v421*/, v60, v222
	v_mul_i32_i24_e32 v166 /*v422*/, v61, v224
	s_set_vgpr_msb 4                        ;  msbs: dst=0 src0=0 src1=1 src2=0
	v_mul_i32_i24_e32 v60, v60, v47 /*v303*/
	v_mul_i32_i24_e32 v61, v61, v48 /*v304*/
	s_set_vgpr_msb 0x55                     ;  msbs: dst=1 src0=1 src1=1 src2=1
	v_add3_u32 v164 /*v420*/, v164 /*v420*/, v167 /*v423*/, v173 /*v429*/
	s_set_vgpr_msb 64                       ;  msbs: dst=1 src0=0 src1=0 src2=0
	v_mul_i32_i24_e32 v167 /*v423*/, v62, v227
	v_mul_i32_i24_e32 v173 /*v429*/, v64, v228
	s_set_vgpr_msb 0x55                     ;  msbs: dst=1 src0=1 src1=1 src2=1
	v_add3_u32 v164 /*v420*/, v164 /*v420*/, v176 /*v432*/, v179 /*v435*/
	s_set_vgpr_msb 64                       ;  msbs: dst=1 src0=0 src1=0 src2=0
	v_mul_i32_i24_e32 v176 /*v432*/, v65, v230
	s_set_vgpr_msb 0x55                     ;  msbs: dst=1 src0=1 src1=1 src2=1
	s_delay_alu instid0(VALU_DEP_2)
	v_add3_u32 v164 /*v420*/, v164 /*v420*/, v211 /*v467*/, v212 /*v468*/
	s_set_vgpr_msb 64                       ;  msbs: dst=1 src0=0 src1=0 src2=0
	v_mul_i32_i24_e32 v211 /*v467*/, v66, v233
	v_mul_i32_i24_e32 v212 /*v468*/, v68, v238
	s_set_vgpr_msb 0x55                     ;  msbs: dst=1 src0=1 src1=1 src2=1
	v_add3_u32 v164 /*v420*/, v164 /*v420*/, v213 /*v469*/, v214 /*v470*/
	s_set_vgpr_msb 64                       ;  msbs: dst=1 src0=0 src1=0 src2=0
	v_mul_i32_i24_e32 v213 /*v469*/, v69, v240
	v_mul_i32_i24_e32 v214 /*v470*/, v70, v241
	s_set_vgpr_msb 0x55                     ;  msbs: dst=1 src0=1 src1=1 src2=1
	;; [unrolled: 5-line block ×6, first 2 shown]
	v_add3_u32 v164 /*v420*/, v164 /*v420*/, v223 /*v479*/, v224 /*v480*/
	s_set_vgpr_msb 64                       ;  msbs: dst=1 src0=0 src1=0 src2=0
	v_mul_i32_i24_e32 v223 /*v479*/, v153, v254
	s_set_vgpr_msb 0x41                     ;  msbs: dst=1 src0=1 src1=0 src2=0
	v_mul_i32_i24_e32 v224 /*v480*/, v0 /*v256*/, v154
	s_set_vgpr_msb 0x55                     ;  msbs: dst=1 src0=1 src1=1 src2=1
	v_add3_u32 v164 /*v420*/, v164 /*v420*/, v225 /*v481*/, v226 /*v482*/
	s_set_vgpr_msb 64                       ;  msbs: dst=1 src0=0 src1=0 src2=0
	v_mul_i32_i24_e32 v225 /*v481*/, v255, v155
	s_set_vgpr_msb 0x41                     ;  msbs: dst=1 src0=1 src1=0 src2=0
	v_mul_i32_i24_e32 v226 /*v482*/, v2 /*v258*/, v156
	s_set_vgpr_msb 0x55                     ;  msbs: dst=1 src0=1 src1=1 src2=1
	v_add3_u32 v164 /*v420*/, v164 /*v420*/, v227 /*v483*/, v228 /*v484*/
	s_set_vgpr_msb 0x41                     ;  msbs: dst=1 src0=1 src1=0 src2=0
	v_mul_i32_i24_e32 v227 /*v483*/, v1 /*v257*/, v157
	v_mul_i32_i24_e32 v228 /*v484*/, v4 /*v260*/, v158
	s_set_vgpr_msb 0x55                     ;  msbs: dst=1 src0=1 src1=1 src2=1
	v_add3_u32 v179 /*v435*/, v164 /*v420*/, v229 /*v485*/, v230 /*v486*/
	s_set_vgpr_msb 64                       ;  msbs: dst=1 src0=0 src1=0 src2=0
	v_mul_i32_i24_e32 v164 /*v420*/, v41, v219
	s_set_vgpr_msb 0x41                     ;  msbs: dst=1 src0=1 src1=0 src2=0
	v_mul_i32_i24_e32 v229 /*v485*/, v3 /*v259*/, v159
	v_mul_i32_i24_e32 v230 /*v486*/, v7 /*v263*/, v160
	s_set_vgpr_msb 4                        ;  msbs: dst=0 src0=0 src1=1 src2=0
	v_mul_i32_i24_e32 v41, v41, v46 /*v302*/
	s_set_vgpr_msb 0x50                     ;  msbs: dst=1 src0=0 src1=0 src2=1
	v_mad_i32_i24 v164 /*v420*/, v58, v217, v164 /*v420*/
	s_set_vgpr_msb 4                        ;  msbs: dst=0 src0=0 src1=1 src2=0
	s_delay_alu instid0(VALU_DEP_2)
	v_mad_i32_i24 v41, v58, v45 /*v301*/, v41
	v_mul_i32_i24_e32 v58, v62, v49 /*v305*/
	s_set_vgpr_msb 0x55                     ;  msbs: dst=1 src0=1 src1=1 src2=1
	v_add3_u32 v164 /*v420*/, v164 /*v420*/, v165 /*v421*/, v166 /*v422*/
	s_set_vgpr_msb 4                        ;  msbs: dst=0 src0=0 src1=1 src2=0
	v_mul_i32_i24_e32 v62, v66, v52 /*v308*/
	v_mul_i32_i24_e32 v66, v70, v55 /*v311*/
	s_set_vgpr_msb 0                        ;  msbs: dst=0 src0=0 src1=0 src2=0
	v_add3_u32 v41, v41, v60, v61
	s_set_vgpr_msb 4                        ;  msbs: dst=0 src0=0 src1=1 src2=0
	v_mul_i32_i24_e32 v60, v64, v50 /*v306*/
	s_set_vgpr_msb 0x55                     ;  msbs: dst=1 src0=1 src1=1 src2=1
	v_add3_u32 v164 /*v420*/, v164 /*v420*/, v167 /*v423*/, v173 /*v429*/
	v_mul_i32_i24_e32 v173 /*v429*/, v183 /*v439*/, v6 /*v262*/
	s_set_vgpr_msb 4                        ;  msbs: dst=0 src0=0 src1=1 src2=0
	v_mul_i32_i24_e32 v61, v65, v51 /*v307*/
	v_mul_i32_i24_e32 v64, v68, v53 /*v309*/
	s_set_vgpr_msb 0                        ;  msbs: dst=0 src0=0 src1=0 src2=0
	v_add3_u32 v41, v41, v58, v60
	s_set_vgpr_msb 0x55                     ;  msbs: dst=1 src0=1 src1=1 src2=1
	v_add3_u32 v164 /*v420*/, v164 /*v420*/, v176 /*v432*/, v211 /*v467*/
	v_mul_i32_i24_e32 v176 /*v432*/, v184 /*v440*/, v12 /*v268*/
	v_mul_i32_i24_e32 v211 /*v467*/, v186 /*v442*/, v17 /*v273*/
	s_set_vgpr_msb 4                        ;  msbs: dst=0 src0=0 src1=1 src2=0
	v_mul_i32_i24_e32 v65, v69, v54 /*v310*/
	s_set_vgpr_msb 0                        ;  msbs: dst=0 src0=0 src1=0 src2=0
	v_add3_u32 v41, v41, v61, v62
	s_set_vgpr_msb 0x55                     ;  msbs: dst=1 src0=1 src1=1 src2=1
	v_add3_u32 v164 /*v420*/, v164 /*v420*/, v212 /*v468*/, v213 /*v469*/
	v_mul_i32_i24_e32 v212 /*v468*/, v187 /*v443*/, v10 /*v266*/
	v_mul_i32_i24_e32 v213 /*v469*/, v171 /*v427*/, v19 /*v275*/
	s_set_vgpr_msb 4                        ;  msbs: dst=0 src0=0 src1=1 src2=0
	;; [unrolled: 8-line block ×3, first 2 shown]
	v_mul_i32_i24_e32 v69, v91, v57 /*v313*/
	v_mul_i32_i24_e32 v70, v93, v58 /*v314*/
	s_set_vgpr_msb 0x55                     ;  msbs: dst=1 src0=1 src1=1 src2=1
	v_add3_u32 v164 /*v420*/, v164 /*v420*/, v216 /*v472*/, v217 /*v473*/
	v_mul_i32_i24_e32 v216 /*v472*/, v190 /*v446*/, v18 /*v274*/
	v_mul_i32_i24_e32 v217 /*v473*/, v191 /*v447*/, v23 /*v279*/
	s_set_vgpr_msb 0                        ;  msbs: dst=0 src0=0 src1=0 src2=0
	v_add3_u32 v41, v41, v66, v68
	s_set_vgpr_msb 4                        ;  msbs: dst=0 src0=0 src1=1 src2=0
	v_mul_i32_i24_e32 v72, v148, v59 /*v315*/
	s_set_vgpr_msb 0x55                     ;  msbs: dst=1 src0=1 src1=1 src2=1
	v_add3_u32 v164 /*v420*/, v164 /*v420*/, v218 /*v474*/, v219 /*v475*/
	v_mul_i32_i24_e32 v218 /*v474*/, v192 /*v448*/, v24 /*v280*/
	v_mul_i32_i24_e32 v219 /*v475*/, v193 /*v449*/, v25 /*v281*/
	s_set_vgpr_msb 4                        ;  msbs: dst=0 src0=0 src1=1 src2=0
	v_mul_i32_i24_e32 v91, v149, v60 /*v316*/
	s_set_vgpr_msb 0                        ;  msbs: dst=0 src0=0 src1=0 src2=0
	v_add3_u32 v41, v41, v69, v70
	s_set_vgpr_msb 0x55                     ;  msbs: dst=1 src0=1 src1=1 src2=1
	v_add3_u32 v164 /*v420*/, v164 /*v420*/, v220 /*v476*/, v221 /*v477*/
	v_mul_i32_i24_e32 v220 /*v476*/, v194 /*v450*/, v22 /*v278*/
	v_mul_i32_i24_e32 v221 /*v477*/, v195 /*v451*/, v26 /*v282*/
	s_set_vgpr_msb 4                        ;  msbs: dst=0 src0=0 src1=1 src2=0
	v_mul_i32_i24_e32 v93, v150, v61 /*v317*/
	v_mul_i32_i24_e32 v148, v151, v62 /*v318*/
	s_set_vgpr_msb 0x55                     ;  msbs: dst=1 src0=1 src1=1 src2=1
	v_add3_u32 v164 /*v420*/, v164 /*v420*/, v222 /*v478*/, v223 /*v479*/
	v_mul_i32_i24_e32 v222 /*v478*/, v196 /*v452*/, v27 /*v283*/
	v_mul_i32_i24_e32 v223 /*v479*/, v197 /*v453*/, v28 /*v284*/
	s_set_vgpr_msb 0                        ;  msbs: dst=0 src0=0 src1=0 src2=0
	v_add3_u32 v41, v41, v72, v91
	s_set_vgpr_msb 4                        ;  msbs: dst=0 src0=0 src1=1 src2=0
	v_mul_i32_i24_e32 v149, v152, v63 /*v319*/
	s_set_vgpr_msb 0x55                     ;  msbs: dst=1 src0=1 src1=1 src2=1
	v_add3_u32 v164 /*v420*/, v164 /*v420*/, v224 /*v480*/, v225 /*v481*/
	v_mul_i32_i24_e32 v224 /*v480*/, v30 /*v286*/, v198 /*v454*/
	v_mul_i32_i24_e32 v225 /*v481*/, v29 /*v285*/, v199 /*v455*/
	s_set_vgpr_msb 4                        ;  msbs: dst=0 src0=0 src1=1 src2=0
	v_mul_i32_i24_e32 v150, v153, v64 /*v320*/
	s_set_vgpr_msb 0                        ;  msbs: dst=0 src0=0 src1=0 src2=0
	v_add3_u32 v41, v41, v93, v148
	s_set_vgpr_msb 0x55                     ;  msbs: dst=1 src0=1 src1=1 src2=1
	v_add3_u32 v164 /*v420*/, v164 /*v420*/, v226 /*v482*/, v227 /*v483*/
	v_mul_i32_i24_e32 v226 /*v482*/, v31 /*v287*/, v200 /*v456*/
	v_mul_i32_i24_e32 v227 /*v483*/, v32 /*v288*/, v201 /*v457*/
	s_set_vgpr_msb 1                        ;  msbs: dst=0 src0=1 src1=0 src2=0
	v_mul_i32_i24_e32 v151, v66 /*v322*/, v154
	v_mul_i32_i24_e32 v152, v65 /*v321*/, v155
	s_set_vgpr_msb 0x55                     ;  msbs: dst=1 src0=1 src1=1 src2=1
	v_add3_u32 v164 /*v420*/, v164 /*v420*/, v228 /*v484*/, v229 /*v485*/
	s_set_vgpr_msb 0                        ;  msbs: dst=0 src0=0 src1=0 src2=0
	v_add3_u32 v41, v41, v149, v150
	s_set_vgpr_msb 0x45                     ;  msbs: dst=1 src0=1 src1=1 src2=0
	v_mul_i32_i24_e32 v228 /*v484*/, v34 /*v290*/, v202 /*v458*/
	v_mul_i32_i24_e32 v229 /*v485*/, v33 /*v289*/, v203 /*v459*/
	s_set_vgpr_msb 1                        ;  msbs: dst=0 src0=1 src1=0 src2=0
	v_mul_i32_i24_e32 v153, v68 /*v324*/, v156
	s_set_vgpr_msb 0x55                     ;  msbs: dst=1 src0=1 src1=1 src2=1
	v_add3_u32 v164 /*v420*/, v164 /*v420*/, v230 /*v486*/, v231 /*v487*/
	s_set_vgpr_msb 1                        ;  msbs: dst=0 src0=1 src1=0 src2=0
	v_mul_i32_i24_e32 v154, v67 /*v323*/, v157
	s_set_vgpr_msb 0                        ;  msbs: dst=0 src0=0 src1=0 src2=0
	v_add3_u32 v41, v41, v151, v152
	s_set_vgpr_msb 0x55                     ;  msbs: dst=1 src0=1 src1=1 src2=1
	v_mul_i32_i24_e32 v230 /*v486*/, v35 /*v291*/, v204 /*v460*/
	v_mul_i32_i24_e32 v231 /*v487*/, v36 /*v292*/, v205 /*v461*/
	v_add3_u32 v167 /*v423*/, v164 /*v420*/, v232 /*v488*/, v233 /*v489*/
	v_mul_i32_i24_e32 v164 /*v420*/, v168 /*v424*/, v9 /*v265*/
	s_set_vgpr_msb 1                        ;  msbs: dst=0 src0=1 src1=0 src2=0
	v_mul_i32_i24_e32 v155, v70 /*v326*/, v158
	v_mul_i32_i24_e32 v156, v69 /*v325*/, v159
	s_set_vgpr_msb 0                        ;  msbs: dst=0 src0=0 src1=0 src2=0
	v_add3_u32 v41, v41, v153, v154
	s_set_vgpr_msb 0x55                     ;  msbs: dst=1 src0=1 src1=1 src2=1
	v_mul_i32_i24_e32 v232 /*v488*/, v38 /*v294*/, v206 /*v462*/
	v_mad_i32_i24 v164 /*v420*/, v182 /*v438*/, v8 /*v264*/, v164 /*v420*/
	v_mul_i32_i24_e32 v233 /*v489*/, v37 /*v293*/, v207 /*v463*/
	s_set_vgpr_msb 1                        ;  msbs: dst=0 src0=1 src1=0 src2=0
	v_mul_i32_i24_e32 v157, v73 /*v329*/, v160
	v_mul_i32_i24_e32 v158, v71 /*v327*/, v161
	s_set_vgpr_msb 0                        ;  msbs: dst=0 src0=0 src1=0 src2=0
	v_add3_u32 v41, v41, v155, v156
	s_set_vgpr_msb 0x55                     ;  msbs: dst=1 src0=1 src1=1 src2=1
	v_add3_u32 v164 /*v420*/, v164 /*v420*/, v173 /*v429*/, v176 /*v432*/
	v_mul_i32_i24_e32 v176 /*v432*/, v185 /*v441*/, v15 /*v271*/
	s_set_vgpr_msb 4                        ;  msbs: dst=0 src0=0 src1=1 src2=0
	v_mul_i32_i24_e32 v159, v162, v77 /*v333*/
	v_mul_i32_i24_e32 v160, v163, v79 /*v335*/
	s_set_vgpr_msb 0                        ;  msbs: dst=0 src0=0 src1=0 src2=0
	v_add3_u32 v41, v41, v157, v158
	s_set_vgpr_msb 5                        ;  msbs: dst=0 src0=1 src1=1 src2=0
	v_mul_i32_i24_e32 v58, v183 /*v439*/, v72 /*v328*/
	s_set_vgpr_msb 0x55                     ;  msbs: dst=1 src0=1 src1=1 src2=1
	v_add3_u32 v164 /*v420*/, v164 /*v420*/, v176 /*v432*/, v211 /*v467*/
	s_set_vgpr_msb 5                        ;  msbs: dst=0 src0=1 src1=1 src2=0
	v_mul_i32_i24_e32 v60, v184 /*v440*/, v78 /*v334*/
	v_mul_i32_i24_e32 v61, v187 /*v443*/, v76 /*v332*/
	v_mul_i32_i24_e32 v62, v171 /*v427*/, v85 /*v341*/
	v_mul_i32_i24_e32 v64, v188 /*v444*/, v86 /*v342*/
	s_set_vgpr_msb 0x55                     ;  msbs: dst=1 src0=1 src1=1 src2=1
	v_add3_u32 v164 /*v420*/, v164 /*v420*/, v212 /*v468*/, v213 /*v469*/
	s_set_vgpr_msb 5                        ;  msbs: dst=0 src0=1 src1=1 src2=0
	v_mul_i32_i24_e32 v65, v189 /*v445*/, v87 /*v343*/
	v_mul_i32_i24_e32 v66, v190 /*v446*/, v84 /*v340*/
	v_mul_i32_i24_e32 v68, v191 /*v447*/, v89 /*v345*/
	;; [unrolled: 7-line block ×6, first 2 shown]
	s_set_vgpr_msb 0x55                     ;  msbs: dst=1 src0=1 src1=1 src2=1
	v_mul_i32_i24_e32 v173 /*v429*/, v210 /*v466*/, v41 /*v297*/
	v_add3_u32 v164 /*v420*/, v164 /*v420*/, v222 /*v478*/, v223 /*v479*/
	v_mul_i32_i24_e32 v165 /*v421*/, v162 /*v418*/, v14 /*v270*/
	v_mul_i32_i24_e32 v166 /*v422*/, v163 /*v419*/, v16 /*v272*/
	;; [unrolled: 1-line block ×4, first 2 shown]
	v_add3_u32 v164 /*v420*/, v164 /*v420*/, v224 /*v480*/, v225 /*v481*/
	s_delay_alu instid0(VALU_DEP_4) | instskip(NEXT) | instid1(VALU_DEP_2)
	v_add3_u32 v165 /*v421*/, v167 /*v423*/, v165 /*v421*/, v166 /*v422*/
	v_add3_u32 v164 /*v420*/, v164 /*v420*/, v226 /*v482*/, v227 /*v483*/
	s_set_vgpr_msb 0x41                     ;  msbs: dst=1 src0=1 src1=0 src2=0
	s_delay_alu instid0(VALU_DEP_2) | instskip(SKIP_1) | instid1(VALU_DEP_2)
	v_mul_lo_u32 v165 /*v421*/, v165 /*v421*/, v205
	s_set_vgpr_msb 0x55                     ;  msbs: dst=1 src0=1 src1=1 src2=1
	v_add3_u32 v164 /*v420*/, v164 /*v420*/, v228 /*v484*/, v229 /*v485*/
	s_delay_alu instid0(VALU_DEP_1) | instskip(NEXT) | instid1(VALU_DEP_3)
	v_add3_u32 v164 /*v420*/, v164 /*v420*/, v230 /*v486*/, v231 /*v487*/
	v_cvt_f32_i32_e32 v166 /*v422*/, v165 /*v421*/
	s_delay_alu instid0(VALU_DEP_2) | instskip(NEXT) | instid1(VALU_DEP_1)
	v_add3_u32 v164 /*v420*/, v164 /*v420*/, v232 /*v488*/, v233 /*v489*/
	v_add3_u32 v176 /*v432*/, v164 /*v420*/, v234 /*v490*/, v235 /*v491*/
	s_set_vgpr_msb 64                       ;  msbs: dst=1 src0=0 src1=0 src2=0
	v_add3_u32 v164 /*v420*/, v41, v159, v160
	s_set_vgpr_msb 5                        ;  msbs: dst=0 src0=1 src1=1 src2=0
	v_mul_i32_i24_e32 v41, v168 /*v424*/, v75 /*v331*/
	v_mul_i32_i24_e32 v159, v208 /*v464*/, v105 /*v361*/
	v_mul_i32_i24_e32 v160, v209 /*v465*/, v106 /*v362*/
	s_set_vgpr_msb 0x45                     ;  msbs: dst=1 src0=1 src1=1 src2=0
	v_mul_i32_i24_e32 v168 /*v424*/, v210 /*v466*/, v107 /*v363*/
	s_set_vgpr_msb 5                        ;  msbs: dst=0 src0=1 src1=1 src2=0
	v_mad_i32_i24 v41, v182 /*v438*/, v74 /*v330*/, v41
	s_set_vgpr_msb 0                        ;  msbs: dst=0 src0=0 src1=0 src2=0
	s_delay_alu instid0(VALU_DEP_1) | instskip(SKIP_4) | instid1(VALU_DEP_1)
	v_add3_u32 v41, v41, v58, v60
	s_set_vgpr_msb 5                        ;  msbs: dst=0 src0=1 src1=1 src2=0
	v_mul_i32_i24_e32 v58, v185 /*v441*/, v81 /*v337*/
	v_mul_i32_i24_e32 v60, v186 /*v442*/, v83 /*v339*/
	s_set_vgpr_msb 0                        ;  msbs: dst=0 src0=0 src1=0 src2=0
	v_add3_u32 v41, v41, v58, v60
	s_delay_alu instid0(VALU_DEP_1) | instskip(NEXT) | instid1(VALU_DEP_1)
	v_add3_u32 v41, v41, v61, v62
	v_add3_u32 v41, v41, v64, v65
	s_delay_alu instid0(VALU_DEP_1) | instskip(NEXT) | instid1(VALU_DEP_1)
	v_add3_u32 v41, v41, v66, v68
	;; [unrolled: 3-line block ×5, first 2 shown]
	v_add3_u32 v41, v41, v155, v156
	s_delay_alu instid0(VALU_DEP_1) | instskip(SKIP_1) | instid1(VALU_DEP_1)
	v_add3_u32 v41, v41, v157, v158
	s_set_vgpr_msb 64                       ;  msbs: dst=1 src0=0 src1=0 src2=0
	v_add3_u32 v171 /*v427*/, v41, v159, v160
	s_set_vgpr_msb 0                        ;  msbs: dst=0 src0=0 src1=0 src2=0
	v_or_b32_e32 v41, s8, v141
	s_delay_alu instid0(VALU_DEP_1)
	v_lshlrev_b32_e32 v58, 2, v41
	s_set_vgpr_msb 64                       ;  msbs: dst=1 src0=0 src1=0 src2=0
	ds_load_b128 v[182:185] /*v[438:441]*/, v58 offset:16896
	ds_load_b128 v[186:189] /*v[442:445]*/, v58 offset:16912
	;; [unrolled: 1-line block ×4, first 2 shown]
	s_set_vgpr_msb 1                        ;  msbs: dst=0 src0=1 src1=0 src2=0
	v_lshrrev_b32_e32 v41, 1, v41
	s_wait_dscnt 0x3
	v_bfe_i32 v58, v182 /*v438*/, 0, 8
	v_bfe_i32 v60, v182 /*v438*/, 8, 8
	;; [unrolled: 1-line block ×3, first 2 shown]
	s_set_vgpr_msb 4                        ;  msbs: dst=0 src0=0 src1=1 src2=0
	v_ashrrev_i32_e32 v62, 24, v182 /*v438*/
	s_set_vgpr_msb 1                        ;  msbs: dst=0 src0=1 src1=0 src2=0
	v_bfe_i32 v64, v183 /*v439*/, 0, 8
	s_set_vgpr_msb 64                       ;  msbs: dst=1 src0=0 src1=0 src2=0
	v_mul_i32_i24_e32 v182 /*v438*/, v58, v121
	s_set_vgpr_msb 1                        ;  msbs: dst=0 src0=1 src1=0 src2=0
	v_bfe_i32 v65, v183 /*v439*/, 8, 8
	v_bfe_i32 v66, v183 /*v439*/, 16, 8
	s_set_vgpr_msb 4                        ;  msbs: dst=0 src0=0 src1=1 src2=0
	v_dual_ashrrev_i32 v68, 24, v183 /*v439*/ :: v_dual_ashrrev_i32 v91, 24, v184 /*v440*/
	s_set_vgpr_msb 1                        ;  msbs: dst=0 src0=1 src1=0 src2=0
	v_bfe_i32 v69, v184 /*v440*/, 0, 8
	v_bfe_i32 v70, v184 /*v440*/, 8, 8
	;; [unrolled: 1-line block ×3, first 2 shown]
	s_set_vgpr_msb 0x44                     ;  msbs: dst=1 src0=0 src1=1 src2=0
	v_mul_i32_i24_e32 v183 /*v439*/, v61, v108 /*v364*/
	v_mul_i32_i24_e32 v184 /*v440*/, v62, v109 /*v365*/
	s_set_vgpr_msb 0x50                     ;  msbs: dst=1 src0=0 src1=0 src2=1
	v_mad_i32_i24 v182 /*v438*/, v60, v120, v182 /*v438*/
	s_set_vgpr_msb 1                        ;  msbs: dst=0 src0=1 src1=0 src2=0
	v_bfe_i32 v93, v185 /*v441*/, 0, 8
	v_bfe_i32 v148, v185 /*v441*/, 8, 8
	;; [unrolled: 1-line block ×3, first 2 shown]
	s_wait_dscnt 0x2
	s_set_vgpr_msb 4                        ;  msbs: dst=0 src0=0 src1=1 src2=0
	v_dual_ashrrev_i32 v150, 24, v185 /*v441*/ :: v_dual_ashrrev_i32 v154, 24, v186 /*v442*/
	s_set_vgpr_msb 0x55                     ;  msbs: dst=1 src0=1 src1=1 src2=1
	v_add3_u32 v182 /*v438*/, v182 /*v438*/, v183 /*v439*/, v184 /*v440*/
	s_set_vgpr_msb 0x44                     ;  msbs: dst=1 src0=0 src1=1 src2=0
	v_mul_i32_i24_e32 v183 /*v439*/, v64, v110 /*v366*/
	v_mul_i32_i24_e32 v184 /*v440*/, v65, v111 /*v367*/
	s_set_vgpr_msb 1                        ;  msbs: dst=0 src0=1 src1=0 src2=0
	v_bfe_i32 v151, v186 /*v442*/, 0, 8
	v_bfe_i32 v152, v186 /*v442*/, 8, 8
	;; [unrolled: 1-line block ×3, first 2 shown]
	s_set_vgpr_msb 0x44                     ;  msbs: dst=1 src0=0 src1=1 src2=0
	v_mul_i32_i24_e32 v185 /*v441*/, v66, v112 /*v368*/
	v_mul_i32_i24_e32 v186 /*v442*/, v68, v113 /*v369*/
	s_set_vgpr_msb 0x55                     ;  msbs: dst=1 src0=1 src1=1 src2=1
	v_add3_u32 v182 /*v438*/, v182 /*v438*/, v183 /*v439*/, v184 /*v440*/
	s_set_vgpr_msb 1                        ;  msbs: dst=0 src0=1 src1=0 src2=0
	v_bfe_i32 v155, v187 /*v443*/, 0, 8
	v_bfe_i32 v156, v187 /*v443*/, 8, 8
	v_bfe_i32 v157, v187 /*v443*/, 16, 8
	s_set_vgpr_msb 4                        ;  msbs: dst=0 src0=0 src1=1 src2=0
	v_dual_ashrrev_i32 v158, 24, v187 /*v443*/ :: v_dual_ashrrev_i32 v162, 24, v188 /*v444*/
	s_set_vgpr_msb 1                        ;  msbs: dst=0 src0=1 src1=0 src2=0
	v_bfe_i32 v159, v188 /*v444*/, 0, 8
	v_bfe_i32 v160, v188 /*v444*/, 8, 8
	;; [unrolled: 1-line block ×3, first 2 shown]
	s_set_vgpr_msb 0x44                     ;  msbs: dst=1 src0=0 src1=1 src2=0
	v_mul_i32_i24_e32 v187 /*v443*/, v69, v114 /*v370*/
	v_mul_i32_i24_e32 v188 /*v444*/, v70, v115 /*v371*/
	s_set_vgpr_msb 0x55                     ;  msbs: dst=1 src0=1 src1=1 src2=1
	v_add3_u32 v182 /*v438*/, v182 /*v438*/, v185 /*v441*/, v186 /*v442*/
	s_set_vgpr_msb 1                        ;  msbs: dst=0 src0=1 src1=0 src2=0
	v_bfe_i32 v163, v189 /*v445*/, 0, 8
	s_set_vgpr_msb 0x41                     ;  msbs: dst=1 src0=1 src1=0 src2=0
	v_bfe_i32 v198 /*v454*/, v189 /*v445*/, 8, 8
	v_bfe_i32 v199 /*v455*/, v189 /*v445*/, 16, 8
	s_set_vgpr_msb 0x44                     ;  msbs: dst=1 src0=0 src1=1 src2=0
	v_ashrrev_i32_e32 v200 /*v456*/, 24, v189 /*v445*/
	s_wait_dscnt 0x1
	s_set_vgpr_msb 0x41                     ;  msbs: dst=1 src0=1 src1=0 src2=0
	v_bfe_i32 v201 /*v457*/, v190 /*v446*/, 0, 8
	v_bfe_i32 v202 /*v458*/, v190 /*v446*/, 8, 8
	;; [unrolled: 1-line block ×3, first 2 shown]
	s_set_vgpr_msb 0x44                     ;  msbs: dst=1 src0=0 src1=1 src2=0
	v_dual_ashrrev_i32 v204 /*v460*/, 24, v190 /*v446*/ :: v_dual_ashrrev_i32 v208 /*v464*/, 24, v191 /*v447*/
	v_mul_i32_i24_e32 v189 /*v445*/, v72, v116 /*v372*/
	v_mul_i32_i24_e32 v190 /*v446*/, v91, v117 /*v373*/
	s_set_vgpr_msb 0x55                     ;  msbs: dst=1 src0=1 src1=1 src2=1
	v_add3_u32 v182 /*v438*/, v182 /*v438*/, v187 /*v443*/, v188 /*v444*/
	v_bfe_i32 v205 /*v461*/, v191 /*v447*/, 0, 8
	v_bfe_i32 v206 /*v462*/, v191 /*v447*/, 8, 8
	;; [unrolled: 1-line block ×3, first 2 shown]
	s_set_vgpr_msb 0x44                     ;  msbs: dst=1 src0=0 src1=1 src2=0
	v_mul_i32_i24_e32 v191 /*v447*/, v93, v118 /*v374*/
	v_mul_i32_i24_e32 v227 /*v483*/, v148, v119 /*v375*/
	s_set_vgpr_msb 0x55                     ;  msbs: dst=1 src0=1 src1=1 src2=1
	v_add3_u32 v182 /*v438*/, v182 /*v438*/, v189 /*v445*/, v190 /*v446*/
	s_set_vgpr_msb 0x44                     ;  msbs: dst=1 src0=0 src1=1 src2=0
	v_mul_i32_i24_e32 v228 /*v484*/, v149, v120 /*v376*/
	v_mul_i32_i24_e32 v229 /*v485*/, v150, v121 /*v377*/
	;; [unrolled: 1-line block ×4, first 2 shown]
	s_set_vgpr_msb 0x55                     ;  msbs: dst=1 src0=1 src1=1 src2=1
	v_add3_u32 v182 /*v438*/, v182 /*v438*/, v191 /*v447*/, v227 /*v483*/
	s_set_vgpr_msb 0x44                     ;  msbs: dst=1 src0=0 src1=1 src2=0
	v_mul_i32_i24_e32 v232 /*v488*/, v153, v124 /*v380*/
	v_mul_i32_i24_e32 v233 /*v489*/, v154, v125 /*v381*/
	s_set_vgpr_msb 0x41                     ;  msbs: dst=1 src0=1 src1=0 src2=0
	v_mul_i32_i24_e32 v234 /*v490*/, v127 /*v383*/, v155
	v_mul_i32_i24_e32 v235 /*v491*/, v126 /*v382*/, v156
	s_set_vgpr_msb 0x55                     ;  msbs: dst=1 src0=1 src1=1 src2=1
	v_add3_u32 v182 /*v438*/, v182 /*v438*/, v228 /*v484*/, v229 /*v485*/
	s_set_vgpr_msb 0x41                     ;  msbs: dst=1 src0=1 src1=0 src2=0
	v_mul_i32_i24_e32 v236 /*v492*/, v129 /*v385*/, v157
	v_mul_i32_i24_e32 v237 /*v493*/, v128 /*v384*/, v158
	;; [unrolled: 1-line block ×4, first 2 shown]
	s_set_vgpr_msb 0x55                     ;  msbs: dst=1 src0=1 src1=1 src2=1
	v_add3_u32 v182 /*v438*/, v182 /*v438*/, v230 /*v486*/, v231 /*v487*/
	s_set_vgpr_msb 0x41                     ;  msbs: dst=1 src0=1 src1=0 src2=0
	v_mul_i32_i24_e32 v240 /*v496*/, v141 /*v397*/, v161
	v_mul_i32_i24_e32 v241 /*v497*/, v138 /*v394*/, v162
	s_set_vgpr_msb 0x44                     ;  msbs: dst=1 src0=0 src1=1 src2=0
	v_mul_i32_i24_e32 v242 /*v498*/, v163, v144 /*v400*/
	s_set_vgpr_msb 0x55                     ;  msbs: dst=1 src0=1 src1=1 src2=1
	v_mul_i32_i24_e32 v243 /*v499*/, v198 /*v454*/, v145 /*v401*/
	v_add3_u32 v182 /*v438*/, v182 /*v438*/, v232 /*v488*/, v233 /*v489*/
	v_mul_i32_i24_e32 v183 /*v439*/, v148 /*v404*/, v203 /*v459*/
	v_mul_i32_i24_e32 v184 /*v440*/, v139 /*v395*/, v204 /*v460*/
	v_bfe_i32 v209 /*v465*/, v192 /*v448*/, 0, 8
	v_bfe_i32 v210 /*v466*/, v192 /*v448*/, 8, 8
	v_add3_u32 v182 /*v438*/, v182 /*v438*/, v234 /*v490*/, v235 /*v491*/
	v_mul_i32_i24_e32 v185 /*v441*/, v149 /*v405*/, v207 /*v463*/
	v_mul_i32_i24_e32 v186 /*v442*/, v131 /*v387*/, v208 /*v464*/
	v_bfe_i32 v211 /*v467*/, v192 /*v448*/, 16, 8
	v_ashrrev_i32_e32 v192 /*v448*/, 24, v192 /*v448*/
	v_add3_u32 v182 /*v438*/, v182 /*v438*/, v236 /*v492*/, v237 /*v493*/
	s_set_vgpr_msb 0x44                     ;  msbs: dst=1 src0=0 src1=1 src2=0
	v_mul_i32_i24_e32 v187 /*v443*/, v116, v209 /*v465*/
	s_set_vgpr_msb 0x55                     ;  msbs: dst=1 src0=1 src1=1 src2=1
	v_mul_i32_i24_e32 v188 /*v444*/, v152 /*v408*/, v210 /*v466*/
	v_bfe_i32 v212 /*v468*/, v193 /*v449*/, 0, 8
	v_bfe_i32 v213 /*v469*/, v193 /*v449*/, 8, 8
	v_add3_u32 v182 /*v438*/, v182 /*v438*/, v238 /*v494*/, v239 /*v495*/
	v_bfe_i32 v214 /*v470*/, v193 /*v449*/, 16, 8
	v_ashrrev_i32_e32 v193 /*v449*/, 24, v193 /*v449*/
	v_mul_i32_i24_e32 v189 /*v445*/, v151 /*v407*/, v211 /*v467*/
	v_mul_i32_i24_e32 v190 /*v446*/, v132 /*v388*/, v192 /*v448*/
	v_add3_u32 v182 /*v438*/, v182 /*v438*/, v240 /*v496*/, v241 /*v497*/
	s_set_vgpr_msb 0x44                     ;  msbs: dst=1 src0=0 src1=1 src2=0
	v_mul_i32_i24_e32 v191 /*v447*/, v117, v212 /*v468*/
	s_set_vgpr_msb 0x55                     ;  msbs: dst=1 src0=1 src1=1 src2=1
	v_mul_i32_i24_e32 v228 /*v484*/, v154 /*v410*/, v213 /*v469*/
	s_wait_dscnt 0x0
	v_bfe_i32 v215 /*v471*/, v194 /*v450*/, 0, 8
	v_bfe_i32 v216 /*v472*/, v194 /*v450*/, 8, 8
	v_add3_u32 v227 /*v483*/, v182 /*v438*/, v242 /*v498*/, v243 /*v499*/
	s_set_vgpr_msb 0x44                     ;  msbs: dst=1 src0=0 src1=1 src2=0
	v_mul_i32_i24_e32 v182 /*v438*/, v118, v201 /*v457*/
	s_set_vgpr_msb 0x45                     ;  msbs: dst=1 src0=1 src1=1 src2=0
	v_mul_i32_i24_e32 v229 /*v485*/, v153 /*v409*/, v214 /*v470*/
	v_mul_i32_i24_e32 v230 /*v486*/, v133 /*v389*/, v193 /*v449*/
	v_bfe_i32 v217 /*v473*/, v194 /*v450*/, 16, 8
	v_ashrrev_i32_e32 v194 /*v450*/, 24, v194 /*v450*/
	s_set_vgpr_msb 0x54                     ;  msbs: dst=1 src0=0 src1=1 src2=1
	v_mad_i32_i24 v182 /*v438*/, v115, v202 /*v458*/, v182 /*v438*/
	v_mul_i32_i24_e32 v231 /*v487*/, v112, v215 /*v471*/
	s_set_vgpr_msb 0x55                     ;  msbs: dst=1 src0=1 src1=1 src2=1
	v_mul_i32_i24_e32 v232 /*v488*/, v156 /*v412*/, v216 /*v472*/
	v_bfe_i32 v218 /*v474*/, v195 /*v451*/, 0, 8
	v_bfe_i32 v219 /*v475*/, v195 /*v451*/, 8, 8
	v_add3_u32 v182 /*v438*/, v182 /*v438*/, v183 /*v439*/, v184 /*v440*/
	s_set_vgpr_msb 0x44                     ;  msbs: dst=1 src0=0 src1=1 src2=0
	v_mul_i32_i24_e32 v183 /*v439*/, v119, v205 /*v461*/
	s_set_vgpr_msb 0x55                     ;  msbs: dst=1 src0=1 src1=1 src2=1
	v_mul_i32_i24_e32 v184 /*v440*/, v150 /*v406*/, v206 /*v462*/
	v_bfe_i32 v220 /*v476*/, v195 /*v451*/, 16, 8
	v_ashrrev_i32_e32 v195 /*v451*/, 24, v195 /*v451*/
	v_mul_i32_i24_e32 v233 /*v489*/, v155 /*v411*/, v217 /*v473*/
	v_mul_i32_i24_e32 v234 /*v490*/, v134 /*v390*/, v194 /*v450*/
	v_add3_u32 v182 /*v438*/, v182 /*v438*/, v183 /*v439*/, v184 /*v440*/
	s_set_vgpr_msb 0x44                     ;  msbs: dst=1 src0=0 src1=1 src2=0
	v_mul_i32_i24_e32 v235 /*v491*/, v113, v218 /*v474*/
	s_set_vgpr_msb 0x55                     ;  msbs: dst=1 src0=1 src1=1 src2=1
	v_mul_i32_i24_e32 v236 /*v492*/, v158 /*v414*/, v219 /*v475*/
	v_bfe_i32 v221 /*v477*/, v196 /*v452*/, 0, 8
	v_bfe_i32 v222 /*v478*/, v196 /*v452*/, 8, 8
	v_add3_u32 v182 /*v438*/, v182 /*v438*/, v185 /*v441*/, v186 /*v442*/
	v_mul_i32_i24_e32 v237 /*v493*/, v157 /*v413*/, v220 /*v476*/
	v_mul_i32_i24_e32 v238 /*v494*/, v135 /*v391*/, v195 /*v451*/
	v_bfe_i32 v223 /*v479*/, v196 /*v452*/, 16, 8
	v_ashrrev_i32_e32 v196 /*v452*/, 24, v196 /*v452*/
	v_add3_u32 v182 /*v438*/, v182 /*v438*/, v187 /*v443*/, v188 /*v444*/
	s_set_vgpr_msb 0x44                     ;  msbs: dst=1 src0=0 src1=1 src2=0
	v_mul_i32_i24_e32 v239 /*v495*/, v114, v221 /*v477*/
	s_set_vgpr_msb 0x55                     ;  msbs: dst=1 src0=1 src1=1 src2=1
	v_mul_i32_i24_e32 v240 /*v496*/, v160 /*v416*/, v222 /*v478*/
	v_bfe_i32 v224 /*v480*/, v197 /*v453*/, 0, 8
	v_bfe_i32 v225 /*v481*/, v197 /*v453*/, 8, 8
	v_add3_u32 v182 /*v438*/, v182 /*v438*/, v189 /*v445*/, v190 /*v446*/
	v_bfe_i32 v226 /*v482*/, v197 /*v453*/, 16, 8
	v_ashrrev_i32_e32 v197 /*v453*/, 24, v197 /*v453*/
	v_mul_i32_i24_e32 v241 /*v497*/, v159 /*v415*/, v223 /*v479*/
	v_mul_i32_i24_e32 v242 /*v498*/, v136 /*v392*/, v196 /*v452*/
	v_add3_u32 v182 /*v438*/, v182 /*v438*/, v191 /*v447*/, v228 /*v484*/
	v_mul_i32_i24_e32 v243 /*v499*/, v224 /*v480*/, v140 /*v396*/
	v_mul_i32_i24_e32 v246 /*v502*/, v225 /*v481*/, v142 /*v398*/
	s_set_vgpr_msb 64                       ;  msbs: dst=1 src0=0 src1=0 src2=0
	ds_load_b64 v[184:185] /*v[440:441]*/, v41 offset:27200
	s_set_vgpr_msb 0x55                     ;  msbs: dst=1 src0=1 src1=1 src2=1
	v_mul_i32_i24_e32 v244 /*v500*/, v199 /*v455*/, v146 /*v402*/
	v_add3_u32 v182 /*v438*/, v182 /*v438*/, v229 /*v485*/, v230 /*v486*/
	v_mul_i32_i24_e32 v245 /*v501*/, v200 /*v456*/, v147 /*v403*/
	v_mul_i32_i24_e32 v247 /*v503*/, v226 /*v482*/, v143 /*v399*/
	s_set_vgpr_msb 64                       ;  msbs: dst=1 src0=0 src1=0 src2=0
	v_mul_i32_i24_e32 v229 /*v485*/, v149, v185
	v_mul_i32_i24_e32 v230 /*v486*/, v150, v186
	s_set_vgpr_msb 0x55                     ;  msbs: dst=1 src0=1 src1=1 src2=1
	v_add3_u32 v182 /*v438*/, v182 /*v438*/, v231 /*v487*/, v232 /*v488*/
	s_set_vgpr_msb 64                       ;  msbs: dst=1 src0=0 src1=0 src2=0
	v_mul_i32_i24_e32 v231 /*v487*/, v151, v187
	v_mul_i32_i24_e32 v232 /*v488*/, v152, v188
	s_set_vgpr_msb 0x41                     ;  msbs: dst=1 src0=1 src1=0 src2=0
	v_mul_i32_i24_e32 v248 /*v504*/, v226 /*v482*/, v246
	s_set_vgpr_msb 64                       ;  msbs: dst=1 src0=0 src1=0 src2=0
	v_mul_i32_i24_e32 v170 /*v426*/, v66, v230
	s_set_vgpr_msb 0x55                     ;  msbs: dst=1 src0=1 src1=1 src2=1
	v_add3_u32 v182 /*v438*/, v182 /*v438*/, v233 /*v489*/, v234 /*v490*/
	s_set_vgpr_msb 64                       ;  msbs: dst=1 src0=0 src1=0 src2=0
	v_mul_i32_i24_e32 v233 /*v489*/, v153, v189
	v_mul_i32_i24_e32 v234 /*v490*/, v154, v190
	;; [unrolled: 1-line block ×3, first 2 shown]
	s_set_vgpr_msb 0x41                     ;  msbs: dst=1 src0=1 src1=0 src2=0
	v_mul_i32_i24_e32 v165 /*v421*/, v197 /*v453*/, v109
	s_set_vgpr_msb 0x55                     ;  msbs: dst=1 src0=1 src1=1 src2=1
	v_add3_u32 v182 /*v438*/, v182 /*v438*/, v235 /*v491*/, v236 /*v492*/
	s_set_vgpr_msb 64                       ;  msbs: dst=1 src0=0 src1=0 src2=0
	v_mul_i32_i24_e32 v235 /*v491*/, v192, v155
	v_mul_i32_i24_e32 v236 /*v492*/, v191, v156
	s_wait_dscnt 0x0
	s_set_vgpr_msb 4                        ;  msbs: dst=0 src0=0 src1=1 src2=0
	v_lshrrev_b32_e32 v41, 16, v184 /*v440*/
	s_set_vgpr_msb 0x55                     ;  msbs: dst=1 src0=1 src1=1 src2=1
	v_cvt_f32_f16_e64 v187 /*v443*/, v184 /*v440*/
	v_add3_u32 v182 /*v438*/, v182 /*v438*/, v237 /*v493*/, v238 /*v494*/
	v_cvt_f32_f16_e64 v191 /*v447*/, v185 /*v441*/
	s_set_vgpr_msb 64                       ;  msbs: dst=1 src0=0 src1=0 src2=0
	v_mul_i32_i24_e32 v237 /*v493*/, v194, v157
	v_cvt_f32_f16_e64 v189 /*v445*/, v41
	v_mul_i32_i24_e32 v238 /*v494*/, v193, v158
	s_set_vgpr_msb 0x55                     ;  msbs: dst=1 src0=1 src1=1 src2=1
	v_add3_u32 v182 /*v438*/, v182 /*v438*/, v239 /*v495*/, v240 /*v496*/
	s_set_vgpr_msb 64                       ;  msbs: dst=1 src0=0 src1=0 src2=0
	v_mul_i32_i24_e32 v239 /*v495*/, v196, v159
	v_mul_i32_i24_e32 v240 /*v496*/, v195, v160
	s_set_vgpr_msb 0x55                     ;  msbs: dst=1 src0=1 src1=1 src2=1
	v_add3_u32 v182 /*v438*/, v182 /*v438*/, v241 /*v497*/, v242 /*v498*/
	s_set_vgpr_msb 64                       ;  msbs: dst=1 src0=0 src1=0 src2=0
	v_mul_i32_i24_e32 v241 /*v497*/, v199, v161
	v_mul_i32_i24_e32 v242 /*v498*/, v197, v162
	s_set_vgpr_msb 0x55                     ;  msbs: dst=1 src0=1 src1=1 src2=1
	v_add3_u32 v228 /*v484*/, v182 /*v438*/, v243 /*v499*/, v246 /*v502*/
	ds_load_b64 v[182:183] /*v[438:439]*/, v161 /*v417*/ offset:27200
	s_set_vgpr_msb 64                       ;  msbs: dst=1 src0=0 src1=0 src2=0
	v_mul_i32_i24_e32 v243 /*v499*/, v163, v203
	s_set_vgpr_msb 0x41                     ;  msbs: dst=1 src0=1 src1=0 src2=0
	v_mul_i32_i24_e32 v246 /*v502*/, v200 /*v456*/, v209
	s_wait_dscnt 0x0
	s_set_vgpr_msb 0x44                     ;  msbs: dst=1 src0=0 src1=1 src2=0
	v_lshrrev_b32_e32 v161 /*v417*/, 16, v182 /*v438*/
	s_set_vgpr_msb 4                        ;  msbs: dst=0 src0=0 src1=1 src2=0
	v_lshrrev_b32_e32 v41, 16, v183 /*v439*/
	s_set_vgpr_msb 0x41                     ;  msbs: dst=1 src0=1 src1=0 src2=0
	v_cvt_f32_f16_e64 v186 /*v442*/, v182 /*v438*/
	v_cvt_f32_f16_e64 v190 /*v446*/, v183 /*v439*/
	v_cvt_f32_f16_e64 v188 /*v444*/, v161 /*v417*/
	s_set_vgpr_msb 0x44                     ;  msbs: dst=1 src0=0 src1=1 src2=0
	v_lshrrev_b32_e32 v161 /*v417*/, 16, v185 /*v441*/
	v_cvt_f32_f16_e64 v182 /*v438*/, v41
	s_set_vgpr_msb 21                       ;  msbs: dst=0 src0=1 src1=1 src2=1
	v_add3_u32 v41, v227 /*v483*/, v244 /*v500*/, v245 /*v501*/
	s_set_vgpr_msb 64                       ;  msbs: dst=1 src0=0 src1=0 src2=0
	v_mul_i32_i24_e32 v227 /*v483*/, v93, v183
	s_set_vgpr_msb 0x44                     ;  msbs: dst=1 src0=0 src1=1 src2=0
	v_pk_fma_f32 v[184:185] /*v[440:441]*/, v[96:97], v[188:189] /*v[444:445]*/, 0 op_sel_hi:[0,1,0]
	s_set_vgpr_msb 0x55                     ;  msbs: dst=1 src0=1 src1=1 src2=1
	v_cvt_f32_f16_e64 v183 /*v439*/, v161 /*v417*/
	v_add3_u32 v161 /*v417*/, v177 /*v433*/, v174 /*v430*/, v175 /*v431*/
	s_set_vgpr_msb 0                        ;  msbs: dst=0 src0=0 src1=0 src2=0
	v_mul_lo_u32 v41, v41, v103
	s_set_vgpr_msb 64                       ;  msbs: dst=1 src0=0 src1=0 src2=0
	v_mul_i32_i24_e32 v177 /*v433*/, v68, v178
	s_set_vgpr_msb 0x41                     ;  msbs: dst=1 src0=1 src1=0 src2=0
	v_mul_i32_i24_e32 v244 /*v500*/, v198 /*v454*/, v206
	v_mul_i32_i24_e32 v245 /*v501*/, v199 /*v455*/, v207
	v_mul_lo_u32 v161 /*v417*/, v161 /*v417*/, v103
	s_set_vgpr_msb 64                       ;  msbs: dst=1 src0=0 src1=0 src2=0
	v_cvt_f32_i32_e32 v175 /*v431*/, v41
	s_set_vgpr_msb 0                        ;  msbs: dst=0 src0=0 src1=0 src2=0
	v_mul_i32_i24_e32 v41, v59, v101
	s_set_vgpr_msb 0x41                     ;  msbs: dst=1 src0=1 src1=0 src2=0
	s_delay_alu instid0(VALU_DEP_3)
	v_cvt_f32_i32_e32 v174 /*v430*/, v161 /*v417*/
	v_mul_i32_i24_e32 v161 /*v417*/, v197 /*v453*/, v101
	s_set_vgpr_msb 5                        ;  msbs: dst=0 src0=1 src1=1 src2=0
	v_add3_u32 v41, v181 /*v437*/, v180 /*v436*/, v41
	s_set_vgpr_msb 0x55                     ;  msbs: dst=1 src0=1 src1=1 src2=1
	v_pk_fma_f32 v[174:175] /*v[430:431]*/, v[186:187] /*v[442:443]*/, v[174:175] /*v[430:431]*/, 0 op_sel_hi:[1,1,0]
	v_add3_u32 v161 /*v417*/, v228 /*v484*/, v247 /*v503*/, v161 /*v417*/
	s_set_vgpr_msb 0                        ;  msbs: dst=0 src0=0 src1=0 src2=0
	v_mul_lo_u32 v41, v41, v99
	s_set_vgpr_msb 64                       ;  msbs: dst=1 src0=0 src1=0 src2=0
	v_mul_i32_i24_e32 v228 /*v484*/, v148, v184
	s_set_vgpr_msb 0x41                     ;  msbs: dst=1 src0=1 src1=0 src2=0
	v_mul_i32_i24_e32 v247 /*v503*/, v225 /*v481*/, v245
	v_mul_lo_u32 v161 /*v417*/, v161 /*v417*/, v99
	s_set_vgpr_msb 64                       ;  msbs: dst=1 src0=0 src1=0 src2=0
	s_delay_alu instid0(VALU_DEP_4) | instskip(SKIP_3) | instid1(VALU_DEP_3)
	v_cvt_f32_i32_e32 v180 /*v436*/, v41
	s_set_vgpr_msb 0                        ;  msbs: dst=0 src0=0 src1=0 src2=0
	v_mul_i32_i24_e32 v41, v58, v126
	s_set_vgpr_msb 0x41                     ;  msbs: dst=1 src0=1 src1=0 src2=0
	v_cvt_f32_i32_e32 v181 /*v437*/, v161 /*v417*/
	s_set_vgpr_msb 64                       ;  msbs: dst=1 src0=0 src1=0 src2=0
	v_mul_i32_i24_e32 v161 /*v417*/, v61, v173
	s_set_vgpr_msb 0                        ;  msbs: dst=0 src0=0 src1=0 src2=0
	v_mad_i32_i24 v41, v60, v124, v41
	s_set_vgpr_msb 0x55                     ;  msbs: dst=1 src0=1 src1=1 src2=1
	v_pk_fma_f32 v[174:175] /*v[430:431]*/, v[190:191] /*v[446:447]*/, v[180:181] /*v[436:437]*/, v[174:175] /*v[430:431]*/
	s_set_vgpr_msb 0x54                     ;  msbs: dst=1 src0=0 src1=1 src2=1
	v_pk_fma_f32 v[180:181] /*v[436:437]*/, v[98:99], v[182:183] /*v[438:439]*/, v[184:185] /*v[440:441]*/ op_sel_hi:[0,1,1]
	s_set_vgpr_msb 64                       ;  msbs: dst=1 src0=0 src1=0 src2=0
	v_mul_i32_i24_e32 v184 /*v440*/, v72, v181
	v_mul_i32_i24_e32 v185 /*v441*/, v91, v182
	s_set_vgpr_msb 0x51                     ;  msbs: dst=1 src0=1 src1=0 src2=1
	v_pk_mul_f32 v[180:181] /*v[436:437]*/, v[180:181] /*v[436:437]*/, v[8:9]
	s_delay_alu instid0(VALU_DEP_1)
	v_pk_fma_f32 v[174:175] /*v[430:431]*/, v[174:175] /*v[430:431]*/, v[0:1], v[180:181] /*v[436:437]*/ neg_lo:[0,0,1] neg_hi:[0,0,1]
	s_set_vgpr_msb 64                       ;  msbs: dst=1 src0=0 src1=0 src2=0
	v_mul_i32_i24_e32 v180 /*v436*/, v69, v179
	v_mul_i32_i24_e32 v181 /*v437*/, v70, v180
	s_set_vgpr_msb 4                        ;  msbs: dst=0 src0=0 src1=1 src2=0
	v_pk_add_f32 v[30:31], v[30:31], v[174:175] /*v[430:431]*/
	s_set_vgpr_msb 64                       ;  msbs: dst=1 src0=0 src1=0 src2=0
	v_mul_i32_i24_e32 v174 /*v430*/, v62, v174
	v_mul_i32_i24_e32 v175 /*v431*/, v66, v177
	s_set_vgpr_msb 20                       ;  msbs: dst=0 src0=0 src1=1 src2=1
	s_delay_alu instid0(VALU_DEP_2) | instskip(SKIP_4) | instid1(VALU_DEP_1)
	v_add3_u32 v41, v41, v161 /*v417*/, v174 /*v430*/
	s_set_vgpr_msb 64                       ;  msbs: dst=1 src0=0 src1=0 src2=0
	v_mul_i32_i24_e32 v161 /*v417*/, v64, v175
	v_mul_i32_i24_e32 v174 /*v430*/, v65, v176
	s_set_vgpr_msb 20                       ;  msbs: dst=0 src0=0 src1=1 src2=1
	v_add3_u32 v41, v41, v161 /*v417*/, v174 /*v430*/
	s_set_vgpr_msb 0x41                     ;  msbs: dst=1 src0=1 src1=0 src2=0
	v_mul_i32_i24_e32 v161 /*v417*/, v201 /*v457*/, v201
	v_mul_i32_i24_e32 v174 /*v430*/, v203 /*v459*/, v198
	s_set_vgpr_msb 20                       ;  msbs: dst=0 src0=0 src1=1 src2=1
	v_add3_u32 v41, v41, v175 /*v431*/, v177 /*v433*/
	s_set_vgpr_msb 0x51                     ;  msbs: dst=1 src0=1 src1=0 src2=1
	v_mul_i32_i24_e32 v175 /*v431*/, v204 /*v460*/, v204
	v_mad_i32_i24 v161 /*v417*/, v202 /*v458*/, v200, v161 /*v417*/
	v_mul_i32_i24_e32 v177 /*v433*/, v207 /*v463*/, v202
	s_set_vgpr_msb 20                       ;  msbs: dst=0 src0=0 src1=1 src2=1
	v_add3_u32 v41, v41, v180 /*v436*/, v181 /*v437*/
	s_set_vgpr_msb 0x41                     ;  msbs: dst=1 src0=1 src1=0 src2=0
	v_mul_i32_i24_e32 v180 /*v436*/, v208 /*v464*/, v212
	s_set_vgpr_msb 0x55                     ;  msbs: dst=1 src0=1 src1=1 src2=1
	v_add3_u32 v161 /*v417*/, v161 /*v417*/, v174 /*v430*/, v175 /*v431*/
	s_set_vgpr_msb 0x41                     ;  msbs: dst=1 src0=1 src1=0 src2=0
	v_mul_i32_i24_e32 v174 /*v430*/, v205 /*v461*/, v208
	v_mul_i32_i24_e32 v175 /*v431*/, v206 /*v462*/, v210
	s_set_vgpr_msb 20                       ;  msbs: dst=0 src0=0 src1=1 src2=1
	v_add3_u32 v41, v41, v184 /*v440*/, v185 /*v441*/
	s_set_vgpr_msb 0x41                     ;  msbs: dst=1 src0=1 src1=0 src2=0
	v_mul_i32_i24_e32 v181 /*v437*/, v209 /*v465*/, v213
	v_mul_i32_i24_e32 v184 /*v440*/, v210 /*v466*/, v214
	;; [unrolled: 1-line block ×3, first 2 shown]
	s_set_vgpr_msb 0x55                     ;  msbs: dst=1 src0=1 src1=1 src2=1
	v_add3_u32 v161 /*v417*/, v161 /*v417*/, v174 /*v430*/, v175 /*v431*/
	s_set_vgpr_msb 20                       ;  msbs: dst=0 src0=0 src1=1 src2=1
	v_add3_u32 v41, v41, v227 /*v483*/, v228 /*v484*/
	s_set_vgpr_msb 0x41                     ;  msbs: dst=1 src0=1 src1=0 src2=0
	v_mul_i32_i24_e32 v227 /*v483*/, v192 /*v448*/, v216
	v_mul_i32_i24_e32 v228 /*v484*/, v212 /*v468*/, v218
	v_cvt_f32_i32_e32 v174 /*v430*/, v169 /*v425*/
	s_set_vgpr_msb 0x55                     ;  msbs: dst=1 src0=1 src1=1 src2=1
	v_add3_u32 v161 /*v417*/, v161 /*v417*/, v177 /*v433*/, v180 /*v436*/
	s_set_vgpr_msb 20                       ;  msbs: dst=0 src0=0 src1=1 src2=1
	v_add3_u32 v41, v41, v229 /*v485*/, v230 /*v486*/
	s_set_vgpr_msb 0x41                     ;  msbs: dst=1 src0=1 src1=0 src2=0
	v_mul_i32_i24_e32 v229 /*v485*/, v213 /*v469*/, v220
	v_mul_i32_i24_e32 v230 /*v486*/, v214 /*v470*/, v215
	;; [unrolled: 1-line block ×3, first 2 shown]
	s_set_vgpr_msb 0x55                     ;  msbs: dst=1 src0=1 src1=1 src2=1
	v_add3_u32 v161 /*v417*/, v161 /*v417*/, v181 /*v437*/, v184 /*v440*/
	s_set_vgpr_msb 20                       ;  msbs: dst=0 src0=0 src1=1 src2=1
	v_add3_u32 v41, v41, v231 /*v487*/, v232 /*v488*/
	s_set_vgpr_msb 0x41                     ;  msbs: dst=1 src0=1 src1=0 src2=0
	v_mul_i32_i24_e32 v231 /*v487*/, v193 /*v449*/, v221
	v_mul_i32_i24_e32 v232 /*v488*/, v215 /*v471*/, v223
	s_set_vgpr_msb 0x44                     ;  msbs: dst=1 src0=0 src1=1 src2=0
	v_pk_fma_f32 v[180:181] /*v[436:437]*/, v[100:101], v[188:189] /*v[444:445]*/, 0 op_sel_hi:[0,1,0]
	s_set_vgpr_msb 0x55                     ;  msbs: dst=1 src0=1 src1=1 src2=1
	v_add3_u32 v161 /*v417*/, v161 /*v417*/, v185 /*v441*/, v227 /*v483*/
	s_set_vgpr_msb 20                       ;  msbs: dst=0 src0=0 src1=1 src2=1
	v_add3_u32 v41, v41, v233 /*v489*/, v234 /*v490*/
	s_set_vgpr_msb 0x41                     ;  msbs: dst=1 src0=1 src1=0 src2=0
	v_mul_i32_i24_e32 v233 /*v489*/, v216 /*v472*/, v225
	s_set_vgpr_msb 0x44                     ;  msbs: dst=1 src0=0 src1=1 src2=0
	v_mul_i32_i24_e32 v234 /*v490*/, v229, v217 /*v473*/
	s_set_vgpr_msb 64                       ;  msbs: dst=1 src0=0 src1=0 src2=0
	v_mul_i32_i24_e32 v177 /*v433*/, v72, v241
	s_set_vgpr_msb 0x55                     ;  msbs: dst=1 src0=1 src1=1 src2=1
	v_add3_u32 v161 /*v417*/, v161 /*v417*/, v228 /*v484*/, v229 /*v485*/
	s_set_vgpr_msb 20                       ;  msbs: dst=0 src0=0 src1=1 src2=1
	v_add3_u32 v41, v41, v235 /*v491*/, v236 /*v492*/
	s_set_vgpr_msb 0x44                     ;  msbs: dst=1 src0=0 src1=1 src2=0
	v_mul_i32_i24_e32 v235 /*v491*/, v226, v194 /*v450*/
	v_mul_i32_i24_e32 v236 /*v492*/, v231, v218 /*v474*/
	s_set_vgpr_msb 64                       ;  msbs: dst=1 src0=0 src1=0 src2=0
	v_mul_i32_i24_e32 v184 /*v440*/, v150, v250
	s_set_vgpr_msb 0x55                     ;  msbs: dst=1 src0=1 src1=1 src2=1
	v_add3_u32 v161 /*v417*/, v161 /*v417*/, v230 /*v486*/, v231 /*v487*/
	s_set_vgpr_msb 20                       ;  msbs: dst=0 src0=0 src1=1 src2=1
	v_add3_u32 v41, v41, v237 /*v493*/, v238 /*v494*/
	s_set_vgpr_msb 0x44                     ;  msbs: dst=1 src0=0 src1=1 src2=0
	v_mul_i32_i24_e32 v237 /*v493*/, v232, v219 /*v475*/
	;; [unrolled: 9-line block ×5, first 2 shown]
	s_set_vgpr_msb 0x41                     ;  msbs: dst=1 src0=1 src1=0 src2=0
	v_mul_i32_i24_e32 v244 /*v500*/, v224 /*v480*/, v244
	s_set_vgpr_msb 64                       ;  msbs: dst=1 src0=0 src1=0 src2=0
	v_mul_i32_i24_e32 v229 /*v485*/, v154, v254
	s_set_vgpr_msb 0x55                     ;  msbs: dst=1 src0=1 src1=1 src2=1
	v_add3_u32 v161 /*v417*/, v161 /*v417*/, v238 /*v494*/, v239 /*v495*/
	s_set_vgpr_msb 20                       ;  msbs: dst=0 src0=0 src1=1 src2=1
	v_add3_u32 v41, v41, v245 /*v501*/, v246 /*v502*/
	s_set_vgpr_msb 0x41                     ;  msbs: dst=1 src0=1 src1=0 src2=0
	v_mul_i32_i24_e32 v230 /*v486*/, v0 /*v256*/, v155
	s_set_vgpr_msb 64                       ;  msbs: dst=1 src0=0 src1=0 src2=0
	v_mul_i32_i24_e32 v231 /*v487*/, v255, v156
	s_set_vgpr_msb 0x41                     ;  msbs: dst=1 src0=1 src1=0 src2=0
	v_mul_i32_i24_e32 v232 /*v488*/, v2 /*v258*/, v157
	s_set_vgpr_msb 0x55                     ;  msbs: dst=1 src0=1 src1=1 src2=1
	v_add3_u32 v161 /*v417*/, v161 /*v417*/, v240 /*v496*/, v241 /*v497*/
	s_set_vgpr_msb 0                        ;  msbs: dst=0 src0=0 src1=0 src2=0
	v_mul_lo_u32 v41, v41, v122
	s_set_vgpr_msb 0x41                     ;  msbs: dst=1 src0=1 src1=0 src2=0
	v_mul_i32_i24_e32 v233 /*v489*/, v1 /*v257*/, v158
	v_mul_i32_i24_e32 v234 /*v490*/, v4 /*v260*/, v159
	;; [unrolled: 1-line block ×3, first 2 shown]
	s_set_vgpr_msb 0x55                     ;  msbs: dst=1 src0=1 src1=1 src2=1
	v_add3_u32 v161 /*v417*/, v161 /*v417*/, v242 /*v498*/, v243 /*v499*/
	s_set_vgpr_msb 0x41                     ;  msbs: dst=1 src0=1 src1=0 src2=0
	v_mul_i32_i24_e32 v236 /*v492*/, v7 /*v263*/, v161
	v_mul_i32_i24_e32 v237 /*v493*/, v5 /*v261*/, v162
	s_set_vgpr_msb 0x44                     ;  msbs: dst=1 src0=0 src1=1 src2=0
	v_mul_i32_i24_e32 v238 /*v494*/, v163, v11 /*v267*/
	s_set_vgpr_msb 0x55                     ;  msbs: dst=1 src0=1 src1=1 src2=1
	v_mul_i32_i24_e32 v239 /*v495*/, v198 /*v454*/, v13 /*v269*/
	v_add3_u32 v161 /*v417*/, v161 /*v417*/, v244 /*v500*/, v247 /*v503*/
	v_mul_i32_i24_e32 v240 /*v496*/, v199 /*v455*/, v14 /*v270*/
	s_set_vgpr_msb 64                       ;  msbs: dst=1 src0=0 src1=0 src2=0
	v_cvt_f32_i32_e32 v175 /*v431*/, v41
	s_set_vgpr_msb 0                        ;  msbs: dst=0 src0=0 src1=0 src2=0
	v_mul_i32_i24_e32 v41, v59, v105
	s_set_vgpr_msb 0x55                     ;  msbs: dst=1 src0=1 src1=1 src2=1
	v_mul_i32_i24_e32 v241 /*v497*/, v200 /*v456*/, v16 /*v272*/
	v_add3_u32 v161 /*v417*/, v161 /*v417*/, v248 /*v504*/, v169 /*v425*/
	s_set_vgpr_msb 64                       ;  msbs: dst=1 src0=0 src1=0 src2=0
	v_mul_i32_i24_e32 v169 /*v425*/, v62, v224
	s_set_vgpr_msb 0x45                     ;  msbs: dst=1 src0=1 src1=1 src2=0
	v_pk_fma_f32 v[174:175] /*v[430:431]*/, v[186:187] /*v[442:443]*/, v[174:175] /*v[430:431]*/, 0 op_sel_hi:[1,1,0]
	s_set_vgpr_msb 5                        ;  msbs: dst=0 src0=1 src1=1 src2=0
	v_add3_u32 v41, v179 /*v435*/, v178 /*v434*/, v41
	s_set_vgpr_msb 0x45                     ;  msbs: dst=1 src0=1 src1=1 src2=0
	v_mul_i32_i24_e32 v242 /*v498*/, v225 /*v481*/, v40 /*v296*/
	s_set_vgpr_msb 0x41                     ;  msbs: dst=1 src0=1 src1=0 src2=0
	v_mul_lo_u32 v161 /*v417*/, v161 /*v417*/, v107
	s_set_vgpr_msb 0x45                     ;  msbs: dst=1 src0=1 src1=1 src2=0
	v_mul_i32_i24_e32 v243 /*v499*/, v226 /*v482*/, v41 /*v297*/
	s_set_vgpr_msb 0                        ;  msbs: dst=0 src0=0 src1=0 src2=0
	v_mul_lo_u32 v41, v41, v107
	s_set_vgpr_msb 0x41                     ;  msbs: dst=1 src0=1 src1=0 src2=0
	s_delay_alu instid0(VALU_DEP_3) | instskip(SKIP_2) | instid1(VALU_DEP_3)
	v_cvt_f32_i32_e32 v179 /*v435*/, v161 /*v417*/
	s_set_vgpr_msb 64                       ;  msbs: dst=1 src0=0 src1=0 src2=0
	v_mul_i32_i24_e32 v161 /*v417*/, v61, v222
	v_cvt_f32_i32_e32 v178 /*v434*/, v41
	s_set_vgpr_msb 0                        ;  msbs: dst=0 src0=0 src1=0 src2=0
	v_mul_i32_i24_e32 v41, v58, v219
	s_set_vgpr_msb 0x55                     ;  msbs: dst=1 src0=1 src1=1 src2=1
	s_delay_alu instid0(VALU_DEP_2)
	v_pk_fma_f32 v[174:175] /*v[430:431]*/, v[190:191] /*v[446:447]*/, v[178:179] /*v[434:435]*/, v[174:175] /*v[430:431]*/
	s_set_vgpr_msb 0x54                     ;  msbs: dst=1 src0=0 src1=1 src2=1
	v_pk_fma_f32 v[178:179] /*v[434:435]*/, v[104:105], v[182:183] /*v[438:439]*/, v[180:181] /*v[436:437]*/ op_sel_hi:[0,1,1]
	s_set_vgpr_msb 0                        ;  msbs: dst=0 src0=0 src1=0 src2=0
	v_mad_i32_i24 v41, v60, v217, v41
	s_set_vgpr_msb 64                       ;  msbs: dst=1 src0=0 src1=0 src2=0
	v_mul_i32_i24_e32 v180 /*v436*/, v148, v248
	v_mul_i32_i24_e32 v181 /*v437*/, v149, v249
	s_set_vgpr_msb 0x41                     ;  msbs: dst=1 src0=1 src1=0 src2=0
	v_pk_mul_f32 v[178:179] /*v[434:435]*/, v[178:179] /*v[434:435]*/, v[10:11]
	s_set_vgpr_msb 20                       ;  msbs: dst=0 src0=0 src1=1 src2=1
	v_add3_u32 v41, v41, v161 /*v417*/, v169 /*v425*/
	s_set_vgpr_msb 64                       ;  msbs: dst=1 src0=0 src1=0 src2=0
	v_mul_i32_i24_e32 v161 /*v417*/, v64, v227
	v_mul_i32_i24_e32 v169 /*v425*/, v65, v228
	s_set_vgpr_msb 0x51                     ;  msbs: dst=1 src0=1 src1=0 src2=1
	v_pk_fma_f32 v[174:175] /*v[430:431]*/, v[174:175] /*v[430:431]*/, v[2:3], v[178:179] /*v[434:435]*/ neg_lo:[0,0,1] neg_hi:[0,0,1]
	s_set_vgpr_msb 64                       ;  msbs: dst=1 src0=0 src1=0 src2=0
	v_mul_i32_i24_e32 v178 /*v434*/, v91, v243
	v_mul_i32_i24_e32 v179 /*v435*/, v93, v247
	s_set_vgpr_msb 20                       ;  msbs: dst=0 src0=0 src1=1 src2=1
	v_add3_u32 v41, v41, v161 /*v417*/, v169 /*v425*/
	s_set_vgpr_msb 0x45                     ;  msbs: dst=1 src0=1 src1=1 src2=0
	v_mul_i32_i24_e32 v161 /*v417*/, v201 /*v457*/, v9 /*v265*/
	s_set_vgpr_msb 4                        ;  msbs: dst=0 src0=0 src1=1 src2=0
	v_pk_add_f32 v[28:29], v[28:29], v[174:175] /*v[430:431]*/
	s_set_vgpr_msb 64                       ;  msbs: dst=1 src0=0 src1=0 src2=0
	v_mul_i32_i24_e32 v174 /*v430*/, v69, v238
	v_mul_i32_i24_e32 v175 /*v431*/, v70, v240
	s_set_vgpr_msb 20                       ;  msbs: dst=0 src0=0 src1=1 src2=1
	v_add3_u32 v41, v41, v170 /*v426*/, v172 /*v428*/
	s_set_vgpr_msb 0x55                     ;  msbs: dst=1 src0=1 src1=1 src2=1
	v_mul_i32_i24_e32 v169 /*v425*/, v203 /*v459*/, v6 /*v262*/
	v_mul_i32_i24_e32 v170 /*v426*/, v204 /*v460*/, v12 /*v268*/
	v_mad_i32_i24 v161 /*v417*/, v202 /*v458*/, v8 /*v264*/, v161 /*v417*/
	v_mul_i32_i24_e32 v172 /*v428*/, v207 /*v463*/, v10 /*v266*/
	s_set_vgpr_msb 20                       ;  msbs: dst=0 src0=0 src1=1 src2=1
	v_add3_u32 v41, v41, v174 /*v430*/, v175 /*v431*/
	s_set_vgpr_msb 0x55                     ;  msbs: dst=1 src0=1 src1=1 src2=1
	v_mul_i32_i24_e32 v174 /*v430*/, v208 /*v464*/, v19 /*v275*/
	v_mul_i32_i24_e32 v175 /*v431*/, v209 /*v465*/, v20 /*v276*/
	v_add3_u32 v161 /*v417*/, v161 /*v417*/, v169 /*v425*/, v170 /*v426*/
	v_mul_i32_i24_e32 v169 /*v425*/, v205 /*v461*/, v15 /*v271*/
	s_set_vgpr_msb 20                       ;  msbs: dst=0 src0=0 src1=1 src2=1
	v_add3_u32 v41, v41, v177 /*v433*/, v178 /*v434*/
	s_set_vgpr_msb 0x45                     ;  msbs: dst=1 src0=1 src1=1 src2=0
	v_mul_i32_i24_e32 v170 /*v426*/, v206 /*v462*/, v17 /*v273*/
	v_mul_i32_i24_e32 v177 /*v433*/, v210 /*v466*/, v21 /*v277*/
	;; [unrolled: 1-line block ×3, first 2 shown]
	s_set_vgpr_msb 20                       ;  msbs: dst=0 src0=0 src1=1 src2=1
	v_add3_u32 v41, v41, v179 /*v435*/, v180 /*v436*/
	s_set_vgpr_msb 0x55                     ;  msbs: dst=1 src0=1 src1=1 src2=1
	v_add3_u32 v161 /*v417*/, v161 /*v417*/, v169 /*v425*/, v170 /*v426*/
	v_mul_i32_i24_e32 v179 /*v435*/, v192 /*v448*/, v23 /*v279*/
	v_mul_i32_i24_e32 v180 /*v436*/, v212 /*v468*/, v24 /*v280*/
	s_set_vgpr_msb 20                       ;  msbs: dst=0 src0=0 src1=1 src2=1
	v_add3_u32 v41, v41, v181 /*v437*/, v184 /*v440*/
	s_set_vgpr_msb 0x55                     ;  msbs: dst=1 src0=1 src1=1 src2=1
	v_add3_u32 v161 /*v417*/, v161 /*v417*/, v172 /*v428*/, v174 /*v430*/
	v_mul_i32_i24_e32 v181 /*v437*/, v213 /*v469*/, v25 /*v281*/
	v_mul_i32_i24_e32 v184 /*v440*/, v214 /*v470*/, v22 /*v278*/
	;; [unrolled: 6-line block ×3, first 2 shown]
	s_set_vgpr_msb 0x44                     ;  msbs: dst=1 src0=0 src1=1 src2=0
	v_pk_fma_f32 v[174:175] /*v[430:431]*/, v[102:103], v[188:189] /*v[444:445]*/, 0 op_sel_hi:[0,1,0]
	s_set_vgpr_msb 20                       ;  msbs: dst=0 src0=0 src1=1 src2=1
	v_add3_u32 v41, v41, v228 /*v484*/, v229 /*v485*/
	s_set_vgpr_msb 0x55                     ;  msbs: dst=1 src0=1 src1=1 src2=1
	v_add3_u32 v161 /*v417*/, v161 /*v417*/, v178 /*v434*/, v179 /*v435*/
	v_mul_i32_i24_e32 v228 /*v484*/, v216 /*v472*/, v28 /*v284*/
	v_mul_i32_i24_e32 v229 /*v485*/, v30 /*v286*/, v217 /*v473*/
	s_set_vgpr_msb 20                       ;  msbs: dst=0 src0=0 src1=1 src2=1
	v_add3_u32 v41, v41, v230 /*v486*/, v231 /*v487*/
	s_set_vgpr_msb 0x55                     ;  msbs: dst=1 src0=1 src1=1 src2=1
	v_add3_u32 v161 /*v417*/, v161 /*v417*/, v180 /*v436*/, v181 /*v437*/
	v_mul_i32_i24_e32 v230 /*v486*/, v29 /*v285*/, v194 /*v450*/
	v_mul_i32_i24_e32 v231 /*v487*/, v31 /*v287*/, v218 /*v474*/
	;; [unrolled: 6-line block ×6, first 2 shown]
	s_set_vgpr_msb 20                       ;  msbs: dst=0 src0=0 src1=1 src2=1
	v_add3_u32 v41, v41, v240 /*v496*/, v241 /*v497*/
	s_set_vgpr_msb 0x55                     ;  msbs: dst=1 src0=1 src1=1 src2=1
	v_add3_u32 v161 /*v417*/, v161 /*v417*/, v233 /*v489*/, v234 /*v490*/
	s_set_vgpr_msb 0                        ;  msbs: dst=0 src0=0 src1=0 src2=0
	s_delay_alu instid0(VALU_DEP_2) | instskip(SKIP_1) | instid1(VALU_DEP_2)
	v_mul_lo_u32 v41, v41, v205
	s_set_vgpr_msb 0x55                     ;  msbs: dst=1 src0=1 src1=1 src2=1
	v_add3_u32 v161 /*v417*/, v161 /*v417*/, v235 /*v491*/, v236 /*v492*/
	s_delay_alu instid0(VALU_DEP_1) | instskip(SKIP_1) | instid1(VALU_DEP_3)
	v_add3_u32 v161 /*v417*/, v161 /*v417*/, v237 /*v493*/, v238 /*v494*/
	s_set_vgpr_msb 64                       ;  msbs: dst=1 src0=0 src1=0 src2=0
	v_cvt_f32_i32_e32 v167 /*v423*/, v41
	s_set_vgpr_msb 0                        ;  msbs: dst=0 src0=0 src1=0 src2=0
	v_mul_i32_i24_e32 v41, v59, v109
	s_set_vgpr_msb 0x55                     ;  msbs: dst=1 src0=1 src1=1 src2=1
	v_add3_u32 v161 /*v417*/, v161 /*v417*/, v239 /*v495*/, v242 /*v498*/
	v_pk_fma_f32 v[166:167] /*v[422:423]*/, v[186:187] /*v[442:443]*/, v[166:167] /*v[422:423]*/, 0 op_sel_hi:[1,1,0]
	s_set_vgpr_msb 5                        ;  msbs: dst=0 src0=1 src1=1 src2=0
	v_add3_u32 v41, v176 /*v432*/, v173 /*v429*/, v41
	s_set_vgpr_msb 0x55                     ;  msbs: dst=1 src0=1 src1=1 src2=1
	v_add3_u32 v161 /*v417*/, v161 /*v417*/, v243 /*v499*/, v165 /*v421*/
	s_set_vgpr_msb 0                        ;  msbs: dst=0 src0=0 src1=0 src2=0
	s_delay_alu instid0(VALU_DEP_2) | instskip(SKIP_1) | instid1(VALU_DEP_2)
	v_mul_lo_u32 v41, v41, v111
	s_set_vgpr_msb 0x41                     ;  msbs: dst=1 src0=1 src1=0 src2=0
	v_mul_lo_u32 v161 /*v417*/, v161 /*v417*/, v111
	s_set_vgpr_msb 64                       ;  msbs: dst=1 src0=0 src1=0 src2=0
	s_delay_alu instid0(VALU_DEP_2)
	v_cvt_f32_i32_e32 v172 /*v428*/, v41
	s_set_vgpr_msb 4                        ;  msbs: dst=0 src0=0 src1=1 src2=0
	v_mul_i32_i24_e32 v41, v58, v46 /*v302*/
	v_mul_i32_i24_e32 v58, v61, v47 /*v303*/
	;; [unrolled: 1-line block ×5, first 2 shown]
	v_mad_i32_i24 v41, v60, v45 /*v301*/, v41
	v_mul_i32_i24_e32 v60, v65, v50 /*v306*/
	v_mul_i32_i24_e32 v65, v70, v54 /*v310*/
	;; [unrolled: 1-line block ×4, first 2 shown]
	s_set_vgpr_msb 0                        ;  msbs: dst=0 src0=0 src1=0 src2=0
	v_add3_u32 v41, v41, v58, v61
	s_set_vgpr_msb 4                        ;  msbs: dst=0 src0=0 src1=1 src2=0
	v_mul_i32_i24_e32 v58, v64, v49 /*v305*/
	v_mul_i32_i24_e32 v61, v66, v51 /*v307*/
	;; [unrolled: 1-line block ×5, first 2 shown]
	s_set_vgpr_msb 0                        ;  msbs: dst=0 src0=0 src1=0 src2=0
	v_add3_u32 v41, v41, v58, v60
	s_set_vgpr_msb 5                        ;  msbs: dst=0 src0=1 src1=1 src2=0
	v_mul_i32_i24_e32 v58, v201 /*v457*/, v75 /*v331*/
	v_mul_i32_i24_e32 v60, v203 /*v459*/, v72 /*v328*/
	s_set_vgpr_msb 4                        ;  msbs: dst=0 src0=0 src1=1 src2=0
	v_mul_i32_i24_e32 v72, v149, v59 /*v315*/
	v_mul_i32_i24_e32 v93, v151, v61 /*v317*/
	s_set_vgpr_msb 0                        ;  msbs: dst=0 src0=0 src1=0 src2=0
	v_add3_u32 v41, v41, v61, v62
	s_set_vgpr_msb 5                        ;  msbs: dst=0 src0=1 src1=1 src2=0
	v_mul_i32_i24_e32 v61, v204 /*v460*/, v78 /*v334*/
	v_mad_i32_i24 v58, v202 /*v458*/, v74 /*v330*/, v58
	v_mul_i32_i24_e32 v62, v207 /*v463*/, v76 /*v332*/
	s_set_vgpr_msb 4                        ;  msbs: dst=0 src0=0 src1=1 src2=0
	v_mul_i32_i24_e32 v148, v152, v62 /*v318*/
	s_set_vgpr_msb 0                        ;  msbs: dst=0 src0=0 src1=0 src2=0
	v_add3_u32 v41, v41, v64, v65
	s_set_vgpr_msb 5                        ;  msbs: dst=0 src0=1 src1=1 src2=0
	v_mul_i32_i24_e32 v64, v208 /*v464*/, v85 /*v341*/
	s_set_vgpr_msb 0                        ;  msbs: dst=0 src0=0 src1=0 src2=0
	v_add3_u32 v58, v58, v60, v61
	s_set_vgpr_msb 5                        ;  msbs: dst=0 src0=1 src1=1 src2=0
	v_mul_i32_i24_e32 v60, v205 /*v461*/, v81 /*v337*/
	v_mul_i32_i24_e32 v61, v206 /*v462*/, v83 /*v339*/
	s_set_vgpr_msb 0                        ;  msbs: dst=0 src0=0 src1=0 src2=0
	v_add3_u32 v41, v41, v66, v68
	s_set_vgpr_msb 5                        ;  msbs: dst=0 src0=1 src1=1 src2=0
	v_mul_i32_i24_e32 v65, v209 /*v465*/, v86 /*v342*/
	v_mul_i32_i24_e32 v66, v210 /*v466*/, v87 /*v343*/
	s_set_vgpr_msb 4                        ;  msbs: dst=0 src0=0 src1=1 src2=0
	v_mul_i32_i24_e32 v149, v153, v63 /*v319*/
	s_set_vgpr_msb 0                        ;  msbs: dst=0 src0=0 src1=0 src2=0
	v_add3_u32 v58, v58, v60, v61
	v_add3_u32 v41, v41, v69, v70
	s_set_vgpr_msb 4                        ;  msbs: dst=0 src0=0 src1=1 src2=0
	v_mul_i32_i24_e32 v150, v154, v64 /*v320*/
	s_set_vgpr_msb 5                        ;  msbs: dst=0 src0=1 src1=1 src2=0
	v_mul_i32_i24_e32 v68, v211 /*v467*/, v84 /*v340*/
	v_mul_i32_i24_e32 v69, v192 /*v448*/, v89 /*v345*/
	s_set_vgpr_msb 0                        ;  msbs: dst=0 src0=0 src1=0 src2=0
	v_add3_u32 v58, v58, v62, v64
	v_add3_u32 v41, v41, v72, v91
	s_set_vgpr_msb 1                        ;  msbs: dst=0 src0=1 src1=0 src2=0
	v_mul_i32_i24_e32 v151, v66 /*v322*/, v155
	v_mul_i32_i24_e32 v152, v65 /*v321*/, v156
	s_set_vgpr_msb 5                        ;  msbs: dst=0 src0=1 src1=1 src2=0
	v_mul_i32_i24_e32 v70, v212 /*v468*/, v90 /*v346*/
	s_set_vgpr_msb 0                        ;  msbs: dst=0 src0=0 src1=0 src2=0
	v_add3_u32 v58, v58, v65, v66
	v_add3_u32 v41, v41, v93, v148
	s_set_vgpr_msb 5                        ;  msbs: dst=0 src0=1 src1=1 src2=0
	v_mul_i32_i24_e32 v72, v213 /*v469*/, v91 /*v347*/
	s_set_vgpr_msb 1                        ;  msbs: dst=0 src0=1 src1=0 src2=0
	v_mul_i32_i24_e32 v153, v68 /*v324*/, v157
	v_mul_i32_i24_e32 v154, v67 /*v323*/, v158
	s_set_vgpr_msb 0                        ;  msbs: dst=0 src0=0 src1=0 src2=0
	v_add3_u32 v58, v58, v68, v69
	v_add3_u32 v41, v41, v149, v150
	s_set_vgpr_msb 5                        ;  msbs: dst=0 src0=1 src1=1 src2=0
	v_mul_i32_i24_e32 v91, v214 /*v470*/, v88 /*v344*/
	v_mul_i32_i24_e32 v93, v193 /*v449*/, v92 /*v348*/
	s_set_vgpr_msb 1                        ;  msbs: dst=0 src0=1 src1=0 src2=0
	v_mul_i32_i24_e32 v155, v70 /*v326*/, v159
	s_set_vgpr_msb 0                        ;  msbs: dst=0 src0=0 src1=0 src2=0
	v_add3_u32 v58, v58, v70, v72
	v_add3_u32 v41, v41, v151, v152
	s_set_vgpr_msb 1                        ;  msbs: dst=0 src0=1 src1=0 src2=0
	v_mul_i32_i24_e32 v156, v69 /*v325*/, v160
	s_set_vgpr_msb 5                        ;  msbs: dst=0 src0=1 src1=1 src2=0
	v_mul_i32_i24_e32 v148, v215 /*v471*/, v93 /*v349*/
	v_mul_i32_i24_e32 v149, v216 /*v472*/, v94 /*v350*/
	s_set_vgpr_msb 0                        ;  msbs: dst=0 src0=0 src1=0 src2=0
	v_add3_u32 v58, v58, v91, v93
	v_add3_u32 v41, v41, v153, v154
	s_set_vgpr_msb 1                        ;  msbs: dst=0 src0=1 src1=0 src2=0
	v_mul_i32_i24_e32 v157, v73 /*v329*/, v161
	v_mul_i32_i24_e32 v158, v71 /*v327*/, v162
	s_set_vgpr_msb 5                        ;  msbs: dst=0 src0=1 src1=1 src2=0
	v_mul_i32_i24_e32 v150, v96 /*v352*/, v217 /*v473*/
	v_mul_i32_i24_e32 v151, v95 /*v351*/, v194 /*v450*/
	s_set_vgpr_msb 0                        ;  msbs: dst=0 src0=0 src1=0 src2=0
	v_add3_u32 v41, v41, v155, v156
	v_add3_u32 v58, v58, v148, v149
	s_set_vgpr_msb 4                        ;  msbs: dst=0 src0=0 src1=1 src2=0
	v_mul_i32_i24_e32 v159, v163, v77 /*v333*/
	s_set_vgpr_msb 5                        ;  msbs: dst=0 src0=1 src1=1 src2=0
	v_mul_i32_i24_e32 v160, v198 /*v454*/, v79 /*v335*/
	v_mul_i32_i24_e32 v152, v97 /*v353*/, v218 /*v474*/
	s_set_vgpr_msb 0                        ;  msbs: dst=0 src0=0 src1=0 src2=0
	v_add3_u32 v41, v41, v157, v158
	s_set_vgpr_msb 5                        ;  msbs: dst=0 src0=1 src1=1 src2=0
	v_mul_i32_i24_e32 v153, v98 /*v354*/, v219 /*v475*/
	s_set_vgpr_msb 0                        ;  msbs: dst=0 src0=0 src1=0 src2=0
	v_add3_u32 v58, v58, v150, v151
	s_set_vgpr_msb 5                        ;  msbs: dst=0 src0=1 src1=1 src2=0
	v_mul_i32_i24_e32 v161, v199 /*v455*/, v80 /*v336*/
	v_mul_i32_i24_e32 v162, v200 /*v456*/, v82 /*v338*/
	s_set_vgpr_msb 0                        ;  msbs: dst=0 src0=0 src1=0 src2=0
	v_add3_u32 v41, v41, v159, v160
	s_set_vgpr_msb 5                        ;  msbs: dst=0 src0=1 src1=1 src2=0
	v_mul_i32_i24_e32 v154, v100 /*v356*/, v220 /*v476*/
	;; [unrolled: 5-line block ×3, first 2 shown]
	s_set_vgpr_msb 0                        ;  msbs: dst=0 src0=0 src1=0 src2=0
	v_add3_u32 v41, v41, v161, v162
	s_set_vgpr_msb 5                        ;  msbs: dst=0 src0=1 src1=1 src2=0
	v_mul_i32_i24_e32 v157, v102 /*v358*/, v222 /*v478*/
	v_mul_i32_i24_e32 v158, v104 /*v360*/, v223 /*v479*/
	s_set_vgpr_msb 0                        ;  msbs: dst=0 src0=0 src1=0 src2=0
	v_add3_u32 v58, v58, v154, v155
	s_set_vgpr_msb 5                        ;  msbs: dst=0 src0=1 src1=1 src2=0
	v_mul_i32_i24_e32 v159, v103 /*v359*/, v196 /*v452*/
	s_set_vgpr_msb 4                        ;  msbs: dst=0 src0=0 src1=1 src2=0
	v_mul_lo_u32 v41, v41, v44 /*v300*/
	s_set_vgpr_msb 5                        ;  msbs: dst=0 src0=1 src1=1 src2=0
	v_mul_i32_i24_e32 v160, v224 /*v480*/, v105 /*v361*/
	v_mul_i32_i24_e32 v163, v225 /*v481*/, v106 /*v362*/
	s_set_vgpr_msb 0                        ;  msbs: dst=0 src0=0 src1=0 src2=0
	v_add3_u32 v58, v58, v156, v157
	s_set_vgpr_msb 0x45                     ;  msbs: dst=1 src0=1 src1=1 src2=0
	v_cvt_f32_i32_e32 v173 /*v429*/, v161 /*v417*/
	v_mul_i32_i24_e32 v161 /*v417*/, v226 /*v482*/, v107 /*v363*/
	s_set_vgpr_msb 21                       ;  msbs: dst=0 src0=1 src1=1 src2=1
	v_add3_u32 v60, v164 /*v420*/, v162 /*v418*/, v163 /*v419*/
	s_set_vgpr_msb 0x44                     ;  msbs: dst=1 src0=0 src1=1 src2=0
	v_pk_fma_f32 v[164:165] /*v[420:421]*/, v[110:111], v[188:189] /*v[444:445]*/, 0 op_sel_hi:[0,1,0]
	s_set_vgpr_msb 0                        ;  msbs: dst=0 src0=0 src1=0 src2=0
	v_add3_u32 v58, v58, v158, v159
	s_set_vgpr_msb 0x55                     ;  msbs: dst=1 src0=1 src1=1 src2=1
	v_pk_fma_f32 v[166:167] /*v[422:423]*/, v[190:191] /*v[446:447]*/, v[172:173] /*v[428:429]*/, v[166:167] /*v[422:423]*/
	s_set_vgpr_msb 0x54                     ;  msbs: dst=1 src0=0 src1=1 src2=1
	v_pk_fma_f32 v[172:173] /*v[428:429]*/, v[106:107], v[182:183] /*v[438:439]*/, v[174:175] /*v[430:431]*/ op_sel_hi:[0,1,1]
	v_cvt_f32_i32_e32 v163 /*v419*/, v41
	s_set_vgpr_msb 4                        ;  msbs: dst=0 src0=0 src1=1 src2=0
	v_mul_i32_i24_e32 v41, v59, v42 /*v298*/
	s_set_vgpr_msb 0                        ;  msbs: dst=0 src0=0 src1=0 src2=0
	v_add3_u32 v58, v58, v160, v163
	s_set_vgpr_msb 5                        ;  msbs: dst=0 src0=1 src1=1 src2=0
	v_mul_i32_i24_e32 v59, v197 /*v453*/, v42 /*v298*/
	s_set_vgpr_msb 4                        ;  msbs: dst=0 src0=0 src1=1 src2=0
	v_mul_lo_u32 v60, v60, v44 /*v300*/
	s_set_vgpr_msb 0x41                     ;  msbs: dst=1 src0=1 src1=0 src2=0
	v_pk_mul_f32 v[172:173] /*v[428:429]*/, v[172:173] /*v[428:429]*/, v[12:13]
	s_set_vgpr_msb 5                        ;  msbs: dst=0 src0=1 src1=1 src2=0
	v_add3_u32 v41, v171 /*v427*/, v168 /*v424*/, v41
	s_set_vgpr_msb 0x54                     ;  msbs: dst=1 src0=0 src1=1 src2=1
	v_pk_fma_f32 v[164:165] /*v[420:421]*/, v[108:109], v[182:183] /*v[438:439]*/, v[164:165] /*v[420:421]*/ op_sel_hi:[0,1,1]
	s_set_vgpr_msb 4                        ;  msbs: dst=0 src0=0 src1=1 src2=0
	v_add3_u32 v58, v58, v161 /*v417*/, v59
	s_set_vgpr_msb 0x51                     ;  msbs: dst=1 src0=1 src1=0 src2=1
	v_pk_fma_f32 v[166:167] /*v[422:423]*/, v[166:167] /*v[422:423]*/, v[4:5], v[172:173] /*v[428:429]*/ neg_lo:[0,0,1] neg_hi:[0,0,1]
	s_set_vgpr_msb 4                        ;  msbs: dst=0 src0=0 src1=1 src2=0
	v_mul_lo_u32 v41, v41, v43 /*v299*/
	s_set_vgpr_msb 0x41                     ;  msbs: dst=1 src0=1 src1=0 src2=0
	v_pk_mul_f32 v[164:165] /*v[420:421]*/, v[164:165] /*v[420:421]*/, v[14:15]
	s_set_vgpr_msb 4                        ;  msbs: dst=0 src0=0 src1=1 src2=0
	v_mul_lo_u32 v58, v58, v43 /*v299*/
	s_set_vgpr_msb 64                       ;  msbs: dst=1 src0=0 src1=0 src2=0
	v_cvt_f32_i32_e32 v162 /*v418*/, v60
	s_set_vgpr_msb 4                        ;  msbs: dst=0 src0=0 src1=1 src2=0
	v_pk_add_f32 v[26:27], v[26:27], v[166:167] /*v[422:423]*/
	s_set_vgpr_msb 0x45                     ;  msbs: dst=1 src0=1 src1=1 src2=0
	s_delay_alu instid0(VALU_DEP_2)
	v_pk_fma_f32 v[162:163] /*v[418:419]*/, v[186:187] /*v[442:443]*/, v[162:163] /*v[418:419]*/, 0 op_sel_hi:[1,1,0]
	s_set_vgpr_msb 64                       ;  msbs: dst=1 src0=0 src1=0 src2=0
	v_cvt_f32_i32_e32 v166 /*v422*/, v41
	s_set_vgpr_msb 0                        ;  msbs: dst=0 src0=0 src1=0 src2=0
	v_or_b32_e32 v41, s8, v142
	s_set_vgpr_msb 64                       ;  msbs: dst=1 src0=0 src1=0 src2=0
	v_cvt_f32_i32_e32 v167 /*v423*/, v58
	s_set_vgpr_msb 0                        ;  msbs: dst=0 src0=0 src1=0 src2=0
	s_delay_alu instid0(VALU_DEP_2) | instskip(SKIP_1) | instid1(VALU_DEP_2)
	v_lshlrev_b32_e32 v58, 2, v41
	s_set_vgpr_msb 0x55                     ;  msbs: dst=1 src0=1 src1=1 src2=1
	v_pk_fma_f32 v[162:163] /*v[418:419]*/, v[190:191] /*v[446:447]*/, v[166:167] /*v[422:423]*/, v[162:163] /*v[418:419]*/
	s_set_vgpr_msb 0x51                     ;  msbs: dst=1 src0=1 src1=0 src2=1
	v_lshrrev_b32_e32 v183 /*v439*/, 1, v41
	s_delay_alu instid0(VALU_DEP_2) | instskip(SKIP_1) | instid1(VALU_DEP_1)
	v_pk_fma_f32 v[162:163] /*v[418:419]*/, v[162:163] /*v[418:419]*/, v[6:7], v[164:165] /*v[420:421]*/ neg_lo:[0,0,1] neg_hi:[0,0,1]
	s_set_vgpr_msb 4                        ;  msbs: dst=0 src0=0 src1=1 src2=0
	v_pk_add_f32 v[24:25], v[24:25], v[162:163] /*v[418:419]*/
	s_set_vgpr_msb 64                       ;  msbs: dst=1 src0=0 src1=0 src2=0
	ds_load_b128 v[162:165] /*v[418:421]*/, v58 offset:16896
	ds_load_b128 v[166:169] /*v[422:425]*/, v58 offset:16912
	;; [unrolled: 1-line block ×4, first 2 shown]
	s_wait_dscnt 0x3
	s_set_vgpr_msb 1                        ;  msbs: dst=0 src0=1 src1=0 src2=0
	v_bfe_i32 v41, v162 /*v418*/, 0, 8
	v_bfe_i32 v58, v162 /*v418*/, 8, 8
	;; [unrolled: 1-line block ×3, first 2 shown]
	s_set_vgpr_msb 4                        ;  msbs: dst=0 src0=0 src1=1 src2=0
	v_ashrrev_i32_e32 v60, 24, v162 /*v418*/
	s_set_vgpr_msb 1                        ;  msbs: dst=0 src0=1 src1=0 src2=0
	v_bfe_i32 v66, v164 /*v420*/, 0, 8
	v_bfe_i32 v68, v164 /*v420*/, 8, 8
	;; [unrolled: 1-line block ×3, first 2 shown]
	s_set_vgpr_msb 4                        ;  msbs: dst=0 src0=0 src1=1 src2=0
	v_ashrrev_i32_e32 v70, 24, v164 /*v420*/
	s_set_vgpr_msb 64                       ;  msbs: dst=1 src0=0 src1=0 src2=0
	v_mul_i32_i24_e32 v164 /*v420*/, v41, v121
	s_set_vgpr_msb 1                        ;  msbs: dst=0 src0=1 src1=0 src2=0
	v_bfe_i32 v61, v163 /*v419*/, 0, 8
	v_bfe_i32 v62, v163 /*v419*/, 8, 8
	s_set_vgpr_msb 4                        ;  msbs: dst=0 src0=0 src1=1 src2=0
	v_dual_ashrrev_i32 v65, 24, v163 /*v419*/ :: v_dual_ashrrev_i32 v148, 24, v165 /*v421*/
	s_set_vgpr_msb 1                        ;  msbs: dst=0 src0=1 src1=0 src2=0
	v_bfe_i32 v72, v165 /*v421*/, 0, 8
	v_bfe_i32 v91, v165 /*v421*/, 8, 8
	;; [unrolled: 1-line block ×3, first 2 shown]
	s_wait_dscnt 0x2
	v_bfe_i32 v149, v166 /*v422*/, 0, 8
	v_bfe_i32 v150, v166 /*v422*/, 8, 8
	;; [unrolled: 1-line block ×3, first 2 shown]
	s_set_vgpr_msb 4                        ;  msbs: dst=0 src0=0 src1=1 src2=0
	v_dual_ashrrev_i32 v152, 24, v166 /*v422*/ :: v_dual_ashrrev_i32 v156, 24, v167 /*v423*/
	s_set_vgpr_msb 0x44                     ;  msbs: dst=1 src0=0 src1=1 src2=0
	v_mul_i32_i24_e32 v165 /*v421*/, v59, v108 /*v364*/
	v_mul_i32_i24_e32 v166 /*v422*/, v60, v109 /*v365*/
	s_set_vgpr_msb 0x50                     ;  msbs: dst=1 src0=0 src1=0 src2=1
	v_mad_i32_i24 v164 /*v420*/, v58, v120, v164 /*v420*/
	s_set_vgpr_msb 1                        ;  msbs: dst=0 src0=1 src1=0 src2=0
	v_bfe_i32 v64, v163 /*v419*/, 16, 8
	v_bfe_i32 v153, v167 /*v423*/, 0, 8
	;; [unrolled: 1-line block ×4, first 2 shown]
	s_set_vgpr_msb 0x55                     ;  msbs: dst=1 src0=1 src1=1 src2=1
	v_add3_u32 v164 /*v420*/, v164 /*v420*/, v165 /*v421*/, v166 /*v422*/
	s_set_vgpr_msb 0x44                     ;  msbs: dst=1 src0=0 src1=1 src2=0
	v_mul_i32_i24_e32 v165 /*v421*/, v61, v110 /*v366*/
	v_mul_i32_i24_e32 v166 /*v422*/, v62, v111 /*v367*/
	s_set_vgpr_msb 1                        ;  msbs: dst=0 src0=1 src1=0 src2=0
	v_bfe_i32 v157, v168 /*v424*/, 0, 8
	v_bfe_i32 v158, v168 /*v424*/, 8, 8
	;; [unrolled: 1-line block ×3, first 2 shown]
	s_set_vgpr_msb 4                        ;  msbs: dst=0 src0=0 src1=1 src2=0
	v_ashrrev_i32_e32 v160, 24, v168 /*v424*/
	s_set_vgpr_msb 0x44                     ;  msbs: dst=1 src0=0 src1=1 src2=0
	v_mul_i32_i24_e32 v167 /*v423*/, v64, v112 /*v368*/
	v_mul_i32_i24_e32 v168 /*v424*/, v65, v113 /*v369*/
	s_set_vgpr_msb 0x55                     ;  msbs: dst=1 src0=1 src1=1 src2=1
	v_add3_u32 v164 /*v420*/, v164 /*v420*/, v165 /*v421*/, v166 /*v422*/
	s_set_vgpr_msb 1                        ;  msbs: dst=0 src0=1 src1=0 src2=0
	v_bfe_i32 v161, v169 /*v425*/, 0, 8
	v_bfe_i32 v162, v169 /*v425*/, 8, 8
	;; [unrolled: 1-line block ×3, first 2 shown]
	s_set_vgpr_msb 0x44                     ;  msbs: dst=1 src0=0 src1=1 src2=0
	v_ashrrev_i32_e32 v162 /*v418*/, 24, v169 /*v425*/
	s_wait_dscnt 0x1
	s_set_vgpr_msb 0x41                     ;  msbs: dst=1 src0=1 src1=0 src2=0
	v_bfe_i32 v163 /*v419*/, v170 /*v426*/, 0, 8
	v_bfe_i32 v182 /*v438*/, v170 /*v426*/, 8, 8
	;; [unrolled: 1-line block ×3, first 2 shown]
	s_set_vgpr_msb 0x44                     ;  msbs: dst=1 src0=0 src1=1 src2=0
	v_ashrrev_i32_e32 v185 /*v441*/, 24, v170 /*v426*/
	v_mul_i32_i24_e32 v169 /*v425*/, v66, v114 /*v370*/
	v_mul_i32_i24_e32 v170 /*v426*/, v68, v115 /*v371*/
	s_set_vgpr_msb 0x55                     ;  msbs: dst=1 src0=1 src1=1 src2=1
	v_add3_u32 v164 /*v420*/, v164 /*v420*/, v167 /*v423*/, v168 /*v424*/
	v_bfe_i32 v186 /*v442*/, v171 /*v427*/, 0, 8
	v_bfe_i32 v187 /*v443*/, v171 /*v427*/, 8, 8
	;; [unrolled: 1-line block ×3, first 2 shown]
	v_dual_ashrrev_i32 v189 /*v445*/, 24, v171 /*v427*/ :: v_dual_ashrrev_i32 v193 /*v449*/, 24, v172 /*v428*/
	v_bfe_i32 v190 /*v446*/, v172 /*v428*/, 0, 8
	v_bfe_i32 v191 /*v447*/, v172 /*v428*/, 8, 8
	;; [unrolled: 1-line block ×3, first 2 shown]
	s_set_vgpr_msb 0x44                     ;  msbs: dst=1 src0=0 src1=1 src2=0
	v_mul_i32_i24_e32 v171 /*v427*/, v69, v116 /*v372*/
	v_mul_i32_i24_e32 v172 /*v428*/, v70, v117 /*v373*/
	s_set_vgpr_msb 0x55                     ;  msbs: dst=1 src0=1 src1=1 src2=1
	v_add3_u32 v164 /*v420*/, v164 /*v420*/, v169 /*v425*/, v170 /*v426*/
	v_bfe_i32 v194 /*v450*/, v173 /*v429*/, 0, 8
	v_bfe_i32 v195 /*v451*/, v173 /*v429*/, 8, 8
	;; [unrolled: 1-line block ×3, first 2 shown]
	s_wait_dscnt 0x0
	v_dual_ashrrev_i32 v197 /*v453*/, 24, v173 /*v429*/ :: v_dual_ashrrev_i32 v201 /*v457*/, 24, v174 /*v430*/
	v_bfe_i32 v198 /*v454*/, v174 /*v430*/, 0, 8
	v_bfe_i32 v199 /*v455*/, v174 /*v430*/, 8, 8
	;; [unrolled: 1-line block ×3, first 2 shown]
	s_set_vgpr_msb 0x44                     ;  msbs: dst=1 src0=0 src1=1 src2=0
	v_mul_i32_i24_e32 v173 /*v429*/, v72, v118 /*v374*/
	v_mul_i32_i24_e32 v174 /*v430*/, v91, v119 /*v375*/
	s_set_vgpr_msb 0x55                     ;  msbs: dst=1 src0=1 src1=1 src2=1
	v_add3_u32 v164 /*v420*/, v164 /*v420*/, v171 /*v427*/, v172 /*v428*/
	v_bfe_i32 v202 /*v458*/, v175 /*v431*/, 0, 8
	v_bfe_i32 v203 /*v459*/, v175 /*v431*/, 8, 8
	;; [unrolled: 1-line block ×3, first 2 shown]
	v_dual_ashrrev_i32 v205 /*v461*/, 24, v175 /*v431*/ :: v_dual_ashrrev_i32 v209 /*v465*/, 24, v176 /*v432*/
	v_bfe_i32 v206 /*v462*/, v176 /*v432*/, 0, 8
	v_bfe_i32 v207 /*v463*/, v176 /*v432*/, 8, 8
	;; [unrolled: 1-line block ×3, first 2 shown]
	s_set_vgpr_msb 0x44                     ;  msbs: dst=1 src0=0 src1=1 src2=0
	v_mul_i32_i24_e32 v175 /*v431*/, v93, v120 /*v376*/
	v_mul_i32_i24_e32 v176 /*v432*/, v148, v121 /*v377*/
	s_set_vgpr_msb 0x55                     ;  msbs: dst=1 src0=1 src1=1 src2=1
	v_add3_u32 v164 /*v420*/, v164 /*v420*/, v173 /*v429*/, v174 /*v430*/
	v_bfe_i32 v210 /*v466*/, v177 /*v433*/, 0, 8
	v_bfe_i32 v211 /*v467*/, v177 /*v433*/, 8, 8
	;; [unrolled: 1-line block ×3, first 2 shown]
	v_ashrrev_i32_e32 v161 /*v417*/, 24, v177 /*v433*/
	s_set_vgpr_msb 0x44                     ;  msbs: dst=1 src0=0 src1=1 src2=0
	v_mul_i32_i24_e32 v177 /*v433*/, v149, v122 /*v378*/
	v_mul_i32_i24_e32 v178 /*v434*/, v150, v123 /*v379*/
	s_set_vgpr_msb 0x55                     ;  msbs: dst=1 src0=1 src1=1 src2=1
	v_add3_u32 v164 /*v420*/, v164 /*v420*/, v175 /*v431*/, v176 /*v432*/
	s_set_vgpr_msb 0x44                     ;  msbs: dst=1 src0=0 src1=1 src2=0
	v_mul_i32_i24_e32 v181 /*v437*/, v151, v124 /*v380*/
	v_mul_i32_i24_e32 v213 /*v469*/, v152, v125 /*v381*/
	s_set_vgpr_msb 0x41                     ;  msbs: dst=1 src0=1 src1=0 src2=0
	v_mul_i32_i24_e32 v214 /*v470*/, v127 /*v383*/, v153
	v_mul_i32_i24_e32 v215 /*v471*/, v126 /*v382*/, v154
	s_set_vgpr_msb 0x55                     ;  msbs: dst=1 src0=1 src1=1 src2=1
	v_add3_u32 v164 /*v420*/, v164 /*v420*/, v177 /*v433*/, v178 /*v434*/
	s_set_vgpr_msb 0x41                     ;  msbs: dst=1 src0=1 src1=0 src2=0
	v_mul_i32_i24_e32 v216 /*v472*/, v129 /*v385*/, v155
	v_mul_i32_i24_e32 v217 /*v473*/, v128 /*v384*/, v156
	;; [unrolled: 1-line block ×4, first 2 shown]
	s_set_vgpr_msb 0x55                     ;  msbs: dst=1 src0=1 src1=1 src2=1
	v_add3_u32 v164 /*v420*/, v164 /*v420*/, v181 /*v437*/, v213 /*v469*/
	s_set_vgpr_msb 0x41                     ;  msbs: dst=1 src0=1 src1=0 src2=0
	v_mul_i32_i24_e32 v220 /*v476*/, v141 /*v397*/, v159
	v_mul_i32_i24_e32 v221 /*v477*/, v138 /*v394*/, v160
	s_set_vgpr_msb 0x44                     ;  msbs: dst=1 src0=0 src1=1 src2=0
	v_mul_i32_i24_e32 v222 /*v478*/, v161, v144 /*v400*/
	v_mul_i32_i24_e32 v223 /*v479*/, v162, v145 /*v401*/
	s_set_vgpr_msb 0x55                     ;  msbs: dst=1 src0=1 src1=1 src2=1
	v_add3_u32 v164 /*v420*/, v164 /*v420*/, v214 /*v470*/, v215 /*v471*/
	v_mul_i32_i24_e32 v165 /*v421*/, v148 /*v404*/, v184 /*v440*/
	v_mul_i32_i24_e32 v166 /*v422*/, v139 /*v395*/, v185 /*v441*/
	;; [unrolled: 1-line block ×4, first 2 shown]
	v_add3_u32 v164 /*v420*/, v164 /*v420*/, v216 /*v472*/, v217 /*v473*/
	s_set_vgpr_msb 0x44                     ;  msbs: dst=1 src0=0 src1=1 src2=0
	v_mul_i32_i24_e32 v169 /*v425*/, v116, v190 /*v446*/
	s_set_vgpr_msb 0x55                     ;  msbs: dst=1 src0=1 src1=1 src2=1
	v_mul_i32_i24_e32 v170 /*v426*/, v152 /*v408*/, v191 /*v447*/
	v_mul_i32_i24_e32 v171 /*v427*/, v151 /*v407*/, v192 /*v448*/
	v_mul_i32_i24_e32 v172 /*v428*/, v132 /*v388*/, v193 /*v449*/
	v_add3_u32 v164 /*v420*/, v164 /*v420*/, v218 /*v474*/, v219 /*v475*/
	s_set_vgpr_msb 0x44                     ;  msbs: dst=1 src0=0 src1=1 src2=0
	v_mul_i32_i24_e32 v173 /*v429*/, v117, v194 /*v450*/
	s_set_vgpr_msb 0x55                     ;  msbs: dst=1 src0=1 src1=1 src2=1
	v_mul_i32_i24_e32 v174 /*v430*/, v154 /*v410*/, v195 /*v451*/
	v_mul_i32_i24_e32 v175 /*v431*/, v153 /*v409*/, v196 /*v452*/
	v_mul_i32_i24_e32 v176 /*v432*/, v133 /*v389*/, v197 /*v453*/
	v_add3_u32 v164 /*v420*/, v164 /*v420*/, v220 /*v476*/, v221 /*v477*/
	s_set_vgpr_msb 0x44                     ;  msbs: dst=1 src0=0 src1=1 src2=0
	v_mul_i32_i24_e32 v178 /*v434*/, v112, v198 /*v454*/
	s_set_vgpr_msb 0x55                     ;  msbs: dst=1 src0=1 src1=1 src2=1
	v_mul_i32_i24_e32 v213 /*v469*/, v156 /*v412*/, v199 /*v455*/
	v_mul_i32_i24_e32 v214 /*v470*/, v155 /*v411*/, v200 /*v456*/
	v_mul_i32_i24_e32 v215 /*v471*/, v134 /*v390*/, v201 /*v457*/
	v_add3_u32 v181 /*v437*/, v164 /*v420*/, v222 /*v478*/, v223 /*v479*/
	s_set_vgpr_msb 0x44                     ;  msbs: dst=1 src0=0 src1=1 src2=0
	v_mul_i32_i24_e32 v164 /*v420*/, v118, v163 /*v419*/
	v_mul_i32_i24_e32 v216 /*v472*/, v113, v202 /*v458*/
	s_set_vgpr_msb 0x45                     ;  msbs: dst=1 src0=1 src1=1 src2=0
	v_mul_i32_i24_e32 v217 /*v473*/, v158 /*v414*/, v203 /*v459*/
	v_mul_i32_i24_e32 v218 /*v474*/, v157 /*v413*/, v204 /*v460*/
	;; [unrolled: 1-line block ×3, first 2 shown]
	s_set_vgpr_msb 0x54                     ;  msbs: dst=1 src0=0 src1=1 src2=1
	v_mad_i32_i24 v164 /*v420*/, v115, v182 /*v438*/, v164 /*v420*/
	v_mul_i32_i24_e32 v220 /*v476*/, v114, v206 /*v462*/
	s_set_vgpr_msb 0x55                     ;  msbs: dst=1 src0=1 src1=1 src2=1
	v_mul_i32_i24_e32 v221 /*v477*/, v160 /*v416*/, v207 /*v463*/
	v_mul_i32_i24_e32 v222 /*v478*/, v159 /*v415*/, v208 /*v464*/
	;; [unrolled: 1-line block ×3, first 2 shown]
	v_add3_u32 v164 /*v420*/, v164 /*v420*/, v165 /*v421*/, v166 /*v422*/
	s_set_vgpr_msb 0x44                     ;  msbs: dst=1 src0=0 src1=1 src2=0
	v_mul_i32_i24_e32 v165 /*v421*/, v119, v186 /*v442*/
	s_set_vgpr_msb 0x45                     ;  msbs: dst=1 src0=1 src1=1 src2=0
	v_mul_i32_i24_e32 v166 /*v422*/, v150 /*v406*/, v187 /*v443*/
	v_mul_i32_i24_e32 v224 /*v480*/, v210 /*v466*/, v140 /*v396*/
	;; [unrolled: 1-line block ×3, first 2 shown]
	s_set_vgpr_msb 64                       ;  msbs: dst=1 src0=0 src1=0 src2=0
	v_mul_i32_i24_e32 v226 /*v482*/, v197, v160
	v_mul_i32_i24_e32 v227 /*v483*/, v161, v203
	s_set_vgpr_msb 0x55                     ;  msbs: dst=1 src0=1 src1=1 src2=1
	v_add3_u32 v164 /*v420*/, v164 /*v420*/, v165 /*v421*/, v166 /*v422*/
	s_set_vgpr_msb 64                       ;  msbs: dst=1 src0=0 src1=0 src2=0
	v_mul_i32_i24_e32 v165 /*v421*/, v59, v173
	v_mul_i32_i24_e32 v166 /*v422*/, v60, v174
	;; [unrolled: 1-line block ×3, first 2 shown]
	s_set_vgpr_msb 0x41                     ;  msbs: dst=1 src0=1 src1=0 src2=0
	v_mul_i32_i24_e32 v229 /*v485*/, v210 /*v466*/, v244
	s_set_vgpr_msb 0x55                     ;  msbs: dst=1 src0=1 src1=1 src2=1
	v_add3_u32 v164 /*v420*/, v164 /*v420*/, v167 /*v423*/, v168 /*v424*/
	s_set_vgpr_msb 64                       ;  msbs: dst=1 src0=0 src1=0 src2=0
	v_mul_i32_i24_e32 v167 /*v423*/, v64, v177
	v_mul_i32_i24_e32 v168 /*v424*/, v65, v178
	s_set_vgpr_msb 0x41                     ;  msbs: dst=1 src0=1 src1=0 src2=0
	v_mul_i32_i24_e32 v230 /*v486*/, v211 /*v467*/, v245
	v_mul_i32_i24_e32 v231 /*v487*/, v5 /*v261*/, v160
	s_set_vgpr_msb 0x55                     ;  msbs: dst=1 src0=1 src1=1 src2=1
	v_add3_u32 v164 /*v420*/, v164 /*v420*/, v169 /*v425*/, v170 /*v426*/
	s_set_vgpr_msb 64                       ;  msbs: dst=1 src0=0 src1=0 src2=0
	v_mul_i32_i24_e32 v169 /*v425*/, v66, v179
	v_mul_i32_i24_e32 v170 /*v426*/, v68, v180
	s_set_vgpr_msb 0x44                     ;  msbs: dst=1 src0=0 src1=1 src2=0
	v_mul_i32_i24_e32 v232 /*v488*/, v161, v11 /*v267*/
	v_mul_i32_i24_e32 v233 /*v489*/, v162, v13 /*v269*/
	s_set_vgpr_msb 0x55                     ;  msbs: dst=1 src0=1 src1=1 src2=1
	v_add3_u32 v164 /*v420*/, v164 /*v420*/, v171 /*v427*/, v172 /*v428*/
	s_set_vgpr_msb 64                       ;  msbs: dst=1 src0=0 src1=0 src2=0
	v_mul_i32_i24_e32 v171 /*v427*/, v69, v181
	v_mul_i32_i24_e32 v172 /*v428*/, v70, v182
	s_set_vgpr_msb 0x55                     ;  msbs: dst=1 src0=1 src1=1 src2=1
	v_mul_i32_i24_e32 v234 /*v490*/, v210 /*v466*/, v39 /*v295*/
	v_mul_i32_i24_e32 v235 /*v491*/, v211 /*v467*/, v40 /*v296*/
	v_add3_u32 v164 /*v420*/, v164 /*v420*/, v173 /*v429*/, v174 /*v430*/
	s_set_vgpr_msb 64                       ;  msbs: dst=1 src0=0 src1=0 src2=0
	v_mul_i32_i24_e32 v173 /*v429*/, v72, v183
	s_set_vgpr_msb 0x45                     ;  msbs: dst=1 src0=1 src1=1 src2=0
	v_mul_i32_i24_e32 v180 /*v436*/, v162 /*v418*/, v147 /*v403*/
	v_mul_i32_i24_e32 v177 /*v433*/, v212 /*v468*/, v143 /*v399*/
	s_set_vgpr_msb 0x44                     ;  msbs: dst=1 src0=0 src1=1 src2=0
	v_mul_i32_i24_e32 v179 /*v435*/, v163, v146 /*v402*/
	s_set_vgpr_msb 0x55                     ;  msbs: dst=1 src0=1 src1=1 src2=1
	v_add3_u32 v164 /*v420*/, v164 /*v420*/, v175 /*v431*/, v176 /*v432*/
	s_set_vgpr_msb 64                       ;  msbs: dst=1 src0=0 src1=0 src2=0
	v_mul_i32_i24_e32 v176 /*v432*/, v91, v184
	s_set_vgpr_msb 0x41                     ;  msbs: dst=1 src0=1 src1=0 src2=0
	v_mul_i32_i24_e32 v175 /*v431*/, v162 /*v418*/, v209
	s_set_vgpr_msb 64                       ;  msbs: dst=1 src0=0 src1=0 src2=0
	v_mul_i32_i24_e32 v174 /*v430*/, v163, v207
	s_set_vgpr_msb 0x55                     ;  msbs: dst=1 src0=1 src1=1 src2=1
	v_add3_u32 v164 /*v420*/, v164 /*v420*/, v178 /*v434*/, v213 /*v469*/
	s_set_vgpr_msb 64                       ;  msbs: dst=1 src0=0 src1=0 src2=0
	v_mul_i32_i24_e32 v213 /*v469*/, v93, v185
	s_set_vgpr_msb 0x55                     ;  msbs: dst=1 src0=1 src1=1 src2=1
	s_delay_alu instid0(VALU_DEP_2)
	v_add3_u32 v164 /*v420*/, v164 /*v420*/, v214 /*v470*/, v215 /*v471*/
	s_set_vgpr_msb 64                       ;  msbs: dst=1 src0=0 src1=0 src2=0
	v_mul_i32_i24_e32 v214 /*v470*/, v148, v186
	v_mul_i32_i24_e32 v215 /*v471*/, v149, v187
	s_set_vgpr_msb 0x55                     ;  msbs: dst=1 src0=1 src1=1 src2=1
	v_add3_u32 v164 /*v420*/, v164 /*v420*/, v216 /*v472*/, v217 /*v473*/
	s_set_vgpr_msb 64                       ;  msbs: dst=1 src0=0 src1=0 src2=0
	v_mul_i32_i24_e32 v216 /*v472*/, v150, v188
	v_mul_i32_i24_e32 v217 /*v473*/, v151, v189
	s_set_vgpr_msb 0x55                     ;  msbs: dst=1 src0=1 src1=1 src2=1
	;; [unrolled: 5-line block ×5, first 2 shown]
	v_add3_u32 v178 /*v434*/, v164 /*v420*/, v224 /*v480*/, v225 /*v481*/
	s_set_vgpr_msb 0x50                     ;  msbs: dst=1 src0=0 src1=0 src2=1
	v_mul_i32_i24_e32 v164 /*v420*/, v41, v126
	v_mul_i32_i24_e32 v224 /*v480*/, v195, v158
	;; [unrolled: 1-line block ×3, first 2 shown]
	s_delay_alu instid0(VALU_DEP_3) | instskip(SKIP_1) | instid1(VALU_DEP_1)
	v_mad_i32_i24 v164 /*v420*/, v58, v124, v164 /*v420*/
	s_set_vgpr_msb 0x55                     ;  msbs: dst=1 src0=1 src1=1 src2=1
	v_add3_u32 v164 /*v420*/, v164 /*v420*/, v165 /*v421*/, v166 /*v422*/
	s_set_vgpr_msb 64                       ;  msbs: dst=1 src0=0 src1=0 src2=0
	v_mul_i32_i24_e32 v165 /*v421*/, v61, v175
	v_mul_i32_i24_e32 v166 /*v422*/, v62, v176
	s_set_vgpr_msb 0x55                     ;  msbs: dst=1 src0=1 src1=1 src2=1
	s_delay_alu instid0(VALU_DEP_1)
	v_add3_u32 v164 /*v420*/, v164 /*v420*/, v165 /*v421*/, v166 /*v422*/
	s_set_vgpr_msb 0x41                     ;  msbs: dst=1 src0=1 src1=0 src2=0
	v_mul_i32_i24_e32 v165 /*v421*/, v184 /*v440*/, v198
	v_mul_i32_i24_e32 v166 /*v422*/, v185 /*v441*/, v204
	s_set_vgpr_msb 0x55                     ;  msbs: dst=1 src0=1 src1=1 src2=1
	v_add3_u32 v164 /*v420*/, v164 /*v420*/, v167 /*v423*/, v168 /*v424*/
	s_set_vgpr_msb 0x41                     ;  msbs: dst=1 src0=1 src1=0 src2=0
	v_mul_i32_i24_e32 v167 /*v423*/, v188 /*v444*/, v202
	v_mul_i32_i24_e32 v168 /*v424*/, v189 /*v445*/, v212
	s_set_vgpr_msb 0x55                     ;  msbs: dst=1 src0=1 src1=1 src2=1
	;; [unrolled: 5-line block ×4, first 2 shown]
	v_add3_u32 v164 /*v420*/, v164 /*v420*/, v173 /*v429*/, v176 /*v432*/
	s_set_vgpr_msb 0x41                     ;  msbs: dst=1 src0=1 src1=0 src2=0
	v_mul_i32_i24_e32 v173 /*v429*/, v193 /*v449*/, v216
	s_set_vgpr_msb 0x55                     ;  msbs: dst=1 src0=1 src1=1 src2=1
	s_delay_alu instid0(VALU_DEP_2)
	v_add3_u32 v164 /*v420*/, v164 /*v420*/, v213 /*v469*/, v214 /*v470*/
	s_set_vgpr_msb 0x41                     ;  msbs: dst=1 src0=1 src1=0 src2=0
	v_mul_i32_i24_e32 v213 /*v469*/, v194 /*v450*/, v218
	v_mul_i32_i24_e32 v214 /*v470*/, v195 /*v451*/, v220
	s_set_vgpr_msb 0x55                     ;  msbs: dst=1 src0=1 src1=1 src2=1
	v_add3_u32 v164 /*v420*/, v164 /*v420*/, v215 /*v471*/, v216 /*v472*/
	s_set_vgpr_msb 0x41                     ;  msbs: dst=1 src0=1 src1=0 src2=0
	v_mul_i32_i24_e32 v215 /*v471*/, v196 /*v452*/, v215
	v_mul_i32_i24_e32 v216 /*v472*/, v197 /*v453*/, v221
	s_set_vgpr_msb 0x55                     ;  msbs: dst=1 src0=1 src1=1 src2=1
	;; [unrolled: 5-line block ×3, first 2 shown]
	v_add3_u32 v164 /*v420*/, v164 /*v420*/, v219 /*v475*/, v220 /*v476*/
	s_set_vgpr_msb 0x44                     ;  msbs: dst=1 src0=0 src1=1 src2=0
	v_mul_i32_i24_e32 v219 /*v475*/, v229, v200 /*v456*/
	v_mul_i32_i24_e32 v220 /*v476*/, v226, v201 /*v457*/
	s_set_vgpr_msb 0x55                     ;  msbs: dst=1 src0=1 src1=1 src2=1
	v_add3_u32 v164 /*v420*/, v164 /*v420*/, v221 /*v477*/, v222 /*v478*/
	s_set_vgpr_msb 0x44                     ;  msbs: dst=1 src0=0 src1=1 src2=0
	v_mul_i32_i24_e32 v221 /*v477*/, v231, v202 /*v458*/
	v_mul_i32_i24_e32 v222 /*v478*/, v232, v203 /*v459*/
	s_set_vgpr_msb 0x55                     ;  msbs: dst=1 src0=1 src1=1 src2=1
	v_add3_u32 v164 /*v420*/, v164 /*v420*/, v223 /*v479*/, v224 /*v480*/
	s_set_vgpr_msb 0x44                     ;  msbs: dst=1 src0=0 src1=1 src2=0
	v_mul_i32_i24_e32 v223 /*v479*/, v235, v204 /*v460*/
	v_mul_i32_i24_e32 v224 /*v480*/, v234, v205 /*v461*/
	s_set_vgpr_msb 0x55                     ;  msbs: dst=1 src0=1 src1=1 src2=1
	v_add3_u32 v164 /*v420*/, v164 /*v420*/, v225 /*v481*/, v226 /*v482*/
	s_set_vgpr_msb 0x44                     ;  msbs: dst=1 src0=0 src1=1 src2=0
	v_mul_i32_i24_e32 v225 /*v481*/, v236, v206 /*v462*/
	v_mul_i32_i24_e32 v226 /*v482*/, v237, v207 /*v463*/
	s_set_vgpr_msb 0x55                     ;  msbs: dst=1 src0=1 src1=1 src2=1
	v_add3_u32 v176 /*v432*/, v164 /*v420*/, v227 /*v483*/, v228 /*v484*/
	s_set_vgpr_msb 0x41                     ;  msbs: dst=1 src0=1 src1=0 src2=0
	v_mul_i32_i24_e32 v164 /*v420*/, v163 /*v419*/, v201
	s_set_vgpr_msb 0x44                     ;  msbs: dst=1 src0=0 src1=1 src2=0
	v_mul_i32_i24_e32 v227 /*v483*/, v242, v208 /*v464*/
	v_mul_i32_i24_e32 v228 /*v484*/, v239, v209 /*v465*/
	s_set_vgpr_msb 0x51                     ;  msbs: dst=1 src0=1 src1=0 src2=1
	v_mad_i32_i24 v164 /*v420*/, v182 /*v438*/, v200, v164 /*v420*/
	s_set_vgpr_msb 0x55                     ;  msbs: dst=1 src0=1 src1=1 src2=1
	s_delay_alu instid0(VALU_DEP_1) | instskip(SKIP_4) | instid1(VALU_DEP_1)
	v_add3_u32 v164 /*v420*/, v164 /*v420*/, v165 /*v421*/, v166 /*v422*/
	s_set_vgpr_msb 0x41                     ;  msbs: dst=1 src0=1 src1=0 src2=0
	v_mul_i32_i24_e32 v165 /*v421*/, v186 /*v442*/, v208
	v_mul_i32_i24_e32 v166 /*v422*/, v187 /*v443*/, v210
	s_set_vgpr_msb 0x55                     ;  msbs: dst=1 src0=1 src1=1 src2=1
	v_add3_u32 v164 /*v420*/, v164 /*v420*/, v165 /*v421*/, v166 /*v422*/
	s_set_vgpr_msb 64                       ;  msbs: dst=1 src0=0 src1=0 src2=0
	v_mul_i32_i24_e32 v165 /*v421*/, v59, v222
	v_mul_i32_i24_e32 v166 /*v422*/, v60, v224
	s_set_vgpr_msb 4                        ;  msbs: dst=0 src0=0 src1=1 src2=0
	v_mul_i32_i24_e32 v59, v59, v47 /*v303*/
	v_mul_i32_i24_e32 v60, v60, v48 /*v304*/
	s_set_vgpr_msb 0x55                     ;  msbs: dst=1 src0=1 src1=1 src2=1
	v_add3_u32 v164 /*v420*/, v164 /*v420*/, v167 /*v423*/, v168 /*v424*/
	s_set_vgpr_msb 64                       ;  msbs: dst=1 src0=0 src1=0 src2=0
	v_mul_i32_i24_e32 v167 /*v423*/, v64, v230
	v_mul_i32_i24_e32 v168 /*v424*/, v65, v233
	s_set_vgpr_msb 0x55                     ;  msbs: dst=1 src0=1 src1=1 src2=1
	v_add3_u32 v164 /*v420*/, v164 /*v420*/, v169 /*v425*/, v170 /*v426*/
	v_mul_i32_i24_e32 v170 /*v426*/, v162 /*v418*/, v16 /*v272*/
	s_set_vgpr_msb 0x44                     ;  msbs: dst=1 src0=0 src1=1 src2=0
	v_mul_i32_i24_e32 v169 /*v425*/, v163, v14 /*v270*/
	s_set_vgpr_msb 0x55                     ;  msbs: dst=1 src0=1 src1=1 src2=1
	v_add3_u32 v164 /*v420*/, v164 /*v420*/, v171 /*v427*/, v173 /*v429*/
	s_set_vgpr_msb 64                       ;  msbs: dst=1 src0=0 src1=0 src2=0
	v_mul_i32_i24_e32 v171 /*v427*/, v66, v238
	s_set_vgpr_msb 0x55                     ;  msbs: dst=1 src0=1 src1=1 src2=1
	s_delay_alu instid0(VALU_DEP_2)
	v_add3_u32 v164 /*v420*/, v164 /*v420*/, v213 /*v469*/, v214 /*v470*/
	s_set_vgpr_msb 64                       ;  msbs: dst=1 src0=0 src1=0 src2=0
	v_mul_i32_i24_e32 v213 /*v469*/, v68, v240
	v_mul_i32_i24_e32 v214 /*v470*/, v69, v241
	s_set_vgpr_msb 0x55                     ;  msbs: dst=1 src0=1 src1=1 src2=1
	v_add3_u32 v164 /*v420*/, v164 /*v420*/, v215 /*v471*/, v216 /*v472*/
	s_set_vgpr_msb 64                       ;  msbs: dst=1 src0=0 src1=0 src2=0
	v_mul_i32_i24_e32 v215 /*v471*/, v70, v243
	v_mul_i32_i24_e32 v216 /*v472*/, v72, v247
	s_set_vgpr_msb 0x55                     ;  msbs: dst=1 src0=1 src1=1 src2=1
	;; [unrolled: 5-line block ×5, first 2 shown]
	v_add3_u32 v164 /*v420*/, v164 /*v420*/, v223 /*v479*/, v224 /*v480*/
	s_set_vgpr_msb 64                       ;  msbs: dst=1 src0=0 src1=0 src2=0
	v_mul_i32_i24_e32 v223 /*v479*/, v152, v254
	s_set_vgpr_msb 0x41                     ;  msbs: dst=1 src0=1 src1=0 src2=0
	v_mul_i32_i24_e32 v224 /*v480*/, v0 /*v256*/, v153
	s_set_vgpr_msb 0x55                     ;  msbs: dst=1 src0=1 src1=1 src2=1
	v_add3_u32 v164 /*v420*/, v164 /*v420*/, v225 /*v481*/, v226 /*v482*/
	s_set_vgpr_msb 64                       ;  msbs: dst=1 src0=0 src1=0 src2=0
	v_mul_i32_i24_e32 v225 /*v481*/, v255, v154
	s_set_vgpr_msb 0x41                     ;  msbs: dst=1 src0=1 src1=0 src2=0
	v_mul_i32_i24_e32 v226 /*v482*/, v2 /*v258*/, v155
	s_set_vgpr_msb 0x55                     ;  msbs: dst=1 src0=1 src1=1 src2=1
	v_add3_u32 v164 /*v420*/, v164 /*v420*/, v227 /*v483*/, v228 /*v484*/
	s_set_vgpr_msb 0x41                     ;  msbs: dst=1 src0=1 src1=0 src2=0
	v_mul_i32_i24_e32 v227 /*v483*/, v1 /*v257*/, v156
	v_mul_i32_i24_e32 v228 /*v484*/, v4 /*v260*/, v157
	s_set_vgpr_msb 0x55                     ;  msbs: dst=1 src0=1 src1=1 src2=1
	v_add3_u32 v173 /*v429*/, v164 /*v420*/, v229 /*v485*/, v230 /*v486*/
	s_set_vgpr_msb 64                       ;  msbs: dst=1 src0=0 src1=0 src2=0
	v_mul_i32_i24_e32 v164 /*v420*/, v41, v219
	s_set_vgpr_msb 4                        ;  msbs: dst=0 src0=0 src1=1 src2=0
	v_mul_i32_i24_e32 v41, v41, v46 /*v302*/
	s_set_vgpr_msb 0x41                     ;  msbs: dst=1 src0=1 src1=0 src2=0
	v_mul_i32_i24_e32 v229 /*v485*/, v3 /*v259*/, v158
	v_mul_i32_i24_e32 v230 /*v486*/, v7 /*v263*/, v159
	s_set_vgpr_msb 0x50                     ;  msbs: dst=1 src0=0 src1=0 src2=1
	v_mad_i32_i24 v164 /*v420*/, v58, v217, v164 /*v420*/
	s_set_vgpr_msb 4                        ;  msbs: dst=0 src0=0 src1=1 src2=0
	v_mad_i32_i24 v41, v58, v45 /*v301*/, v41
	v_mul_i32_i24_e32 v58, v61, v49 /*v305*/
	s_set_vgpr_msb 0x55                     ;  msbs: dst=1 src0=1 src1=1 src2=1
	v_add3_u32 v164 /*v420*/, v164 /*v420*/, v165 /*v421*/, v166 /*v422*/
	s_set_vgpr_msb 64                       ;  msbs: dst=1 src0=0 src1=0 src2=0
	v_mul_i32_i24_e32 v165 /*v421*/, v61, v227
	v_mul_i32_i24_e32 v166 /*v422*/, v62, v228
	s_set_vgpr_msb 0                        ;  msbs: dst=0 src0=0 src1=0 src2=0
	v_add3_u32 v41, v41, v59, v60
	s_set_vgpr_msb 4                        ;  msbs: dst=0 src0=0 src1=1 src2=0
	v_mul_i32_i24_e32 v59, v62, v50 /*v306*/
	v_mul_i32_i24_e32 v60, v64, v51 /*v307*/
	;; [unrolled: 1-line block ×3, first 2 shown]
	s_set_vgpr_msb 0x55                     ;  msbs: dst=1 src0=1 src1=1 src2=1
	v_add3_u32 v164 /*v420*/, v164 /*v420*/, v165 /*v421*/, v166 /*v422*/
	s_set_vgpr_msb 4                        ;  msbs: dst=0 src0=0 src1=1 src2=0
	v_mul_i32_i24_e32 v62, v66, v53 /*v309*/
	s_set_vgpr_msb 0                        ;  msbs: dst=0 src0=0 src1=0 src2=0
	v_add3_u32 v41, v41, v58, v59
	s_set_vgpr_msb 4                        ;  msbs: dst=0 src0=0 src1=1 src2=0
	v_mul_i32_i24_e32 v64, v68, v54 /*v310*/
	v_mul_i32_i24_e32 v65, v69, v55 /*v311*/
	s_set_vgpr_msb 0x55                     ;  msbs: dst=1 src0=1 src1=1 src2=1
	v_add3_u32 v164 /*v420*/, v164 /*v420*/, v167 /*v423*/, v168 /*v424*/
	s_set_vgpr_msb 4                        ;  msbs: dst=0 src0=0 src1=1 src2=0
	v_mul_i32_i24_e32 v66, v70, v56 /*v312*/
	s_set_vgpr_msb 0                        ;  msbs: dst=0 src0=0 src1=0 src2=0
	v_add3_u32 v41, v41, v60, v61
	s_set_vgpr_msb 4                        ;  msbs: dst=0 src0=0 src1=1 src2=0
	v_mul_i32_i24_e32 v68, v72, v57 /*v313*/
	v_mul_i32_i24_e32 v69, v91, v58 /*v314*/
	;; [unrolled: 9-line block ×4, first 2 shown]
	s_set_vgpr_msb 0x55                     ;  msbs: dst=1 src0=1 src1=1 src2=1
	v_add3_u32 v164 /*v420*/, v164 /*v420*/, v216 /*v472*/, v217 /*v473*/
	s_set_vgpr_msb 1                        ;  msbs: dst=0 src0=1 src1=0 src2=0
	v_mul_i32_i24_e32 v150, v66 /*v322*/, v153
	s_set_vgpr_msb 0                        ;  msbs: dst=0 src0=0 src1=0 src2=0
	v_add3_u32 v41, v41, v68, v69
	s_set_vgpr_msb 1                        ;  msbs: dst=0 src0=1 src1=0 src2=0
	v_mul_i32_i24_e32 v151, v65 /*v321*/, v154
	v_mul_i32_i24_e32 v152, v68 /*v324*/, v155
	s_set_vgpr_msb 0x55                     ;  msbs: dst=1 src0=1 src1=1 src2=1
	v_add3_u32 v164 /*v420*/, v164 /*v420*/, v218 /*v474*/, v219 /*v475*/
	s_set_vgpr_msb 1                        ;  msbs: dst=0 src0=1 src1=0 src2=0
	v_mul_i32_i24_e32 v153, v67 /*v323*/, v156
	s_set_vgpr_msb 0                        ;  msbs: dst=0 src0=0 src1=0 src2=0
	v_add3_u32 v41, v41, v70, v72
	s_set_vgpr_msb 1                        ;  msbs: dst=0 src0=1 src1=0 src2=0
	v_mul_i32_i24_e32 v154, v70 /*v326*/, v157
	v_mul_i32_i24_e32 v155, v69 /*v325*/, v158
	s_set_vgpr_msb 0x55                     ;  msbs: dst=1 src0=1 src1=1 src2=1
	v_add3_u32 v164 /*v420*/, v164 /*v420*/, v220 /*v476*/, v221 /*v477*/
	v_mul_i32_i24_e32 v165 /*v421*/, v184 /*v440*/, v6 /*v262*/
	s_set_vgpr_msb 0                        ;  msbs: dst=0 src0=0 src1=0 src2=0
	v_add3_u32 v41, v41, v91, v93
	s_set_vgpr_msb 0x45                     ;  msbs: dst=1 src0=1 src1=1 src2=0
	v_mul_i32_i24_e32 v166 /*v422*/, v185 /*v441*/, v12 /*v268*/
	s_set_vgpr_msb 1                        ;  msbs: dst=0 src0=1 src1=0 src2=0
	v_mul_i32_i24_e32 v156, v73 /*v329*/, v159
	s_set_vgpr_msb 0x55                     ;  msbs: dst=1 src0=1 src1=1 src2=1
	v_add3_u32 v164 /*v420*/, v164 /*v420*/, v222 /*v478*/, v223 /*v479*/
	s_set_vgpr_msb 1                        ;  msbs: dst=0 src0=1 src1=0 src2=0
	v_mul_i32_i24_e32 v157, v71 /*v327*/, v160
	s_set_vgpr_msb 0                        ;  msbs: dst=0 src0=0 src1=0 src2=0
	v_add3_u32 v41, v41, v148, v149
	s_set_vgpr_msb 4                        ;  msbs: dst=0 src0=0 src1=1 src2=0
	v_mul_i32_i24_e32 v158, v161, v77 /*v333*/
	v_mul_i32_i24_e32 v159, v162, v79 /*v335*/
	s_set_vgpr_msb 0x55                     ;  msbs: dst=1 src0=1 src1=1 src2=1
	v_add3_u32 v164 /*v420*/, v164 /*v420*/, v224 /*v480*/, v225 /*v481*/
	s_set_vgpr_msb 5                        ;  msbs: dst=0 src0=1 src1=1 src2=0
	v_mul_i32_i24_e32 v58, v184 /*v440*/, v72 /*v328*/
	s_set_vgpr_msb 0                        ;  msbs: dst=0 src0=0 src1=0 src2=0
	v_add3_u32 v41, v41, v150, v151
	s_set_vgpr_msb 5                        ;  msbs: dst=0 src0=1 src1=1 src2=0
	v_mul_i32_i24_e32 v59, v185 /*v441*/, v78 /*v334*/
	v_mul_i32_i24_e32 v60, v188 /*v444*/, v76 /*v332*/
	s_set_vgpr_msb 0x55                     ;  msbs: dst=1 src0=1 src1=1 src2=1
	v_add3_u32 v164 /*v420*/, v164 /*v420*/, v226 /*v482*/, v227 /*v483*/
	s_set_vgpr_msb 5                        ;  msbs: dst=0 src0=1 src1=1 src2=0
	v_mul_i32_i24_e32 v61, v189 /*v445*/, v85 /*v341*/
	s_set_vgpr_msb 0                        ;  msbs: dst=0 src0=0 src1=0 src2=0
	v_add3_u32 v41, v41, v152, v153
	s_set_vgpr_msb 5                        ;  msbs: dst=0 src0=1 src1=1 src2=0
	v_mul_i32_i24_e32 v62, v190 /*v446*/, v86 /*v342*/
	v_mul_i32_i24_e32 v64, v191 /*v447*/, v87 /*v343*/
	;; [unrolled: 9-line block ×4, first 2 shown]
	s_set_vgpr_msb 0x55                     ;  msbs: dst=1 src0=1 src1=1 src2=1
	v_add3_u32 v171 /*v427*/, v164 /*v420*/, v232 /*v488*/, v233 /*v489*/
	v_mul_i32_i24_e32 v164 /*v420*/, v163 /*v419*/, v9 /*v265*/
	s_set_vgpr_msb 5                        ;  msbs: dst=0 src0=1 src1=1 src2=0
	v_mul_i32_i24_e32 v91, v198 /*v454*/, v93 /*v349*/
	v_mul_i32_i24_e32 v93, v199 /*v455*/, v94 /*v350*/
	;; [unrolled: 1-line block ×4, first 2 shown]
	s_set_vgpr_msb 0x55                     ;  msbs: dst=1 src0=1 src1=1 src2=1
	v_mad_i32_i24 v164 /*v420*/, v182 /*v438*/, v8 /*v264*/, v164 /*v420*/
	s_set_vgpr_msb 5                        ;  msbs: dst=0 src0=1 src1=1 src2=0
	v_mul_i32_i24_e32 v150, v97 /*v353*/, v202 /*v458*/
	v_mul_i32_i24_e32 v151, v98 /*v354*/, v203 /*v459*/
	;; [unrolled: 1-line block ×4, first 2 shown]
	s_set_vgpr_msb 0x55                     ;  msbs: dst=1 src0=1 src1=1 src2=1
	v_add3_u32 v164 /*v420*/, v164 /*v420*/, v165 /*v421*/, v166 /*v422*/
	v_mul_i32_i24_e32 v165 /*v421*/, v186 /*v442*/, v15 /*v271*/
	v_mul_i32_i24_e32 v166 /*v422*/, v187 /*v443*/, v17 /*v273*/
	s_set_vgpr_msb 5                        ;  msbs: dst=0 src0=1 src1=1 src2=0
	v_mul_i32_i24_e32 v154, v101 /*v357*/, v206 /*v462*/
	v_mul_i32_i24_e32 v155, v102 /*v358*/, v207 /*v463*/
	;; [unrolled: 1-line block ×4, first 2 shown]
	s_set_vgpr_msb 0x55                     ;  msbs: dst=1 src0=1 src1=1 src2=1
	v_add3_u32 v164 /*v420*/, v164 /*v420*/, v165 /*v421*/, v166 /*v422*/
	s_set_vgpr_msb 64                       ;  msbs: dst=1 src0=0 src1=0 src2=0
	v_add3_u32 v166 /*v422*/, v41, v158, v159
	s_set_vgpr_msb 5                        ;  msbs: dst=0 src0=1 src1=1 src2=0
	v_mul_i32_i24_e32 v41, v163 /*v419*/, v75 /*v331*/
	v_mul_i32_i24_e32 v158, v210 /*v466*/, v105 /*v361*/
	;; [unrolled: 1-line block ×3, first 2 shown]
	s_set_vgpr_msb 0x45                     ;  msbs: dst=1 src0=1 src1=1 src2=0
	v_mul_i32_i24_e32 v168 /*v424*/, v188 /*v444*/, v10 /*v266*/
	v_mul_i32_i24_e32 v213 /*v469*/, v189 /*v445*/, v19 /*v275*/
	s_set_vgpr_msb 5                        ;  msbs: dst=0 src0=1 src1=1 src2=0
	v_mad_i32_i24 v41, v182 /*v438*/, v74 /*v330*/, v41
	s_set_vgpr_msb 0x45                     ;  msbs: dst=1 src0=1 src1=1 src2=0
	v_mul_i32_i24_e32 v214 /*v470*/, v190 /*v446*/, v20 /*v276*/
	v_mul_i32_i24_e32 v215 /*v471*/, v191 /*v447*/, v21 /*v277*/
	;; [unrolled: 1-line block ×4, first 2 shown]
	s_set_vgpr_msb 0                        ;  msbs: dst=0 src0=0 src1=0 src2=0
	v_add3_u32 v41, v41, v58, v59
	s_set_vgpr_msb 5                        ;  msbs: dst=0 src0=1 src1=1 src2=0
	v_mul_i32_i24_e32 v58, v186 /*v442*/, v81 /*v337*/
	v_mul_i32_i24_e32 v59, v187 /*v443*/, v83 /*v339*/
	s_set_vgpr_msb 0x55                     ;  msbs: dst=1 src0=1 src1=1 src2=1
	v_mul_i32_i24_e32 v220 /*v476*/, v196 /*v452*/, v22 /*v278*/
	v_mul_i32_i24_e32 v221 /*v477*/, v197 /*v453*/, v26 /*v282*/
	v_add3_u32 v164 /*v420*/, v164 /*v420*/, v168 /*v424*/, v213 /*v469*/
	v_mul_i32_i24_e32 v216 /*v472*/, v192 /*v448*/, v18 /*v274*/
	s_set_vgpr_msb 0                        ;  msbs: dst=0 src0=0 src1=0 src2=0
	v_add3_u32 v41, v41, v58, v59
	s_set_vgpr_msb 0x55                     ;  msbs: dst=1 src0=1 src1=1 src2=1
	v_mul_i32_i24_e32 v217 /*v473*/, v193 /*v449*/, v23 /*v279*/
	v_mul_i32_i24_e32 v222 /*v478*/, v198 /*v454*/, v27 /*v283*/
	v_add3_u32 v164 /*v420*/, v164 /*v420*/, v214 /*v470*/, v215 /*v471*/
	v_mul_i32_i24_e32 v223 /*v479*/, v199 /*v455*/, v28 /*v284*/
	s_set_vgpr_msb 0                        ;  msbs: dst=0 src0=0 src1=0 src2=0
	v_add3_u32 v41, v41, v60, v61
	;; [unrolled: 7-line block ×6, first 2 shown]
	s_set_vgpr_msb 0x55                     ;  msbs: dst=1 src0=1 src1=1 src2=1
	v_mul_i32_i24_e32 v162 /*v418*/, v212 /*v468*/, v107 /*v363*/
	v_add3_u32 v164 /*v420*/, v164 /*v420*/, v224 /*v480*/, v225 /*v481*/
	s_set_vgpr_msb 0                        ;  msbs: dst=0 src0=0 src1=0 src2=0
	v_add3_u32 v41, v41, v91, v93
	s_set_vgpr_msb 0x55                     ;  msbs: dst=1 src0=1 src1=1 src2=1
	s_delay_alu instid0(VALU_DEP_2) | instskip(SKIP_1) | instid1(VALU_DEP_2)
	v_add3_u32 v164 /*v420*/, v164 /*v420*/, v226 /*v482*/, v227 /*v483*/
	s_set_vgpr_msb 0                        ;  msbs: dst=0 src0=0 src1=0 src2=0
	v_add3_u32 v41, v41, v148, v149
	s_set_vgpr_msb 0x55                     ;  msbs: dst=1 src0=1 src1=1 src2=1
	s_delay_alu instid0(VALU_DEP_2) | instskip(SKIP_1) | instid1(VALU_DEP_2)
	;; [unrolled: 5-line block ×4, first 2 shown]
	v_add3_u32 v164 /*v420*/, v164 /*v420*/, v232 /*v488*/, v233 /*v489*/
	s_set_vgpr_msb 0                        ;  msbs: dst=0 src0=0 src1=0 src2=0
	v_add3_u32 v41, v41, v154, v155
	s_set_vgpr_msb 0x55                     ;  msbs: dst=1 src0=1 src1=1 src2=1
	s_delay_alu instid0(VALU_DEP_2)
	v_add3_u32 v168 /*v424*/, v164 /*v420*/, v234 /*v490*/, v235 /*v491*/
	s_set_vgpr_msb 0x44                     ;  msbs: dst=1 src0=0 src1=1 src2=0
	v_mul_i32_i24_e32 v164 /*v420*/, v163, v80 /*v336*/
	s_set_vgpr_msb 0                        ;  msbs: dst=0 src0=0 src1=0 src2=0
	v_add3_u32 v41, v41, v156, v157
	s_set_vgpr_msb 64                       ;  msbs: dst=1 src0=0 src1=0 src2=0
	s_delay_alu instid0(VALU_DEP_1) | instskip(SKIP_2) | instid1(VALU_DEP_1)
	v_add3_u32 v163 /*v419*/, v41, v158, v159
	s_set_vgpr_msb 0                        ;  msbs: dst=0 src0=0 src1=0 src2=0
	v_or_b32_e32 v41, s8, v143
	v_dual_lshlrev_b32 v58, 2, v41 :: v_dual_lshrrev_b32 v41, 1, v41
	s_set_vgpr_msb 64                       ;  msbs: dst=1 src0=0 src1=0 src2=0
	ds_load_b128 v[184:187] /*v[440:443]*/, v58 offset:16896
	ds_load_b128 v[188:191] /*v[444:447]*/, v58 offset:16912
	;; [unrolled: 1-line block ×4, first 2 shown]
	s_wait_dscnt 0x3
	s_set_vgpr_msb 0x41                     ;  msbs: dst=1 src0=1 src1=0 src2=0
	v_bfe_i32 v244 /*v500*/, v184 /*v440*/, 0, 8
	v_bfe_i32 v215 /*v471*/, v184 /*v440*/, 8, 8
	;; [unrolled: 1-line block ×3, first 2 shown]
	s_set_vgpr_msb 0x44                     ;  msbs: dst=1 src0=0 src1=1 src2=0
	v_ashrrev_i32_e32 v246 /*v502*/, 24, v184 /*v440*/
	s_set_vgpr_msb 0x41                     ;  msbs: dst=1 src0=1 src1=0 src2=0
	v_bfe_i32 v216 /*v472*/, v185 /*v441*/, 0, 8
	s_set_vgpr_msb 1                        ;  msbs: dst=0 src0=1 src1=0 src2=0
	v_mul_i32_i24_e32 v58, v244 /*v500*/, v121
	s_set_vgpr_msb 0x41                     ;  msbs: dst=1 src0=1 src1=0 src2=0
	v_bfe_i32 v217 /*v473*/, v185 /*v441*/, 8, 8
	s_set_vgpr_msb 5                        ;  msbs: dst=0 src0=1 src1=1 src2=0
	v_mul_i32_i24_e32 v59, v245 /*v501*/, v108 /*v364*/
	v_mul_i32_i24_e32 v60, v246 /*v502*/, v109 /*v365*/
	s_set_vgpr_msb 0x41                     ;  msbs: dst=1 src0=1 src1=0 src2=0
	v_bfe_i32 v218 /*v474*/, v185 /*v441*/, 16, 8
	s_set_vgpr_msb 1                        ;  msbs: dst=0 src0=1 src1=0 src2=0
	v_mad_i32_i24 v58, v215 /*v471*/, v120, v58
	s_set_vgpr_msb 0x44                     ;  msbs: dst=1 src0=0 src1=1 src2=0
	v_dual_ashrrev_i32 v219 /*v475*/, 24, v185 /*v441*/ :: v_dual_ashrrev_i32 v223 /*v479*/, 24, v186 /*v442*/
	s_set_vgpr_msb 0x41                     ;  msbs: dst=1 src0=1 src1=0 src2=0
	v_bfe_i32 v220 /*v476*/, v186 /*v442*/, 0, 8
	v_bfe_i32 v221 /*v477*/, v186 /*v442*/, 8, 8
	s_set_vgpr_msb 0                        ;  msbs: dst=0 src0=0 src1=0 src2=0
	v_add3_u32 v58, v58, v59, v60
	s_set_vgpr_msb 5                        ;  msbs: dst=0 src0=1 src1=1 src2=0
	v_mul_i32_i24_e32 v59, v216 /*v472*/, v110 /*v366*/
	v_mul_i32_i24_e32 v60, v217 /*v473*/, v111 /*v367*/
	;; [unrolled: 1-line block ×4, first 2 shown]
	s_set_vgpr_msb 0x41                     ;  msbs: dst=1 src0=1 src1=0 src2=0
	v_bfe_i32 v222 /*v478*/, v186 /*v442*/, 16, 8
	s_set_vgpr_msb 5                        ;  msbs: dst=0 src0=1 src1=1 src2=0
	v_mul_i32_i24_e32 v64, v220 /*v476*/, v114 /*v370*/
	s_set_vgpr_msb 0                        ;  msbs: dst=0 src0=0 src1=0 src2=0
	v_add3_u32 v58, v58, v59, v60
	s_set_vgpr_msb 5                        ;  msbs: dst=0 src0=1 src1=1 src2=0
	v_mul_i32_i24_e32 v65, v221 /*v477*/, v115 /*v371*/
	s_set_vgpr_msb 0x41                     ;  msbs: dst=1 src0=1 src1=0 src2=0
	v_bfe_i32 v224 /*v480*/, v187 /*v443*/, 0, 8
	v_bfe_i32 v225 /*v481*/, v187 /*v443*/, 8, 8
	s_set_vgpr_msb 5                        ;  msbs: dst=0 src0=1 src1=1 src2=0
	v_mul_i32_i24_e32 v66, v222 /*v478*/, v116 /*v372*/
	s_set_vgpr_msb 0                        ;  msbs: dst=0 src0=0 src1=0 src2=0
	v_add3_u32 v58, v58, v61, v62
	s_set_vgpr_msb 5                        ;  msbs: dst=0 src0=1 src1=1 src2=0
	v_mul_i32_i24_e32 v68, v223 /*v479*/, v117 /*v373*/
	s_set_vgpr_msb 0x41                     ;  msbs: dst=1 src0=1 src1=0 src2=0
	v_bfe_i32 v226 /*v482*/, v187 /*v443*/, 16, 8
	s_wait_dscnt 0x2
	s_set_vgpr_msb 0x44                     ;  msbs: dst=1 src0=0 src1=1 src2=0
	v_dual_ashrrev_i32 v227 /*v483*/, 24, v187 /*v443*/ :: v_dual_ashrrev_i32 v231 /*v487*/, 24, v188 /*v444*/
	s_set_vgpr_msb 0                        ;  msbs: dst=0 src0=0 src1=0 src2=0
	v_add3_u32 v58, v58, v64, v65
	s_set_vgpr_msb 5                        ;  msbs: dst=0 src0=1 src1=1 src2=0
	v_mul_i32_i24_e32 v69, v224 /*v480*/, v118 /*v374*/
	v_mul_i32_i24_e32 v70, v225 /*v481*/, v119 /*v375*/
	s_set_vgpr_msb 0x41                     ;  msbs: dst=1 src0=1 src1=0 src2=0
	v_bfe_i32 v228 /*v484*/, v188 /*v444*/, 0, 8
	v_bfe_i32 v229 /*v485*/, v188 /*v444*/, 8, 8
	s_set_vgpr_msb 0                        ;  msbs: dst=0 src0=0 src1=0 src2=0
	v_add3_u32 v58, v58, v66, v68
	s_set_vgpr_msb 5                        ;  msbs: dst=0 src0=1 src1=1 src2=0
	v_mul_i32_i24_e32 v72, v226 /*v482*/, v120 /*v376*/
	v_mul_i32_i24_e32 v91, v227 /*v483*/, v121 /*v377*/
	s_set_vgpr_msb 0x41                     ;  msbs: dst=1 src0=1 src1=0 src2=0
	v_bfe_i32 v230 /*v486*/, v188 /*v444*/, 16, 8
	s_set_vgpr_msb 5                        ;  msbs: dst=0 src0=1 src1=1 src2=0
	v_mul_i32_i24_e32 v93, v228 /*v484*/, v122 /*v378*/
	s_set_vgpr_msb 0                        ;  msbs: dst=0 src0=0 src1=0 src2=0
	v_add3_u32 v58, v58, v69, v70
	s_set_vgpr_msb 5                        ;  msbs: dst=0 src0=1 src1=1 src2=0
	v_mul_i32_i24_e32 v120, v229 /*v485*/, v123 /*v379*/
	s_set_vgpr_msb 0x41                     ;  msbs: dst=1 src0=1 src1=0 src2=0
	v_bfe_i32 v232 /*v488*/, v189 /*v445*/, 0, 8
	v_bfe_i32 v233 /*v489*/, v189 /*v445*/, 8, 8
	s_set_vgpr_msb 5                        ;  msbs: dst=0 src0=1 src1=1 src2=0
	v_mul_i32_i24_e32 v121, v230 /*v486*/, v124 /*v380*/
	s_set_vgpr_msb 0                        ;  msbs: dst=0 src0=0 src1=0 src2=0
	v_add3_u32 v58, v58, v72, v91
	s_set_vgpr_msb 5                        ;  msbs: dst=0 src0=1 src1=1 src2=0
	v_mul_i32_i24_e32 v148, v231 /*v487*/, v125 /*v381*/
	s_set_vgpr_msb 0x41                     ;  msbs: dst=1 src0=1 src1=0 src2=0
	v_bfe_i32 v234 /*v490*/, v189 /*v445*/, 16, 8
	s_set_vgpr_msb 0x44                     ;  msbs: dst=1 src0=0 src1=1 src2=0
	v_dual_ashrrev_i32 v235 /*v491*/, 24, v189 /*v445*/ :: v_dual_ashrrev_i32 v239 /*v495*/, 24, v190 /*v446*/
	s_set_vgpr_msb 0                        ;  msbs: dst=0 src0=0 src1=0 src2=0
	v_add3_u32 v58, v58, v93, v120
	s_set_vgpr_msb 5                        ;  msbs: dst=0 src0=1 src1=1 src2=0
	v_mul_i32_i24_e32 v149, v127 /*v383*/, v232 /*v488*/
	v_mul_i32_i24_e32 v150, v126 /*v382*/, v233 /*v489*/
	s_set_vgpr_msb 0x41                     ;  msbs: dst=1 src0=1 src1=0 src2=0
	v_bfe_i32 v236 /*v492*/, v190 /*v446*/, 0, 8
	v_bfe_i32 v237 /*v493*/, v190 /*v446*/, 8, 8
	s_set_vgpr_msb 0                        ;  msbs: dst=0 src0=0 src1=0 src2=0
	v_add3_u32 v58, v58, v121, v148
	s_set_vgpr_msb 5                        ;  msbs: dst=0 src0=1 src1=1 src2=0
	v_mul_i32_i24_e32 v151, v129 /*v385*/, v234 /*v490*/
	v_mul_i32_i24_e32 v152, v128 /*v384*/, v235 /*v491*/
	s_set_vgpr_msb 0x41                     ;  msbs: dst=1 src0=1 src1=0 src2=0
	v_bfe_i32 v238 /*v494*/, v190 /*v446*/, 16, 8
	s_set_vgpr_msb 5                        ;  msbs: dst=0 src0=1 src1=1 src2=0
	v_mul_i32_i24_e32 v153, v137 /*v393*/, v236 /*v492*/
	s_set_vgpr_msb 0                        ;  msbs: dst=0 src0=0 src1=0 src2=0
	v_add3_u32 v58, v58, v149, v150
	s_set_vgpr_msb 5                        ;  msbs: dst=0 src0=1 src1=1 src2=0
	v_mul_i32_i24_e32 v154, v130 /*v386*/, v237 /*v493*/
	s_set_vgpr_msb 0x41                     ;  msbs: dst=1 src0=1 src1=0 src2=0
	v_bfe_i32 v240 /*v496*/, v191 /*v447*/, 0, 8
	v_bfe_i32 v241 /*v497*/, v191 /*v447*/, 8, 8
	s_set_vgpr_msb 5                        ;  msbs: dst=0 src0=1 src1=1 src2=0
	v_mul_i32_i24_e32 v155, v141 /*v397*/, v238 /*v494*/
	s_set_vgpr_msb 0                        ;  msbs: dst=0 src0=0 src1=0 src2=0
	v_add3_u32 v58, v58, v151, v152
	s_set_vgpr_msb 5                        ;  msbs: dst=0 src0=1 src1=1 src2=0
	v_mul_i32_i24_e32 v156, v138 /*v394*/, v239 /*v495*/
	s_wait_dscnt 0x1
	s_set_vgpr_msb 0x41                     ;  msbs: dst=1 src0=1 src1=0 src2=0
	v_bfe_i32 v212 /*v468*/, v194 /*v450*/, 0, 8
	s_set_vgpr_msb 5                        ;  msbs: dst=0 src0=1 src1=1 src2=0
	v_mul_i32_i24_e32 v157, v240 /*v496*/, v144 /*v400*/
	v_mul_i32_i24_e32 v158, v241 /*v497*/, v145 /*v401*/
	s_set_vgpr_msb 0                        ;  msbs: dst=0 src0=0 src1=0 src2=0
	v_add3_u32 v58, v58, v153, v154
	s_set_vgpr_msb 0x44                     ;  msbs: dst=1 src0=0 src1=1 src2=0
	v_dual_ashrrev_i32 v243 /*v499*/, 24, v191 /*v447*/ :: v_dual_ashrrev_i32 v214 /*v470*/, 24, v194 /*v450*/
	s_set_vgpr_msb 0x41                     ;  msbs: dst=1 src0=1 src1=0 src2=0
	v_bfe_i32 v184 /*v440*/, v194 /*v450*/, 8, 8
	v_bfe_i32 v213 /*v469*/, v194 /*v450*/, 16, 8
	s_set_vgpr_msb 0                        ;  msbs: dst=0 src0=0 src1=0 src2=0
	v_add3_u32 v58, v58, v155, v156
	s_set_vgpr_msb 0x41                     ;  msbs: dst=1 src0=1 src1=0 src2=0
	v_bfe_i32 v185 /*v441*/, v195 /*v451*/, 0, 8
	v_bfe_i32 v186 /*v442*/, v195 /*v451*/, 8, 8
	s_set_vgpr_msb 5                        ;  msbs: dst=0 src0=1 src1=1 src2=0
	v_mul_i32_i24_e32 v60, v139 /*v395*/, v214 /*v470*/
	v_mul_i32_i24_e32 v59, v148 /*v404*/, v213 /*v469*/
	s_set_vgpr_msb 64                       ;  msbs: dst=1 src0=0 src1=0 src2=0
	v_add3_u32 v111 /*v367*/, v58, v157, v158
	s_set_vgpr_msb 4                        ;  msbs: dst=0 src0=0 src1=1 src2=0
	v_mul_i32_i24_e32 v58, v118, v212 /*v468*/
	s_set_vgpr_msb 0x41                     ;  msbs: dst=1 src0=1 src1=0 src2=0
	v_bfe_i32 v187 /*v443*/, v195 /*v451*/, 16, 8
	s_set_vgpr_msb 0x44                     ;  msbs: dst=1 src0=0 src1=1 src2=0
	v_dual_ashrrev_i32 v188 /*v444*/, 24, v195 /*v451*/ :: v_dual_ashrrev_i32 v192 /*v448*/, 24, v196 /*v452*/
	s_set_vgpr_msb 5                        ;  msbs: dst=0 src0=1 src1=1 src2=0
	v_mul_i32_i24_e32 v61, v150 /*v406*/, v186 /*v442*/
	s_set_vgpr_msb 4                        ;  msbs: dst=0 src0=0 src1=1 src2=0
	v_mad_i32_i24 v58, v115, v184 /*v440*/, v58
	s_set_vgpr_msb 0x41                     ;  msbs: dst=1 src0=1 src1=0 src2=0
	v_bfe_i32 v189 /*v445*/, v196 /*v452*/, 0, 8
	v_bfe_i32 v190 /*v446*/, v196 /*v452*/, 8, 8
	s_set_vgpr_msb 5                        ;  msbs: dst=0 src0=1 src1=1 src2=0
	v_mul_i32_i24_e32 v62, v149 /*v405*/, v187 /*v443*/
	v_mul_i32_i24_e32 v64, v131 /*v387*/, v188 /*v444*/
	s_set_vgpr_msb 0                        ;  msbs: dst=0 src0=0 src1=0 src2=0
	v_add3_u32 v58, v58, v59, v60
	s_set_vgpr_msb 4                        ;  msbs: dst=0 src0=0 src1=1 src2=0
	v_mul_i32_i24_e32 v60, v119, v185 /*v441*/
	s_set_vgpr_msb 0x41                     ;  msbs: dst=1 src0=1 src1=0 src2=0
	v_bfe_i32 v242 /*v498*/, v191 /*v447*/, 16, 8
	v_bfe_i32 v191 /*v447*/, v196 /*v452*/, 16, 8
	s_set_vgpr_msb 4                        ;  msbs: dst=0 src0=0 src1=1 src2=0
	v_mul_i32_i24_e32 v65, v116, v189 /*v445*/
	s_set_vgpr_msb 5                        ;  msbs: dst=0 src0=1 src1=1 src2=0
	v_mul_i32_i24_e32 v66, v152 /*v408*/, v190 /*v446*/
	s_set_vgpr_msb 0                        ;  msbs: dst=0 src0=0 src1=0 src2=0
	v_add3_u32 v58, v58, v60, v61
	s_set_vgpr_msb 0x41                     ;  msbs: dst=1 src0=1 src1=0 src2=0
	v_bfe_i32 v193 /*v449*/, v197 /*v453*/, 0, 8
	v_bfe_i32 v194 /*v450*/, v197 /*v453*/, 8, 8
	s_set_vgpr_msb 5                        ;  msbs: dst=0 src0=1 src1=1 src2=0
	v_mul_i32_i24_e32 v68, v151 /*v407*/, v191 /*v447*/
	v_mul_i32_i24_e32 v69, v132 /*v388*/, v192 /*v448*/
	s_set_vgpr_msb 0                        ;  msbs: dst=0 src0=0 src1=0 src2=0
	v_add3_u32 v58, v58, v62, v64
	s_set_vgpr_msb 0x41                     ;  msbs: dst=1 src0=1 src1=0 src2=0
	v_bfe_i32 v195 /*v451*/, v197 /*v453*/, 16, 8
	s_wait_dscnt 0x0
	s_set_vgpr_msb 0x44                     ;  msbs: dst=1 src0=0 src1=1 src2=0
	v_dual_ashrrev_i32 v196 /*v452*/, 24, v197 /*v453*/ :: v_dual_ashrrev_i32 v200 /*v456*/, 24, v248 /*v504*/
	s_set_vgpr_msb 4                        ;  msbs: dst=0 src0=0 src1=1 src2=0
	v_mul_i32_i24_e32 v70, v117, v193 /*v449*/
	s_set_vgpr_msb 0                        ;  msbs: dst=0 src0=0 src1=0 src2=0
	v_add3_u32 v58, v58, v65, v66
	s_set_vgpr_msb 5                        ;  msbs: dst=0 src0=1 src1=1 src2=0
	v_mul_i32_i24_e32 v72, v154 /*v410*/, v194 /*v450*/
	s_set_vgpr_msb 0x41                     ;  msbs: dst=1 src0=1 src1=0 src2=0
	v_bfe_i32 v197 /*v453*/, v248 /*v504*/, 0, 8
	v_bfe_i32 v198 /*v454*/, v248 /*v504*/, 8, 8
	s_set_vgpr_msb 5                        ;  msbs: dst=0 src0=1 src1=1 src2=0
	v_mul_i32_i24_e32 v91, v153 /*v409*/, v195 /*v451*/
	s_set_vgpr_msb 0                        ;  msbs: dst=0 src0=0 src1=0 src2=0
	v_add3_u32 v58, v58, v68, v69
	s_set_vgpr_msb 5                        ;  msbs: dst=0 src0=1 src1=1 src2=0
	v_mul_i32_i24_e32 v93, v133 /*v389*/, v196 /*v452*/
	s_set_vgpr_msb 0x41                     ;  msbs: dst=1 src0=1 src1=0 src2=0
	v_bfe_i32 v199 /*v455*/, v248 /*v504*/, 16, 8
	s_set_vgpr_msb 4                        ;  msbs: dst=0 src0=0 src1=1 src2=0
	v_mul_i32_i24_e32 v112, v112, v197 /*v453*/
	s_set_vgpr_msb 5                        ;  msbs: dst=0 src0=1 src1=1 src2=0
	v_mul_i32_i24_e32 v115, v156 /*v412*/, v198 /*v454*/
	s_set_vgpr_msb 0                        ;  msbs: dst=0 src0=0 src1=0 src2=0
	v_add3_u32 v58, v58, v70, v72
	s_set_vgpr_msb 0x41                     ;  msbs: dst=1 src0=1 src1=0 src2=0
	v_bfe_i32 v201 /*v457*/, v249 /*v505*/, 0, 8
	v_bfe_i32 v202 /*v458*/, v249 /*v505*/, 8, 8
	s_set_vgpr_msb 5                        ;  msbs: dst=0 src0=1 src1=1 src2=0
	v_mul_i32_i24_e32 v116, v155 /*v411*/, v199 /*v455*/
	v_mul_i32_i24_e32 v117, v134 /*v390*/, v200 /*v456*/
	s_set_vgpr_msb 0                        ;  msbs: dst=0 src0=0 src1=0 src2=0
	v_add3_u32 v58, v58, v91, v93
	s_set_vgpr_msb 0x41                     ;  msbs: dst=1 src0=1 src1=0 src2=0
	v_bfe_i32 v203 /*v459*/, v249 /*v505*/, 16, 8
	s_set_vgpr_msb 0x44                     ;  msbs: dst=1 src0=0 src1=1 src2=0
	v_dual_ashrrev_i32 v204 /*v460*/, 24, v249 /*v505*/ :: v_dual_ashrrev_i32 v208 /*v464*/, 24, v250 /*v506*/
	s_set_vgpr_msb 4                        ;  msbs: dst=0 src0=0 src1=1 src2=0
	v_mul_i32_i24_e32 v113, v113, v201 /*v457*/
	s_set_vgpr_msb 0                        ;  msbs: dst=0 src0=0 src1=0 src2=0
	v_add3_u32 v58, v58, v112, v115
	s_set_vgpr_msb 5                        ;  msbs: dst=0 src0=1 src1=1 src2=0
	v_mul_i32_i24_e32 v118, v158 /*v414*/, v202 /*v458*/
	s_set_vgpr_msb 0x41                     ;  msbs: dst=1 src0=1 src1=0 src2=0
	v_bfe_i32 v205 /*v461*/, v250 /*v506*/, 0, 8
	v_bfe_i32 v206 /*v462*/, v250 /*v506*/, 8, 8
	s_set_vgpr_msb 5                        ;  msbs: dst=0 src0=1 src1=1 src2=0
	v_mul_i32_i24_e32 v119, v157 /*v413*/, v203 /*v459*/
	s_set_vgpr_msb 0                        ;  msbs: dst=0 src0=0 src1=0 src2=0
	v_add3_u32 v58, v58, v116, v117
	s_set_vgpr_msb 5                        ;  msbs: dst=0 src0=1 src1=1 src2=0
	v_mul_i32_i24_e32 v120, v135 /*v391*/, v204 /*v460*/
	s_set_vgpr_msb 4                        ;  msbs: dst=0 src0=0 src1=1 src2=0
	v_mul_i32_i24_e32 v114, v114, v205 /*v461*/
	s_set_vgpr_msb 5                        ;  msbs: dst=0 src0=1 src1=1 src2=0
	v_mul_i32_i24_e32 v121, v160 /*v416*/, v206 /*v462*/
	s_set_vgpr_msb 0x41                     ;  msbs: dst=1 src0=1 src1=0 src2=0
	v_bfe_i32 v207 /*v463*/, v250 /*v506*/, 16, 8
	s_set_vgpr_msb 0                        ;  msbs: dst=0 src0=0 src1=0 src2=0
	v_add3_u32 v58, v58, v113, v118
	s_set_vgpr_msb 0x41                     ;  msbs: dst=1 src0=1 src1=0 src2=0
	v_bfe_i32 v209 /*v465*/, v251 /*v507*/, 0, 8
	v_bfe_i32 v210 /*v466*/, v251 /*v507*/, 8, 8
	s_set_vgpr_msb 5                        ;  msbs: dst=0 src0=1 src1=1 src2=0
	v_mul_i32_i24_e32 v149, v136 /*v392*/, v208 /*v464*/
	v_mul_i32_i24_e32 v148, v159 /*v415*/, v207 /*v463*/
	s_set_vgpr_msb 0                        ;  msbs: dst=0 src0=0 src1=0 src2=0
	v_add3_u32 v58, v58, v119, v120
	s_set_vgpr_msb 5                        ;  msbs: dst=0 src0=1 src1=1 src2=0
	ds_load_b64 v[118:119], v183 /*v439*/ offset:27200
	v_mul_i32_i24_e32 v150, v209 /*v465*/, v140 /*v396*/
	v_mul_i32_i24_e32 v151, v210 /*v466*/, v142 /*v398*/
	s_set_vgpr_msb 0x45                     ;  msbs: dst=1 src0=1 src1=1 src2=0
	v_mul_i32_i24_e32 v109 /*v365*/, v242 /*v498*/, v146 /*v402*/
	s_set_vgpr_msb 0                        ;  msbs: dst=0 src0=0 src1=0 src2=0
	v_add3_u32 v58, v58, v114, v121
	ds_load_b64 v[120:121], v41 offset:27200
	s_set_vgpr_msb 0x45                     ;  msbs: dst=1 src0=1 src1=1 src2=0
	v_mul_i32_i24_e32 v110 /*v366*/, v243 /*v499*/, v147 /*v403*/
	v_bfe_i32 v211 /*v467*/, v251 /*v507*/, 16, 8
	v_ashrrev_i32_e32 v182 /*v438*/, 24, v251 /*v507*/
	s_set_vgpr_msb 0                        ;  msbs: dst=0 src0=0 src1=0 src2=0
	v_add3_u32 v58, v58, v148, v149
	s_set_vgpr_msb 1                        ;  msbs: dst=0 src0=1 src1=0 src2=0
	v_mul_i32_i24_e32 v60, v218 /*v474*/, v177
	v_mul_i32_i24_e32 v61, v219 /*v475*/, v178
	s_set_vgpr_msb 5                        ;  msbs: dst=0 src0=1 src1=1 src2=0
	v_mul_i32_i24_e32 v59, v211 /*v467*/, v143 /*v399*/
	s_set_vgpr_msb 1                        ;  msbs: dst=0 src0=1 src1=0 src2=0
	v_mul_i32_i24_e32 v62, v220 /*v476*/, v179
	s_set_vgpr_msb 64                       ;  msbs: dst=1 src0=0 src1=0 src2=0
	v_add3_u32 v108 /*v364*/, v58, v150, v151
	s_set_vgpr_msb 1                        ;  msbs: dst=0 src0=1 src1=0 src2=0
	v_mul_i32_i24_e32 v64, v221 /*v477*/, v180
	v_mul_i32_i24_e32 v65, v222 /*v478*/, v181
	;; [unrolled: 1-line block ×5, first 2 shown]
	s_wait_dscnt 0x1
	v_lshrrev_b32_e32 v58, 16, v118
	s_set_vgpr_msb 0                        ;  msbs: dst=0 src0=0 src1=0 src2=0
	v_cvt_f32_f16_e32 v116, v118
	v_cvt_f32_f16_e32 v112, v119
	s_set_vgpr_msb 1                        ;  msbs: dst=0 src0=1 src1=0 src2=0
	v_mul_i32_i24_e32 v70, v226 /*v482*/, v185
	v_mul_i32_i24_e32 v72, v227 /*v483*/, v186
	s_wait_dscnt 0x0
	v_lshrrev_b32_e32 v41, 16, v120
	s_set_vgpr_msb 0                        ;  msbs: dst=0 src0=0 src1=0 src2=0
	v_cvt_f32_f16_e32 v114, v58
	v_lshrrev_b32_e32 v58, 16, v121
	v_cvt_f32_f16_e32 v113, v121
	v_cvt_f32_f16_e32 v117, v120
	;; [unrolled: 1-line block ×3, first 2 shown]
	v_lshrrev_b32_e32 v41, 16, v119
	v_cvt_f32_f16_e32 v119, v58
	s_set_vgpr_msb 21                       ;  msbs: dst=0 src0=1 src1=1 src2=1
	v_add3_u32 v58, v181 /*v437*/, v179 /*v435*/, v180 /*v436*/
	s_set_vgpr_msb 1                        ;  msbs: dst=0 src0=1 src1=0 src2=0
	v_mul_i32_i24_e32 v91, v228 /*v484*/, v187
	v_mul_i32_i24_e32 v93, v229 /*v485*/, v188
	s_set_vgpr_msb 0                        ;  msbs: dst=0 src0=0 src1=0 src2=0
	v_cvt_f32_f16_e32 v118, v41
	s_set_vgpr_msb 21                       ;  msbs: dst=0 src0=1 src1=1 src2=1
	v_add3_u32 v41, v111 /*v367*/, v109 /*v365*/, v110 /*v366*/
	s_set_vgpr_msb 0                        ;  msbs: dst=0 src0=0 src1=0 src2=0
	v_mul_lo_u32 v58, v58, v103
	s_set_vgpr_msb 64                       ;  msbs: dst=1 src0=0 src1=0 src2=0
	v_pk_fma_f32 v[110:111] /*v[366:367]*/, v[96:97], v[114:115], 0 op_sel_hi:[0,1,0]
	s_set_vgpr_msb 1                        ;  msbs: dst=0 src0=1 src1=0 src2=0
	v_mul_i32_i24_e32 v96, v230 /*v486*/, v189
	s_set_vgpr_msb 4                        ;  msbs: dst=0 src0=0 src1=1 src2=0
	v_mul_i32_i24_e32 v148, v197, v239 /*v495*/
	s_set_vgpr_msb 0                        ;  msbs: dst=0 src0=0 src1=0 src2=0
	v_mul_lo_u32 v41, v41, v103
	s_set_vgpr_msb 4                        ;  msbs: dst=0 src0=0 src1=1 src2=0
	v_mul_i32_i24_e32 v103, v194, v234 /*v490*/
	s_set_vgpr_msb 1                        ;  msbs: dst=0 src0=1 src1=0 src2=0
	v_mul_i32_i24_e32 v149, v240 /*v496*/, v203
	v_mul_i32_i24_e32 v150, v241 /*v497*/, v206
	;; [unrolled: 1-line block ×5, first 2 shown]
	s_set_vgpr_msb 0                        ;  msbs: dst=0 src0=0 src1=0 src2=0
	v_cvt_f32_i32_e32 v120, v58
	s_set_vgpr_msb 1                        ;  msbs: dst=0 src0=1 src1=0 src2=0
	v_mul_i32_i24_e32 v58, v182 /*v438*/, v101
	v_mul_i32_i24_e32 v154, v211 /*v467*/, v246
	s_set_vgpr_msb 0                        ;  msbs: dst=0 src0=0 src1=0 src2=0
	v_cvt_f32_i32_e32 v121, v41
	s_set_vgpr_msb 1                        ;  msbs: dst=0 src0=1 src1=0 src2=0
	v_mul_i32_i24_e32 v41, v161 /*v417*/, v101
	v_add3_u32 v58, v108 /*v364*/, v59, v58
	v_mul_i32_i24_e32 v59, v246 /*v502*/, v174
	s_set_vgpr_msb 4                        ;  msbs: dst=0 src0=0 src1=1 src2=0
	v_mul_i32_i24_e32 v101, v191, v233 /*v489*/
	s_set_vgpr_msb 0                        ;  msbs: dst=0 src0=0 src1=0 src2=0
	v_pk_fma_f32 v[120:121], v[116:117], v[120:121], 0 op_sel_hi:[1,1,0]
	s_set_vgpr_msb 5                        ;  msbs: dst=0 src0=1 src1=1 src2=0
	v_add3_u32 v41, v178 /*v434*/, v177 /*v433*/, v41
	s_set_vgpr_msb 16                       ;  msbs: dst=0 src0=0 src1=0 src2=1
	v_mul_lo_u32 v58, v58, v99
	s_delay_alu instid0(VALU_DEP_2) | instskip(SKIP_1) | instid1(VALU_DEP_1)
	v_mul_lo_u32 v41, v41, v99
	v_pk_fma_f32 v[98:99], v[98:99], v[118:119], v[110:111] /*v[366:367]*/ op_sel_hi:[0,1,1]
	v_pk_mul_f32 v[98:99], v[98:99], v[8:9]
	s_set_vgpr_msb 64                       ;  msbs: dst=1 src0=0 src1=0 src2=0
	s_delay_alu instid0(VALU_DEP_4)
	v_cvt_f32_i32_e32 v109 /*v365*/, v58
	s_set_vgpr_msb 1                        ;  msbs: dst=0 src0=1 src1=0 src2=0
	v_mul_i32_i24_e32 v58, v245 /*v501*/, v173
	s_set_vgpr_msb 64                       ;  msbs: dst=1 src0=0 src1=0 src2=0
	v_cvt_f32_i32_e32 v108 /*v364*/, v41
	s_set_vgpr_msb 1                        ;  msbs: dst=0 src0=1 src1=0 src2=0
	v_mul_i32_i24_e32 v41, v244 /*v500*/, v126
	s_set_vgpr_msb 4                        ;  msbs: dst=0 src0=0 src1=1 src2=0
	v_mul_i32_i24_e32 v126, v199, v238 /*v494*/
	v_pk_fma_f32 v[120:121], v[112:113], v[108:109] /*v[364:365]*/, v[120:121]
	s_set_vgpr_msb 1                        ;  msbs: dst=0 src0=1 src1=0 src2=0
	v_mad_i32_i24 v41, v215 /*v471*/, v124, v41
	s_set_vgpr_msb 4                        ;  msbs: dst=0 src0=0 src1=1 src2=0
	v_mul_i32_i24_e32 v124, v195, v237 /*v493*/
	s_set_vgpr_msb 0                        ;  msbs: dst=0 src0=0 src1=0 src2=0
	v_pk_fma_f32 v[98:99], v[120:121], v[0:1], v[98:99] neg_lo:[0,0,1] neg_hi:[0,0,1]
	v_add3_u32 v41, v41, v58, v59
	s_set_vgpr_msb 1                        ;  msbs: dst=0 src0=1 src1=0 src2=0
	v_mul_i32_i24_e32 v58, v216 /*v472*/, v175
	v_mul_i32_i24_e32 v59, v217 /*v473*/, v176
	s_set_vgpr_msb 4                        ;  msbs: dst=0 src0=0 src1=1 src2=0
	v_mul_i32_i24_e32 v120, v193, v235 /*v491*/
	s_set_vgpr_msb 0                        ;  msbs: dst=0 src0=0 src1=0 src2=0
	v_pk_add_f32 v[22:23], v[22:23], v[98:99]
	s_set_vgpr_msb 1                        ;  msbs: dst=0 src0=1 src1=0 src2=0
	v_mul_i32_i24_e32 v98, v231 /*v487*/, v190
	s_set_vgpr_msb 4                        ;  msbs: dst=0 src0=0 src1=1 src2=0
	v_mul_i32_i24_e32 v99, v192, v232 /*v488*/
	s_set_vgpr_msb 0                        ;  msbs: dst=0 src0=0 src1=0 src2=0
	v_add3_u32 v41, v41, v58, v59
	s_set_vgpr_msb 1                        ;  msbs: dst=0 src0=1 src1=0 src2=0
	v_mul_i32_i24_e32 v58, v212 /*v468*/, v201
	v_mul_i32_i24_e32 v59, v213 /*v469*/, v198
	s_set_vgpr_msb 4                        ;  msbs: dst=0 src0=0 src1=1 src2=0
	v_mul_i32_i24_e32 v121, v196, v236 /*v492*/
	s_set_vgpr_msb 0                        ;  msbs: dst=0 src0=0 src1=0 src2=0
	v_add3_u32 v41, v41, v60, v61
	s_set_vgpr_msb 1                        ;  msbs: dst=0 src0=1 src1=0 src2=0
	v_mul_i32_i24_e32 v60, v214 /*v470*/, v204
	v_mad_i32_i24 v58, v184 /*v440*/, v200, v58
	v_mul_i32_i24_e32 v61, v187 /*v443*/, v202
	s_set_vgpr_msb 0                        ;  msbs: dst=0 src0=0 src1=0 src2=0
	v_add3_u32 v41, v41, v62, v64
	s_set_vgpr_msb 1                        ;  msbs: dst=0 src0=1 src1=0 src2=0
	v_mul_i32_i24_e32 v62, v188 /*v444*/, v212
	s_set_vgpr_msb 0                        ;  msbs: dst=0 src0=0 src1=0 src2=0
	v_add3_u32 v58, v58, v59, v60
	s_set_vgpr_msb 1                        ;  msbs: dst=0 src0=1 src1=0 src2=0
	v_mul_i32_i24_e32 v59, v185 /*v441*/, v208
	v_mul_i32_i24_e32 v60, v186 /*v442*/, v210
	s_set_vgpr_msb 0                        ;  msbs: dst=0 src0=0 src1=0 src2=0
	v_add3_u32 v41, v41, v65, v66
	s_set_vgpr_msb 1                        ;  msbs: dst=0 src0=1 src1=0 src2=0
	v_mul_i32_i24_e32 v64, v189 /*v445*/, v213
	v_mul_i32_i24_e32 v65, v190 /*v446*/, v214
	;; [unrolled: 1-line block ×3, first 2 shown]
	s_set_vgpr_msb 0                        ;  msbs: dst=0 src0=0 src1=0 src2=0
	v_add3_u32 v58, v58, v59, v60
	v_add3_u32 v41, v41, v68, v69
	s_set_vgpr_msb 1                        ;  msbs: dst=0 src0=1 src1=0 src2=0
	v_mul_i32_i24_e32 v68, v192 /*v448*/, v216
	v_mul_i32_i24_e32 v69, v193 /*v449*/, v218
	s_set_vgpr_msb 21                       ;  msbs: dst=0 src0=1 src1=1 src2=1
	v_add3_u32 v59, v176 /*v432*/, v174 /*v430*/, v175 /*v431*/
	s_set_vgpr_msb 0                        ;  msbs: dst=0 src0=0 src1=0 src2=0
	v_add3_u32 v58, v58, v61, v62
	v_add3_u32 v41, v41, v70, v72
	s_set_vgpr_msb 1                        ;  msbs: dst=0 src0=1 src1=0 src2=0
	v_mul_i32_i24_e32 v70, v194 /*v450*/, v220
	v_mul_i32_i24_e32 v72, v195 /*v451*/, v215
	s_set_vgpr_msb 0                        ;  msbs: dst=0 src0=0 src1=0 src2=0
	v_mul_lo_u32 v59, v59, v122
	v_add3_u32 v58, v58, v64, v65
	v_add3_u32 v41, v41, v91, v93
	s_set_vgpr_msb 1                        ;  msbs: dst=0 src0=1 src1=0 src2=0
	v_mul_i32_i24_e32 v91, v196 /*v452*/, v221
	v_mul_i32_i24_e32 v93, v197 /*v453*/, v223
	;; [unrolled: 1-line block ×3, first 2 shown]
	s_set_vgpr_msb 0                        ;  msbs: dst=0 src0=0 src1=0 src2=0
	v_add3_u32 v58, v58, v66, v68
	v_add3_u32 v41, v41, v96, v98
	s_set_vgpr_msb 1                        ;  msbs: dst=0 src0=1 src1=0 src2=0
	v_mul_i32_i24_e32 v96, v198 /*v454*/, v225
	s_set_vgpr_msb 4                        ;  msbs: dst=0 src0=0 src1=1 src2=0
	v_mul_i32_i24_e32 v98, v229, v199 /*v455*/
	s_set_vgpr_msb 1                        ;  msbs: dst=0 src0=1 src1=0 src2=0
	v_mul_i32_i24_e32 v61, v219 /*v475*/, v233
	s_set_vgpr_msb 0                        ;  msbs: dst=0 src0=0 src1=0 src2=0
	v_add3_u32 v58, v58, v69, v70
	v_add3_u32 v41, v41, v99, v101
	s_set_vgpr_msb 4                        ;  msbs: dst=0 src0=0 src1=1 src2=0
	v_mul_i32_i24_e32 v99, v226, v200 /*v456*/
	v_mul_i32_i24_e32 v101, v231, v201 /*v457*/
	s_set_vgpr_msb 1                        ;  msbs: dst=0 src0=1 src1=0 src2=0
	v_mul_i32_i24_e32 v62, v220 /*v476*/, v238
	s_set_vgpr_msb 0                        ;  msbs: dst=0 src0=0 src1=0 src2=0
	v_add3_u32 v58, v58, v72, v91
	v_add3_u32 v41, v41, v103, v120
	s_set_vgpr_msb 4                        ;  msbs: dst=0 src0=0 src1=1 src2=0
	v_mul_i32_i24_e32 v103, v232, v202 /*v458*/
	;; [unrolled: 8-line block ×4, first 2 shown]
	v_mul_i32_i24_e32 v148, v242, v207 /*v463*/
	v_cvt_f32_i32_e32 v98, v59
	s_set_vgpr_msb 0                        ;  msbs: dst=0 src0=0 src1=0 src2=0
	v_add3_u32 v58, v58, v101, v103
	v_add3_u32 v41, v41, v149, v150
	s_set_vgpr_msb 4                        ;  msbs: dst=0 src0=0 src1=1 src2=0
	v_mul_i32_i24_e32 v149, v239, v208 /*v464*/
	s_set_vgpr_msb 1                        ;  msbs: dst=0 src0=1 src1=0 src2=0
	v_mul_i32_i24_e32 v150, v209 /*v465*/, v244
	v_mul_i32_i24_e32 v59, v182 /*v438*/, v105
	s_set_vgpr_msb 0                        ;  msbs: dst=0 src0=0 src1=0 src2=0
	v_add3_u32 v58, v58, v120, v121
	v_add3_u32 v41, v41, v151, v152
	v_pk_fma_f32 v[100:101], v[100:101], v[114:115], 0 op_sel_hi:[0,1,0]
	s_set_vgpr_msb 1                        ;  msbs: dst=0 src0=1 src1=0 src2=0
	v_mul_i32_i24_e32 v66, v223 /*v479*/, v243
	v_mul_i32_i24_e32 v68, v224 /*v480*/, v247
	s_set_vgpr_msb 0                        ;  msbs: dst=0 src0=0 src1=0 src2=0
	v_add3_u32 v58, v58, v124, v126
	v_mul_lo_u32 v41, v41, v122
	v_pk_fma_f32 v[100:101], v[104:105], v[118:119], v[100:101] op_sel_hi:[0,1,1]
	s_set_vgpr_msb 1                        ;  msbs: dst=0 src0=1 src1=0 src2=0
	v_mul_i32_i24_e32 v69, v225 /*v481*/, v248
	v_mul_i32_i24_e32 v70, v226 /*v482*/, v249
	s_set_vgpr_msb 0                        ;  msbs: dst=0 src0=0 src1=0 src2=0
	v_add3_u32 v58, v58, v148, v149
	s_set_vgpr_msb 1                        ;  msbs: dst=0 src0=1 src1=0 src2=0
	v_mul_i32_i24_e32 v72, v227 /*v483*/, v250
	s_set_vgpr_msb 0                        ;  msbs: dst=0 src0=0 src1=0 src2=0
	v_pk_mul_f32 v[100:101], v[100:101], v[10:11]
	s_set_vgpr_msb 1                        ;  msbs: dst=0 src0=1 src1=0 src2=0
	v_mul_i32_i24_e32 v91, v228 /*v484*/, v251
	v_mul_i32_i24_e32 v93, v229 /*v485*/, v252
	s_set_vgpr_msb 0                        ;  msbs: dst=0 src0=0 src1=0 src2=0
	v_add3_u32 v58, v58, v150, v153
	s_set_vgpr_msb 1                        ;  msbs: dst=0 src0=1 src1=0 src2=0
	v_mul_i32_i24_e32 v96, v230 /*v486*/, v253
	s_set_vgpr_msb 0                        ;  msbs: dst=0 src0=0 src1=0 src2=0
	v_cvt_f32_i32_e32 v99, v41
	s_set_vgpr_msb 1                        ;  msbs: dst=0 src0=1 src1=0 src2=0
	v_mul_i32_i24_e32 v41, v161 /*v417*/, v105
	s_set_vgpr_msb 5                        ;  msbs: dst=0 src0=1 src1=1 src2=0
	v_mul_i32_i24_e32 v103, v1 /*v257*/, v235 /*v491*/
	s_set_vgpr_msb 0                        ;  msbs: dst=0 src0=0 src1=0 src2=0
	v_add3_u32 v58, v58, v154, v59
	s_set_vgpr_msb 1                        ;  msbs: dst=0 src0=1 src1=0 src2=0
	v_mul_i32_i24_e32 v59, v246 /*v502*/, v224
	s_set_vgpr_msb 0                        ;  msbs: dst=0 src0=0 src1=0 src2=0
	v_pk_fma_f32 v[98:99], v[116:117], v[98:99], 0 op_sel_hi:[1,1,0]
	s_set_vgpr_msb 5                        ;  msbs: dst=0 src0=1 src1=1 src2=0
	v_add3_u32 v41, v173 /*v429*/, v172 /*v428*/, v41
	v_mul_i32_i24_e32 v104, v4 /*v260*/, v236 /*v492*/
	s_set_vgpr_msb 0                        ;  msbs: dst=0 src0=0 src1=0 src2=0
	v_mul_lo_u32 v58, v58, v107
	s_set_vgpr_msb 5                        ;  msbs: dst=0 src0=1 src1=1 src2=0
	v_mul_i32_i24_e32 v105, v3 /*v259*/, v237 /*v493*/
	v_mul_i32_i24_e32 v122, v241 /*v497*/, v13 /*v269*/
	s_set_vgpr_msb 0                        ;  msbs: dst=0 src0=0 src1=0 src2=0
	v_mul_lo_u32 v41, v41, v107
	s_set_vgpr_msb 5                        ;  msbs: dst=0 src0=1 src1=1 src2=0
	v_mul_i32_i24_e32 v107, v7 /*v263*/, v238 /*v494*/
	v_mul_i32_i24_e32 v124, v242 /*v498*/, v14 /*v270*/
	;; [unrolled: 1-line block ×5, first 2 shown]
	s_set_vgpr_msb 0                        ;  msbs: dst=0 src0=0 src1=0 src2=0
	v_cvt_f32_i32_e32 v121, v58
	s_set_vgpr_msb 1                        ;  msbs: dst=0 src0=1 src1=0 src2=0
	v_mul_i32_i24_e32 v58, v245 /*v501*/, v222
	s_set_vgpr_msb 0                        ;  msbs: dst=0 src0=0 src1=0 src2=0
	v_cvt_f32_i32_e32 v120, v41
	s_set_vgpr_msb 1                        ;  msbs: dst=0 src0=1 src1=0 src2=0
	v_mul_i32_i24_e32 v41, v244 /*v500*/, v219
	s_set_vgpr_msb 0                        ;  msbs: dst=0 src0=0 src1=0 src2=0
	s_delay_alu instid0(VALU_DEP_2) | instskip(SKIP_1) | instid1(VALU_DEP_2)
	v_pk_fma_f32 v[98:99], v[112:113], v[120:121], v[98:99]
	s_set_vgpr_msb 1                        ;  msbs: dst=0 src0=1 src1=0 src2=0
	v_mad_i32_i24 v41, v215 /*v471*/, v217, v41
	s_set_vgpr_msb 5                        ;  msbs: dst=0 src0=1 src1=1 src2=0
	v_mul_i32_i24_e32 v120, v5 /*v261*/, v239 /*v495*/
	v_mul_i32_i24_e32 v121, v240 /*v496*/, v11 /*v267*/
	s_set_vgpr_msb 0                        ;  msbs: dst=0 src0=0 src1=0 src2=0
	v_pk_fma_f32 v[98:99], v[98:99], v[2:3], v[100:101] neg_lo:[0,0,1] neg_hi:[0,0,1]
	v_add3_u32 v41, v41, v58, v59
	s_set_vgpr_msb 1                        ;  msbs: dst=0 src0=1 src1=0 src2=0
	v_mul_i32_i24_e32 v58, v216 /*v472*/, v227
	v_mul_i32_i24_e32 v59, v217 /*v473*/, v228
	s_set_vgpr_msb 4                        ;  msbs: dst=0 src0=0 src1=1 src2=0
	v_mul_i32_i24_e32 v100, v255, v233 /*v489*/
	s_set_vgpr_msb 0                        ;  msbs: dst=0 src0=0 src1=0 src2=0
	v_pk_add_f32 v[20:21], v[20:21], v[98:99]
	s_set_vgpr_msb 1                        ;  msbs: dst=0 src0=1 src1=0 src2=0
	v_mul_i32_i24_e32 v98, v231 /*v487*/, v254
	s_set_vgpr_msb 5                        ;  msbs: dst=0 src0=1 src1=1 src2=0
	v_mul_i32_i24_e32 v99, v0 /*v256*/, v232 /*v488*/
	s_set_vgpr_msb 0                        ;  msbs: dst=0 src0=0 src1=0 src2=0
	v_add3_u32 v41, v41, v58, v59
	s_set_vgpr_msb 5                        ;  msbs: dst=0 src0=1 src1=1 src2=0
	v_mul_i32_i24_e32 v58, v212 /*v468*/, v9 /*v265*/
	v_mul_i32_i24_e32 v59, v213 /*v469*/, v6 /*v262*/
	;; [unrolled: 1-line block ×3, first 2 shown]
	s_set_vgpr_msb 0                        ;  msbs: dst=0 src0=0 src1=0 src2=0
	v_add3_u32 v41, v41, v60, v61
	s_set_vgpr_msb 5                        ;  msbs: dst=0 src0=1 src1=1 src2=0
	v_mul_i32_i24_e32 v60, v214 /*v470*/, v12 /*v268*/
	v_mad_i32_i24 v58, v184 /*v440*/, v8 /*v264*/, v58
	v_mul_i32_i24_e32 v61, v187 /*v443*/, v10 /*v266*/
	s_set_vgpr_msb 0                        ;  msbs: dst=0 src0=0 src1=0 src2=0
	v_add3_u32 v41, v41, v62, v64
	s_set_vgpr_msb 5                        ;  msbs: dst=0 src0=1 src1=1 src2=0
	v_mul_i32_i24_e32 v62, v188 /*v444*/, v19 /*v275*/
	s_set_vgpr_msb 0                        ;  msbs: dst=0 src0=0 src1=0 src2=0
	v_add3_u32 v58, v58, v59, v60
	s_set_vgpr_msb 5                        ;  msbs: dst=0 src0=1 src1=1 src2=0
	v_mul_i32_i24_e32 v59, v185 /*v441*/, v15 /*v271*/
	v_mul_i32_i24_e32 v60, v186 /*v442*/, v17 /*v273*/
	s_set_vgpr_msb 0                        ;  msbs: dst=0 src0=0 src1=0 src2=0
	v_add3_u32 v41, v41, v65, v66
	s_set_vgpr_msb 5                        ;  msbs: dst=0 src0=1 src1=1 src2=0
	v_mul_i32_i24_e32 v64, v189 /*v445*/, v20 /*v276*/
	v_mul_i32_i24_e32 v65, v190 /*v446*/, v21 /*v277*/
	;; [unrolled: 1-line block ×3, first 2 shown]
	s_set_vgpr_msb 0                        ;  msbs: dst=0 src0=0 src1=0 src2=0
	v_add3_u32 v58, v58, v59, v60
	v_add3_u32 v41, v41, v68, v69
	s_set_vgpr_msb 21                       ;  msbs: dst=0 src0=1 src1=1 src2=1
	v_mul_i32_i24_e32 v68, v192 /*v448*/, v23 /*v279*/
	v_mul_i32_i24_e32 v69, v193 /*v449*/, v24 /*v280*/
	v_add3_u32 v59, v171 /*v427*/, v169 /*v425*/, v170 /*v426*/
	s_set_vgpr_msb 0                        ;  msbs: dst=0 src0=0 src1=0 src2=0
	v_add3_u32 v58, v58, v61, v62
	v_add3_u32 v41, v41, v70, v72
	s_set_vgpr_msb 5                        ;  msbs: dst=0 src0=1 src1=1 src2=0
	v_mul_i32_i24_e32 v70, v194 /*v450*/, v25 /*v281*/
	v_mul_i32_i24_e32 v72, v195 /*v451*/, v22 /*v278*/
	s_set_vgpr_msb 0                        ;  msbs: dst=0 src0=0 src1=0 src2=0
	v_mul_lo_u32 v59, v59, v205
	v_add3_u32 v58, v58, v64, v65
	v_add3_u32 v41, v41, v91, v93
	s_set_vgpr_msb 5                        ;  msbs: dst=0 src0=1 src1=1 src2=0
	v_mul_i32_i24_e32 v91, v196 /*v452*/, v26 /*v282*/
	v_mul_i32_i24_e32 v93, v197 /*v453*/, v27 /*v283*/
	v_mul_i32_i24_e32 v60, v218 /*v474*/, v51 /*v307*/
	s_set_vgpr_msb 0                        ;  msbs: dst=0 src0=0 src1=0 src2=0
	v_add3_u32 v58, v58, v66, v68
	v_add3_u32 v41, v41, v96, v98
	s_set_vgpr_msb 5                        ;  msbs: dst=0 src0=1 src1=1 src2=0
	v_mul_i32_i24_e32 v96, v198 /*v454*/, v28 /*v284*/
	v_mul_i32_i24_e32 v98, v30 /*v286*/, v199 /*v455*/
	v_mul_i32_i24_e32 v61, v219 /*v475*/, v52 /*v308*/
	s_set_vgpr_msb 0                        ;  msbs: dst=0 src0=0 src1=0 src2=0
	;; [unrolled: 7-line block ×5, first 2 shown]
	v_add3_u32 v58, v58, v98, v99
	v_add3_u32 v41, v41, v107, v120
	s_set_vgpr_msb 5                        ;  msbs: dst=0 src0=1 src1=1 src2=0
	v_mul_i32_i24_e32 v107, v36 /*v292*/, v206 /*v462*/
	v_mul_i32_i24_e32 v120, v38 /*v294*/, v207 /*v463*/
	s_set_vgpr_msb 0                        ;  msbs: dst=0 src0=0 src1=0 src2=0
	v_cvt_f32_i32_e32 v98, v59
	v_add3_u32 v58, v58, v100, v101
	v_add3_u32 v41, v41, v121, v122
	s_set_vgpr_msb 5                        ;  msbs: dst=0 src0=1 src1=1 src2=0
	v_mul_i32_i24_e32 v121, v37 /*v293*/, v208 /*v464*/
	v_mul_i32_i24_e32 v122, v209 /*v465*/, v39 /*v295*/
	s_set_vgpr_msb 1                        ;  msbs: dst=0 src0=1 src1=0 src2=0
	v_mul_i32_i24_e32 v59, v182 /*v438*/, v109
	s_set_vgpr_msb 0                        ;  msbs: dst=0 src0=0 src1=0 src2=0
	v_add3_u32 v58, v58, v103, v104
	v_add3_u32 v41, v41, v124, v126
	v_pk_fma_f32 v[100:101], v[102:103], v[114:115], 0 op_sel_hi:[0,1,0]
	s_set_vgpr_msb 5                        ;  msbs: dst=0 src0=1 src1=1 src2=0
	v_mul_i32_i24_e32 v66, v223 /*v479*/, v56 /*v312*/
	v_mul_i32_i24_e32 v68, v224 /*v480*/, v57 /*v313*/
	s_set_vgpr_msb 0                        ;  msbs: dst=0 src0=0 src1=0 src2=0
	v_add3_u32 v58, v58, v105, v107
	v_mul_lo_u32 v41, v41, v205
	v_pk_fma_f32 v[100:101], v[106:107], v[118:119], v[100:101] op_sel_hi:[0,1,1]
	s_set_vgpr_msb 5                        ;  msbs: dst=0 src0=1 src1=1 src2=0
	v_mul_i32_i24_e32 v69, v225 /*v481*/, v58 /*v314*/
	v_mul_i32_i24_e32 v70, v226 /*v482*/, v59 /*v315*/
	s_set_vgpr_msb 0                        ;  msbs: dst=0 src0=0 src1=0 src2=0
	v_add3_u32 v58, v58, v120, v121
	s_set_vgpr_msb 5                        ;  msbs: dst=0 src0=1 src1=1 src2=0
	v_mul_i32_i24_e32 v72, v227 /*v483*/, v60 /*v316*/
	s_set_vgpr_msb 0                        ;  msbs: dst=0 src0=0 src1=0 src2=0
	v_pk_mul_f32 v[100:101], v[100:101], v[12:13]
	s_set_vgpr_msb 5                        ;  msbs: dst=0 src0=1 src1=1 src2=0
	v_mul_i32_i24_e32 v91, v228 /*v484*/, v61 /*v317*/
	v_mul_i32_i24_e32 v93, v229 /*v485*/, v62 /*v318*/
	s_set_vgpr_msb 0                        ;  msbs: dst=0 src0=0 src1=0 src2=0
	v_add3_u32 v58, v58, v122, v148
	s_set_vgpr_msb 5                        ;  msbs: dst=0 src0=1 src1=1 src2=0
	v_mul_i32_i24_e32 v96, v230 /*v486*/, v63 /*v319*/
	s_set_vgpr_msb 0                        ;  msbs: dst=0 src0=0 src1=0 src2=0
	v_cvt_f32_i32_e32 v99, v41
	s_set_vgpr_msb 1                        ;  msbs: dst=0 src0=1 src1=0 src2=0
	v_mul_i32_i24_e32 v41, v161 /*v417*/, v109
	s_set_vgpr_msb 5                        ;  msbs: dst=0 src0=1 src1=1 src2=0
	v_mul_i32_i24_e32 v104, v69 /*v325*/, v237 /*v493*/
	s_set_vgpr_msb 0                        ;  msbs: dst=0 src0=0 src1=0 src2=0
	v_add3_u32 v58, v58, v149, v59
	s_set_vgpr_msb 5                        ;  msbs: dst=0 src0=1 src1=1 src2=0
	v_mul_i32_i24_e32 v59, v246 /*v502*/, v48 /*v304*/
	s_set_vgpr_msb 0                        ;  msbs: dst=0 src0=0 src1=0 src2=0
	v_pk_fma_f32 v[98:99], v[116:117], v[98:99], 0 op_sel_hi:[1,1,0]
	s_set_vgpr_msb 5                        ;  msbs: dst=0 src0=1 src1=1 src2=0
	v_add3_u32 v41, v168 /*v424*/, v167 /*v423*/, v41
	v_mul_i32_i24_e32 v105, v73 /*v329*/, v238 /*v494*/
	s_set_vgpr_msb 0                        ;  msbs: dst=0 src0=0 src1=0 src2=0
	v_mul_lo_u32 v58, v58, v111
	s_set_vgpr_msb 5                        ;  msbs: dst=0 src0=1 src1=1 src2=0
	v_mul_i32_i24_e32 v106, v71 /*v327*/, v239 /*v495*/
	v_mul_i32_i24_e32 v107, v240 /*v496*/, v77 /*v333*/
	s_set_vgpr_msb 0                        ;  msbs: dst=0 src0=0 src1=0 src2=0
	v_mul_lo_u32 v41, v41, v111
	s_set_vgpr_msb 5                        ;  msbs: dst=0 src0=1 src1=1 src2=0
	v_mul_i32_i24_e32 v109, v241 /*v497*/, v79 /*v335*/
	v_mul_i32_i24_e32 v111, v242 /*v498*/, v80 /*v336*/
	;; [unrolled: 1-line block ×5, first 2 shown]
	s_set_vgpr_msb 0                        ;  msbs: dst=0 src0=0 src1=0 src2=0
	v_cvt_f32_i32_e32 v103, v58
	s_set_vgpr_msb 5                        ;  msbs: dst=0 src0=1 src1=1 src2=0
	v_mul_i32_i24_e32 v58, v245 /*v501*/, v47 /*v303*/
	s_set_vgpr_msb 0                        ;  msbs: dst=0 src0=0 src1=0 src2=0
	v_cvt_f32_i32_e32 v102, v41
	s_set_vgpr_msb 5                        ;  msbs: dst=0 src0=1 src1=1 src2=0
	v_mul_i32_i24_e32 v41, v244 /*v500*/, v46 /*v302*/
	s_set_vgpr_msb 0                        ;  msbs: dst=0 src0=0 src1=0 src2=0
	s_delay_alu instid0(VALU_DEP_2) | instskip(SKIP_1) | instid1(VALU_DEP_2)
	v_pk_fma_f32 v[98:99], v[112:113], v[102:103], v[98:99]
	s_set_vgpr_msb 5                        ;  msbs: dst=0 src0=1 src1=1 src2=0
	v_mad_i32_i24 v41, v215 /*v471*/, v45 /*v301*/, v41
	v_mul_i32_i24_e32 v102, v67 /*v323*/, v235 /*v491*/
	v_mul_i32_i24_e32 v103, v70 /*v326*/, v236 /*v492*/
	s_set_vgpr_msb 0                        ;  msbs: dst=0 src0=0 src1=0 src2=0
	v_pk_fma_f32 v[98:99], v[98:99], v[4:5], v[100:101] neg_lo:[0,0,1] neg_hi:[0,0,1]
	v_add3_u32 v41, v41, v58, v59
	s_set_vgpr_msb 5                        ;  msbs: dst=0 src0=1 src1=1 src2=0
	v_mul_i32_i24_e32 v58, v216 /*v472*/, v49 /*v305*/
	v_mul_i32_i24_e32 v59, v217 /*v473*/, v50 /*v306*/
	;; [unrolled: 1-line block ×3, first 2 shown]
	s_set_vgpr_msb 0                        ;  msbs: dst=0 src0=0 src1=0 src2=0
	v_pk_add_f32 v[18:19], v[18:19], v[98:99]
	s_set_vgpr_msb 5                        ;  msbs: dst=0 src0=1 src1=1 src2=0
	v_mul_i32_i24_e32 v98, v231 /*v487*/, v64 /*v320*/
	v_mul_i32_i24_e32 v99, v66 /*v322*/, v232 /*v488*/
	s_set_vgpr_msb 0                        ;  msbs: dst=0 src0=0 src1=0 src2=0
	v_add3_u32 v41, v41, v58, v59
	s_set_vgpr_msb 5                        ;  msbs: dst=0 src0=1 src1=1 src2=0
	v_mul_i32_i24_e32 v58, v212 /*v468*/, v75 /*v331*/
	v_mul_i32_i24_e32 v59, v213 /*v469*/, v72 /*v328*/
	v_mul_i32_i24_e32 v101, v68 /*v324*/, v234 /*v490*/
	s_set_vgpr_msb 0                        ;  msbs: dst=0 src0=0 src1=0 src2=0
	v_add3_u32 v41, v41, v60, v61
	s_set_vgpr_msb 5                        ;  msbs: dst=0 src0=1 src1=1 src2=0
	v_mul_i32_i24_e32 v60, v214 /*v470*/, v78 /*v334*/
	v_mad_i32_i24 v58, v184 /*v440*/, v74 /*v330*/, v58
	v_mul_i32_i24_e32 v61, v187 /*v443*/, v76 /*v332*/
	s_set_vgpr_msb 0                        ;  msbs: dst=0 src0=0 src1=0 src2=0
	v_add3_u32 v41, v41, v62, v64
	s_set_vgpr_msb 5                        ;  msbs: dst=0 src0=1 src1=1 src2=0
	v_mul_i32_i24_e32 v62, v188 /*v444*/, v85 /*v341*/
	s_set_vgpr_msb 0                        ;  msbs: dst=0 src0=0 src1=0 src2=0
	v_add3_u32 v58, v58, v59, v60
	s_set_vgpr_msb 5                        ;  msbs: dst=0 src0=1 src1=1 src2=0
	v_mul_i32_i24_e32 v59, v185 /*v441*/, v81 /*v337*/
	v_mul_i32_i24_e32 v60, v186 /*v442*/, v83 /*v339*/
	s_set_vgpr_msb 0                        ;  msbs: dst=0 src0=0 src1=0 src2=0
	v_add3_u32 v41, v41, v65, v66
	s_set_vgpr_msb 5                        ;  msbs: dst=0 src0=1 src1=1 src2=0
	v_mul_i32_i24_e32 v64, v189 /*v445*/, v86 /*v342*/
	v_mul_i32_i24_e32 v65, v190 /*v446*/, v87 /*v343*/
	;; [unrolled: 1-line block ×3, first 2 shown]
	s_set_vgpr_msb 0                        ;  msbs: dst=0 src0=0 src1=0 src2=0
	v_add3_u32 v58, v58, v59, v60
	v_add3_u32 v41, v41, v68, v69
	s_set_vgpr_msb 21                       ;  msbs: dst=0 src0=1 src1=1 src2=1
	v_mul_i32_i24_e32 v68, v192 /*v448*/, v89 /*v345*/
	v_mul_i32_i24_e32 v69, v193 /*v449*/, v90 /*v346*/
	v_add3_u32 v59, v166 /*v422*/, v164 /*v420*/, v165 /*v421*/
	s_set_vgpr_msb 0                        ;  msbs: dst=0 src0=0 src1=0 src2=0
	v_add3_u32 v58, v58, v61, v62
	v_add3_u32 v41, v41, v70, v72
	s_set_vgpr_msb 5                        ;  msbs: dst=0 src0=1 src1=1 src2=0
	v_mul_i32_i24_e32 v70, v194 /*v450*/, v91 /*v347*/
	v_mul_i32_i24_e32 v72, v195 /*v451*/, v88 /*v344*/
	s_set_vgpr_msb 4                        ;  msbs: dst=0 src0=0 src1=1 src2=0
	v_mul_lo_u32 v59, v59, v44 /*v300*/
	s_set_vgpr_msb 0                        ;  msbs: dst=0 src0=0 src1=0 src2=0
	v_add3_u32 v58, v58, v64, v65
	v_add3_u32 v41, v41, v91, v93
	s_set_vgpr_msb 5                        ;  msbs: dst=0 src0=1 src1=1 src2=0
	v_mul_i32_i24_e32 v91, v196 /*v452*/, v92 /*v348*/
	v_mul_i32_i24_e32 v93, v197 /*v453*/, v93 /*v349*/
	s_set_vgpr_msb 0                        ;  msbs: dst=0 src0=0 src1=0 src2=0
	v_add3_u32 v58, v58, v66, v68
	v_add3_u32 v41, v41, v96, v98
	s_set_vgpr_msb 5                        ;  msbs: dst=0 src0=1 src1=1 src2=0
	v_mul_i32_i24_e32 v96, v198 /*v454*/, v94 /*v350*/
	v_mul_i32_i24_e32 v98, v96 /*v352*/, v199 /*v455*/
	;; [unrolled: 6-line block ×6, first 2 shown]
	s_set_vgpr_msb 0                        ;  msbs: dst=0 src0=0 src1=0 src2=0
	v_cvt_f32_i32_e32 v98, v59
	v_add3_u32 v58, v58, v100, v101
	v_add3_u32 v41, v41, v107, v109
	s_set_vgpr_msb 5                        ;  msbs: dst=0 src0=1 src1=1 src2=0
	v_mul_i32_i24_e32 v107, v103 /*v359*/, v208 /*v464*/
	v_mul_i32_i24_e32 v109, v209 /*v465*/, v105 /*v361*/
	;; [unrolled: 1-line block ×3, first 2 shown]
	s_set_vgpr_msb 0                        ;  msbs: dst=0 src0=0 src1=0 src2=0
	v_add3_u32 v58, v58, v102, v103
	v_add3_u32 v41, v41, v111, v120
	v_pk_fma_f32 v[100:101], v[110:111], v[114:115], 0 op_sel_hi:[0,1,0]
	s_delay_alu instid0(VALU_DEP_3) | instskip(SKIP_1) | instid1(VALU_DEP_3)
	v_add3_u32 v58, v58, v104, v105
	s_set_vgpr_msb 4                        ;  msbs: dst=0 src0=0 src1=1 src2=0
	v_mul_lo_u32 v41, v41, v44 /*v300*/
	s_set_vgpr_msb 0                        ;  msbs: dst=0 src0=0 src1=0 src2=0
	v_pk_fma_f32 v[100:101], v[108:109], v[118:119], v[100:101] op_sel_hi:[0,1,1]
	v_add3_u32 v58, v58, v106, v107
	s_delay_alu instid0(VALU_DEP_2) | instskip(NEXT) | instid1(VALU_DEP_2)
	v_pk_mul_f32 v[100:101], v[100:101], v[14:15]
	v_add3_u32 v58, v58, v109, v121
	v_cvt_f32_i32_e32 v99, v41
	s_set_vgpr_msb 5                        ;  msbs: dst=0 src0=1 src1=1 src2=0
	v_mul_i32_i24_e32 v41, v161 /*v417*/, v42 /*v298*/
	s_set_vgpr_msb 0                        ;  msbs: dst=0 src0=0 src1=0 src2=0
	v_add3_u32 v58, v58, v122, v59
	v_pk_fma_f32 v[98:99], v[116:117], v[98:99], 0 op_sel_hi:[1,1,0]
	s_set_vgpr_msb 5                        ;  msbs: dst=0 src0=1 src1=1 src2=0
	v_add3_u32 v41, v163 /*v419*/, v162 /*v418*/, v41
	s_set_vgpr_msb 4                        ;  msbs: dst=0 src0=0 src1=1 src2=0
	v_mul_lo_u32 v58, v58, v43 /*v299*/
	s_delay_alu instid0(VALU_DEP_2) | instskip(NEXT) | instid1(VALU_DEP_2)
	v_mul_lo_u32 v41, v41, v43 /*v299*/
	v_cvt_f32_i32_e32 v103, v58
	s_delay_alu instid0(VALU_DEP_2) | instskip(SKIP_1) | instid1(VALU_DEP_1)
	v_cvt_f32_i32_e32 v102, v41
	s_set_vgpr_msb 0                        ;  msbs: dst=0 src0=0 src1=0 src2=0
	v_pk_fma_f32 v[98:99], v[112:113], v[102:103], v[98:99]
	s_delay_alu instid0(VALU_DEP_1) | instskip(NEXT) | instid1(VALU_DEP_1)
	v_pk_fma_f32 v[98:99], v[98:99], v[6:7], v[100:101] neg_lo:[0,0,1] neg_hi:[0,0,1]
	v_pk_add_f32 v[16:17], v[16:17], v[98:99]
	s_cbranch_vccnz .LBB132_6
; %bb.7:                                ;   in Loop: Header=BB132_5 Depth=1
	v_add_nc_u32_e32 v8, s4, v89
	v_add_nc_u32_e32 v41, 4, v97
	s_barrier_signal -1
	s_barrier_wait -1
	s_delay_alu instid0(VALU_DEP_2) | instskip(SKIP_2) | instid1(VALU_DEP_3)
	v_dual_add_nc_u32 v6, v8, v87 :: v_dual_add_nc_u32 v10, v8, v81
	v_dual_add_nc_u32 v0, v8, v73 :: v_dual_add_nc_u32 v2, v8, v75
	;; [unrolled: 1-line block ×3, first 2 shown]
	v_mad_nc_i64_i32 v[6:7], v6, 36, v[52:53]
	s_delay_alu instid0(VALU_DEP_3)
	v_mad_nc_i64_i32 v[0:1], v0, 36, v[52:53]
	v_dual_add_nc_u32 v12, v8, v83 :: v_dual_add_nc_u32 v14, v8, v85
	v_mad_nc_i64_i32 v[2:3], v2, 36, v[52:53]
	v_mad_nc_i64_i32 v[4:5], v4, 36, v[52:53]
	;; [unrolled: 1-line block ×6, first 2 shown]
	v_mad_nc_u64_u32 v[96:97], v41, 36, s[10:11]
	s_clause 0x8
	global_load_b32 v41, v[6:7], off offset:4
	global_load_b32 v58, v[0:1], off offset:4
	;; [unrolled: 1-line block ×8, first 2 shown]
	global_load_b32 v66, v[96:97], off
	s_mov_b32 s4, 16
	s_wait_loadcnt 0x8
	ds_store_b32 v131, v41
	s_wait_loadcnt 0x7
	ds_store_b32 v95, v58
	;; [unrolled: 2-line block ×9, first 2 shown]
	s_wait_dscnt 0x0
	s_barrier_signal -1
	s_barrier_wait -1
	ds_load_b32 v0, v133
	ds_load_b32 v1, v134 offset:128
	ds_load_b32 v2, v135 offset:256
	;; [unrolled: 1-line block ×3, first 2 shown]
	s_wait_dscnt 0x3
	v_cvt_f32_f16_e32 v96, v0
	v_lshrrev_b32_e32 v0, 16, v0
	s_wait_dscnt 0x2
	v_cvt_f32_f16_e32 v98, v1
	s_wait_dscnt 0x0
	v_dual_lshrrev_b32 v1, 16, v1 :: v_dual_lshrrev_b32 v4, 16, v3
	v_cvt_f32_f16_e32 v100, v2
	v_lshrrev_b32_e32 v2, 16, v2
	v_cvt_f32_f16_e32 v102, v3
	v_cvt_f32_f16_e32 v104, v0
	v_cvt_f32_f16_e32 v106, v1
	v_cvt_f32_f16_e32 v110, v4
	v_cvt_f32_f16_e32 v108, v2
	v_dual_mov_b32 v97, v96 :: v_dual_mov_b32 v99, v98
	v_dual_mov_b32 v101, v100 :: v_dual_mov_b32 v103, v102
	;; [unrolled: 1-line block ×3, first 2 shown]
	s_delay_alu instid0(VALU_DEP_4)
	v_dual_mov_b32 v109, v108 :: v_dual_mov_b32 v111, v110
.LBB132_8:                              ;   Parent Loop BB132_5 Depth=1
                                        ; =>  This Inner Loop Header: Depth=2
	s_lshr_b32 s5, s4, 2
	s_lshl_b32 s8, s4, 2
	s_and_b32 s9, s5, 0x3ffffffe
	s_lshl_b32 s5, s4, 1
	s_addk_co_i32 s9, 0x6200
	s_and_b32 s5, s5, 16
	v_add3_u32 v41, s9, v171, v164
	v_or_b32_e32 v0, s5, v63
	s_delay_alu instid0(VALU_DEP_1)
	v_lshlrev_b32_e32 v1, 2, v0
	s_set_vgpr_msb 64                       ;  msbs: dst=1 src0=0 src1=0 src2=0
	v_lshrrev_b32_e32 v167 /*v423*/, 1, v0
	s_set_vgpr_msb 0                        ;  msbs: dst=0 src0=0 src1=0 src2=0
	ds_load_b128 v[8:11], v1 offset:16896
	ds_load_b128 v[4:7], v1 offset:16912
	;; [unrolled: 1-line block ×4, first 2 shown]
	s_wait_dscnt 0x3
	v_bfe_i32 v192, v10, 0, 8
	s_wait_dscnt 0x2
	v_bfe_i32 v200, v4, 0, 8
	v_bfe_i32 v201, v4, 8, 8
	;; [unrolled: 1-line block ×3, first 2 shown]
	v_dual_ashrrev_i32 v204, 24, v4 :: v_dual_ashrrev_i32 v182, 24, v5
	v_dual_ashrrev_i32 v178, 24, v6 :: v_dual_add_nc_u32 v4, s8, v167
	v_bfe_i32 v193, v10, 8, 8
	v_bfe_i32 v194, v10, 16, 8
	v_dual_ashrrev_i32 v195, 24, v10 :: v_dual_ashrrev_i32 v199, 24, v11
	v_bfe_i32 v196, v11, 0, 8
	v_bfe_i32 v197, v11, 8, 8
	;; [unrolled: 1-line block ×3, first 2 shown]
	ds_load_2addr_b32 v[10:11], v4 offset1:1
	v_bfe_i32 v183, v8, 0, 8
	s_wait_dscnt 0x1
	s_set_vgpr_msb 64                       ;  msbs: dst=1 src0=0 src1=0 src2=0
	v_ashrrev_i32_e32 v176 /*v432*/, 24, v1
	s_set_vgpr_msb 0                        ;  msbs: dst=0 src0=0 src1=0 src2=0
	v_bfe_i32 v187, v8, 8, 8
	v_bfe_i32 v186, v8, 16, 8
	v_ashrrev_i32_e32 v202, 24, v8
	s_set_vgpr_msb 64                       ;  msbs: dst=1 src0=0 src1=0 src2=0
	v_dual_ashrrev_i32 v179 /*v435*/, 24, v15 :: v_dual_ashrrev_i32 v177 /*v433*/, 24, v0
	v_bfe_i32 v170 /*v426*/, v0, 0, 8
	v_bfe_i32 v171 /*v427*/, v0, 8, 8
	;; [unrolled: 1-line block ×3, first 2 shown]
	s_set_vgpr_msb 0                        ;  msbs: dst=0 src0=0 src1=0 src2=0
	v_bfe_i32 v188, v9, 0, 8
	v_bfe_i32 v189, v9, 8, 8
	;; [unrolled: 1-line block ×5, first 2 shown]
	s_set_vgpr_msb 64                       ;  msbs: dst=1 src0=0 src1=0 src2=0
	v_bfe_i32 v173 /*v429*/, v1, 0, 8
	v_bfe_i32 v174 /*v430*/, v1, 8, 8
	;; [unrolled: 1-line block ×3, first 2 shown]
	s_set_vgpr_msb 0                        ;  msbs: dst=0 src0=0 src1=0 src2=0
	v_bfe_i32 v190, v9, 16, 8
	s_wait_dscnt 0x0
	s_set_vgpr_msb 64                       ;  msbs: dst=1 src0=0 src1=0 src2=0
	v_and_b32_e32 v118 /*v374*/, 15, v10
	v_bfe_u32 v117 /*v373*/, v10, 8, 4
	v_bfe_u32 v119 /*v375*/, v10, 16, 4
	v_bfe_u32 v120 /*v376*/, v10, 24, 4
	v_dual_lshrrev_b32 v150 /*v406*/, 28, v10 :: v_dual_bitop2_b32 v121 /*v377*/, 15, v11 bitop3:0x40
	s_set_vgpr_msb 1                        ;  msbs: dst=0 src0=1 src1=0 src2=0
	v_mul_i32_i24_e32 v0, v118 /*v374*/, v183
	v_mul_i32_i24_e32 v1, v119 /*v375*/, v186
	;; [unrolled: 1-line block ×3, first 2 shown]
	s_set_vgpr_msb 64                       ;  msbs: dst=1 src0=0 src1=0 src2=0
	v_bfe_u32 v122 /*v378*/, v11, 8, 4
	s_set_vgpr_msb 1                        ;  msbs: dst=0 src0=1 src1=0 src2=0
	v_ashrrev_i32_e32 v191, 24, v9
	v_mad_i32_i24 v0, v117 /*v373*/, v187, v0
	s_set_vgpr_msb 64                       ;  msbs: dst=1 src0=0 src1=0 src2=0
	v_bfe_u32 v123 /*v379*/, v11, 16, 4
	v_bfe_u32 v124 /*v380*/, v11, 24, 4
	s_set_vgpr_msb 0                        ;  msbs: dst=0 src0=0 src1=0 src2=0
	v_bfe_i32 v179, v6, 0, 8
	v_bfe_i32 v180, v6, 8, 8
	v_add3_u32 v0, v0, v1, v5
	s_set_vgpr_msb 1                        ;  msbs: dst=0 src0=1 src1=0 src2=0
	v_mul_i32_i24_e32 v1, v121 /*v377*/, v188
	v_mul_i32_i24_e32 v5, v122 /*v378*/, v189
	;; [unrolled: 1-line block ×4, first 2 shown]
	s_set_vgpr_msb 0                        ;  msbs: dst=0 src0=0 src1=0 src2=0
	v_bfe_i32 v177, v6, 16, 8
	s_set_vgpr_msb 64                       ;  msbs: dst=1 src0=0 src1=0 src2=0
	v_bfe_i32 v168 /*v424*/, v15, 0, 8
	s_set_vgpr_msb 0                        ;  msbs: dst=0 src0=0 src1=0 src2=0
	v_add3_u32 v0, v0, v5, v1
	s_set_vgpr_msb 64                       ;  msbs: dst=1 src0=0 src1=0 src2=0
	v_bfe_i32 v169 /*v425*/, v15, 8, 8
	v_bfe_i32 v178 /*v434*/, v15, 16, 8
	s_set_vgpr_msb 0                        ;  msbs: dst=0 src0=0 src1=0 src2=0
	v_ashrrev_i32_e32 v15, 24, v2
	s_set_vgpr_msb 64                       ;  msbs: dst=1 src0=0 src1=0 src2=0
	v_bfe_i32 v159 /*v415*/, v12, 0, 8
	s_set_vgpr_msb 0                        ;  msbs: dst=0 src0=0 src1=0 src2=0
	v_add3_u32 v0, v0, v8, v9
	ds_load_2addr_b32 v[8:9], v4 offset0:2 offset1:3
	s_set_vgpr_msb 64                       ;  msbs: dst=1 src0=0 src1=0 src2=0
	v_bfe_i32 v158 /*v414*/, v12, 8, 8
	v_bfe_i32 v160 /*v416*/, v12, 16, 8
	v_dual_ashrrev_i32 v182 /*v438*/, 24, v12 :: v_dual_ashrrev_i32 v180 /*v436*/, 24, v14
	v_bfe_i32 v161 /*v417*/, v13, 0, 8
	v_lshrrev_b32_e32 v142 /*v398*/, 28, v11
	v_bfe_i32 v162 /*v418*/, v13, 8, 8
	v_bfe_i32 v163 /*v419*/, v13, 16, 8
	v_ashrrev_i32_e32 v181 /*v437*/, 24, v13
	v_bfe_i32 v164 /*v420*/, v14, 0, 8
	v_bfe_i32 v165 /*v421*/, v14, 8, 8
	;; [unrolled: 1-line block ×3, first 2 shown]
	s_set_vgpr_msb 0                        ;  msbs: dst=0 src0=0 src1=0 src2=0
	v_bfe_i32 v12, v2, 0, 8
	v_bfe_i32 v13, v2, 8, 8
	;; [unrolled: 1-line block ×7, first 2 shown]
	s_wait_dscnt 0x0
	s_set_vgpr_msb 64                       ;  msbs: dst=1 src0=0 src1=0 src2=0
	v_and_b32_e32 v125 /*v381*/, 15, v8
	v_bfe_u32 v126 /*v382*/, v8, 8, 4
	v_bfe_u32 v127 /*v383*/, v8, 16, 4
	;; [unrolled: 1-line block ×3, first 2 shown]
	v_dual_lshrrev_b32 v143 /*v399*/, 28, v8 :: v_dual_bitop2_b32 v129 /*v385*/, 15, v9 bitop3:0x40
	s_set_vgpr_msb 1                        ;  msbs: dst=0 src0=1 src1=0 src2=0
	v_mul_i32_i24_e32 v1, v125 /*v381*/, v192
	v_mul_i32_i24_e32 v5, v126 /*v382*/, v193
	;; [unrolled: 1-line block ×4, first 2 shown]
	s_set_vgpr_msb 64                       ;  msbs: dst=1 src0=0 src1=0 src2=0
	v_bfe_u32 v130 /*v386*/, v9, 8, 4
	v_bfe_u32 v131 /*v387*/, v9, 16, 4
	s_set_vgpr_msb 0                        ;  msbs: dst=0 src0=0 src1=0 src2=0
	v_add3_u32 v0, v0, v5, v1
	s_set_vgpr_msb 1                        ;  msbs: dst=0 src0=1 src1=0 src2=0
	v_mul_i32_i24_e32 v1, v129 /*v385*/, v196
	s_set_vgpr_msb 64                       ;  msbs: dst=1 src0=0 src1=0 src2=0
	v_bfe_u32 v132 /*v388*/, v9, 24, 4
	s_set_vgpr_msb 1                        ;  msbs: dst=0 src0=1 src1=0 src2=0
	v_mul_i32_i24_e32 v5, v130 /*v386*/, v197
	s_set_vgpr_msb 0                        ;  msbs: dst=0 src0=0 src1=0 src2=0
	v_bfe_i32 v2, v3, 8, 8
	v_add3_u32 v0, v0, v58, v59
	s_set_vgpr_msb 1                        ;  msbs: dst=0 src0=1 src1=0 src2=0
	v_mul_i32_i24_e32 v58, v131 /*v387*/, v198
	v_mul_i32_i24_e32 v59, v132 /*v388*/, v199
	s_set_vgpr_msb 64                       ;  msbs: dst=1 src0=0 src1=0 src2=0
	v_bfe_i32 v251 /*v507*/, v3, 16, 8
	v_lshrrev_b32_e32 v144 /*v400*/, 28, v9
	s_set_vgpr_msb 0                        ;  msbs: dst=0 src0=0 src1=0 src2=0
	v_add3_u32 v0, v0, v5, v1
	v_ashrrev_i32_e32 v7, 24, v7
	s_delay_alu instid0(VALU_DEP_2)
	v_add3_u32 v5, v0, v58, v59
	ds_load_2addr_b32 v[0:1], v4 offset0:4 offset1:5
	s_wait_dscnt 0x0
	s_set_vgpr_msb 64                       ;  msbs: dst=1 src0=0 src1=0 src2=0
	v_and_b32_e32 v133 /*v389*/, 15, v0
	v_bfe_u32 v134 /*v390*/, v0, 8, 4
	v_bfe_u32 v135 /*v391*/, v0, 24, 4
	v_bfe_u32 v136 /*v392*/, v0, 16, 4
	v_bfe_u32 v137 /*v393*/, v1, 8, 4
	s_set_vgpr_msb 1                        ;  msbs: dst=0 src0=1 src1=0 src2=0
	v_mul_i32_i24_e32 v58, v133 /*v389*/, v200
	v_mul_i32_i24_e32 v59, v134 /*v390*/, v201
	s_set_vgpr_msb 4                        ;  msbs: dst=0 src0=0 src1=1 src2=0
	v_mul_i32_i24_e32 v60, v204, v135 /*v391*/
	v_mul_i32_i24_e32 v61, v203, v136 /*v392*/
	s_set_vgpr_msb 64                       ;  msbs: dst=1 src0=0 src1=0 src2=0
	v_dual_lshrrev_b32 v145 /*v401*/, 28, v0 :: v_dual_bitop2_b32 v138 /*v394*/, 15, v1 bitop3:0x40
	s_set_vgpr_msb 0                        ;  msbs: dst=0 src0=0 src1=0 src2=0
	v_add3_u32 v5, v5, v59, v58
	s_set_vgpr_msb 4                        ;  msbs: dst=0 src0=0 src1=1 src2=0
	v_mul_i32_i24_e32 v59, v206, v137 /*v393*/
	s_set_vgpr_msb 64                       ;  msbs: dst=1 src0=0 src1=0 src2=0
	v_bfe_u32 v139 /*v395*/, v1, 24, 4
	s_set_vgpr_msb 4                        ;  msbs: dst=0 src0=0 src1=1 src2=0
	v_mul_i32_i24_e32 v58, v205, v138 /*v394*/
	s_set_vgpr_msb 64                       ;  msbs: dst=1 src0=0 src1=0 src2=0
	v_bfe_u32 v140 /*v396*/, v1, 16, 4
	s_set_vgpr_msb 0                        ;  msbs: dst=0 src0=0 src1=0 src2=0
	v_add3_u32 v5, v5, v61, v60
	s_set_vgpr_msb 64                       ;  msbs: dst=1 src0=0 src1=0 src2=0
	v_lshrrev_b32_e32 v146 /*v402*/, 28, v1
	s_set_vgpr_msb 4                        ;  msbs: dst=0 src0=0 src1=1 src2=0
	v_mul_i32_i24_e32 v60, v182, v139 /*v395*/
	v_mul_i32_i24_e32 v61, v181, v140 /*v396*/
	s_set_vgpr_msb 0                        ;  msbs: dst=0 src0=0 src1=0 src2=0
	v_add3_u32 v5, v5, v59, v58
	s_delay_alu instid0(VALU_DEP_1)
	v_add3_u32 v58, v5, v61, v60
	ds_load_2addr_b32 v[4:5], v4 offset0:6 offset1:7
	s_wait_dscnt 0x0
	s_set_vgpr_msb 64                       ;  msbs: dst=1 src0=0 src1=0 src2=0
	v_bfe_u32 v141 /*v397*/, v4, 8, 4
	v_and_b32_e32 v148 /*v404*/, 15, v4
	v_bfe_u32 v149 /*v405*/, v4, 24, 4
	v_bfe_u32 v152 /*v408*/, v4, 16, 4
	v_dual_lshrrev_b32 v147 /*v403*/, 28, v4 :: v_dual_bitop2_b32 v153 /*v409*/, 15, v5 bitop3:0x40
	s_set_vgpr_msb 4                        ;  msbs: dst=0 src0=0 src1=1 src2=0
	v_mul_i32_i24_e32 v59, v179, v148 /*v404*/
	v_mul_i32_i24_e32 v60, v180, v141 /*v397*/
	;; [unrolled: 1-line block ×4, first 2 shown]
	s_set_vgpr_msb 64                       ;  msbs: dst=1 src0=0 src1=0 src2=0
	v_bfe_u32 v154 /*v410*/, v5, 8, 4
	v_bfe_u32 v50 /*v306*/, v5, 16, 4
	s_set_vgpr_msb 0                        ;  msbs: dst=0 src0=0 src1=0 src2=0
	v_add3_u32 v58, v58, v60, v59
	s_set_vgpr_msb 64                       ;  msbs: dst=1 src0=0 src1=0 src2=0
	v_bfe_u32 v49 /*v305*/, v5, 24, 4
	v_bfe_u32 v151 /*v407*/, v5, 4, 4
	;; [unrolled: 1-line block ×4, first 2 shown]
	v_add3_u32 v185 /*v441*/, v58, v62, v61
	s_set_vgpr_msb 0                        ;  msbs: dst=0 src0=0 src1=0 src2=0
	ds_load_u16 v58, v41
	ds_load_u16 v41, v41 offset:8
	s_set_vgpr_msb 64                       ;  msbs: dst=1 src0=0 src1=0 src2=0
	v_lshrrev_b32_e32 v52 /*v308*/, 28, v5
	s_set_vgpr_msb 0                        ;  msbs: dst=0 src0=0 src1=0 src2=0
	v_add_nc_u32_e32 v5, s8, v168
	s_set_vgpr_msb 0x41                     ;  msbs: dst=1 src0=1 src1=0 src2=0
	v_mul_i32_i24_e32 v187 /*v443*/, v154 /*v410*/, v118
	v_mul_i32_i24_e32 v183 /*v439*/, v151 /*v407*/, v116
	;; [unrolled: 1-line block ×3, first 2 shown]
	s_set_vgpr_msb 0x44                     ;  msbs: dst=1 src0=0 src1=1 src2=0
	v_mul_i32_i24_e32 v255 /*v511*/, v2, v54 /*v310*/
	s_set_vgpr_msb 0                        ;  msbs: dst=0 src0=0 src1=0 src2=0
	ds_load_2addr_b32 v[112:113], v5 offset1:1
	ds_load_2addr_b32 v[114:115], v5 offset0:2 offset1:3
	ds_load_2addr_b32 v[120:121], v5 offset0:4 offset1:5
	;; [unrolled: 1-line block ×3, first 2 shown]
	s_set_vgpr_msb 5                        ;  msbs: dst=0 src0=1 src1=1 src2=0
	v_mul_i32_i24_e32 v76, v53 /*v309*/, v251 /*v507*/
	s_wait_dscnt 0x5
	s_set_vgpr_msb 0                        ;  msbs: dst=0 src0=0 src1=0 src2=0
	v_lshrrev_b16 v59, 8, v58
	s_set_vgpr_msb 64                       ;  msbs: dst=1 src0=0 src1=0 src2=0
	v_and_b32_e32 v48 /*v304*/, 0xff, v58
	s_set_vgpr_msb 0                        ;  msbs: dst=0 src0=0 src1=0 src2=0
	v_lshrrev_b32_e32 v58, 4, v10
	s_wait_dscnt 0x4
	v_cvt_f32_ubyte0_e32 v122, v41
	v_cvt_f32_ubyte1_e32 v124, v41
	s_set_vgpr_msb 64                       ;  msbs: dst=1 src0=0 src1=0 src2=0
	v_and_b32_e32 v51 /*v307*/, 0xffff, v59
	s_set_vgpr_msb 0                        ;  msbs: dst=0 src0=0 src1=0 src2=0
	v_add3_u32 v41, s9, v172, v144
	v_lshrrev_b16 v58, 8, v58
	s_wait_dscnt 0x3
	s_set_vgpr_msb 64                       ;  msbs: dst=1 src0=0 src1=0 src2=0
	v_and_b32_e32 v59 /*v315*/, 15, v112
	s_wait_dscnt 0x1
	v_dual_lshrrev_b32 v110 /*v366*/, 28, v121 :: v_dual_bitop2_b32 v66 /*v322*/, 15, v114 bitop3:0x40
	v_bfe_u32 v78 /*v334*/, v121, 8, 4
	v_dual_lshrrev_b32 v91 /*v347*/, 28, v112 :: v_dual_bitop2_b32 v155 /*v411*/, 15, v58 bitop3:0x40
	s_set_vgpr_msb 0                        ;  msbs: dst=0 src0=0 src1=0 src2=0
	v_lshrrev_b32_e32 v58, 4, v11
	s_set_vgpr_msb 64                       ;  msbs: dst=1 src0=0 src1=0 src2=0
	v_and_b32_e32 v79 /*v335*/, 15, v121
	v_bfe_u32 v80 /*v336*/, v121, 24, 4
	v_bfe_u32 v81 /*v337*/, v121, 16, 4
	;; [unrolled: 1-line block ×3, first 2 shown]
	s_set_vgpr_msb 0                        ;  msbs: dst=0 src0=0 src1=0 src2=0
	v_lshrrev_b16 v58, 8, v58
	s_set_vgpr_msb 64                       ;  msbs: dst=1 src0=0 src1=0 src2=0
	v_bfe_u32 v109 /*v365*/, v121, 12, 4
	v_bfe_u32 v111 /*v367*/, v121, 20, 4
	s_wait_dscnt 0x0
	s_set_vgpr_msb 0                        ;  msbs: dst=0 src0=0 src1=0 src2=0
	v_lshrrev_b32_e32 v121, 28, v175
	s_set_vgpr_msb 64                       ;  msbs: dst=1 src0=0 src1=0 src2=0
	v_bfe_u32 v58 /*v314*/, v112, 8, 4
	v_dual_lshrrev_b32 v96 /*v352*/, 28, v113 :: v_dual_bitop2_b32 v192 /*v448*/, 15, v58 bitop3:0x40
	s_set_vgpr_msb 0                        ;  msbs: dst=0 src0=0 src1=0 src2=0
	v_lshrrev_b32_e32 v58, 4, v8
	s_set_vgpr_msb 64                       ;  msbs: dst=1 src0=0 src1=0 src2=0
	v_bfe_u32 v60 /*v316*/, v112, 16, 4
	v_bfe_u32 v61 /*v317*/, v112, 24, 4
	v_dual_lshrrev_b32 v100 /*v356*/, 28, v114 :: v_dual_bitop2_b32 v62 /*v318*/, 15, v113 bitop3:0x40
	s_set_vgpr_msb 1                        ;  msbs: dst=0 src0=1 src1=0 src2=0
	v_lshrrev_b16 v58, 8, v58
	v_mul_i32_i24_e32 v59, v60 /*v316*/, v186
	v_mul_i32_i24_e32 v60, v61 /*v317*/, v202
	s_set_vgpr_msb 64                       ;  msbs: dst=1 src0=0 src1=0 src2=0
	v_bfe_u32 v63 /*v319*/, v113, 8, 4
	v_bfe_u32 v64 /*v320*/, v113, 16, 4
	v_dual_lshrrev_b32 v103 /*v359*/, 28, v115 :: v_dual_bitop2_b32 v191 /*v447*/, 15, v58 bitop3:0x40
	s_set_vgpr_msb 0                        ;  msbs: dst=0 src0=0 src1=0 src2=0
	v_lshrrev_b32_e32 v58, 4, v9
	s_set_vgpr_msb 64                       ;  msbs: dst=1 src0=0 src1=0 src2=0
	v_bfe_u32 v65 /*v321*/, v113, 24, 4
	s_set_vgpr_msb 1                        ;  msbs: dst=0 src0=1 src1=0 src2=0
	v_mul_i32_i24_e32 v61, v64 /*v320*/, v190
	s_set_vgpr_msb 64                       ;  msbs: dst=1 src0=0 src1=0 src2=0
	v_bfe_u32 v67 /*v323*/, v114, 8, 4
	v_bfe_u32 v68 /*v324*/, v114, 16, 4
	s_set_vgpr_msb 1                        ;  msbs: dst=0 src0=1 src1=0 src2=0
	v_lshrrev_b16 v58, 8, v58
	v_mul_i32_i24_e32 v62, v65 /*v321*/, v191
	s_set_vgpr_msb 64                       ;  msbs: dst=1 src0=0 src1=0 src2=0
	v_bfe_u32 v69 /*v325*/, v114, 24, 4
	v_dual_lshrrev_b32 v114 /*v370*/, 28, v174 :: v_dual_bitop2_b32 v70 /*v326*/, 15, v115 bitop3:0x40
	v_dual_lshrrev_b32 v106 /*v362*/, 28, v120 :: v_dual_bitop2_b32 v190 /*v446*/, 15, v58 bitop3:0x40
	s_set_vgpr_msb 0                        ;  msbs: dst=0 src0=0 src1=0 src2=0
	v_lshrrev_b32_e32 v58, 4, v0
	s_set_vgpr_msb 64                       ;  msbs: dst=1 src0=0 src1=0 src2=0
	v_bfe_u32 v71 /*v327*/, v115, 8, 4
	v_bfe_u32 v72 /*v328*/, v115, 16, 4
	;; [unrolled: 1-line block ×3, first 2 shown]
	v_and_b32_e32 v74 /*v330*/, 15, v120
	s_set_vgpr_msb 0                        ;  msbs: dst=0 src0=0 src1=0 src2=0
	v_lshrrev_b16 v58, 8, v58
	s_set_vgpr_msb 64                       ;  msbs: dst=1 src0=0 src1=0 src2=0
	v_bfe_u32 v75 /*v331*/, v120, 8, 4
	v_bfe_u32 v76 /*v332*/, v120, 24, 4
	;; [unrolled: 1-line block ×4, first 2 shown]
	v_and_b32_e32 v189 /*v445*/, 15, v58
	s_set_vgpr_msb 0                        ;  msbs: dst=0 src0=0 src1=0 src2=0
	v_lshrrev_b32_e32 v58, 4, v1
	s_set_vgpr_msb 64                       ;  msbs: dst=1 src0=0 src1=0 src2=0
	v_and_b32_e32 v83 /*v339*/, 15, v174
	v_bfe_u32 v84 /*v340*/, v174, 24, 4
	v_bfe_u32 v86 /*v342*/, v174, 16, 4
	;; [unrolled: 1-line block ×3, first 2 shown]
	s_set_vgpr_msb 0                        ;  msbs: dst=0 src0=0 src1=0 src2=0
	v_lshrrev_b16 v58, 8, v58
	s_set_vgpr_msb 4                        ;  msbs: dst=0 src0=0 src1=1 src2=0
	v_mul_i32_i24_e32 v5, v179, v83 /*v339*/
	s_set_vgpr_msb 64                       ;  msbs: dst=1 src0=0 src1=0 src2=0
	v_bfe_u32 v85 /*v341*/, v112, 20, 4
	v_bfe_u32 v87 /*v343*/, v112, 12, 4
	v_bfe_u32 v93 /*v349*/, v113, 4, 4
	v_and_b32_e32 v188 /*v444*/, 15, v58
	s_set_vgpr_msb 0                        ;  msbs: dst=0 src0=0 src1=0 src2=0
	v_lshrrev_b32_e32 v58, 4, v4
	s_set_vgpr_msb 64                       ;  msbs: dst=1 src0=0 src1=0 src2=0
	v_bfe_u32 v94 /*v350*/, v113, 12, 4
	v_bfe_u32 v89 /*v345*/, v113, 20, 4
	s_set_vgpr_msb 5                        ;  msbs: dst=0 src0=1 src1=1 src2=0
	v_mul_i32_i24_e32 v65, v96 /*v352*/, v181 /*v437*/
	s_set_vgpr_msb 64                       ;  msbs: dst=1 src0=0 src1=0 src2=0
	v_bfe_u32 v97 /*v353*/, v114, 4, 4
	s_set_vgpr_msb 0                        ;  msbs: dst=0 src0=0 src1=0 src2=0
	v_lshrrev_b16 v58, 8, v58
	s_set_vgpr_msb 64                       ;  msbs: dst=1 src0=0 src1=0 src2=0
	v_bfe_u32 v98 /*v354*/, v114, 12, 4
	s_set_vgpr_msb 5                        ;  msbs: dst=0 src0=1 src1=1 src2=0
	v_mul_i32_i24_e32 v64, v89 /*v345*/, v163 /*v419*/
	s_set_vgpr_msb 64                       ;  msbs: dst=1 src0=0 src1=0 src2=0
	v_bfe_u32 v95 /*v351*/, v114, 20, 4
	s_set_vgpr_msb 5                        ;  msbs: dst=0 src0=1 src1=1 src2=0
	v_mul_i32_i24_e32 v66, v97 /*v353*/, v164 /*v420*/
	s_set_vgpr_msb 64                       ;  msbs: dst=1 src0=0 src1=0 src2=0
	v_and_b32_e32 v184 /*v440*/, 15, v58
	s_set_vgpr_msb 1                        ;  msbs: dst=0 src0=1 src1=0 src2=0
	v_mul_i32_i24_e32 v58, v59 /*v315*/, v183
	s_set_vgpr_msb 5                        ;  msbs: dst=0 src0=1 src1=1 src2=0
	v_mul_i32_i24_e32 v68, v98 /*v354*/, v165 /*v421*/
	v_mul_i32_i24_e32 v69, v95 /*v351*/, v166 /*v422*/
	;; [unrolled: 1-line block ×3, first 2 shown]
	s_set_vgpr_msb 64                       ;  msbs: dst=1 src0=0 src1=0 src2=0
	v_bfe_u32 v101 /*v357*/, v115, 4, 4
	s_set_vgpr_msb 1                        ;  msbs: dst=0 src0=1 src1=0 src2=0
	v_mad_i32_i24 v58, v58 /*v314*/, v187, v58
	s_set_vgpr_msb 64                       ;  msbs: dst=1 src0=0 src1=0 src2=0
	v_bfe_u32 v102 /*v358*/, v115, 12, 4
	v_bfe_u32 v99 /*v355*/, v115, 20, 4
	s_set_vgpr_msb 5                        ;  msbs: dst=0 src0=1 src1=1 src2=0
	v_mul_i32_i24_e32 v112, v103 /*v359*/, v179 /*v435*/
	v_mul_i32_i24_e32 v72, v101 /*v357*/, v168 /*v424*/
	s_set_vgpr_msb 0                        ;  msbs: dst=0 src0=0 src1=0 src2=0
	v_add3_u32 v58, v58, v59, v60
	s_set_vgpr_msb 1                        ;  msbs: dst=0 src0=1 src1=0 src2=0
	v_mul_i32_i24_e32 v59, v62 /*v318*/, v188
	v_mul_i32_i24_e32 v60, v63 /*v319*/, v189
	s_set_vgpr_msb 5                        ;  msbs: dst=0 src0=1 src1=1 src2=0
	v_mul_i32_i24_e32 v91, v102 /*v358*/, v169 /*v425*/
	v_mul_i32_i24_e32 v93, v99 /*v355*/, v178 /*v434*/
	s_set_vgpr_msb 64                       ;  msbs: dst=1 src0=0 src1=0 src2=0
	v_bfe_u32 v104 /*v360*/, v120, 4, 4
	v_bfe_u32 v105 /*v361*/, v120, 12, 4
	s_set_vgpr_msb 0                        ;  msbs: dst=0 src0=0 src1=0 src2=0
	v_add3_u32 v58, v58, v60, v59
	s_set_vgpr_msb 1                        ;  msbs: dst=0 src0=1 src1=0 src2=0
	v_mul_i32_i24_e32 v59, v66 /*v322*/, v192
	v_mul_i32_i24_e32 v60, v67 /*v323*/, v193
	s_set_vgpr_msb 5                        ;  msbs: dst=0 src0=1 src1=1 src2=0
	v_mul_i32_i24_e32 v114, v170 /*v426*/, v104 /*v360*/
	v_mul_i32_i24_e32 v113, v171 /*v427*/, v105 /*v361*/
	s_set_vgpr_msb 0                        ;  msbs: dst=0 src0=0 src1=0 src2=0
	v_add3_u32 v58, v58, v61, v62
	s_set_vgpr_msb 1                        ;  msbs: dst=0 src0=1 src1=0 src2=0
	v_mul_i32_i24_e32 v61, v68 /*v324*/, v194
	v_mul_i32_i24_e32 v62, v69 /*v325*/, v195
	s_set_vgpr_msb 64                       ;  msbs: dst=1 src0=0 src1=0 src2=0
	v_bfe_u32 v107 /*v363*/, v120, 20, 4
	s_set_vgpr_msb 5                        ;  msbs: dst=0 src0=1 src1=1 src2=0
	v_mul_i32_i24_e32 v115, v177 /*v433*/, v106 /*v362*/
	s_set_vgpr_msb 0                        ;  msbs: dst=0 src0=0 src1=0 src2=0
	v_add3_u32 v58, v58, v60, v59
	s_set_vgpr_msb 1                        ;  msbs: dst=0 src0=1 src1=0 src2=0
	v_mul_i32_i24_e32 v59, v70 /*v326*/, v196
	v_mul_i32_i24_e32 v60, v71 /*v327*/, v197
	s_set_vgpr_msb 5                        ;  msbs: dst=0 src0=1 src1=1 src2=0
	v_mul_i32_i24_e32 v117, v172 /*v428*/, v107 /*v363*/
	v_mul_i32_i24_e32 v119, v174 /*v430*/, v109 /*v365*/
	s_set_vgpr_msb 0                        ;  msbs: dst=0 src0=0 src1=0 src2=0
	v_add3_u32 v58, v58, v61, v62
	s_set_vgpr_msb 1                        ;  msbs: dst=0 src0=1 src1=0 src2=0
	v_mul_i32_i24_e32 v61, v72 /*v328*/, v198
	v_mul_i32_i24_e32 v62, v73 /*v329*/, v199
	s_set_vgpr_msb 5                        ;  msbs: dst=0 src0=1 src1=1 src2=0
	v_mul_i32_i24_e32 v120, v173 /*v429*/, v108 /*v364*/
	;; [unrolled: 8-line block ×3, first 2 shown]
	s_set_vgpr_msb 64                       ;  msbs: dst=1 src0=0 src1=0 src2=0
	v_bfe_u32 v112 /*v368*/, v174, 4, 4
	s_set_vgpr_msb 0                        ;  msbs: dst=0 src0=0 src1=0 src2=0
	v_add3_u32 v58, v58, v61, v62
	s_set_vgpr_msb 4                        ;  msbs: dst=0 src0=0 src1=1 src2=0
	v_mul_i32_i24_e32 v61, v204, v76 /*v332*/
	v_mul_i32_i24_e32 v62, v203, v77 /*v333*/
	s_set_vgpr_msb 64                       ;  msbs: dst=1 src0=0 src1=0 src2=0
	v_bfe_u32 v113 /*v369*/, v174, 12, 4
	s_set_vgpr_msb 4                        ;  msbs: dst=0 src0=0 src1=1 src2=0
	v_mul_i32_i24_e32 v151, v12, v112 /*v368*/
	s_set_vgpr_msb 0                        ;  msbs: dst=0 src0=0 src1=0 src2=0
	v_add3_u32 v58, v58, v60, v59
	s_set_vgpr_msb 4                        ;  msbs: dst=0 src0=0 src1=1 src2=0
	v_mul_i32_i24_e32 v59, v205, v79 /*v335*/
	v_mul_i32_i24_e32 v60, v206, v78 /*v334*/
	;; [unrolled: 1-line block ×3, first 2 shown]
	s_set_vgpr_msb 64                       ;  msbs: dst=1 src0=0 src1=0 src2=0
	v_bfe_u32 v115 /*v371*/, v174, 20, 4
	s_set_vgpr_msb 0                        ;  msbs: dst=0 src0=0 src1=0 src2=0
	v_add3_u32 v58, v58, v62, v61
	s_set_vgpr_msb 4                        ;  msbs: dst=0 src0=0 src1=1 src2=0
	v_mul_i32_i24_e32 v61, v182, v80 /*v336*/
	v_mul_i32_i24_e32 v62, v181, v81 /*v337*/
	;; [unrolled: 1-line block ×4, first 2 shown]
	s_set_vgpr_msb 0                        ;  msbs: dst=0 src0=0 src1=0 src2=0
	v_add3_u32 v58, v58, v60, v59
	s_set_vgpr_msb 4                        ;  msbs: dst=0 src0=0 src1=1 src2=0
	v_mul_i32_i24_e32 v59, v180, v82 /*v338*/
	v_mul_i32_i24_e32 v60, v178, v84 /*v340*/
	s_set_vgpr_msb 64                       ;  msbs: dst=1 src0=0 src1=0 src2=0
	v_bfe_u32 v92 /*v348*/, v175, 8, 4
	v_bfe_u32 v57 /*v313*/, v175, 16, 4
	s_set_vgpr_msb 0                        ;  msbs: dst=0 src0=0 src1=0 src2=0
	v_add3_u32 v58, v58, v62, v61
	s_set_vgpr_msb 4                        ;  msbs: dst=0 src0=0 src1=1 src2=0
	v_mul_i32_i24_e32 v61, v177, v86 /*v342*/
	s_set_vgpr_msb 5                        ;  msbs: dst=0 src0=1 src1=1 src2=0
	v_mul_i32_i24_e32 v62, v91 /*v347*/, v182 /*v438*/
	s_set_vgpr_msb 64                       ;  msbs: dst=1 src0=0 src1=0 src2=0
	v_bfe_u32 v56 /*v312*/, v175, 24, 4
	v_bfe_u32 v116 /*v372*/, v175, 4, 4
	s_set_vgpr_msb 0                        ;  msbs: dst=0 src0=0 src1=0 src2=0
	v_add3_u32 v5, v58, v59, v5
	ds_load_u16 v58, v41
	ds_load_u16 v41, v41 offset:8
	v_bfe_u32 v174, v175, 12, 4
	v_bfe_u32 v173, v175, 20, 4
	s_set_vgpr_msb 0x41                     ;  msbs: dst=1 src0=1 src1=0 src2=0
	v_mul_i32_i24_e32 v193 /*v449*/, v92 /*v348*/, v118
	s_set_vgpr_msb 0                        ;  msbs: dst=0 src0=0 src1=0 src2=0
	v_add3_u32 v5, v5, v61, v60
	s_set_vgpr_msb 5                        ;  msbs: dst=0 src0=1 src1=1 src2=0
	v_mul_i32_i24_e32 v61, v85 /*v341*/, v160 /*v416*/
	s_set_vgpr_msb 0x41                     ;  msbs: dst=1 src0=1 src1=0 src2=0
	v_mul_i32_i24_e32 v194 /*v450*/, v116 /*v372*/, v116
	s_set_vgpr_msb 0x44                     ;  msbs: dst=1 src0=0 src1=1 src2=0
	v_and_b32_e32 v155 /*v411*/, 0xffff, v155 /*v411*/
	s_wait_dscnt 0x1
	s_set_vgpr_msb 0                        ;  msbs: dst=0 src0=0 src1=0 src2=0
	v_lshrrev_b16 v60, 8, v58
	s_set_vgpr_msb 64                       ;  msbs: dst=1 src0=0 src1=0 src2=0
	v_and_b32_e32 v55 /*v311*/, 0xff, v58
	s_set_vgpr_msb 5                        ;  msbs: dst=0 src0=1 src1=1 src2=0
	v_mul_i32_i24_e32 v58, v88 /*v344*/, v159 /*v415*/
	s_wait_dscnt 0x0
	s_set_vgpr_msb 0                        ;  msbs: dst=0 src0=0 src1=0 src2=0
	v_cvt_f32_ubyte0_e32 v126, v41
	s_set_vgpr_msb 5                        ;  msbs: dst=0 src0=1 src1=1 src2=0
	v_mad_i32_i24 v58, v87 /*v343*/, v158 /*v414*/, v58
	s_set_vgpr_msb 0                        ;  msbs: dst=0 src0=0 src1=0 src2=0
	s_delay_alu instid0(VALU_DEP_1) | instskip(SKIP_4) | instid1(VALU_DEP_1)
	v_add3_u32 v58, v58, v61, v62
	s_set_vgpr_msb 5                        ;  msbs: dst=0 src0=1 src1=1 src2=0
	v_mul_i32_i24_e32 v61, v93 /*v349*/, v161 /*v417*/
	v_mul_i32_i24_e32 v62, v94 /*v350*/, v162 /*v418*/
	s_set_vgpr_msb 0                        ;  msbs: dst=0 src0=0 src1=0 src2=0
	v_add3_u32 v58, v58, v61, v62
	s_delay_alu instid0(VALU_DEP_1) | instskip(NEXT) | instid1(VALU_DEP_1)
	v_add3_u32 v58, v58, v64, v65
	v_add3_u32 v58, v58, v66, v68
	s_delay_alu instid0(VALU_DEP_1) | instskip(NEXT) | instid1(VALU_DEP_1)
	v_add3_u32 v58, v58, v69, v70
	;; [unrolled: 3-line block ×4, first 2 shown]
	v_add3_u32 v58, v58, v120, v119
	v_cvt_f32_ubyte1_e32 v120, v41
	v_add3_u32 v41, s9, v165, v145
	s_delay_alu instid0(VALU_DEP_3) | instskip(NEXT) | instid1(VALU_DEP_1)
	v_add3_u32 v58, v58, v149, v148
	v_add3_u32 v58, v58, v151, v150
	s_set_vgpr_msb 64                       ;  msbs: dst=1 src0=0 src1=0 src2=0
	s_delay_alu instid0(VALU_DEP_1)
	v_add3_u32 v195 /*v451*/, v58, v153, v152
	s_set_vgpr_msb 0                        ;  msbs: dst=0 src0=0 src1=0 src2=0
	v_add_nc_u32_e32 v58, s8, v169
	ds_load_2addr_b32 v[114:115], v58 offset1:1
	ds_load_2addr_b32 v[184:185], v58 offset0:2 offset1:3
	ds_load_2addr_b32 v[208:209], v58 offset0:4 offset1:5
	;; [unrolled: 1-line block ×3, first 2 shown]
	s_set_vgpr_msb 64                       ;  msbs: dst=1 src0=0 src1=0 src2=0
	v_and_b32_e32 v90 /*v346*/, 15, v175
	s_set_vgpr_msb 0                        ;  msbs: dst=0 src0=0 src1=0 src2=0
	v_and_b32_e32 v175, 0xffff, v60
	s_wait_dscnt 0x3
	v_and_b32_e32 v246, 15, v114
	v_bfe_u32 v245, v114, 8, 4
	v_bfe_u32 v247, v114, 16, 4
	;; [unrolled: 1-line block ×3, first 2 shown]
	v_and_b32_e32 v249, 15, v115
	v_mul_i32_i24_e32 v60, v246, v183
	v_bfe_u32 v250, v115, 8, 4
	v_mul_i32_i24_e32 v61, v247, v186
	v_mul_i32_i24_e32 v62, v248, v202
	v_bfe_u32 v251, v115, 16, 4
	v_mad_i32_i24 v60, v245, v187, v60
	v_bfe_u32 v252, v115, 24, 4
	s_wait_dscnt 0x2
	v_and_b32_e32 v253, 15, v184
	v_bfe_u32 v254, v184, 8, 4
	v_mul_i32_i24_e32 v64, v251, v190
	v_add3_u32 v60, v60, v61, v62
	v_mul_i32_i24_e32 v61, v249, v188
	v_mul_i32_i24_e32 v62, v250, v189
	;; [unrolled: 1-line block ×3, first 2 shown]
	v_bfe_u32 v255, v184, 16, 4
	s_set_vgpr_msb 64                       ;  msbs: dst=1 src0=0 src1=0 src2=0
	v_bfe_u32 v0 /*v256*/, v184, 24, 4
	v_and_b32_e32 v1 /*v257*/, 15, v185
	s_set_vgpr_msb 0                        ;  msbs: dst=0 src0=0 src1=0 src2=0
	v_add3_u32 v60, v60, v62, v61
	v_mul_i32_i24_e32 v61, v253, v192
	v_mul_i32_i24_e32 v62, v254, v193
	s_set_vgpr_msb 64                       ;  msbs: dst=1 src0=0 src1=0 src2=0
	v_bfe_u32 v2 /*v258*/, v185, 8, 4
	v_bfe_u32 v3 /*v259*/, v185, 16, 4
	s_set_vgpr_msb 0                        ;  msbs: dst=0 src0=0 src1=0 src2=0
	v_add3_u32 v60, v60, v64, v65
	v_mul_i32_i24_e32 v64, v255, v194
	s_set_vgpr_msb 1                        ;  msbs: dst=0 src0=1 src1=0 src2=0
	v_mul_i32_i24_e32 v65, v0 /*v256*/, v195
	s_set_vgpr_msb 64                       ;  msbs: dst=1 src0=0 src1=0 src2=0
	v_bfe_u32 v4 /*v260*/, v185, 24, 4
	s_wait_dscnt 0x1
	v_and_b32_e32 v5 /*v261*/, 15, v208
	s_set_vgpr_msb 0                        ;  msbs: dst=0 src0=0 src1=0 src2=0
	v_add3_u32 v60, v60, v62, v61
	s_set_vgpr_msb 1                        ;  msbs: dst=0 src0=1 src1=0 src2=0
	v_mul_i32_i24_e32 v61, v1 /*v257*/, v196
	v_mul_i32_i24_e32 v62, v2 /*v258*/, v197
	s_set_vgpr_msb 64                       ;  msbs: dst=1 src0=0 src1=0 src2=0
	v_bfe_u32 v6 /*v262*/, v208, 8, 4
	v_bfe_u32 v7 /*v263*/, v208, 24, 4
	s_set_vgpr_msb 0                        ;  msbs: dst=0 src0=0 src1=0 src2=0
	v_add3_u32 v60, v60, v64, v65
	s_set_vgpr_msb 1                        ;  msbs: dst=0 src0=1 src1=0 src2=0
	v_mul_i32_i24_e32 v64, v3 /*v259*/, v198
	v_mul_i32_i24_e32 v65, v4 /*v260*/, v199
	s_set_vgpr_msb 64                       ;  msbs: dst=1 src0=0 src1=0 src2=0
	v_bfe_u32 v8 /*v264*/, v208, 16, 4
	v_bfe_u32 v9 /*v265*/, v209, 8, 4
	s_set_vgpr_msb 0                        ;  msbs: dst=0 src0=0 src1=0 src2=0
	v_add3_u32 v60, v60, v62, v61
	s_set_vgpr_msb 1                        ;  msbs: dst=0 src0=1 src1=0 src2=0
	v_mul_i32_i24_e32 v61, v5 /*v261*/, v200
	v_mul_i32_i24_e32 v62, v6 /*v262*/, v201
	s_set_vgpr_msb 64                       ;  msbs: dst=1 src0=0 src1=0 src2=0
	v_and_b32_e32 v10 /*v266*/, 15, v209
	v_bfe_u32 v11 /*v267*/, v209, 24, 4
	s_set_vgpr_msb 0                        ;  msbs: dst=0 src0=0 src1=0 src2=0
	v_add3_u32 v60, v60, v64, v65
	s_set_vgpr_msb 4                        ;  msbs: dst=0 src0=0 src1=1 src2=0
	v_mul_i32_i24_e32 v64, v204, v7 /*v263*/
	v_mul_i32_i24_e32 v65, v203, v8 /*v264*/
	s_set_vgpr_msb 64                       ;  msbs: dst=1 src0=0 src1=0 src2=0
	v_bfe_u32 v12 /*v268*/, v209, 16, 4
	s_wait_dscnt 0x0
	v_bfe_u32 v13 /*v269*/, v210, 8, 4
	s_set_vgpr_msb 0                        ;  msbs: dst=0 src0=0 src1=0 src2=0
	v_add3_u32 v60, v60, v62, v61
	s_set_vgpr_msb 4                        ;  msbs: dst=0 src0=0 src1=1 src2=0
	v_mul_i32_i24_e32 v61, v205, v10 /*v266*/
	v_mul_i32_i24_e32 v62, v206, v9 /*v265*/
	s_set_vgpr_msb 64                       ;  msbs: dst=1 src0=0 src1=0 src2=0
	v_and_b32_e32 v14 /*v270*/, 15, v210
	v_bfe_u32 v15 /*v271*/, v210, 24, 4
	s_set_vgpr_msb 0                        ;  msbs: dst=0 src0=0 src1=0 src2=0
	v_add3_u32 v60, v60, v65, v64
	s_set_vgpr_msb 4                        ;  msbs: dst=0 src0=0 src1=1 src2=0
	v_mul_i32_i24_e32 v64, v182, v11 /*v267*/
	v_mul_i32_i24_e32 v65, v181, v12 /*v268*/
	;; [unrolled: 1-line block ×3, first 2 shown]
	s_set_vgpr_msb 64                       ;  msbs: dst=1 src0=0 src1=0 src2=0
	v_bfe_u32 v17 /*v273*/, v210, 16, 4
	s_set_vgpr_msb 0                        ;  msbs: dst=0 src0=0 src1=0 src2=0
	v_add3_u32 v60, v60, v62, v61
	s_set_vgpr_msb 4                        ;  msbs: dst=0 src0=0 src1=1 src2=0
	v_mul_i32_i24_e32 v61, v180, v13 /*v269*/
	v_mul_i32_i24_e32 v62, v178, v15 /*v271*/
	s_set_vgpr_msb 64                       ;  msbs: dst=1 src0=0 src1=0 src2=0
	v_bfe_u32 v19 /*v275*/, v114, 4, 4
	v_bfe_u32 v16 /*v272*/, v114, 20, 4
	s_set_vgpr_msb 0                        ;  msbs: dst=0 src0=0 src1=0 src2=0
	v_add3_u32 v60, v60, v65, v64
	s_set_vgpr_msb 4                        ;  msbs: dst=0 src0=0 src1=1 src2=0
	v_mul_i32_i24_e32 v64, v177, v17 /*v273*/
	s_set_vgpr_msb 64                       ;  msbs: dst=1 src0=0 src1=0 src2=0
	v_bfe_u32 v18 /*v274*/, v114, 12, 4
	v_lshrrev_b32_e32 v22 /*v278*/, 28, v114
	v_bfe_u32 v24 /*v280*/, v115, 4, 4
	s_set_vgpr_msb 0                        ;  msbs: dst=0 src0=0 src1=0 src2=0
	v_add3_u32 v58, v60, v61, v58
	s_set_vgpr_msb 5                        ;  msbs: dst=0 src0=1 src1=1 src2=0
	v_mul_i32_i24_e32 v61, v16 /*v272*/, v160 /*v416*/
	s_set_vgpr_msb 64                       ;  msbs: dst=1 src0=0 src1=0 src2=0
	v_bfe_u32 v25 /*v281*/, v115, 12, 4
	v_bfe_u32 v20 /*v276*/, v115, 20, 4
	v_lshrrev_b32_e32 v27 /*v283*/, 28, v115
	v_add3_u32 v196 /*v452*/, v58, v64, v62
	s_set_vgpr_msb 0                        ;  msbs: dst=0 src0=0 src1=0 src2=0
	ds_load_u16 v58, v41
	ds_load_u16 v41, v41 offset:8
	s_set_vgpr_msb 5                        ;  msbs: dst=0 src0=1 src1=1 src2=0
	v_mul_i32_i24_e32 v62, v22 /*v278*/, v182 /*v438*/
	v_mul_i32_i24_e32 v64, v20 /*v276*/, v163 /*v419*/
	v_mul_i32_i24_e32 v65, v27 /*v283*/, v181 /*v437*/
	s_set_vgpr_msb 64                       ;  msbs: dst=1 src0=0 src1=0 src2=0
	v_bfe_u32 v28 /*v284*/, v184, 4, 4
	v_bfe_u32 v29 /*v285*/, v184, 12, 4
	;; [unrolled: 1-line block ×3, first 2 shown]
	v_lshrrev_b32_e32 v31 /*v287*/, 28, v184
	v_bfe_u32 v32 /*v288*/, v185, 4, 4
	s_set_vgpr_msb 5                        ;  msbs: dst=0 src0=1 src1=1 src2=0
	v_mul_i32_i24_e32 v66, v28 /*v284*/, v164 /*v420*/
	v_mul_i32_i24_e32 v68, v29 /*v285*/, v165 /*v421*/
	;; [unrolled: 1-line block ×4, first 2 shown]
	s_set_vgpr_msb 64                       ;  msbs: dst=1 src0=0 src1=0 src2=0
	v_bfe_u32 v33 /*v289*/, v185, 12, 4
	v_bfe_u32 v30 /*v286*/, v185, 20, 4
	s_set_vgpr_msb 5                        ;  msbs: dst=0 src0=1 src1=1 src2=0
	v_mul_i32_i24_e32 v72, v32 /*v288*/, v168 /*v424*/
	s_set_vgpr_msb 64                       ;  msbs: dst=1 src0=0 src1=0 src2=0
	v_lshrrev_b32_e32 v34 /*v290*/, 28, v185
	v_bfe_u32 v35 /*v291*/, v208, 4, 4
	s_set_vgpr_msb 5                        ;  msbs: dst=0 src0=1 src1=1 src2=0
	v_mul_i32_i24_e32 v91, v33 /*v289*/, v169 /*v425*/
	s_wait_dscnt 0x1
	s_set_vgpr_msb 0                        ;  msbs: dst=0 src0=0 src1=0 src2=0
	v_lshrrev_b16 v60, 8, v58
	v_and_b32_e32 v242, 0xff, v58
	s_set_vgpr_msb 5                        ;  msbs: dst=0 src0=1 src1=1 src2=0
	v_mul_i32_i24_e32 v58, v19 /*v275*/, v159 /*v415*/
	v_mul_i32_i24_e32 v93, v30 /*v286*/, v178 /*v434*/
	;; [unrolled: 1-line block ×3, first 2 shown]
	s_set_vgpr_msb 64                       ;  msbs: dst=1 src0=0 src1=0 src2=0
	v_bfe_u32 v36 /*v292*/, v208, 12, 4
	s_set_vgpr_msb 5                        ;  msbs: dst=0 src0=1 src1=1 src2=0
	v_mul_i32_i24_e32 v148, v170 /*v426*/, v35 /*v291*/
	v_mad_i32_i24 v58, v18 /*v274*/, v158 /*v414*/, v58
	s_set_vgpr_msb 64                       ;  msbs: dst=1 src0=0 src1=0 src2=0
	v_lshrrev_b32_e32 v37 /*v293*/, 28, v208
	v_bfe_u32 v38 /*v294*/, v208, 20, 4
	s_set_vgpr_msb 5                        ;  msbs: dst=0 src0=1 src1=1 src2=0
	v_mul_i32_i24_e32 v119, v171 /*v427*/, v36 /*v292*/
	s_set_vgpr_msb 64                       ;  msbs: dst=1 src0=0 src1=0 src2=0
	v_bfe_u32 v39 /*v295*/, v209, 4, 4
	s_set_vgpr_msb 0                        ;  msbs: dst=0 src0=0 src1=0 src2=0
	v_add3_u32 v58, v58, v61, v62
	s_set_vgpr_msb 5                        ;  msbs: dst=0 src0=1 src1=1 src2=0
	v_mul_i32_i24_e32 v61, v24 /*v280*/, v161 /*v417*/
	v_mul_i32_i24_e32 v62, v25 /*v281*/, v162 /*v418*/
	;; [unrolled: 1-line block ×4, first 2 shown]
	s_set_vgpr_msb 64                       ;  msbs: dst=1 src0=0 src1=0 src2=0
	v_bfe_u32 v40 /*v296*/, v209, 12, 4
	s_set_vgpr_msb 5                        ;  msbs: dst=0 src0=1 src1=1 src2=0
	v_mul_i32_i24_e32 v152, v173 /*v429*/, v39 /*v295*/
	s_set_vgpr_msb 0                        ;  msbs: dst=0 src0=0 src1=0 src2=0
	v_add3_u32 v58, v58, v61, v62
	s_set_vgpr_msb 64                       ;  msbs: dst=1 src0=0 src1=0 src2=0
	v_lshrrev_b32_e32 v41 /*v297*/, 28, v209
	v_bfe_u32 v42 /*v298*/, v209, 20, 4
	s_set_vgpr_msb 5                        ;  msbs: dst=0 src0=1 src1=1 src2=0
	v_mul_i32_i24_e32 v151, v174 /*v430*/, v40 /*v296*/
	s_set_vgpr_msb 64                       ;  msbs: dst=1 src0=0 src1=0 src2=0
	v_bfe_u32 v43 /*v299*/, v210, 4, 4
	s_set_vgpr_msb 0                        ;  msbs: dst=0 src0=0 src1=0 src2=0
	v_add3_u32 v58, v58, v64, v65
	s_set_vgpr_msb 5                        ;  msbs: dst=0 src0=1 src1=1 src2=0
	v_mul_i32_i24_e32 v153, v176 /*v432*/, v41 /*v297*/
	v_mul_i32_i24_e32 v154, v175 /*v431*/, v42 /*v298*/
	s_set_vgpr_msb 64                       ;  msbs: dst=1 src0=0 src1=0 src2=0
	v_bfe_u32 v44 /*v300*/, v210, 12, 4
	s_set_vgpr_msb 4                        ;  msbs: dst=0 src0=0 src1=1 src2=0
	v_mul_i32_i24_e32 v156, v12, v43 /*v299*/
	s_set_vgpr_msb 0                        ;  msbs: dst=0 src0=0 src1=0 src2=0
	v_add3_u32 v58, v58, v66, v68
	s_set_vgpr_msb 64                       ;  msbs: dst=1 src0=0 src1=0 src2=0
	v_lshrrev_b32_e32 v45 /*v301*/, 28, v210
	v_bfe_u32 v46 /*v302*/, v210, 20, 4
	s_set_vgpr_msb 4                        ;  msbs: dst=0 src0=0 src1=1 src2=0
	v_mul_i32_i24_e32 v155, v13, v44 /*v300*/
	s_set_vgpr_msb 64                       ;  msbs: dst=1 src0=0 src1=0 src2=0
	v_and_b32_e32 v21 /*v277*/, 15, v211
	s_set_vgpr_msb 0                        ;  msbs: dst=0 src0=0 src1=0 src2=0
	v_add3_u32 v58, v58, v69, v70
	s_set_vgpr_msb 4                        ;  msbs: dst=0 src0=0 src1=1 src2=0
	v_mul_i32_i24_e32 v157, v15, v45 /*v301*/
	v_mul_i32_i24_e32 v158, v14, v46 /*v302*/
	s_set_vgpr_msb 64                       ;  msbs: dst=1 src0=0 src1=0 src2=0
	v_bfe_u32 v23 /*v279*/, v211, 8, 4
	s_set_vgpr_msb 0                        ;  msbs: dst=0 src0=0 src1=0 src2=0
	v_bfe_u32 v244, v211, 16, 4
	v_add3_u32 v58, v58, v72, v91
	v_bfe_u32 v243, v211, 24, 4
	s_set_vgpr_msb 64                       ;  msbs: dst=1 src0=0 src1=0 src2=0
	v_bfe_u32 v47 /*v303*/, v211, 4, 4
	s_set_vgpr_msb 0                        ;  msbs: dst=0 src0=0 src1=0 src2=0
	v_bfe_u32 v117, v211, 12, 4
	v_bfe_u32 v115, v211, 20, 4
	v_add3_u32 v58, v58, v93, v114
	v_lshrrev_b32_e32 v113, 28, v211
	s_wait_dscnt 0x0
	v_cvt_f32_ubyte0_e32 v112, v41
	v_cvt_f32_ubyte1_e32 v114, v41
	v_add3_u32 v41, s9, v166, v146
	v_add3_u32 v58, v58, v148, v119
	v_and_b32_e32 v119, 0xffff, v60
	s_set_vgpr_msb 0x41                     ;  msbs: dst=1 src0=1 src1=0 src2=0
	v_mul_i32_i24_e32 v198 /*v454*/, v23 /*v279*/, v118
	v_mul_i32_i24_e32 v199 /*v455*/, v47 /*v303*/, v116
	s_set_vgpr_msb 1                        ;  msbs: dst=0 src0=1 src1=0 src2=0
	v_mul_i32_i24_e32 v59, v90 /*v346*/, v176
	s_set_vgpr_msb 0                        ;  msbs: dst=0 src0=0 src1=0 src2=0
	v_add3_u32 v58, v58, v150, v149
	s_set_vgpr_msb 0x41                     ;  msbs: dst=1 src0=1 src1=0 src2=0
	v_mul_i32_i24_e32 v197 /*v453*/, v21 /*v277*/, v176
	s_set_vgpr_msb 4                        ;  msbs: dst=0 src0=0 src1=1 src2=0
	v_add3_u32 v5, v5, v193 /*v449*/, v59
	s_set_vgpr_msb 0                        ;  msbs: dst=0 src0=0 src1=0 src2=0
	v_add3_u32 v58, v58, v152, v151
	s_delay_alu instid0(VALU_DEP_1) | instskip(NEXT) | instid1(VALU_DEP_1)
	v_add3_u32 v58, v58, v154, v153
	v_add3_u32 v58, v58, v156, v155
	s_set_vgpr_msb 64                       ;  msbs: dst=1 src0=0 src1=0 src2=0
	s_delay_alu instid0(VALU_DEP_1)
	v_add3_u32 v200 /*v456*/, v58, v158, v157
	s_set_vgpr_msb 0                        ;  msbs: dst=0 src0=0 src1=0 src2=0
	v_add_nc_u32_e32 v58, s8, v170
	ds_load_2addr_b32 v[220:221], v58 offset1:1
	ds_load_2addr_b32 v[228:229], v58 offset0:2 offset1:3
	ds_load_2addr_b32 v[236:237], v58 offset0:4 offset1:5
	s_set_vgpr_msb 64                       ;  msbs: dst=1 src0=0 src1=0 src2=0
	ds_load_2addr_b32 v[156:157] /*v[412:413]*/, v58 offset0:6 offset1:7
	s_wait_dscnt 0x3
	s_set_vgpr_msb 0                        ;  msbs: dst=0 src0=0 src1=0 src2=0
	v_and_b32_e32 v184, 15, v220
	v_bfe_u32 v185, v220, 16, 4
	v_bfe_u32 v214, v221, 20, 4
	;; [unrolled: 1-line block ×4, first 2 shown]
	v_mul_i32_i24_e32 v60, v184, v183
	v_bfe_u32 v183, v220, 8, 4
	v_mul_i32_i24_e32 v61, v185, v186
	v_bfe_u32 v186, v220, 24, 4
	v_lshrrev_b32_e32 v216, 28, v220
	v_bfe_u32 v210, v220, 20, 4
	v_mad_i32_i24 v60, v183, v187, v60
	v_and_b32_e32 v187, 15, v221
	v_mul_i32_i24_e32 v62, v186, v202
	v_bfe_u32 v213, v220, 4, 4
	v_bfe_u32 v212, v220, 12, 4
	s_wait_dscnt 0x2
	v_bfe_u32 v220, v228, 20, 4
	v_bfe_u32 v222, v228, 4, 4
	v_add3_u32 v60, v60, v61, v62
	v_mul_i32_i24_e32 v61, v187, v188
	v_bfe_u32 v188, v221, 8, 4
	v_bfe_u32 v223, v228, 12, 4
	s_wait_dscnt 0x1
	v_dual_lshrrev_b32 v225, 28, v228 :: v_dual_lshrrev_b32 v235, 28, v237
	v_bfe_u32 v202, v236, 16, 4
	v_mul_i32_i24_e32 v62, v188, v189
	v_bfe_u32 v189, v221, 16, 4
	v_lshrrev_b32_e32 v231, 28, v236
	s_wait_dscnt 0x0
	s_set_vgpr_msb 1                        ;  msbs: dst=0 src0=1 src1=0 src2=0
	v_bfe_u32 v207, v156 /*v412*/, 8, 4
	s_set_vgpr_msb 4                        ;  msbs: dst=0 src0=0 src1=1 src2=0
	v_dual_lshrrev_b32 v239, 28, v156 /*v412*/ :: v_dual_bitop2_b32 v208, 15, v156 /*v412*/ bitop3:0x40
	s_set_vgpr_msb 0                        ;  msbs: dst=0 src0=0 src1=0 src2=0
	v_mul_i32_i24_e32 v64, v189, v190
	v_bfe_u32 v190, v221, 24, 4
	v_add3_u32 v60, v60, v62, v61
	v_lshrrev_b32_e32 v221, 28, v221
	v_mul_i32_i24_e32 v58, v179, v208
	s_set_vgpr_msb 1                        ;  msbs: dst=0 src0=1 src1=0 src2=0
	v_bfe_u32 v209, v156 /*v412*/, 24, 4
	s_set_vgpr_msb 0                        ;  msbs: dst=0 src0=0 src1=0 src2=0
	v_mul_i32_i24_e32 v65, v190, v191
	v_and_b32_e32 v191, 15, v228
	s_set_vgpr_msb 1                        ;  msbs: dst=0 src0=1 src1=0 src2=0
	v_bfe_u32 v211, v156 /*v412*/, 16, 4
	s_set_vgpr_msb 4                        ;  msbs: dst=0 src0=0 src1=1 src2=0
	v_mul_i32_i24_e32 v66, v222, v164 /*v420*/
	v_mul_i32_i24_e32 v68, v223, v165 /*v421*/
	s_set_vgpr_msb 0                        ;  msbs: dst=0 src0=0 src1=0 src2=0
	v_add3_u32 v60, v60, v64, v65
	v_mul_i32_i24_e32 v61, v191, v192
	v_bfe_u32 v192, v228, 8, 4
	s_set_vgpr_msb 4                        ;  msbs: dst=0 src0=0 src1=1 src2=0
	v_mul_i32_i24_e32 v69, v220, v166 /*v422*/
	v_mul_i32_i24_e32 v70, v225, v180 /*v436*/
	v_bfe_u32 v226, v229, 4, 4
	v_bfe_u32 v227, v229, 12, 4
	s_set_vgpr_msb 0                        ;  msbs: dst=0 src0=0 src1=0 src2=0
	v_mul_i32_i24_e32 v62, v192, v193
	v_bfe_u32 v193, v228, 16, 4
	v_bfe_u32 v224, v229, 20, 4
	s_set_vgpr_msb 4                        ;  msbs: dst=0 src0=0 src1=1 src2=0
	v_mul_i32_i24_e32 v72, v226, v168 /*v424*/
	v_mul_i32_i24_e32 v91, v227, v169 /*v425*/
	s_set_vgpr_msb 0                        ;  msbs: dst=0 src0=0 src1=0 src2=0
	v_add3_u32 v60, v60, v62, v61
	v_mul_i32_i24_e32 v64, v193, v194
	v_bfe_u32 v194, v228, 24, 4
	v_lshrrev_b32_e32 v228, 28, v229
	s_set_vgpr_msb 4                        ;  msbs: dst=0 src0=0 src1=1 src2=0
	v_mul_i32_i24_e32 v93, v224, v178 /*v434*/
	v_bfe_u32 v230, v236, 12, 4
	v_bfe_u32 v232, v236, 20, 4
	s_set_vgpr_msb 0                        ;  msbs: dst=0 src0=0 src1=0 src2=0
	v_mul_i32_i24_e32 v65, v194, v195
	v_and_b32_e32 v195, 15, v229
	s_set_vgpr_msb 4                        ;  msbs: dst=0 src0=0 src1=1 src2=0
	v_mul_i32_i24_e32 v148, v228, v179 /*v435*/
	s_set_vgpr_msb 1                        ;  msbs: dst=0 src0=1 src1=0 src2=0
	v_mul_i32_i24_e32 v149, v171 /*v427*/, v230
	v_mul_i32_i24_e32 v151, v177 /*v433*/, v231
	s_set_vgpr_msb 0                        ;  msbs: dst=0 src0=0 src1=0 src2=0
	v_add3_u32 v60, v60, v64, v65
	v_mul_i32_i24_e32 v61, v195, v196
	v_bfe_u32 v196, v229, 8, 4
	s_set_vgpr_msb 1                        ;  msbs: dst=0 src0=1 src1=0 src2=0
	v_mul_i32_i24_e32 v152, v172 /*v428*/, v232
	s_set_vgpr_msb 0                        ;  msbs: dst=0 src0=0 src1=0 src2=0
	v_bfe_u32 v233, v237, 4, 4
	v_bfe_u32 v234, v237, 12, 4
	s_set_vgpr_msb 1                        ;  msbs: dst=0 src0=1 src1=0 src2=0
	v_mul_i32_i24_e32 v155, v176 /*v432*/, v235
	s_set_vgpr_msb 0                        ;  msbs: dst=0 src0=0 src1=0 src2=0
	v_mul_i32_i24_e32 v62, v196, v197
	v_bfe_u32 v197, v229, 16, 4
	s_set_vgpr_msb 1                        ;  msbs: dst=0 src0=1 src1=0 src2=0
	v_mul_i32_i24_e32 v154, v173 /*v429*/, v233
	v_mul_i32_i24_e32 v153, v174 /*v430*/, v234
	v_bfe_u32 v238, v156 /*v412*/, 12, 4
	s_set_vgpr_msb 0                        ;  msbs: dst=0 src0=0 src1=0 src2=0
	v_add3_u32 v60, v60, v62, v61
	v_mul_i32_i24_e32 v64, v197, v198
	v_bfe_u32 v198, v229, 24, 4
	v_bfe_u32 v229, v236, 4, 4
	s_set_vgpr_msb 1                        ;  msbs: dst=0 src0=1 src1=0 src2=0
	v_bfe_u32 v217, v157 /*v413*/, 8, 4
	s_set_vgpr_msb 0                        ;  msbs: dst=0 src0=0 src1=0 src2=0
	v_mul_i32_i24_e32 v157, v13, v238
	s_set_vgpr_msb 1                        ;  msbs: dst=0 src0=1 src1=0 src2=0
	v_bfe_u32 v240, v156 /*v412*/, 20, 4
	s_set_vgpr_msb 0                        ;  msbs: dst=0 src0=0 src1=0 src2=0
	v_mul_i32_i24_e32 v65, v198, v199
	v_and_b32_e32 v199, 15, v236
	s_set_vgpr_msb 1                        ;  msbs: dst=0 src0=1 src1=0 src2=0
	v_mul_i32_i24_e32 v150, v170 /*v426*/, v229
	v_bfe_u32 v241, v157 /*v413*/, 4, 4
	s_set_vgpr_msb 64                       ;  msbs: dst=1 src0=0 src1=0 src2=0
	v_mul_i32_i24_e32 v203 /*v459*/, v217, v118
	s_set_vgpr_msb 0                        ;  msbs: dst=0 src0=0 src1=0 src2=0
	v_add3_u32 v60, v60, v64, v65
	v_mul_i32_i24_e32 v61, v199, v200
	v_bfe_u32 v200, v236, 8, 4
	v_mul_i32_i24_e32 v65, v203, v202
	v_bfe_u32 v203, v237, 8, 4
	v_mul_i32_i24_e32 v159, v15, v239
	v_mul_i32_i24_e32 v160, v14, v240
	;; [unrolled: 1-line block ×3, first 2 shown]
	v_bfe_u32 v201, v236, 24, 4
	v_bfe_u32 v236, v237, 20, 4
	s_set_vgpr_msb 64                       ;  msbs: dst=1 src0=0 src1=0 src2=0
	v_mul_i32_i24_e32 v204 /*v460*/, v241, v116
	s_set_vgpr_msb 4                        ;  msbs: dst=0 src0=0 src1=1 src2=0
	v_and_b32_e32 v215, 15, v157 /*v413*/
	s_set_vgpr_msb 0                        ;  msbs: dst=0 src0=0 src1=0 src2=0
	v_add3_u32 v60, v60, v62, v61
	v_mul_i32_i24_e32 v64, v204, v201
	v_and_b32_e32 v204, 15, v237
	v_mul_i32_i24_e32 v62, v206, v203
	v_bfe_u32 v206, v237, 16, 4
	s_set_vgpr_msb 1                        ;  msbs: dst=0 src0=1 src1=0 src2=0
	v_mul_i32_i24_e32 v156, v175 /*v431*/, v236
	s_set_vgpr_msb 0                        ;  msbs: dst=0 src0=0 src1=0 src2=0
	v_add3_u32 v60, v60, v65, v64
	v_mul_i32_i24_e32 v61, v205, v204
	v_bfe_u32 v205, v237, 24, 4
	v_mul_i32_i24_e32 v65, v181, v206
	s_set_vgpr_msb 1                        ;  msbs: dst=0 src0=1 src1=0 src2=0
	v_bfe_u32 v237, v156 /*v412*/, 4, 4
	s_set_vgpr_msb 64                       ;  msbs: dst=1 src0=0 src1=0 src2=0
	v_mul_i32_i24_e32 v202 /*v458*/, v215, v176
	s_set_vgpr_msb 0                        ;  msbs: dst=0 src0=0 src1=0 src2=0
	v_add3_u32 v60, v60, v62, v61
	v_mul_i32_i24_e32 v64, v182, v205
	v_mul_i32_i24_e32 v61, v180, v207
	;; [unrolled: 1-line block ×4, first 2 shown]
	s_set_vgpr_msb 1                        ;  msbs: dst=0 src0=1 src1=0 src2=0
	v_bfe_u32 v182, v157 /*v413*/, 16, 4
	s_set_vgpr_msb 0                        ;  msbs: dst=0 src0=0 src1=0 src2=0
	v_add3_u32 v60, v60, v65, v64
	v_mul_i32_i24_e32 v64, v177, v211
	s_set_vgpr_msb 4                        ;  msbs: dst=0 src0=0 src1=1 src2=0
	v_mul_i32_i24_e32 v65, v221, v181 /*v437*/
	s_set_vgpr_msb 1                        ;  msbs: dst=0 src0=1 src1=0 src2=0
	v_bfe_u32 v181, v157 /*v413*/, 24, 4
	v_bfe_u32 v178, v157 /*v413*/, 12, 4
	s_set_vgpr_msb 0                        ;  msbs: dst=0 src0=0 src1=0 src2=0
	v_add3_u32 v58, v60, v61, v58
	s_set_vgpr_msb 4                        ;  msbs: dst=0 src0=0 src1=1 src2=0
	v_mul_i32_i24_e32 v61, v210, v160 /*v416*/
	s_set_vgpr_msb 1                        ;  msbs: dst=0 src0=1 src1=0 src2=0
	v_bfe_u32 v177, v157 /*v413*/, 20, 4
	s_set_vgpr_msb 4                        ;  msbs: dst=0 src0=0 src1=1 src2=0
	v_lshrrev_b32_e32 v176, 28, v157 /*v413*/
	s_set_vgpr_msb 64                       ;  msbs: dst=1 src0=0 src1=0 src2=0
	v_add3_u32 v201 /*v457*/, v58, v64, v62
	s_set_vgpr_msb 4                        ;  msbs: dst=0 src0=0 src1=1 src2=0
	ds_load_u16 v58, v41
	ds_load_u16 v41, v41 offset:8
	v_mul_i32_i24_e32 v62, v216, v182 /*v438*/
	v_mul_i32_i24_e32 v64, v214, v163 /*v419*/
	s_wait_dscnt 0x1
	s_set_vgpr_msb 0                        ;  msbs: dst=0 src0=0 src1=0 src2=0
	v_lshrrev_b16 v60, 8, v58
	v_and_b32_e32 v180, 0xff, v58
	s_set_vgpr_msb 4                        ;  msbs: dst=0 src0=0 src1=1 src2=0
	v_mul_i32_i24_e32 v58, v213, v159 /*v415*/
	s_wait_dscnt 0x0
	v_cvt_f32_ubyte0_e32 v118, v41
	v_cvt_f32_ubyte1_e32 v116, v41
	s_set_vgpr_msb 0                        ;  msbs: dst=0 src0=0 src1=0 src2=0
	v_or_b32_e32 v41, s5, v137
	v_and_b32_e32 v179, 0xffff, v60
	s_set_vgpr_msb 4                        ;  msbs: dst=0 src0=0 src1=1 src2=0
	v_mad_i32_i24 v58, v212, v158 /*v414*/, v58
	s_set_vgpr_msb 0                        ;  msbs: dst=0 src0=0 src1=0 src2=0
	s_delay_alu instid0(VALU_DEP_1) | instskip(SKIP_4) | instid1(VALU_DEP_1)
	v_add3_u32 v58, v58, v61, v62
	s_set_vgpr_msb 4                        ;  msbs: dst=0 src0=0 src1=1 src2=0
	v_mul_i32_i24_e32 v61, v218, v161 /*v417*/
	v_mul_i32_i24_e32 v62, v219, v162 /*v418*/
	s_set_vgpr_msb 0                        ;  msbs: dst=0 src0=0 src1=0 src2=0
	v_add3_u32 v58, v58, v61, v62
	s_delay_alu instid0(VALU_DEP_1) | instskip(NEXT) | instid1(VALU_DEP_1)
	v_add3_u32 v58, v58, v64, v65
	v_add3_u32 v58, v58, v66, v68
	s_delay_alu instid0(VALU_DEP_1) | instskip(NEXT) | instid1(VALU_DEP_1)
	v_add3_u32 v58, v58, v69, v70
	;; [unrolled: 3-line block ×5, first 2 shown]
	v_add3_u32 v58, v58, v158, v157
	s_set_vgpr_msb 64                       ;  msbs: dst=1 src0=0 src1=0 src2=0
	s_delay_alu instid0(VALU_DEP_1)
	v_add3_u32 v205 /*v461*/, v58, v160, v159
	s_set_vgpr_msb 0                        ;  msbs: dst=0 src0=0 src1=0 src2=0
	v_dual_lshlrev_b32 v58, 2, v41 :: v_dual_lshrrev_b32 v41, 1, v41
	s_set_vgpr_msb 64                       ;  msbs: dst=1 src0=0 src1=0 src2=0
	ds_load_b128 v[206:209] /*v[462:465]*/, v58 offset:16896
	ds_load_b128 v[210:213] /*v[466:469]*/, v58 offset:16912
	;; [unrolled: 1-line block ×4, first 2 shown]
	s_wait_dscnt 0x3
	s_set_vgpr_msb 1                        ;  msbs: dst=0 src0=1 src1=0 src2=0
	v_bfe_i32 v58, v206 /*v462*/, 0, 8
	v_bfe_i32 v60, v206 /*v462*/, 8, 8
	;; [unrolled: 1-line block ×3, first 2 shown]
	s_set_vgpr_msb 4                        ;  msbs: dst=0 src0=0 src1=1 src2=0
	v_dual_ashrrev_i32 v62, 24, v206 /*v462*/ :: v_dual_ashrrev_i32 v68, 24, v207 /*v463*/
	s_set_vgpr_msb 0x44                     ;  msbs: dst=1 src0=0 src1=1 src2=0
	v_mul_i32_i24_e32 v156 /*v412*/, v58, v118 /*v374*/
	s_set_vgpr_msb 1                        ;  msbs: dst=0 src0=1 src1=0 src2=0
	v_bfe_i32 v64, v207 /*v463*/, 0, 8
	v_bfe_i32 v65, v207 /*v463*/, 8, 8
	;; [unrolled: 1-line block ×5, first 2 shown]
	s_set_vgpr_msb 4                        ;  msbs: dst=0 src0=0 src1=1 src2=0
	v_dual_ashrrev_i32 v91, 24, v208 /*v464*/ :: v_dual_ashrrev_i32 v150, 24, v209 /*v465*/
	s_set_vgpr_msb 0x54                     ;  msbs: dst=1 src0=0 src1=1 src2=1
	v_mul_i32_i24_e32 v157 /*v413*/, v61, v119 /*v375*/
	v_mul_i32_i24_e32 v208 /*v464*/, v62, v120 /*v376*/
	v_mad_i32_i24 v156 /*v412*/, v60, v117 /*v373*/, v156 /*v412*/
	s_set_vgpr_msb 1                        ;  msbs: dst=0 src0=1 src1=0 src2=0
	v_bfe_i32 v66, v207 /*v463*/, 16, 8
	v_bfe_i32 v93, v209 /*v465*/, 0, 8
	;; [unrolled: 1-line block ×4, first 2 shown]
	s_set_vgpr_msb 0x55                     ;  msbs: dst=1 src0=1 src1=1 src2=1
	v_add3_u32 v156 /*v412*/, v156 /*v412*/, v157 /*v413*/, v208 /*v464*/
	s_set_vgpr_msb 0x44                     ;  msbs: dst=1 src0=0 src1=1 src2=0
	v_mul_i32_i24_e32 v157 /*v413*/, v64, v121 /*v377*/
	v_mul_i32_i24_e32 v208 /*v464*/, v65, v122 /*v378*/
	s_wait_dscnt 0x2
	s_set_vgpr_msb 1                        ;  msbs: dst=0 src0=1 src1=0 src2=0
	v_bfe_i32 v151, v210 /*v466*/, 0, 8
	v_bfe_i32 v152, v210 /*v466*/, 8, 8
	;; [unrolled: 1-line block ×3, first 2 shown]
	s_set_vgpr_msb 4                        ;  msbs: dst=0 src0=0 src1=1 src2=0
	v_dual_ashrrev_i32 v154, 24, v210 /*v466*/ :: v_dual_ashrrev_i32 v158, 24, v211 /*v467*/
	s_set_vgpr_msb 0x44                     ;  msbs: dst=1 src0=0 src1=1 src2=0
	v_mul_i32_i24_e32 v209 /*v465*/, v66, v123 /*v379*/
	v_mul_i32_i24_e32 v210 /*v466*/, v68, v124 /*v380*/
	s_set_vgpr_msb 0x55                     ;  msbs: dst=1 src0=1 src1=1 src2=1
	v_add3_u32 v156 /*v412*/, v156 /*v412*/, v157 /*v413*/, v208 /*v464*/
	s_set_vgpr_msb 1                        ;  msbs: dst=0 src0=1 src1=0 src2=0
	v_bfe_i32 v155, v211 /*v467*/, 0, 8
	v_bfe_i32 v156, v211 /*v467*/, 8, 8
	;; [unrolled: 1-line block ×6, first 2 shown]
	s_set_vgpr_msb 4                        ;  msbs: dst=0 src0=0 src1=1 src2=0
	v_ashrrev_i32_e32 v162, 24, v212 /*v468*/
	s_set_vgpr_msb 0x44                     ;  msbs: dst=1 src0=0 src1=1 src2=0
	v_mul_i32_i24_e32 v211 /*v467*/, v69, v125 /*v381*/
	v_mul_i32_i24_e32 v212 /*v468*/, v70, v126 /*v382*/
	s_set_vgpr_msb 0x55                     ;  msbs: dst=1 src0=1 src1=1 src2=1
	v_add3_u32 v156 /*v412*/, v156 /*v412*/, v209 /*v465*/, v210 /*v466*/
	s_set_vgpr_msb 0x44                     ;  msbs: dst=1 src0=0 src1=1 src2=0
	v_mul_i32_i24_e32 v222 /*v478*/, v72, v127 /*v383*/
	v_mul_i32_i24_e32 v223 /*v479*/, v91, v128 /*v384*/
	v_mul_i32_i24_e32 v224 /*v480*/, v93, v129 /*v385*/
	v_mul_i32_i24_e32 v225 /*v481*/, v148, v130 /*v386*/
	s_set_vgpr_msb 0x55                     ;  msbs: dst=1 src0=1 src1=1 src2=1
	v_add3_u32 v156 /*v412*/, v156 /*v412*/, v211 /*v467*/, v212 /*v468*/
	s_set_vgpr_msb 0x44                     ;  msbs: dst=1 src0=0 src1=1 src2=0
	v_mul_i32_i24_e32 v226 /*v482*/, v149, v131 /*v387*/
	v_mul_i32_i24_e32 v227 /*v483*/, v150, v132 /*v388*/
	;; [unrolled: 1-line block ×4, first 2 shown]
	s_set_vgpr_msb 0x55                     ;  msbs: dst=1 src0=1 src1=1 src2=1
	v_add3_u32 v156 /*v412*/, v156 /*v412*/, v222 /*v478*/, v223 /*v479*/
	s_set_vgpr_msb 0x41                     ;  msbs: dst=1 src0=1 src1=0 src2=0
	v_mul_i32_i24_e32 v230 /*v486*/, v136 /*v392*/, v153
	v_mul_i32_i24_e32 v231 /*v487*/, v135 /*v391*/, v154
	;; [unrolled: 1-line block ×4, first 2 shown]
	s_set_vgpr_msb 0x55                     ;  msbs: dst=1 src0=1 src1=1 src2=1
	v_add3_u32 v156 /*v412*/, v156 /*v412*/, v224 /*v480*/, v225 /*v481*/
	s_set_vgpr_msb 0x41                     ;  msbs: dst=1 src0=1 src1=0 src2=0
	v_mul_i32_i24_e32 v234 /*v490*/, v140 /*v396*/, v157
	v_mul_i32_i24_e32 v235 /*v491*/, v139 /*v395*/, v158
	;; [unrolled: 1-line block ×4, first 2 shown]
	s_set_vgpr_msb 0x55                     ;  msbs: dst=1 src0=1 src1=1 src2=1
	v_add3_u32 v156 /*v412*/, v156 /*v412*/, v226 /*v482*/, v227 /*v483*/
	s_set_vgpr_msb 0x41                     ;  msbs: dst=1 src0=1 src1=0 src2=0
	v_mul_i32_i24_e32 v238 /*v494*/, v152 /*v408*/, v161
	v_mul_i32_i24_e32 v239 /*v495*/, v149 /*v405*/, v162
	s_set_vgpr_msb 64                       ;  msbs: dst=1 src0=0 src1=0 src2=0
	v_bfe_u32 v157 /*v413*/, v10, 4, 4
	s_set_vgpr_msb 1                        ;  msbs: dst=0 src0=1 src1=0 src2=0
	v_bfe_i32 v163, v213 /*v469*/, 0, 8
	s_set_vgpr_msb 0x55                     ;  msbs: dst=1 src0=1 src1=1 src2=1
	v_add3_u32 v156 /*v412*/, v156 /*v412*/, v228 /*v484*/, v229 /*v485*/
	v_bfe_i32 v206 /*v462*/, v213 /*v469*/, 8, 8
	v_bfe_i32 v207 /*v463*/, v213 /*v469*/, 16, 8
	v_ashrrev_i32_e32 v213 /*v469*/, 24, v213 /*v469*/
	s_set_vgpr_msb 0x44                     ;  msbs: dst=1 src0=0 src1=1 src2=0
	v_mul_i32_i24_e32 v240 /*v496*/, v163, v153 /*v409*/
	s_set_vgpr_msb 0x55                     ;  msbs: dst=1 src0=1 src1=1 src2=1
	v_add3_u32 v156 /*v412*/, v156 /*v412*/, v230 /*v486*/, v231 /*v487*/
	v_mul_i32_i24_e32 v241 /*v497*/, v206 /*v462*/, v154 /*v410*/
	s_wait_dscnt 0x1
	v_lshrrev_b16 v209 /*v465*/, 8, v216 /*v472*/
	v_lshrrev_b16 v210 /*v466*/, 8, v217 /*v473*/
	v_ashrrev_i32_e32 v212 /*v468*/, 24, v214 /*v470*/
	v_add3_u32 v156 /*v412*/, v156 /*v412*/, v232 /*v488*/, v233 /*v489*/
	v_bfe_i32 v222 /*v478*/, v214 /*v470*/, 16, 8
	v_bfe_i32 v226 /*v482*/, v215 /*v471*/, 16, 8
	v_ashrrev_i32_e32 v231 /*v487*/, 24, v216 /*v472*/
	v_bfe_i32 v232 /*v488*/, v216 /*v472*/, 16, 8
	v_add3_u32 v156 /*v412*/, v156 /*v412*/, v234 /*v490*/, v235 /*v491*/
	v_bfe_i32 v216 /*v472*/, v216 /*v472*/, 0, 8
	v_bfe_i32 v209 /*v465*/, v209 /*v465*/, 0, 8
	;; [unrolled: 1-line block ×3, first 2 shown]
	s_wait_dscnt 0x0
	v_lshrrev_b16 v246 /*v502*/, 8, v219 /*v475*/
	v_add3_u32 v156 /*v412*/, v156 /*v412*/, v236 /*v492*/, v237 /*v493*/
	v_ashrrev_i32_e32 v237 /*v493*/, 24, v217 /*v473*/
	v_mul_i32_i24_e32 v236 /*v492*/, v231 /*v487*/, v143 /*v399*/
	v_lshrrev_b16 v247 /*v503*/, 8, v220 /*v476*/
	v_bfe_i32 v248 /*v504*/, v221 /*v477*/, 0, 8
	v_add3_u32 v208 /*v464*/, v156 /*v412*/, v238 /*v494*/, v239 /*v495*/
	s_set_vgpr_msb 64                       ;  msbs: dst=1 src0=0 src1=0 src2=0
	v_bfe_u32 v156 /*v412*/, v10, 20, 4
	s_set_vgpr_msb 5                        ;  msbs: dst=0 src0=1 src1=1 src2=0
	v_mul_i32_i24_e32 v10, v157 /*v413*/, v159 /*v415*/
	s_set_vgpr_msb 0x45                     ;  msbs: dst=1 src0=1 src1=1 src2=0
	v_bfe_i32 v238 /*v494*/, v217 /*v473*/, 16, 8
	v_bfe_i32 v217 /*v473*/, v217 /*v473*/, 0, 8
	v_mul_i32_i24_e32 v245 /*v501*/, v237 /*v493*/, v144 /*v400*/
	v_mul_i32_i24_e32 v159 /*v415*/, v156 /*v412*/, v160 /*v416*/
	;; [unrolled: 1-line block ×3, first 2 shown]
	s_set_vgpr_msb 5                        ;  msbs: dst=0 src0=1 src1=1 src2=0
	v_mad_i32_i24 v10, v155 /*v411*/, v158 /*v414*/, v10
	s_set_vgpr_msb 0x44                     ;  msbs: dst=1 src0=0 src1=1 src2=0
	v_lshrrev_b16 v158 /*v414*/, 8, v214 /*v470*/
	v_lshrrev_b16 v182 /*v438*/, 8, v215 /*v471*/
	s_set_vgpr_msb 0x45                     ;  msbs: dst=1 src0=1 src1=1 src2=0
	v_bfe_i32 v214 /*v470*/, v214 /*v470*/, 0, 8
	v_mul_i32_i24_e32 v224 /*v480*/, v222 /*v478*/, v156 /*v412*/
	s_set_vgpr_msb 20                       ;  msbs: dst=0 src0=0 src1=1 src2=1
	v_add3_u32 v10, v10, v159 /*v415*/, v160 /*v416*/
	s_set_vgpr_msb 0x44                     ;  msbs: dst=1 src0=0 src1=1 src2=0
	v_and_b32_e32 v159 /*v415*/, 0xffff, v192 /*v448*/
	v_bfe_u32 v160 /*v416*/, v11, 4, 4
	s_set_vgpr_msb 0x41                     ;  msbs: dst=1 src0=1 src1=0 src2=0
	v_bfe_i32 v211 /*v467*/, v158 /*v414*/, 0, 8
	s_set_vgpr_msb 0x44                     ;  msbs: dst=1 src0=0 src1=1 src2=0
	v_bfe_u32 v158 /*v414*/, v11, 20, 4
	v_ashrrev_i32_e32 v192 /*v448*/, 24, v215 /*v471*/
	s_set_vgpr_msb 0x41                     ;  msbs: dst=1 src0=1 src1=0 src2=0
	v_bfe_i32 v182 /*v438*/, v182 /*v438*/, 0, 8
	s_set_vgpr_msb 5                        ;  msbs: dst=0 src0=1 src1=1 src2=0
	v_mul_i32_i24_e32 v11, v160 /*v416*/, v161 /*v417*/
	s_set_vgpr_msb 0x45                     ;  msbs: dst=1 src0=1 src1=1 src2=0
	v_mul_i32_i24_e32 v161 /*v417*/, v159 /*v415*/, v162 /*v418*/
	v_mul_i32_i24_e32 v162 /*v418*/, v158 /*v414*/, v163 /*v419*/
	;; [unrolled: 1-line block ×3, first 2 shown]
	v_bfe_i32 v215 /*v471*/, v215 /*v471*/, 0, 8
	v_mul_i32_i24_e32 v223 /*v479*/, v214 /*v470*/, v157 /*v413*/
	s_set_vgpr_msb 16                       ;  msbs: dst=0 src0=0 src1=0 src2=1
	v_add3_u32 v10, v10, v11, v161 /*v417*/
	s_set_vgpr_msb 64                       ;  msbs: dst=1 src0=0 src1=0 src2=0
	v_bfe_u32 v161 /*v417*/, v8, 20, 4
	s_set_vgpr_msb 0x45                     ;  msbs: dst=1 src0=1 src1=1 src2=0
	v_mul_i32_i24_e32 v225 /*v481*/, v212 /*v468*/, v150 /*v406*/
	v_mul_i32_i24_e32 v227 /*v483*/, v215 /*v471*/, v160 /*v416*/
	;; [unrolled: 1-line block ×3, first 2 shown]
	s_set_vgpr_msb 20                       ;  msbs: dst=0 src0=0 src1=1 src2=1
	v_add3_u32 v10, v10, v162 /*v418*/, v163 /*v419*/
	s_set_vgpr_msb 0x44                     ;  msbs: dst=1 src0=0 src1=1 src2=0
	v_and_b32_e32 v162 /*v418*/, 0xffff, v191 /*v447*/
	v_bfe_u32 v163 /*v419*/, v8, 4, 4
	s_set_vgpr_msb 0x45                     ;  msbs: dst=1 src0=1 src1=1 src2=0
	v_mul_i32_i24_e32 v230 /*v486*/, v192 /*v448*/, v142 /*v398*/
	v_mul_i32_i24_e32 v229 /*v485*/, v226 /*v482*/, v158 /*v414*/
	;; [unrolled: 1-line block ×3, first 2 shown]
	s_set_vgpr_msb 5                        ;  msbs: dst=0 src0=1 src1=1 src2=0
	v_mul_i32_i24_e32 v11, v162 /*v418*/, v165 /*v421*/
	v_mul_i32_i24_e32 v8, v163 /*v419*/, v164 /*v420*/
	s_set_vgpr_msb 0x45                     ;  msbs: dst=1 src0=1 src1=1 src2=0
	v_mul_i32_i24_e32 v164 /*v420*/, v161 /*v417*/, v166 /*v422*/
	v_mul_i32_i24_e32 v165 /*v421*/, v143 /*v399*/, v180 /*v436*/
	s_set_vgpr_msb 64                       ;  msbs: dst=1 src0=0 src1=0 src2=0
	v_bfe_u32 v166 /*v422*/, v9, 4, 4
	s_set_vgpr_msb 0x45                     ;  msbs: dst=1 src0=1 src1=1 src2=0
	v_mul_i32_i24_e32 v233 /*v489*/, v216 /*v472*/, v163 /*v419*/
	s_set_vgpr_msb 0                        ;  msbs: dst=0 src0=0 src1=0 src2=0
	v_add3_u32 v8, v10, v8, v11
	s_set_vgpr_msb 0x45                     ;  msbs: dst=1 src0=1 src1=1 src2=0
	v_mul_i32_i24_e32 v234 /*v490*/, v209 /*v465*/, v162 /*v418*/
	v_bfe_i32 v249 /*v505*/, v221 /*v477*/, 8, 8
	v_mul_i32_i24_e32 v242 /*v498*/, v217 /*v473*/, v166 /*v422*/
	v_bfe_i32 v250 /*v506*/, v221 /*v477*/, 16, 8
	s_set_vgpr_msb 20                       ;  msbs: dst=0 src0=0 src1=1 src2=1
	v_add3_u32 v8, v8, v164 /*v420*/, v165 /*v421*/
	s_set_vgpr_msb 0x44                     ;  msbs: dst=1 src0=0 src1=1 src2=0
	v_and_b32_e32 v165 /*v421*/, 0xffff, v190 /*v446*/
	v_bfe_u32 v164 /*v420*/, v9, 20, 4
	s_set_vgpr_msb 5                        ;  msbs: dst=0 src0=1 src1=1 src2=0
	v_mul_i32_i24_e32 v9, v166 /*v422*/, v168 /*v424*/
	s_set_vgpr_msb 0x45                     ;  msbs: dst=1 src0=1 src1=1 src2=0
	v_mul_i32_i24_e32 v168 /*v424*/, v144 /*v400*/, v179 /*v435*/
	v_ashrrev_i32_e32 v221 /*v477*/, 24, v221 /*v477*/
	s_set_vgpr_msb 5                        ;  msbs: dst=0 src0=1 src1=1 src2=0
	v_mul_i32_i24_e32 v10, v165 /*v421*/, v169 /*v425*/
	v_mul_i32_i24_e32 v11, v164 /*v420*/, v178 /*v434*/
	s_set_vgpr_msb 0x55                     ;  msbs: dst=1 src0=1 src1=1 src2=1
	v_add3_u32 v169 /*v425*/, v185 /*v441*/, v187 /*v443*/, v186 /*v442*/
	v_add3_u32 v185 /*v441*/, v208 /*v464*/, v240 /*v496*/, v241 /*v497*/
	v_mul_i32_i24_e32 v243 /*v499*/, v210 /*v466*/, v165 /*v421*/
	s_set_vgpr_msb 0                        ;  msbs: dst=0 src0=0 src1=0 src2=0
	v_add3_u32 v8, v8, v9, v10
	s_set_vgpr_msb 0x55                     ;  msbs: dst=1 src0=1 src1=1 src2=1
	v_bfe_i32 v241 /*v497*/, v246 /*v502*/, 0, 8
	v_mad_i32_i24 v228 /*v484*/, v211 /*v467*/, v155 /*v411*/, v228 /*v484*/
	v_add3_u32 v223 /*v479*/, v223 /*v479*/, v227 /*v483*/, v233 /*v489*/
	v_add3_u32 v225 /*v481*/, v225 /*v481*/, v230 /*v486*/, v236 /*v492*/
	s_set_vgpr_msb 0x50                     ;  msbs: dst=1 src0=0 src1=0 src2=1
	v_add3_u32 v239 /*v495*/, v8, v11, v168 /*v424*/
	s_set_vgpr_msb 1                        ;  msbs: dst=0 src0=1 src1=0 src2=0
	ds_load_b64 v[8:9], v167 /*v423*/ offset:27200
	s_set_vgpr_msb 0                        ;  msbs: dst=0 src0=0 src1=0 src2=0
	ds_load_b64 v[10:11], v41 offset:27200
	v_ashrrev_i32_e32 v3, 24, v3
	s_set_vgpr_msb 0x41                     ;  msbs: dst=1 src0=1 src1=0 src2=0
	v_mul_i32_i24_e32 v167 /*v423*/, v49 /*v305*/, v7
	s_set_vgpr_msb 0x45                     ;  msbs: dst=1 src0=1 src1=1 src2=0
	v_mul_i32_i24_e32 v168 /*v424*/, v49 /*v305*/, v213 /*v469*/
	s_set_vgpr_msb 4                        ;  msbs: dst=0 src0=0 src1=1 src2=0
	v_lshrrev_b16 v41, 8, v218 /*v474*/
	s_set_vgpr_msb 0x55                     ;  msbs: dst=1 src0=1 src1=1 src2=1
	v_mul_i32_i24_e32 v244 /*v500*/, v238 /*v494*/, v164 /*v420*/
	v_bfe_i32 v247 /*v503*/, v247 /*v503*/, 0, 8
	v_add3_u32 v224 /*v480*/, v224 /*v480*/, v229 /*v485*/, v235 /*v491*/
	v_add3_u32 v227 /*v483*/, v228 /*v484*/, v234 /*v490*/, v243 /*v499*/
	s_set_vgpr_msb 0                        ;  msbs: dst=0 src0=0 src1=0 src2=0
	v_bfe_i32 v41, v41, 0, 8
	s_set_vgpr_msb 0x45                     ;  msbs: dst=1 src0=1 src1=1 src2=0
	v_mul_i32_i24_e32 v254 /*v510*/, v248 /*v504*/, v151 /*v407*/
	s_set_vgpr_msb 5                        ;  msbs: dst=0 src0=1 src1=1 src2=0
	v_mul_i32_i24_e32 v74, v249 /*v505*/, v54 /*v310*/
	v_mul_i32_i24_e32 v78, v53 /*v309*/, v250 /*v506*/
	s_set_vgpr_msb 0x41                     ;  msbs: dst=1 src0=1 src1=0 src2=0
	v_mul_i32_i24_e32 v228 /*v484*/, v82 /*v338*/, v160
	v_mul_i32_i24_e32 v229 /*v485*/, v86 /*v342*/, v161
	;; [unrolled: 1-line block ×3, first 2 shown]
	s_set_vgpr_msb 0x44                     ;  msbs: dst=1 src0=0 src1=1 src2=0
	v_mul_i32_i24_e32 v233 /*v489*/, v163, v90 /*v346*/
	s_set_vgpr_msb 0x45                     ;  msbs: dst=1 src0=1 src1=1 src2=0
	v_mul_i32_i24_e32 v234 /*v490*/, v206 /*v462*/, v92 /*v348*/
	v_mul_i32_i24_e32 v236 /*v492*/, v248 /*v504*/, v116 /*v372*/
	s_wait_dscnt 0x1
	s_set_vgpr_msb 64                       ;  msbs: dst=1 src0=0 src1=0 src2=0
	v_cvt_f32_f16_e64 v178 /*v434*/, v8
	s_wait_dscnt 0x0
	v_cvt_f32_f16_e64 v179 /*v435*/, v10
	s_set_vgpr_msb 0                        ;  msbs: dst=0 src0=0 src1=0 src2=0
	v_dual_lshrrev_b32 v8, 16, v8 :: v_dual_lshrrev_b32 v10, 16, v10
	s_set_vgpr_msb 64                       ;  msbs: dst=1 src0=0 src1=0 src2=0
	v_cvt_f32_f16_e64 v191 /*v447*/, v11
	v_cvt_f32_f16_e64 v190 /*v446*/, v9
	s_set_vgpr_msb 0x41                     ;  msbs: dst=1 src0=1 src1=0 src2=0
	v_mul_i32_i24_e32 v193 /*v449*/, v9 /*v265*/, v156
	s_set_vgpr_msb 64                       ;  msbs: dst=1 src0=0 src1=0 src2=0
	v_cvt_f32_f16_e64 v180 /*v436*/, v8
	v_cvt_f32_f16_e64 v181 /*v437*/, v10
	s_set_vgpr_msb 0                        ;  msbs: dst=0 src0=0 src1=0 src2=0
	v_dual_lshrrev_b32 v8, 16, v9 :: v_dual_lshrrev_b32 v9, 16, v11
	s_set_vgpr_msb 4                        ;  msbs: dst=0 src0=0 src1=1 src2=0
	v_mul_i32_i24_e32 v10, v6, v50 /*v306*/
	s_set_vgpr_msb 5                        ;  msbs: dst=0 src0=1 src1=1 src2=0
	v_mul_i32_i24_e32 v11, v207 /*v463*/, v50 /*v306*/
	s_set_vgpr_msb 1                        ;  msbs: dst=0 src0=1 src1=0 src2=0
	v_mul_i32_i24_e32 v80, v52 /*v308*/, v3
	s_set_vgpr_msb 0                        ;  msbs: dst=0 src0=0 src1=0 src2=0
	v_cvt_f32_f16_e32 v8, v8
	v_cvt_f32_f16_e32 v9, v9
	s_set_vgpr_msb 17                       ;  msbs: dst=0 src0=1 src1=0 src2=1
	v_add3_u32 v10, v169 /*v425*/, v10, v167 /*v423*/
	v_add3_u32 v11, v185 /*v441*/, v11, v168 /*v424*/
	s_set_vgpr_msb 0x44                     ;  msbs: dst=1 src0=0 src1=1 src2=0
	v_and_b32_e32 v168 /*v424*/, 0xffff, v189 /*v445*/
	v_bfe_u32 v169 /*v425*/, v0, 4, 4
	v_bfe_u32 v167 /*v423*/, v0, 20, 4
	s_set_vgpr_msb 0x41                     ;  msbs: dst=1 src0=1 src1=0 src2=0
	v_bfe_i32 v189 /*v445*/, v218 /*v474*/, 0, 8
	v_bfe_i32 v185 /*v441*/, v218 /*v474*/, 16, 8
	s_set_vgpr_msb 4                        ;  msbs: dst=0 src0=0 src1=1 src2=0
	v_mul_lo_u32 v10, v10, v48 /*v304*/
	s_set_vgpr_msb 5                        ;  msbs: dst=0 src0=1 src1=1 src2=0
	v_mul_i32_i24_e32 v0, v169 /*v425*/, v170 /*v426*/
	s_set_vgpr_msb 0x45                     ;  msbs: dst=1 src0=1 src1=1 src2=0
	v_mul_i32_i24_e32 v170 /*v426*/, v168 /*v424*/, v171 /*v427*/
	v_mul_i32_i24_e32 v171 /*v427*/, v167 /*v423*/, v172 /*v428*/
	;; [unrolled: 1-line block ×3, first 2 shown]
	v_ashrrev_i32_e32 v177 /*v433*/, 24, v218 /*v474*/
	v_mul_i32_i24_e32 v208 /*v464*/, v189 /*v445*/, v169 /*v425*/
	s_set_vgpr_msb 17                       ;  msbs: dst=0 src0=1 src1=0 src2=1
	v_add3_u32 v0, v239 /*v495*/, v0, v170 /*v426*/
	s_set_vgpr_msb 0x44                     ;  msbs: dst=1 src0=0 src1=1 src2=0
	v_bfe_u32 v170 /*v426*/, v1, 20, 4
	v_mul_i32_i24_e32 v218 /*v474*/, v41, v168 /*v424*/
	s_set_vgpr_msb 0x45                     ;  msbs: dst=1 src0=1 src1=1 src2=0
	v_mul_i32_i24_e32 v240 /*v496*/, v177 /*v433*/, v145 /*v401*/
	v_mul_i32_i24_e32 v239 /*v495*/, v185 /*v441*/, v167 /*v423*/
	s_set_vgpr_msb 20                       ;  msbs: dst=0 src0=0 src1=1 src2=1
	v_add3_u32 v0, v0, v171 /*v427*/, v172 /*v428*/
	s_set_vgpr_msb 0x44                     ;  msbs: dst=1 src0=0 src1=1 src2=0
	v_and_b32_e32 v171 /*v427*/, 0xffff, v188 /*v444*/
	v_bfe_u32 v172 /*v428*/, v1, 4, 4
	s_set_vgpr_msb 0x55                     ;  msbs: dst=1 src0=1 src1=1 src2=1
	v_bfe_i32 v188 /*v444*/, v219 /*v475*/, 16, 8
	v_add3_u32 v225 /*v481*/, v225 /*v481*/, v245 /*v501*/, v240 /*v496*/
	v_add3_u32 v208 /*v464*/, v223 /*v479*/, v242 /*v498*/, v208 /*v464*/
	v_mul_i32_i24_e32 v246 /*v502*/, v241 /*v497*/, v171 /*v427*/
	s_set_vgpr_msb 5                        ;  msbs: dst=0 src0=1 src1=1 src2=0
	v_mul_i32_i24_e32 v1, v172 /*v428*/, v173 /*v429*/
	s_set_vgpr_msb 0x45                     ;  msbs: dst=1 src0=1 src1=1 src2=0
	v_mul_i32_i24_e32 v173 /*v429*/, v171 /*v427*/, v174 /*v430*/
	v_mul_i32_i24_e32 v174 /*v430*/, v170 /*v426*/, v175 /*v431*/
	;; [unrolled: 1-line block ×3, first 2 shown]
	v_ashrrev_i32_e32 v176 /*v432*/, 24, v219 /*v475*/
	v_bfe_i32 v219 /*v475*/, v219 /*v475*/, 0, 8
	s_set_vgpr_msb 16                       ;  msbs: dst=0 src0=0 src1=0 src2=1
	v_add3_u32 v0, v0, v1, v173 /*v429*/
	s_set_vgpr_msb 64                       ;  msbs: dst=1 src0=0 src1=0 src2=0
	v_bfe_u32 v173 /*v429*/, v4, 20, 4
	s_set_vgpr_msb 0x45                     ;  msbs: dst=1 src0=1 src1=1 src2=0
	v_mul_i32_i24_e32 v252 /*v508*/, v188 /*v444*/, v170 /*v426*/
	v_mul_i32_i24_e32 v253 /*v509*/, v176 /*v432*/, v146 /*v402*/
	s_set_vgpr_msb 5                        ;  msbs: dst=0 src0=1 src1=1 src2=0
	v_mul_i32_i24_e32 v1, v219 /*v475*/, v172 /*v428*/
	s_set_vgpr_msb 20                       ;  msbs: dst=0 src0=0 src1=1 src2=1
	v_add3_u32 v0, v0, v174 /*v430*/, v175 /*v431*/
	s_set_vgpr_msb 0x44                     ;  msbs: dst=1 src0=0 src1=1 src2=0
	v_and_b32_e32 v174 /*v430*/, 0xffff, v184 /*v440*/
	v_bfe_u32 v175 /*v431*/, v4, 4, 4
	s_set_vgpr_msb 0x55                     ;  msbs: dst=1 src0=1 src1=1 src2=1
	v_bfe_i32 v184 /*v440*/, v220 /*v476*/, 16, 8
	v_add3_u32 v223 /*v479*/, v224 /*v480*/, v244 /*v500*/, v239 /*v495*/
	v_add3_u32 v218 /*v474*/, v227 /*v483*/, v218 /*v474*/, v246 /*v502*/
	s_set_vgpr_msb 5                        ;  msbs: dst=0 src0=1 src1=1 src2=0
	v_mul_i32_i24_e32 v82, v52 /*v308*/, v221 /*v477*/
	s_set_vgpr_msb 1                        ;  msbs: dst=0 src0=1 src1=0 src2=0
	v_mul_i32_i24_e32 v4, v175 /*v431*/, v12
	v_mul_i32_i24_e32 v12, v174 /*v430*/, v13
	;; [unrolled: 1-line block ×4, first 2 shown]
	s_set_vgpr_msb 4                        ;  msbs: dst=0 src0=0 src1=1 src2=0
	v_ashrrev_i32_e32 v15, 24, v220 /*v476*/
	s_set_vgpr_msb 0x41                     ;  msbs: dst=1 src0=1 src1=0 src2=0
	v_bfe_i32 v220 /*v476*/, v220 /*v476*/, 0, 8
	s_set_vgpr_msb 0                        ;  msbs: dst=0 src0=0 src1=0 src2=0
	v_add3_u32 v0, v0, v4, v12
	s_set_vgpr_msb 5                        ;  msbs: dst=0 src0=1 src1=1 src2=0
	v_mul_i32_i24_e32 v12, v247 /*v503*/, v174 /*v430*/
	s_set_vgpr_msb 4                        ;  msbs: dst=0 src0=0 src1=1 src2=0
	v_mul_lo_u32 v11, v11, v48 /*v304*/
	v_cvt_f32_i32_e32 v10, v10
	s_set_vgpr_msb 5                        ;  msbs: dst=0 src0=1 src1=1 src2=0
	v_mul_i32_i24_e32 v4, v220 /*v476*/, v175 /*v431*/
	s_set_vgpr_msb 0                        ;  msbs: dst=0 src0=0 src1=0 src2=0
	v_add3_u32 v0, v0, v13, v14
	s_set_vgpr_msb 4                        ;  msbs: dst=0 src0=0 src1=1 src2=0
	v_mul_i32_i24_e32 v14, v15, v147 /*v403*/
	s_set_vgpr_msb 5                        ;  msbs: dst=0 src0=1 src1=1 src2=0
	v_mul_i32_i24_e32 v13, v184 /*v440*/, v173 /*v429*/
	s_set_vgpr_msb 0x44                     ;  msbs: dst=1 src0=0 src1=1 src2=0
	v_pk_fma_f32 v[186:187] /*v[442:443]*/, v[122:123], v[180:181] /*v[436:437]*/, 0 op_sel_hi:[0,1,0]
	s_set_vgpr_msb 1                        ;  msbs: dst=0 src0=1 src1=0 src2=0
	v_add3_u32 v1, v208 /*v464*/, v1, v4
	s_set_vgpr_msb 20                       ;  msbs: dst=0 src0=0 src1=1 src2=1
	v_add3_u32 v0, v0, v183 /*v439*/, v255 /*v511*/
	s_set_vgpr_msb 5                        ;  msbs: dst=0 src0=1 src1=1 src2=0
	v_add3_u32 v4, v225 /*v481*/, v253 /*v509*/, v14
	v_add3_u32 v13, v223 /*v479*/, v252 /*v508*/, v13
	s_set_vgpr_msb 4                        ;  msbs: dst=0 src0=0 src1=1 src2=0
	v_cvt_f32_i32_e32 v11, v11
	v_mul_i32_i24_e32 v14, v72, v68 /*v324*/
	s_set_vgpr_msb 0                        ;  msbs: dst=0 src0=0 src1=0 src2=0
	v_add3_u32 v0, v0, v76, v80
	s_set_vgpr_msb 1                        ;  msbs: dst=0 src0=1 src1=0 src2=0
	v_add3_u32 v4, v218 /*v474*/, v12, v4
	s_set_vgpr_msb 4                        ;  msbs: dst=0 src0=0 src1=1 src2=0
	v_mul_i32_i24_e32 v12, v69, v66 /*v322*/
	s_set_vgpr_msb 1                        ;  msbs: dst=0 src0=1 src1=0 src2=0
	v_pk_fma_f32 v[10:11], v[178:179] /*v[434:435]*/, v[10:11], 0 op_sel_hi:[1,1,0]
	s_set_vgpr_msb 4                        ;  msbs: dst=0 src0=0 src1=1 src2=0
	v_mul_i32_i24_e32 v76, v93, v70 /*v326*/
	v_mul_lo_u32 v0, v0, v51 /*v307*/
	s_set_vgpr_msb 0                        ;  msbs: dst=0 src0=0 src1=0 src2=0
	v_add3_u32 v1, v1, v13, v4
	s_set_vgpr_msb 4                        ;  msbs: dst=0 src0=0 src1=1 src2=0
	v_mul_i32_i24_e32 v4, v62, v61 /*v317*/
	v_mul_i32_i24_e32 v13, v70, v67 /*v323*/
	;; [unrolled: 1-line block ×3, first 2 shown]
	s_set_vgpr_msb 0x44                     ;  msbs: dst=1 src0=0 src1=1 src2=0
	v_mul_i32_i24_e32 v183 /*v439*/, v151, v74 /*v330*/
	s_set_vgpr_msb 4                        ;  msbs: dst=0 src0=0 src1=1 src2=0
	v_add3_u32 v1, v1, v254 /*v510*/, v74
	v_mul_i32_i24_e32 v74, v91, v69 /*v325*/
	s_set_vgpr_msb 0x41                     ;  msbs: dst=1 src0=1 src1=0 src2=0
	v_mul_i32_i24_e32 v208 /*v464*/, v76 /*v332*/, v154
	v_mul_i32_i24_e32 v218 /*v474*/, v79 /*v335*/, v155
	;; [unrolled: 1-line block ×3, first 2 shown]
	s_set_vgpr_msb 0                        ;  msbs: dst=0 src0=0 src1=0 src2=0
	v_add3_u32 v1, v1, v78, v82
	v_cvt_f32_i32_e32 v0, v0
	s_set_vgpr_msb 4                        ;  msbs: dst=0 src0=0 src1=1 src2=0
	v_mul_i32_i24_e32 v78, v148, v71 /*v327*/
	v_mul_i32_i24_e32 v82, v150, v73 /*v329*/
	s_set_vgpr_msb 0x41                     ;  msbs: dst=1 src0=1 src1=0 src2=0
	v_mul_i32_i24_e32 v224 /*v480*/, v81 /*v337*/, v157
	s_set_vgpr_msb 4                        ;  msbs: dst=0 src0=0 src1=1 src2=0
	v_mul_lo_u32 v1, v1, v51 /*v307*/
	s_set_vgpr_msb 0x41                     ;  msbs: dst=1 src0=1 src1=0 src2=0
	v_mul_i32_i24_e32 v225 /*v481*/, v80 /*v336*/, v158
	v_mul_i32_i24_e32 v227 /*v483*/, v83 /*v339*/, v159
	s_set_vgpr_msb 0x44                     ;  msbs: dst=1 src0=0 src1=1 src2=0
	v_mul_i32_i24_e32 v235 /*v491*/, v15, v114 /*v370*/
	s_set_vgpr_msb 4                        ;  msbs: dst=0 src0=0 src1=1 src2=0
	v_mul_i32_i24_e32 v59, v121, v221 /*v477*/
	v_cvt_f32_i32_e32 v1, v1
	s_set_vgpr_msb 1                        ;  msbs: dst=0 src0=1 src1=0 src2=0
	s_delay_alu instid0(VALU_DEP_1)
	v_pk_fma_f32 v[0:1], v[190:191] /*v[446:447]*/, v[0:1], v[10:11]
	s_set_vgpr_msb 16                       ;  msbs: dst=0 src0=0 src1=0 src2=1
	v_pk_fma_f32 v[10:11], v[124:125], v[8:9], v[186:187] /*v[442:443]*/ op_sel_hi:[0,1,1]
	s_set_vgpr_msb 0x44                     ;  msbs: dst=1 src0=0 src1=1 src2=0
	v_mul_i32_i24_e32 v186 /*v442*/, v152, v75 /*v331*/
	s_set_vgpr_msb 0x41                     ;  msbs: dst=1 src0=1 src1=0 src2=0
	v_mul_i32_i24_e32 v187 /*v443*/, v77 /*v333*/, v153
	s_set_vgpr_msb 0                        ;  msbs: dst=0 src0=0 src1=0 src2=0
	v_pk_mul_f32 v[10:11], v[10:11], v[104:105]
	s_delay_alu instid0(VALU_DEP_1)
	v_pk_fma_f32 v[0:1], v[0:1], v[96:97], v[10:11] neg_lo:[0,0,1] neg_hi:[0,0,1]
	s_set_vgpr_msb 4                        ;  msbs: dst=0 src0=0 src1=1 src2=0
	v_mul_i32_i24_e32 v10, v66, v64 /*v320*/
	v_mul_i32_i24_e32 v11, v68, v65 /*v321*/
	s_set_vgpr_msb 0                        ;  msbs: dst=0 src0=0 src1=0 src2=0
	v_pk_add_f32 v[50:51], v[50:51], v[0:1]
	s_set_vgpr_msb 4                        ;  msbs: dst=0 src0=0 src1=1 src2=0
	v_mul_i32_i24_e32 v0, v58, v59 /*v315*/
	v_mul_i32_i24_e32 v1, v61, v60 /*v316*/
	s_delay_alu instid0(VALU_DEP_2) | instskip(SKIP_1) | instid1(VALU_DEP_1)
	v_mad_i32_i24 v0, v60, v58 /*v314*/, v0
	s_set_vgpr_msb 0                        ;  msbs: dst=0 src0=0 src1=0 src2=0
	v_add3_u32 v0, v0, v1, v4
	s_set_vgpr_msb 4                        ;  msbs: dst=0 src0=0 src1=1 src2=0
	v_mul_i32_i24_e32 v1, v64, v62 /*v318*/
	v_mul_i32_i24_e32 v4, v65, v63 /*v319*/
	s_set_vgpr_msb 0                        ;  msbs: dst=0 src0=0 src1=0 src2=0
	s_delay_alu instid0(VALU_DEP_1)
	v_add3_u32 v0, v0, v1, v4
	s_set_vgpr_msb 5                        ;  msbs: dst=0 src0=1 src1=1 src2=0
	v_mul_i32_i24_e32 v1, v214 /*v470*/, v88 /*v344*/
	v_mul_i32_i24_e32 v4, v222 /*v478*/, v85 /*v341*/
	s_set_vgpr_msb 0                        ;  msbs: dst=0 src0=0 src1=0 src2=0
	v_add3_u32 v0, v0, v10, v11
	s_set_vgpr_msb 5                        ;  msbs: dst=0 src0=1 src1=1 src2=0
	v_mul_i32_i24_e32 v10, v212 /*v468*/, v91 /*v347*/
	v_mad_i32_i24 v1, v211 /*v467*/, v87 /*v343*/, v1
	v_mul_i32_i24_e32 v11, v226 /*v482*/, v89 /*v345*/
	s_set_vgpr_msb 0                        ;  msbs: dst=0 src0=0 src1=0 src2=0
	v_add3_u32 v0, v0, v12, v13
	s_set_vgpr_msb 5                        ;  msbs: dst=0 src0=1 src1=1 src2=0
	v_mul_i32_i24_e32 v12, v192 /*v448*/, v96 /*v352*/
	s_set_vgpr_msb 0                        ;  msbs: dst=0 src0=0 src1=0 src2=0
	v_add3_u32 v1, v1, v4, v10
	s_set_vgpr_msb 5                        ;  msbs: dst=0 src0=1 src1=1 src2=0
	v_mul_i32_i24_e32 v4, v215 /*v471*/, v93 /*v349*/
	v_mul_i32_i24_e32 v10, v182 /*v438*/, v94 /*v350*/
	s_set_vgpr_msb 0                        ;  msbs: dst=0 src0=0 src1=0 src2=0
	v_add3_u32 v0, v0, v14, v74
	s_set_vgpr_msb 5                        ;  msbs: dst=0 src0=1 src1=1 src2=0
	v_mul_i32_i24_e32 v13, v216 /*v472*/, v97 /*v353*/
	v_mul_i32_i24_e32 v14, v209 /*v465*/, v98 /*v354*/
	;; [unrolled: 1-line block ×3, first 2 shown]
	s_set_vgpr_msb 0                        ;  msbs: dst=0 src0=0 src1=0 src2=0
	v_add3_u32 v1, v1, v4, v10
	v_add3_u32 v0, v0, v76, v78
	s_set_vgpr_msb 5                        ;  msbs: dst=0 src0=1 src1=1 src2=0
	v_mul_i32_i24_e32 v76, v231 /*v487*/, v100 /*v356*/
	v_mul_i32_i24_e32 v78, v217 /*v473*/, v101 /*v357*/
	;; [unrolled: 1-line block ×3, first 2 shown]
	s_set_vgpr_msb 0                        ;  msbs: dst=0 src0=0 src1=0 src2=0
	v_add3_u32 v1, v1, v11, v12
	v_add3_u32 v0, v0, v80, v82
	s_set_vgpr_msb 5                        ;  msbs: dst=0 src0=1 src1=1 src2=0
	v_mul_i32_i24_e32 v80, v210 /*v466*/, v102 /*v358*/
	v_mul_i32_i24_e32 v82, v238 /*v494*/, v99 /*v355*/
	s_set_vgpr_msb 1                        ;  msbs: dst=0 src0=1 src1=0 src2=0
	v_mul_i32_i24_e32 v11, v56 /*v312*/, v7
	s_set_vgpr_msb 0                        ;  msbs: dst=0 src0=0 src1=0 src2=0
	v_add3_u32 v1, v1, v13, v14
	s_set_vgpr_msb 20                       ;  msbs: dst=0 src0=0 src1=1 src2=1
	v_add3_u32 v0, v0, v183 /*v439*/, v186 /*v442*/
	s_set_vgpr_msb 0x45                     ;  msbs: dst=1 src0=1 src1=1 src2=0
	v_mul_i32_i24_e32 v183 /*v439*/, v237 /*v493*/, v103 /*v359*/
	v_mul_i32_i24_e32 v186 /*v442*/, v189 /*v445*/, v104 /*v360*/
	s_set_vgpr_msb 5                        ;  msbs: dst=0 src0=1 src1=1 src2=0
	v_mul_i32_i24_e32 v12, v56 /*v312*/, v213 /*v469*/
	s_set_vgpr_msb 0                        ;  msbs: dst=0 src0=0 src1=0 src2=0
	v_add3_u32 v1, v1, v74, v76
	s_set_vgpr_msb 20                       ;  msbs: dst=0 src0=0 src1=1 src2=1
	v_add3_u32 v0, v0, v187 /*v443*/, v208 /*v464*/
	s_set_vgpr_msb 0x44                     ;  msbs: dst=1 src0=0 src1=1 src2=0
	v_mul_i32_i24_e32 v187 /*v443*/, v41, v105 /*v361*/
	s_set_vgpr_msb 0x45                     ;  msbs: dst=1 src0=1 src1=1 src2=0
	v_mul_i32_i24_e32 v208 /*v464*/, v185 /*v441*/, v107 /*v363*/
	s_set_vgpr_msb 4                        ;  msbs: dst=0 src0=0 src1=1 src2=0
	v_mul_i32_i24_e32 v13, v173, v250 /*v506*/
	s_set_vgpr_msb 0                        ;  msbs: dst=0 src0=0 src1=0 src2=0
	v_add3_u32 v1, v1, v78, v80
	s_set_vgpr_msb 20                       ;  msbs: dst=0 src0=0 src1=1 src2=1
	v_add3_u32 v0, v0, v218 /*v474*/, v223 /*v479*/
	s_set_vgpr_msb 0x45                     ;  msbs: dst=1 src0=1 src1=1 src2=0
	v_mul_i32_i24_e32 v218 /*v474*/, v177 /*v433*/, v106 /*v362*/
	v_mul_i32_i24_e32 v223 /*v479*/, v219 /*v475*/, v108 /*v364*/
	s_set_vgpr_msb 4                        ;  msbs: dst=0 src0=0 src1=1 src2=0
	v_mul_i32_i24_e32 v14, v173, v251 /*v507*/
	s_set_vgpr_msb 16                       ;  msbs: dst=0 src0=0 src1=0 src2=1
	v_add3_u32 v1, v1, v82, v183 /*v439*/
	s_set_vgpr_msb 20                       ;  msbs: dst=0 src0=0 src1=1 src2=1
	v_add3_u32 v0, v0, v224 /*v480*/, v225 /*v481*/
	s_set_vgpr_msb 0x45                     ;  msbs: dst=1 src0=1 src1=1 src2=0
	v_mul_i32_i24_e32 v224 /*v480*/, v241 /*v497*/, v109 /*v365*/
	v_mul_i32_i24_e32 v225 /*v481*/, v188 /*v444*/, v111 /*v367*/
	s_set_vgpr_msb 0                        ;  msbs: dst=0 src0=0 src1=0 src2=0
	v_mul_i32_i24_e32 v74, v121, v3
	s_set_vgpr_msb 20                       ;  msbs: dst=0 src0=0 src1=1 src2=1
	v_add3_u32 v1, v1, v186 /*v442*/, v187 /*v443*/
	v_add3_u32 v0, v0, v227 /*v483*/, v228 /*v484*/
	s_set_vgpr_msb 0x45                     ;  msbs: dst=1 src0=1 src1=1 src2=0
	v_mul_i32_i24_e32 v227 /*v483*/, v176 /*v432*/, v110 /*v366*/
	v_mul_i32_i24_e32 v228 /*v484*/, v220 /*v476*/, v112 /*v368*/
	s_set_vgpr_msb 20                       ;  msbs: dst=0 src0=0 src1=1 src2=1
	v_mul_i32_i24_e32 v76, v149, v3 /*v259*/
	v_add3_u32 v1, v1, v208 /*v464*/, v218 /*v474*/
	v_add3_u32 v0, v0, v229 /*v485*/, v230 /*v486*/
	s_set_vgpr_msb 0x45                     ;  msbs: dst=1 src0=1 src1=1 src2=0
	v_mul_i32_i24_e32 v229 /*v485*/, v247 /*v503*/, v113 /*v369*/
	v_mul_i32_i24_e32 v230 /*v486*/, v184 /*v440*/, v115 /*v371*/
	s_set_vgpr_msb 20                       ;  msbs: dst=0 src0=0 src1=1 src2=1
	v_mul_i32_i24_e32 v78, v150, v4 /*v260*/
	v_add3_u32 v1, v1, v223 /*v479*/, v224 /*v480*/
	v_add3_u32 v0, v0, v233 /*v489*/, v234 /*v490*/
	v_mul_i32_i24_e32 v80, v151, v5 /*v261*/
	v_mul_i32_i24_e32 v82, v152, v6 /*v262*/
	s_set_vgpr_msb 0x41                     ;  msbs: dst=1 src0=1 src1=0 src2=0
	v_mul_i32_i24_e32 v183 /*v439*/, v8 /*v264*/, v153
	s_set_vgpr_msb 20                       ;  msbs: dst=0 src0=0 src1=1 src2=1
	v_add3_u32 v1, v1, v225 /*v481*/, v227 /*v483*/
	s_set_vgpr_msb 0                        ;  msbs: dst=0 src0=0 src1=0 src2=0
	v_add3_u32 v0, v0, v4, v12
	s_set_vgpr_msb 1                        ;  msbs: dst=0 src0=1 src1=0 src2=0
	v_mul_i32_i24_e32 v12, v249 /*v505*/, v174
	s_set_vgpr_msb 0x41                     ;  msbs: dst=1 src0=1 src1=0 src2=0
	v_mul_i32_i24_e32 v186 /*v442*/, v7 /*v263*/, v154
	v_mul_i32_i24_e32 v187 /*v443*/, v10 /*v266*/, v155
	s_set_vgpr_msb 20                       ;  msbs: dst=0 src0=0 src1=1 src2=1
	v_add3_u32 v1, v1, v228 /*v484*/, v229 /*v485*/
	v_mul_lo_u32 v0, v0, v55 /*v311*/
	s_set_vgpr_msb 0x41                     ;  msbs: dst=1 src0=1 src1=0 src2=0
	v_mul_i32_i24_e32 v208 /*v464*/, v14 /*v270*/, v159
	v_mul_i32_i24_e32 v218 /*v474*/, v13 /*v269*/, v160
	v_mul_i32_i24_e32 v223 /*v479*/, v17 /*v273*/, v161
	s_set_vgpr_msb 20                       ;  msbs: dst=0 src0=0 src1=1 src2=1
	v_add3_u32 v10, v1, v230 /*v486*/, v235 /*v491*/
	v_mul_i32_i24_e32 v1, v6, v57 /*v313*/
	s_set_vgpr_msb 0x41                     ;  msbs: dst=1 src0=1 src1=0 src2=0
	v_mul_i32_i24_e32 v224 /*v480*/, v15 /*v271*/, v162
	s_set_vgpr_msb 0x44                     ;  msbs: dst=1 src0=0 src1=1 src2=0
	v_mul_i32_i24_e32 v225 /*v481*/, v163, v21 /*v277*/
	s_set_vgpr_msb 0x45                     ;  msbs: dst=1 src0=1 src1=1 src2=0
	v_mul_i32_i24_e32 v227 /*v483*/, v206 /*v462*/, v23 /*v279*/
	s_set_vgpr_msb 4                        ;  msbs: dst=0 src0=0 src1=1 src2=0
	v_add3_u32 v10, v10, v236 /*v492*/, v12
	s_set_vgpr_msb 0                        ;  msbs: dst=0 src0=0 src1=0 src2=0
	v_add3_u32 v1, v5, v1, v11
	v_mul_i32_i24_e32 v11, v2, v174
	s_set_vgpr_msb 0x44                     ;  msbs: dst=1 src0=0 src1=1 src2=0
	v_mul_i32_i24_e32 v228 /*v484*/, v15, v45 /*v301*/
	s_set_vgpr_msb 0x45                     ;  msbs: dst=1 src0=1 src1=1 src2=0
	v_mul_i32_i24_e32 v229 /*v485*/, v248 /*v504*/, v47 /*v303*/
	s_set_vgpr_msb 0                        ;  msbs: dst=0 src0=0 src1=0 src2=0
	v_add3_u32 v10, v10, v13, v59
	s_set_vgpr_msb 4                        ;  msbs: dst=0 src0=0 src1=1 src2=0
	v_mul_lo_u32 v4, v1, v55 /*v311*/
	s_set_vgpr_msb 5                        ;  msbs: dst=0 src0=1 src1=1 src2=0
	v_add3_u32 v11, v195 /*v451*/, v194 /*v450*/, v11
	s_set_vgpr_msb 0                        ;  msbs: dst=0 src0=0 src1=0 src2=0
	v_cvt_f32_i32_e32 v1, v0
	v_mul_i32_i24_e32 v13, v72, v255
	v_mul_lo_u32 v12, v10, v175
	s_set_vgpr_msb 4                        ;  msbs: dst=0 src0=0 src1=1 src2=0
	v_mul_i32_i24_e32 v59, v93, v1 /*v257*/
	s_set_vgpr_msb 0                        ;  msbs: dst=0 src0=0 src1=0 src2=0
	v_add3_u32 v11, v11, v14, v74
	s_set_vgpr_msb 4                        ;  msbs: dst=0 src0=0 src1=1 src2=0
	v_mul_i32_i24_e32 v14, v91, v0 /*v256*/
	v_mul_i32_i24_e32 v74, v148, v2 /*v258*/
	s_set_vgpr_msb 0x41                     ;  msbs: dst=1 src0=1 src1=0 src2=0
	v_mul_i32_i24_e32 v194 /*v450*/, v12 /*v268*/, v157
	v_mul_i32_i24_e32 v195 /*v451*/, v11 /*v267*/, v158
	s_set_vgpr_msb 0                        ;  msbs: dst=0 src0=0 src1=0 src2=0
	v_mul_lo_u32 v10, v11, v175
	v_cvt_f32_i32_e32 v0, v4
	s_set_vgpr_msb 4                        ;  msbs: dst=0 src0=0 src1=1 src2=0
	v_pk_fma_f32 v[4:5], v[126:127], v[180:181] /*v[436:437]*/, 0 op_sel_hi:[0,1,0]
	s_set_vgpr_msb 0                        ;  msbs: dst=0 src0=0 src1=0 src2=0
	v_mul_i32_i24_e32 v15, v15, v239
	v_cvt_f32_i32_e32 v11, v12
	v_mul_i32_i24_e32 v12, v70, v254
	s_set_vgpr_msb 1                        ;  msbs: dst=0 src0=1 src1=0 src2=0
	v_pk_fma_f32 v[0:1], v[178:179] /*v[434:435]*/, v[0:1], 0 op_sel_hi:[1,1,0]
	s_set_vgpr_msb 0                        ;  msbs: dst=0 src0=0 src1=0 src2=0
	v_pk_fma_f32 v[4:5], v[120:121], v[8:9], v[4:5] op_sel_hi:[0,1,1]
	v_cvt_f32_i32_e32 v10, v10
	s_delay_alu instid0(VALU_DEP_2) | instskip(SKIP_1) | instid1(VALU_DEP_2)
	v_pk_mul_f32 v[4:5], v[4:5], v[106:107]
	s_set_vgpr_msb 1                        ;  msbs: dst=0 src0=1 src1=0 src2=0
	v_pk_fma_f32 v[0:1], v[190:191] /*v[446:447]*/, v[10:11], v[0:1]
	s_set_vgpr_msb 0                        ;  msbs: dst=0 src0=0 src1=0 src2=0
	v_mul_i32_i24_e32 v10, v68, v252
	v_mul_i32_i24_e32 v11, v69, v253
	s_delay_alu instid0(VALU_DEP_3) | instskip(SKIP_2) | instid1(VALU_DEP_3)
	v_pk_fma_f32 v[0:1], v[0:1], v[98:99], v[4:5] neg_lo:[0,0,1] neg_hi:[0,0,1]
	v_mul_i32_i24_e32 v4, v62, v248
	v_mul_i32_i24_e32 v5, v66, v251
	v_pk_add_f32 v[48:49], v[48:49], v[0:1]
	v_mul_i32_i24_e32 v0, v58, v246
	v_mul_i32_i24_e32 v1, v61, v247
	s_delay_alu instid0(VALU_DEP_2) | instskip(NEXT) | instid1(VALU_DEP_1)
	v_mad_i32_i24 v0, v60, v245, v0
	v_add3_u32 v0, v0, v1, v4
	v_mul_i32_i24_e32 v1, v64, v249
	v_mul_i32_i24_e32 v4, v65, v250
	s_delay_alu instid0(VALU_DEP_1)
	v_add3_u32 v0, v0, v1, v4
	s_set_vgpr_msb 5                        ;  msbs: dst=0 src0=1 src1=1 src2=0
	v_mul_i32_i24_e32 v1, v214 /*v470*/, v19 /*v275*/
	v_mul_i32_i24_e32 v4, v222 /*v478*/, v16 /*v272*/
	s_set_vgpr_msb 0                        ;  msbs: dst=0 src0=0 src1=0 src2=0
	v_add3_u32 v0, v0, v5, v10
	s_set_vgpr_msb 5                        ;  msbs: dst=0 src0=1 src1=1 src2=0
	v_mul_i32_i24_e32 v5, v212 /*v468*/, v22 /*v278*/
	v_mad_i32_i24 v1, v211 /*v467*/, v18 /*v274*/, v1
	v_mul_i32_i24_e32 v10, v226 /*v482*/, v20 /*v276*/
	s_set_vgpr_msb 0                        ;  msbs: dst=0 src0=0 src1=0 src2=0
	v_add3_u32 v0, v0, v11, v12
	s_set_vgpr_msb 5                        ;  msbs: dst=0 src0=1 src1=1 src2=0
	v_mul_i32_i24_e32 v11, v192 /*v448*/, v27 /*v283*/
	s_set_vgpr_msb 0                        ;  msbs: dst=0 src0=0 src1=0 src2=0
	v_add3_u32 v1, v1, v4, v5
	s_set_vgpr_msb 5                        ;  msbs: dst=0 src0=1 src1=1 src2=0
	v_mul_i32_i24_e32 v4, v215 /*v471*/, v24 /*v280*/
	v_mul_i32_i24_e32 v5, v182 /*v438*/, v25 /*v281*/
	s_set_vgpr_msb 0                        ;  msbs: dst=0 src0=0 src1=0 src2=0
	v_add3_u32 v0, v0, v13, v14
	s_set_vgpr_msb 5                        ;  msbs: dst=0 src0=1 src1=1 src2=0
	v_mul_i32_i24_e32 v12, v216 /*v472*/, v28 /*v284*/
	v_mul_i32_i24_e32 v13, v209 /*v465*/, v29 /*v285*/
	;; [unrolled: 1-line block ×3, first 2 shown]
	s_set_vgpr_msb 0                        ;  msbs: dst=0 src0=0 src1=0 src2=0
	v_add3_u32 v1, v1, v4, v5
	v_add3_u32 v0, v0, v59, v74
	s_set_vgpr_msb 5                        ;  msbs: dst=0 src0=1 src1=1 src2=0
	v_mul_i32_i24_e32 v59, v231 /*v487*/, v31 /*v287*/
	v_mul_i32_i24_e32 v74, v217 /*v473*/, v32 /*v288*/
	s_set_vgpr_msb 1                        ;  msbs: dst=0 src0=1 src1=0 src2=0
	v_mul_i32_i24_e32 v4, v207 /*v463*/, v244
	s_set_vgpr_msb 0                        ;  msbs: dst=0 src0=0 src1=0 src2=0
	v_add3_u32 v1, v1, v10, v11
	v_add3_u32 v0, v0, v76, v78
	s_set_vgpr_msb 5                        ;  msbs: dst=0 src0=1 src1=1 src2=0
	v_mul_i32_i24_e32 v76, v210 /*v466*/, v33 /*v289*/
	v_mul_i32_i24_e32 v78, v238 /*v494*/, v30 /*v286*/
	s_set_vgpr_msb 0                        ;  msbs: dst=0 src0=0 src1=0 src2=0
	v_mul_i32_i24_e32 v5, v243, v7
	v_add3_u32 v1, v1, v12, v13
	v_add3_u32 v0, v0, v80, v82
	s_set_vgpr_msb 5                        ;  msbs: dst=0 src0=1 src1=1 src2=0
	v_mul_i32_i24_e32 v80, v237 /*v493*/, v34 /*v290*/
	v_mul_i32_i24_e32 v82, v189 /*v445*/, v35 /*v291*/
	s_set_vgpr_msb 4                        ;  msbs: dst=0 src0=0 src1=1 src2=0
	v_mul_i32_i24_e32 v11, v243, v213 /*v469*/
	s_set_vgpr_msb 0                        ;  msbs: dst=0 src0=0 src1=0 src2=0
	v_add3_u32 v1, v1, v14, v59
	s_set_vgpr_msb 20                       ;  msbs: dst=0 src0=0 src1=1 src2=1
	v_add3_u32 v0, v0, v183 /*v439*/, v186 /*v442*/
	s_set_vgpr_msb 0x44                     ;  msbs: dst=1 src0=0 src1=1 src2=0
	v_mul_i32_i24_e32 v183 /*v439*/, v41, v36 /*v292*/
	s_set_vgpr_msb 0x45                     ;  msbs: dst=1 src0=1 src1=1 src2=0
	v_mul_i32_i24_e32 v186 /*v442*/, v185 /*v441*/, v38 /*v294*/
	s_set_vgpr_msb 21                       ;  msbs: dst=0 src0=1 src1=1 src2=1
	v_add3_u32 v12, v196 /*v452*/, v198 /*v454*/, v197 /*v453*/
	s_set_vgpr_msb 0                        ;  msbs: dst=0 src0=0 src1=0 src2=0
	v_add3_u32 v1, v1, v74, v76
	s_set_vgpr_msb 20                       ;  msbs: dst=0 src0=0 src1=1 src2=1
	v_add3_u32 v0, v0, v187 /*v443*/, v193 /*v449*/
	s_set_vgpr_msb 0x45                     ;  msbs: dst=1 src0=1 src1=1 src2=0
	v_mul_i32_i24_e32 v187 /*v443*/, v177 /*v433*/, v37 /*v293*/
	v_mul_i32_i24_e32 v193 /*v449*/, v219 /*v475*/, v39 /*v295*/
	s_set_vgpr_msb 4                        ;  msbs: dst=0 src0=0 src1=1 src2=0
	v_mul_i32_i24_e32 v13, v115, v250 /*v506*/
	s_set_vgpr_msb 0                        ;  msbs: dst=0 src0=0 src1=0 src2=0
	v_add3_u32 v1, v1, v78, v80
	s_set_vgpr_msb 20                       ;  msbs: dst=0 src0=0 src1=1 src2=1
	v_add3_u32 v0, v0, v194 /*v450*/, v195 /*v451*/
	s_set_vgpr_msb 0x45                     ;  msbs: dst=1 src0=1 src1=1 src2=0
	v_mul_i32_i24_e32 v194 /*v450*/, v241 /*v497*/, v40 /*v296*/
	v_mul_i32_i24_e32 v195 /*v451*/, v188 /*v444*/, v42 /*v298*/
	s_set_vgpr_msb 4                        ;  msbs: dst=0 src0=0 src1=1 src2=0
	v_mul_i32_i24_e32 v14, v115, v251 /*v507*/
	s_set_vgpr_msb 16                       ;  msbs: dst=0 src0=0 src1=0 src2=1
	v_add3_u32 v1, v1, v82, v183 /*v439*/
	s_set_vgpr_msb 20                       ;  msbs: dst=0 src0=0 src1=1 src2=1
	v_add3_u32 v0, v0, v208 /*v464*/, v218 /*v474*/
	s_set_vgpr_msb 0x45                     ;  msbs: dst=1 src0=1 src1=1 src2=0
	v_mul_i32_i24_e32 v208 /*v464*/, v176 /*v432*/, v41 /*v297*/
	v_mul_i32_i24_e32 v218 /*v474*/, v220 /*v476*/, v43 /*v299*/
	s_set_vgpr_msb 20                       ;  msbs: dst=0 src0=0 src1=1 src2=1
	v_mul_i32_i24_e32 v59, v113, v221 /*v477*/
	v_add3_u32 v1, v1, v186 /*v442*/, v187 /*v443*/
	v_add3_u32 v0, v0, v223 /*v479*/, v224 /*v480*/
	s_set_vgpr_msb 0x45                     ;  msbs: dst=1 src0=1 src1=1 src2=0
	v_mul_i32_i24_e32 v223 /*v479*/, v247 /*v503*/, v44 /*v300*/
	v_mul_i32_i24_e32 v224 /*v480*/, v184 /*v440*/, v46 /*v302*/
	s_set_vgpr_msb 0                        ;  msbs: dst=0 src0=0 src1=0 src2=0
	v_mul_i32_i24_e32 v74, v113, v3
	s_set_vgpr_msb 20                       ;  msbs: dst=0 src0=0 src1=1 src2=1
	v_add3_u32 v1, v1, v193 /*v449*/, v194 /*v450*/
	v_add3_u32 v0, v0, v225 /*v481*/, v227 /*v483*/
	s_set_vgpr_msb 0                        ;  msbs: dst=0 src0=0 src1=0 src2=0
	v_mul_i32_i24_e32 v41, v41, v230
	v_mul_i32_i24_e32 v76, v207, v160
	;; [unrolled: 1-line block ×3, first 2 shown]
	s_set_vgpr_msb 20                       ;  msbs: dst=0 src0=0 src1=1 src2=1
	v_add3_u32 v1, v1, v195 /*v451*/, v208 /*v464*/
	s_set_vgpr_msb 0                        ;  msbs: dst=0 src0=0 src1=0 src2=0
	v_add3_u32 v0, v0, v4, v11
	v_mul_i32_i24_e32 v11, v2, v117
	v_mul_i32_i24_e32 v80, v209, v162
	;; [unrolled: 1-line block ×3, first 2 shown]
	s_set_vgpr_msb 20                       ;  msbs: dst=0 src0=0 src1=1 src2=1
	v_add3_u32 v1, v1, v218 /*v474*/, v223 /*v479*/
	s_set_vgpr_msb 0                        ;  msbs: dst=0 src0=0 src1=0 src2=0
	v_mul_lo_u32 v0, v0, v242
	s_set_vgpr_msb 5                        ;  msbs: dst=0 src0=1 src1=1 src2=0
	v_add3_u32 v11, v200 /*v456*/, v199 /*v455*/, v11
	s_set_vgpr_msb 0                        ;  msbs: dst=0 src0=0 src1=0 src2=0
	v_mul_i32_i24_e32 v2, v2, v178
	v_mul_i32_i24_e32 v3, v176, v3
	s_set_vgpr_msb 20                       ;  msbs: dst=0 src0=0 src1=1 src2=1
	v_add3_u32 v10, v1, v224 /*v480*/, v228 /*v484*/
	s_set_vgpr_msb 0                        ;  msbs: dst=0 src0=0 src1=0 src2=0
	v_mul_i32_i24_e32 v1, v6, v244
	v_add3_u32 v11, v11, v14, v74
	v_mul_i32_i24_e32 v14, v91, v194
	v_mul_i32_i24_e32 v74, v208, v159
	s_set_vgpr_msb 1                        ;  msbs: dst=0 src0=1 src1=0 src2=0
	v_mul_i32_i24_e32 v91, v206 /*v462*/, v217
	s_set_vgpr_msb 0                        ;  msbs: dst=0 src0=0 src1=0 src2=0
	v_add3_u32 v1, v12, v1, v5
	s_set_vgpr_msb 1                        ;  msbs: dst=0 src0=1 src1=0 src2=0
	v_mul_i32_i24_e32 v12, v249 /*v505*/, v117
	s_set_vgpr_msb 5                        ;  msbs: dst=0 src0=1 src1=1 src2=0
	v_add3_u32 v2, v205 /*v461*/, v204 /*v460*/, v2
	s_set_vgpr_msb 0                        ;  msbs: dst=0 src0=0 src1=0 src2=0
	v_mul_lo_u32 v4, v1, v242
	s_set_vgpr_msb 4                        ;  msbs: dst=0 src0=0 src1=1 src2=0
	v_add3_u32 v10, v10, v229 /*v485*/, v12
	v_cvt_f32_i32_e32 v1, v0
	s_set_vgpr_msb 0                        ;  msbs: dst=0 src0=0 src1=0 src2=0
	s_delay_alu instid0(VALU_DEP_2) | instskip(SKIP_3) | instid1(VALU_DEP_4)
	v_add3_u32 v10, v10, v13, v59
	v_mul_i32_i24_e32 v13, v72, v193
	v_mul_i32_i24_e32 v59, v148, v196
	;; [unrolled: 1-line block ×3, first 2 shown]
	v_mul_lo_u32 v12, v10, v119
	v_mul_lo_u32 v10, v11, v119
	v_cvt_f32_i32_e32 v0, v4
	s_set_vgpr_msb 4                        ;  msbs: dst=0 src0=0 src1=1 src2=0
	v_pk_fma_f32 v[4:5], v[112:113], v[180:181] /*v[436:437]*/, 0 op_sel_hi:[0,1,0]
	s_set_vgpr_msb 1                        ;  msbs: dst=0 src0=1 src1=0 src2=0
	s_delay_alu instid0(VALU_DEP_2) | instskip(SKIP_1) | instid1(VALU_DEP_2)
	v_pk_fma_f32 v[0:1], v[178:179] /*v[434:435]*/, v[0:1], 0 op_sel_hi:[1,1,0]
	s_set_vgpr_msb 0                        ;  msbs: dst=0 src0=0 src1=0 src2=0
	v_pk_fma_f32 v[4:5], v[114:115], v[8:9], v[4:5] op_sel_hi:[0,1,1]
	v_cvt_f32_i32_e32 v11, v12
	v_cvt_f32_i32_e32 v10, v10
	s_delay_alu instid0(VALU_DEP_3)
	v_pk_mul_f32 v[4:5], v[4:5], v[108:109]
	v_mul_i32_i24_e32 v12, v70, v192
	v_mul_i32_i24_e32 v70, v206, v157
	s_set_vgpr_msb 1                        ;  msbs: dst=0 src0=1 src1=0 src2=0
	v_pk_fma_f32 v[0:1], v[190:191] /*v[446:447]*/, v[10:11], v[0:1]
	s_set_vgpr_msb 0                        ;  msbs: dst=0 src0=0 src1=0 src2=0
	v_mul_i32_i24_e32 v10, v68, v190
	v_mul_i32_i24_e32 v11, v69, v191
	;; [unrolled: 1-line block ×4, first 2 shown]
	v_pk_fma_f32 v[0:1], v[0:1], v[100:101], v[4:5] neg_lo:[0,0,1] neg_hi:[0,0,1]
	v_mul_i32_i24_e32 v4, v62, v186
	v_mul_i32_i24_e32 v5, v66, v189
	;; [unrolled: 1-line block ×4, first 2 shown]
	v_pk_add_f32 v[46:47], v[46:47], v[0:1]
	v_mul_i32_i24_e32 v0, v58, v184
	v_mul_i32_i24_e32 v1, v61, v185
	;; [unrolled: 1-line block ×4, first 2 shown]
	s_delay_alu instid0(VALU_DEP_4) | instskip(SKIP_1) | instid1(VALU_DEP_2)
	v_mad_i32_i24 v0, v60, v183, v0
	v_mul_i32_i24_e32 v60, v149, v197
	v_add3_u32 v0, v0, v1, v4
	v_mul_i32_i24_e32 v1, v64, v187
	v_mul_i32_i24_e32 v4, v65, v188
	;; [unrolled: 1-line block ×4, first 2 shown]
	s_delay_alu instid0(VALU_DEP_3)
	v_add3_u32 v0, v0, v1, v4
	s_set_vgpr_msb 1                        ;  msbs: dst=0 src0=1 src1=0 src2=0
	v_mul_i32_i24_e32 v1, v214 /*v470*/, v213
	v_mul_i32_i24_e32 v4, v222 /*v478*/, v210
	s_set_vgpr_msb 0                        ;  msbs: dst=0 src0=0 src1=0 src2=0
	v_add3_u32 v0, v0, v5, v10
	s_set_vgpr_msb 1                        ;  msbs: dst=0 src0=1 src1=0 src2=0
	v_mul_i32_i24_e32 v5, v212 /*v468*/, v216
	v_mad_i32_i24 v1, v211 /*v467*/, v212, v1
	v_mul_i32_i24_e32 v10, v226 /*v482*/, v214
	s_set_vgpr_msb 0                        ;  msbs: dst=0 src0=0 src1=0 src2=0
	v_add3_u32 v0, v0, v11, v12
	s_set_vgpr_msb 1                        ;  msbs: dst=0 src0=1 src1=0 src2=0
	v_mul_i32_i24_e32 v11, v192 /*v448*/, v221
	s_set_vgpr_msb 0                        ;  msbs: dst=0 src0=0 src1=0 src2=0
	v_add3_u32 v1, v1, v4, v5
	s_set_vgpr_msb 1                        ;  msbs: dst=0 src0=1 src1=0 src2=0
	v_mul_i32_i24_e32 v4, v215 /*v471*/, v218
	v_mul_i32_i24_e32 v5, v182 /*v438*/, v219
	s_set_vgpr_msb 0                        ;  msbs: dst=0 src0=0 src1=0 src2=0
	v_add3_u32 v0, v0, v13, v14
	s_set_vgpr_msb 1                        ;  msbs: dst=0 src0=1 src1=0 src2=0
	v_mul_i32_i24_e32 v12, v216 /*v472*/, v222
	v_mul_i32_i24_e32 v13, v209 /*v465*/, v223
	;; [unrolled: 1-line block ×3, first 2 shown]
	s_set_vgpr_msb 0                        ;  msbs: dst=0 src0=0 src1=0 src2=0
	v_add3_u32 v1, v1, v4, v5
	v_add3_u32 v0, v0, v58, v59
	s_set_vgpr_msb 1                        ;  msbs: dst=0 src0=1 src1=0 src2=0
	v_mul_i32_i24_e32 v58, v231 /*v487*/, v225
	v_mul_i32_i24_e32 v59, v217 /*v473*/, v226
	;; [unrolled: 1-line block ×3, first 2 shown]
	s_set_vgpr_msb 0                        ;  msbs: dst=0 src0=0 src1=0 src2=0
	v_add3_u32 v1, v1, v10, v11
	v_add3_u32 v0, v0, v60, v61
	s_set_vgpr_msb 1                        ;  msbs: dst=0 src0=1 src1=0 src2=0
	v_mul_i32_i24_e32 v60, v210 /*v466*/, v227
	v_mul_i32_i24_e32 v61, v238 /*v494*/, v224
	s_set_vgpr_msb 0                        ;  msbs: dst=0 src0=0 src1=0 src2=0
	v_mul_i32_i24_e32 v5, v181, v7
	v_add3_u32 v1, v1, v12, v13
	v_add3_u32 v0, v0, v62, v64
	s_set_vgpr_msb 1                        ;  msbs: dst=0 src0=1 src1=0 src2=0
	v_mul_i32_i24_e32 v62, v237 /*v493*/, v228
	v_mul_i32_i24_e32 v64, v189 /*v445*/, v229
	s_set_vgpr_msb 21                       ;  msbs: dst=0 src0=1 src1=1 src2=1
	v_add3_u32 v7, v201 /*v457*/, v203 /*v459*/, v202 /*v458*/
	s_set_vgpr_msb 0                        ;  msbs: dst=0 src0=0 src1=0 src2=0
	v_add3_u32 v1, v1, v14, v58
	v_add3_u32 v0, v0, v65, v66
	s_set_vgpr_msb 1                        ;  msbs: dst=0 src0=1 src1=0 src2=0
	v_mul_i32_i24_e32 v65, v185 /*v441*/, v232
	v_mul_i32_i24_e32 v66, v177 /*v433*/, v231
	s_set_vgpr_msb 4                        ;  msbs: dst=0 src0=0 src1=1 src2=0
	v_mul_i32_i24_e32 v11, v177, v251 /*v507*/
	s_set_vgpr_msb 0                        ;  msbs: dst=0 src0=0 src1=0 src2=0
	v_add3_u32 v1, v1, v59, v60
	v_add3_u32 v0, v0, v68, v69
	s_set_vgpr_msb 1                        ;  msbs: dst=0 src0=1 src1=0 src2=0
	v_mul_i32_i24_e32 v68, v219 /*v475*/, v233
	v_mul_i32_i24_e32 v69, v241 /*v497*/, v234
	s_set_vgpr_msb 4                        ;  msbs: dst=0 src0=0 src1=1 src2=0
	v_mul_i32_i24_e32 v12, v176, v221 /*v477*/
	s_set_vgpr_msb 0                        ;  msbs: dst=0 src0=0 src1=0 src2=0
	v_add3_u32 v1, v1, v61, v62
	v_add3_u32 v0, v0, v70, v72
	s_set_vgpr_msb 1                        ;  msbs: dst=0 src0=1 src1=0 src2=0
	v_mul_i32_i24_e32 v70, v188 /*v444*/, v236
	v_mul_i32_i24_e32 v72, v176 /*v432*/, v235
	s_set_vgpr_msb 0                        ;  msbs: dst=0 src0=0 src1=0 src2=0
	v_add3_u32 v2, v2, v11, v3
	v_add3_u32 v1, v1, v64, v41
	;; [unrolled: 1-line block ×3, first 2 shown]
	s_set_vgpr_msb 1                        ;  msbs: dst=0 src0=1 src1=0 src2=0
	v_mul_i32_i24_e32 v74, v220 /*v476*/, v237
	v_mul_i32_i24_e32 v76, v247 /*v503*/, v238
	s_set_vgpr_msb 0                        ;  msbs: dst=0 src0=0 src1=0 src2=0
	v_mul_lo_u32 v2, v2, v179
	v_add3_u32 v1, v1, v65, v66
	v_add3_u32 v0, v0, v78, v80
	s_set_vgpr_msb 1                        ;  msbs: dst=0 src0=1 src1=0 src2=0
	v_mul_i32_i24_e32 v78, v184 /*v440*/, v240
	v_mul_i32_i24_e32 v80, v248 /*v504*/, v241
	s_set_vgpr_msb 0                        ;  msbs: dst=0 src0=0 src1=0 src2=0
	v_add3_u32 v1, v1, v68, v69
	v_add3_u32 v0, v0, v82, v91
	s_delay_alu instid0(VALU_DEP_2) | instskip(SKIP_1) | instid1(VALU_DEP_2)
	v_add3_u32 v1, v1, v70, v72
	v_cvt_f32_i32_e32 v2, v2
	v_add3_u32 v1, v1, v74, v76
	s_delay_alu instid0(VALU_DEP_1) | instskip(SKIP_4) | instid1(VALU_DEP_2)
	v_add3_u32 v10, v1, v78, v15
	v_mul_i32_i24_e32 v1, v6, v182
	s_set_vgpr_msb 4                        ;  msbs: dst=0 src0=0 src1=1 src2=0
	v_mul_i32_i24_e32 v6, v181, v213 /*v469*/
	s_set_vgpr_msb 0                        ;  msbs: dst=0 src0=0 src1=0 src2=0
	v_add3_u32 v1, v7, v1, v5
	s_delay_alu instid0(VALU_DEP_2)
	v_add3_u32 v0, v0, v4, v6
	s_set_vgpr_msb 1                        ;  msbs: dst=0 src0=1 src1=0 src2=0
	v_mul_i32_i24_e32 v6, v249 /*v505*/, v178
	s_set_vgpr_msb 4                        ;  msbs: dst=0 src0=0 src1=1 src2=0
	v_mul_i32_i24_e32 v7, v177, v250 /*v506*/
	s_set_vgpr_msb 0                        ;  msbs: dst=0 src0=0 src1=0 src2=0
	v_mul_lo_u32 v4, v1, v180
	v_mul_lo_u32 v0, v0, v180
	v_add3_u32 v6, v10, v80, v6
	s_delay_alu instid0(VALU_DEP_1) | instskip(NEXT) | instid1(VALU_DEP_1)
	v_add3_u32 v3, v6, v7, v12
	v_mul_lo_u32 v3, v3, v179
	s_delay_alu instid0(VALU_DEP_4) | instskip(SKIP_4) | instid1(VALU_DEP_2)
	v_cvt_f32_i32_e32 v1, v0
	v_cvt_f32_i32_e32 v0, v4
	s_set_vgpr_msb 4                        ;  msbs: dst=0 src0=0 src1=1 src2=0
	v_pk_fma_f32 v[4:5], v[118:119], v[180:181] /*v[436:437]*/, 0 op_sel_hi:[0,1,0]
	s_set_vgpr_msb 1                        ;  msbs: dst=0 src0=1 src1=0 src2=0
	v_pk_fma_f32 v[0:1], v[178:179] /*v[434:435]*/, v[0:1], 0 op_sel_hi:[1,1,0]
	s_set_vgpr_msb 0                        ;  msbs: dst=0 src0=0 src1=0 src2=0
	v_cvt_f32_i32_e32 v3, v3
	s_set_vgpr_msb 1                        ;  msbs: dst=0 src0=1 src1=0 src2=0
	s_delay_alu instid0(VALU_DEP_1) | instskip(SKIP_2) | instid1(VALU_DEP_1)
	v_pk_fma_f32 v[0:1], v[190:191] /*v[446:447]*/, v[2:3], v[0:1]
	s_set_vgpr_msb 0                        ;  msbs: dst=0 src0=0 src1=0 src2=0
	v_pk_fma_f32 v[2:3], v[116:117], v[8:9], v[4:5] op_sel_hi:[0,1,1]
	v_pk_mul_f32 v[2:3], v[2:3], v[110:111]
	s_delay_alu instid0(VALU_DEP_1) | instskip(NEXT) | instid1(VALU_DEP_1)
	v_pk_fma_f32 v[0:1], v[0:1], v[102:103], v[2:3] neg_lo:[0,0,1] neg_hi:[0,0,1]
	v_pk_add_f32 v[44:45], v[44:45], v[0:1]
	v_or_b32_e32 v0, s5, v138
	s_delay_alu instid0(VALU_DEP_1)
	v_dual_lshlrev_b32 v1, 2, v0 :: v_dual_lshrrev_b32 v8, 1, v0
	ds_load_b128 v[10:13], v1 offset:16896
	ds_load_b128 v[4:7], v1 offset:16912
	s_set_vgpr_msb 64                       ;  msbs: dst=1 src0=0 src1=0 src2=0
	ds_load_b128 v[176:179] /*v[432:435]*/, v1 offset:16928
	s_set_vgpr_msb 0                        ;  msbs: dst=0 src0=0 src1=0 src2=0
	ds_load_b128 v[0:3], v1 offset:16944
	s_wait_dscnt 0x3
	v_bfe_i32 v41, v10, 0, 8
	v_bfe_i32 v58, v10, 8, 8
	;; [unrolled: 1-line block ×3, first 2 shown]
	v_ashrrev_i32_e32 v61, 24, v10
	s_wait_dscnt 0x0
	s_set_vgpr_msb 64                       ;  msbs: dst=1 src0=0 src1=0 src2=0
	v_bfe_i32 v196 /*v452*/, v1, 0, 8
	v_bfe_i32 v197 /*v453*/, v1, 8, 8
	;; [unrolled: 1-line block ×3, first 2 shown]
	v_ashrrev_i32_e32 v199 /*v455*/, 24, v1
	s_set_vgpr_msb 4                        ;  msbs: dst=0 src0=0 src1=1 src2=0
	v_mul_i32_i24_e32 v1, v41, v118 /*v374*/
	v_bfe_i32 v62, v11, 0, 8
	v_bfe_i32 v64, v11, 8, 8
	;; [unrolled: 1-line block ×3, first 2 shown]
	s_set_vgpr_msb 0                        ;  msbs: dst=0 src0=0 src1=0 src2=0
	v_ashrrev_i32_e32 v11, 24, v11
	s_set_vgpr_msb 64                       ;  msbs: dst=1 src0=0 src1=0 src2=0
	v_bfe_i32 v200 /*v456*/, v2, 0, 8
	v_bfe_i32 v201 /*v457*/, v2, 8, 8
	v_bfe_i32 v202 /*v458*/, v2, 16, 8
	v_ashrrev_i32_e32 v203 /*v459*/, 24, v2
	s_set_vgpr_msb 4                        ;  msbs: dst=0 src0=0 src1=1 src2=0
	v_mul_i32_i24_e32 v2, v60, v119 /*v375*/
	v_mul_i32_i24_e32 v9, v61, v120 /*v376*/
	v_mad_i32_i24 v1, v58, v117 /*v373*/, v1
	v_bfe_i32 v66, v12, 0, 8
	v_bfe_i32 v68, v12, 8, 8
	;; [unrolled: 1-line block ×3, first 2 shown]
	s_set_vgpr_msb 0                        ;  msbs: dst=0 src0=0 src1=0 src2=0
	v_dual_ashrrev_i32 v70, 24, v12 :: v_dual_ashrrev_i32 v78, 24, v13
	v_add3_u32 v1, v1, v2, v9
	s_set_vgpr_msb 4                        ;  msbs: dst=0 src0=0 src1=1 src2=0
	v_mul_i32_i24_e32 v2, v62, v121 /*v377*/
	v_mul_i32_i24_e32 v9, v64, v122 /*v378*/
	;; [unrolled: 1-line block ×4, first 2 shown]
	v_bfe_i32 v72, v13, 0, 8
	v_bfe_i32 v74, v13, 8, 8
	s_set_vgpr_msb 0                        ;  msbs: dst=0 src0=0 src1=0 src2=0
	v_add3_u32 v1, v1, v2, v9
	v_bfe_i32 v76, v13, 16, 8
	s_set_vgpr_msb 4                        ;  msbs: dst=0 src0=0 src1=1 src2=0
	v_mul_i32_i24_e32 v13, v66, v125 /*v381*/
	v_mul_i32_i24_e32 v14, v68, v126 /*v382*/
	;; [unrolled: 1-line block ×3, first 2 shown]
	s_set_vgpr_msb 0                        ;  msbs: dst=0 src0=0 src1=0 src2=0
	v_add3_u32 v1, v1, v10, v12
	s_set_vgpr_msb 4                        ;  msbs: dst=0 src0=0 src1=1 src2=0
	v_mul_i32_i24_e32 v59, v70, v128 /*v384*/
	s_set_vgpr_msb 1                        ;  msbs: dst=0 src0=1 src1=0 src2=0
	v_bfe_i32 v156, v176 /*v432*/, 0, 8
	v_bfe_i32 v157, v176 /*v432*/, 8, 8
	;; [unrolled: 1-line block ×3, first 2 shown]
	s_set_vgpr_msb 0                        ;  msbs: dst=0 src0=0 src1=0 src2=0
	v_add3_u32 v1, v1, v13, v14
	s_set_vgpr_msb 4                        ;  msbs: dst=0 src0=0 src1=1 src2=0
	v_ashrrev_i32_e32 v159, 24, v176 /*v432*/
	s_set_vgpr_msb 1                        ;  msbs: dst=0 src0=1 src1=0 src2=0
	v_bfe_i32 v160, v177 /*v433*/, 0, 8
	v_bfe_i32 v161, v177 /*v433*/, 8, 8
	;; [unrolled: 1-line block ×3, first 2 shown]
	s_set_vgpr_msb 4                        ;  msbs: dst=0 src0=0 src1=1 src2=0
	v_ashrrev_i32_e32 v163, 24, v177 /*v433*/
	s_set_vgpr_msb 0x44                     ;  msbs: dst=1 src0=0 src1=1 src2=0
	v_mul_i32_i24_e32 v176 /*v432*/, v72, v129 /*v385*/
	v_mul_i32_i24_e32 v177 /*v433*/, v74, v130 /*v386*/
	s_set_vgpr_msb 0                        ;  msbs: dst=0 src0=0 src1=0 src2=0
	v_add3_u32 v1, v1, v15, v59
	v_bfe_i32 v80, v4, 0, 8
	v_bfe_i32 v82, v4, 8, 8
	s_set_vgpr_msb 0x44                     ;  msbs: dst=1 src0=0 src1=1 src2=0
	v_mul_i32_i24_e32 v180 /*v436*/, v76, v131 /*v387*/
	v_mul_i32_i24_e32 v181 /*v437*/, v78, v132 /*v388*/
	s_set_vgpr_msb 20                       ;  msbs: dst=0 src0=0 src1=1 src2=1
	v_add3_u32 v1, v1, v176 /*v432*/, v177 /*v433*/
	v_bfe_i32 v91, v4, 16, 8
	s_set_vgpr_msb 0                        ;  msbs: dst=0 src0=0 src1=0 src2=0
	v_ashrrev_i32_e32 v93, 24, v4
	s_set_vgpr_msb 0x44                     ;  msbs: dst=1 src0=0 src1=1 src2=0
	v_mul_i32_i24_e32 v182 /*v438*/, v80, v133 /*v389*/
	v_mul_i32_i24_e32 v183 /*v439*/, v82, v134 /*v390*/
	s_set_vgpr_msb 20                       ;  msbs: dst=0 src0=0 src1=1 src2=1
	v_add3_u32 v1, v1, v180 /*v436*/, v181 /*v437*/
	v_bfe_i32 v148, v5, 0, 8
	v_bfe_i32 v149, v5, 8, 8
	;; [unrolled: 1-line block ×3, first 2 shown]
	s_set_vgpr_msb 0                        ;  msbs: dst=0 src0=0 src1=0 src2=0
	v_ashrrev_i32_e32 v5, 24, v5
	s_set_vgpr_msb 0x41                     ;  msbs: dst=1 src0=1 src1=0 src2=0
	v_mul_i32_i24_e32 v205 /*v461*/, v136 /*v392*/, v91
	v_mul_i32_i24_e32 v206 /*v462*/, v135 /*v391*/, v93
	s_set_vgpr_msb 20                       ;  msbs: dst=0 src0=0 src1=1 src2=1
	v_add3_u32 v1, v1, v182 /*v438*/, v183 /*v439*/
	s_set_vgpr_msb 0x41                     ;  msbs: dst=1 src0=1 src1=0 src2=0
	v_mul_i32_i24_e32 v207 /*v463*/, v138 /*v394*/, v148
	v_mul_i32_i24_e32 v208 /*v464*/, v137 /*v393*/, v149
	s_set_vgpr_msb 20                       ;  msbs: dst=0 src0=0 src1=1 src2=1
	v_bfe_i32 v151, v6, 0, 8
	v_bfe_i32 v152, v6, 8, 8
	v_add3_u32 v1, v1, v205 /*v461*/, v206 /*v462*/
	s_set_vgpr_msb 0x41                     ;  msbs: dst=1 src0=1 src1=0 src2=0
	v_mul_i32_i24_e32 v209 /*v465*/, v140 /*v396*/, v150
	v_mul_i32_i24_e32 v210 /*v466*/, v139 /*v395*/, v5
	s_set_vgpr_msb 0                        ;  msbs: dst=0 src0=0 src1=0 src2=0
	v_bfe_i32 v153, v6, 16, 8
	v_ashrrev_i32_e32 v6, 24, v6
	s_set_vgpr_msb 20                       ;  msbs: dst=0 src0=0 src1=1 src2=1
	v_add3_u32 v1, v1, v207 /*v463*/, v208 /*v464*/
	s_set_vgpr_msb 0x41                     ;  msbs: dst=1 src0=1 src1=0 src2=0
	v_mul_i32_i24_e32 v211 /*v467*/, v148 /*v404*/, v151
	v_mul_i32_i24_e32 v212 /*v468*/, v141 /*v397*/, v152
	;; [unrolled: 1-line block ×4, first 2 shown]
	s_set_vgpr_msb 20                       ;  msbs: dst=0 src0=0 src1=1 src2=1
	v_add3_u32 v1, v1, v209 /*v465*/, v210 /*v466*/
	s_set_vgpr_msb 1                        ;  msbs: dst=0 src0=1 src1=0 src2=0
	v_mul_i32_i24_e32 v2, v156 /*v412*/, v158
	v_mul_i32_i24_e32 v9, v150 /*v406*/, v159
	s_set_vgpr_msb 0x41                     ;  msbs: dst=1 src0=1 src1=0 src2=0
	v_bfe_i32 v184 /*v440*/, v178 /*v434*/, 0, 8
	v_bfe_i32 v185 /*v441*/, v178 /*v434*/, 8, 8
	s_set_vgpr_msb 20                       ;  msbs: dst=0 src0=0 src1=1 src2=1
	v_add3_u32 v1, v1, v211 /*v467*/, v212 /*v468*/
	s_set_vgpr_msb 1                        ;  msbs: dst=0 src0=1 src1=0 src2=0
	v_mul_i32_i24_e32 v10, v158 /*v414*/, v162
	v_mul_i32_i24_e32 v12, v142 /*v398*/, v163
	s_set_vgpr_msb 0x41                     ;  msbs: dst=1 src0=1 src1=0 src2=0
	v_bfe_i32 v186 /*v442*/, v178 /*v434*/, 16, 8
	s_set_vgpr_msb 0x54                     ;  msbs: dst=1 src0=0 src1=1 src2=1
	v_dual_ashrrev_i32 v187 /*v443*/, 24, v178 /*v434*/ :: v_dual_ashrrev_i32 v191 /*v447*/, 24, v179 /*v435*/
	v_add3_u32 v181 /*v437*/, v1, v213 /*v469*/, v214 /*v470*/
	s_set_vgpr_msb 1                        ;  msbs: dst=0 src0=1 src1=0 src2=0
	v_mul_i32_i24_e32 v1, v157 /*v413*/, v156
	s_set_vgpr_msb 5                        ;  msbs: dst=0 src0=1 src1=1 src2=0
	v_mul_i32_i24_e32 v13, v163 /*v419*/, v184 /*v440*/
	v_mul_i32_i24_e32 v14, v162 /*v418*/, v185 /*v441*/
	s_set_vgpr_msb 0x41                     ;  msbs: dst=1 src0=1 src1=0 src2=0
	v_bfe_i32 v188 /*v444*/, v179 /*v435*/, 0, 8
	v_bfe_i32 v189 /*v445*/, v179 /*v435*/, 8, 8
	s_set_vgpr_msb 1                        ;  msbs: dst=0 src0=1 src1=0 src2=0
	v_mad_i32_i24 v1, v155 /*v411*/, v157, v1
	s_set_vgpr_msb 5                        ;  msbs: dst=0 src0=1 src1=1 src2=0
	v_mul_i32_i24_e32 v15, v161 /*v417*/, v186 /*v442*/
	v_mul_i32_i24_e32 v59, v143 /*v399*/, v187 /*v443*/
	s_set_vgpr_msb 0x45                     ;  msbs: dst=1 src0=1 src1=1 src2=0
	v_bfe_i32 v190 /*v446*/, v179 /*v435*/, 16, 8
	v_mul_i32_i24_e32 v176 /*v432*/, v166 /*v422*/, v188 /*v444*/
	s_set_vgpr_msb 0                        ;  msbs: dst=0 src0=0 src1=0 src2=0
	v_add3_u32 v1, v1, v2, v9
	s_set_vgpr_msb 1                        ;  msbs: dst=0 src0=1 src1=0 src2=0
	v_mul_i32_i24_e32 v2, v160 /*v416*/, v160
	v_mul_i32_i24_e32 v9, v159 /*v415*/, v161
	s_set_vgpr_msb 0x45                     ;  msbs: dst=1 src0=1 src1=1 src2=0
	v_mul_i32_i24_e32 v177 /*v433*/, v165 /*v421*/, v189 /*v445*/
	s_set_vgpr_msb 64                       ;  msbs: dst=1 src0=0 src1=0 src2=0
	v_bfe_i32 v192 /*v448*/, v0, 0, 8
	v_bfe_i32 v193 /*v449*/, v0, 8, 8
	s_set_vgpr_msb 0x45                     ;  msbs: dst=1 src0=1 src1=1 src2=0
	v_mul_i32_i24_e32 v180 /*v436*/, v164 /*v420*/, v190 /*v446*/
	s_set_vgpr_msb 0                        ;  msbs: dst=0 src0=0 src1=0 src2=0
	v_add3_u32 v1, v1, v2, v9
	s_set_vgpr_msb 0x45                     ;  msbs: dst=1 src0=1 src1=1 src2=0
	v_mul_i32_i24_e32 v183 /*v439*/, v144 /*v400*/, v191 /*v447*/
	s_set_vgpr_msb 64                       ;  msbs: dst=1 src0=0 src1=0 src2=0
	v_bfe_i32 v194 /*v450*/, v0, 16, 8
	v_ashrrev_i32_e32 v195 /*v451*/, 24, v0
	s_set_vgpr_msb 0x45                     ;  msbs: dst=1 src0=1 src1=1 src2=0
	v_mul_i32_i24_e32 v205 /*v461*/, v169 /*v425*/, v192 /*v448*/
	s_set_vgpr_msb 0                        ;  msbs: dst=0 src0=0 src1=0 src2=0
	v_add3_u32 v1, v1, v10, v12
	s_set_vgpr_msb 0x45                     ;  msbs: dst=1 src0=1 src1=1 src2=0
	v_mul_i32_i24_e32 v206 /*v462*/, v168 /*v424*/, v193 /*v449*/
	v_mul_i32_i24_e32 v207 /*v463*/, v167 /*v423*/, v194 /*v450*/
	v_mul_i32_i24_e32 v208 /*v464*/, v145 /*v401*/, v195 /*v451*/
	v_mul_i32_i24_e32 v209 /*v465*/, v172 /*v428*/, v196 /*v452*/
	s_set_vgpr_msb 0                        ;  msbs: dst=0 src0=0 src1=0 src2=0
	v_add3_u32 v1, v1, v13, v14
	s_set_vgpr_msb 0x45                     ;  msbs: dst=1 src0=1 src1=1 src2=0
	v_mul_i32_i24_e32 v210 /*v466*/, v171 /*v427*/, v197 /*v453*/
	v_mul_i32_i24_e32 v211 /*v467*/, v170 /*v426*/, v198 /*v454*/
	v_mul_i32_i24_e32 v212 /*v468*/, v146 /*v402*/, v199 /*v455*/
	;; [unrolled: 7-line block ×3, first 2 shown]
	s_set_vgpr_msb 20                       ;  msbs: dst=0 src0=0 src1=1 src2=1
	v_mul_i32_i24_e32 v2, v60, v60 /*v316*/
	v_add3_u32 v1, v1, v176 /*v432*/, v177 /*v433*/
	v_mul_i32_i24_e32 v9, v61, v61 /*v317*/
	v_mul_i32_i24_e32 v10, v65, v64 /*v320*/
	;; [unrolled: 1-line block ×4, first 2 shown]
	v_add3_u32 v1, v1, v180 /*v436*/, v183 /*v439*/
	v_mul_i32_i24_e32 v59, v68, v67 /*v323*/
	s_set_vgpr_msb 0x44                     ;  msbs: dst=1 src0=0 src1=1 src2=0
	v_mul_i32_i24_e32 v176 /*v432*/, v69, v68 /*v324*/
	v_mul_i32_i24_e32 v177 /*v433*/, v70, v69 /*v325*/
	;; [unrolled: 1-line block ×3, first 2 shown]
	s_set_vgpr_msb 20                       ;  msbs: dst=0 src0=0 src1=1 src2=1
	v_add3_u32 v1, v1, v205 /*v461*/, v206 /*v462*/
	s_set_vgpr_msb 0x44                     ;  msbs: dst=1 src0=0 src1=1 src2=0
	v_mul_i32_i24_e32 v205 /*v461*/, v74, v71 /*v327*/
	v_mul_i32_i24_e32 v206 /*v462*/, v76, v72 /*v328*/
	s_set_vgpr_msb 0x41                     ;  msbs: dst=1 src0=1 src1=0 src2=0
	v_mul_i32_i24_e32 v217 /*v473*/, v82 /*v338*/, v152
	v_mul_i32_i24_e32 v218 /*v474*/, v86 /*v342*/, v153
	s_set_vgpr_msb 20                       ;  msbs: dst=0 src0=0 src1=1 src2=1
	v_add3_u32 v1, v1, v207 /*v463*/, v208 /*v464*/
	s_set_vgpr_msb 0x44                     ;  msbs: dst=1 src0=0 src1=1 src2=0
	v_mul_i32_i24_e32 v207 /*v463*/, v78, v73 /*v329*/
	v_mul_i32_i24_e32 v208 /*v464*/, v80, v74 /*v330*/
	s_set_vgpr_msb 0x41                     ;  msbs: dst=1 src0=1 src1=0 src2=0
	v_mul_i32_i24_e32 v219 /*v475*/, v84 /*v340*/, v6
	s_set_vgpr_msb 0x45                     ;  msbs: dst=1 src0=1 src1=1 src2=0
	v_mul_i32_i24_e32 v220 /*v476*/, v115 /*v371*/, v202 /*v458*/
	s_set_vgpr_msb 20                       ;  msbs: dst=0 src0=0 src1=1 src2=1
	v_add3_u32 v1, v1, v209 /*v465*/, v210 /*v466*/
	s_set_vgpr_msb 0x44                     ;  msbs: dst=1 src0=0 src1=1 src2=0
	v_mul_i32_i24_e32 v209 /*v465*/, v82, v75 /*v331*/
	s_set_vgpr_msb 0x41                     ;  msbs: dst=1 src0=1 src1=0 src2=0
	v_mul_i32_i24_e32 v210 /*v466*/, v77 /*v333*/, v91
	s_set_vgpr_msb 0x45                     ;  msbs: dst=1 src0=1 src1=1 src2=0
	v_mul_i32_i24_e32 v221 /*v477*/, v114 /*v370*/, v203 /*v459*/
	s_set_vgpr_msb 0x41                     ;  msbs: dst=1 src0=1 src1=0 src2=0
	v_mul_i32_i24_e32 v222 /*v478*/, v13 /*v269*/, v152
	s_set_vgpr_msb 20                       ;  msbs: dst=0 src0=0 src1=1 src2=1
	v_add3_u32 v1, v1, v211 /*v467*/, v212 /*v468*/
	s_set_vgpr_msb 0x41                     ;  msbs: dst=1 src0=1 src1=0 src2=0
	v_mul_i32_i24_e32 v211 /*v467*/, v76 /*v332*/, v93
	v_mul_i32_i24_e32 v212 /*v468*/, v79 /*v335*/, v148
	v_mul_i32_i24_e32 v223 /*v479*/, v17 /*v273*/, v153
	v_mul_i32_i24_e32 v224 /*v480*/, v15 /*v271*/, v6
	s_set_vgpr_msb 20                       ;  msbs: dst=0 src0=0 src1=1 src2=1
	v_add3_u32 v1, v1, v213 /*v469*/, v214 /*v470*/
	s_set_vgpr_msb 0x41                     ;  msbs: dst=1 src0=1 src1=0 src2=0
	v_mul_i32_i24_e32 v213 /*v469*/, v78 /*v334*/, v149
	v_mul_i32_i24_e32 v214 /*v470*/, v81 /*v337*/, v150
	s_set_vgpr_msb 0x45                     ;  msbs: dst=1 src0=1 src1=1 src2=0
	v_mul_i32_i24_e32 v225 /*v481*/, v46 /*v302*/, v202 /*v458*/
	v_mul_i32_i24_e32 v226 /*v482*/, v45 /*v301*/, v203 /*v459*/
	s_set_vgpr_msb 0x54                     ;  msbs: dst=1 src0=0 src1=1 src2=1
	v_add3_u32 v183 /*v439*/, v1, v215 /*v471*/, v216 /*v472*/
	s_set_vgpr_msb 4                        ;  msbs: dst=0 src0=0 src1=1 src2=0
	v_mul_i32_i24_e32 v1, v41, v59 /*v315*/
	s_set_vgpr_msb 0x41                     ;  msbs: dst=1 src0=1 src1=0 src2=0
	v_mul_i32_i24_e32 v215 /*v471*/, v80 /*v336*/, v5
	v_mul_i32_i24_e32 v216 /*v472*/, v83 /*v339*/, v151
	s_set_vgpr_msb 0                        ;  msbs: dst=0 src0=0 src1=0 src2=0
	v_mul_i32_i24_e32 v6, v209, v6
	v_bfe_i32 v154, v7, 0, 8
	s_set_vgpr_msb 4                        ;  msbs: dst=0 src0=0 src1=1 src2=0
	v_mad_i32_i24 v1, v58, v58 /*v314*/, v1
	v_bfe_i32 v155, v7, 8, 8
	s_set_vgpr_msb 64                       ;  msbs: dst=1 src0=0 src1=0 src2=0
	v_bfe_i32 v204 /*v460*/, v3, 0, 8
	s_set_vgpr_msb 0                        ;  msbs: dst=0 src0=0 src1=0 src2=0
	v_bfe_i32 v4, v7, 16, 8
	s_set_vgpr_msb 0x44                     ;  msbs: dst=1 src0=0 src1=1 src2=0
	v_mul_i32_i24_e32 v178 /*v434*/, v154, v153 /*v409*/
	s_set_vgpr_msb 0                        ;  msbs: dst=0 src0=0 src1=0 src2=0
	v_add3_u32 v1, v1, v2, v9
	s_set_vgpr_msb 4                        ;  msbs: dst=0 src0=0 src1=1 src2=0
	v_mul_i32_i24_e32 v2, v62, v62 /*v318*/
	v_mul_i32_i24_e32 v9, v64, v63 /*v319*/
	s_set_vgpr_msb 0x44                     ;  msbs: dst=1 src0=0 src1=1 src2=0
	v_mul_i32_i24_e32 v179 /*v435*/, v155, v154 /*v410*/
	s_set_vgpr_msb 4                        ;  msbs: dst=0 src0=0 src1=1 src2=0
	v_mul_i32_i24_e32 v14, v154, v90 /*v346*/
	v_mul_i32_i24_e32 v15, v155, v92 /*v348*/
	s_set_vgpr_msb 0x45                     ;  msbs: dst=1 src0=1 src1=1 src2=0
	v_mul_i32_i24_e32 v182 /*v438*/, v204 /*v460*/, v151 /*v407*/
	s_set_vgpr_msb 0                        ;  msbs: dst=0 src0=0 src1=0 src2=0
	v_add3_u32 v1, v1, v2, v9
	s_set_vgpr_msb 4                        ;  msbs: dst=0 src0=0 src1=1 src2=0
	v_mul_i32_i24_e32 v2, v158, v85 /*v341*/
	v_mul_i32_i24_e32 v9, v159, v91 /*v347*/
	v_bfe_i32 v0, v3, 8, 8
	s_set_vgpr_msb 0                        ;  msbs: dst=0 src0=0 src1=0 src2=0
	v_ashrrev_i32_e32 v7, 24, v7
	v_add3_u32 v1, v1, v10, v12
	s_set_vgpr_msb 4                        ;  msbs: dst=0 src0=0 src1=1 src2=0
	v_mul_i32_i24_e32 v10, v162, v89 /*v345*/
	v_mul_i32_i24_e32 v12, v163, v96 /*v352*/
	s_set_vgpr_msb 0x55                     ;  msbs: dst=1 src0=1 src1=1 src2=1
	v_add3_u32 v178 /*v434*/, v181 /*v437*/, v178 /*v434*/, v179 /*v435*/
	s_set_vgpr_msb 0                        ;  msbs: dst=0 src0=0 src1=0 src2=0
	v_add3_u32 v1, v1, v13, v59
	s_set_vgpr_msb 5                        ;  msbs: dst=0 src0=1 src1=1 src2=0
	v_mul_i32_i24_e32 v13, v184 /*v440*/, v97 /*v353*/
	v_mul_i32_i24_e32 v59, v185 /*v441*/, v98 /*v354*/
	s_set_vgpr_msb 20                       ;  msbs: dst=0 src0=0 src1=1 src2=1
	v_add3_u32 v1, v1, v176 /*v432*/, v177 /*v433*/
	s_set_vgpr_msb 0x45                     ;  msbs: dst=1 src0=1 src1=1 src2=0
	v_mul_i32_i24_e32 v177 /*v433*/, v204 /*v460*/, v116 /*v372*/
	s_set_vgpr_msb 20                       ;  msbs: dst=0 src0=0 src1=1 src2=1
	s_delay_alu instid0(VALU_DEP_2)
	v_add3_u32 v1, v1, v180 /*v436*/, v205 /*v461*/
	s_set_vgpr_msb 0x45                     ;  msbs: dst=1 src0=1 src1=1 src2=0
	v_mul_i32_i24_e32 v180 /*v436*/, v186 /*v442*/, v95 /*v351*/
	v_mul_i32_i24_e32 v205 /*v461*/, v187 /*v443*/, v100 /*v356*/
	s_set_vgpr_msb 20                       ;  msbs: dst=0 src0=0 src1=1 src2=1
	v_add3_u32 v1, v1, v206 /*v462*/, v207 /*v463*/
	s_set_vgpr_msb 0x45                     ;  msbs: dst=1 src0=1 src1=1 src2=0
	v_mul_i32_i24_e32 v206 /*v462*/, v188 /*v444*/, v101 /*v357*/
	v_mul_i32_i24_e32 v207 /*v463*/, v189 /*v445*/, v102 /*v358*/
	s_set_vgpr_msb 20                       ;  msbs: dst=0 src0=0 src1=1 src2=1
	;; [unrolled: 5-line block ×6, first 2 shown]
	v_add3_u32 v1, v1, v216 /*v472*/, v217 /*v473*/
	s_set_vgpr_msb 0x45                     ;  msbs: dst=1 src0=1 src1=1 src2=0
	v_mul_i32_i24_e32 v216 /*v472*/, v111 /*v367*/, v198 /*v454*/
	v_mul_i32_i24_e32 v217 /*v473*/, v110 /*v366*/, v199 /*v455*/
	s_set_vgpr_msb 0x54                     ;  msbs: dst=1 src0=0 src1=1 src2=1
	v_add3_u32 v176 /*v432*/, v1, v218 /*v474*/, v219 /*v475*/
	s_set_vgpr_msb 4                        ;  msbs: dst=0 src0=0 src1=1 src2=0
	v_mul_i32_i24_e32 v1, v156, v88 /*v344*/
	s_set_vgpr_msb 0x45                     ;  msbs: dst=1 src0=1 src1=1 src2=0
	v_mul_i32_i24_e32 v218 /*v474*/, v112 /*v368*/, v200 /*v456*/
	v_mul_i32_i24_e32 v219 /*v475*/, v113 /*v369*/, v201 /*v457*/
	s_set_vgpr_msb 1                        ;  msbs: dst=0 src0=1 src1=0 src2=0
	v_add3_u32 v14, v176 /*v432*/, v14, v15
	s_set_vgpr_msb 4                        ;  msbs: dst=0 src0=0 src1=1 src2=0
	v_mad_i32_i24 v1, v157, v87 /*v343*/, v1
	s_set_vgpr_msb 64                       ;  msbs: dst=1 src0=0 src1=0 src2=0
	v_mul_i32_i24_e32 v176 /*v432*/, v0, v174
	s_set_vgpr_msb 0                        ;  msbs: dst=0 src0=0 src1=0 src2=0
	s_delay_alu instid0(VALU_DEP_2) | instskip(SKIP_4) | instid1(VALU_DEP_1)
	v_add3_u32 v1, v1, v2, v9
	s_set_vgpr_msb 4                        ;  msbs: dst=0 src0=0 src1=1 src2=0
	v_mul_i32_i24_e32 v2, v160, v93 /*v349*/
	v_mul_i32_i24_e32 v9, v161, v94 /*v350*/
	s_set_vgpr_msb 0                        ;  msbs: dst=0 src0=0 src1=0 src2=0
	v_add3_u32 v1, v1, v2, v9
	v_mul_i32_i24_e32 v2, v60, v247
	v_mul_i32_i24_e32 v9, v61, v248
	s_delay_alu instid0(VALU_DEP_3)
	v_add3_u32 v1, v1, v10, v12
	v_mul_i32_i24_e32 v12, v64, v250
	s_set_vgpr_msb 4                        ;  msbs: dst=0 src0=0 src1=1 src2=0
	v_mul_i32_i24_e32 v10, v155, v23 /*v279*/
	s_set_vgpr_msb 0                        ;  msbs: dst=0 src0=0 src1=0 src2=0
	v_add3_u32 v1, v1, v13, v59
	v_mul_i32_i24_e32 v13, v65, v251
	v_mul_i32_i24_e32 v59, v11, v252
	;; [unrolled: 1-line block ×3, first 2 shown]
	s_set_vgpr_msb 20                       ;  msbs: dst=0 src0=0 src1=1 src2=1
	v_add3_u32 v1, v1, v180 /*v436*/, v205 /*v461*/
	s_set_vgpr_msb 64                       ;  msbs: dst=1 src0=0 src1=0 src2=0
	v_mul_i32_i24_e32 v205 /*v461*/, v66, v253
	s_set_vgpr_msb 20                       ;  msbs: dst=0 src0=0 src1=1 src2=1
	s_delay_alu instid0(VALU_DEP_2)
	v_add3_u32 v1, v1, v206 /*v462*/, v207 /*v463*/
	s_set_vgpr_msb 64                       ;  msbs: dst=1 src0=0 src1=0 src2=0
	v_mul_i32_i24_e32 v206 /*v462*/, v68, v254
	v_mul_i32_i24_e32 v207 /*v463*/, v69, v255
	s_set_vgpr_msb 20                       ;  msbs: dst=0 src0=0 src1=1 src2=1
	v_add3_u32 v1, v1, v208 /*v464*/, v209 /*v465*/
	s_set_vgpr_msb 0x44                     ;  msbs: dst=1 src0=0 src1=1 src2=0
	v_mul_i32_i24_e32 v208 /*v464*/, v70, v0 /*v256*/
	v_mul_i32_i24_e32 v209 /*v465*/, v72, v1 /*v257*/
	s_set_vgpr_msb 20                       ;  msbs: dst=0 src0=0 src1=1 src2=1
	v_add3_u32 v1, v1, v210 /*v466*/, v211 /*v467*/
	s_set_vgpr_msb 0x44                     ;  msbs: dst=1 src0=0 src1=1 src2=0
	v_mul_i32_i24_e32 v210 /*v466*/, v74, v2 /*v258*/
	v_mul_i32_i24_e32 v211 /*v467*/, v76, v3 /*v259*/
	;; [unrolled: 5-line block ×3, first 2 shown]
	s_set_vgpr_msb 20                       ;  msbs: dst=0 src0=0 src1=1 src2=1
	v_add3_u32 v1, v1, v214 /*v470*/, v215 /*v471*/
	s_set_vgpr_msb 0x44                     ;  msbs: dst=1 src0=0 src1=1 src2=0
	v_mul_i32_i24_e32 v214 /*v470*/, v82, v6 /*v262*/
	s_set_vgpr_msb 0x41                     ;  msbs: dst=1 src0=1 src1=0 src2=0
	v_mul_i32_i24_e32 v215 /*v471*/, v8 /*v264*/, v91
	s_set_vgpr_msb 20                       ;  msbs: dst=0 src0=0 src1=1 src2=1
	v_add3_u32 v1, v1, v216 /*v472*/, v217 /*v473*/
	s_set_vgpr_msb 0x41                     ;  msbs: dst=1 src0=1 src1=0 src2=0
	v_mul_i32_i24_e32 v216 /*v472*/, v7 /*v263*/, v93
	v_mul_i32_i24_e32 v217 /*v473*/, v10 /*v266*/, v148
	s_set_vgpr_msb 20                       ;  msbs: dst=0 src0=0 src1=1 src2=1
	v_add3_u32 v1, v1, v218 /*v474*/, v219 /*v475*/
	s_set_vgpr_msb 0x41                     ;  msbs: dst=1 src0=1 src1=0 src2=0
	v_mul_i32_i24_e32 v218 /*v474*/, v9 /*v265*/, v149
	v_mul_i32_i24_e32 v219 /*v475*/, v12 /*v268*/, v150
	s_set_vgpr_msb 0x54                     ;  msbs: dst=1 src0=0 src1=1 src2=1
	v_add3_u32 v180 /*v436*/, v1, v220 /*v476*/, v221 /*v477*/
	s_set_vgpr_msb 0                        ;  msbs: dst=0 src0=0 src1=0 src2=0
	v_mul_i32_i24_e32 v1, v41, v246
	s_set_vgpr_msb 0x41                     ;  msbs: dst=1 src0=1 src1=0 src2=0
	v_mul_i32_i24_e32 v220 /*v476*/, v11 /*v267*/, v5
	v_mul_i32_i24_e32 v221 /*v477*/, v14 /*v270*/, v151
	s_set_vgpr_msb 0                        ;  msbs: dst=0 src0=0 src1=0 src2=0
	v_mul_i32_i24_e32 v5, v205, v5
	s_set_vgpr_msb 0x55                     ;  msbs: dst=1 src0=1 src1=1 src2=1
	v_add3_u32 v176 /*v432*/, v180 /*v436*/, v177 /*v433*/, v176 /*v432*/
	s_set_vgpr_msb 0                        ;  msbs: dst=0 src0=0 src1=0 src2=0
	v_mad_i32_i24 v1, v58, v245, v1
	s_delay_alu instid0(VALU_DEP_1) | instskip(SKIP_4) | instid1(VALU_DEP_2)
	v_add3_u32 v1, v1, v2, v9
	v_mul_i32_i24_e32 v2, v62, v249
	s_set_vgpr_msb 4                        ;  msbs: dst=0 src0=0 src1=1 src2=0
	v_mul_i32_i24_e32 v9, v154, v21 /*v277*/
	s_set_vgpr_msb 0                        ;  msbs: dst=0 src0=0 src1=0 src2=0
	v_add3_u32 v1, v1, v2, v12
	s_set_vgpr_msb 4                        ;  msbs: dst=0 src0=0 src1=1 src2=0
	v_mul_i32_i24_e32 v2, v158, v16 /*v272*/
	s_set_vgpr_msb 0                        ;  msbs: dst=0 src0=0 src1=0 src2=0
	s_delay_alu instid0(VALU_DEP_2) | instskip(SKIP_3) | instid1(VALU_DEP_3)
	v_add3_u32 v1, v1, v13, v59
	s_set_vgpr_msb 20                       ;  msbs: dst=0 src0=0 src1=1 src2=1
	v_mul_i32_i24_e32 v13, v159, v22 /*v278*/
	v_mul_i32_i24_e32 v59, v161, v25 /*v281*/
	v_add3_u32 v1, v1, v205 /*v461*/, v206 /*v462*/
	s_set_vgpr_msb 0x44                     ;  msbs: dst=1 src0=0 src1=1 src2=0
	v_mul_i32_i24_e32 v205 /*v461*/, v162, v20 /*v276*/
	v_mul_i32_i24_e32 v206 /*v462*/, v163, v27 /*v283*/
	s_set_vgpr_msb 20                       ;  msbs: dst=0 src0=0 src1=1 src2=1
	v_add3_u32 v1, v1, v207 /*v463*/, v208 /*v464*/
	s_set_vgpr_msb 0x45                     ;  msbs: dst=1 src0=1 src1=1 src2=0
	v_mul_i32_i24_e32 v207 /*v463*/, v184 /*v440*/, v28 /*v284*/
	v_mul_i32_i24_e32 v208 /*v464*/, v185 /*v441*/, v29 /*v285*/
	s_set_vgpr_msb 20                       ;  msbs: dst=0 src0=0 src1=1 src2=1
	v_add3_u32 v1, v1, v209 /*v465*/, v210 /*v466*/
	s_set_vgpr_msb 0x45                     ;  msbs: dst=1 src0=1 src1=1 src2=0
	v_mul_i32_i24_e32 v209 /*v465*/, v186 /*v442*/, v26 /*v282*/
	v_mul_i32_i24_e32 v210 /*v466*/, v187 /*v443*/, v31 /*v287*/
	;; [unrolled: 5-line block ×8, first 2 shown]
	s_set_vgpr_msb 20                       ;  msbs: dst=0 src0=0 src1=1 src2=1
	v_add3_u32 v12, v1, v223 /*v479*/, v224 /*v480*/
	v_mul_i32_i24_e32 v1, v156, v19 /*v275*/
	s_set_vgpr_msb 0x45                     ;  msbs: dst=1 src0=1 src1=1 src2=0
	v_mul_i32_i24_e32 v223 /*v479*/, v43 /*v299*/, v200 /*v456*/
	v_mul_i32_i24_e32 v224 /*v480*/, v44 /*v300*/, v201 /*v457*/
	s_set_vgpr_msb 0                        ;  msbs: dst=0 src0=0 src1=0 src2=0
	v_add3_u32 v9, v12, v9, v10
	s_set_vgpr_msb 4                        ;  msbs: dst=0 src0=0 src1=1 src2=0
	v_mad_i32_i24 v1, v157, v18 /*v274*/, v1
	s_set_vgpr_msb 0                        ;  msbs: dst=0 src0=0 src1=0 src2=0
	v_mul_i32_i24_e32 v10, v0, v117
	s_delay_alu instid0(VALU_DEP_2)
	v_add3_u32 v1, v1, v2, v13
	s_set_vgpr_msb 4                        ;  msbs: dst=0 src0=0 src1=1 src2=0
	v_mul_i32_i24_e32 v2, v160, v24 /*v280*/
	s_set_vgpr_msb 5                        ;  msbs: dst=0 src0=1 src1=1 src2=0
	v_mul_i32_i24_e32 v13, v204 /*v460*/, v47 /*v303*/
	s_set_vgpr_msb 0                        ;  msbs: dst=0 src0=0 src1=0 src2=0
	s_delay_alu instid0(VALU_DEP_2)
	v_add3_u32 v1, v1, v2, v59
	v_mul_i32_i24_e32 v2, v60, v185
	v_mul_i32_i24_e32 v60, v64, v188
	;; [unrolled: 1-line block ×4, first 2 shown]
	s_set_vgpr_msb 20                       ;  msbs: dst=0 src0=0 src1=1 src2=1
	v_add3_u32 v1, v1, v205 /*v461*/, v206 /*v462*/
	s_set_vgpr_msb 0                        ;  msbs: dst=0 src0=0 src1=0 src2=0
	v_mul_i32_i24_e32 v72, v78, v198
	v_mul_i32_i24_e32 v78, v202, v91
	;; [unrolled: 1-line block ×4, first 2 shown]
	s_set_vgpr_msb 20                       ;  msbs: dst=0 src0=0 src1=1 src2=1
	v_add3_u32 v1, v1, v207 /*v463*/, v208 /*v464*/
	v_mul_i32_i24_e32 v152, v239, v203 /*v459*/
	s_delay_alu instid0(VALU_DEP_2) | instskip(NEXT) | instid1(VALU_DEP_1)
	v_add3_u32 v1, v1, v209 /*v465*/, v210 /*v466*/
	v_add3_u32 v1, v1, v211 /*v467*/, v212 /*v468*/
	s_delay_alu instid0(VALU_DEP_1) | instskip(NEXT) | instid1(VALU_DEP_1)
	v_add3_u32 v1, v1, v213 /*v469*/, v214 /*v470*/
	v_add3_u32 v1, v1, v215 /*v471*/, v216 /*v472*/
	s_delay_alu instid0(VALU_DEP_1) | instskip(NEXT) | instid1(VALU_DEP_1)
	;; [unrolled: 3-line block ×3, first 2 shown]
	v_add3_u32 v1, v1, v221 /*v477*/, v222 /*v478*/
	v_add3_u32 v1, v1, v223 /*v479*/, v224 /*v480*/
	s_delay_alu instid0(VALU_DEP_1)
	v_add3_u32 v59, v1, v225 /*v481*/, v226 /*v482*/
	s_set_vgpr_msb 0                        ;  msbs: dst=0 src0=0 src1=0 src2=0
	v_mul_i32_i24_e32 v1, v41, v184
	v_mul_i32_i24_e32 v41, v61, v186
	;; [unrolled: 1-line block ×5, first 2 shown]
	v_mad_i32_i24 v1, v58, v183, v1
	v_mul_i32_i24_e32 v58, v62, v187
	v_mul_i32_i24_e32 v62, v66, v191
	v_mul_i32_i24_e32 v66, v70, v194
	v_mul_i32_i24_e32 v70, v76, v197
	v_add3_u32 v41, v1, v2, v41
	v_mul_i32_i24_e32 v74, v80, v199
	v_mul_i32_i24_e32 v76, v82, v200
	v_mul_i32_i24_e32 v80, v201, v93
	v_mul_i32_i24_e32 v82, v204, v148
	v_add3_u32 v41, v41, v58, v60
	v_mul_i32_i24_e32 v93, v206, v150
	v_mul_i32_i24_e32 v148, v208, v151
	v_mul_i32_i24_e32 v150, v211, v153
	v_mul_i32_i24_e32 v58, v161, v219
	v_add3_u32 v11, v41, v61, v11
	v_mul_i32_i24_e32 v41, v159, v216
	v_mul_i32_i24_e32 v60, v162, v214
	;; [unrolled: 1-line block ×3, first 2 shown]
	s_set_vgpr_msb 4                        ;  msbs: dst=0 src0=0 src1=1 src2=0
	v_mul_i32_i24_e32 v151, v240, v202 /*v458*/
	s_set_vgpr_msb 0                        ;  msbs: dst=0 src0=0 src1=0 src2=0
	v_add3_u32 v11, v11, v62, v64
	s_set_vgpr_msb 1                        ;  msbs: dst=0 src0=1 src1=0 src2=0
	v_mul_i32_i24_e32 v62, v184 /*v440*/, v222
	v_mul_i32_i24_e32 v64, v185 /*v441*/, v223
	s_set_vgpr_msb 0                        ;  msbs: dst=0 src0=0 src1=0 src2=0
	v_mul_i32_i24_e32 v1, v154, v215
	v_mul_i32_i24_e32 v2, v155, v217
	v_add3_u32 v11, v11, v65, v66
	s_set_vgpr_msb 1                        ;  msbs: dst=0 src0=1 src1=0 src2=0
	v_mul_i32_i24_e32 v65, v186 /*v442*/, v220
	v_mul_i32_i24_e32 v66, v187 /*v443*/, v225
	s_set_vgpr_msb 0                        ;  msbs: dst=0 src0=0 src1=0 src2=0
	v_add3_u32 v10, v59, v13, v10
	v_add3_u32 v11, v11, v68, v69
	s_set_vgpr_msb 1                        ;  msbs: dst=0 src0=1 src1=0 src2=0
	v_mul_i32_i24_e32 v68, v188 /*v444*/, v226
	v_mul_i32_i24_e32 v69, v189 /*v445*/, v227
	s_set_vgpr_msb 0                        ;  msbs: dst=0 src0=0 src1=0 src2=0
	v_add3_u32 v11, v11, v70, v72
	s_set_vgpr_msb 1                        ;  msbs: dst=0 src0=1 src1=0 src2=0
	v_mul_i32_i24_e32 v70, v190 /*v446*/, v224
	v_mul_i32_i24_e32 v72, v191 /*v447*/, v228
	s_set_vgpr_msb 0                        ;  msbs: dst=0 src0=0 src1=0 src2=0
	v_add3_u32 v11, v11, v74, v76
	s_set_vgpr_msb 4                        ;  msbs: dst=0 src0=0 src1=1 src2=0
	v_mul_i32_i24_e32 v74, v229, v192 /*v448*/
	v_mul_i32_i24_e32 v76, v230, v193 /*v449*/
	s_set_vgpr_msb 0                        ;  msbs: dst=0 src0=0 src1=0 src2=0
	v_add3_u32 v11, v11, v78, v80
	s_set_vgpr_msb 4                        ;  msbs: dst=0 src0=0 src1=1 src2=0
	v_mul_i32_i24_e32 v78, v232, v194 /*v450*/
	v_mul_i32_i24_e32 v80, v231, v195 /*v451*/
	;; [unrolled: 5-line block ×3, first 2 shown]
	s_set_vgpr_msb 0                        ;  msbs: dst=0 src0=0 src1=0 src2=0
	v_add3_u32 v5, v11, v93, v5
	v_mul_i32_i24_e32 v11, v158, v210
	s_set_vgpr_msb 4                        ;  msbs: dst=0 src0=0 src1=1 src2=0
	v_mul_i32_i24_e32 v93, v236, v198 /*v454*/
	s_set_vgpr_msb 0                        ;  msbs: dst=0 src0=0 src1=0 src2=0
	v_add3_u32 v5, v5, v148, v149
	s_set_vgpr_msb 4                        ;  msbs: dst=0 src0=0 src1=1 src2=0
	v_mul_i32_i24_e32 v148, v235, v199 /*v455*/
	v_mul_i32_i24_e32 v149, v237, v200 /*v456*/
	s_set_vgpr_msb 0                        ;  msbs: dst=0 src0=0 src1=0 src2=0
	v_add3_u32 v5, v5, v150, v6
	v_mul_i32_i24_e32 v6, v156, v213
	s_set_vgpr_msb 4                        ;  msbs: dst=0 src0=0 src1=1 src2=0
	v_mul_i32_i24_e32 v150, v238, v201 /*v457*/
	s_set_vgpr_msb 0                        ;  msbs: dst=0 src0=0 src1=0 src2=0
	v_add3_u32 v1, v5, v1, v2
	v_mad_i32_i24 v6, v157, v212, v6
	s_delay_alu instid0(VALU_DEP_1) | instskip(SKIP_4) | instid1(VALU_DEP_2)
	v_add3_u32 v11, v6, v11, v41
	v_mul_i32_i24_e32 v41, v160, v218
	s_set_vgpr_msb 1                        ;  msbs: dst=0 src0=1 src1=0 src2=0
	v_mul_i32_i24_e32 v6, v204 /*v460*/, v241
	s_set_vgpr_msb 0                        ;  msbs: dst=0 src0=0 src1=0 src2=0
	v_add3_u32 v11, v11, v41, v58
	v_or_b32_e32 v41, s5, v139
	s_delay_alu instid0(VALU_DEP_2) | instskip(NEXT) | instid1(VALU_DEP_2)
	v_add3_u32 v11, v11, v60, v61
	v_dual_lshlrev_b32 v58, 2, v41 :: v_dual_lshrrev_b32 v41, 1, v41
	s_set_vgpr_msb 64                       ;  msbs: dst=1 src0=0 src1=0 src2=0
	ds_load_b128 v[184:187] /*v[440:443]*/, v58 offset:16896
	ds_load_b128 v[188:191] /*v[444:447]*/, v58 offset:16912
	;; [unrolled: 1-line block ×4, first 2 shown]
	s_set_vgpr_msb 0                        ;  msbs: dst=0 src0=0 src1=0 src2=0
	v_add3_u32 v11, v11, v62, v64
	s_delay_alu instid0(VALU_DEP_1) | instskip(NEXT) | instid1(VALU_DEP_1)
	v_add3_u32 v11, v11, v65, v66
	v_add3_u32 v11, v11, v68, v69
	s_delay_alu instid0(VALU_DEP_1)
	v_add3_u32 v11, v11, v70, v72
	s_wait_dscnt 0x3
	s_set_vgpr_msb 1                        ;  msbs: dst=0 src0=1 src1=0 src2=0
	v_bfe_i32 v58, v184 /*v440*/, 0, 8
	v_bfe_i32 v60, v184 /*v440*/, 8, 8
	;; [unrolled: 1-line block ×3, first 2 shown]
	s_set_vgpr_msb 4                        ;  msbs: dst=0 src0=0 src1=1 src2=0
	v_ashrrev_i32_e32 v62, 24, v184 /*v440*/
	s_set_vgpr_msb 0                        ;  msbs: dst=0 src0=0 src1=0 src2=0
	v_add3_u32 v11, v11, v74, v76
	s_set_vgpr_msb 0x44                     ;  msbs: dst=1 src0=0 src1=1 src2=0
	v_mul_i32_i24_e32 v184 /*v440*/, v58, v118 /*v374*/
	s_set_vgpr_msb 1                        ;  msbs: dst=0 src0=1 src1=0 src2=0
	v_bfe_i32 v64, v185 /*v441*/, 0, 8
	v_bfe_i32 v65, v185 /*v441*/, 8, 8
	;; [unrolled: 1-line block ×3, first 2 shown]
	s_set_vgpr_msb 0                        ;  msbs: dst=0 src0=0 src1=0 src2=0
	v_add3_u32 v11, v11, v78, v80
	s_set_vgpr_msb 4                        ;  msbs: dst=0 src0=0 src1=1 src2=0
	v_ashrrev_i32_e32 v68, 24, v185 /*v441*/
	s_set_vgpr_msb 1                        ;  msbs: dst=0 src0=1 src1=0 src2=0
	v_bfe_i32 v69, v186 /*v442*/, 0, 8
	v_bfe_i32 v70, v186 /*v442*/, 8, 8
	;; [unrolled: 1-line block ×3, first 2 shown]
	s_set_vgpr_msb 0                        ;  msbs: dst=0 src0=0 src1=0 src2=0
	v_add3_u32 v11, v11, v82, v91
	s_set_vgpr_msb 4                        ;  msbs: dst=0 src0=0 src1=1 src2=0
	v_dual_ashrrev_i32 v74, 24, v186 /*v442*/ :: v_dual_ashrrev_i32 v82, 24, v187 /*v443*/
	s_set_vgpr_msb 0x54                     ;  msbs: dst=1 src0=0 src1=1 src2=1
	v_mul_i32_i24_e32 v185 /*v441*/, v61, v119 /*v375*/
	v_mul_i32_i24_e32 v186 /*v442*/, v62, v120 /*v376*/
	v_mad_i32_i24 v184 /*v440*/, v60, v117 /*v373*/, v184 /*v440*/
	s_set_vgpr_msb 0                        ;  msbs: dst=0 src0=0 src1=0 src2=0
	v_add3_u32 v11, v11, v93, v148
	s_set_vgpr_msb 1                        ;  msbs: dst=0 src0=1 src1=0 src2=0
	v_bfe_i32 v76, v187 /*v443*/, 0, 8
	v_bfe_i32 v78, v187 /*v443*/, 8, 8
	;; [unrolled: 1-line block ×3, first 2 shown]
	s_set_vgpr_msb 0x55                     ;  msbs: dst=1 src0=1 src1=1 src2=1
	v_add3_u32 v184 /*v440*/, v184 /*v440*/, v185 /*v441*/, v186 /*v442*/
	s_set_vgpr_msb 0x44                     ;  msbs: dst=1 src0=0 src1=1 src2=0
	v_mul_i32_i24_e32 v185 /*v441*/, v64, v121 /*v377*/
	v_mul_i32_i24_e32 v186 /*v442*/, v65, v122 /*v378*/
	s_set_vgpr_msb 0                        ;  msbs: dst=0 src0=0 src1=0 src2=0
	v_add3_u32 v11, v11, v149, v150
	s_wait_dscnt 0x2
	s_set_vgpr_msb 1                        ;  msbs: dst=0 src0=1 src1=0 src2=0
	v_bfe_i32 v91, v188 /*v444*/, 0, 8
	v_bfe_i32 v93, v188 /*v444*/, 8, 8
	;; [unrolled: 1-line block ×3, first 2 shown]
	s_set_vgpr_msb 4                        ;  msbs: dst=0 src0=0 src1=1 src2=0
	v_dual_ashrrev_i32 v149, 24, v188 /*v444*/ :: v_dual_ashrrev_i32 v153, 24, v189 /*v445*/
	s_set_vgpr_msb 0x44                     ;  msbs: dst=1 src0=0 src1=1 src2=0
	v_mul_i32_i24_e32 v187 /*v443*/, v66, v123 /*v379*/
	v_mul_i32_i24_e32 v188 /*v444*/, v68, v124 /*v380*/
	s_set_vgpr_msb 0x55                     ;  msbs: dst=1 src0=1 src1=1 src2=1
	v_add3_u32 v184 /*v440*/, v184 /*v440*/, v185 /*v441*/, v186 /*v442*/
	s_set_vgpr_msb 0                        ;  msbs: dst=0 src0=0 src1=0 src2=0
	v_add3_u32 v11, v11, v151, v152
	s_set_vgpr_msb 1                        ;  msbs: dst=0 src0=1 src1=0 src2=0
	v_bfe_i32 v150, v189 /*v445*/, 0, 8
	v_bfe_i32 v151, v189 /*v445*/, 8, 8
	;; [unrolled: 1-line block ×6, first 2 shown]
	s_set_vgpr_msb 4                        ;  msbs: dst=0 src0=0 src1=1 src2=0
	v_ashrrev_i32_e32 v157, 24, v190 /*v446*/
	s_set_vgpr_msb 0x44                     ;  msbs: dst=1 src0=0 src1=1 src2=0
	v_mul_i32_i24_e32 v189 /*v445*/, v69, v125 /*v381*/
	v_mul_i32_i24_e32 v190 /*v446*/, v70, v126 /*v382*/
	s_set_vgpr_msb 0x55                     ;  msbs: dst=1 src0=1 src1=1 src2=1
	v_add3_u32 v184 /*v440*/, v184 /*v440*/, v187 /*v443*/, v188 /*v444*/
	s_wait_dscnt 0x1
	s_set_vgpr_msb 1                        ;  msbs: dst=0 src0=1 src1=0 src2=0
	v_bfe_i32 v161, v192 /*v448*/, 0, 8
	v_bfe_i32 v162, v192 /*v448*/, 8, 8
	;; [unrolled: 1-line block ×3, first 2 shown]
	s_set_vgpr_msb 0x44                     ;  msbs: dst=1 src0=0 src1=1 src2=0
	v_dual_ashrrev_i32 v200 /*v456*/, 24, v192 /*v448*/ :: v_dual_ashrrev_i32 v204 /*v460*/, 24, v193 /*v449*/
	s_set_vgpr_msb 0x41                     ;  msbs: dst=1 src0=1 src1=0 src2=0
	v_bfe_i32 v201 /*v457*/, v193 /*v449*/, 0, 8
	v_bfe_i32 v202 /*v458*/, v193 /*v449*/, 8, 8
	;; [unrolled: 1-line block ×3, first 2 shown]
	s_set_vgpr_msb 0x44                     ;  msbs: dst=1 src0=0 src1=1 src2=0
	v_mul_i32_i24_e32 v192 /*v448*/, v72, v127 /*v383*/
	v_mul_i32_i24_e32 v193 /*v449*/, v74, v128 /*v384*/
	s_set_vgpr_msb 0x55                     ;  msbs: dst=1 src0=1 src1=1 src2=1
	v_add3_u32 v184 /*v440*/, v184 /*v440*/, v189 /*v445*/, v190 /*v446*/
	s_set_vgpr_msb 0x44                     ;  msbs: dst=1 src0=0 src1=1 src2=0
	v_mul_i32_i24_e32 v222 /*v478*/, v76, v129 /*v385*/
	v_mul_i32_i24_e32 v223 /*v479*/, v78, v130 /*v386*/
	v_mul_i32_i24_e32 v224 /*v480*/, v80, v131 /*v387*/
	v_mul_i32_i24_e32 v225 /*v481*/, v82, v132 /*v388*/
	s_set_vgpr_msb 0x55                     ;  msbs: dst=1 src0=1 src1=1 src2=1
	v_add3_u32 v184 /*v440*/, v184 /*v440*/, v192 /*v448*/, v193 /*v449*/
	s_set_vgpr_msb 0x44                     ;  msbs: dst=1 src0=0 src1=1 src2=0
	v_mul_i32_i24_e32 v226 /*v482*/, v91, v133 /*v389*/
	v_mul_i32_i24_e32 v227 /*v483*/, v93, v134 /*v390*/
	s_set_vgpr_msb 0x41                     ;  msbs: dst=1 src0=1 src1=0 src2=0
	v_mul_i32_i24_e32 v228 /*v484*/, v136 /*v392*/, v148
	v_mul_i32_i24_e32 v229 /*v485*/, v135 /*v391*/, v149
	s_set_vgpr_msb 0x55                     ;  msbs: dst=1 src0=1 src1=1 src2=1
	v_add3_u32 v184 /*v440*/, v184 /*v440*/, v222 /*v478*/, v223 /*v479*/
	s_set_vgpr_msb 0x41                     ;  msbs: dst=1 src0=1 src1=0 src2=0
	v_mul_i32_i24_e32 v230 /*v486*/, v138 /*v394*/, v150
	v_mul_i32_i24_e32 v231 /*v487*/, v137 /*v393*/, v151
	;; [unrolled: 1-line block ×4, first 2 shown]
	s_set_vgpr_msb 0x55                     ;  msbs: dst=1 src0=1 src1=1 src2=1
	v_add3_u32 v184 /*v440*/, v184 /*v440*/, v224 /*v480*/, v225 /*v481*/
	s_set_vgpr_msb 0x41                     ;  msbs: dst=1 src0=1 src1=0 src2=0
	v_mul_i32_i24_e32 v234 /*v490*/, v148 /*v404*/, v154
	v_mul_i32_i24_e32 v235 /*v491*/, v141 /*v397*/, v155
	;; [unrolled: 1-line block ×4, first 2 shown]
	s_set_vgpr_msb 0x55                     ;  msbs: dst=1 src0=1 src1=1 src2=1
	v_add3_u32 v184 /*v440*/, v184 /*v440*/, v226 /*v482*/, v227 /*v483*/
	s_set_vgpr_msb 0x41                     ;  msbs: dst=1 src0=1 src1=0 src2=0
	v_mul_i32_i24_e32 v185 /*v441*/, v156 /*v412*/, v163
	s_set_vgpr_msb 0x55                     ;  msbs: dst=1 src0=1 src1=1 src2=1
	v_mul_i32_i24_e32 v186 /*v442*/, v150 /*v406*/, v200 /*v456*/
	v_bfe_i32 v205 /*v461*/, v194 /*v450*/, 0, 8
	v_bfe_i32 v206 /*v462*/, v194 /*v450*/, 8, 8
	v_add3_u32 v184 /*v440*/, v184 /*v440*/, v228 /*v484*/, v229 /*v485*/
	v_mul_i32_i24_e32 v187 /*v443*/, v158 /*v414*/, v203 /*v459*/
	v_mul_i32_i24_e32 v188 /*v444*/, v142 /*v398*/, v204 /*v460*/
	v_bfe_i32 v207 /*v463*/, v194 /*v450*/, 16, 8
	v_ashrrev_i32_e32 v194 /*v450*/, 24, v194 /*v450*/
	v_add3_u32 v184 /*v440*/, v184 /*v440*/, v230 /*v486*/, v231 /*v487*/
	v_mul_i32_i24_e32 v189 /*v445*/, v163 /*v419*/, v205 /*v461*/
	v_mul_i32_i24_e32 v190 /*v446*/, v162 /*v418*/, v206 /*v462*/
	v_bfe_i32 v208 /*v464*/, v195 /*v451*/, 0, 8
	v_bfe_i32 v209 /*v465*/, v195 /*v451*/, 8, 8
	v_add3_u32 v184 /*v440*/, v184 /*v440*/, v232 /*v488*/, v233 /*v489*/
	v_bfe_i32 v210 /*v466*/, v195 /*v451*/, 16, 8
	v_ashrrev_i32_e32 v195 /*v451*/, 24, v195 /*v451*/
	v_mul_i32_i24_e32 v192 /*v448*/, v161 /*v417*/, v207 /*v463*/
	v_mul_i32_i24_e32 v193 /*v449*/, v143 /*v399*/, v194 /*v450*/
	v_add3_u32 v184 /*v440*/, v184 /*v440*/, v234 /*v490*/, v235 /*v491*/
	v_mul_i32_i24_e32 v223 /*v479*/, v166 /*v422*/, v208 /*v464*/
	v_mul_i32_i24_e32 v224 /*v480*/, v165 /*v421*/, v209 /*v465*/
	s_wait_dscnt 0x0
	v_bfe_i32 v211 /*v467*/, v196 /*v452*/, 0, 8
	v_bfe_i32 v212 /*v468*/, v196 /*v452*/, 8, 8
	v_add3_u32 v222 /*v478*/, v184 /*v440*/, v236 /*v492*/, v237 /*v493*/
	s_set_vgpr_msb 0x41                     ;  msbs: dst=1 src0=1 src1=0 src2=0
	v_mul_i32_i24_e32 v184 /*v440*/, v157 /*v413*/, v161
	s_set_vgpr_msb 0x45                     ;  msbs: dst=1 src0=1 src1=1 src2=0
	v_mul_i32_i24_e32 v225 /*v481*/, v164 /*v420*/, v210 /*v466*/
	v_mul_i32_i24_e32 v226 /*v482*/, v144 /*v400*/, v195 /*v451*/
	v_bfe_i32 v213 /*v469*/, v196 /*v452*/, 16, 8
	v_ashrrev_i32_e32 v196 /*v452*/, 24, v196 /*v452*/
	s_set_vgpr_msb 0x51                     ;  msbs: dst=1 src0=1 src1=0 src2=1
	v_mad_i32_i24 v184 /*v440*/, v155 /*v411*/, v162, v184 /*v440*/
	s_set_vgpr_msb 0x55                     ;  msbs: dst=1 src0=1 src1=1 src2=1
	v_mul_i32_i24_e32 v227 /*v483*/, v169 /*v425*/, v211 /*v467*/
	v_mul_i32_i24_e32 v228 /*v484*/, v168 /*v424*/, v212 /*v468*/
	v_bfe_i32 v214 /*v470*/, v197 /*v453*/, 0, 8
	v_bfe_i32 v215 /*v471*/, v197 /*v453*/, 8, 8
	v_add3_u32 v184 /*v440*/, v184 /*v440*/, v185 /*v441*/, v186 /*v442*/
	v_mul_i32_i24_e32 v185 /*v441*/, v160 /*v416*/, v201 /*v457*/
	v_mul_i32_i24_e32 v186 /*v442*/, v159 /*v415*/, v202 /*v458*/
	v_bfe_i32 v216 /*v472*/, v197 /*v453*/, 16, 8
	v_ashrrev_i32_e32 v197 /*v453*/, 24, v197 /*v453*/
	v_mul_i32_i24_e32 v229 /*v485*/, v167 /*v423*/, v213 /*v469*/
	v_mul_i32_i24_e32 v230 /*v486*/, v145 /*v401*/, v196 /*v452*/
	v_add3_u32 v184 /*v440*/, v184 /*v440*/, v185 /*v441*/, v186 /*v442*/
	v_mul_i32_i24_e32 v231 /*v487*/, v172 /*v428*/, v214 /*v470*/
	v_mul_i32_i24_e32 v232 /*v488*/, v171 /*v427*/, v215 /*v471*/
	v_bfe_i32 v217 /*v473*/, v198 /*v454*/, 0, 8
	v_bfe_i32 v218 /*v474*/, v198 /*v454*/, 8, 8
	v_add3_u32 v184 /*v440*/, v184 /*v440*/, v187 /*v443*/, v188 /*v444*/
	v_mul_i32_i24_e32 v233 /*v489*/, v170 /*v426*/, v216 /*v472*/
	v_mul_i32_i24_e32 v234 /*v490*/, v146 /*v402*/, v197 /*v453*/
	v_bfe_i32 v219 /*v475*/, v198 /*v454*/, 16, 8
	v_ashrrev_i32_e32 v198 /*v454*/, 24, v198 /*v454*/
	v_add3_u32 v184 /*v440*/, v184 /*v440*/, v189 /*v445*/, v190 /*v446*/
	v_mul_i32_i24_e32 v235 /*v491*/, v175 /*v431*/, v217 /*v473*/
	v_mul_i32_i24_e32 v236 /*v492*/, v174 /*v430*/, v218 /*v474*/
	;; [unrolled: 1-line block ×3, first 2 shown]
	s_set_vgpr_msb 64                       ;  msbs: dst=1 src0=0 src1=0 src2=0
	ds_load_b64 v[186:187] /*v[442:443]*/, v41 offset:27200
	s_set_vgpr_msb 0x55                     ;  msbs: dst=1 src0=1 src1=1 src2=1
	v_add3_u32 v184 /*v440*/, v184 /*v440*/, v192 /*v448*/, v193 /*v449*/
	s_set_vgpr_msb 1                        ;  msbs: dst=0 src0=1 src1=0 src2=0
	v_bfe_i32 v158, v191 /*v447*/, 0, 8
	v_bfe_i32 v159, v191 /*v447*/, 8, 8
	;; [unrolled: 1-line block ×3, first 2 shown]
	s_set_vgpr_msb 0x55                     ;  msbs: dst=1 src0=1 src1=1 src2=1
	v_bfe_i32 v220 /*v476*/, v199 /*v455*/, 0, 8
	v_add3_u32 v184 /*v440*/, v184 /*v440*/, v223 /*v479*/, v224 /*v480*/
	v_ashrrev_i32_e32 v224 /*v480*/, 24, v191 /*v447*/
	v_mul_i32_i24_e32 v240 /*v496*/, v147 /*v403*/, v198 /*v454*/
	s_set_vgpr_msb 0x44                     ;  msbs: dst=1 src0=0 src1=1 src2=0
	v_mul_i32_i24_e32 v238 /*v494*/, v158, v153 /*v409*/
	v_mul_i32_i24_e32 v239 /*v495*/, v159, v154 /*v410*/
	s_set_vgpr_msb 0x55                     ;  msbs: dst=1 src0=1 src1=1 src2=1
	v_add3_u32 v184 /*v440*/, v184 /*v440*/, v225 /*v481*/, v226 /*v482*/
	s_set_vgpr_msb 64                       ;  msbs: dst=1 src0=0 src1=0 src2=0
	v_bfe_i32 v225 /*v481*/, v3, 16, 8
	v_ashrrev_i32_e32 v226 /*v482*/, 24, v3
	s_set_vgpr_msb 0x55                     ;  msbs: dst=1 src0=1 src1=1 src2=1
	v_bfe_i32 v221 /*v477*/, v199 /*v455*/, 8, 8
	v_add3_u32 v179 /*v435*/, v222 /*v478*/, v238 /*v494*/, v239 /*v495*/
	v_add3_u32 v184 /*v440*/, v184 /*v440*/, v227 /*v483*/, v228 /*v484*/
	v_mul_i32_i24_e32 v241 /*v497*/, v220 /*v476*/, v151 /*v407*/
	v_mul_i32_i24_e32 v181 /*v437*/, v53 /*v309*/, v225 /*v481*/
	;; [unrolled: 1-line block ×3, first 2 shown]
	s_wait_dscnt 0x0
	v_cvt_f32_f16_e64 v189 /*v445*/, v186 /*v442*/
	v_add3_u32 v184 /*v440*/, v184 /*v440*/, v229 /*v485*/, v230 /*v486*/
	v_cvt_f32_f16_e64 v193 /*v449*/, v187 /*v443*/
	s_set_vgpr_msb 0x44                     ;  msbs: dst=1 src0=0 src1=1 src2=0
	v_mul_i32_i24_e32 v229 /*v485*/, v91, v74 /*v330*/
	v_mul_i32_i24_e32 v230 /*v486*/, v93, v75 /*v331*/
	s_set_vgpr_msb 0x41                     ;  msbs: dst=1 src0=1 src1=0 src2=0
	v_mul_i32_i24_e32 v238 /*v494*/, v82 /*v338*/, v155
	s_set_vgpr_msb 0x55                     ;  msbs: dst=1 src0=1 src1=1 src2=1
	v_add3_u32 v184 /*v440*/, v184 /*v440*/, v231 /*v487*/, v232 /*v488*/
	s_set_vgpr_msb 0x41                     ;  msbs: dst=1 src0=1 src1=0 src2=0
	v_mul_i32_i24_e32 v231 /*v487*/, v77 /*v333*/, v148
	v_mul_i32_i24_e32 v232 /*v488*/, v76 /*v332*/, v149
	;; [unrolled: 1-line block ×3, first 2 shown]
	s_set_vgpr_msb 0x44                     ;  msbs: dst=1 src0=0 src1=1 src2=0
	v_mul_i32_i24_e32 v242 /*v498*/, v159, v92 /*v348*/
	s_set_vgpr_msb 0x55                     ;  msbs: dst=1 src0=1 src1=1 src2=1
	v_add3_u32 v184 /*v440*/, v184 /*v440*/, v233 /*v489*/, v234 /*v490*/
	s_set_vgpr_msb 0x41                     ;  msbs: dst=1 src0=1 src1=0 src2=0
	v_mul_i32_i24_e32 v233 /*v489*/, v79 /*v335*/, v150
	v_mul_i32_i24_e32 v234 /*v490*/, v78 /*v334*/, v151
	s_set_vgpr_msb 0x55                     ;  msbs: dst=1 src0=1 src1=1 src2=1
	v_mul_i32_i24_e32 v243 /*v499*/, v114 /*v370*/, v198 /*v454*/
	v_mul_i32_i24_e32 v244 /*v500*/, v220 /*v476*/, v116 /*v372*/
	v_add3_u32 v184 /*v440*/, v184 /*v440*/, v235 /*v491*/, v236 /*v492*/
	s_set_vgpr_msb 0x41                     ;  msbs: dst=1 src0=1 src1=0 src2=0
	v_mul_i32_i24_e32 v235 /*v491*/, v81 /*v337*/, v152
	v_mul_i32_i24_e32 v236 /*v492*/, v80 /*v336*/, v153
	s_set_vgpr_msb 0x44                     ;  msbs: dst=1 src0=0 src1=1 src2=0
	v_mul_i32_i24_e32 v180 /*v436*/, v74, v0 /*v256*/
	s_set_vgpr_msb 4                        ;  msbs: dst=0 src0=0 src1=1 src2=0
	v_mul_i32_i24_e32 v12, v115, v225 /*v481*/
	s_set_vgpr_msb 0x55                     ;  msbs: dst=1 src0=1 src1=1 src2=1
	v_add3_u32 v223 /*v479*/, v184 /*v440*/, v237 /*v493*/, v240 /*v496*/
	s_set_vgpr_msb 64                       ;  msbs: dst=1 src0=0 src1=0 src2=0
	ds_load_b64 v[184:185] /*v[440:441]*/, v8 offset:27200
	s_set_vgpr_msb 4                        ;  msbs: dst=0 src0=0 src1=1 src2=0
	v_lshrrev_b32_e32 v41, 16, v186 /*v442*/
	s_set_vgpr_msb 0x41                     ;  msbs: dst=1 src0=1 src1=0 src2=0
	v_mul_i32_i24_e32 v186 /*v442*/, v49 /*v305*/, v7
	v_mul_i32_i24_e32 v237 /*v493*/, v83 /*v339*/, v154
	s_set_vgpr_msb 0                        ;  msbs: dst=0 src0=0 src1=0 src2=0
	v_mul_i32_i24_e32 v59, v76, v195
	s_wait_dscnt 0x0
	s_set_vgpr_msb 4                        ;  msbs: dst=0 src0=0 src1=1 src2=0
	v_dual_lshrrev_b32 v8, 16, v184 /*v440*/ :: v_dual_lshrrev_b32 v3, 16, v185 /*v441*/
	s_set_vgpr_msb 0x41                     ;  msbs: dst=1 src0=1 src1=0 src2=0
	v_cvt_f32_f16_e64 v188 /*v444*/, v184 /*v440*/
	v_cvt_f32_f16_e64 v192 /*v448*/, v185 /*v441*/
	s_set_vgpr_msb 64                       ;  msbs: dst=1 src0=0 src1=0 src2=0
	v_cvt_f32_f16_e64 v191 /*v447*/, v41
	v_cvt_f32_f16_e64 v190 /*v446*/, v8
	s_set_vgpr_msb 4                        ;  msbs: dst=0 src0=0 src1=1 src2=0
	v_lshrrev_b32_e32 v8, 16, v187 /*v443*/
	s_set_vgpr_msb 64                       ;  msbs: dst=1 src0=0 src1=0 src2=0
	v_cvt_f32_f16_e64 v184 /*v440*/, v3
	s_set_vgpr_msb 4                        ;  msbs: dst=0 src0=0 src1=1 src2=0
	v_mul_i32_i24_e32 v3, v4, v50 /*v306*/
	s_set_vgpr_msb 0x45                     ;  msbs: dst=1 src0=1 src1=1 src2=0
	v_mul_i32_i24_e32 v187 /*v443*/, v49 /*v305*/, v224 /*v480*/
	s_set_vgpr_msb 1                        ;  msbs: dst=0 src0=1 src1=0 src2=0
	v_bfe_i32 v41, v199 /*v455*/, 16, 8
	s_set_vgpr_msb 64                       ;  msbs: dst=1 src0=0 src1=0 src2=0
	v_cvt_f32_f16_e64 v185 /*v441*/, v8
	s_set_vgpr_msb 4                        ;  msbs: dst=0 src0=0 src1=1 src2=0
	v_mul_i32_i24_e32 v8, v160, v50 /*v306*/
	s_set_vgpr_msb 17                       ;  msbs: dst=0 src0=1 src1=0 src2=1
	v_add3_u32 v3, v178 /*v434*/, v3, v186 /*v442*/
	s_set_vgpr_msb 0x44                     ;  msbs: dst=1 src0=0 src1=1 src2=0
	v_ashrrev_i32_e32 v199 /*v455*/, 24, v199 /*v455*/
	s_set_vgpr_msb 0x41                     ;  msbs: dst=1 src0=1 src1=0 src2=0
	v_mul_i32_i24_e32 v222 /*v478*/, v53 /*v309*/, v41
	v_mul_i32_i24_e32 v240 /*v496*/, v84 /*v340*/, v157
	s_set_vgpr_msb 17                       ;  msbs: dst=0 src0=1 src1=0 src2=1
	v_add3_u32 v8, v179 /*v435*/, v8, v187 /*v443*/
	s_set_vgpr_msb 4                        ;  msbs: dst=0 src0=0 src1=1 src2=0
	v_mul_lo_u32 v3, v3, v48 /*v304*/
	s_set_vgpr_msb 0x45                     ;  msbs: dst=1 src0=1 src1=1 src2=0
	v_mul_i32_i24_e32 v228 /*v484*/, v52 /*v308*/, v199 /*v455*/
	s_set_vgpr_msb 0x44                     ;  msbs: dst=1 src0=0 src1=1 src2=0
	v_pk_fma_f32 v[186:187] /*v[442:443]*/, v[122:123], v[190:191] /*v[446:447]*/, 0 op_sel_hi:[0,1,0]
	s_set_vgpr_msb 4                        ;  msbs: dst=0 src0=0 src1=1 src2=0
	v_mul_lo_u32 v8, v8, v48 /*v304*/
	s_set_vgpr_msb 64                       ;  msbs: dst=1 src0=0 src1=0 src2=0
	s_delay_alu instid0(VALU_DEP_4) | instskip(SKIP_3) | instid1(VALU_DEP_3)
	v_cvt_f32_i32_e32 v178 /*v434*/, v3
	s_set_vgpr_msb 5                        ;  msbs: dst=0 src0=1 src1=1 src2=0
	v_mul_i32_i24_e32 v3, v221 /*v477*/, v54 /*v310*/
	s_set_vgpr_msb 64                       ;  msbs: dst=1 src0=0 src1=0 src2=0
	v_cvt_f32_i32_e32 v179 /*v435*/, v8
	s_set_vgpr_msb 4                        ;  msbs: dst=0 src0=0 src1=1 src2=0
	v_mul_i32_i24_e32 v8, v0, v54 /*v310*/
	s_set_vgpr_msb 5                        ;  msbs: dst=0 src0=1 src1=1 src2=0
	v_add3_u32 v3, v223 /*v479*/, v241 /*v497*/, v3
	s_set_vgpr_msb 0x44                     ;  msbs: dst=1 src0=0 src1=1 src2=0
	v_mul_i32_i24_e32 v223 /*v479*/, v78, v71 /*v327*/
	v_mul_i32_i24_e32 v241 /*v497*/, v158, v90 /*v346*/
	s_set_vgpr_msb 0x45                     ;  msbs: dst=1 src0=1 src1=1 src2=0
	v_pk_fma_f32 v[178:179] /*v[434:435]*/, v[188:189] /*v[444:445]*/, v[178:179] /*v[434:435]*/, 0 op_sel_hi:[1,1,0]
	s_set_vgpr_msb 5                        ;  msbs: dst=0 src0=1 src1=1 src2=0
	v_add3_u32 v8, v183 /*v439*/, v182 /*v438*/, v8
	s_set_vgpr_msb 20                       ;  msbs: dst=0 src0=0 src1=1 src2=1
	v_add3_u32 v3, v3, v222 /*v478*/, v228 /*v484*/
	s_set_vgpr_msb 0x44                     ;  msbs: dst=1 src0=0 src1=1 src2=0
	v_mul_i32_i24_e32 v222 /*v478*/, v76, v70 /*v326*/
	v_mul_i32_i24_e32 v228 /*v484*/, v82, v73 /*v329*/
	s_set_vgpr_msb 0                        ;  msbs: dst=0 src0=0 src1=0 src2=0
	v_mul_i32_i24_e32 v0, v0, v178
	s_set_vgpr_msb 20                       ;  msbs: dst=0 src0=0 src1=1 src2=1
	v_add3_u32 v8, v8, v181 /*v437*/, v227 /*v483*/
	v_mul_lo_u32 v3, v3, v51 /*v307*/
	s_set_vgpr_msb 0x44                     ;  msbs: dst=1 src0=0 src1=1 src2=0
	v_mul_i32_i24_e32 v181 /*v437*/, v68, v65 /*v321*/
	v_mul_i32_i24_e32 v227 /*v483*/, v80, v72 /*v328*/
	s_set_vgpr_msb 0                        ;  msbs: dst=0 src0=0 src1=0 src2=0
	v_add3_u32 v0, v11, v6, v0
	s_set_vgpr_msb 4                        ;  msbs: dst=0 src0=0 src1=1 src2=0
	v_mul_lo_u32 v8, v8, v51 /*v307*/
	s_set_vgpr_msb 64                       ;  msbs: dst=1 src0=0 src1=0 src2=0
	v_cvt_f32_i32_e32 v183 /*v439*/, v3
	s_set_vgpr_msb 4                        ;  msbs: dst=0 src0=0 src1=1 src2=0
	v_mul_i32_i24_e32 v3, v58, v59 /*v315*/
	s_set_vgpr_msb 64                       ;  msbs: dst=1 src0=0 src1=0 src2=0
	s_delay_alu instid0(VALU_DEP_3)
	v_cvt_f32_i32_e32 v182 /*v438*/, v8
	s_set_vgpr_msb 4                        ;  msbs: dst=0 src0=0 src1=1 src2=0
	v_mul_i32_i24_e32 v8, v61, v60 /*v316*/
	v_mad_i32_i24 v3, v60, v58 /*v314*/, v3
	s_set_vgpr_msb 0x55                     ;  msbs: dst=1 src0=1 src1=1 src2=1
	v_pk_fma_f32 v[178:179] /*v[434:435]*/, v[192:193] /*v[448:449]*/, v[182:183] /*v[438:439]*/, v[178:179] /*v[434:435]*/
	s_set_vgpr_msb 0x54                     ;  msbs: dst=1 src0=0 src1=1 src2=1
	v_pk_fma_f32 v[182:183] /*v[438:439]*/, v[124:125], v[184:185] /*v[440:441]*/, v[186:187] /*v[442:443]*/ op_sel_hi:[0,1,1]
	v_mul_i32_i24_e32 v186 /*v442*/, v72, v68 /*v324*/
	v_mul_i32_i24_e32 v187 /*v443*/, v74, v69 /*v325*/
	s_set_vgpr_msb 0x51                     ;  msbs: dst=1 src0=1 src1=0 src2=1
	s_delay_alu instid0(VALU_DEP_3) | instskip(NEXT) | instid1(VALU_DEP_1)
	v_pk_mul_f32 v[182:183] /*v[438:439]*/, v[182:183] /*v[438:439]*/, v[104:105]
	v_pk_fma_f32 v[178:179] /*v[434:435]*/, v[178:179] /*v[434:435]*/, v[96:97], v[182:183] /*v[438:439]*/ neg_lo:[0,0,1] neg_hi:[0,0,1]
	s_set_vgpr_msb 0x44                     ;  msbs: dst=1 src0=0 src1=1 src2=0
	v_mul_i32_i24_e32 v182 /*v438*/, v69, v66 /*v322*/
	v_mul_i32_i24_e32 v183 /*v439*/, v70, v67 /*v323*/
	s_set_vgpr_msb 4                        ;  msbs: dst=0 src0=0 src1=1 src2=0
	v_pk_add_f32 v[38:39], v[38:39], v[178:179] /*v[434:435]*/
	s_set_vgpr_msb 0x44                     ;  msbs: dst=1 src0=0 src1=1 src2=0
	v_mul_i32_i24_e32 v178 /*v434*/, v62, v61 /*v317*/
	v_mul_i32_i24_e32 v179 /*v435*/, v66, v64 /*v320*/
	s_set_vgpr_msb 16                       ;  msbs: dst=0 src0=0 src1=0 src2=1
	s_delay_alu instid0(VALU_DEP_2)
	v_add3_u32 v3, v3, v8, v178 /*v434*/
	s_set_vgpr_msb 4                        ;  msbs: dst=0 src0=0 src1=1 src2=0
	v_mul_i32_i24_e32 v8, v64, v62 /*v318*/
	s_set_vgpr_msb 0x44                     ;  msbs: dst=1 src0=0 src1=1 src2=0
	v_mul_i32_i24_e32 v178 /*v434*/, v65, v63 /*v319*/
	s_set_vgpr_msb 16                       ;  msbs: dst=0 src0=0 src1=0 src2=1
	s_delay_alu instid0(VALU_DEP_1)
	v_add3_u32 v3, v3, v8, v178 /*v434*/
	s_set_vgpr_msb 4                        ;  msbs: dst=0 src0=0 src1=1 src2=0
	v_mul_i32_i24_e32 v8, v161, v88 /*v344*/
	s_set_vgpr_msb 0x44                     ;  msbs: dst=1 src0=0 src1=1 src2=0
	v_mul_i32_i24_e32 v178 /*v434*/, v163, v85 /*v341*/
	s_set_vgpr_msb 20                       ;  msbs: dst=0 src0=0 src1=1 src2=1
	v_add3_u32 v3, v3, v179 /*v435*/, v181 /*v437*/
	s_set_vgpr_msb 0x45                     ;  msbs: dst=1 src0=1 src1=1 src2=0
	v_mul_i32_i24_e32 v179 /*v435*/, v200 /*v456*/, v91 /*v347*/
	s_set_vgpr_msb 4                        ;  msbs: dst=0 src0=0 src1=1 src2=0
	v_mad_i32_i24 v8, v162, v87 /*v343*/, v8
	s_set_vgpr_msb 0x45                     ;  msbs: dst=1 src0=1 src1=1 src2=0
	v_mul_i32_i24_e32 v181 /*v437*/, v203 /*v459*/, v89 /*v345*/
	s_set_vgpr_msb 20                       ;  msbs: dst=0 src0=0 src1=1 src2=1
	v_add3_u32 v3, v3, v182 /*v438*/, v183 /*v439*/
	s_set_vgpr_msb 0x45                     ;  msbs: dst=1 src0=1 src1=1 src2=0
	v_mul_i32_i24_e32 v182 /*v438*/, v204 /*v460*/, v96 /*v352*/
	s_set_vgpr_msb 20                       ;  msbs: dst=0 src0=0 src1=1 src2=1
	v_add3_u32 v8, v8, v178 /*v434*/, v179 /*v435*/
	s_set_vgpr_msb 0x45                     ;  msbs: dst=1 src0=1 src1=1 src2=0
	v_mul_i32_i24_e32 v178 /*v434*/, v201 /*v457*/, v93 /*v349*/
	v_mul_i32_i24_e32 v179 /*v435*/, v202 /*v458*/, v94 /*v350*/
	s_set_vgpr_msb 20                       ;  msbs: dst=0 src0=0 src1=1 src2=1
	v_add3_u32 v3, v3, v186 /*v442*/, v187 /*v443*/
	s_set_vgpr_msb 0x45                     ;  msbs: dst=1 src0=1 src1=1 src2=0
	v_mul_i32_i24_e32 v183 /*v439*/, v205 /*v461*/, v97 /*v353*/
	v_mul_i32_i24_e32 v186 /*v442*/, v206 /*v462*/, v98 /*v354*/
	;; [unrolled: 1-line block ×3, first 2 shown]
	s_set_vgpr_msb 20                       ;  msbs: dst=0 src0=0 src1=1 src2=1
	v_add3_u32 v8, v8, v178 /*v434*/, v179 /*v435*/
	v_add3_u32 v3, v3, v222 /*v478*/, v223 /*v479*/
	s_set_vgpr_msb 0x45                     ;  msbs: dst=1 src0=1 src1=1 src2=0
	v_mul_i32_i24_e32 v222 /*v478*/, v194 /*v450*/, v100 /*v356*/
	v_mul_i32_i24_e32 v223 /*v479*/, v208 /*v464*/, v101 /*v357*/
	s_set_vgpr_msb 0x44                     ;  msbs: dst=1 src0=0 src1=1 src2=0
	v_mul_i32_i24_e32 v179 /*v435*/, v160, v57 /*v313*/
	s_set_vgpr_msb 20                       ;  msbs: dst=0 src0=0 src1=1 src2=1
	v_add3_u32 v8, v8, v181 /*v437*/, v182 /*v438*/
	v_add3_u32 v3, v3, v227 /*v483*/, v228 /*v484*/
	s_set_vgpr_msb 0x45                     ;  msbs: dst=1 src0=1 src1=1 src2=0
	v_mul_i32_i24_e32 v227 /*v483*/, v209 /*v465*/, v102 /*v358*/
	v_mul_i32_i24_e32 v228 /*v484*/, v210 /*v466*/, v99 /*v355*/
	;; [unrolled: 1-line block ×3, first 2 shown]
	s_set_vgpr_msb 20                       ;  msbs: dst=0 src0=0 src1=1 src2=1
	v_add3_u32 v8, v8, v183 /*v439*/, v186 /*v442*/
	v_add3_u32 v3, v3, v229 /*v485*/, v230 /*v486*/
	s_set_vgpr_msb 0x45                     ;  msbs: dst=1 src0=1 src1=1 src2=0
	v_mul_i32_i24_e32 v229 /*v485*/, v195 /*v451*/, v103 /*v359*/
	v_mul_i32_i24_e32 v230 /*v486*/, v104 /*v360*/, v211 /*v467*/
	s_set_vgpr_msb 0x44                     ;  msbs: dst=1 src0=0 src1=1 src2=0
	v_mul_i32_i24_e32 v178 /*v434*/, v4, v57 /*v313*/
	s_set_vgpr_msb 20                       ;  msbs: dst=0 src0=0 src1=1 src2=1
	v_add3_u32 v8, v8, v187 /*v443*/, v222 /*v478*/
	v_add3_u32 v3, v3, v231 /*v487*/, v232 /*v488*/
	s_set_vgpr_msb 0x45                     ;  msbs: dst=1 src0=1 src1=1 src2=0
	v_mul_i32_i24_e32 v231 /*v487*/, v105 /*v361*/, v212 /*v468*/
	v_mul_i32_i24_e32 v232 /*v488*/, v107 /*v363*/, v213 /*v469*/
	s_set_vgpr_msb 0x41                     ;  msbs: dst=1 src0=1 src1=0 src2=0
	v_mul_i32_i24_e32 v181 /*v437*/, v56 /*v312*/, v7
	s_set_vgpr_msb 20                       ;  msbs: dst=0 src0=0 src1=1 src2=1
	v_add3_u32 v8, v8, v223 /*v479*/, v227 /*v483*/
	v_add3_u32 v3, v3, v233 /*v489*/, v234 /*v490*/
	s_set_vgpr_msb 0x45                     ;  msbs: dst=1 src0=1 src1=1 src2=0
	v_mul_i32_i24_e32 v233 /*v489*/, v106 /*v362*/, v196 /*v452*/
	v_mul_i32_i24_e32 v234 /*v490*/, v108 /*v364*/, v214 /*v470*/
	s_set_vgpr_msb 20                       ;  msbs: dst=0 src0=0 src1=1 src2=1
	v_add3_u32 v14, v14, v178 /*v434*/, v181 /*v437*/
	v_add3_u32 v8, v8, v228 /*v484*/, v229 /*v485*/
	;; [unrolled: 1-line block ×3, first 2 shown]
	s_set_vgpr_msb 0x45                     ;  msbs: dst=1 src0=1 src1=1 src2=0
	v_mul_i32_i24_e32 v235 /*v491*/, v109 /*v365*/, v215 /*v471*/
	v_mul_i32_i24_e32 v236 /*v492*/, v111 /*v367*/, v216 /*v472*/
	s_set_vgpr_msb 0x44                     ;  msbs: dst=1 src0=0 src1=1 src2=0
	v_mul_i32_i24_e32 v181 /*v437*/, v173, v225 /*v481*/
	s_set_vgpr_msb 20                       ;  msbs: dst=0 src0=0 src1=1 src2=1
	v_add3_u32 v8, v8, v230 /*v486*/, v231 /*v487*/
	v_add3_u32 v3, v3, v237 /*v493*/, v238 /*v494*/
	s_set_vgpr_msb 0x45                     ;  msbs: dst=1 src0=1 src1=1 src2=0
	v_mul_i32_i24_e32 v237 /*v493*/, v110 /*v366*/, v197 /*v453*/
	v_mul_i32_i24_e32 v238 /*v494*/, v112 /*v368*/, v217 /*v473*/
	s_set_vgpr_msb 0x44                     ;  msbs: dst=1 src0=0 src1=1 src2=0
	v_mul_i32_i24_e32 v183 /*v439*/, v121, v226 /*v482*/
	s_set_vgpr_msb 20                       ;  msbs: dst=0 src0=0 src1=1 src2=1
	v_add3_u32 v8, v8, v232 /*v488*/, v233 /*v489*/
	v_add3_u32 v3, v3, v239 /*v495*/, v240 /*v496*/
	;; [unrolled: 8-line block ×3, first 2 shown]
	v_mul_lo_u32 v14, v14, v55 /*v311*/
	s_set_vgpr_msb 0x44                     ;  msbs: dst=1 src0=0 src1=1 src2=0
	v_mul_i32_i24_e32 v187 /*v443*/, v91, v5 /*v261*/
	v_mul_i32_i24_e32 v222 /*v478*/, v93, v6 /*v262*/
	s_set_vgpr_msb 20                       ;  msbs: dst=0 src0=0 src1=1 src2=1
	v_add3_u32 v8, v8, v236 /*v492*/, v237 /*v493*/
	v_add3_u32 v3, v3, v179 /*v435*/, v182 /*v438*/
	s_set_vgpr_msb 64                       ;  msbs: dst=1 src0=0 src1=0 src2=0
	v_mul_i32_i24_e32 v182 /*v438*/, v173, v41
	s_set_vgpr_msb 0x44                     ;  msbs: dst=1 src0=0 src1=1 src2=0
	v_pk_fma_f32 v[178:179] /*v[434:435]*/, v[126:127], v[190:191] /*v[446:447]*/, 0 op_sel_hi:[0,1,0]
	s_set_vgpr_msb 0x41                     ;  msbs: dst=1 src0=1 src1=0 src2=0
	v_mul_i32_i24_e32 v223 /*v479*/, v8 /*v264*/, v148
	s_set_vgpr_msb 20                       ;  msbs: dst=0 src0=0 src1=1 src2=1
	v_add3_u32 v8, v8, v238 /*v494*/, v239 /*v495*/
	v_mul_lo_u32 v3, v3, v55 /*v311*/
	s_set_vgpr_msb 0x41                     ;  msbs: dst=1 src0=1 src1=0 src2=0
	v_mul_i32_i24_e32 v227 /*v483*/, v7 /*v263*/, v149
	s_set_vgpr_msb 0                        ;  msbs: dst=0 src0=0 src1=0 src2=0
	v_cvt_f32_i32_e32 v14, v14
	s_set_vgpr_msb 0x41                     ;  msbs: dst=1 src0=1 src1=0 src2=0
	v_mul_i32_i24_e32 v228 /*v484*/, v10 /*v266*/, v150
	s_set_vgpr_msb 20                       ;  msbs: dst=0 src0=0 src1=1 src2=1
	v_add3_u32 v8, v8, v240 /*v496*/, v243 /*v499*/
	s_set_vgpr_msb 0x41                     ;  msbs: dst=1 src0=1 src1=0 src2=0
	v_mul_i32_i24_e32 v229 /*v485*/, v9 /*v265*/, v151
	v_mul_i32_i24_e32 v230 /*v486*/, v12 /*v268*/, v152
	;; [unrolled: 1-line block ×6, first 2 shown]
	s_set_vgpr_msb 0                        ;  msbs: dst=0 src0=0 src1=0 src2=0
	v_cvt_f32_i32_e32 v15, v3
	s_set_vgpr_msb 1                        ;  msbs: dst=0 src0=1 src1=0 src2=0
	v_mul_i32_i24_e32 v3, v221 /*v477*/, v174
	s_set_vgpr_msb 0x41                     ;  msbs: dst=1 src0=1 src1=0 src2=0
	v_mul_i32_i24_e32 v235 /*v491*/, v15 /*v271*/, v157
	s_set_vgpr_msb 0x44                     ;  msbs: dst=1 src0=0 src1=1 src2=0
	v_mul_i32_i24_e32 v236 /*v492*/, v158, v21 /*v277*/
	v_mul_i32_i24_e32 v237 /*v493*/, v159, v23 /*v279*/
	s_set_vgpr_msb 1                        ;  msbs: dst=0 src0=1 src1=0 src2=0
	v_pk_fma_f32 v[14:15], v[188:189] /*v[444:445]*/, v[14:15], 0 op_sel_hi:[1,1,0]
	s_set_vgpr_msb 4                        ;  msbs: dst=0 src0=0 src1=1 src2=0
	v_add3_u32 v3, v8, v244 /*v500*/, v3
	s_set_vgpr_msb 21                       ;  msbs: dst=0 src0=1 src1=1 src2=1
	v_add3_u32 v8, v176 /*v432*/, v181 /*v437*/, v183 /*v439*/
	s_set_vgpr_msb 0x44                     ;  msbs: dst=1 src0=0 src1=1 src2=0
	v_mul_i32_i24_e32 v181 /*v437*/, v76, v1 /*v257*/
	v_mul_i32_i24_e32 v183 /*v439*/, v80, v3 /*v259*/
	s_set_vgpr_msb 0x45                     ;  msbs: dst=1 src0=1 src1=1 src2=0
	v_mul_i32_i24_e32 v238 /*v494*/, v45 /*v301*/, v198 /*v454*/
	s_set_vgpr_msb 20                       ;  msbs: dst=0 src0=0 src1=1 src2=1
	v_add3_u32 v3, v3, v182 /*v438*/, v186 /*v442*/
	s_set_vgpr_msb 0                        ;  msbs: dst=0 src0=0 src1=0 src2=0
	v_mul_lo_u32 v8, v8, v175
	s_set_vgpr_msb 0x44                     ;  msbs: dst=1 src0=0 src1=1 src2=0
	v_mul_i32_i24_e32 v182 /*v438*/, v78, v2 /*v258*/
	v_mul_i32_i24_e32 v186 /*v442*/, v82, v4 /*v260*/
	s_set_vgpr_msb 0x45                     ;  msbs: dst=1 src0=1 src1=1 src2=0
	v_mul_i32_i24_e32 v239 /*v495*/, v220 /*v476*/, v47 /*v303*/
	s_set_vgpr_msb 0                        ;  msbs: dst=0 src0=0 src1=0 src2=0
	v_mul_lo_u32 v3, v3, v175
	v_mul_i32_i24_e32 v76, v208, v154
	s_set_vgpr_msb 64                       ;  msbs: dst=1 src0=0 src1=0 src2=0
	v_cvt_f32_i32_e32 v176 /*v432*/, v8
	s_set_vgpr_msb 0                        ;  msbs: dst=0 src0=0 src1=0 src2=0
	v_mul_i32_i24_e32 v8, v61, v247
	s_set_vgpr_msb 64                       ;  msbs: dst=1 src0=0 src1=0 src2=0
	s_delay_alu instid0(VALU_DEP_4) | instskip(SKIP_3) | instid1(VALU_DEP_2)
	v_cvt_f32_i32_e32 v177 /*v433*/, v3
	s_set_vgpr_msb 0                        ;  msbs: dst=0 src0=0 src1=0 src2=0
	v_mul_i32_i24_e32 v3, v58, v246
	s_set_vgpr_msb 5                        ;  msbs: dst=0 src0=1 src1=1 src2=0
	v_pk_fma_f32 v[14:15], v[192:193] /*v[448:449]*/, v[176:177] /*v[432:433]*/, v[14:15]
	s_set_vgpr_msb 0x54                     ;  msbs: dst=1 src0=0 src1=1 src2=1
	v_pk_fma_f32 v[176:177] /*v[432:433]*/, v[120:121], v[184:185] /*v[440:441]*/, v[178:179] /*v[434:435]*/ op_sel_hi:[0,1,1]
	s_set_vgpr_msb 0                        ;  msbs: dst=0 src0=0 src1=0 src2=0
	v_mad_i32_i24 v3, v60, v245, v3
	s_set_vgpr_msb 64                       ;  msbs: dst=1 src0=0 src1=0 src2=0
	v_mul_i32_i24_e32 v178 /*v434*/, v70, v254
	v_mul_i32_i24_e32 v179 /*v435*/, v72, v255
	s_set_vgpr_msb 0x41                     ;  msbs: dst=1 src0=1 src1=0 src2=0
	v_pk_mul_f32 v[176:177] /*v[432:433]*/, v[176:177] /*v[432:433]*/, v[106:107]
	s_set_vgpr_msb 16                       ;  msbs: dst=0 src0=0 src1=0 src2=1
	s_delay_alu instid0(VALU_DEP_1)
	v_pk_fma_f32 v[14:15], v[14:15], v[98:99], v[176:177] /*v[432:433]*/ neg_lo:[0,0,1] neg_hi:[0,0,1]
	s_set_vgpr_msb 64                       ;  msbs: dst=1 src0=0 src1=0 src2=0
	v_mul_i32_i24_e32 v176 /*v432*/, v68, v252
	v_mul_i32_i24_e32 v177 /*v433*/, v69, v253
	s_set_vgpr_msb 0                        ;  msbs: dst=0 src0=0 src1=0 src2=0
	v_pk_add_f32 v[36:37], v[36:37], v[14:15]
	v_mul_i32_i24_e32 v14, v62, v248
	v_mul_i32_i24_e32 v15, v66, v251
	s_delay_alu instid0(VALU_DEP_2) | instskip(SKIP_2) | instid1(VALU_DEP_1)
	v_add3_u32 v3, v3, v8, v14
	v_mul_i32_i24_e32 v8, v64, v249
	v_mul_i32_i24_e32 v14, v65, v250
	v_add3_u32 v3, v3, v8, v14
	s_set_vgpr_msb 4                        ;  msbs: dst=0 src0=0 src1=1 src2=0
	v_mul_i32_i24_e32 v8, v161, v19 /*v275*/
	v_mul_i32_i24_e32 v14, v163, v16 /*v272*/
	s_set_vgpr_msb 16                       ;  msbs: dst=0 src0=0 src1=0 src2=1
	v_add3_u32 v3, v3, v15, v176 /*v432*/
	s_set_vgpr_msb 5                        ;  msbs: dst=0 src0=1 src1=1 src2=0
	v_mul_i32_i24_e32 v15, v200 /*v456*/, v22 /*v278*/
	s_set_vgpr_msb 4                        ;  msbs: dst=0 src0=0 src1=1 src2=0
	v_mad_i32_i24 v8, v162, v18 /*v274*/, v8
	s_set_vgpr_msb 0x45                     ;  msbs: dst=1 src0=1 src1=1 src2=0
	v_mul_i32_i24_e32 v176 /*v432*/, v203 /*v459*/, v20 /*v276*/
	s_set_vgpr_msb 20                       ;  msbs: dst=0 src0=0 src1=1 src2=1
	v_add3_u32 v3, v3, v177 /*v433*/, v178 /*v434*/
	s_set_vgpr_msb 0x45                     ;  msbs: dst=1 src0=1 src1=1 src2=0
	v_mul_i32_i24_e32 v177 /*v433*/, v204 /*v460*/, v27 /*v283*/
	s_set_vgpr_msb 0                        ;  msbs: dst=0 src0=0 src1=0 src2=0
	v_add3_u32 v8, v8, v14, v15
	s_set_vgpr_msb 5                        ;  msbs: dst=0 src0=1 src1=1 src2=0
	v_mul_i32_i24_e32 v14, v201 /*v457*/, v24 /*v280*/
	v_mul_i32_i24_e32 v15, v202 /*v458*/, v25 /*v281*/
	s_set_vgpr_msb 20                       ;  msbs: dst=0 src0=0 src1=1 src2=1
	v_add3_u32 v3, v3, v179 /*v435*/, v180 /*v436*/
	s_set_vgpr_msb 0x45                     ;  msbs: dst=1 src0=1 src1=1 src2=0
	v_mul_i32_i24_e32 v178 /*v434*/, v205 /*v461*/, v28 /*v284*/
	v_mul_i32_i24_e32 v179 /*v435*/, v206 /*v462*/, v29 /*v285*/
	;; [unrolled: 1-line block ×3, first 2 shown]
	s_set_vgpr_msb 0                        ;  msbs: dst=0 src0=0 src1=0 src2=0
	v_add3_u32 v8, v8, v14, v15
	s_set_vgpr_msb 20                       ;  msbs: dst=0 src0=0 src1=1 src2=1
	v_add3_u32 v3, v3, v181 /*v437*/, v182 /*v438*/
	s_set_vgpr_msb 0x45                     ;  msbs: dst=1 src0=1 src1=1 src2=0
	v_mul_i32_i24_e32 v181 /*v437*/, v194 /*v450*/, v31 /*v287*/
	v_mul_i32_i24_e32 v182 /*v438*/, v208 /*v464*/, v32 /*v288*/
	s_set_vgpr_msb 0                        ;  msbs: dst=0 src0=0 src1=0 src2=0
	v_mul_i32_i24_e32 v14, v160, v244
	s_set_vgpr_msb 20                       ;  msbs: dst=0 src0=0 src1=1 src2=1
	v_add3_u32 v8, v8, v176 /*v432*/, v177 /*v433*/
	v_add3_u32 v3, v3, v183 /*v439*/, v186 /*v442*/
	s_set_vgpr_msb 0x45                     ;  msbs: dst=1 src0=1 src1=1 src2=0
	v_mul_i32_i24_e32 v183 /*v439*/, v209 /*v465*/, v33 /*v289*/
	v_mul_i32_i24_e32 v186 /*v442*/, v210 /*v466*/, v30 /*v286*/
	s_set_vgpr_msb 0x44                     ;  msbs: dst=1 src0=0 src1=1 src2=0
	v_mul_i32_i24_e32 v177 /*v433*/, v243, v224 /*v480*/
	s_set_vgpr_msb 20                       ;  msbs: dst=0 src0=0 src1=1 src2=1
	v_add3_u32 v8, v8, v178 /*v434*/, v179 /*v435*/
	v_add3_u32 v3, v3, v187 /*v443*/, v222 /*v478*/
	s_set_vgpr_msb 0x45                     ;  msbs: dst=1 src0=1 src1=1 src2=0
	v_mul_i32_i24_e32 v187 /*v443*/, v195 /*v451*/, v34 /*v290*/
	v_mul_i32_i24_e32 v222 /*v478*/, v35 /*v291*/, v211 /*v467*/
	s_set_vgpr_msb 0                        ;  msbs: dst=0 src0=0 src1=0 src2=0
	v_mul_i32_i24_e32 v15, v243, v7
	s_set_vgpr_msb 20                       ;  msbs: dst=0 src0=0 src1=1 src2=1
	v_add3_u32 v8, v8, v180 /*v436*/, v181 /*v437*/
	v_add3_u32 v3, v3, v223 /*v479*/, v227 /*v483*/
	s_set_vgpr_msb 0x45                     ;  msbs: dst=1 src0=1 src1=1 src2=0
	v_mul_i32_i24_e32 v223 /*v479*/, v36 /*v292*/, v212 /*v468*/
	v_mul_i32_i24_e32 v227 /*v483*/, v38 /*v294*/, v213 /*v469*/
	s_set_vgpr_msb 0x44                     ;  msbs: dst=1 src0=0 src1=1 src2=0
	v_mul_i32_i24_e32 v178 /*v434*/, v113, v226 /*v482*/
	s_set_vgpr_msb 20                       ;  msbs: dst=0 src0=0 src1=1 src2=1
	v_add3_u32 v8, v8, v182 /*v438*/, v183 /*v439*/
	v_add3_u32 v3, v3, v228 /*v484*/, v229 /*v485*/
	s_set_vgpr_msb 0x45                     ;  msbs: dst=1 src0=1 src1=1 src2=0
	v_mul_i32_i24_e32 v228 /*v484*/, v37 /*v293*/, v196 /*v452*/
	v_mul_i32_i24_e32 v229 /*v485*/, v39 /*v295*/, v214 /*v470*/
	s_set_vgpr_msb 0x44                     ;  msbs: dst=1 src0=0 src1=1 src2=0
	v_mul_i32_i24_e32 v179 /*v435*/, v113, v199 /*v455*/
	s_set_vgpr_msb 20                       ;  msbs: dst=0 src0=0 src1=1 src2=1
	v_add3_u32 v8, v8, v186 /*v442*/, v187 /*v443*/
	v_add3_u32 v3, v3, v230 /*v486*/, v231 /*v487*/
	s_set_vgpr_msb 0x45                     ;  msbs: dst=1 src0=1 src1=1 src2=0
	v_mul_i32_i24_e32 v230 /*v486*/, v40 /*v296*/, v215 /*v471*/
	v_mul_i32_i24_e32 v231 /*v487*/, v42 /*v298*/, v216 /*v472*/
	s_set_vgpr_msb 16                       ;  msbs: dst=0 src0=0 src1=0 src2=1
	v_add3_u32 v10, v10, v12, v178 /*v434*/
	s_set_vgpr_msb 20                       ;  msbs: dst=0 src0=0 src1=1 src2=1
	v_add3_u32 v8, v8, v222 /*v478*/, v223 /*v479*/
	v_add3_u32 v3, v3, v232 /*v488*/, v233 /*v489*/
	s_set_vgpr_msb 0x45                     ;  msbs: dst=1 src0=1 src1=1 src2=0
	v_mul_i32_i24_e32 v232 /*v488*/, v41 /*v297*/, v197 /*v453*/
	v_mul_i32_i24_e32 v233 /*v489*/, v43 /*v299*/, v217 /*v473*/
	s_set_vgpr_msb 0                        ;  msbs: dst=0 src0=0 src1=0 src2=0
	v_mul_lo_u32 v10, v10, v119
	s_set_vgpr_msb 20                       ;  msbs: dst=0 src0=0 src1=1 src2=1
	v_add3_u32 v8, v8, v227 /*v483*/, v228 /*v484*/
	v_add3_u32 v3, v3, v234 /*v490*/, v235 /*v491*/
	s_set_vgpr_msb 0x45                     ;  msbs: dst=1 src0=1 src1=1 src2=0
	v_mul_i32_i24_e32 v234 /*v490*/, v44 /*v300*/, v218 /*v474*/
	v_mul_i32_i24_e32 v235 /*v491*/, v46 /*v302*/, v219 /*v475*/
	s_set_vgpr_msb 0                        ;  msbs: dst=0 src0=0 src1=0 src2=0
	v_mul_i32_i24_e32 v7, v181, v7
	s_set_vgpr_msb 20                       ;  msbs: dst=0 src0=0 src1=1 src2=1
	v_add3_u32 v8, v8, v229 /*v485*/, v230 /*v486*/
	v_add3_u32 v3, v3, v236 /*v492*/, v237 /*v493*/
	s_delay_alu instid0(VALU_DEP_2) | instskip(SKIP_1) | instid1(VALU_DEP_2)
	v_add3_u32 v8, v8, v231 /*v487*/, v232 /*v488*/
	s_set_vgpr_msb 16                       ;  msbs: dst=0 src0=0 src1=0 src2=1
	v_add3_u32 v3, v3, v14, v177 /*v433*/
	s_set_vgpr_msb 64                       ;  msbs: dst=1 src0=0 src1=0 src2=0
	v_mul_i32_i24_e32 v177 /*v433*/, v115, v41
	s_set_vgpr_msb 0                        ;  msbs: dst=0 src0=0 src1=0 src2=0
	v_cvt_f32_i32_e32 v12, v10
	v_mul_i32_i24_e32 v10, v66, v189
	s_set_vgpr_msb 20                       ;  msbs: dst=0 src0=0 src1=1 src2=1
	v_add3_u32 v8, v8, v233 /*v489*/, v234 /*v490*/
	s_set_vgpr_msb 0                        ;  msbs: dst=0 src0=0 src1=0 src2=0
	v_mul_lo_u32 v3, v3, v242
	v_mul_i32_i24_e32 v66, v202, v148
	s_set_vgpr_msb 4                        ;  msbs: dst=0 src0=0 src1=1 src2=0
	v_mul_i32_i24_e32 v148, v239, v198 /*v454*/
	s_set_vgpr_msb 0x54                     ;  msbs: dst=1 src0=0 src1=1 src2=1
	v_add3_u32 v176 /*v432*/, v8, v235 /*v491*/, v238 /*v494*/
	s_set_vgpr_msb 0                        ;  msbs: dst=0 src0=0 src1=0 src2=0
	v_mul_i32_i24_e32 v8, v4, v244
	v_mul_i32_i24_e32 v4, v4, v182
	s_delay_alu instid0(VALU_DEP_2)
	v_add3_u32 v8, v9, v8, v15
	v_cvt_f32_i32_e32 v9, v3
	s_set_vgpr_msb 1                        ;  msbs: dst=0 src0=1 src1=0 src2=0
	v_mul_i32_i24_e32 v3, v221 /*v477*/, v117
	s_set_vgpr_msb 4                        ;  msbs: dst=0 src0=0 src1=1 src2=0
	v_pk_fma_f32 v[14:15], v[112:113], v[190:191] /*v[446:447]*/, 0 op_sel_hi:[0,1,0]
	s_set_vgpr_msb 0                        ;  msbs: dst=0 src0=0 src1=0 src2=0
	v_add3_u32 v1, v1, v4, v7
	v_mul_lo_u32 v8, v8, v242
	s_set_vgpr_msb 4                        ;  msbs: dst=0 src0=0 src1=1 src2=0
	v_mul_i32_i24_e32 v7, v177, v225 /*v481*/
	s_set_vgpr_msb 5                        ;  msbs: dst=0 src0=1 src1=1 src2=0
	v_add3_u32 v3, v176 /*v432*/, v239 /*v495*/, v3
	s_set_vgpr_msb 4                        ;  msbs: dst=0 src0=0 src1=1 src2=0
	v_pk_fma_f32 v[4:5], v[118:119], v[190:191] /*v[446:447]*/, 0 op_sel_hi:[0,1,0]
	s_set_vgpr_msb 0                        ;  msbs: dst=0 src0=0 src1=0 src2=0
	v_mul_lo_u32 v1, v1, v180
	s_set_vgpr_msb 20                       ;  msbs: dst=0 src0=0 src1=1 src2=1
	v_add3_u32 v3, v3, v177 /*v433*/, v179 /*v435*/
	v_cvt_f32_i32_e32 v8, v8
	s_set_vgpr_msb 0                        ;  msbs: dst=0 src0=0 src1=0 src2=0
	s_delay_alu instid0(VALU_DEP_2) | instskip(SKIP_1) | instid1(VALU_DEP_2)
	v_mul_lo_u32 v3, v3, v119
	s_set_vgpr_msb 1                        ;  msbs: dst=0 src0=1 src1=0 src2=0
	v_pk_fma_f32 v[8:9], v[188:189] /*v[444:445]*/, v[8:9], 0 op_sel_hi:[1,1,0]
	s_set_vgpr_msb 0                        ;  msbs: dst=0 src0=0 src1=0 src2=0
	s_delay_alu instid0(VALU_DEP_2)
	v_cvt_f32_i32_e32 v13, v3
	v_mul_i32_i24_e32 v3, v58, v184
	v_mul_i32_i24_e32 v58, v74, v194
	;; [unrolled: 1-line block ×3, first 2 shown]
	s_set_vgpr_msb 1                        ;  msbs: dst=0 src0=1 src1=0 src2=0
	v_pk_fma_f32 v[8:9], v[192:193] /*v[448:449]*/, v[12:13], v[8:9]
	s_set_vgpr_msb 4                        ;  msbs: dst=0 src0=0 src1=1 src2=0
	v_pk_fma_f32 v[12:13], v[114:115], v[184:185] /*v[440:441]*/, v[14:15] op_sel_hi:[0,1,1]
	s_set_vgpr_msb 0                        ;  msbs: dst=0 src0=0 src1=0 src2=0
	v_mad_i32_i24 v3, v60, v183, v3
	v_mul_i32_i24_e32 v14, v70, v192
	v_mul_i32_i24_e32 v15, v72, v193
	v_mul_i32_i24_e32 v60, v78, v196
	v_pk_mul_f32 v[12:13], v[12:13], v[108:109]
	v_mul_i32_i24_e32 v70, v203, v151
	v_mul_i32_i24_e32 v72, v206, v152
	;; [unrolled: 1-line block ×3, first 2 shown]
	s_delay_alu instid0(VALU_DEP_4)
	v_pk_fma_f32 v[8:9], v[8:9], v[100:101], v[12:13] neg_lo:[0,0,1] neg_hi:[0,0,1]
	v_mul_i32_i24_e32 v12, v68, v190
	v_mul_i32_i24_e32 v13, v69, v191
	v_mul_i32_i24_e32 v68, v201, v149
	v_mul_i32_i24_e32 v69, v204, v150
	v_pk_add_f32 v[34:35], v[34:35], v[8:9]
	v_mul_i32_i24_e32 v8, v61, v185
	v_mul_i32_i24_e32 v9, v62, v186
	;; [unrolled: 1-line block ×6, first 2 shown]
	v_add3_u32 v3, v3, v8, v9
	v_mul_i32_i24_e32 v8, v64, v187
	v_mul_i32_i24_e32 v9, v65, v188
	;; [unrolled: 1-line block ×6, first 2 shown]
	v_add3_u32 v3, v3, v8, v9
	v_mul_i32_i24_e32 v8, v161, v213
	v_mul_i32_i24_e32 v9, v163, v210
	s_set_vgpr_msb 1                        ;  msbs: dst=0 src0=1 src1=0 src2=0
	v_mul_i32_i24_e32 v149, v220 /*v476*/, v241
	s_set_vgpr_msb 0                        ;  msbs: dst=0 src0=0 src1=0 src2=0
	v_add3_u32 v3, v3, v10, v12
	s_set_vgpr_msb 1                        ;  msbs: dst=0 src0=1 src1=0 src2=0
	v_mul_i32_i24_e32 v10, v200 /*v456*/, v216
	s_set_vgpr_msb 0                        ;  msbs: dst=0 src0=0 src1=0 src2=0
	v_mad_i32_i24 v8, v162, v212, v8
	s_set_vgpr_msb 1                        ;  msbs: dst=0 src0=1 src1=0 src2=0
	v_mul_i32_i24_e32 v12, v203 /*v459*/, v214
	s_set_vgpr_msb 0                        ;  msbs: dst=0 src0=0 src1=0 src2=0
	v_add3_u32 v3, v3, v13, v14
	s_set_vgpr_msb 1                        ;  msbs: dst=0 src0=1 src1=0 src2=0
	v_mul_i32_i24_e32 v13, v204 /*v460*/, v221
	s_set_vgpr_msb 0                        ;  msbs: dst=0 src0=0 src1=0 src2=0
	v_add3_u32 v8, v8, v9, v10
	s_set_vgpr_msb 1                        ;  msbs: dst=0 src0=1 src1=0 src2=0
	v_mul_i32_i24_e32 v9, v201 /*v457*/, v218
	v_mul_i32_i24_e32 v10, v202 /*v458*/, v219
	s_set_vgpr_msb 0                        ;  msbs: dst=0 src0=0 src1=0 src2=0
	v_add3_u32 v3, v3, v15, v58
	s_set_vgpr_msb 1                        ;  msbs: dst=0 src0=1 src1=0 src2=0
	v_mul_i32_i24_e32 v14, v205 /*v461*/, v222
	v_mul_i32_i24_e32 v15, v206 /*v462*/, v223
	;; [unrolled: 1-line block ×3, first 2 shown]
	s_set_vgpr_msb 0                        ;  msbs: dst=0 src0=0 src1=0 src2=0
	v_add3_u32 v8, v8, v9, v10
	v_add3_u32 v3, v3, v59, v60
	s_set_vgpr_msb 1                        ;  msbs: dst=0 src0=1 src1=0 src2=0
	v_mul_i32_i24_e32 v59, v194 /*v450*/, v225
	v_mul_i32_i24_e32 v60, v208 /*v464*/, v226
	s_set_vgpr_msb 0                        ;  msbs: dst=0 src0=0 src1=0 src2=0
	v_mul_i32_i24_e32 v9, v160, v182
	v_add3_u32 v8, v8, v12, v13
	v_add3_u32 v3, v3, v61, v62
	s_set_vgpr_msb 1                        ;  msbs: dst=0 src0=1 src1=0 src2=0
	v_mul_i32_i24_e32 v61, v209 /*v465*/, v227
	v_mul_i32_i24_e32 v62, v210 /*v466*/, v224
	s_set_vgpr_msb 4                        ;  msbs: dst=0 src0=0 src1=1 src2=0
	v_mul_i32_i24_e32 v10, v181, v224 /*v480*/
	s_set_vgpr_msb 0                        ;  msbs: dst=0 src0=0 src1=0 src2=0
	v_add3_u32 v8, v8, v14, v15
	v_add3_u32 v3, v3, v64, v65
	s_set_vgpr_msb 1                        ;  msbs: dst=0 src0=1 src1=0 src2=0
	v_mul_i32_i24_e32 v64, v195 /*v451*/, v228
	s_set_vgpr_msb 4                        ;  msbs: dst=0 src0=0 src1=1 src2=0
	v_mul_i32_i24_e32 v65, v229, v211 /*v467*/
	v_mul_i32_i24_e32 v12, v176, v199 /*v455*/
	s_set_vgpr_msb 0                        ;  msbs: dst=0 src0=0 src1=0 src2=0
	v_add3_u32 v8, v8, v58, v59
	v_add3_u32 v3, v3, v66, v68
	s_set_vgpr_msb 4                        ;  msbs: dst=0 src0=0 src1=1 src2=0
	v_mul_i32_i24_e32 v66, v230, v212 /*v468*/
	v_mul_i32_i24_e32 v68, v232, v213 /*v469*/
	s_set_vgpr_msb 0                        ;  msbs: dst=0 src0=0 src1=0 src2=0
	v_add3_u32 v8, v8, v60, v61
	v_add3_u32 v3, v3, v69, v70
	;; [unrolled: 6-line block ×6, first 2 shown]
	s_delay_alu instid0(VALU_DEP_2) | instskip(NEXT) | instid1(VALU_DEP_2)
	v_add3_u32 v8, v8, v74, v76
	v_add3_u32 v2, v2, v9, v10
	v_mul_i32_i24_e32 v9, v177, v41
	s_set_vgpr_msb 4                        ;  msbs: dst=0 src0=0 src1=1 src2=0
	v_mul_i32_i24_e32 v10, v176, v226 /*v482*/
	s_set_vgpr_msb 0                        ;  msbs: dst=0 src0=0 src1=0 src2=0
	v_add3_u32 v8, v8, v78, v80
	v_mul_lo_u32 v2, v2, v180
	s_delay_alu instid0(VALU_DEP_3) | instskip(NEXT) | instid1(VALU_DEP_3)
	v_add3_u32 v0, v0, v7, v10
	v_add3_u32 v8, v8, v82, v148
	s_delay_alu instid0(VALU_DEP_2) | instskip(NEXT) | instid1(VALU_DEP_4)
	v_mul_lo_u32 v0, v0, v179
	v_cvt_f32_i32_e32 v3, v2
	v_cvt_f32_i32_e32 v2, v1
	s_set_vgpr_msb 1                        ;  msbs: dst=0 src0=1 src1=0 src2=0
	v_mul_i32_i24_e32 v1, v221 /*v477*/, v178
	s_delay_alu instid0(VALU_DEP_2) | instskip(SKIP_1) | instid1(VALU_DEP_2)
	v_pk_fma_f32 v[2:3], v[188:189] /*v[444:445]*/, v[2:3], 0 op_sel_hi:[1,1,0]
	s_set_vgpr_msb 0                        ;  msbs: dst=0 src0=0 src1=0 src2=0
	v_add3_u32 v1, v8, v149, v1
	v_cvt_f32_i32_e32 v0, v0
	s_delay_alu instid0(VALU_DEP_2) | instskip(NEXT) | instid1(VALU_DEP_1)
	v_add3_u32 v1, v1, v9, v12
	v_mul_lo_u32 v1, v1, v179
	s_delay_alu instid0(VALU_DEP_1) | instskip(SKIP_1) | instid1(VALU_DEP_1)
	v_cvt_f32_i32_e32 v1, v1
	s_set_vgpr_msb 1                        ;  msbs: dst=0 src0=1 src1=0 src2=0
	v_pk_fma_f32 v[0:1], v[192:193] /*v[448:449]*/, v[0:1], v[2:3]
	s_set_vgpr_msb 4                        ;  msbs: dst=0 src0=0 src1=1 src2=0
	v_pk_fma_f32 v[2:3], v[116:117], v[184:185] /*v[440:441]*/, v[4:5] op_sel_hi:[0,1,1]
	s_set_vgpr_msb 0                        ;  msbs: dst=0 src0=0 src1=0 src2=0
	s_delay_alu instid0(VALU_DEP_1) | instskip(NEXT) | instid1(VALU_DEP_1)
	v_pk_mul_f32 v[2:3], v[2:3], v[110:111]
	v_pk_fma_f32 v[0:1], v[0:1], v[102:103], v[2:3] neg_lo:[0,0,1] neg_hi:[0,0,1]
	s_delay_alu instid0(VALU_DEP_1) | instskip(SKIP_1) | instid1(VALU_DEP_1)
	v_pk_add_f32 v[32:33], v[32:33], v[0:1]
	v_or_b32_e32 v0, s5, v140
	v_dual_lshlrev_b32 v1, 2, v0 :: v_dual_lshrrev_b32 v8, 1, v0
	ds_load_b128 v[10:13], v1 offset:16896
	ds_load_b128 v[4:7], v1 offset:16912
	s_set_vgpr_msb 64                       ;  msbs: dst=1 src0=0 src1=0 src2=0
	ds_load_b128 v[176:179] /*v[432:435]*/, v1 offset:16928
	s_set_vgpr_msb 0                        ;  msbs: dst=0 src0=0 src1=0 src2=0
	ds_load_b128 v[0:3], v1 offset:16944
	s_wait_dscnt 0x3
	v_bfe_i32 v41, v10, 0, 8
	v_bfe_i32 v58, v10, 8, 8
	;; [unrolled: 1-line block ×3, first 2 shown]
	v_ashrrev_i32_e32 v61, 24, v10
	s_wait_dscnt 0x0
	s_set_vgpr_msb 64                       ;  msbs: dst=1 src0=0 src1=0 src2=0
	v_bfe_i32 v196 /*v452*/, v1, 0, 8
	v_bfe_i32 v197 /*v453*/, v1, 8, 8
	;; [unrolled: 1-line block ×3, first 2 shown]
	v_dual_ashrrev_i32 v199 /*v455*/, 24, v1 :: v_dual_ashrrev_i32 v203 /*v459*/, 24, v2
	s_set_vgpr_msb 4                        ;  msbs: dst=0 src0=0 src1=1 src2=0
	v_mul_i32_i24_e32 v1, v41, v118 /*v374*/
	v_bfe_i32 v62, v11, 0, 8
	v_bfe_i32 v64, v11, 8, 8
	;; [unrolled: 1-line block ×3, first 2 shown]
	s_set_vgpr_msb 0                        ;  msbs: dst=0 src0=0 src1=0 src2=0
	v_ashrrev_i32_e32 v11, 24, v11
	s_set_vgpr_msb 64                       ;  msbs: dst=1 src0=0 src1=0 src2=0
	v_bfe_i32 v200 /*v456*/, v2, 0, 8
	v_bfe_i32 v201 /*v457*/, v2, 8, 8
	;; [unrolled: 1-line block ×3, first 2 shown]
	s_set_vgpr_msb 4                        ;  msbs: dst=0 src0=0 src1=1 src2=0
	v_mul_i32_i24_e32 v2, v60, v119 /*v375*/
	v_mul_i32_i24_e32 v9, v61, v120 /*v376*/
	v_mad_i32_i24 v1, v58, v117 /*v373*/, v1
	v_bfe_i32 v66, v12, 0, 8
	v_bfe_i32 v68, v12, 8, 8
	;; [unrolled: 1-line block ×3, first 2 shown]
	s_set_vgpr_msb 0                        ;  msbs: dst=0 src0=0 src1=0 src2=0
	v_dual_ashrrev_i32 v70, 24, v12 :: v_dual_ashrrev_i32 v78, 24, v13
	v_add3_u32 v1, v1, v2, v9
	s_set_vgpr_msb 4                        ;  msbs: dst=0 src0=0 src1=1 src2=0
	v_mul_i32_i24_e32 v2, v62, v121 /*v377*/
	v_mul_i32_i24_e32 v9, v64, v122 /*v378*/
	;; [unrolled: 1-line block ×4, first 2 shown]
	v_bfe_i32 v72, v13, 0, 8
	v_bfe_i32 v74, v13, 8, 8
	s_set_vgpr_msb 0                        ;  msbs: dst=0 src0=0 src1=0 src2=0
	v_add3_u32 v1, v1, v2, v9
	v_bfe_i32 v76, v13, 16, 8
	s_set_vgpr_msb 4                        ;  msbs: dst=0 src0=0 src1=1 src2=0
	v_mul_i32_i24_e32 v13, v66, v125 /*v381*/
	v_mul_i32_i24_e32 v14, v68, v126 /*v382*/
	v_mul_i32_i24_e32 v15, v69, v127 /*v383*/
	s_set_vgpr_msb 0                        ;  msbs: dst=0 src0=0 src1=0 src2=0
	v_add3_u32 v1, v1, v10, v12
	s_set_vgpr_msb 4                        ;  msbs: dst=0 src0=0 src1=1 src2=0
	v_mul_i32_i24_e32 v59, v70, v128 /*v384*/
	s_set_vgpr_msb 1                        ;  msbs: dst=0 src0=1 src1=0 src2=0
	v_bfe_i32 v156, v176 /*v432*/, 0, 8
	v_bfe_i32 v157, v176 /*v432*/, 8, 8
	;; [unrolled: 1-line block ×3, first 2 shown]
	s_set_vgpr_msb 0                        ;  msbs: dst=0 src0=0 src1=0 src2=0
	v_add3_u32 v1, v1, v13, v14
	s_set_vgpr_msb 4                        ;  msbs: dst=0 src0=0 src1=1 src2=0
	v_ashrrev_i32_e32 v159, 24, v176 /*v432*/
	s_set_vgpr_msb 1                        ;  msbs: dst=0 src0=1 src1=0 src2=0
	v_bfe_i32 v160, v177 /*v433*/, 0, 8
	v_bfe_i32 v161, v177 /*v433*/, 8, 8
	;; [unrolled: 1-line block ×3, first 2 shown]
	s_set_vgpr_msb 4                        ;  msbs: dst=0 src0=0 src1=1 src2=0
	v_ashrrev_i32_e32 v163, 24, v177 /*v433*/
	s_set_vgpr_msb 0x44                     ;  msbs: dst=1 src0=0 src1=1 src2=0
	v_mul_i32_i24_e32 v176 /*v432*/, v72, v129 /*v385*/
	v_mul_i32_i24_e32 v177 /*v433*/, v74, v130 /*v386*/
	s_set_vgpr_msb 0                        ;  msbs: dst=0 src0=0 src1=0 src2=0
	v_add3_u32 v1, v1, v15, v59
	v_bfe_i32 v80, v4, 0, 8
	v_bfe_i32 v82, v4, 8, 8
	s_set_vgpr_msb 0x44                     ;  msbs: dst=1 src0=0 src1=1 src2=0
	v_mul_i32_i24_e32 v180 /*v436*/, v76, v131 /*v387*/
	v_mul_i32_i24_e32 v181 /*v437*/, v78, v132 /*v388*/
	s_set_vgpr_msb 20                       ;  msbs: dst=0 src0=0 src1=1 src2=1
	v_add3_u32 v1, v1, v176 /*v432*/, v177 /*v433*/
	v_bfe_i32 v91, v4, 16, 8
	s_set_vgpr_msb 0                        ;  msbs: dst=0 src0=0 src1=0 src2=0
	v_ashrrev_i32_e32 v93, 24, v4
	s_set_vgpr_msb 0x44                     ;  msbs: dst=1 src0=0 src1=1 src2=0
	v_mul_i32_i24_e32 v182 /*v438*/, v80, v133 /*v389*/
	v_mul_i32_i24_e32 v183 /*v439*/, v82, v134 /*v390*/
	s_set_vgpr_msb 20                       ;  msbs: dst=0 src0=0 src1=1 src2=1
	v_add3_u32 v1, v1, v180 /*v436*/, v181 /*v437*/
	v_bfe_i32 v148, v5, 0, 8
	v_bfe_i32 v149, v5, 8, 8
	;; [unrolled: 1-line block ×3, first 2 shown]
	s_set_vgpr_msb 0                        ;  msbs: dst=0 src0=0 src1=0 src2=0
	v_ashrrev_i32_e32 v5, 24, v5
	s_set_vgpr_msb 0x41                     ;  msbs: dst=1 src0=1 src1=0 src2=0
	v_mul_i32_i24_e32 v205 /*v461*/, v136 /*v392*/, v91
	v_mul_i32_i24_e32 v206 /*v462*/, v135 /*v391*/, v93
	s_set_vgpr_msb 20                       ;  msbs: dst=0 src0=0 src1=1 src2=1
	v_add3_u32 v1, v1, v182 /*v438*/, v183 /*v439*/
	s_set_vgpr_msb 0x41                     ;  msbs: dst=1 src0=1 src1=0 src2=0
	v_mul_i32_i24_e32 v207 /*v463*/, v138 /*v394*/, v148
	v_mul_i32_i24_e32 v208 /*v464*/, v137 /*v393*/, v149
	s_set_vgpr_msb 20                       ;  msbs: dst=0 src0=0 src1=1 src2=1
	v_bfe_i32 v151, v6, 0, 8
	v_bfe_i32 v152, v6, 8, 8
	v_add3_u32 v1, v1, v205 /*v461*/, v206 /*v462*/
	s_set_vgpr_msb 0x41                     ;  msbs: dst=1 src0=1 src1=0 src2=0
	v_mul_i32_i24_e32 v209 /*v465*/, v140 /*v396*/, v150
	v_mul_i32_i24_e32 v210 /*v466*/, v139 /*v395*/, v5
	s_set_vgpr_msb 0                        ;  msbs: dst=0 src0=0 src1=0 src2=0
	v_bfe_i32 v153, v6, 16, 8
	v_ashrrev_i32_e32 v6, 24, v6
	s_set_vgpr_msb 20                       ;  msbs: dst=0 src0=0 src1=1 src2=1
	v_add3_u32 v1, v1, v207 /*v463*/, v208 /*v464*/
	s_set_vgpr_msb 0x41                     ;  msbs: dst=1 src0=1 src1=0 src2=0
	v_mul_i32_i24_e32 v211 /*v467*/, v148 /*v404*/, v151
	v_mul_i32_i24_e32 v212 /*v468*/, v141 /*v397*/, v152
	;; [unrolled: 1-line block ×4, first 2 shown]
	s_set_vgpr_msb 20                       ;  msbs: dst=0 src0=0 src1=1 src2=1
	v_add3_u32 v1, v1, v209 /*v465*/, v210 /*v466*/
	s_set_vgpr_msb 1                        ;  msbs: dst=0 src0=1 src1=0 src2=0
	v_mul_i32_i24_e32 v2, v156 /*v412*/, v158
	v_mul_i32_i24_e32 v9, v150 /*v406*/, v159
	s_set_vgpr_msb 0x41                     ;  msbs: dst=1 src0=1 src1=0 src2=0
	v_bfe_i32 v184 /*v440*/, v178 /*v434*/, 0, 8
	v_bfe_i32 v185 /*v441*/, v178 /*v434*/, 8, 8
	s_set_vgpr_msb 20                       ;  msbs: dst=0 src0=0 src1=1 src2=1
	v_add3_u32 v1, v1, v211 /*v467*/, v212 /*v468*/
	s_set_vgpr_msb 1                        ;  msbs: dst=0 src0=1 src1=0 src2=0
	v_mul_i32_i24_e32 v10, v158 /*v414*/, v162
	v_mul_i32_i24_e32 v12, v142 /*v398*/, v163
	s_set_vgpr_msb 0x41                     ;  msbs: dst=1 src0=1 src1=0 src2=0
	v_bfe_i32 v186 /*v442*/, v178 /*v434*/, 16, 8
	s_set_vgpr_msb 0x54                     ;  msbs: dst=1 src0=0 src1=1 src2=1
	v_ashrrev_i32_e32 v187 /*v443*/, 24, v178 /*v434*/
	v_add3_u32 v181 /*v437*/, v1, v213 /*v469*/, v214 /*v470*/
	s_set_vgpr_msb 1                        ;  msbs: dst=0 src0=1 src1=0 src2=0
	v_mul_i32_i24_e32 v1, v157 /*v413*/, v156
	s_set_vgpr_msb 5                        ;  msbs: dst=0 src0=1 src1=1 src2=0
	v_mul_i32_i24_e32 v13, v163 /*v419*/, v184 /*v440*/
	v_mul_i32_i24_e32 v14, v162 /*v418*/, v185 /*v441*/
	s_set_vgpr_msb 0x41                     ;  msbs: dst=1 src0=1 src1=0 src2=0
	v_bfe_i32 v188 /*v444*/, v179 /*v435*/, 0, 8
	v_bfe_i32 v189 /*v445*/, v179 /*v435*/, 8, 8
	s_set_vgpr_msb 1                        ;  msbs: dst=0 src0=1 src1=0 src2=0
	v_mad_i32_i24 v1, v155 /*v411*/, v157, v1
	s_set_vgpr_msb 5                        ;  msbs: dst=0 src0=1 src1=1 src2=0
	v_mul_i32_i24_e32 v15, v161 /*v417*/, v186 /*v442*/
	v_mul_i32_i24_e32 v59, v143 /*v399*/, v187 /*v443*/
	s_set_vgpr_msb 0x41                     ;  msbs: dst=1 src0=1 src1=0 src2=0
	v_bfe_i32 v190 /*v446*/, v179 /*v435*/, 16, 8
	s_set_vgpr_msb 0x44                     ;  msbs: dst=1 src0=0 src1=1 src2=0
	v_ashrrev_i32_e32 v191 /*v447*/, 24, v179 /*v435*/
	s_set_vgpr_msb 0                        ;  msbs: dst=0 src0=0 src1=0 src2=0
	v_add3_u32 v1, v1, v2, v9
	s_set_vgpr_msb 1                        ;  msbs: dst=0 src0=1 src1=0 src2=0
	v_mul_i32_i24_e32 v2, v160 /*v416*/, v160
	v_mul_i32_i24_e32 v9, v159 /*v415*/, v161
	s_set_vgpr_msb 0x45                     ;  msbs: dst=1 src0=1 src1=1 src2=0
	v_mul_i32_i24_e32 v176 /*v432*/, v166 /*v422*/, v188 /*v444*/
	v_mul_i32_i24_e32 v177 /*v433*/, v165 /*v421*/, v189 /*v445*/
	s_set_vgpr_msb 64                       ;  msbs: dst=1 src0=0 src1=0 src2=0
	v_bfe_i32 v192 /*v448*/, v0, 0, 8
	v_bfe_i32 v193 /*v449*/, v0, 8, 8
	s_set_vgpr_msb 0                        ;  msbs: dst=0 src0=0 src1=0 src2=0
	v_add3_u32 v1, v1, v2, v9
	s_set_vgpr_msb 0x45                     ;  msbs: dst=1 src0=1 src1=1 src2=0
	v_mul_i32_i24_e32 v180 /*v436*/, v164 /*v420*/, v190 /*v446*/
	v_mul_i32_i24_e32 v183 /*v439*/, v144 /*v400*/, v191 /*v447*/
	s_set_vgpr_msb 64                       ;  msbs: dst=1 src0=0 src1=0 src2=0
	v_bfe_i32 v194 /*v450*/, v0, 16, 8
	v_ashrrev_i32_e32 v195 /*v451*/, 24, v0
	s_set_vgpr_msb 0                        ;  msbs: dst=0 src0=0 src1=0 src2=0
	v_add3_u32 v1, v1, v10, v12
	s_set_vgpr_msb 0x45                     ;  msbs: dst=1 src0=1 src1=1 src2=0
	v_mul_i32_i24_e32 v205 /*v461*/, v169 /*v425*/, v192 /*v448*/
	v_mul_i32_i24_e32 v206 /*v462*/, v168 /*v424*/, v193 /*v449*/
	v_mul_i32_i24_e32 v207 /*v463*/, v167 /*v423*/, v194 /*v450*/
	v_mul_i32_i24_e32 v208 /*v464*/, v145 /*v401*/, v195 /*v451*/
	s_set_vgpr_msb 0                        ;  msbs: dst=0 src0=0 src1=0 src2=0
	v_add3_u32 v1, v1, v13, v14
	s_set_vgpr_msb 0x45                     ;  msbs: dst=1 src0=1 src1=1 src2=0
	v_mul_i32_i24_e32 v209 /*v465*/, v172 /*v428*/, v196 /*v452*/
	v_mul_i32_i24_e32 v210 /*v466*/, v171 /*v427*/, v197 /*v453*/
	v_mul_i32_i24_e32 v211 /*v467*/, v170 /*v426*/, v198 /*v454*/
	v_mul_i32_i24_e32 v212 /*v468*/, v146 /*v402*/, v199 /*v455*/
	;; [unrolled: 7-line block ×3, first 2 shown]
	s_set_vgpr_msb 20                       ;  msbs: dst=0 src0=0 src1=1 src2=1
	v_add3_u32 v1, v1, v176 /*v432*/, v177 /*v433*/
	v_mul_i32_i24_e32 v2, v60, v60 /*v316*/
	v_mul_i32_i24_e32 v9, v61, v61 /*v317*/
	;; [unrolled: 1-line block ×4, first 2 shown]
	v_add3_u32 v1, v1, v180 /*v436*/, v183 /*v439*/
	v_mul_i32_i24_e32 v13, v66, v66 /*v322*/
	v_mul_i32_i24_e32 v59, v68, v67 /*v323*/
	s_set_vgpr_msb 0x44                     ;  msbs: dst=1 src0=0 src1=1 src2=0
	v_mul_i32_i24_e32 v176 /*v432*/, v69, v68 /*v324*/
	v_mul_i32_i24_e32 v177 /*v433*/, v70, v69 /*v325*/
	s_set_vgpr_msb 20                       ;  msbs: dst=0 src0=0 src1=1 src2=1
	v_add3_u32 v1, v1, v205 /*v461*/, v206 /*v462*/
	s_set_vgpr_msb 0x44                     ;  msbs: dst=1 src0=0 src1=1 src2=0
	v_mul_i32_i24_e32 v180 /*v436*/, v72, v70 /*v326*/
	v_mul_i32_i24_e32 v205 /*v461*/, v74, v71 /*v327*/
	v_mul_i32_i24_e32 v206 /*v462*/, v76, v72 /*v328*/
	s_set_vgpr_msb 0x41                     ;  msbs: dst=1 src0=1 src1=0 src2=0
	v_mul_i32_i24_e32 v217 /*v473*/, v82 /*v338*/, v152
	s_set_vgpr_msb 20                       ;  msbs: dst=0 src0=0 src1=1 src2=1
	v_add3_u32 v1, v1, v207 /*v463*/, v208 /*v464*/
	s_set_vgpr_msb 0x44                     ;  msbs: dst=1 src0=0 src1=1 src2=0
	v_mul_i32_i24_e32 v207 /*v463*/, v78, v73 /*v329*/
	v_mul_i32_i24_e32 v208 /*v464*/, v80, v74 /*v330*/
	s_set_vgpr_msb 0x41                     ;  msbs: dst=1 src0=1 src1=0 src2=0
	v_mul_i32_i24_e32 v218 /*v474*/, v86 /*v342*/, v153
	v_mul_i32_i24_e32 v219 /*v475*/, v84 /*v340*/, v6
	s_set_vgpr_msb 20                       ;  msbs: dst=0 src0=0 src1=1 src2=1
	v_add3_u32 v1, v1, v209 /*v465*/, v210 /*v466*/
	s_set_vgpr_msb 0x44                     ;  msbs: dst=1 src0=0 src1=1 src2=0
	v_mul_i32_i24_e32 v209 /*v465*/, v82, v75 /*v331*/
	s_set_vgpr_msb 0x41                     ;  msbs: dst=1 src0=1 src1=0 src2=0
	v_mul_i32_i24_e32 v210 /*v466*/, v77 /*v333*/, v91
	s_set_vgpr_msb 0x45                     ;  msbs: dst=1 src0=1 src1=1 src2=0
	v_mul_i32_i24_e32 v220 /*v476*/, v115 /*v371*/, v202 /*v458*/
	v_mul_i32_i24_e32 v221 /*v477*/, v114 /*v370*/, v203 /*v459*/
	s_set_vgpr_msb 20                       ;  msbs: dst=0 src0=0 src1=1 src2=1
	v_add3_u32 v1, v1, v211 /*v467*/, v212 /*v468*/
	s_set_vgpr_msb 0x41                     ;  msbs: dst=1 src0=1 src1=0 src2=0
	v_mul_i32_i24_e32 v211 /*v467*/, v76 /*v332*/, v93
	v_mul_i32_i24_e32 v212 /*v468*/, v79 /*v335*/, v148
	;; [unrolled: 1-line block ×4, first 2 shown]
	s_set_vgpr_msb 20                       ;  msbs: dst=0 src0=0 src1=1 src2=1
	v_add3_u32 v1, v1, v213 /*v469*/, v214 /*v470*/
	s_set_vgpr_msb 0x41                     ;  msbs: dst=1 src0=1 src1=0 src2=0
	v_mul_i32_i24_e32 v213 /*v469*/, v78 /*v334*/, v149
	v_mul_i32_i24_e32 v214 /*v470*/, v81 /*v337*/, v150
	v_mul_i32_i24_e32 v224 /*v480*/, v15 /*v271*/, v6
	s_set_vgpr_msb 0x45                     ;  msbs: dst=1 src0=1 src1=1 src2=0
	v_mul_i32_i24_e32 v225 /*v481*/, v46 /*v302*/, v202 /*v458*/
	s_set_vgpr_msb 0x54                     ;  msbs: dst=1 src0=0 src1=1 src2=1
	v_add3_u32 v183 /*v439*/, v1, v215 /*v471*/, v216 /*v472*/
	s_set_vgpr_msb 4                        ;  msbs: dst=0 src0=0 src1=1 src2=0
	v_mul_i32_i24_e32 v1, v41, v59 /*v315*/
	s_set_vgpr_msb 0x41                     ;  msbs: dst=1 src0=1 src1=0 src2=0
	v_mul_i32_i24_e32 v215 /*v471*/, v80 /*v336*/, v5
	v_mul_i32_i24_e32 v216 /*v472*/, v83 /*v339*/, v151
	s_set_vgpr_msb 0x45                     ;  msbs: dst=1 src0=1 src1=1 src2=0
	v_mul_i32_i24_e32 v226 /*v482*/, v45 /*v301*/, v203 /*v459*/
	s_set_vgpr_msb 0                        ;  msbs: dst=0 src0=0 src1=0 src2=0
	v_mul_i32_i24_e32 v6, v209, v6
	s_set_vgpr_msb 4                        ;  msbs: dst=0 src0=0 src1=1 src2=0
	v_mad_i32_i24 v1, v58, v58 /*v314*/, v1
	v_bfe_i32 v154, v7, 0, 8
	v_bfe_i32 v155, v7, 8, 8
	s_set_vgpr_msb 64                       ;  msbs: dst=1 src0=0 src1=0 src2=0
	v_bfe_i32 v204 /*v460*/, v3, 0, 8
	s_set_vgpr_msb 0                        ;  msbs: dst=0 src0=0 src1=0 src2=0
	v_bfe_i32 v4, v7, 16, 8
	v_add3_u32 v1, v1, v2, v9
	s_set_vgpr_msb 4                        ;  msbs: dst=0 src0=0 src1=1 src2=0
	v_mul_i32_i24_e32 v2, v62, v62 /*v318*/
	v_mul_i32_i24_e32 v9, v64, v63 /*v319*/
	s_set_vgpr_msb 0x44                     ;  msbs: dst=1 src0=0 src1=1 src2=0
	v_mul_i32_i24_e32 v178 /*v434*/, v154, v153 /*v409*/
	v_mul_i32_i24_e32 v179 /*v435*/, v155, v154 /*v410*/
	s_set_vgpr_msb 4                        ;  msbs: dst=0 src0=0 src1=1 src2=0
	v_mul_i32_i24_e32 v14, v154, v90 /*v346*/
	v_mul_i32_i24_e32 v15, v155, v92 /*v348*/
	s_set_vgpr_msb 0                        ;  msbs: dst=0 src0=0 src1=0 src2=0
	v_add3_u32 v1, v1, v2, v9
	s_set_vgpr_msb 4                        ;  msbs: dst=0 src0=0 src1=1 src2=0
	v_mul_i32_i24_e32 v2, v158, v85 /*v341*/
	v_mul_i32_i24_e32 v9, v159, v91 /*v347*/
	s_set_vgpr_msb 0x45                     ;  msbs: dst=1 src0=1 src1=1 src2=0
	v_mul_i32_i24_e32 v182 /*v438*/, v204 /*v460*/, v151 /*v407*/
	s_set_vgpr_msb 0                        ;  msbs: dst=0 src0=0 src1=0 src2=0
	v_bfe_i32 v0, v3, 8, 8
	v_add3_u32 v1, v1, v10, v12
	s_set_vgpr_msb 4                        ;  msbs: dst=0 src0=0 src1=1 src2=0
	v_mul_i32_i24_e32 v10, v162, v89 /*v345*/
	v_mul_i32_i24_e32 v12, v163, v96 /*v352*/
	s_set_vgpr_msb 0                        ;  msbs: dst=0 src0=0 src1=0 src2=0
	v_ashrrev_i32_e32 v7, 24, v7
	s_set_vgpr_msb 0x55                     ;  msbs: dst=1 src0=1 src1=1 src2=1
	v_add3_u32 v178 /*v434*/, v181 /*v437*/, v178 /*v434*/, v179 /*v435*/
	s_set_vgpr_msb 0                        ;  msbs: dst=0 src0=0 src1=0 src2=0
	v_add3_u32 v1, v1, v13, v59
	s_set_vgpr_msb 5                        ;  msbs: dst=0 src0=1 src1=1 src2=0
	v_mul_i32_i24_e32 v13, v184 /*v440*/, v97 /*v353*/
	v_mul_i32_i24_e32 v59, v185 /*v441*/, v98 /*v354*/
	s_set_vgpr_msb 20                       ;  msbs: dst=0 src0=0 src1=1 src2=1
	v_add3_u32 v1, v1, v176 /*v432*/, v177 /*v433*/
	s_set_vgpr_msb 0x45                     ;  msbs: dst=1 src0=1 src1=1 src2=0
	v_mul_i32_i24_e32 v177 /*v433*/, v204 /*v460*/, v116 /*v372*/
	s_set_vgpr_msb 20                       ;  msbs: dst=0 src0=0 src1=1 src2=1
	s_delay_alu instid0(VALU_DEP_2)
	v_add3_u32 v1, v1, v180 /*v436*/, v205 /*v461*/
	s_set_vgpr_msb 0x45                     ;  msbs: dst=1 src0=1 src1=1 src2=0
	v_mul_i32_i24_e32 v180 /*v436*/, v186 /*v442*/, v95 /*v351*/
	v_mul_i32_i24_e32 v205 /*v461*/, v187 /*v443*/, v100 /*v356*/
	s_set_vgpr_msb 20                       ;  msbs: dst=0 src0=0 src1=1 src2=1
	v_add3_u32 v1, v1, v206 /*v462*/, v207 /*v463*/
	s_set_vgpr_msb 0x45                     ;  msbs: dst=1 src0=1 src1=1 src2=0
	v_mul_i32_i24_e32 v206 /*v462*/, v188 /*v444*/, v101 /*v357*/
	v_mul_i32_i24_e32 v207 /*v463*/, v189 /*v445*/, v102 /*v358*/
	s_set_vgpr_msb 20                       ;  msbs: dst=0 src0=0 src1=1 src2=1
	;; [unrolled: 5-line block ×6, first 2 shown]
	v_add3_u32 v1, v1, v216 /*v472*/, v217 /*v473*/
	s_set_vgpr_msb 0x45                     ;  msbs: dst=1 src0=1 src1=1 src2=0
	v_mul_i32_i24_e32 v216 /*v472*/, v111 /*v367*/, v198 /*v454*/
	v_mul_i32_i24_e32 v217 /*v473*/, v110 /*v366*/, v199 /*v455*/
	s_set_vgpr_msb 0x54                     ;  msbs: dst=1 src0=0 src1=1 src2=1
	v_add3_u32 v176 /*v432*/, v1, v218 /*v474*/, v219 /*v475*/
	s_set_vgpr_msb 4                        ;  msbs: dst=0 src0=0 src1=1 src2=0
	v_mul_i32_i24_e32 v1, v156, v88 /*v344*/
	s_set_vgpr_msb 0x45                     ;  msbs: dst=1 src0=1 src1=1 src2=0
	v_mul_i32_i24_e32 v218 /*v474*/, v112 /*v368*/, v200 /*v456*/
	v_mul_i32_i24_e32 v219 /*v475*/, v113 /*v369*/, v201 /*v457*/
	s_set_vgpr_msb 1                        ;  msbs: dst=0 src0=1 src1=0 src2=0
	v_add3_u32 v14, v176 /*v432*/, v14, v15
	s_set_vgpr_msb 4                        ;  msbs: dst=0 src0=0 src1=1 src2=0
	v_mad_i32_i24 v1, v157, v87 /*v343*/, v1
	s_set_vgpr_msb 64                       ;  msbs: dst=1 src0=0 src1=0 src2=0
	v_mul_i32_i24_e32 v176 /*v432*/, v0, v174
	s_set_vgpr_msb 0                        ;  msbs: dst=0 src0=0 src1=0 src2=0
	s_delay_alu instid0(VALU_DEP_2) | instskip(SKIP_4) | instid1(VALU_DEP_1)
	v_add3_u32 v1, v1, v2, v9
	s_set_vgpr_msb 4                        ;  msbs: dst=0 src0=0 src1=1 src2=0
	v_mul_i32_i24_e32 v2, v160, v93 /*v349*/
	v_mul_i32_i24_e32 v9, v161, v94 /*v350*/
	s_set_vgpr_msb 0                        ;  msbs: dst=0 src0=0 src1=0 src2=0
	v_add3_u32 v1, v1, v2, v9
	v_mul_i32_i24_e32 v2, v60, v247
	v_mul_i32_i24_e32 v9, v61, v248
	s_delay_alu instid0(VALU_DEP_3)
	v_add3_u32 v1, v1, v10, v12
	v_mul_i32_i24_e32 v12, v64, v250
	s_set_vgpr_msb 4                        ;  msbs: dst=0 src0=0 src1=1 src2=0
	v_mul_i32_i24_e32 v10, v155, v23 /*v279*/
	s_set_vgpr_msb 0                        ;  msbs: dst=0 src0=0 src1=0 src2=0
	v_add3_u32 v1, v1, v13, v59
	v_mul_i32_i24_e32 v13, v65, v251
	v_mul_i32_i24_e32 v59, v11, v252
	;; [unrolled: 1-line block ×3, first 2 shown]
	s_set_vgpr_msb 20                       ;  msbs: dst=0 src0=0 src1=1 src2=1
	v_add3_u32 v1, v1, v180 /*v436*/, v205 /*v461*/
	s_set_vgpr_msb 64                       ;  msbs: dst=1 src0=0 src1=0 src2=0
	v_mul_i32_i24_e32 v205 /*v461*/, v66, v253
	s_set_vgpr_msb 20                       ;  msbs: dst=0 src0=0 src1=1 src2=1
	s_delay_alu instid0(VALU_DEP_2)
	v_add3_u32 v1, v1, v206 /*v462*/, v207 /*v463*/
	s_set_vgpr_msb 64                       ;  msbs: dst=1 src0=0 src1=0 src2=0
	v_mul_i32_i24_e32 v206 /*v462*/, v68, v254
	v_mul_i32_i24_e32 v207 /*v463*/, v69, v255
	s_set_vgpr_msb 20                       ;  msbs: dst=0 src0=0 src1=1 src2=1
	v_add3_u32 v1, v1, v208 /*v464*/, v209 /*v465*/
	s_set_vgpr_msb 0x44                     ;  msbs: dst=1 src0=0 src1=1 src2=0
	v_mul_i32_i24_e32 v208 /*v464*/, v70, v0 /*v256*/
	v_mul_i32_i24_e32 v209 /*v465*/, v72, v1 /*v257*/
	s_set_vgpr_msb 20                       ;  msbs: dst=0 src0=0 src1=1 src2=1
	v_add3_u32 v1, v1, v210 /*v466*/, v211 /*v467*/
	s_set_vgpr_msb 0x44                     ;  msbs: dst=1 src0=0 src1=1 src2=0
	v_mul_i32_i24_e32 v210 /*v466*/, v74, v2 /*v258*/
	v_mul_i32_i24_e32 v211 /*v467*/, v76, v3 /*v259*/
	;; [unrolled: 5-line block ×3, first 2 shown]
	s_set_vgpr_msb 20                       ;  msbs: dst=0 src0=0 src1=1 src2=1
	v_add3_u32 v1, v1, v214 /*v470*/, v215 /*v471*/
	s_set_vgpr_msb 0x44                     ;  msbs: dst=1 src0=0 src1=1 src2=0
	v_mul_i32_i24_e32 v214 /*v470*/, v82, v6 /*v262*/
	s_set_vgpr_msb 0x41                     ;  msbs: dst=1 src0=1 src1=0 src2=0
	v_mul_i32_i24_e32 v215 /*v471*/, v8 /*v264*/, v91
	s_set_vgpr_msb 20                       ;  msbs: dst=0 src0=0 src1=1 src2=1
	v_add3_u32 v1, v1, v216 /*v472*/, v217 /*v473*/
	s_set_vgpr_msb 0x41                     ;  msbs: dst=1 src0=1 src1=0 src2=0
	v_mul_i32_i24_e32 v216 /*v472*/, v7 /*v263*/, v93
	v_mul_i32_i24_e32 v217 /*v473*/, v10 /*v266*/, v148
	s_set_vgpr_msb 20                       ;  msbs: dst=0 src0=0 src1=1 src2=1
	v_add3_u32 v1, v1, v218 /*v474*/, v219 /*v475*/
	s_set_vgpr_msb 0x41                     ;  msbs: dst=1 src0=1 src1=0 src2=0
	v_mul_i32_i24_e32 v218 /*v474*/, v9 /*v265*/, v149
	v_mul_i32_i24_e32 v219 /*v475*/, v12 /*v268*/, v150
	s_set_vgpr_msb 0x54                     ;  msbs: dst=1 src0=0 src1=1 src2=1
	v_add3_u32 v180 /*v436*/, v1, v220 /*v476*/, v221 /*v477*/
	s_set_vgpr_msb 0                        ;  msbs: dst=0 src0=0 src1=0 src2=0
	v_mul_i32_i24_e32 v1, v41, v246
	s_set_vgpr_msb 0x41                     ;  msbs: dst=1 src0=1 src1=0 src2=0
	v_mul_i32_i24_e32 v220 /*v476*/, v11 /*v267*/, v5
	v_mul_i32_i24_e32 v221 /*v477*/, v14 /*v270*/, v151
	s_set_vgpr_msb 0                        ;  msbs: dst=0 src0=0 src1=0 src2=0
	v_mul_i32_i24_e32 v5, v205, v5
	s_set_vgpr_msb 0x55                     ;  msbs: dst=1 src0=1 src1=1 src2=1
	v_add3_u32 v176 /*v432*/, v180 /*v436*/, v177 /*v433*/, v176 /*v432*/
	s_set_vgpr_msb 0                        ;  msbs: dst=0 src0=0 src1=0 src2=0
	v_mad_i32_i24 v1, v58, v245, v1
	s_delay_alu instid0(VALU_DEP_1) | instskip(SKIP_4) | instid1(VALU_DEP_2)
	v_add3_u32 v1, v1, v2, v9
	v_mul_i32_i24_e32 v2, v62, v249
	s_set_vgpr_msb 4                        ;  msbs: dst=0 src0=0 src1=1 src2=0
	v_mul_i32_i24_e32 v9, v154, v21 /*v277*/
	s_set_vgpr_msb 0                        ;  msbs: dst=0 src0=0 src1=0 src2=0
	v_add3_u32 v1, v1, v2, v12
	s_set_vgpr_msb 4                        ;  msbs: dst=0 src0=0 src1=1 src2=0
	v_mul_i32_i24_e32 v2, v158, v16 /*v272*/
	s_set_vgpr_msb 0                        ;  msbs: dst=0 src0=0 src1=0 src2=0
	s_delay_alu instid0(VALU_DEP_2) | instskip(SKIP_3) | instid1(VALU_DEP_3)
	v_add3_u32 v1, v1, v13, v59
	s_set_vgpr_msb 20                       ;  msbs: dst=0 src0=0 src1=1 src2=1
	v_mul_i32_i24_e32 v13, v159, v22 /*v278*/
	v_mul_i32_i24_e32 v59, v161, v25 /*v281*/
	v_add3_u32 v1, v1, v205 /*v461*/, v206 /*v462*/
	s_set_vgpr_msb 0x44                     ;  msbs: dst=1 src0=0 src1=1 src2=0
	v_mul_i32_i24_e32 v205 /*v461*/, v162, v20 /*v276*/
	v_mul_i32_i24_e32 v206 /*v462*/, v163, v27 /*v283*/
	s_set_vgpr_msb 20                       ;  msbs: dst=0 src0=0 src1=1 src2=1
	v_add3_u32 v1, v1, v207 /*v463*/, v208 /*v464*/
	s_set_vgpr_msb 0x45                     ;  msbs: dst=1 src0=1 src1=1 src2=0
	v_mul_i32_i24_e32 v207 /*v463*/, v184 /*v440*/, v28 /*v284*/
	v_mul_i32_i24_e32 v208 /*v464*/, v185 /*v441*/, v29 /*v285*/
	s_set_vgpr_msb 20                       ;  msbs: dst=0 src0=0 src1=1 src2=1
	v_add3_u32 v1, v1, v209 /*v465*/, v210 /*v466*/
	s_set_vgpr_msb 0x45                     ;  msbs: dst=1 src0=1 src1=1 src2=0
	v_mul_i32_i24_e32 v209 /*v465*/, v186 /*v442*/, v26 /*v282*/
	v_mul_i32_i24_e32 v210 /*v466*/, v187 /*v443*/, v31 /*v287*/
	;; [unrolled: 5-line block ×8, first 2 shown]
	s_set_vgpr_msb 20                       ;  msbs: dst=0 src0=0 src1=1 src2=1
	v_add3_u32 v12, v1, v223 /*v479*/, v224 /*v480*/
	v_mul_i32_i24_e32 v1, v156, v19 /*v275*/
	s_set_vgpr_msb 0x45                     ;  msbs: dst=1 src0=1 src1=1 src2=0
	v_mul_i32_i24_e32 v223 /*v479*/, v43 /*v299*/, v200 /*v456*/
	v_mul_i32_i24_e32 v224 /*v480*/, v44 /*v300*/, v201 /*v457*/
	s_set_vgpr_msb 0                        ;  msbs: dst=0 src0=0 src1=0 src2=0
	v_add3_u32 v9, v12, v9, v10
	s_set_vgpr_msb 4                        ;  msbs: dst=0 src0=0 src1=1 src2=0
	v_mad_i32_i24 v1, v157, v18 /*v274*/, v1
	s_set_vgpr_msb 0                        ;  msbs: dst=0 src0=0 src1=0 src2=0
	v_mul_i32_i24_e32 v10, v0, v117
	s_delay_alu instid0(VALU_DEP_2)
	v_add3_u32 v1, v1, v2, v13
	s_set_vgpr_msb 4                        ;  msbs: dst=0 src0=0 src1=1 src2=0
	v_mul_i32_i24_e32 v2, v160, v24 /*v280*/
	s_set_vgpr_msb 5                        ;  msbs: dst=0 src0=1 src1=1 src2=0
	v_mul_i32_i24_e32 v13, v204 /*v460*/, v47 /*v303*/
	s_set_vgpr_msb 0                        ;  msbs: dst=0 src0=0 src1=0 src2=0
	s_delay_alu instid0(VALU_DEP_2)
	v_add3_u32 v1, v1, v2, v59
	v_mul_i32_i24_e32 v2, v60, v185
	v_mul_i32_i24_e32 v60, v64, v188
	;; [unrolled: 1-line block ×4, first 2 shown]
	s_set_vgpr_msb 20                       ;  msbs: dst=0 src0=0 src1=1 src2=1
	v_add3_u32 v1, v1, v205 /*v461*/, v206 /*v462*/
	s_set_vgpr_msb 0                        ;  msbs: dst=0 src0=0 src1=0 src2=0
	v_mul_i32_i24_e32 v72, v78, v198
	v_mul_i32_i24_e32 v78, v202, v91
	;; [unrolled: 1-line block ×4, first 2 shown]
	s_set_vgpr_msb 20                       ;  msbs: dst=0 src0=0 src1=1 src2=1
	v_add3_u32 v1, v1, v207 /*v463*/, v208 /*v464*/
	v_mul_i32_i24_e32 v152, v239, v203 /*v459*/
	s_delay_alu instid0(VALU_DEP_2) | instskip(NEXT) | instid1(VALU_DEP_1)
	v_add3_u32 v1, v1, v209 /*v465*/, v210 /*v466*/
	v_add3_u32 v1, v1, v211 /*v467*/, v212 /*v468*/
	s_delay_alu instid0(VALU_DEP_1) | instskip(NEXT) | instid1(VALU_DEP_1)
	v_add3_u32 v1, v1, v213 /*v469*/, v214 /*v470*/
	v_add3_u32 v1, v1, v215 /*v471*/, v216 /*v472*/
	s_delay_alu instid0(VALU_DEP_1) | instskip(NEXT) | instid1(VALU_DEP_1)
	;; [unrolled: 3-line block ×3, first 2 shown]
	v_add3_u32 v1, v1, v221 /*v477*/, v222 /*v478*/
	v_add3_u32 v1, v1, v223 /*v479*/, v224 /*v480*/
	s_delay_alu instid0(VALU_DEP_1)
	v_add3_u32 v59, v1, v225 /*v481*/, v226 /*v482*/
	s_set_vgpr_msb 0                        ;  msbs: dst=0 src0=0 src1=0 src2=0
	v_mul_i32_i24_e32 v1, v41, v184
	v_mul_i32_i24_e32 v41, v61, v186
	;; [unrolled: 1-line block ×5, first 2 shown]
	v_mad_i32_i24 v1, v58, v183, v1
	v_mul_i32_i24_e32 v58, v62, v187
	v_mul_i32_i24_e32 v62, v66, v191
	v_mul_i32_i24_e32 v66, v70, v194
	v_mul_i32_i24_e32 v70, v76, v197
	v_add3_u32 v41, v1, v2, v41
	v_mul_i32_i24_e32 v74, v80, v199
	v_mul_i32_i24_e32 v76, v82, v200
	v_mul_i32_i24_e32 v80, v201, v93
	v_mul_i32_i24_e32 v82, v204, v148
	v_add3_u32 v41, v41, v58, v60
	;; [unrolled: 5-line block ×3, first 2 shown]
	v_mul_i32_i24_e32 v41, v159, v216
	v_mul_i32_i24_e32 v60, v162, v214
	;; [unrolled: 1-line block ×3, first 2 shown]
	s_set_vgpr_msb 4                        ;  msbs: dst=0 src0=0 src1=1 src2=0
	v_mul_i32_i24_e32 v151, v240, v202 /*v458*/
	s_set_vgpr_msb 0                        ;  msbs: dst=0 src0=0 src1=0 src2=0
	v_add3_u32 v11, v11, v62, v64
	s_set_vgpr_msb 1                        ;  msbs: dst=0 src0=1 src1=0 src2=0
	v_mul_i32_i24_e32 v62, v184 /*v440*/, v222
	v_mul_i32_i24_e32 v64, v185 /*v441*/, v223
	s_set_vgpr_msb 0                        ;  msbs: dst=0 src0=0 src1=0 src2=0
	v_mul_i32_i24_e32 v1, v154, v215
	v_mul_i32_i24_e32 v2, v155, v217
	v_add3_u32 v11, v11, v65, v66
	s_set_vgpr_msb 1                        ;  msbs: dst=0 src0=1 src1=0 src2=0
	v_mul_i32_i24_e32 v65, v186 /*v442*/, v220
	v_mul_i32_i24_e32 v66, v187 /*v443*/, v225
	s_set_vgpr_msb 0                        ;  msbs: dst=0 src0=0 src1=0 src2=0
	v_add3_u32 v10, v59, v13, v10
	v_add3_u32 v11, v11, v68, v69
	s_set_vgpr_msb 1                        ;  msbs: dst=0 src0=1 src1=0 src2=0
	v_mul_i32_i24_e32 v68, v188 /*v444*/, v226
	v_mul_i32_i24_e32 v69, v189 /*v445*/, v227
	s_set_vgpr_msb 0                        ;  msbs: dst=0 src0=0 src1=0 src2=0
	v_add3_u32 v11, v11, v70, v72
	s_set_vgpr_msb 1                        ;  msbs: dst=0 src0=1 src1=0 src2=0
	v_mul_i32_i24_e32 v70, v190 /*v446*/, v224
	v_mul_i32_i24_e32 v72, v191 /*v447*/, v228
	s_set_vgpr_msb 0                        ;  msbs: dst=0 src0=0 src1=0 src2=0
	v_add3_u32 v11, v11, v74, v76
	s_set_vgpr_msb 4                        ;  msbs: dst=0 src0=0 src1=1 src2=0
	v_mul_i32_i24_e32 v74, v229, v192 /*v448*/
	v_mul_i32_i24_e32 v76, v230, v193 /*v449*/
	s_set_vgpr_msb 0                        ;  msbs: dst=0 src0=0 src1=0 src2=0
	v_add3_u32 v11, v11, v78, v80
	s_set_vgpr_msb 4                        ;  msbs: dst=0 src0=0 src1=1 src2=0
	v_mul_i32_i24_e32 v78, v232, v194 /*v450*/
	v_mul_i32_i24_e32 v80, v231, v195 /*v451*/
	;; [unrolled: 5-line block ×3, first 2 shown]
	s_set_vgpr_msb 0                        ;  msbs: dst=0 src0=0 src1=0 src2=0
	v_add3_u32 v5, v11, v93, v5
	v_mul_i32_i24_e32 v11, v158, v210
	s_set_vgpr_msb 4                        ;  msbs: dst=0 src0=0 src1=1 src2=0
	v_mul_i32_i24_e32 v93, v236, v198 /*v454*/
	s_set_vgpr_msb 0                        ;  msbs: dst=0 src0=0 src1=0 src2=0
	v_add3_u32 v5, v5, v148, v149
	s_set_vgpr_msb 4                        ;  msbs: dst=0 src0=0 src1=1 src2=0
	v_mul_i32_i24_e32 v148, v235, v199 /*v455*/
	v_mul_i32_i24_e32 v149, v237, v200 /*v456*/
	s_set_vgpr_msb 0                        ;  msbs: dst=0 src0=0 src1=0 src2=0
	v_add3_u32 v5, v5, v150, v6
	v_mul_i32_i24_e32 v6, v156, v213
	s_set_vgpr_msb 4                        ;  msbs: dst=0 src0=0 src1=1 src2=0
	v_mul_i32_i24_e32 v150, v238, v201 /*v457*/
	s_set_vgpr_msb 0                        ;  msbs: dst=0 src0=0 src1=0 src2=0
	v_add3_u32 v1, v5, v1, v2
	v_mad_i32_i24 v6, v157, v212, v6
	s_delay_alu instid0(VALU_DEP_1) | instskip(SKIP_4) | instid1(VALU_DEP_2)
	v_add3_u32 v11, v6, v11, v41
	v_mul_i32_i24_e32 v41, v160, v218
	s_set_vgpr_msb 1                        ;  msbs: dst=0 src0=1 src1=0 src2=0
	v_mul_i32_i24_e32 v6, v204 /*v460*/, v241
	s_set_vgpr_msb 0                        ;  msbs: dst=0 src0=0 src1=0 src2=0
	v_add3_u32 v11, v11, v41, v58
	v_or_b32_e32 v41, s5, v141
	s_delay_alu instid0(VALU_DEP_2) | instskip(NEXT) | instid1(VALU_DEP_2)
	v_add3_u32 v11, v11, v60, v61
	v_dual_lshlrev_b32 v58, 2, v41 :: v_dual_lshrrev_b32 v41, 1, v41
	s_set_vgpr_msb 64                       ;  msbs: dst=1 src0=0 src1=0 src2=0
	ds_load_b128 v[184:187] /*v[440:443]*/, v58 offset:16896
	ds_load_b128 v[188:191] /*v[444:447]*/, v58 offset:16912
	ds_load_b128 v[192:195] /*v[448:451]*/, v58 offset:16928
	ds_load_b128 v[196:199] /*v[452:455]*/, v58 offset:16944
	s_set_vgpr_msb 0                        ;  msbs: dst=0 src0=0 src1=0 src2=0
	v_add3_u32 v11, v11, v62, v64
	s_delay_alu instid0(VALU_DEP_1) | instskip(NEXT) | instid1(VALU_DEP_1)
	v_add3_u32 v11, v11, v65, v66
	v_add3_u32 v11, v11, v68, v69
	s_delay_alu instid0(VALU_DEP_1)
	v_add3_u32 v11, v11, v70, v72
	s_wait_dscnt 0x3
	s_set_vgpr_msb 1                        ;  msbs: dst=0 src0=1 src1=0 src2=0
	v_bfe_i32 v58, v184 /*v440*/, 0, 8
	v_bfe_i32 v60, v184 /*v440*/, 8, 8
	;; [unrolled: 1-line block ×3, first 2 shown]
	s_set_vgpr_msb 4                        ;  msbs: dst=0 src0=0 src1=1 src2=0
	v_ashrrev_i32_e32 v62, 24, v184 /*v440*/
	s_set_vgpr_msb 0                        ;  msbs: dst=0 src0=0 src1=0 src2=0
	v_add3_u32 v11, v11, v74, v76
	s_set_vgpr_msb 0x44                     ;  msbs: dst=1 src0=0 src1=1 src2=0
	v_mul_i32_i24_e32 v184 /*v440*/, v58, v118 /*v374*/
	s_set_vgpr_msb 1                        ;  msbs: dst=0 src0=1 src1=0 src2=0
	v_bfe_i32 v64, v185 /*v441*/, 0, 8
	v_bfe_i32 v65, v185 /*v441*/, 8, 8
	;; [unrolled: 1-line block ×3, first 2 shown]
	s_set_vgpr_msb 0                        ;  msbs: dst=0 src0=0 src1=0 src2=0
	v_add3_u32 v11, v11, v78, v80
	s_set_vgpr_msb 4                        ;  msbs: dst=0 src0=0 src1=1 src2=0
	v_dual_ashrrev_i32 v68, 24, v185 /*v441*/ :: v_dual_ashrrev_i32 v74, 24, v186 /*v442*/
	s_set_vgpr_msb 1                        ;  msbs: dst=0 src0=1 src1=0 src2=0
	v_bfe_i32 v69, v186 /*v442*/, 0, 8
	v_bfe_i32 v70, v186 /*v442*/, 8, 8
	s_set_vgpr_msb 0                        ;  msbs: dst=0 src0=0 src1=0 src2=0
	v_add3_u32 v11, v11, v82, v91
	s_set_vgpr_msb 1                        ;  msbs: dst=0 src0=1 src1=0 src2=0
	v_bfe_i32 v72, v186 /*v442*/, 16, 8
	s_set_vgpr_msb 0x54                     ;  msbs: dst=1 src0=0 src1=1 src2=1
	v_mul_i32_i24_e32 v185 /*v441*/, v61, v119 /*v375*/
	v_mul_i32_i24_e32 v186 /*v442*/, v62, v120 /*v376*/
	v_mad_i32_i24 v184 /*v440*/, v60, v117 /*v373*/, v184 /*v440*/
	s_set_vgpr_msb 0                        ;  msbs: dst=0 src0=0 src1=0 src2=0
	v_add3_u32 v11, v11, v93, v148
	s_set_vgpr_msb 1                        ;  msbs: dst=0 src0=1 src1=0 src2=0
	v_bfe_i32 v76, v187 /*v443*/, 0, 8
	v_bfe_i32 v78, v187 /*v443*/, 8, 8
	v_bfe_i32 v80, v187 /*v443*/, 16, 8
	s_set_vgpr_msb 0x55                     ;  msbs: dst=1 src0=1 src1=1 src2=1
	v_add3_u32 v184 /*v440*/, v184 /*v440*/, v185 /*v441*/, v186 /*v442*/
	s_set_vgpr_msb 0x44                     ;  msbs: dst=1 src0=0 src1=1 src2=0
	v_mul_i32_i24_e32 v185 /*v441*/, v64, v121 /*v377*/
	v_mul_i32_i24_e32 v186 /*v442*/, v65, v122 /*v378*/
	s_set_vgpr_msb 0                        ;  msbs: dst=0 src0=0 src1=0 src2=0
	v_add3_u32 v11, v11, v149, v150
	s_wait_dscnt 0x2
	s_set_vgpr_msb 4                        ;  msbs: dst=0 src0=0 src1=1 src2=0
	v_dual_ashrrev_i32 v82, 24, v187 /*v443*/ :: v_dual_ashrrev_i32 v149, 24, v188 /*v444*/
	s_set_vgpr_msb 1                        ;  msbs: dst=0 src0=1 src1=0 src2=0
	v_bfe_i32 v91, v188 /*v444*/, 0, 8
	v_bfe_i32 v93, v188 /*v444*/, 8, 8
	;; [unrolled: 1-line block ×3, first 2 shown]
	s_set_vgpr_msb 0x44                     ;  msbs: dst=1 src0=0 src1=1 src2=0
	v_mul_i32_i24_e32 v187 /*v443*/, v66, v123 /*v379*/
	v_mul_i32_i24_e32 v188 /*v444*/, v68, v124 /*v380*/
	s_set_vgpr_msb 0x55                     ;  msbs: dst=1 src0=1 src1=1 src2=1
	v_add3_u32 v184 /*v440*/, v184 /*v440*/, v185 /*v441*/, v186 /*v442*/
	s_set_vgpr_msb 0                        ;  msbs: dst=0 src0=0 src1=0 src2=0
	v_add3_u32 v11, v11, v151, v152
	s_set_vgpr_msb 1                        ;  msbs: dst=0 src0=1 src1=0 src2=0
	v_bfe_i32 v150, v189 /*v445*/, 0, 8
	v_bfe_i32 v151, v189 /*v445*/, 8, 8
	;; [unrolled: 1-line block ×3, first 2 shown]
	s_set_vgpr_msb 4                        ;  msbs: dst=0 src0=0 src1=1 src2=0
	v_dual_ashrrev_i32 v153, 24, v189 /*v445*/ :: v_dual_ashrrev_i32 v157, 24, v190 /*v446*/
	s_set_vgpr_msb 1                        ;  msbs: dst=0 src0=1 src1=0 src2=0
	v_bfe_i32 v154, v190 /*v446*/, 0, 8
	v_bfe_i32 v155, v190 /*v446*/, 8, 8
	;; [unrolled: 1-line block ×3, first 2 shown]
	s_set_vgpr_msb 0x44                     ;  msbs: dst=1 src0=0 src1=1 src2=0
	v_mul_i32_i24_e32 v189 /*v445*/, v69, v125 /*v381*/
	v_mul_i32_i24_e32 v190 /*v446*/, v70, v126 /*v382*/
	s_set_vgpr_msb 0x55                     ;  msbs: dst=1 src0=1 src1=1 src2=1
	v_add3_u32 v184 /*v440*/, v184 /*v440*/, v187 /*v443*/, v188 /*v444*/
	s_wait_dscnt 0x1
	s_set_vgpr_msb 1                        ;  msbs: dst=0 src0=1 src1=0 src2=0
	v_bfe_i32 v161, v192 /*v448*/, 0, 8
	v_bfe_i32 v162, v192 /*v448*/, 8, 8
	;; [unrolled: 1-line block ×3, first 2 shown]
	s_set_vgpr_msb 0x44                     ;  msbs: dst=1 src0=0 src1=1 src2=0
	v_ashrrev_i32_e32 v200 /*v456*/, 24, v192 /*v448*/
	s_set_vgpr_msb 0x41                     ;  msbs: dst=1 src0=1 src1=0 src2=0
	v_bfe_i32 v201 /*v457*/, v193 /*v449*/, 0, 8
	v_bfe_i32 v202 /*v458*/, v193 /*v449*/, 8, 8
	;; [unrolled: 1-line block ×3, first 2 shown]
	s_set_vgpr_msb 0x44                     ;  msbs: dst=1 src0=0 src1=1 src2=0
	v_ashrrev_i32_e32 v204 /*v460*/, 24, v193 /*v449*/
	v_mul_i32_i24_e32 v192 /*v448*/, v72, v127 /*v383*/
	v_mul_i32_i24_e32 v193 /*v449*/, v74, v128 /*v384*/
	s_set_vgpr_msb 0x55                     ;  msbs: dst=1 src0=1 src1=1 src2=1
	v_add3_u32 v184 /*v440*/, v184 /*v440*/, v189 /*v445*/, v190 /*v446*/
	s_set_vgpr_msb 0x44                     ;  msbs: dst=1 src0=0 src1=1 src2=0
	v_mul_i32_i24_e32 v222 /*v478*/, v76, v129 /*v385*/
	v_mul_i32_i24_e32 v223 /*v479*/, v78, v130 /*v386*/
	;; [unrolled: 1-line block ×4, first 2 shown]
	s_set_vgpr_msb 0x55                     ;  msbs: dst=1 src0=1 src1=1 src2=1
	v_add3_u32 v184 /*v440*/, v184 /*v440*/, v192 /*v448*/, v193 /*v449*/
	s_set_vgpr_msb 0x44                     ;  msbs: dst=1 src0=0 src1=1 src2=0
	v_mul_i32_i24_e32 v226 /*v482*/, v91, v133 /*v389*/
	v_mul_i32_i24_e32 v227 /*v483*/, v93, v134 /*v390*/
	s_set_vgpr_msb 0x41                     ;  msbs: dst=1 src0=1 src1=0 src2=0
	v_mul_i32_i24_e32 v228 /*v484*/, v136 /*v392*/, v148
	v_mul_i32_i24_e32 v229 /*v485*/, v135 /*v391*/, v149
	s_set_vgpr_msb 0x55                     ;  msbs: dst=1 src0=1 src1=1 src2=1
	v_add3_u32 v184 /*v440*/, v184 /*v440*/, v222 /*v478*/, v223 /*v479*/
	s_set_vgpr_msb 0x41                     ;  msbs: dst=1 src0=1 src1=0 src2=0
	v_mul_i32_i24_e32 v230 /*v486*/, v138 /*v394*/, v150
	v_mul_i32_i24_e32 v231 /*v487*/, v137 /*v393*/, v151
	;; [unrolled: 1-line block ×4, first 2 shown]
	s_set_vgpr_msb 0x55                     ;  msbs: dst=1 src0=1 src1=1 src2=1
	v_add3_u32 v184 /*v440*/, v184 /*v440*/, v224 /*v480*/, v225 /*v481*/
	s_set_vgpr_msb 0x41                     ;  msbs: dst=1 src0=1 src1=0 src2=0
	v_mul_i32_i24_e32 v234 /*v490*/, v148 /*v404*/, v154
	v_mul_i32_i24_e32 v235 /*v491*/, v141 /*v397*/, v155
	;; [unrolled: 1-line block ×4, first 2 shown]
	s_set_vgpr_msb 0x55                     ;  msbs: dst=1 src0=1 src1=1 src2=1
	v_add3_u32 v184 /*v440*/, v184 /*v440*/, v226 /*v482*/, v227 /*v483*/
	s_set_vgpr_msb 0x41                     ;  msbs: dst=1 src0=1 src1=0 src2=0
	v_mul_i32_i24_e32 v185 /*v441*/, v156 /*v412*/, v163
	s_set_vgpr_msb 0x55                     ;  msbs: dst=1 src0=1 src1=1 src2=1
	v_mul_i32_i24_e32 v186 /*v442*/, v150 /*v406*/, v200 /*v456*/
	v_bfe_i32 v205 /*v461*/, v194 /*v450*/, 0, 8
	v_bfe_i32 v206 /*v462*/, v194 /*v450*/, 8, 8
	v_add3_u32 v184 /*v440*/, v184 /*v440*/, v228 /*v484*/, v229 /*v485*/
	v_bfe_i32 v207 /*v463*/, v194 /*v450*/, 16, 8
	v_ashrrev_i32_e32 v194 /*v450*/, 24, v194 /*v450*/
	v_mul_i32_i24_e32 v187 /*v443*/, v158 /*v414*/, v203 /*v459*/
	v_mul_i32_i24_e32 v188 /*v444*/, v142 /*v398*/, v204 /*v460*/
	v_add3_u32 v184 /*v440*/, v184 /*v440*/, v230 /*v486*/, v231 /*v487*/
	v_mul_i32_i24_e32 v189 /*v445*/, v163 /*v419*/, v205 /*v461*/
	v_mul_i32_i24_e32 v190 /*v446*/, v162 /*v418*/, v206 /*v462*/
	v_bfe_i32 v208 /*v464*/, v195 /*v451*/, 0, 8
	v_bfe_i32 v209 /*v465*/, v195 /*v451*/, 8, 8
	v_add3_u32 v184 /*v440*/, v184 /*v440*/, v232 /*v488*/, v233 /*v489*/
	v_mul_i32_i24_e32 v192 /*v448*/, v161 /*v417*/, v207 /*v463*/
	v_mul_i32_i24_e32 v193 /*v449*/, v143 /*v399*/, v194 /*v450*/
	v_bfe_i32 v210 /*v466*/, v195 /*v451*/, 16, 8
	v_ashrrev_i32_e32 v195 /*v451*/, 24, v195 /*v451*/
	v_add3_u32 v184 /*v440*/, v184 /*v440*/, v234 /*v490*/, v235 /*v491*/
	v_mul_i32_i24_e32 v223 /*v479*/, v166 /*v422*/, v208 /*v464*/
	v_mul_i32_i24_e32 v224 /*v480*/, v165 /*v421*/, v209 /*v465*/
	s_wait_dscnt 0x0
	v_bfe_i32 v211 /*v467*/, v196 /*v452*/, 0, 8
	v_bfe_i32 v212 /*v468*/, v196 /*v452*/, 8, 8
	v_add3_u32 v222 /*v478*/, v184 /*v440*/, v236 /*v492*/, v237 /*v493*/
	s_set_vgpr_msb 0x41                     ;  msbs: dst=1 src0=1 src1=0 src2=0
	v_mul_i32_i24_e32 v184 /*v440*/, v157 /*v413*/, v161
	v_bfe_i32 v213 /*v469*/, v196 /*v452*/, 16, 8
	s_set_vgpr_msb 0x45                     ;  msbs: dst=1 src0=1 src1=1 src2=0
	v_ashrrev_i32_e32 v196 /*v452*/, 24, v196 /*v452*/
	v_mul_i32_i24_e32 v225 /*v481*/, v164 /*v420*/, v210 /*v466*/
	v_mul_i32_i24_e32 v226 /*v482*/, v144 /*v400*/, v195 /*v451*/
	s_set_vgpr_msb 0x51                     ;  msbs: dst=1 src0=1 src1=0 src2=1
	v_mad_i32_i24 v184 /*v440*/, v155 /*v411*/, v162, v184 /*v440*/
	s_set_vgpr_msb 0x55                     ;  msbs: dst=1 src0=1 src1=1 src2=1
	v_mul_i32_i24_e32 v227 /*v483*/, v169 /*v425*/, v211 /*v467*/
	v_mul_i32_i24_e32 v228 /*v484*/, v168 /*v424*/, v212 /*v468*/
	v_bfe_i32 v214 /*v470*/, v197 /*v453*/, 0, 8
	v_bfe_i32 v215 /*v471*/, v197 /*v453*/, 8, 8
	v_add3_u32 v184 /*v440*/, v184 /*v440*/, v185 /*v441*/, v186 /*v442*/
	v_mul_i32_i24_e32 v185 /*v441*/, v160 /*v416*/, v201 /*v457*/
	v_mul_i32_i24_e32 v186 /*v442*/, v159 /*v415*/, v202 /*v458*/
	;; [unrolled: 1-line block ×4, first 2 shown]
	v_bfe_i32 v216 /*v472*/, v197 /*v453*/, 16, 8
	v_ashrrev_i32_e32 v197 /*v453*/, 24, v197 /*v453*/
	v_add3_u32 v184 /*v440*/, v184 /*v440*/, v185 /*v441*/, v186 /*v442*/
	v_mul_i32_i24_e32 v231 /*v487*/, v172 /*v428*/, v214 /*v470*/
	v_mul_i32_i24_e32 v232 /*v488*/, v171 /*v427*/, v215 /*v471*/
	v_bfe_i32 v217 /*v473*/, v198 /*v454*/, 0, 8
	v_bfe_i32 v218 /*v474*/, v198 /*v454*/, 8, 8
	v_add3_u32 v184 /*v440*/, v184 /*v440*/, v187 /*v443*/, v188 /*v444*/
	v_bfe_i32 v219 /*v475*/, v198 /*v454*/, 16, 8
	v_ashrrev_i32_e32 v198 /*v454*/, 24, v198 /*v454*/
	v_mul_i32_i24_e32 v233 /*v489*/, v170 /*v426*/, v216 /*v472*/
	v_mul_i32_i24_e32 v234 /*v490*/, v146 /*v402*/, v197 /*v453*/
	v_add3_u32 v184 /*v440*/, v184 /*v440*/, v189 /*v445*/, v190 /*v446*/
	v_mul_i32_i24_e32 v235 /*v491*/, v175 /*v431*/, v217 /*v473*/
	v_mul_i32_i24_e32 v236 /*v492*/, v174 /*v430*/, v218 /*v474*/
	;; [unrolled: 1-line block ×4, first 2 shown]
	v_add3_u32 v184 /*v440*/, v184 /*v440*/, v192 /*v448*/, v193 /*v449*/
	s_set_vgpr_msb 64                       ;  msbs: dst=1 src0=0 src1=0 src2=0
	ds_load_b64 v[186:187] /*v[442:443]*/, v41 offset:27200
	s_set_vgpr_msb 1                        ;  msbs: dst=0 src0=1 src1=0 src2=0
	v_bfe_i32 v158, v191 /*v447*/, 0, 8
	v_bfe_i32 v159, v191 /*v447*/, 8, 8
	;; [unrolled: 1-line block ×3, first 2 shown]
	s_set_vgpr_msb 0x55                     ;  msbs: dst=1 src0=1 src1=1 src2=1
	v_add3_u32 v184 /*v440*/, v184 /*v440*/, v223 /*v479*/, v224 /*v480*/
	v_ashrrev_i32_e32 v224 /*v480*/, 24, v191 /*v447*/
	s_set_vgpr_msb 0x44                     ;  msbs: dst=1 src0=0 src1=1 src2=0
	v_mul_i32_i24_e32 v238 /*v494*/, v158, v153 /*v409*/
	v_mul_i32_i24_e32 v239 /*v495*/, v159, v154 /*v410*/
	s_set_vgpr_msb 0x55                     ;  msbs: dst=1 src0=1 src1=1 src2=1
	v_bfe_i32 v220 /*v476*/, v199 /*v455*/, 0, 8
	v_add3_u32 v184 /*v440*/, v184 /*v440*/, v225 /*v481*/, v226 /*v482*/
	s_set_vgpr_msb 64                       ;  msbs: dst=1 src0=0 src1=0 src2=0
	v_bfe_i32 v225 /*v481*/, v3, 16, 8
	v_ashrrev_i32_e32 v226 /*v482*/, 24, v3
	s_set_vgpr_msb 0x55                     ;  msbs: dst=1 src0=1 src1=1 src2=1
	v_add3_u32 v179 /*v435*/, v222 /*v478*/, v238 /*v494*/, v239 /*v495*/
	v_bfe_i32 v221 /*v477*/, v199 /*v455*/, 8, 8
	v_add3_u32 v184 /*v440*/, v184 /*v440*/, v227 /*v483*/, v228 /*v484*/
	v_mul_i32_i24_e32 v241 /*v497*/, v220 /*v476*/, v151 /*v407*/
	v_mul_i32_i24_e32 v181 /*v437*/, v53 /*v309*/, v225 /*v481*/
	;; [unrolled: 1-line block ×3, first 2 shown]
	s_set_vgpr_msb 0x41                     ;  msbs: dst=1 src0=1 src1=0 src2=0
	v_mul_i32_i24_e32 v238 /*v494*/, v82 /*v338*/, v155
	s_set_vgpr_msb 0x55                     ;  msbs: dst=1 src0=1 src1=1 src2=1
	v_add3_u32 v184 /*v440*/, v184 /*v440*/, v229 /*v485*/, v230 /*v486*/
	s_wait_dscnt 0x0
	s_set_vgpr_msb 4                        ;  msbs: dst=0 src0=0 src1=1 src2=0
	v_lshrrev_b32_e32 v41, 16, v186 /*v442*/
	s_set_vgpr_msb 0x41                     ;  msbs: dst=1 src0=1 src1=0 src2=0
	v_cvt_f32_f16_e64 v189 /*v445*/, v186 /*v442*/
	v_cvt_f32_f16_e64 v193 /*v449*/, v187 /*v443*/
	v_mul_i32_i24_e32 v186 /*v442*/, v49 /*v305*/, v7
	s_set_vgpr_msb 0x55                     ;  msbs: dst=1 src0=1 src1=1 src2=1
	v_add3_u32 v184 /*v440*/, v184 /*v440*/, v231 /*v487*/, v232 /*v488*/
	s_set_vgpr_msb 64                       ;  msbs: dst=1 src0=0 src1=0 src2=0
	v_cvt_f32_f16_e64 v191 /*v447*/, v41
	s_set_vgpr_msb 1                        ;  msbs: dst=0 src0=1 src1=0 src2=0
	v_bfe_i32 v41, v199 /*v455*/, 16, 8
	s_set_vgpr_msb 0x44                     ;  msbs: dst=1 src0=0 src1=1 src2=0
	v_ashrrev_i32_e32 v199 /*v455*/, 24, v199 /*v455*/
	v_mul_i32_i24_e32 v229 /*v485*/, v91, v74 /*v330*/
	s_set_vgpr_msb 0x55                     ;  msbs: dst=1 src0=1 src1=1 src2=1
	v_add3_u32 v184 /*v440*/, v184 /*v440*/, v233 /*v489*/, v234 /*v490*/
	s_set_vgpr_msb 0x44                     ;  msbs: dst=1 src0=0 src1=1 src2=0
	v_mul_i32_i24_e32 v230 /*v486*/, v93, v75 /*v331*/
	s_set_vgpr_msb 0x41                     ;  msbs: dst=1 src0=1 src1=0 src2=0
	v_mul_i32_i24_e32 v222 /*v478*/, v53 /*v309*/, v41
	s_set_vgpr_msb 0x45                     ;  msbs: dst=1 src0=1 src1=1 src2=0
	v_mul_i32_i24_e32 v228 /*v484*/, v52 /*v308*/, v199 /*v455*/
	s_set_vgpr_msb 0x41                     ;  msbs: dst=1 src0=1 src1=0 src2=0
	v_mul_i32_i24_e32 v231 /*v487*/, v77 /*v333*/, v148
	s_set_vgpr_msb 0x55                     ;  msbs: dst=1 src0=1 src1=1 src2=1
	v_add3_u32 v184 /*v440*/, v184 /*v440*/, v235 /*v491*/, v236 /*v492*/
	s_set_vgpr_msb 0x41                     ;  msbs: dst=1 src0=1 src1=0 src2=0
	v_mul_i32_i24_e32 v232 /*v488*/, v76 /*v332*/, v149
	v_mul_i32_i24_e32 v233 /*v489*/, v79 /*v335*/, v150
	;; [unrolled: 1-line block ×4, first 2 shown]
	s_set_vgpr_msb 0x55                     ;  msbs: dst=1 src0=1 src1=1 src2=1
	v_add3_u32 v223 /*v479*/, v184 /*v440*/, v237 /*v493*/, v240 /*v496*/
	s_set_vgpr_msb 64                       ;  msbs: dst=1 src0=0 src1=0 src2=0
	ds_load_b64 v[184:185] /*v[440:441]*/, v8 offset:27200
	s_set_vgpr_msb 0x41                     ;  msbs: dst=1 src0=1 src1=0 src2=0
	v_mul_i32_i24_e32 v236 /*v492*/, v80 /*v336*/, v153
	v_mul_i32_i24_e32 v237 /*v493*/, v83 /*v339*/, v154
	;; [unrolled: 1-line block ×4, first 2 shown]
	s_set_vgpr_msb 0x44                     ;  msbs: dst=1 src0=0 src1=1 src2=0
	v_mul_i32_i24_e32 v242 /*v498*/, v159, v92 /*v348*/
	s_set_vgpr_msb 0x45                     ;  msbs: dst=1 src0=1 src1=1 src2=0
	v_mul_i32_i24_e32 v243 /*v499*/, v114 /*v370*/, v198 /*v454*/
	v_mul_i32_i24_e32 v244 /*v500*/, v220 /*v476*/, v116 /*v372*/
	s_set_vgpr_msb 0x44                     ;  msbs: dst=1 src0=0 src1=1 src2=0
	v_mul_i32_i24_e32 v180 /*v436*/, v74, v0 /*v256*/
	s_set_vgpr_msb 4                        ;  msbs: dst=0 src0=0 src1=1 src2=0
	v_mul_i32_i24_e32 v12, v115, v225 /*v481*/
	s_set_vgpr_msb 0                        ;  msbs: dst=0 src0=0 src1=0 src2=0
	v_mul_i32_i24_e32 v59, v76, v195
	s_wait_dscnt 0x0
	s_set_vgpr_msb 4                        ;  msbs: dst=0 src0=0 src1=1 src2=0
	v_dual_lshrrev_b32 v8, 16, v184 /*v440*/ :: v_dual_lshrrev_b32 v3, 16, v185 /*v441*/
	s_set_vgpr_msb 0x41                     ;  msbs: dst=1 src0=1 src1=0 src2=0
	v_cvt_f32_f16_e64 v188 /*v444*/, v184 /*v440*/
	v_cvt_f32_f16_e64 v192 /*v448*/, v185 /*v441*/
	s_set_vgpr_msb 64                       ;  msbs: dst=1 src0=0 src1=0 src2=0
	v_cvt_f32_f16_e64 v190 /*v446*/, v8
	s_set_vgpr_msb 4                        ;  msbs: dst=0 src0=0 src1=1 src2=0
	v_lshrrev_b32_e32 v8, 16, v187 /*v443*/
	s_set_vgpr_msb 64                       ;  msbs: dst=1 src0=0 src1=0 src2=0
	v_cvt_f32_f16_e64 v184 /*v440*/, v3
	s_set_vgpr_msb 4                        ;  msbs: dst=0 src0=0 src1=1 src2=0
	v_mul_i32_i24_e32 v3, v4, v50 /*v306*/
	s_set_vgpr_msb 0x45                     ;  msbs: dst=1 src0=1 src1=1 src2=0
	v_mul_i32_i24_e32 v187 /*v443*/, v49 /*v305*/, v224 /*v480*/
	s_set_vgpr_msb 64                       ;  msbs: dst=1 src0=0 src1=0 src2=0
	v_cvt_f32_f16_e64 v185 /*v441*/, v8
	s_set_vgpr_msb 4                        ;  msbs: dst=0 src0=0 src1=1 src2=0
	v_mul_i32_i24_e32 v8, v160, v50 /*v306*/
	s_set_vgpr_msb 17                       ;  msbs: dst=0 src0=1 src1=0 src2=1
	v_add3_u32 v3, v178 /*v434*/, v3, v186 /*v442*/
	s_delay_alu instid0(VALU_DEP_2) | instskip(SKIP_1) | instid1(VALU_DEP_2)
	v_add3_u32 v8, v179 /*v435*/, v8, v187 /*v443*/
	s_set_vgpr_msb 4                        ;  msbs: dst=0 src0=0 src1=1 src2=0
	v_mul_lo_u32 v3, v3, v48 /*v304*/
	s_set_vgpr_msb 0x44                     ;  msbs: dst=1 src0=0 src1=1 src2=0
	v_pk_fma_f32 v[186:187] /*v[442:443]*/, v[122:123], v[190:191] /*v[446:447]*/, 0 op_sel_hi:[0,1,0]
	s_set_vgpr_msb 4                        ;  msbs: dst=0 src0=0 src1=1 src2=0
	v_mul_lo_u32 v8, v8, v48 /*v304*/
	s_set_vgpr_msb 64                       ;  msbs: dst=1 src0=0 src1=0 src2=0
	s_delay_alu instid0(VALU_DEP_3) | instskip(SKIP_3) | instid1(VALU_DEP_3)
	v_cvt_f32_i32_e32 v178 /*v434*/, v3
	s_set_vgpr_msb 5                        ;  msbs: dst=0 src0=1 src1=1 src2=0
	v_mul_i32_i24_e32 v3, v221 /*v477*/, v54 /*v310*/
	s_set_vgpr_msb 64                       ;  msbs: dst=1 src0=0 src1=0 src2=0
	v_cvt_f32_i32_e32 v179 /*v435*/, v8
	s_set_vgpr_msb 4                        ;  msbs: dst=0 src0=0 src1=1 src2=0
	v_mul_i32_i24_e32 v8, v0, v54 /*v310*/
	s_set_vgpr_msb 5                        ;  msbs: dst=0 src0=1 src1=1 src2=0
	v_add3_u32 v3, v223 /*v479*/, v241 /*v497*/, v3
	s_set_vgpr_msb 0x44                     ;  msbs: dst=1 src0=0 src1=1 src2=0
	v_mul_i32_i24_e32 v223 /*v479*/, v78, v71 /*v327*/
	v_mul_i32_i24_e32 v241 /*v497*/, v158, v90 /*v346*/
	s_set_vgpr_msb 0x45                     ;  msbs: dst=1 src0=1 src1=1 src2=0
	v_pk_fma_f32 v[178:179] /*v[434:435]*/, v[188:189] /*v[444:445]*/, v[178:179] /*v[434:435]*/, 0 op_sel_hi:[1,1,0]
	s_set_vgpr_msb 5                        ;  msbs: dst=0 src0=1 src1=1 src2=0
	v_add3_u32 v8, v183 /*v439*/, v182 /*v438*/, v8
	s_set_vgpr_msb 20                       ;  msbs: dst=0 src0=0 src1=1 src2=1
	v_add3_u32 v3, v3, v222 /*v478*/, v228 /*v484*/
	s_set_vgpr_msb 0x44                     ;  msbs: dst=1 src0=0 src1=1 src2=0
	v_mul_i32_i24_e32 v222 /*v478*/, v76, v70 /*v326*/
	v_mul_i32_i24_e32 v228 /*v484*/, v82, v73 /*v329*/
	s_set_vgpr_msb 0                        ;  msbs: dst=0 src0=0 src1=0 src2=0
	v_mul_i32_i24_e32 v0, v0, v178
	s_set_vgpr_msb 20                       ;  msbs: dst=0 src0=0 src1=1 src2=1
	v_add3_u32 v8, v8, v181 /*v437*/, v227 /*v483*/
	v_mul_lo_u32 v3, v3, v51 /*v307*/
	s_set_vgpr_msb 0x44                     ;  msbs: dst=1 src0=0 src1=1 src2=0
	v_mul_i32_i24_e32 v181 /*v437*/, v68, v65 /*v321*/
	v_mul_i32_i24_e32 v227 /*v483*/, v80, v72 /*v328*/
	s_set_vgpr_msb 0                        ;  msbs: dst=0 src0=0 src1=0 src2=0
	v_add3_u32 v0, v11, v6, v0
	s_set_vgpr_msb 4                        ;  msbs: dst=0 src0=0 src1=1 src2=0
	v_mul_lo_u32 v8, v8, v51 /*v307*/
	s_set_vgpr_msb 64                       ;  msbs: dst=1 src0=0 src1=0 src2=0
	v_cvt_f32_i32_e32 v183 /*v439*/, v3
	s_set_vgpr_msb 4                        ;  msbs: dst=0 src0=0 src1=1 src2=0
	v_mul_i32_i24_e32 v3, v58, v59 /*v315*/
	s_set_vgpr_msb 64                       ;  msbs: dst=1 src0=0 src1=0 src2=0
	s_delay_alu instid0(VALU_DEP_3)
	v_cvt_f32_i32_e32 v182 /*v438*/, v8
	s_set_vgpr_msb 4                        ;  msbs: dst=0 src0=0 src1=1 src2=0
	v_mul_i32_i24_e32 v8, v61, v60 /*v316*/
	v_mad_i32_i24 v3, v60, v58 /*v314*/, v3
	s_set_vgpr_msb 0x55                     ;  msbs: dst=1 src0=1 src1=1 src2=1
	v_pk_fma_f32 v[178:179] /*v[434:435]*/, v[192:193] /*v[448:449]*/, v[182:183] /*v[438:439]*/, v[178:179] /*v[434:435]*/
	s_set_vgpr_msb 0x54                     ;  msbs: dst=1 src0=0 src1=1 src2=1
	v_pk_fma_f32 v[182:183] /*v[438:439]*/, v[124:125], v[184:185] /*v[440:441]*/, v[186:187] /*v[442:443]*/ op_sel_hi:[0,1,1]
	v_mul_i32_i24_e32 v186 /*v442*/, v72, v68 /*v324*/
	v_mul_i32_i24_e32 v187 /*v443*/, v74, v69 /*v325*/
	s_set_vgpr_msb 0x51                     ;  msbs: dst=1 src0=1 src1=0 src2=1
	s_delay_alu instid0(VALU_DEP_3) | instskip(NEXT) | instid1(VALU_DEP_1)
	v_pk_mul_f32 v[182:183] /*v[438:439]*/, v[182:183] /*v[438:439]*/, v[104:105]
	v_pk_fma_f32 v[178:179] /*v[434:435]*/, v[178:179] /*v[434:435]*/, v[96:97], v[182:183] /*v[438:439]*/ neg_lo:[0,0,1] neg_hi:[0,0,1]
	s_set_vgpr_msb 0x44                     ;  msbs: dst=1 src0=0 src1=1 src2=0
	v_mul_i32_i24_e32 v182 /*v438*/, v69, v66 /*v322*/
	v_mul_i32_i24_e32 v183 /*v439*/, v70, v67 /*v323*/
	s_set_vgpr_msb 4                        ;  msbs: dst=0 src0=0 src1=1 src2=0
	v_pk_add_f32 v[30:31], v[30:31], v[178:179] /*v[434:435]*/
	s_set_vgpr_msb 0x44                     ;  msbs: dst=1 src0=0 src1=1 src2=0
	v_mul_i32_i24_e32 v178 /*v434*/, v62, v61 /*v317*/
	v_mul_i32_i24_e32 v179 /*v435*/, v66, v64 /*v320*/
	s_set_vgpr_msb 16                       ;  msbs: dst=0 src0=0 src1=0 src2=1
	s_delay_alu instid0(VALU_DEP_2)
	v_add3_u32 v3, v3, v8, v178 /*v434*/
	s_set_vgpr_msb 4                        ;  msbs: dst=0 src0=0 src1=1 src2=0
	v_mul_i32_i24_e32 v8, v64, v62 /*v318*/
	s_set_vgpr_msb 0x44                     ;  msbs: dst=1 src0=0 src1=1 src2=0
	v_mul_i32_i24_e32 v178 /*v434*/, v65, v63 /*v319*/
	s_set_vgpr_msb 16                       ;  msbs: dst=0 src0=0 src1=0 src2=1
	s_delay_alu instid0(VALU_DEP_1)
	v_add3_u32 v3, v3, v8, v178 /*v434*/
	s_set_vgpr_msb 4                        ;  msbs: dst=0 src0=0 src1=1 src2=0
	v_mul_i32_i24_e32 v8, v161, v88 /*v344*/
	s_set_vgpr_msb 0x44                     ;  msbs: dst=1 src0=0 src1=1 src2=0
	v_mul_i32_i24_e32 v178 /*v434*/, v163, v85 /*v341*/
	s_set_vgpr_msb 20                       ;  msbs: dst=0 src0=0 src1=1 src2=1
	v_add3_u32 v3, v3, v179 /*v435*/, v181 /*v437*/
	s_set_vgpr_msb 0x45                     ;  msbs: dst=1 src0=1 src1=1 src2=0
	v_mul_i32_i24_e32 v179 /*v435*/, v200 /*v456*/, v91 /*v347*/
	s_set_vgpr_msb 4                        ;  msbs: dst=0 src0=0 src1=1 src2=0
	v_mad_i32_i24 v8, v162, v87 /*v343*/, v8
	s_set_vgpr_msb 0x45                     ;  msbs: dst=1 src0=1 src1=1 src2=0
	v_mul_i32_i24_e32 v181 /*v437*/, v203 /*v459*/, v89 /*v345*/
	s_set_vgpr_msb 20                       ;  msbs: dst=0 src0=0 src1=1 src2=1
	v_add3_u32 v3, v3, v182 /*v438*/, v183 /*v439*/
	s_set_vgpr_msb 0x45                     ;  msbs: dst=1 src0=1 src1=1 src2=0
	v_mul_i32_i24_e32 v182 /*v438*/, v204 /*v460*/, v96 /*v352*/
	s_set_vgpr_msb 20                       ;  msbs: dst=0 src0=0 src1=1 src2=1
	v_add3_u32 v8, v8, v178 /*v434*/, v179 /*v435*/
	s_set_vgpr_msb 0x45                     ;  msbs: dst=1 src0=1 src1=1 src2=0
	v_mul_i32_i24_e32 v178 /*v434*/, v201 /*v457*/, v93 /*v349*/
	v_mul_i32_i24_e32 v179 /*v435*/, v202 /*v458*/, v94 /*v350*/
	s_set_vgpr_msb 20                       ;  msbs: dst=0 src0=0 src1=1 src2=1
	v_add3_u32 v3, v3, v186 /*v442*/, v187 /*v443*/
	s_set_vgpr_msb 0x45                     ;  msbs: dst=1 src0=1 src1=1 src2=0
	v_mul_i32_i24_e32 v183 /*v439*/, v205 /*v461*/, v97 /*v353*/
	v_mul_i32_i24_e32 v186 /*v442*/, v206 /*v462*/, v98 /*v354*/
	v_mul_i32_i24_e32 v187 /*v443*/, v207 /*v463*/, v95 /*v351*/
	s_set_vgpr_msb 20                       ;  msbs: dst=0 src0=0 src1=1 src2=1
	v_add3_u32 v8, v8, v178 /*v434*/, v179 /*v435*/
	v_add3_u32 v3, v3, v222 /*v478*/, v223 /*v479*/
	s_set_vgpr_msb 0x45                     ;  msbs: dst=1 src0=1 src1=1 src2=0
	v_mul_i32_i24_e32 v222 /*v478*/, v194 /*v450*/, v100 /*v356*/
	v_mul_i32_i24_e32 v223 /*v479*/, v208 /*v464*/, v101 /*v357*/
	s_set_vgpr_msb 0x44                     ;  msbs: dst=1 src0=0 src1=1 src2=0
	v_mul_i32_i24_e32 v179 /*v435*/, v160, v57 /*v313*/
	s_set_vgpr_msb 20                       ;  msbs: dst=0 src0=0 src1=1 src2=1
	v_add3_u32 v8, v8, v181 /*v437*/, v182 /*v438*/
	v_add3_u32 v3, v3, v227 /*v483*/, v228 /*v484*/
	s_set_vgpr_msb 0x45                     ;  msbs: dst=1 src0=1 src1=1 src2=0
	v_mul_i32_i24_e32 v227 /*v483*/, v209 /*v465*/, v102 /*v358*/
	v_mul_i32_i24_e32 v228 /*v484*/, v210 /*v466*/, v99 /*v355*/
	;; [unrolled: 1-line block ×3, first 2 shown]
	s_set_vgpr_msb 20                       ;  msbs: dst=0 src0=0 src1=1 src2=1
	v_add3_u32 v8, v8, v183 /*v439*/, v186 /*v442*/
	v_add3_u32 v3, v3, v229 /*v485*/, v230 /*v486*/
	s_set_vgpr_msb 0x45                     ;  msbs: dst=1 src0=1 src1=1 src2=0
	v_mul_i32_i24_e32 v229 /*v485*/, v195 /*v451*/, v103 /*v359*/
	v_mul_i32_i24_e32 v230 /*v486*/, v104 /*v360*/, v211 /*v467*/
	s_set_vgpr_msb 0x44                     ;  msbs: dst=1 src0=0 src1=1 src2=0
	v_mul_i32_i24_e32 v178 /*v434*/, v4, v57 /*v313*/
	s_set_vgpr_msb 20                       ;  msbs: dst=0 src0=0 src1=1 src2=1
	v_add3_u32 v8, v8, v187 /*v443*/, v222 /*v478*/
	v_add3_u32 v3, v3, v231 /*v487*/, v232 /*v488*/
	s_set_vgpr_msb 0x45                     ;  msbs: dst=1 src0=1 src1=1 src2=0
	v_mul_i32_i24_e32 v231 /*v487*/, v105 /*v361*/, v212 /*v468*/
	v_mul_i32_i24_e32 v232 /*v488*/, v107 /*v363*/, v213 /*v469*/
	s_set_vgpr_msb 0x41                     ;  msbs: dst=1 src0=1 src1=0 src2=0
	v_mul_i32_i24_e32 v181 /*v437*/, v56 /*v312*/, v7
	s_set_vgpr_msb 20                       ;  msbs: dst=0 src0=0 src1=1 src2=1
	v_add3_u32 v8, v8, v223 /*v479*/, v227 /*v483*/
	v_add3_u32 v3, v3, v233 /*v489*/, v234 /*v490*/
	s_set_vgpr_msb 0x45                     ;  msbs: dst=1 src0=1 src1=1 src2=0
	v_mul_i32_i24_e32 v233 /*v489*/, v106 /*v362*/, v196 /*v452*/
	v_mul_i32_i24_e32 v234 /*v490*/, v108 /*v364*/, v214 /*v470*/
	s_set_vgpr_msb 20                       ;  msbs: dst=0 src0=0 src1=1 src2=1
	v_add3_u32 v14, v14, v178 /*v434*/, v181 /*v437*/
	v_add3_u32 v8, v8, v228 /*v484*/, v229 /*v485*/
	;; [unrolled: 1-line block ×3, first 2 shown]
	s_set_vgpr_msb 0x45                     ;  msbs: dst=1 src0=1 src1=1 src2=0
	v_mul_i32_i24_e32 v235 /*v491*/, v109 /*v365*/, v215 /*v471*/
	v_mul_i32_i24_e32 v236 /*v492*/, v111 /*v367*/, v216 /*v472*/
	s_set_vgpr_msb 0x44                     ;  msbs: dst=1 src0=0 src1=1 src2=0
	v_mul_i32_i24_e32 v181 /*v437*/, v173, v225 /*v481*/
	s_set_vgpr_msb 20                       ;  msbs: dst=0 src0=0 src1=1 src2=1
	v_add3_u32 v8, v8, v230 /*v486*/, v231 /*v487*/
	v_add3_u32 v3, v3, v237 /*v493*/, v238 /*v494*/
	s_set_vgpr_msb 0x45                     ;  msbs: dst=1 src0=1 src1=1 src2=0
	v_mul_i32_i24_e32 v237 /*v493*/, v110 /*v366*/, v197 /*v453*/
	v_mul_i32_i24_e32 v238 /*v494*/, v112 /*v368*/, v217 /*v473*/
	s_set_vgpr_msb 0x44                     ;  msbs: dst=1 src0=0 src1=1 src2=0
	v_mul_i32_i24_e32 v183 /*v439*/, v121, v226 /*v482*/
	s_set_vgpr_msb 20                       ;  msbs: dst=0 src0=0 src1=1 src2=1
	v_add3_u32 v8, v8, v232 /*v488*/, v233 /*v489*/
	v_add3_u32 v3, v3, v239 /*v495*/, v240 /*v496*/
	;; [unrolled: 8-line block ×3, first 2 shown]
	v_mul_lo_u32 v14, v14, v55 /*v311*/
	s_set_vgpr_msb 0x44                     ;  msbs: dst=1 src0=0 src1=1 src2=0
	v_mul_i32_i24_e32 v187 /*v443*/, v91, v5 /*v261*/
	v_mul_i32_i24_e32 v222 /*v478*/, v93, v6 /*v262*/
	s_set_vgpr_msb 20                       ;  msbs: dst=0 src0=0 src1=1 src2=1
	v_add3_u32 v8, v8, v236 /*v492*/, v237 /*v493*/
	v_add3_u32 v3, v3, v179 /*v435*/, v182 /*v438*/
	s_set_vgpr_msb 64                       ;  msbs: dst=1 src0=0 src1=0 src2=0
	v_mul_i32_i24_e32 v182 /*v438*/, v173, v41
	s_set_vgpr_msb 0x44                     ;  msbs: dst=1 src0=0 src1=1 src2=0
	v_pk_fma_f32 v[178:179] /*v[434:435]*/, v[126:127], v[190:191] /*v[446:447]*/, 0 op_sel_hi:[0,1,0]
	s_set_vgpr_msb 0x41                     ;  msbs: dst=1 src0=1 src1=0 src2=0
	v_mul_i32_i24_e32 v223 /*v479*/, v8 /*v264*/, v148
	s_set_vgpr_msb 20                       ;  msbs: dst=0 src0=0 src1=1 src2=1
	v_add3_u32 v8, v8, v238 /*v494*/, v239 /*v495*/
	v_mul_lo_u32 v3, v3, v55 /*v311*/
	s_set_vgpr_msb 0x41                     ;  msbs: dst=1 src0=1 src1=0 src2=0
	v_mul_i32_i24_e32 v227 /*v483*/, v7 /*v263*/, v149
	s_set_vgpr_msb 0                        ;  msbs: dst=0 src0=0 src1=0 src2=0
	v_cvt_f32_i32_e32 v14, v14
	s_set_vgpr_msb 0x41                     ;  msbs: dst=1 src0=1 src1=0 src2=0
	v_mul_i32_i24_e32 v228 /*v484*/, v10 /*v266*/, v150
	s_set_vgpr_msb 20                       ;  msbs: dst=0 src0=0 src1=1 src2=1
	v_add3_u32 v8, v8, v240 /*v496*/, v243 /*v499*/
	s_set_vgpr_msb 0x41                     ;  msbs: dst=1 src0=1 src1=0 src2=0
	v_mul_i32_i24_e32 v229 /*v485*/, v9 /*v265*/, v151
	v_mul_i32_i24_e32 v230 /*v486*/, v12 /*v268*/, v152
	;; [unrolled: 1-line block ×6, first 2 shown]
	s_set_vgpr_msb 0                        ;  msbs: dst=0 src0=0 src1=0 src2=0
	v_cvt_f32_i32_e32 v15, v3
	s_set_vgpr_msb 1                        ;  msbs: dst=0 src0=1 src1=0 src2=0
	v_mul_i32_i24_e32 v3, v221 /*v477*/, v174
	s_set_vgpr_msb 0x41                     ;  msbs: dst=1 src0=1 src1=0 src2=0
	v_mul_i32_i24_e32 v235 /*v491*/, v15 /*v271*/, v157
	s_set_vgpr_msb 0x44                     ;  msbs: dst=1 src0=0 src1=1 src2=0
	v_mul_i32_i24_e32 v236 /*v492*/, v158, v21 /*v277*/
	v_mul_i32_i24_e32 v237 /*v493*/, v159, v23 /*v279*/
	s_set_vgpr_msb 1                        ;  msbs: dst=0 src0=1 src1=0 src2=0
	v_pk_fma_f32 v[14:15], v[188:189] /*v[444:445]*/, v[14:15], 0 op_sel_hi:[1,1,0]
	s_set_vgpr_msb 4                        ;  msbs: dst=0 src0=0 src1=1 src2=0
	v_add3_u32 v3, v8, v244 /*v500*/, v3
	s_set_vgpr_msb 21                       ;  msbs: dst=0 src0=1 src1=1 src2=1
	v_add3_u32 v8, v176 /*v432*/, v181 /*v437*/, v183 /*v439*/
	s_set_vgpr_msb 0x44                     ;  msbs: dst=1 src0=0 src1=1 src2=0
	v_mul_i32_i24_e32 v181 /*v437*/, v76, v1 /*v257*/
	v_mul_i32_i24_e32 v183 /*v439*/, v80, v3 /*v259*/
	s_set_vgpr_msb 0x45                     ;  msbs: dst=1 src0=1 src1=1 src2=0
	v_mul_i32_i24_e32 v238 /*v494*/, v45 /*v301*/, v198 /*v454*/
	s_set_vgpr_msb 20                       ;  msbs: dst=0 src0=0 src1=1 src2=1
	v_add3_u32 v3, v3, v182 /*v438*/, v186 /*v442*/
	s_set_vgpr_msb 0                        ;  msbs: dst=0 src0=0 src1=0 src2=0
	v_mul_lo_u32 v8, v8, v175
	s_set_vgpr_msb 0x44                     ;  msbs: dst=1 src0=0 src1=1 src2=0
	v_mul_i32_i24_e32 v182 /*v438*/, v78, v2 /*v258*/
	v_mul_i32_i24_e32 v186 /*v442*/, v82, v4 /*v260*/
	s_set_vgpr_msb 0x45                     ;  msbs: dst=1 src0=1 src1=1 src2=0
	v_mul_i32_i24_e32 v239 /*v495*/, v220 /*v476*/, v47 /*v303*/
	s_set_vgpr_msb 0                        ;  msbs: dst=0 src0=0 src1=0 src2=0
	v_mul_lo_u32 v3, v3, v175
	v_mul_i32_i24_e32 v76, v208, v154
	s_set_vgpr_msb 64                       ;  msbs: dst=1 src0=0 src1=0 src2=0
	v_cvt_f32_i32_e32 v176 /*v432*/, v8
	s_set_vgpr_msb 0                        ;  msbs: dst=0 src0=0 src1=0 src2=0
	v_mul_i32_i24_e32 v8, v61, v247
	s_set_vgpr_msb 64                       ;  msbs: dst=1 src0=0 src1=0 src2=0
	s_delay_alu instid0(VALU_DEP_4) | instskip(SKIP_3) | instid1(VALU_DEP_2)
	v_cvt_f32_i32_e32 v177 /*v433*/, v3
	s_set_vgpr_msb 0                        ;  msbs: dst=0 src0=0 src1=0 src2=0
	v_mul_i32_i24_e32 v3, v58, v246
	s_set_vgpr_msb 5                        ;  msbs: dst=0 src0=1 src1=1 src2=0
	v_pk_fma_f32 v[14:15], v[192:193] /*v[448:449]*/, v[176:177] /*v[432:433]*/, v[14:15]
	s_set_vgpr_msb 0x54                     ;  msbs: dst=1 src0=0 src1=1 src2=1
	v_pk_fma_f32 v[176:177] /*v[432:433]*/, v[120:121], v[184:185] /*v[440:441]*/, v[178:179] /*v[434:435]*/ op_sel_hi:[0,1,1]
	s_set_vgpr_msb 0                        ;  msbs: dst=0 src0=0 src1=0 src2=0
	v_mad_i32_i24 v3, v60, v245, v3
	s_set_vgpr_msb 64                       ;  msbs: dst=1 src0=0 src1=0 src2=0
	v_mul_i32_i24_e32 v178 /*v434*/, v70, v254
	v_mul_i32_i24_e32 v179 /*v435*/, v72, v255
	s_set_vgpr_msb 0x41                     ;  msbs: dst=1 src0=1 src1=0 src2=0
	v_pk_mul_f32 v[176:177] /*v[432:433]*/, v[176:177] /*v[432:433]*/, v[106:107]
	s_set_vgpr_msb 16                       ;  msbs: dst=0 src0=0 src1=0 src2=1
	s_delay_alu instid0(VALU_DEP_1)
	v_pk_fma_f32 v[14:15], v[14:15], v[98:99], v[176:177] /*v[432:433]*/ neg_lo:[0,0,1] neg_hi:[0,0,1]
	s_set_vgpr_msb 64                       ;  msbs: dst=1 src0=0 src1=0 src2=0
	v_mul_i32_i24_e32 v176 /*v432*/, v68, v252
	v_mul_i32_i24_e32 v177 /*v433*/, v69, v253
	s_set_vgpr_msb 0                        ;  msbs: dst=0 src0=0 src1=0 src2=0
	v_pk_add_f32 v[28:29], v[28:29], v[14:15]
	v_mul_i32_i24_e32 v14, v62, v248
	v_mul_i32_i24_e32 v15, v66, v251
	s_delay_alu instid0(VALU_DEP_2) | instskip(SKIP_2) | instid1(VALU_DEP_1)
	v_add3_u32 v3, v3, v8, v14
	v_mul_i32_i24_e32 v8, v64, v249
	v_mul_i32_i24_e32 v14, v65, v250
	v_add3_u32 v3, v3, v8, v14
	s_set_vgpr_msb 4                        ;  msbs: dst=0 src0=0 src1=1 src2=0
	v_mul_i32_i24_e32 v8, v161, v19 /*v275*/
	v_mul_i32_i24_e32 v14, v163, v16 /*v272*/
	s_set_vgpr_msb 16                       ;  msbs: dst=0 src0=0 src1=0 src2=1
	v_add3_u32 v3, v3, v15, v176 /*v432*/
	s_set_vgpr_msb 5                        ;  msbs: dst=0 src0=1 src1=1 src2=0
	v_mul_i32_i24_e32 v15, v200 /*v456*/, v22 /*v278*/
	s_set_vgpr_msb 4                        ;  msbs: dst=0 src0=0 src1=1 src2=0
	v_mad_i32_i24 v8, v162, v18 /*v274*/, v8
	s_set_vgpr_msb 0x45                     ;  msbs: dst=1 src0=1 src1=1 src2=0
	v_mul_i32_i24_e32 v176 /*v432*/, v203 /*v459*/, v20 /*v276*/
	s_set_vgpr_msb 20                       ;  msbs: dst=0 src0=0 src1=1 src2=1
	v_add3_u32 v3, v3, v177 /*v433*/, v178 /*v434*/
	s_set_vgpr_msb 0x45                     ;  msbs: dst=1 src0=1 src1=1 src2=0
	v_mul_i32_i24_e32 v177 /*v433*/, v204 /*v460*/, v27 /*v283*/
	s_set_vgpr_msb 0                        ;  msbs: dst=0 src0=0 src1=0 src2=0
	v_add3_u32 v8, v8, v14, v15
	s_set_vgpr_msb 5                        ;  msbs: dst=0 src0=1 src1=1 src2=0
	v_mul_i32_i24_e32 v14, v201 /*v457*/, v24 /*v280*/
	v_mul_i32_i24_e32 v15, v202 /*v458*/, v25 /*v281*/
	s_set_vgpr_msb 20                       ;  msbs: dst=0 src0=0 src1=1 src2=1
	v_add3_u32 v3, v3, v179 /*v435*/, v180 /*v436*/
	s_set_vgpr_msb 0x45                     ;  msbs: dst=1 src0=1 src1=1 src2=0
	v_mul_i32_i24_e32 v178 /*v434*/, v205 /*v461*/, v28 /*v284*/
	v_mul_i32_i24_e32 v179 /*v435*/, v206 /*v462*/, v29 /*v285*/
	;; [unrolled: 1-line block ×3, first 2 shown]
	s_set_vgpr_msb 0                        ;  msbs: dst=0 src0=0 src1=0 src2=0
	v_add3_u32 v8, v8, v14, v15
	s_set_vgpr_msb 20                       ;  msbs: dst=0 src0=0 src1=1 src2=1
	v_add3_u32 v3, v3, v181 /*v437*/, v182 /*v438*/
	s_set_vgpr_msb 0x45                     ;  msbs: dst=1 src0=1 src1=1 src2=0
	v_mul_i32_i24_e32 v181 /*v437*/, v194 /*v450*/, v31 /*v287*/
	v_mul_i32_i24_e32 v182 /*v438*/, v208 /*v464*/, v32 /*v288*/
	s_set_vgpr_msb 0                        ;  msbs: dst=0 src0=0 src1=0 src2=0
	v_mul_i32_i24_e32 v14, v160, v244
	s_set_vgpr_msb 20                       ;  msbs: dst=0 src0=0 src1=1 src2=1
	v_add3_u32 v8, v8, v176 /*v432*/, v177 /*v433*/
	v_add3_u32 v3, v3, v183 /*v439*/, v186 /*v442*/
	s_set_vgpr_msb 0x45                     ;  msbs: dst=1 src0=1 src1=1 src2=0
	v_mul_i32_i24_e32 v183 /*v439*/, v209 /*v465*/, v33 /*v289*/
	v_mul_i32_i24_e32 v186 /*v442*/, v210 /*v466*/, v30 /*v286*/
	s_set_vgpr_msb 0x44                     ;  msbs: dst=1 src0=0 src1=1 src2=0
	v_mul_i32_i24_e32 v177 /*v433*/, v243, v224 /*v480*/
	s_set_vgpr_msb 20                       ;  msbs: dst=0 src0=0 src1=1 src2=1
	v_add3_u32 v8, v8, v178 /*v434*/, v179 /*v435*/
	v_add3_u32 v3, v3, v187 /*v443*/, v222 /*v478*/
	s_set_vgpr_msb 0x45                     ;  msbs: dst=1 src0=1 src1=1 src2=0
	v_mul_i32_i24_e32 v187 /*v443*/, v195 /*v451*/, v34 /*v290*/
	v_mul_i32_i24_e32 v222 /*v478*/, v35 /*v291*/, v211 /*v467*/
	s_set_vgpr_msb 0                        ;  msbs: dst=0 src0=0 src1=0 src2=0
	v_mul_i32_i24_e32 v15, v243, v7
	s_set_vgpr_msb 20                       ;  msbs: dst=0 src0=0 src1=1 src2=1
	v_add3_u32 v8, v8, v180 /*v436*/, v181 /*v437*/
	v_add3_u32 v3, v3, v223 /*v479*/, v227 /*v483*/
	s_set_vgpr_msb 0x45                     ;  msbs: dst=1 src0=1 src1=1 src2=0
	v_mul_i32_i24_e32 v223 /*v479*/, v36 /*v292*/, v212 /*v468*/
	v_mul_i32_i24_e32 v227 /*v483*/, v38 /*v294*/, v213 /*v469*/
	s_set_vgpr_msb 0x44                     ;  msbs: dst=1 src0=0 src1=1 src2=0
	v_mul_i32_i24_e32 v178 /*v434*/, v113, v226 /*v482*/
	s_set_vgpr_msb 20                       ;  msbs: dst=0 src0=0 src1=1 src2=1
	v_add3_u32 v8, v8, v182 /*v438*/, v183 /*v439*/
	v_add3_u32 v3, v3, v228 /*v484*/, v229 /*v485*/
	s_set_vgpr_msb 0x45                     ;  msbs: dst=1 src0=1 src1=1 src2=0
	v_mul_i32_i24_e32 v228 /*v484*/, v37 /*v293*/, v196 /*v452*/
	v_mul_i32_i24_e32 v229 /*v485*/, v39 /*v295*/, v214 /*v470*/
	s_set_vgpr_msb 0x44                     ;  msbs: dst=1 src0=0 src1=1 src2=0
	v_mul_i32_i24_e32 v179 /*v435*/, v113, v199 /*v455*/
	s_set_vgpr_msb 20                       ;  msbs: dst=0 src0=0 src1=1 src2=1
	v_add3_u32 v8, v8, v186 /*v442*/, v187 /*v443*/
	v_add3_u32 v3, v3, v230 /*v486*/, v231 /*v487*/
	s_set_vgpr_msb 0x45                     ;  msbs: dst=1 src0=1 src1=1 src2=0
	v_mul_i32_i24_e32 v230 /*v486*/, v40 /*v296*/, v215 /*v471*/
	v_mul_i32_i24_e32 v231 /*v487*/, v42 /*v298*/, v216 /*v472*/
	s_set_vgpr_msb 16                       ;  msbs: dst=0 src0=0 src1=0 src2=1
	v_add3_u32 v10, v10, v12, v178 /*v434*/
	s_set_vgpr_msb 20                       ;  msbs: dst=0 src0=0 src1=1 src2=1
	v_add3_u32 v8, v8, v222 /*v478*/, v223 /*v479*/
	v_add3_u32 v3, v3, v232 /*v488*/, v233 /*v489*/
	s_set_vgpr_msb 0x45                     ;  msbs: dst=1 src0=1 src1=1 src2=0
	v_mul_i32_i24_e32 v232 /*v488*/, v41 /*v297*/, v197 /*v453*/
	v_mul_i32_i24_e32 v233 /*v489*/, v43 /*v299*/, v217 /*v473*/
	s_set_vgpr_msb 0                        ;  msbs: dst=0 src0=0 src1=0 src2=0
	v_mul_lo_u32 v10, v10, v119
	s_set_vgpr_msb 20                       ;  msbs: dst=0 src0=0 src1=1 src2=1
	v_add3_u32 v8, v8, v227 /*v483*/, v228 /*v484*/
	v_add3_u32 v3, v3, v234 /*v490*/, v235 /*v491*/
	s_set_vgpr_msb 0x45                     ;  msbs: dst=1 src0=1 src1=1 src2=0
	v_mul_i32_i24_e32 v234 /*v490*/, v44 /*v300*/, v218 /*v474*/
	v_mul_i32_i24_e32 v235 /*v491*/, v46 /*v302*/, v219 /*v475*/
	s_set_vgpr_msb 0                        ;  msbs: dst=0 src0=0 src1=0 src2=0
	v_mul_i32_i24_e32 v7, v181, v7
	s_set_vgpr_msb 20                       ;  msbs: dst=0 src0=0 src1=1 src2=1
	v_add3_u32 v8, v8, v229 /*v485*/, v230 /*v486*/
	v_add3_u32 v3, v3, v236 /*v492*/, v237 /*v493*/
	s_delay_alu instid0(VALU_DEP_2) | instskip(SKIP_1) | instid1(VALU_DEP_2)
	v_add3_u32 v8, v8, v231 /*v487*/, v232 /*v488*/
	s_set_vgpr_msb 16                       ;  msbs: dst=0 src0=0 src1=0 src2=1
	v_add3_u32 v3, v3, v14, v177 /*v433*/
	s_set_vgpr_msb 64                       ;  msbs: dst=1 src0=0 src1=0 src2=0
	v_mul_i32_i24_e32 v177 /*v433*/, v115, v41
	s_set_vgpr_msb 0                        ;  msbs: dst=0 src0=0 src1=0 src2=0
	v_cvt_f32_i32_e32 v12, v10
	v_mul_i32_i24_e32 v10, v66, v189
	s_set_vgpr_msb 20                       ;  msbs: dst=0 src0=0 src1=1 src2=1
	v_add3_u32 v8, v8, v233 /*v489*/, v234 /*v490*/
	s_set_vgpr_msb 0                        ;  msbs: dst=0 src0=0 src1=0 src2=0
	v_mul_lo_u32 v3, v3, v242
	v_mul_i32_i24_e32 v66, v202, v148
	s_set_vgpr_msb 4                        ;  msbs: dst=0 src0=0 src1=1 src2=0
	v_mul_i32_i24_e32 v148, v239, v198 /*v454*/
	s_set_vgpr_msb 0x54                     ;  msbs: dst=1 src0=0 src1=1 src2=1
	v_add3_u32 v176 /*v432*/, v8, v235 /*v491*/, v238 /*v494*/
	s_set_vgpr_msb 0                        ;  msbs: dst=0 src0=0 src1=0 src2=0
	v_mul_i32_i24_e32 v8, v4, v244
	v_mul_i32_i24_e32 v4, v4, v182
	s_delay_alu instid0(VALU_DEP_2)
	v_add3_u32 v8, v9, v8, v15
	v_cvt_f32_i32_e32 v9, v3
	s_set_vgpr_msb 1                        ;  msbs: dst=0 src0=1 src1=0 src2=0
	v_mul_i32_i24_e32 v3, v221 /*v477*/, v117
	s_set_vgpr_msb 4                        ;  msbs: dst=0 src0=0 src1=1 src2=0
	v_pk_fma_f32 v[14:15], v[112:113], v[190:191] /*v[446:447]*/, 0 op_sel_hi:[0,1,0]
	s_set_vgpr_msb 0                        ;  msbs: dst=0 src0=0 src1=0 src2=0
	v_add3_u32 v1, v1, v4, v7
	v_mul_lo_u32 v8, v8, v242
	s_set_vgpr_msb 4                        ;  msbs: dst=0 src0=0 src1=1 src2=0
	v_mul_i32_i24_e32 v7, v177, v225 /*v481*/
	s_set_vgpr_msb 5                        ;  msbs: dst=0 src0=1 src1=1 src2=0
	v_add3_u32 v3, v176 /*v432*/, v239 /*v495*/, v3
	s_set_vgpr_msb 4                        ;  msbs: dst=0 src0=0 src1=1 src2=0
	v_pk_fma_f32 v[4:5], v[118:119], v[190:191] /*v[446:447]*/, 0 op_sel_hi:[0,1,0]
	s_set_vgpr_msb 0                        ;  msbs: dst=0 src0=0 src1=0 src2=0
	v_mul_lo_u32 v1, v1, v180
	s_set_vgpr_msb 20                       ;  msbs: dst=0 src0=0 src1=1 src2=1
	v_add3_u32 v3, v3, v177 /*v433*/, v179 /*v435*/
	v_cvt_f32_i32_e32 v8, v8
	s_set_vgpr_msb 0                        ;  msbs: dst=0 src0=0 src1=0 src2=0
	s_delay_alu instid0(VALU_DEP_2) | instskip(SKIP_1) | instid1(VALU_DEP_2)
	v_mul_lo_u32 v3, v3, v119
	s_set_vgpr_msb 1                        ;  msbs: dst=0 src0=1 src1=0 src2=0
	v_pk_fma_f32 v[8:9], v[188:189] /*v[444:445]*/, v[8:9], 0 op_sel_hi:[1,1,0]
	s_set_vgpr_msb 0                        ;  msbs: dst=0 src0=0 src1=0 src2=0
	s_delay_alu instid0(VALU_DEP_2)
	v_cvt_f32_i32_e32 v13, v3
	v_mul_i32_i24_e32 v3, v58, v184
	v_mul_i32_i24_e32 v58, v74, v194
	;; [unrolled: 1-line block ×3, first 2 shown]
	s_set_vgpr_msb 1                        ;  msbs: dst=0 src0=1 src1=0 src2=0
	v_pk_fma_f32 v[8:9], v[192:193] /*v[448:449]*/, v[12:13], v[8:9]
	s_set_vgpr_msb 4                        ;  msbs: dst=0 src0=0 src1=1 src2=0
	v_pk_fma_f32 v[12:13], v[114:115], v[184:185] /*v[440:441]*/, v[14:15] op_sel_hi:[0,1,1]
	s_set_vgpr_msb 0                        ;  msbs: dst=0 src0=0 src1=0 src2=0
	v_mad_i32_i24 v3, v60, v183, v3
	v_mul_i32_i24_e32 v14, v70, v192
	v_mul_i32_i24_e32 v15, v72, v193
	;; [unrolled: 1-line block ×3, first 2 shown]
	v_pk_mul_f32 v[12:13], v[12:13], v[108:109]
	v_mul_i32_i24_e32 v70, v203, v151
	v_mul_i32_i24_e32 v72, v206, v152
	v_mul_i32_i24_e32 v78, v207, v155
	s_delay_alu instid0(VALU_DEP_4)
	v_pk_fma_f32 v[8:9], v[8:9], v[100:101], v[12:13] neg_lo:[0,0,1] neg_hi:[0,0,1]
	v_mul_i32_i24_e32 v12, v68, v190
	v_mul_i32_i24_e32 v13, v69, v191
	;; [unrolled: 1-line block ×4, first 2 shown]
	v_pk_add_f32 v[26:27], v[26:27], v[8:9]
	v_mul_i32_i24_e32 v8, v61, v185
	v_mul_i32_i24_e32 v9, v62, v186
	;; [unrolled: 1-line block ×6, first 2 shown]
	v_add3_u32 v3, v3, v8, v9
	v_mul_i32_i24_e32 v8, v64, v187
	v_mul_i32_i24_e32 v9, v65, v188
	;; [unrolled: 1-line block ×6, first 2 shown]
	v_add3_u32 v3, v3, v8, v9
	v_mul_i32_i24_e32 v8, v161, v213
	v_mul_i32_i24_e32 v9, v163, v210
	s_set_vgpr_msb 1                        ;  msbs: dst=0 src0=1 src1=0 src2=0
	v_mul_i32_i24_e32 v149, v220 /*v476*/, v241
	s_set_vgpr_msb 0                        ;  msbs: dst=0 src0=0 src1=0 src2=0
	v_add3_u32 v3, v3, v10, v12
	s_set_vgpr_msb 1                        ;  msbs: dst=0 src0=1 src1=0 src2=0
	v_mul_i32_i24_e32 v10, v200 /*v456*/, v216
	s_set_vgpr_msb 0                        ;  msbs: dst=0 src0=0 src1=0 src2=0
	v_mad_i32_i24 v8, v162, v212, v8
	s_set_vgpr_msb 1                        ;  msbs: dst=0 src0=1 src1=0 src2=0
	v_mul_i32_i24_e32 v12, v203 /*v459*/, v214
	s_set_vgpr_msb 0                        ;  msbs: dst=0 src0=0 src1=0 src2=0
	v_add3_u32 v3, v3, v13, v14
	s_set_vgpr_msb 1                        ;  msbs: dst=0 src0=1 src1=0 src2=0
	v_mul_i32_i24_e32 v13, v204 /*v460*/, v221
	s_set_vgpr_msb 0                        ;  msbs: dst=0 src0=0 src1=0 src2=0
	v_add3_u32 v8, v8, v9, v10
	s_set_vgpr_msb 1                        ;  msbs: dst=0 src0=1 src1=0 src2=0
	v_mul_i32_i24_e32 v9, v201 /*v457*/, v218
	v_mul_i32_i24_e32 v10, v202 /*v458*/, v219
	s_set_vgpr_msb 0                        ;  msbs: dst=0 src0=0 src1=0 src2=0
	v_add3_u32 v3, v3, v15, v58
	s_set_vgpr_msb 1                        ;  msbs: dst=0 src0=1 src1=0 src2=0
	v_mul_i32_i24_e32 v14, v205 /*v461*/, v222
	v_mul_i32_i24_e32 v15, v206 /*v462*/, v223
	;; [unrolled: 1-line block ×3, first 2 shown]
	s_set_vgpr_msb 0                        ;  msbs: dst=0 src0=0 src1=0 src2=0
	v_add3_u32 v8, v8, v9, v10
	v_add3_u32 v3, v3, v59, v60
	s_set_vgpr_msb 1                        ;  msbs: dst=0 src0=1 src1=0 src2=0
	v_mul_i32_i24_e32 v59, v194 /*v450*/, v225
	v_mul_i32_i24_e32 v60, v208 /*v464*/, v226
	s_set_vgpr_msb 0                        ;  msbs: dst=0 src0=0 src1=0 src2=0
	v_mul_i32_i24_e32 v9, v160, v182
	v_add3_u32 v8, v8, v12, v13
	v_add3_u32 v3, v3, v61, v62
	s_set_vgpr_msb 1                        ;  msbs: dst=0 src0=1 src1=0 src2=0
	v_mul_i32_i24_e32 v61, v209 /*v465*/, v227
	v_mul_i32_i24_e32 v62, v210 /*v466*/, v224
	s_set_vgpr_msb 4                        ;  msbs: dst=0 src0=0 src1=1 src2=0
	v_mul_i32_i24_e32 v10, v181, v224 /*v480*/
	s_set_vgpr_msb 0                        ;  msbs: dst=0 src0=0 src1=0 src2=0
	v_add3_u32 v8, v8, v14, v15
	v_add3_u32 v3, v3, v64, v65
	s_set_vgpr_msb 1                        ;  msbs: dst=0 src0=1 src1=0 src2=0
	v_mul_i32_i24_e32 v64, v195 /*v451*/, v228
	s_set_vgpr_msb 4                        ;  msbs: dst=0 src0=0 src1=1 src2=0
	v_mul_i32_i24_e32 v65, v229, v211 /*v467*/
	v_mul_i32_i24_e32 v12, v176, v199 /*v455*/
	s_set_vgpr_msb 0                        ;  msbs: dst=0 src0=0 src1=0 src2=0
	v_add3_u32 v8, v8, v58, v59
	v_add3_u32 v3, v3, v66, v68
	s_set_vgpr_msb 4                        ;  msbs: dst=0 src0=0 src1=1 src2=0
	v_mul_i32_i24_e32 v66, v230, v212 /*v468*/
	v_mul_i32_i24_e32 v68, v232, v213 /*v469*/
	s_set_vgpr_msb 0                        ;  msbs: dst=0 src0=0 src1=0 src2=0
	v_add3_u32 v8, v8, v60, v61
	v_add3_u32 v3, v3, v69, v70
	;; [unrolled: 6-line block ×6, first 2 shown]
	s_delay_alu instid0(VALU_DEP_2) | instskip(NEXT) | instid1(VALU_DEP_2)
	v_add3_u32 v8, v8, v74, v76
	v_add3_u32 v2, v2, v9, v10
	v_mul_i32_i24_e32 v9, v177, v41
	s_set_vgpr_msb 4                        ;  msbs: dst=0 src0=0 src1=1 src2=0
	v_mul_i32_i24_e32 v10, v176, v226 /*v482*/
	s_set_vgpr_msb 0                        ;  msbs: dst=0 src0=0 src1=0 src2=0
	v_add3_u32 v8, v8, v78, v80
	v_mul_lo_u32 v2, v2, v180
	s_delay_alu instid0(VALU_DEP_3) | instskip(NEXT) | instid1(VALU_DEP_3)
	v_add3_u32 v0, v0, v7, v10
	v_add3_u32 v8, v8, v82, v148
	s_delay_alu instid0(VALU_DEP_2) | instskip(NEXT) | instid1(VALU_DEP_4)
	v_mul_lo_u32 v0, v0, v179
	v_cvt_f32_i32_e32 v3, v2
	v_cvt_f32_i32_e32 v2, v1
	s_set_vgpr_msb 1                        ;  msbs: dst=0 src0=1 src1=0 src2=0
	v_mul_i32_i24_e32 v1, v221 /*v477*/, v178
	s_delay_alu instid0(VALU_DEP_2) | instskip(SKIP_1) | instid1(VALU_DEP_2)
	v_pk_fma_f32 v[2:3], v[188:189] /*v[444:445]*/, v[2:3], 0 op_sel_hi:[1,1,0]
	s_set_vgpr_msb 0                        ;  msbs: dst=0 src0=0 src1=0 src2=0
	v_add3_u32 v1, v8, v149, v1
	v_cvt_f32_i32_e32 v0, v0
	s_delay_alu instid0(VALU_DEP_2) | instskip(NEXT) | instid1(VALU_DEP_1)
	v_add3_u32 v1, v1, v9, v12
	v_mul_lo_u32 v1, v1, v179
	s_delay_alu instid0(VALU_DEP_1) | instskip(SKIP_1) | instid1(VALU_DEP_1)
	v_cvt_f32_i32_e32 v1, v1
	s_set_vgpr_msb 1                        ;  msbs: dst=0 src0=1 src1=0 src2=0
	v_pk_fma_f32 v[0:1], v[192:193] /*v[448:449]*/, v[0:1], v[2:3]
	s_set_vgpr_msb 4                        ;  msbs: dst=0 src0=0 src1=1 src2=0
	v_pk_fma_f32 v[2:3], v[116:117], v[184:185] /*v[440:441]*/, v[4:5] op_sel_hi:[0,1,1]
	s_set_vgpr_msb 0                        ;  msbs: dst=0 src0=0 src1=0 src2=0
	s_delay_alu instid0(VALU_DEP_1) | instskip(NEXT) | instid1(VALU_DEP_1)
	v_pk_mul_f32 v[2:3], v[2:3], v[110:111]
	v_pk_fma_f32 v[0:1], v[0:1], v[102:103], v[2:3] neg_lo:[0,0,1] neg_hi:[0,0,1]
	s_delay_alu instid0(VALU_DEP_1) | instskip(SKIP_1) | instid1(VALU_DEP_1)
	v_pk_add_f32 v[24:25], v[24:25], v[0:1]
	v_or_b32_e32 v0, s5, v142
	v_lshlrev_b32_e32 v1, 2, v0
	s_set_vgpr_msb 64                       ;  msbs: dst=1 src0=0 src1=0 src2=0
	v_lshrrev_b32_e32 v248 /*v504*/, 1, v0
	s_set_vgpr_msb 0                        ;  msbs: dst=0 src0=0 src1=0 src2=0
	ds_load_b128 v[8:11], v1 offset:16896
	ds_load_b128 v[4:7], v1 offset:16912
	;; [unrolled: 1-line block ×4, first 2 shown]
	s_wait_dscnt 0x3
	v_bfe_i32 v41, v8, 0, 8
	v_bfe_i32 v58, v8, 8, 8
	;; [unrolled: 1-line block ×3, first 2 shown]
	v_ashrrev_i32_e32 v8, 24, v8
	v_bfe_i32 v61, v9, 0, 8
	s_set_vgpr_msb 4                        ;  msbs: dst=0 src0=0 src1=1 src2=0
	v_mul_i32_i24_e32 v59, v41, v118 /*v374*/
	v_bfe_i32 v62, v9, 8, 8
	v_bfe_i32 v65, v10, 0, 8
	;; [unrolled: 1-line block ×4, first 2 shown]
	s_set_vgpr_msb 0                        ;  msbs: dst=0 src0=0 src1=0 src2=0
	v_ashrrev_i32_e32 v10, 24, v10
	s_set_vgpr_msb 0x44                     ;  msbs: dst=1 src0=0 src1=1 src2=0
	v_mul_i32_i24_e32 v180 /*v436*/, v60, v119 /*v375*/
	v_mul_i32_i24_e32 v181 /*v437*/, v8, v120 /*v376*/
	s_set_vgpr_msb 4                        ;  msbs: dst=0 src0=0 src1=1 src2=0
	v_mad_i32_i24 v59, v58, v117 /*v373*/, v59
	v_bfe_i32 v64, v9, 16, 8
	s_set_vgpr_msb 0                        ;  msbs: dst=0 src0=0 src1=0 src2=0
	v_ashrrev_i32_e32 v9, 24, v9
	s_set_vgpr_msb 0x44                     ;  msbs: dst=1 src0=0 src1=1 src2=0
	v_mul_i32_i24_e32 v184 /*v440*/, v65, v125 /*v381*/
	v_mul_i32_i24_e32 v185 /*v441*/, v66, v126 /*v382*/
	s_set_vgpr_msb 20                       ;  msbs: dst=0 src0=0 src1=1 src2=1
	v_add3_u32 v59, v59, v180 /*v436*/, v181 /*v437*/
	s_set_vgpr_msb 0x44                     ;  msbs: dst=1 src0=0 src1=1 src2=0
	v_mul_i32_i24_e32 v180 /*v436*/, v61, v121 /*v377*/
	v_mul_i32_i24_e32 v181 /*v437*/, v62, v122 /*v378*/
	;; [unrolled: 1-line block ×4, first 2 shown]
	s_set_vgpr_msb 20                       ;  msbs: dst=0 src0=0 src1=1 src2=1
	v_bfe_i32 v69, v11, 0, 8
	v_bfe_i32 v70, v11, 8, 8
	v_add3_u32 v59, v59, v180 /*v436*/, v181 /*v437*/
	s_set_vgpr_msb 0x44                     ;  msbs: dst=1 src0=0 src1=1 src2=0
	v_mul_i32_i24_e32 v186 /*v442*/, v68, v127 /*v383*/
	v_mul_i32_i24_e32 v187 /*v443*/, v10, v128 /*v384*/
	s_set_vgpr_msb 0                        ;  msbs: dst=0 src0=0 src1=0 src2=0
	v_bfe_i32 v72, v11, 16, 8
	v_ashrrev_i32_e32 v11, 24, v11
	s_set_vgpr_msb 20                       ;  msbs: dst=0 src0=0 src1=1 src2=1
	v_add3_u32 v59, v59, v182 /*v438*/, v183 /*v439*/
	s_set_vgpr_msb 0x44                     ;  msbs: dst=1 src0=0 src1=1 src2=0
	v_mul_i32_i24_e32 v188 /*v444*/, v69, v129 /*v385*/
	v_mul_i32_i24_e32 v189 /*v445*/, v70, v130 /*v386*/
	s_wait_dscnt 0x2
	s_set_vgpr_msb 20                       ;  msbs: dst=0 src0=0 src1=1 src2=1
	v_bfe_i32 v74, v4, 0, 8
	v_bfe_i32 v76, v4, 8, 8
	v_add3_u32 v59, v59, v184 /*v440*/, v185 /*v441*/
	v_bfe_i32 v78, v4, 16, 8
	s_set_vgpr_msb 0                        ;  msbs: dst=0 src0=0 src1=0 src2=0
	v_ashrrev_i32_e32 v4, 24, v4
	s_set_vgpr_msb 0x44                     ;  msbs: dst=1 src0=0 src1=1 src2=0
	v_mul_i32_i24_e32 v198 /*v454*/, v72, v131 /*v387*/
	v_mul_i32_i24_e32 v199 /*v455*/, v11, v132 /*v388*/
	s_set_vgpr_msb 20                       ;  msbs: dst=0 src0=0 src1=1 src2=1
	v_add3_u32 v59, v59, v186 /*v442*/, v187 /*v443*/
	s_set_vgpr_msb 0x44                     ;  msbs: dst=1 src0=0 src1=1 src2=0
	v_mul_i32_i24_e32 v200 /*v456*/, v74, v133 /*v389*/
	v_mul_i32_i24_e32 v201 /*v457*/, v76, v134 /*v390*/
	s_set_vgpr_msb 20                       ;  msbs: dst=0 src0=0 src1=1 src2=1
	v_bfe_i32 v80, v5, 0, 8
	v_bfe_i32 v82, v5, 8, 8
	v_add3_u32 v59, v59, v188 /*v444*/, v189 /*v445*/
	s_set_vgpr_msb 0x41                     ;  msbs: dst=1 src0=1 src1=0 src2=0
	v_mul_i32_i24_e32 v202 /*v458*/, v136 /*v392*/, v78
	v_mul_i32_i24_e32 v203 /*v459*/, v135 /*v391*/, v4
	s_set_vgpr_msb 0                        ;  msbs: dst=0 src0=0 src1=0 src2=0
	v_bfe_i32 v91, v5, 16, 8
	v_ashrrev_i32_e32 v5, 24, v5
	s_set_vgpr_msb 20                       ;  msbs: dst=0 src0=0 src1=1 src2=1
	v_add3_u32 v59, v59, v198 /*v454*/, v199 /*v455*/
	s_set_vgpr_msb 0x41                     ;  msbs: dst=1 src0=1 src1=0 src2=0
	v_mul_i32_i24_e32 v204 /*v460*/, v138 /*v394*/, v80
	v_mul_i32_i24_e32 v205 /*v461*/, v137 /*v393*/, v82
	s_set_vgpr_msb 20                       ;  msbs: dst=0 src0=0 src1=1 src2=1
	v_bfe_i32 v93, v6, 0, 8
	v_bfe_i32 v148, v6, 8, 8
	v_add3_u32 v59, v59, v200 /*v456*/, v201 /*v457*/
	v_bfe_i32 v149, v6, 16, 8
	s_set_vgpr_msb 0                        ;  msbs: dst=0 src0=0 src1=0 src2=0
	v_ashrrev_i32_e32 v6, 24, v6
	s_set_vgpr_msb 0x41                     ;  msbs: dst=1 src0=1 src1=0 src2=0
	v_mul_i32_i24_e32 v206 /*v462*/, v140 /*v396*/, v91
	v_mul_i32_i24_e32 v207 /*v463*/, v139 /*v395*/, v5
	s_set_vgpr_msb 20                       ;  msbs: dst=0 src0=0 src1=1 src2=1
	v_add3_u32 v59, v59, v202 /*v458*/, v203 /*v459*/
	s_set_vgpr_msb 0x41                     ;  msbs: dst=1 src0=1 src1=0 src2=0
	v_mul_i32_i24_e32 v208 /*v464*/, v148 /*v404*/, v93
	v_mul_i32_i24_e32 v209 /*v465*/, v141 /*v397*/, v148
	s_wait_dscnt 0x1
	s_set_vgpr_msb 0                        ;  msbs: dst=0 src0=0 src1=0 src2=0
	v_bfe_i32 v152, v12, 0, 8
	s_set_vgpr_msb 0x41                     ;  msbs: dst=1 src0=1 src1=0 src2=0
	v_mul_i32_i24_e32 v210 /*v466*/, v152 /*v408*/, v149
	s_set_vgpr_msb 20                       ;  msbs: dst=0 src0=0 src1=1 src2=1
	v_add3_u32 v59, v59, v204 /*v460*/, v205 /*v461*/
	s_set_vgpr_msb 0x41                     ;  msbs: dst=1 src0=1 src1=0 src2=0
	v_mul_i32_i24_e32 v211 /*v467*/, v149 /*v405*/, v6
	s_set_vgpr_msb 0                        ;  msbs: dst=0 src0=0 src1=0 src2=0
	v_bfe_i32 v153, v12, 8, 8
	v_bfe_i32 v154, v12, 16, 8
	v_ashrrev_i32_e32 v12, 24, v12
	s_set_vgpr_msb 20                       ;  msbs: dst=0 src0=0 src1=1 src2=1
	v_add3_u32 v59, v59, v206 /*v462*/, v207 /*v463*/
	v_bfe_i32 v155, v13, 0, 8
	v_bfe_i32 v156, v13, 8, 8
	;; [unrolled: 1-line block ×3, first 2 shown]
	s_set_vgpr_msb 0                        ;  msbs: dst=0 src0=0 src1=0 src2=0
	v_ashrrev_i32_e32 v13, 24, v13
	s_set_vgpr_msb 20                       ;  msbs: dst=0 src0=0 src1=1 src2=1
	v_add3_u32 v59, v59, v208 /*v464*/, v209 /*v465*/
	s_set_vgpr_msb 0x41                     ;  msbs: dst=1 src0=1 src1=0 src2=0
	v_mul_i32_i24_e32 v180 /*v436*/, v156 /*v412*/, v154
	v_mul_i32_i24_e32 v181 /*v437*/, v150 /*v406*/, v12
	;; [unrolled: 1-line block ×4, first 2 shown]
	s_set_vgpr_msb 0x54                     ;  msbs: dst=1 src0=0 src1=1 src2=1
	v_add3_u32 v254 /*v510*/, v59, v210 /*v466*/, v211 /*v467*/
	s_set_vgpr_msb 1                        ;  msbs: dst=0 src0=1 src1=0 src2=0
	v_mul_i32_i24_e32 v59, v157 /*v413*/, v152
	s_set_vgpr_msb 0                        ;  msbs: dst=0 src0=0 src1=0 src2=0
	v_bfe_i32 v158, v14, 0, 8
	v_bfe_i32 v159, v14, 8, 8
	;; [unrolled: 1-line block ×3, first 2 shown]
	v_ashrrev_i32_e32 v14, 24, v14
	s_set_vgpr_msb 1                        ;  msbs: dst=0 src0=1 src1=0 src2=0
	v_mad_i32_i24 v59, v155 /*v411*/, v153, v59
	s_set_vgpr_msb 0x41                     ;  msbs: dst=1 src0=1 src1=0 src2=0
	v_mul_i32_i24_e32 v184 /*v440*/, v163 /*v419*/, v158
	v_mul_i32_i24_e32 v185 /*v441*/, v162 /*v418*/, v159
	s_set_vgpr_msb 20                       ;  msbs: dst=0 src0=0 src1=1 src2=1
	v_bfe_i32 v161, v15, 0, 8
	v_bfe_i32 v162, v15, 8, 8
	v_add3_u32 v59, v59, v180 /*v436*/, v181 /*v437*/
	s_set_vgpr_msb 0x41                     ;  msbs: dst=1 src0=1 src1=0 src2=0
	v_mul_i32_i24_e32 v180 /*v436*/, v160 /*v416*/, v155
	v_mul_i32_i24_e32 v181 /*v437*/, v159 /*v415*/, v156
	s_set_vgpr_msb 0                        ;  msbs: dst=0 src0=0 src1=0 src2=0
	v_bfe_i32 v163, v15, 16, 8
	v_ashrrev_i32_e32 v15, 24, v15
	s_set_vgpr_msb 0x41                     ;  msbs: dst=1 src0=1 src1=0 src2=0
	v_mul_i32_i24_e32 v186 /*v442*/, v161 /*v417*/, v160
	v_mul_i32_i24_e32 v187 /*v443*/, v143 /*v399*/, v14
	s_set_vgpr_msb 20                       ;  msbs: dst=0 src0=0 src1=1 src2=1
	v_add3_u32 v59, v59, v180 /*v436*/, v181 /*v437*/
	s_set_vgpr_msb 0x44                     ;  msbs: dst=1 src0=0 src1=1 src2=0
	v_mul_i32_i24_e32 v180 /*v436*/, v41, v59 /*v315*/
	v_mul_i32_i24_e32 v181 /*v437*/, v60, v60 /*v316*/
	s_set_vgpr_msb 0x41                     ;  msbs: dst=1 src0=1 src1=0 src2=0
	v_mul_i32_i24_e32 v188 /*v444*/, v166 /*v422*/, v161
	v_mul_i32_i24_e32 v189 /*v445*/, v165 /*v421*/, v162
	s_set_vgpr_msb 20                       ;  msbs: dst=0 src0=0 src1=1 src2=1
	v_add3_u32 v59, v59, v182 /*v438*/, v183 /*v439*/
	s_set_vgpr_msb 0x54                     ;  msbs: dst=1 src0=0 src1=1 src2=1
	v_mul_i32_i24_e32 v182 /*v438*/, v8, v61 /*v317*/
	v_mad_i32_i24 v180 /*v436*/, v58, v58 /*v314*/, v180 /*v436*/
	v_mul_i32_i24_e32 v183 /*v439*/, v64, v64 /*v320*/
	s_wait_dscnt 0x0
	v_bfe_i32 v177 /*v433*/, v0, 0, 8
	s_set_vgpr_msb 20                       ;  msbs: dst=0 src0=0 src1=1 src2=1
	v_add3_u32 v59, v59, v184 /*v440*/, v185 /*v441*/
	s_set_vgpr_msb 0x44                     ;  msbs: dst=1 src0=0 src1=1 src2=0
	v_mul_i32_i24_e32 v184 /*v440*/, v9, v65 /*v321*/
	s_set_vgpr_msb 0x55                     ;  msbs: dst=1 src0=1 src1=1 src2=1
	v_add3_u32 v180 /*v436*/, v180 /*v436*/, v181 /*v437*/, v182 /*v438*/
	s_set_vgpr_msb 0x44                     ;  msbs: dst=1 src0=0 src1=1 src2=0
	v_mul_i32_i24_e32 v181 /*v437*/, v61, v62 /*v318*/
	v_mul_i32_i24_e32 v182 /*v438*/, v62, v63 /*v319*/
	s_set_vgpr_msb 20                       ;  msbs: dst=0 src0=0 src1=1 src2=1
	v_add3_u32 v59, v59, v186 /*v442*/, v187 /*v443*/
	s_set_vgpr_msb 0x44                     ;  msbs: dst=1 src0=0 src1=1 src2=0
	v_mul_i32_i24_e32 v185 /*v441*/, v65, v66 /*v322*/
	v_mul_i32_i24_e32 v186 /*v442*/, v66, v67 /*v323*/
	v_bfe_i32 v178 /*v434*/, v0, 8, 8
	s_set_vgpr_msb 0x55                     ;  msbs: dst=1 src0=1 src1=1 src2=1
	v_add3_u32 v180 /*v436*/, v180 /*v436*/, v181 /*v437*/, v182 /*v438*/
	s_set_vgpr_msb 0x41                     ;  msbs: dst=1 src0=1 src1=0 src2=0
	v_mul_i32_i24_e32 v198 /*v454*/, v164 /*v420*/, v163
	v_mul_i32_i24_e32 v199 /*v455*/, v144 /*v400*/, v15
	s_set_vgpr_msb 20                       ;  msbs: dst=0 src0=0 src1=1 src2=1
	v_add3_u32 v59, v59, v188 /*v444*/, v189 /*v445*/
	s_set_vgpr_msb 0x44                     ;  msbs: dst=1 src0=0 src1=1 src2=0
	v_mul_i32_i24_e32 v187 /*v443*/, v68, v68 /*v324*/
	s_set_vgpr_msb 0x55                     ;  msbs: dst=1 src0=1 src1=1 src2=1
	v_add3_u32 v180 /*v436*/, v180 /*v436*/, v183 /*v439*/, v184 /*v440*/
	s_set_vgpr_msb 0x44                     ;  msbs: dst=1 src0=0 src1=1 src2=0
	v_mul_i32_i24_e32 v188 /*v444*/, v10, v69 /*v325*/
	v_bfe_i32 v190 /*v446*/, v0, 16, 8
	s_set_vgpr_msb 0                        ;  msbs: dst=0 src0=0 src1=0 src2=0
	v_ashrrev_i32_e32 v0, 24, v0
	s_set_vgpr_msb 0x55                     ;  msbs: dst=1 src0=1 src1=1 src2=1
	v_mul_i32_i24_e32 v200 /*v456*/, v169 /*v425*/, v177 /*v433*/
	v_add3_u32 v180 /*v436*/, v180 /*v436*/, v185 /*v441*/, v186 /*v442*/
	v_mul_i32_i24_e32 v201 /*v457*/, v168 /*v424*/, v178 /*v434*/
	s_set_vgpr_msb 20                       ;  msbs: dst=0 src0=0 src1=1 src2=1
	v_add3_u32 v59, v59, v198 /*v454*/, v199 /*v455*/
	s_set_vgpr_msb 0x44                     ;  msbs: dst=1 src0=0 src1=1 src2=0
	v_mul_i32_i24_e32 v189 /*v445*/, v69, v70 /*v326*/
	v_mul_i32_i24_e32 v198 /*v454*/, v70, v71 /*v327*/
	s_set_vgpr_msb 0x55                     ;  msbs: dst=1 src0=1 src1=1 src2=1
	v_add3_u32 v180 /*v436*/, v180 /*v436*/, v187 /*v443*/, v188 /*v444*/
	s_set_vgpr_msb 64                       ;  msbs: dst=1 src0=0 src1=0 src2=0
	v_bfe_i32 v191 /*v447*/, v1, 0, 8
	v_bfe_i32 v192 /*v448*/, v1, 8, 8
	;; [unrolled: 1-line block ×3, first 2 shown]
	s_set_vgpr_msb 0                        ;  msbs: dst=0 src0=0 src1=0 src2=0
	v_ashrrev_i32_e32 v1, 24, v1
	s_set_vgpr_msb 0x45                     ;  msbs: dst=1 src0=1 src1=1 src2=0
	v_mul_i32_i24_e32 v202 /*v458*/, v167 /*v423*/, v190 /*v446*/
	s_set_vgpr_msb 0x41                     ;  msbs: dst=1 src0=1 src1=0 src2=0
	v_mul_i32_i24_e32 v203 /*v459*/, v145 /*v401*/, v0
	s_set_vgpr_msb 20                       ;  msbs: dst=0 src0=0 src1=1 src2=1
	v_add3_u32 v59, v59, v200 /*v456*/, v201 /*v457*/
	s_set_vgpr_msb 0x44                     ;  msbs: dst=1 src0=0 src1=1 src2=0
	v_mul_i32_i24_e32 v199 /*v455*/, v72, v72 /*v328*/
	v_mul_i32_i24_e32 v200 /*v456*/, v11, v73 /*v329*/
	s_set_vgpr_msb 0x55                     ;  msbs: dst=1 src0=1 src1=1 src2=1
	v_add3_u32 v180 /*v436*/, v180 /*v436*/, v189 /*v445*/, v198 /*v454*/
	v_mul_i32_i24_e32 v204 /*v460*/, v172 /*v428*/, v191 /*v447*/
	v_mul_i32_i24_e32 v205 /*v461*/, v171 /*v427*/, v192 /*v448*/
	s_set_vgpr_msb 20                       ;  msbs: dst=0 src0=0 src1=1 src2=1
	v_add3_u32 v59, v59, v202 /*v458*/, v203 /*v459*/
	s_set_vgpr_msb 0x44                     ;  msbs: dst=1 src0=0 src1=1 src2=0
	v_mul_i32_i24_e32 v201 /*v457*/, v74, v74 /*v330*/
	v_mul_i32_i24_e32 v202 /*v458*/, v76, v75 /*v331*/
	s_set_vgpr_msb 0x55                     ;  msbs: dst=1 src0=1 src1=1 src2=1
	v_add3_u32 v180 /*v436*/, v180 /*v436*/, v199 /*v455*/, v200 /*v456*/
	s_set_vgpr_msb 64                       ;  msbs: dst=1 src0=0 src1=0 src2=0
	v_bfe_i32 v194 /*v450*/, v2, 0, 8
	v_bfe_i32 v195 /*v451*/, v2, 8, 8
	s_set_vgpr_msb 0x45                     ;  msbs: dst=1 src0=1 src1=1 src2=0
	v_mul_i32_i24_e32 v206 /*v462*/, v170 /*v426*/, v193 /*v449*/
	s_set_vgpr_msb 0x41                     ;  msbs: dst=1 src0=1 src1=0 src2=0
	v_mul_i32_i24_e32 v207 /*v463*/, v146 /*v402*/, v1
	s_set_vgpr_msb 20                       ;  msbs: dst=0 src0=0 src1=1 src2=1
	v_add3_u32 v59, v59, v204 /*v460*/, v205 /*v461*/
	s_set_vgpr_msb 0x41                     ;  msbs: dst=1 src0=1 src1=0 src2=0
	v_mul_i32_i24_e32 v203 /*v459*/, v77 /*v333*/, v78
	v_mul_i32_i24_e32 v204 /*v460*/, v76 /*v332*/, v4
	s_set_vgpr_msb 0x55                     ;  msbs: dst=1 src0=1 src1=1 src2=1
	v_add3_u32 v180 /*v436*/, v180 /*v436*/, v201 /*v457*/, v202 /*v458*/
	s_set_vgpr_msb 64                       ;  msbs: dst=1 src0=0 src1=0 src2=0
	v_bfe_i32 v196 /*v452*/, v2, 16, 8
	s_set_vgpr_msb 0                        ;  msbs: dst=0 src0=0 src1=0 src2=0
	v_ashrrev_i32_e32 v2, 24, v2
	s_set_vgpr_msb 0x45                     ;  msbs: dst=1 src0=1 src1=1 src2=0
	v_mul_i32_i24_e32 v208 /*v464*/, v175 /*v431*/, v194 /*v450*/
	v_mul_i32_i24_e32 v209 /*v465*/, v174 /*v430*/, v195 /*v451*/
	s_set_vgpr_msb 20                       ;  msbs: dst=0 src0=0 src1=1 src2=1
	v_add3_u32 v59, v59, v206 /*v462*/, v207 /*v463*/
	s_set_vgpr_msb 0x41                     ;  msbs: dst=1 src0=1 src1=0 src2=0
	v_mul_i32_i24_e32 v205 /*v461*/, v79 /*v335*/, v80
	v_mul_i32_i24_e32 v206 /*v462*/, v78 /*v334*/, v82
	s_set_vgpr_msb 0x55                     ;  msbs: dst=1 src0=1 src1=1 src2=1
	v_add3_u32 v180 /*v436*/, v180 /*v436*/, v203 /*v459*/, v204 /*v460*/
	v_mul_i32_i24_e32 v210 /*v466*/, v173 /*v429*/, v196 /*v452*/
	s_set_vgpr_msb 0x41                     ;  msbs: dst=1 src0=1 src1=0 src2=0
	v_mul_i32_i24_e32 v211 /*v467*/, v147 /*v403*/, v2
	s_set_vgpr_msb 20                       ;  msbs: dst=0 src0=0 src1=1 src2=1
	v_add3_u32 v59, v59, v208 /*v464*/, v209 /*v465*/
	s_set_vgpr_msb 0x41                     ;  msbs: dst=1 src0=1 src1=0 src2=0
	v_mul_i32_i24_e32 v207 /*v463*/, v81 /*v337*/, v91
	v_mul_i32_i24_e32 v208 /*v464*/, v80 /*v336*/, v5
	s_set_vgpr_msb 0x55                     ;  msbs: dst=1 src0=1 src1=1 src2=1
	v_add3_u32 v180 /*v436*/, v180 /*v436*/, v205 /*v461*/, v206 /*v462*/
	s_set_vgpr_msb 0x41                     ;  msbs: dst=1 src0=1 src1=0 src2=0
	v_mul_i32_i24_e32 v209 /*v465*/, v83 /*v339*/, v93
	s_set_vgpr_msb 20                       ;  msbs: dst=0 src0=0 src1=1 src2=1
	v_add3_u32 v59, v59, v210 /*v466*/, v211 /*v467*/
	s_set_vgpr_msb 0x41                     ;  msbs: dst=1 src0=1 src1=0 src2=0
	v_mul_i32_i24_e32 v210 /*v466*/, v82 /*v338*/, v148
	v_mul_i32_i24_e32 v211 /*v467*/, v86 /*v342*/, v149
	s_set_vgpr_msb 0x55                     ;  msbs: dst=1 src0=1 src1=1 src2=1
	v_add3_u32 v180 /*v436*/, v180 /*v436*/, v207 /*v463*/, v208 /*v464*/
	s_set_vgpr_msb 0x41                     ;  msbs: dst=1 src0=1 src1=0 src2=0
	v_mul_i32_i24_e32 v212 /*v468*/, v84 /*v340*/, v6
	s_set_vgpr_msb 0x44                     ;  msbs: dst=1 src0=0 src1=1 src2=0
	v_mul_i32_i24_e32 v181 /*v437*/, v154, v85 /*v341*/
	v_mul_i32_i24_e32 v182 /*v438*/, v12, v91 /*v347*/
	;; [unrolled: 1-line block ×3, first 2 shown]
	s_set_vgpr_msb 0x55                     ;  msbs: dst=1 src0=1 src1=1 src2=1
	v_add3_u32 v180 /*v436*/, v180 /*v436*/, v209 /*v465*/, v210 /*v466*/
	s_set_vgpr_msb 0x44                     ;  msbs: dst=1 src0=0 src1=1 src2=0
	v_mul_i32_i24_e32 v184 /*v440*/, v13, v96 /*v352*/
	v_mul_i32_i24_e32 v185 /*v441*/, v158, v97 /*v353*/
	;; [unrolled: 1-line block ×4, first 2 shown]
	s_set_vgpr_msb 0x55                     ;  msbs: dst=1 src0=1 src1=1 src2=1
	v_add3_u32 v251 /*v507*/, v180 /*v436*/, v211 /*v467*/, v212 /*v468*/
	s_set_vgpr_msb 0x54                     ;  msbs: dst=1 src0=0 src1=1 src2=1
	v_mul_i32_i24_e32 v180 /*v436*/, v152, v88 /*v344*/
	v_mul_i32_i24_e32 v189 /*v445*/, v14, v100 /*v356*/
	;; [unrolled: 1-line block ×5, first 2 shown]
	v_mad_i32_i24 v180 /*v436*/, v153, v87 /*v343*/, v180 /*v436*/
	v_mul_i32_i24_e32 v201 /*v457*/, v15, v103 /*v359*/
	s_set_vgpr_msb 0x55                     ;  msbs: dst=1 src0=1 src1=1 src2=1
	v_mul_i32_i24_e32 v202 /*v458*/, v104 /*v360*/, v177 /*v433*/
	v_mul_i32_i24_e32 v203 /*v459*/, v105 /*v361*/, v178 /*v434*/
	;; [unrolled: 1-line block ×3, first 2 shown]
	v_add3_u32 v180 /*v436*/, v180 /*v436*/, v181 /*v437*/, v182 /*v438*/
	s_set_vgpr_msb 0x44                     ;  msbs: dst=1 src0=0 src1=1 src2=0
	v_mul_i32_i24_e32 v181 /*v437*/, v155, v93 /*v349*/
	v_mul_i32_i24_e32 v182 /*v438*/, v156, v94 /*v350*/
	s_set_vgpr_msb 0x41                     ;  msbs: dst=1 src0=1 src1=0 src2=0
	v_mul_i32_i24_e32 v205 /*v461*/, v106 /*v362*/, v0
	s_set_vgpr_msb 0x55                     ;  msbs: dst=1 src0=1 src1=1 src2=1
	v_mul_i32_i24_e32 v206 /*v462*/, v108 /*v364*/, v191 /*v447*/
	v_mul_i32_i24_e32 v207 /*v463*/, v109 /*v365*/, v192 /*v448*/
	;; [unrolled: 1-line block ×3, first 2 shown]
	v_add3_u32 v180 /*v436*/, v180 /*v436*/, v181 /*v437*/, v182 /*v438*/
	s_set_vgpr_msb 0x41                     ;  msbs: dst=1 src0=1 src1=0 src2=0
	v_mul_i32_i24_e32 v209 /*v465*/, v110 /*v366*/, v1
	s_set_vgpr_msb 0x55                     ;  msbs: dst=1 src0=1 src1=1 src2=1
	v_mul_i32_i24_e32 v210 /*v466*/, v112 /*v368*/, v194 /*v450*/
	v_mul_i32_i24_e32 v211 /*v467*/, v113 /*v369*/, v195 /*v451*/
	;; [unrolled: 1-line block ×3, first 2 shown]
	v_add3_u32 v180 /*v436*/, v180 /*v436*/, v183 /*v439*/, v184 /*v440*/
	s_set_vgpr_msb 0x41                     ;  msbs: dst=1 src0=1 src1=0 src2=0
	v_mul_i32_i24_e32 v213 /*v469*/, v114 /*v370*/, v2
	s_set_vgpr_msb 64                       ;  msbs: dst=1 src0=0 src1=0 src2=0
	v_mul_i32_i24_e32 v181 /*v437*/, v60, v247
	v_mul_i32_i24_e32 v182 /*v438*/, v8, v248
	;; [unrolled: 1-line block ×3, first 2 shown]
	s_set_vgpr_msb 0x55                     ;  msbs: dst=1 src0=1 src1=1 src2=1
	v_add3_u32 v180 /*v436*/, v180 /*v436*/, v185 /*v441*/, v186 /*v442*/
	s_set_vgpr_msb 64                       ;  msbs: dst=1 src0=0 src1=0 src2=0
	v_mul_i32_i24_e32 v184 /*v440*/, v9, v252
	s_set_vgpr_msb 0                        ;  msbs: dst=0 src0=0 src1=0 src2=0
	v_mul_i32_i24_e32 v60, v60, v185
	v_mul_i32_i24_e32 v8, v8, v186
	v_mul_i32_i24_e32 v9, v9, v190
	s_set_vgpr_msb 0x55                     ;  msbs: dst=1 src0=1 src1=1 src2=1
	v_add3_u32 v180 /*v436*/, v180 /*v436*/, v187 /*v443*/, v189 /*v445*/
	s_set_vgpr_msb 64                       ;  msbs: dst=1 src0=0 src1=0 src2=0
	v_mul_i32_i24_e32 v187 /*v443*/, v65, v253
	s_set_vgpr_msb 0x41                     ;  msbs: dst=1 src0=1 src1=0 src2=0
	v_mul_i32_i24_e32 v214 /*v470*/, v13 /*v269*/, v148
	v_mul_i32_i24_e32 v215 /*v471*/, v17 /*v273*/, v149
	;; [unrolled: 1-line block ×3, first 2 shown]
	s_set_vgpr_msb 0x55                     ;  msbs: dst=1 src0=1 src1=1 src2=1
	v_add3_u32 v180 /*v436*/, v180 /*v436*/, v198 /*v454*/, v199 /*v455*/
	s_set_vgpr_msb 64                       ;  msbs: dst=1 src0=0 src1=0 src2=0
	v_mul_i32_i24_e32 v198 /*v454*/, v66, v254
	v_mul_i32_i24_e32 v199 /*v455*/, v68, v255
	s_set_vgpr_msb 0                        ;  msbs: dst=0 src0=0 src1=0 src2=0
	v_mul_i32_i24_e32 v6, v209, v6
	s_set_vgpr_msb 0x41                     ;  msbs: dst=1 src0=1 src1=0 src2=0
	v_mul_i32_i24_e32 v218 /*v474*/, v45 /*v301*/, v2
	s_set_vgpr_msb 0x55                     ;  msbs: dst=1 src0=1 src1=1 src2=1
	v_add3_u32 v180 /*v436*/, v180 /*v436*/, v200 /*v456*/, v201 /*v457*/
	s_set_vgpr_msb 0x44                     ;  msbs: dst=1 src0=0 src1=1 src2=0
	v_mul_i32_i24_e32 v200 /*v456*/, v10, v0 /*v256*/
	v_mul_i32_i24_e32 v201 /*v457*/, v69, v1 /*v257*/
	s_set_vgpr_msb 0                        ;  msbs: dst=0 src0=0 src1=0 src2=0
	v_mul_i32_i24_e32 v10, v10, v194
	v_mul_i32_i24_e32 v2, v239, v2
	s_set_vgpr_msb 0x55                     ;  msbs: dst=1 src0=1 src1=1 src2=1
	v_add3_u32 v180 /*v436*/, v180 /*v436*/, v202 /*v458*/, v203 /*v459*/
	s_set_vgpr_msb 0x44                     ;  msbs: dst=1 src0=0 src1=1 src2=0
	v_mul_i32_i24_e32 v202 /*v458*/, v70, v2 /*v258*/
	v_mul_i32_i24_e32 v203 /*v459*/, v72, v3 /*v259*/
	s_set_vgpr_msb 0x45                     ;  msbs: dst=1 src0=1 src1=1 src2=0
	v_mul_i32_i24_e32 v217 /*v473*/, v46 /*v302*/, v196 /*v452*/
	s_set_vgpr_msb 64                       ;  msbs: dst=1 src0=0 src1=0 src2=0
	v_bfe_i32 v197 /*v453*/, v3, 0, 8
	s_set_vgpr_msb 0x55                     ;  msbs: dst=1 src0=1 src1=1 src2=1
	v_add3_u32 v180 /*v436*/, v180 /*v436*/, v204 /*v460*/, v205 /*v461*/
	s_set_vgpr_msb 0x44                     ;  msbs: dst=1 src0=0 src1=1 src2=0
	v_mul_i32_i24_e32 v204 /*v460*/, v11, v4 /*v260*/
	v_mul_i32_i24_e32 v205 /*v461*/, v74, v5 /*v261*/
	s_set_vgpr_msb 0                        ;  msbs: dst=0 src0=0 src1=0 src2=0
	v_mul_i32_i24_e32 v11, v11, v198
	s_set_vgpr_msb 0x55                     ;  msbs: dst=1 src0=1 src1=1 src2=1
	v_mul_i32_i24_e32 v255 /*v511*/, v197 /*v453*/, v151 /*v407*/
	v_add3_u32 v180 /*v436*/, v180 /*v436*/, v206 /*v462*/, v207 /*v463*/
	s_set_vgpr_msb 0x44                     ;  msbs: dst=1 src0=0 src1=1 src2=0
	v_mul_i32_i24_e32 v206 /*v462*/, v76, v6 /*v262*/
	s_set_vgpr_msb 0x41                     ;  msbs: dst=1 src0=1 src1=0 src2=0
	v_mul_i32_i24_e32 v207 /*v463*/, v8 /*v264*/, v78
	s_set_vgpr_msb 0x45                     ;  msbs: dst=1 src0=1 src1=1 src2=0
	v_mul_i32_i24_e32 v188 /*v444*/, v197 /*v453*/, v116 /*v372*/
	s_set_vgpr_msb 0                        ;  msbs: dst=0 src0=0 src1=0 src2=0
	v_bfe_i32 v150, v7, 0, 8
	s_set_vgpr_msb 0x55                     ;  msbs: dst=1 src0=1 src1=1 src2=1
	v_add3_u32 v180 /*v436*/, v180 /*v436*/, v208 /*v464*/, v209 /*v465*/
	s_set_vgpr_msb 0x41                     ;  msbs: dst=1 src0=1 src1=0 src2=0
	v_mul_i32_i24_e32 v208 /*v464*/, v7 /*v263*/, v4
	v_mul_i32_i24_e32 v209 /*v465*/, v10 /*v266*/, v80
	s_set_vgpr_msb 0                        ;  msbs: dst=0 src0=0 src1=0 src2=0
	v_mul_i32_i24_e32 v4, v201, v4
	v_bfe_i32 v151, v7, 8, 8
	s_set_vgpr_msb 0x55                     ;  msbs: dst=1 src0=1 src1=1 src2=1
	v_add3_u32 v180 /*v436*/, v180 /*v436*/, v210 /*v466*/, v211 /*v467*/
	s_set_vgpr_msb 0x41                     ;  msbs: dst=1 src0=1 src1=0 src2=0
	v_mul_i32_i24_e32 v210 /*v466*/, v9 /*v265*/, v82
	v_mul_i32_i24_e32 v211 /*v467*/, v12 /*v268*/, v91
	s_set_vgpr_msb 0x44                     ;  msbs: dst=1 src0=0 src1=1 src2=0
	v_bfe_i32 v179 /*v435*/, v7, 16, 8
	v_mul_i32_i24_e32 v252 /*v508*/, v150, v153 /*v409*/
	s_set_vgpr_msb 0x55                     ;  msbs: dst=1 src0=1 src1=1 src2=1
	v_add3_u32 v189 /*v445*/, v180 /*v436*/, v212 /*v468*/, v213 /*v469*/
	s_set_vgpr_msb 64                       ;  msbs: dst=1 src0=0 src1=0 src2=0
	v_mul_i32_i24_e32 v180 /*v436*/, v41, v246
	s_set_vgpr_msb 0                        ;  msbs: dst=0 src0=0 src1=0 src2=0
	v_mul_i32_i24_e32 v41, v41, v184
	s_set_vgpr_msb 0x41                     ;  msbs: dst=1 src0=1 src1=0 src2=0
	v_mul_i32_i24_e32 v212 /*v468*/, v11 /*v267*/, v5
	v_mul_i32_i24_e32 v213 /*v469*/, v14 /*v270*/, v93
	s_set_vgpr_msb 0                        ;  msbs: dst=0 src0=0 src1=0 src2=0
	v_mul_i32_i24_e32 v5, v205, v5
	s_set_vgpr_msb 0x50                     ;  msbs: dst=1 src0=0 src1=0 src2=1
	v_mad_i32_i24 v180 /*v436*/, v58, v245, v180 /*v436*/
	s_set_vgpr_msb 0                        ;  msbs: dst=0 src0=0 src1=0 src2=0
	v_mad_i32_i24 v41, v58, v183, v41
	v_mul_i32_i24_e32 v58, v62, v188
	s_set_vgpr_msb 0x44                     ;  msbs: dst=1 src0=0 src1=1 src2=0
	v_mul_i32_i24_e32 v253 /*v509*/, v151, v154 /*v410*/
	v_bfe_i32 v176 /*v432*/, v3, 8, 8
	s_set_vgpr_msb 0x55                     ;  msbs: dst=1 src0=1 src1=1 src2=1
	v_add3_u32 v180 /*v436*/, v180 /*v436*/, v181 /*v437*/, v182 /*v438*/
	s_set_vgpr_msb 64                       ;  msbs: dst=1 src0=0 src1=0 src2=0
	v_mul_i32_i24_e32 v181 /*v437*/, v61, v249
	v_mul_i32_i24_e32 v182 /*v438*/, v62, v250
	s_set_vgpr_msb 0                        ;  msbs: dst=0 src0=0 src1=0 src2=0
	v_add3_u32 v8, v41, v60, v8
	v_mul_i32_i24_e32 v41, v61, v187
	v_mul_i32_i24_e32 v60, v64, v189
	;; [unrolled: 1-line block ×3, first 2 shown]
	s_set_vgpr_msb 0x55                     ;  msbs: dst=1 src0=1 src1=1 src2=1
	v_add3_u32 v180 /*v436*/, v180 /*v436*/, v181 /*v437*/, v182 /*v438*/
	s_set_vgpr_msb 0                        ;  msbs: dst=0 src0=0 src1=0 src2=0
	v_mul_i32_i24_e32 v62, v66, v192
	v_add3_u32 v8, v8, v41, v58
	v_mul_i32_i24_e32 v64, v68, v193
	v_mul_i32_i24_e32 v65, v69, v195
	s_set_vgpr_msb 0x55                     ;  msbs: dst=1 src0=1 src1=1 src2=1
	v_add3_u32 v180 /*v436*/, v180 /*v436*/, v183 /*v439*/, v184 /*v440*/
	s_set_vgpr_msb 0                        ;  msbs: dst=0 src0=0 src1=0 src2=0
	v_mul_i32_i24_e32 v66, v70, v196
	v_add3_u32 v8, v8, v60, v9
	v_mul_i32_i24_e32 v68, v72, v197
	v_mul_i32_i24_e32 v69, v74, v199
	;; [unrolled: 7-line block ×3, first 2 shown]
	s_set_vgpr_msb 0x55                     ;  msbs: dst=1 src0=1 src1=1 src2=1
	v_add3_u32 v180 /*v436*/, v180 /*v436*/, v199 /*v455*/, v200 /*v456*/
	s_set_vgpr_msb 0                        ;  msbs: dst=0 src0=0 src1=0 src2=0
	v_mul_i32_i24_e32 v76, v203, v82
	v_add3_u32 v8, v8, v64, v10
	v_mul_i32_i24_e32 v78, v206, v91
	s_set_vgpr_msb 0x44                     ;  msbs: dst=1 src0=0 src1=1 src2=0
	v_mul_i32_i24_e32 v181 /*v437*/, v154, v16 /*v272*/
	s_set_vgpr_msb 0x55                     ;  msbs: dst=1 src0=1 src1=1 src2=1
	v_add3_u32 v180 /*v436*/, v180 /*v436*/, v201 /*v457*/, v202 /*v458*/
	s_set_vgpr_msb 0x44                     ;  msbs: dst=1 src0=0 src1=1 src2=0
	v_mul_i32_i24_e32 v182 /*v438*/, v12, v22 /*v278*/
	s_set_vgpr_msb 0                        ;  msbs: dst=0 src0=0 src1=0 src2=0
	v_add3_u32 v8, v8, v65, v66
	v_mul_i32_i24_e32 v80, v208, v93
	v_mul_i32_i24_e32 v82, v207, v148
	s_set_vgpr_msb 0x55                     ;  msbs: dst=1 src0=1 src1=1 src2=1
	v_add3_u32 v180 /*v436*/, v180 /*v436*/, v203 /*v459*/, v204 /*v460*/
	s_set_vgpr_msb 0                        ;  msbs: dst=0 src0=0 src1=0 src2=0
	v_mul_i32_i24_e32 v91, v211, v149
	v_add3_u32 v8, v8, v68, v11
	v_mul_i32_i24_e32 v9, v13, v221
	v_mul_i32_i24_e32 v10, v158, v222
	s_set_vgpr_msb 0x55                     ;  msbs: dst=1 src0=1 src1=1 src2=1
	v_add3_u32 v180 /*v436*/, v180 /*v436*/, v205 /*v461*/, v206 /*v462*/
	s_set_vgpr_msb 0                        ;  msbs: dst=0 src0=0 src1=0 src2=0
	v_mul_i32_i24_e32 v11, v159, v223
	v_add3_u32 v8, v8, v69, v70
	s_set_vgpr_msb 0x44                     ;  msbs: dst=1 src0=0 src1=1 src2=0
	v_mul_i32_i24_e32 v198 /*v454*/, v13, v27 /*v283*/
	s_set_vgpr_msb 0                        ;  msbs: dst=0 src0=0 src1=0 src2=0
	v_mul_i32_i24_e32 v13, v14, v225
	s_set_vgpr_msb 0x55                     ;  msbs: dst=1 src0=1 src1=1 src2=1
	v_add3_u32 v180 /*v436*/, v180 /*v436*/, v207 /*v463*/, v208 /*v464*/
	s_set_vgpr_msb 0x44                     ;  msbs: dst=1 src0=0 src1=1 src2=0
	v_mul_i32_i24_e32 v202 /*v458*/, v14, v31 /*v287*/
	s_set_vgpr_msb 0                        ;  msbs: dst=0 src0=0 src1=0 src2=0
	v_add3_u32 v4, v8, v72, v4
	v_mul_i32_i24_e32 v8, v157, v214
	v_mul_i32_i24_e32 v14, v161, v226
	s_set_vgpr_msb 0x55                     ;  msbs: dst=1 src0=1 src1=1 src2=1
	v_add3_u32 v180 /*v436*/, v180 /*v436*/, v209 /*v465*/, v210 /*v466*/
	s_set_vgpr_msb 0                        ;  msbs: dst=0 src0=0 src1=0 src2=0
	v_mul_i32_i24_e32 v41, v162, v227
	v_add3_u32 v4, v4, v74, v76
	s_set_vgpr_msb 0x44                     ;  msbs: dst=1 src0=0 src1=1 src2=0
	v_mul_i32_i24_e32 v206 /*v462*/, v15, v34 /*v290*/
	s_set_vgpr_msb 0                        ;  msbs: dst=0 src0=0 src1=0 src2=0
	v_mul_i32_i24_e32 v58, v163, v224
	s_set_vgpr_msb 0x55                     ;  msbs: dst=1 src0=1 src1=1 src2=1
	v_add3_u32 v180 /*v436*/, v180 /*v436*/, v211 /*v467*/, v212 /*v468*/
	s_set_vgpr_msb 0                        ;  msbs: dst=0 src0=0 src1=0 src2=0
	v_mul_i32_i24_e32 v15, v15, v228
	v_add3_u32 v4, v4, v78, v5
	v_mul_i32_i24_e32 v5, v154, v210
	s_set_vgpr_msb 4                        ;  msbs: dst=0 src0=0 src1=1 src2=0
	v_mul_i32_i24_e32 v60, v229, v177 /*v433*/
	s_set_vgpr_msb 0x55                     ;  msbs: dst=1 src0=1 src1=1 src2=1
	v_add3_u32 v180 /*v436*/, v180 /*v436*/, v213 /*v469*/, v214 /*v470*/
	s_set_vgpr_msb 4                        ;  msbs: dst=0 src0=0 src1=1 src2=0
	v_mul_i32_i24_e32 v61, v230, v178 /*v434*/
	s_set_vgpr_msb 0                        ;  msbs: dst=0 src0=0 src1=0 src2=0
	v_add3_u32 v4, v4, v80, v82
	s_set_vgpr_msb 0x41                     ;  msbs: dst=1 src0=1 src1=0 src2=0
	v_mul_i32_i24_e32 v210 /*v466*/, v37 /*v293*/, v0
	s_set_vgpr_msb 4                        ;  msbs: dst=0 src0=0 src1=1 src2=0
	v_mul_i32_i24_e32 v62, v232, v190 /*v446*/
	s_set_vgpr_msb 0x55                     ;  msbs: dst=1 src0=1 src1=1 src2=1
	v_add3_u32 v187 /*v443*/, v180 /*v436*/, v215 /*v471*/, v216 /*v472*/
	s_set_vgpr_msb 0x44                     ;  msbs: dst=1 src0=0 src1=1 src2=0
	v_mul_i32_i24_e32 v180 /*v436*/, v152, v19 /*v275*/
	s_set_vgpr_msb 0                        ;  msbs: dst=0 src0=0 src1=0 src2=0
	v_mul_i32_i24_e32 v0, v231, v0
	s_set_vgpr_msb 0x44                     ;  msbs: dst=1 src0=0 src1=1 src2=0
	v_mul_i32_i24_e32 v184 /*v440*/, v157, v20 /*v276*/
	s_set_vgpr_msb 4                        ;  msbs: dst=0 src0=0 src1=1 src2=0
	v_mul_i32_i24_e32 v64, v233, v191 /*v447*/
	v_mul_i32_i24_e32 v65, v234, v192 /*v448*/
	s_set_vgpr_msb 0x54                     ;  msbs: dst=1 src0=0 src1=1 src2=1
	v_mad_i32_i24 v180 /*v436*/, v153, v18 /*v274*/, v180 /*v436*/
	v_mul_i32_i24_e32 v199 /*v455*/, v158, v28 /*v284*/
	v_mul_i32_i24_e32 v200 /*v456*/, v159, v29 /*v285*/
	s_set_vgpr_msb 0x41                     ;  msbs: dst=1 src0=1 src1=0 src2=0
	v_mul_i32_i24_e32 v214 /*v470*/, v41 /*v297*/, v1
	s_set_vgpr_msb 4                        ;  msbs: dst=0 src0=0 src1=1 src2=0
	v_mul_i32_i24_e32 v66, v236, v193 /*v449*/
	s_set_vgpr_msb 0x55                     ;  msbs: dst=1 src0=1 src1=1 src2=1
	v_add3_u32 v180 /*v436*/, v180 /*v436*/, v181 /*v437*/, v182 /*v438*/
	s_set_vgpr_msb 0x44                     ;  msbs: dst=1 src0=0 src1=1 src2=0
	v_mul_i32_i24_e32 v181 /*v437*/, v155, v24 /*v280*/
	v_mul_i32_i24_e32 v182 /*v438*/, v156, v25 /*v281*/
	s_set_vgpr_msb 0                        ;  msbs: dst=0 src0=0 src1=0 src2=0
	v_mul_i32_i24_e32 v1, v235, v1
	s_set_vgpr_msb 0x44                     ;  msbs: dst=1 src0=0 src1=1 src2=0
	v_mul_i32_i24_e32 v201 /*v457*/, v160, v26 /*v282*/
	s_set_vgpr_msb 4                        ;  msbs: dst=0 src0=0 src1=1 src2=0
	v_mul_i32_i24_e32 v68, v237, v194 /*v450*/
	v_mul_i32_i24_e32 v69, v238, v195 /*v451*/
	s_set_vgpr_msb 0x55                     ;  msbs: dst=1 src0=1 src1=1 src2=1
	v_add3_u32 v180 /*v436*/, v180 /*v436*/, v181 /*v437*/, v182 /*v438*/
	s_set_vgpr_msb 64                       ;  msbs: dst=1 src0=0 src1=0 src2=0
	v_add3_u32 v182 /*v438*/, v4, v91, v6
	s_set_vgpr_msb 0                        ;  msbs: dst=0 src0=0 src1=0 src2=0
	v_mul_i32_i24_e32 v4, v152, v213
	v_mul_i32_i24_e32 v6, v12, v216
	;; [unrolled: 1-line block ×3, first 2 shown]
	s_set_vgpr_msb 0x55                     ;  msbs: dst=1 src0=1 src1=1 src2=1
	v_add3_u32 v180 /*v436*/, v180 /*v436*/, v184 /*v440*/, v198 /*v454*/
	s_set_vgpr_msb 0x44                     ;  msbs: dst=1 src0=0 src1=1 src2=0
	v_mul_i32_i24_e32 v203 /*v459*/, v161, v32 /*v288*/
	s_set_vgpr_msb 0                        ;  msbs: dst=0 src0=0 src1=0 src2=0
	v_mad_i32_i24 v4, v153, v212, v4
	s_set_vgpr_msb 0x44                     ;  msbs: dst=1 src0=0 src1=1 src2=0
	v_mul_i32_i24_e32 v204 /*v460*/, v162, v33 /*v289*/
	s_set_vgpr_msb 4                        ;  msbs: dst=0 src0=0 src1=1 src2=0
	v_mul_i32_i24_e32 v70, v240, v196 /*v452*/
	s_set_vgpr_msb 0x55                     ;  msbs: dst=1 src0=1 src1=1 src2=1
	v_add3_u32 v180 /*v436*/, v180 /*v436*/, v199 /*v455*/, v200 /*v456*/
	s_set_vgpr_msb 0x44                     ;  msbs: dst=1 src0=0 src1=1 src2=0
	v_mul_i32_i24_e32 v205 /*v461*/, v163, v30 /*v286*/
	s_set_vgpr_msb 0                        ;  msbs: dst=0 src0=0 src1=0 src2=0
	v_add3_u32 v4, v4, v5, v6
	v_mul_i32_i24_e32 v5, v155, v218
	v_mul_i32_i24_e32 v6, v156, v219
	s_set_vgpr_msb 0x55                     ;  msbs: dst=1 src0=1 src1=1 src2=1
	v_add3_u32 v180 /*v436*/, v180 /*v436*/, v201 /*v457*/, v202 /*v458*/
	v_mul_i32_i24_e32 v208 /*v464*/, v36 /*v292*/, v178 /*v434*/
	v_mul_i32_i24_e32 v207 /*v463*/, v35 /*v291*/, v177 /*v433*/
	v_mul_i32_i24_e32 v209 /*v465*/, v38 /*v294*/, v190 /*v446*/
	s_set_vgpr_msb 0                        ;  msbs: dst=0 src0=0 src1=0 src2=0
	v_add3_u32 v4, v4, v5, v6
	s_set_vgpr_msb 0x55                     ;  msbs: dst=1 src0=1 src1=1 src2=1
	v_add3_u32 v180 /*v436*/, v180 /*v436*/, v203 /*v459*/, v204 /*v460*/
	v_mul_i32_i24_e32 v211 /*v467*/, v39 /*v295*/, v191 /*v447*/
	v_mul_i32_i24_e32 v212 /*v468*/, v40 /*v296*/, v192 /*v448*/
	v_mul_i32_i24_e32 v213 /*v469*/, v42 /*v298*/, v193 /*v449*/
	s_set_vgpr_msb 0                        ;  msbs: dst=0 src0=0 src1=0 src2=0
	v_add3_u32 v4, v4, v8, v9
	;; [unrolled: 7-line block ×3, first 2 shown]
	s_set_vgpr_msb 0x55                     ;  msbs: dst=1 src0=1 src1=1 src2=1
	v_add3_u32 v180 /*v436*/, v180 /*v436*/, v207 /*v463*/, v208 /*v464*/
	s_set_vgpr_msb 0x41                     ;  msbs: dst=1 src0=1 src1=0 src2=0
	v_mul_i32_i24_e32 v177 /*v433*/, v197 /*v453*/, v241
	s_set_vgpr_msb 0x44                     ;  msbs: dst=1 src0=0 src1=1 src2=0
	v_mul_i32_i24_e32 v249 /*v505*/, v150, v90 /*v346*/
	v_mul_i32_i24_e32 v250 /*v506*/, v151, v92 /*v348*/
	s_set_vgpr_msb 0                        ;  msbs: dst=0 src0=0 src1=0 src2=0
	v_add3_u32 v4, v4, v12, v13
	s_set_vgpr_msb 0x55                     ;  msbs: dst=1 src0=1 src1=1 src2=1
	v_add3_u32 v180 /*v436*/, v180 /*v436*/, v209 /*v465*/, v210 /*v466*/
	s_set_vgpr_msb 0x44                     ;  msbs: dst=1 src0=0 src1=1 src2=0
	v_mul_i32_i24_e32 v185 /*v441*/, v150, v21 /*v277*/
	v_mul_i32_i24_e32 v186 /*v442*/, v151, v23 /*v279*/
	s_set_vgpr_msb 64                       ;  msbs: dst=1 src0=0 src1=0 src2=0
	v_mul_i32_i24_e32 v181 /*v437*/, v151, v217
	s_set_vgpr_msb 0                        ;  msbs: dst=0 src0=0 src1=0 src2=0
	v_add3_u32 v4, v4, v14, v41
	s_set_vgpr_msb 0x55                     ;  msbs: dst=1 src0=1 src1=1 src2=1
	v_add3_u32 v180 /*v436*/, v180 /*v436*/, v211 /*v467*/, v212 /*v468*/
	s_set_vgpr_msb 0                        ;  msbs: dst=0 src0=0 src1=0 src2=0
	s_delay_alu instid0(VALU_DEP_2) | instskip(SKIP_1) | instid1(VALU_DEP_2)
	v_add3_u32 v4, v4, v58, v15
	s_set_vgpr_msb 0x55                     ;  msbs: dst=1 src0=1 src1=1 src2=1
	v_add3_u32 v180 /*v436*/, v180 /*v436*/, v213 /*v469*/, v214 /*v470*/
	s_set_vgpr_msb 0                        ;  msbs: dst=0 src0=0 src1=0 src2=0
	s_delay_alu instid0(VALU_DEP_2) | instskip(SKIP_1) | instid1(VALU_DEP_2)
	;; [unrolled: 5-line block ×3, first 2 shown]
	v_add3_u32 v0, v4, v62, v0
	s_set_vgpr_msb 0x55                     ;  msbs: dst=1 src0=1 src1=1 src2=1
	v_add3_u32 v184 /*v440*/, v180 /*v436*/, v217 /*v473*/, v218 /*v474*/
	s_set_vgpr_msb 64                       ;  msbs: dst=1 src0=0 src1=0 src2=0
	v_mul_i32_i24_e32 v180 /*v436*/, v150, v215
	s_set_vgpr_msb 0                        ;  msbs: dst=0 src0=0 src1=0 src2=0
	v_add3_u32 v0, v0, v64, v65
	s_delay_alu instid0(VALU_DEP_1) | instskip(NEXT) | instid1(VALU_DEP_1)
	v_add3_u32 v0, v0, v66, v1
	v_add3_u32 v0, v0, v68, v69
	s_set_vgpr_msb 64                       ;  msbs: dst=1 src0=0 src1=0 src2=0
	s_delay_alu instid0(VALU_DEP_1)
	v_add3_u32 v178 /*v434*/, v0, v70, v2
	s_set_vgpr_msb 0                        ;  msbs: dst=0 src0=0 src1=0 src2=0
	v_or_b32_e32 v0, s5, v143
	s_add_co_i32 s5, s4, 8
	s_cmp_lt_u32 s4, 24
	s_mov_b32 s4, s5
	s_delay_alu instid0(VALU_DEP_1)
	v_dual_lshlrev_b32 v1, 2, v0 :: v_dual_lshrrev_b32 v0, 1, v0
	s_set_vgpr_msb 64                       ;  msbs: dst=1 src0=0 src1=0 src2=0
	ds_load_b128 v[190:193] /*v[446:449]*/, v1 offset:16896
	s_set_vgpr_msb 0                        ;  msbs: dst=0 src0=0 src1=0 src2=0
	ds_load_b128 v[12:15], v1 offset:16912
	s_set_vgpr_msb 64                       ;  msbs: dst=1 src0=0 src1=0 src2=0
	ds_load_b128 v[198:201] /*v[454:457]*/, v1 offset:16928
	s_set_vgpr_msb 0                        ;  msbs: dst=0 src0=0 src1=0 src2=0
	ds_load_b128 v[8:11], v1 offset:16944
	s_wait_dscnt 0x3
	s_set_vgpr_msb 0x41                     ;  msbs: dst=1 src0=1 src1=0 src2=0
	v_bfe_i32 v245 /*v501*/, v190 /*v446*/, 0, 8
	v_bfe_i32 v218 /*v474*/, v190 /*v446*/, 8, 8
	;; [unrolled: 1-line block ×3, first 2 shown]
	s_set_vgpr_msb 0x44                     ;  msbs: dst=1 src0=0 src1=1 src2=0
	v_ashrrev_i32_e32 v247 /*v503*/, 24, v190 /*v446*/
	s_set_vgpr_msb 0x41                     ;  msbs: dst=1 src0=1 src1=0 src2=0
	v_bfe_i32 v219 /*v475*/, v191 /*v447*/, 0, 8
	s_set_vgpr_msb 5                        ;  msbs: dst=0 src0=1 src1=1 src2=0
	v_mul_i32_i24_e32 v1, v245 /*v501*/, v118 /*v374*/
	s_set_vgpr_msb 0x41                     ;  msbs: dst=1 src0=1 src1=0 src2=0
	v_bfe_i32 v220 /*v476*/, v191 /*v447*/, 8, 8
	s_set_vgpr_msb 5                        ;  msbs: dst=0 src0=1 src1=1 src2=0
	v_mul_i32_i24_e32 v2, v246 /*v502*/, v119 /*v375*/
	v_mul_i32_i24_e32 v4, v247 /*v503*/, v120 /*v376*/
	s_set_vgpr_msb 0x41                     ;  msbs: dst=1 src0=1 src1=0 src2=0
	v_bfe_i32 v221 /*v477*/, v191 /*v447*/, 16, 8
	s_set_vgpr_msb 5                        ;  msbs: dst=0 src0=1 src1=1 src2=0
	v_mad_i32_i24 v1, v218 /*v474*/, v117 /*v373*/, v1
	s_set_vgpr_msb 0x44                     ;  msbs: dst=1 src0=0 src1=1 src2=0
	v_dual_ashrrev_i32 v222 /*v478*/, 24, v191 /*v447*/ :: v_dual_ashrrev_i32 v230 /*v486*/, 24, v193 /*v449*/
	s_set_vgpr_msb 0x41                     ;  msbs: dst=1 src0=1 src1=0 src2=0
	v_bfe_i32 v223 /*v479*/, v192 /*v448*/, 0, 8
	v_bfe_i32 v224 /*v480*/, v192 /*v448*/, 8, 8
	s_set_vgpr_msb 0                        ;  msbs: dst=0 src0=0 src1=0 src2=0
	v_add3_u32 v1, v1, v2, v4
	s_set_vgpr_msb 5                        ;  msbs: dst=0 src0=1 src1=1 src2=0
	v_mul_i32_i24_e32 v2, v219 /*v475*/, v121 /*v377*/
	v_mul_i32_i24_e32 v4, v220 /*v476*/, v122 /*v378*/
	;; [unrolled: 1-line block ×4, first 2 shown]
	s_set_vgpr_msb 0x41                     ;  msbs: dst=1 src0=1 src1=0 src2=0
	v_bfe_i32 v225 /*v481*/, v192 /*v448*/, 16, 8
	s_set_vgpr_msb 0x44                     ;  msbs: dst=1 src0=0 src1=1 src2=0
	v_ashrrev_i32_e32 v226 /*v482*/, 24, v192 /*v448*/
	s_set_vgpr_msb 0                        ;  msbs: dst=0 src0=0 src1=0 src2=0
	v_add3_u32 v1, v1, v2, v4
	s_wait_dscnt 0x0
	s_set_vgpr_msb 64                       ;  msbs: dst=1 src0=0 src1=0 src2=0
	v_dual_ashrrev_i32 v242 /*v498*/, 24, v14 :: v_dual_ashrrev_i32 v205 /*v461*/, 24, v8
	v_bfe_i32 v202 /*v458*/, v8, 0, 8
	v_bfe_i32 v203 /*v459*/, v8, 8, 8
	;; [unrolled: 1-line block ×6, first 2 shown]
	v_dual_ashrrev_i32 v209 /*v465*/, 24, v9 :: v_dual_ashrrev_i32 v213 /*v469*/, 24, v10
	s_set_vgpr_msb 5                        ;  msbs: dst=0 src0=1 src1=1 src2=0
	v_mul_i32_i24_e32 v8, v223 /*v479*/, v125 /*v381*/
	v_mul_i32_i24_e32 v9, v224 /*v480*/, v126 /*v382*/
	s_set_vgpr_msb 0                        ;  msbs: dst=0 src0=0 src1=0 src2=0
	v_add3_u32 v1, v1, v5, v6
	s_set_vgpr_msb 0x41                     ;  msbs: dst=1 src0=1 src1=0 src2=0
	v_bfe_i32 v227 /*v483*/, v193 /*v449*/, 0, 8
	v_bfe_i32 v228 /*v484*/, v193 /*v449*/, 8, 8
	s_set_vgpr_msb 64                       ;  msbs: dst=1 src0=0 src1=0 src2=0
	v_bfe_i32 v210 /*v466*/, v10, 0, 8
	v_bfe_i32 v211 /*v467*/, v10, 8, 8
	;; [unrolled: 1-line block ×3, first 2 shown]
	s_set_vgpr_msb 5                        ;  msbs: dst=0 src0=1 src1=1 src2=0
	v_mul_i32_i24_e32 v10, v225 /*v481*/, v127 /*v383*/
	v_mul_i32_i24_e32 v41, v226 /*v482*/, v128 /*v384*/
	s_set_vgpr_msb 0                        ;  msbs: dst=0 src0=0 src1=0 src2=0
	v_add3_u32 v1, v1, v8, v9
	s_set_vgpr_msb 0x41                     ;  msbs: dst=1 src0=1 src1=0 src2=0
	v_bfe_i32 v229 /*v485*/, v193 /*v449*/, 16, 8
	s_set_vgpr_msb 5                        ;  msbs: dst=0 src0=1 src1=1 src2=0
	v_mul_i32_i24_e32 v58, v227 /*v483*/, v129 /*v385*/
	v_mul_i32_i24_e32 v60, v228 /*v484*/, v130 /*v386*/
	s_set_vgpr_msb 64                       ;  msbs: dst=1 src0=0 src1=0 src2=0
	v_bfe_i32 v231 /*v487*/, v12, 0, 8
	s_set_vgpr_msb 0                        ;  msbs: dst=0 src0=0 src1=0 src2=0
	v_add3_u32 v1, v1, v10, v41
	s_set_vgpr_msb 64                       ;  msbs: dst=1 src0=0 src1=0 src2=0
	v_bfe_i32 v232 /*v488*/, v12, 8, 8
	s_set_vgpr_msb 5                        ;  msbs: dst=0 src0=1 src1=1 src2=0
	v_mul_i32_i24_e32 v61, v229 /*v485*/, v131 /*v387*/
	v_mul_i32_i24_e32 v62, v230 /*v486*/, v132 /*v388*/
	s_set_vgpr_msb 64                       ;  msbs: dst=1 src0=0 src1=0 src2=0
	v_bfe_i32 v233 /*v489*/, v12, 16, 8
	s_set_vgpr_msb 0                        ;  msbs: dst=0 src0=0 src1=0 src2=0
	v_add3_u32 v1, v1, v58, v60
	s_set_vgpr_msb 64                       ;  msbs: dst=1 src0=0 src1=0 src2=0
	v_dual_ashrrev_i32 v234 /*v490*/, 24, v12 :: v_dual_ashrrev_i32 v238 /*v494*/, 24, v13
	s_set_vgpr_msb 5                        ;  msbs: dst=0 src0=1 src1=1 src2=0
	v_mul_i32_i24_e32 v64, v231 /*v487*/, v133 /*v389*/
	v_mul_i32_i24_e32 v65, v232 /*v488*/, v134 /*v390*/
	s_set_vgpr_msb 0                        ;  msbs: dst=0 src0=0 src1=0 src2=0
	v_add3_u32 v1, v1, v61, v62
	s_set_vgpr_msb 64                       ;  msbs: dst=1 src0=0 src1=0 src2=0
	v_bfe_i32 v235 /*v491*/, v13, 0, 8
	v_bfe_i32 v236 /*v492*/, v13, 8, 8
	s_set_vgpr_msb 5                        ;  msbs: dst=0 src0=1 src1=1 src2=0
	v_mul_i32_i24_e32 v66, v136 /*v392*/, v233 /*v489*/
	v_mul_i32_i24_e32 v68, v135 /*v391*/, v234 /*v490*/
	s_set_vgpr_msb 0                        ;  msbs: dst=0 src0=0 src1=0 src2=0
	v_add3_u32 v1, v1, v64, v65
	s_set_vgpr_msb 64                       ;  msbs: dst=1 src0=0 src1=0 src2=0
	v_bfe_i32 v237 /*v493*/, v13, 16, 8
	s_set_vgpr_msb 5                        ;  msbs: dst=0 src0=1 src1=1 src2=0
	v_mul_i32_i24_e32 v69, v138 /*v394*/, v235 /*v491*/
	v_mul_i32_i24_e32 v70, v137 /*v393*/, v236 /*v492*/
	s_set_vgpr_msb 64                       ;  msbs: dst=1 src0=0 src1=0 src2=0
	v_bfe_i32 v239 /*v495*/, v14, 0, 8
	s_set_vgpr_msb 0                        ;  msbs: dst=0 src0=0 src1=0 src2=0
	v_add3_u32 v1, v1, v66, v68
	s_set_vgpr_msb 64                       ;  msbs: dst=1 src0=0 src1=0 src2=0
	v_bfe_i32 v240 /*v496*/, v14, 8, 8
	s_set_vgpr_msb 5                        ;  msbs: dst=0 src0=1 src1=1 src2=0
	v_mul_i32_i24_e32 v72, v140 /*v396*/, v237 /*v493*/
	v_mul_i32_i24_e32 v74, v139 /*v395*/, v238 /*v494*/
	s_set_vgpr_msb 64                       ;  msbs: dst=1 src0=0 src1=0 src2=0
	v_bfe_i32 v241 /*v497*/, v14, 16, 8
	s_set_vgpr_msb 0                        ;  msbs: dst=0 src0=0 src1=0 src2=0
	v_add3_u32 v1, v1, v69, v70
	s_set_vgpr_msb 5                        ;  msbs: dst=0 src0=1 src1=1 src2=0
	v_mul_i32_i24_e32 v76, v148 /*v404*/, v239 /*v495*/
	v_mul_i32_i24_e32 v78, v141 /*v397*/, v240 /*v496*/
	s_set_vgpr_msb 0x41                     ;  msbs: dst=1 src0=1 src1=0 src2=0
	v_bfe_i32 v215 /*v471*/, v198 /*v454*/, 0, 8
	s_set_vgpr_msb 5                        ;  msbs: dst=0 src0=1 src1=1 src2=0
	v_mul_i32_i24_e32 v80, v152 /*v408*/, v241 /*v497*/
	s_set_vgpr_msb 0                        ;  msbs: dst=0 src0=0 src1=0 src2=0
	v_add3_u32 v1, v1, v72, v74
	s_set_vgpr_msb 5                        ;  msbs: dst=0 src0=1 src1=1 src2=0
	v_mul_i32_i24_e32 v82, v149 /*v405*/, v242 /*v498*/
	v_bfe_i32 v14, v198 /*v454*/, 8, 8
	s_set_vgpr_msb 0x41                     ;  msbs: dst=1 src0=1 src1=0 src2=0
	v_bfe_i32 v216 /*v472*/, v198 /*v454*/, 16, 8
	s_set_vgpr_msb 0x44                     ;  msbs: dst=1 src0=0 src1=1 src2=0
	v_dual_ashrrev_i32 v217 /*v473*/, 24, v198 /*v454*/ :: v_dual_ashrrev_i32 v193 /*v449*/, 24, v199 /*v455*/
	s_set_vgpr_msb 0                        ;  msbs: dst=0 src0=0 src1=0 src2=0
	v_add3_u32 v1, v1, v76, v78
	s_set_vgpr_msb 0x41                     ;  msbs: dst=1 src0=1 src1=0 src2=0
	v_bfe_i32 v190 /*v446*/, v199 /*v455*/, 0, 8
	v_bfe_i32 v191 /*v447*/, v199 /*v455*/, 8, 8
	s_set_vgpr_msb 5                        ;  msbs: dst=0 src0=1 src1=1 src2=0
	v_mul_i32_i24_e32 v2, v156 /*v412*/, v216 /*v472*/
	v_mul_i32_i24_e32 v4, v150 /*v406*/, v217 /*v473*/
	s_set_vgpr_msb 0                        ;  msbs: dst=0 src0=0 src1=0 src2=0
	v_add3_u32 v10, v1, v80, v82
	s_set_vgpr_msb 5                        ;  msbs: dst=0 src0=1 src1=1 src2=0
	v_mul_i32_i24_e32 v1, v157 /*v413*/, v215 /*v471*/
	s_set_vgpr_msb 0x41                     ;  msbs: dst=1 src0=1 src1=0 src2=0
	v_bfe_i32 v192 /*v448*/, v199 /*v455*/, 16, 8
	v_bfe_i32 v194 /*v450*/, v200 /*v456*/, 0, 8
	;; [unrolled: 1-line block ×3, first 2 shown]
	s_set_vgpr_msb 5                        ;  msbs: dst=0 src0=1 src1=1 src2=0
	v_mul_i32_i24_e32 v6, v142 /*v398*/, v193 /*v449*/
	s_set_vgpr_msb 1                        ;  msbs: dst=0 src0=1 src1=0 src2=0
	v_mad_i32_i24 v1, v155 /*v411*/, v14, v1
	s_set_vgpr_msb 5                        ;  msbs: dst=0 src0=1 src1=1 src2=0
	v_mul_i32_i24_e32 v5, v158 /*v414*/, v192 /*v448*/
	s_set_vgpr_msb 0x41                     ;  msbs: dst=1 src0=1 src1=0 src2=0
	v_bfe_i32 v196 /*v452*/, v200 /*v456*/, 16, 8
	s_set_vgpr_msb 0x44                     ;  msbs: dst=1 src0=0 src1=1 src2=0
	v_ashrrev_i32_e32 v197 /*v453*/, 24, v200 /*v456*/
	s_set_vgpr_msb 5                        ;  msbs: dst=0 src0=1 src1=1 src2=0
	v_mul_i32_i24_e32 v8, v163 /*v419*/, v194 /*v450*/
	s_set_vgpr_msb 0                        ;  msbs: dst=0 src0=0 src1=0 src2=0
	v_add3_u32 v1, v1, v2, v4
	s_set_vgpr_msb 5                        ;  msbs: dst=0 src0=1 src1=1 src2=0
	v_mul_i32_i24_e32 v2, v160 /*v416*/, v190 /*v446*/
	v_mul_i32_i24_e32 v4, v159 /*v415*/, v191 /*v447*/
	;; [unrolled: 1-line block ×3, first 2 shown]
	s_set_vgpr_msb 0x41                     ;  msbs: dst=1 src0=1 src1=0 src2=0
	v_bfe_i32 v198 /*v454*/, v201 /*v457*/, 0, 8
	v_bfe_i32 v199 /*v455*/, v201 /*v457*/, 8, 8
	;; [unrolled: 1-line block ×3, first 2 shown]
	s_set_vgpr_msb 0                        ;  msbs: dst=0 src0=0 src1=0 src2=0
	v_add3_u32 v1, v1, v2, v4
	s_set_vgpr_msb 0x44                     ;  msbs: dst=1 src0=0 src1=1 src2=0
	v_ashrrev_i32_e32 v201 /*v457*/, 24, v201 /*v457*/
	s_set_vgpr_msb 5                        ;  msbs: dst=0 src0=1 src1=1 src2=0
	v_mul_i32_i24_e32 v41, v161 /*v417*/, v196 /*v452*/
	v_mul_i32_i24_e32 v58, v143 /*v399*/, v197 /*v453*/
	v_mul_i32_i24_e32 v60, v166 /*v422*/, v198 /*v454*/
	s_set_vgpr_msb 0                        ;  msbs: dst=0 src0=0 src1=0 src2=0
	v_add3_u32 v1, v1, v5, v6
	s_set_vgpr_msb 5                        ;  msbs: dst=0 src0=1 src1=1 src2=0
	v_mul_i32_i24_e32 v61, v165 /*v421*/, v199 /*v455*/
	v_mul_i32_i24_e32 v62, v164 /*v420*/, v200 /*v456*/
	;; [unrolled: 1-line block ×4, first 2 shown]
	s_set_vgpr_msb 0                        ;  msbs: dst=0 src0=0 src1=0 src2=0
	v_add3_u32 v1, v1, v8, v9
	s_set_vgpr_msb 5                        ;  msbs: dst=0 src0=1 src1=1 src2=0
	v_mul_i32_i24_e32 v66, v168 /*v424*/, v203 /*v459*/
	ds_load_b64 v[8:9], v248 /*v504*/ offset:27200
	s_set_vgpr_msb 64                       ;  msbs: dst=1 src0=0 src1=0 src2=0
	ds_load_b64 v[122:123] /*v[378:379]*/, v0 offset:27200
	s_set_vgpr_msb 5                        ;  msbs: dst=0 src0=1 src1=1 src2=0
	v_mul_i32_i24_e32 v68, v167 /*v423*/, v204 /*v460*/
	s_set_vgpr_msb 0                        ;  msbs: dst=0 src0=0 src1=0 src2=0
	v_add3_u32 v1, v1, v41, v58
	s_set_vgpr_msb 5                        ;  msbs: dst=0 src0=1 src1=1 src2=0
	v_mul_i32_i24_e32 v69, v145 /*v401*/, v205 /*v461*/
	v_mul_i32_i24_e32 v70, v172 /*v428*/, v206 /*v462*/
	;; [unrolled: 1-line block ×3, first 2 shown]
	s_set_vgpr_msb 64                       ;  msbs: dst=1 src0=0 src1=0 src2=0
	v_bfe_i32 v243 /*v499*/, v15, 0, 8
	s_set_vgpr_msb 0                        ;  msbs: dst=0 src0=0 src1=0 src2=0
	v_add3_u32 v1, v1, v60, v61
	s_set_vgpr_msb 64                       ;  msbs: dst=1 src0=0 src1=0 src2=0
	v_bfe_i32 v244 /*v500*/, v15, 8, 8
	s_set_vgpr_msb 5                        ;  msbs: dst=0 src0=1 src1=1 src2=0
	v_mul_i32_i24_e32 v74, v170 /*v426*/, v208 /*v464*/
	v_mul_i32_i24_e32 v76, v146 /*v402*/, v209 /*v465*/
	s_set_vgpr_msb 0                        ;  msbs: dst=0 src0=0 src1=0 src2=0
	v_bfe_i32 v13, v15, 16, 8
	v_add3_u32 v1, v1, v62, v64
	s_set_vgpr_msb 5                        ;  msbs: dst=0 src0=1 src1=1 src2=0
	v_mul_i32_i24_e32 v91, v243 /*v499*/, v153 /*v409*/
	v_mul_i32_i24_e32 v93, v244 /*v500*/, v154 /*v410*/
	;; [unrolled: 1-line block ×4, first 2 shown]
	s_set_vgpr_msb 0                        ;  msbs: dst=0 src0=0 src1=0 src2=0
	v_add3_u32 v1, v1, v65, v66
	s_set_vgpr_msb 64                       ;  msbs: dst=1 src0=0 src1=0 src2=0
	v_ashrrev_i32_e32 v120 /*v376*/, 24, v15
	v_ashrrev_i32_e32 v121 /*v377*/, 24, v7
	s_wait_dscnt 0x1
	s_set_vgpr_msb 0                        ;  msbs: dst=0 src0=0 src1=0 src2=0
	v_dual_lshrrev_b32 v0, 16, v8 :: v_dual_lshrrev_b32 v2, 16, v9
	v_add3_u32 v1, v1, v68, v69
	s_set_vgpr_msb 64                       ;  msbs: dst=1 src0=0 src1=0 src2=0
	v_bfe_i32 v214 /*v470*/, v11, 0, 8
	s_set_vgpr_msb 0                        ;  msbs: dst=0 src0=0 src1=0 src2=0
	v_bfe_i32 v12, v11, 8, 8
	s_set_vgpr_msb 5                        ;  msbs: dst=0 src0=1 src1=1 src2=0
	v_mul_i32_i24_e32 v82, v173 /*v429*/, v212 /*v468*/
	v_mul_i32_i24_e32 v148, v147 /*v403*/, v213 /*v469*/
	s_set_vgpr_msb 0                        ;  msbs: dst=0 src0=0 src1=0 src2=0
	v_add3_u32 v1, v1, v70, v72
	v_cvt_f32_f16_e32 v6, v8
	v_cvt_f32_f16_e32 v4, v0
	v_bfe_i32 v15, v11, 16, 8
	s_set_vgpr_msb 64                       ;  msbs: dst=1 src0=0 src1=0 src2=0
	v_ashrrev_i32_e32 v117 /*v373*/, 24, v11
	s_set_vgpr_msb 0                        ;  msbs: dst=0 src0=0 src1=0 src2=0
	v_add3_u32 v1, v1, v74, v76
	v_cvt_f32_f16_e32 v0, v9
	s_set_vgpr_msb 5                        ;  msbs: dst=0 src0=1 src1=1 src2=0
	v_mul_i32_i24_e32 v8, v179 /*v435*/, v50 /*v306*/
	s_set_vgpr_msb 4                        ;  msbs: dst=0 src0=0 src1=1 src2=0
	v_mul_i32_i24_e32 v9, v13, v50 /*v306*/
	s_set_vgpr_msb 5                        ;  msbs: dst=0 src0=1 src1=1 src2=0
	v_mul_i32_i24_e32 v11, v49 /*v305*/, v121 /*v377*/
	s_set_vgpr_msb 0                        ;  msbs: dst=0 src0=0 src1=0 src2=0
	v_add3_u32 v1, v1, v78, v80
	s_set_vgpr_msb 21                       ;  msbs: dst=0 src0=1 src1=1 src2=1
	v_mul_i32_i24_e32 v58, v49 /*v305*/, v120 /*v376*/
	v_add3_u32 v60, v254 /*v510*/, v252 /*v508*/, v253 /*v509*/
	s_set_vgpr_msb 0                        ;  msbs: dst=0 src0=0 src1=0 src2=0
	v_add3_u32 v10, v10, v91, v93
	s_set_vgpr_msb 5                        ;  msbs: dst=0 src0=1 src1=1 src2=0
	v_mul_i32_i24_e32 v149, v214 /*v470*/, v151 /*v407*/
	s_set_vgpr_msb 0                        ;  msbs: dst=0 src0=0 src1=0 src2=0
	v_add3_u32 v41, v1, v82, v148
	s_set_vgpr_msb 64                       ;  msbs: dst=1 src0=0 src1=0 src2=0
	v_bfe_i32 v118 /*v374*/, v3, 16, 8
	v_ashrrev_i32_e32 v119 /*v375*/, 24, v3
	s_set_vgpr_msb 0                        ;  msbs: dst=0 src0=0 src1=0 src2=0
	v_add3_u32 v9, v10, v9, v58
	v_add3_u32 v8, v60, v8, v11
	s_set_vgpr_msb 4                        ;  msbs: dst=0 src0=0 src1=1 src2=0
	v_mul_i32_i24_e32 v58, v12, v54 /*v310*/
	s_set_vgpr_msb 5                        ;  msbs: dst=0 src0=1 src1=1 src2=0
	v_mul_i32_i24_e32 v60, v176 /*v432*/, v54 /*v310*/
	v_mul_i32_i24_e32 v61, v53 /*v309*/, v118 /*v374*/
	s_set_vgpr_msb 1                        ;  msbs: dst=0 src0=1 src1=0 src2=0
	v_mul_i32_i24_e32 v62, v53 /*v309*/, v15
	s_set_vgpr_msb 5                        ;  msbs: dst=0 src0=1 src1=1 src2=0
	v_mul_i32_i24_e32 v64, v52 /*v308*/, v119 /*v375*/
	v_mul_i32_i24_e32 v65, v52 /*v308*/, v117 /*v373*/
	s_set_vgpr_msb 4                        ;  msbs: dst=0 src0=0 src1=1 src2=0
	v_add3_u32 v59, v59, v255 /*v511*/, v60
	s_set_vgpr_msb 0                        ;  msbs: dst=0 src0=0 src1=0 src2=0
	v_add3_u32 v41, v41, v149, v58
	s_set_vgpr_msb 4                        ;  msbs: dst=0 src0=0 src1=1 src2=0
	v_mul_lo_u32 v8, v8, v48 /*v304*/
	v_mul_lo_u32 v9, v9, v48 /*v304*/
	s_wait_dscnt 0x0
	v_dual_lshrrev_b32 v1, 16, v122 /*v378*/ :: v_dual_lshrrev_b32 v3, 16, v123 /*v379*/
	s_set_vgpr_msb 0                        ;  msbs: dst=0 src0=0 src1=0 src2=0
	v_add3_u32 v41, v41, v62, v65
	v_add3_u32 v58, v59, v61, v64
	s_set_vgpr_msb 1                        ;  msbs: dst=0 src0=1 src1=0 src2=0
	v_cvt_f32_f16_e64 v7, v122 /*v378*/
	s_set_vgpr_msb 4                        ;  msbs: dst=0 src0=0 src1=1 src2=0
	v_cvt_f32_f16_e32 v5, v1
	v_cvt_f32_f16_e32 v3, v3
	v_mul_lo_u32 v41, v41, v51 /*v307*/
	v_mul_lo_u32 v58, v58, v51 /*v307*/
	v_cvt_f32_f16_e32 v2, v2
	v_cvt_f32_i32_e32 v9, v9
	v_cvt_f32_i32_e32 v8, v8
	s_set_vgpr_msb 0                        ;  msbs: dst=0 src0=0 src1=0 src2=0
	v_pk_fma_f32 v[10:11], v[122:123], v[4:5], 0 op_sel_hi:[0,1,0]
	s_set_vgpr_msb 5                        ;  msbs: dst=0 src0=1 src1=1 src2=0
	v_cvt_f32_f16_e64 v1, v123 /*v379*/
	v_mul_i32_i24_e32 v59, v224 /*v480*/, v67 /*v323*/
	v_mul_i32_i24_e32 v60, v225 /*v481*/, v68 /*v324*/
	s_set_vgpr_msb 0                        ;  msbs: dst=0 src0=0 src1=0 src2=0
	v_pk_fma_f32 v[8:9], v[6:7], v[8:9], 0 op_sel_hi:[1,1,0]
	v_pk_fma_f32 v[10:11], v[124:125], v[2:3], v[10:11] op_sel_hi:[0,1,1]
	s_set_vgpr_msb 64                       ;  msbs: dst=1 src0=0 src1=0 src2=0
	v_cvt_f32_i32_e32 v49 /*v305*/, v41
	v_cvt_f32_i32_e32 v48 /*v304*/, v58
	s_set_vgpr_msb 5                        ;  msbs: dst=0 src0=1 src1=1 src2=0
	v_mul_i32_i24_e32 v41, v222 /*v478*/, v65 /*v321*/
	v_mul_i32_i24_e32 v58, v223 /*v479*/, v66 /*v322*/
	s_set_vgpr_msb 0                        ;  msbs: dst=0 src0=0 src1=0 src2=0
	v_pk_mul_f32 v[10:11], v[10:11], v[104:105]
	s_set_vgpr_msb 5                        ;  msbs: dst=0 src0=1 src1=1 src2=0
	v_mul_i32_i24_e32 v61, v226 /*v482*/, v69 /*v325*/
	s_set_vgpr_msb 4                        ;  msbs: dst=0 src0=0 src1=1 src2=0
	v_pk_fma_f32 v[8:9], v[0:1], v[48:49] /*v[304:305]*/, v[8:9]
	s_set_vgpr_msb 5                        ;  msbs: dst=0 src0=1 src1=1 src2=0
	v_mul_i32_i24_e32 v62, v227 /*v483*/, v70 /*v326*/
	v_mul_i32_i24_e32 v64, v228 /*v484*/, v71 /*v327*/
	;; [unrolled: 1-line block ×4, first 2 shown]
	s_set_vgpr_msb 0                        ;  msbs: dst=0 src0=0 src1=0 src2=0
	v_pk_fma_f32 v[8:9], v[8:9], v[96:97], v[10:11] neg_lo:[0,0,1] neg_hi:[0,0,1]
	s_set_vgpr_msb 5                        ;  msbs: dst=0 src0=1 src1=1 src2=0
	v_mul_i32_i24_e32 v10, v247 /*v503*/, v61 /*v317*/
	v_mul_i32_i24_e32 v11, v221 /*v477*/, v64 /*v320*/
	v_mul_i32_i24_e32 v68, v231 /*v487*/, v74 /*v330*/
	v_mul_i32_i24_e32 v69, v232 /*v488*/, v75 /*v331*/
	s_set_vgpr_msb 0                        ;  msbs: dst=0 src0=0 src1=0 src2=0
	v_pk_add_f32 v[22:23], v[22:23], v[8:9]
	s_set_vgpr_msb 5                        ;  msbs: dst=0 src0=1 src1=1 src2=0
	v_mul_i32_i24_e32 v8, v245 /*v501*/, v59 /*v315*/
	v_mul_i32_i24_e32 v9, v246 /*v502*/, v60 /*v316*/
	;; [unrolled: 1-line block ×5, first 2 shown]
	v_mad_i32_i24 v8, v218 /*v474*/, v58 /*v314*/, v8
	v_mul_i32_i24_e32 v76, v78 /*v334*/, v236 /*v492*/
	v_mul_i32_i24_e32 v78, v81 /*v337*/, v237 /*v493*/
	;; [unrolled: 1-line block ×4, first 2 shown]
	s_set_vgpr_msb 0                        ;  msbs: dst=0 src0=0 src1=0 src2=0
	v_add3_u32 v8, v8, v9, v10
	s_set_vgpr_msb 5                        ;  msbs: dst=0 src0=1 src1=1 src2=0
	v_mul_i32_i24_e32 v9, v219 /*v475*/, v62 /*v318*/
	v_mul_i32_i24_e32 v10, v220 /*v476*/, v63 /*v319*/
	;; [unrolled: 1-line block ×6, first 2 shown]
	s_set_vgpr_msb 0                        ;  msbs: dst=0 src0=0 src1=0 src2=0
	v_add3_u32 v8, v8, v9, v10
	s_set_vgpr_msb 5                        ;  msbs: dst=0 src0=1 src1=1 src2=0
	v_mul_i32_i24_e32 v9, v215 /*v471*/, v88 /*v344*/
	v_mul_i32_i24_e32 v10, v216 /*v472*/, v85 /*v341*/
	;; [unrolled: 1-line block ×4, first 2 shown]
	s_set_vgpr_msb 0                        ;  msbs: dst=0 src0=0 src1=0 src2=0
	v_add3_u32 v8, v8, v11, v41
	s_set_vgpr_msb 5                        ;  msbs: dst=0 src0=1 src1=1 src2=0
	v_mul_i32_i24_e32 v11, v217 /*v473*/, v91 /*v347*/
	s_set_vgpr_msb 4                        ;  msbs: dst=0 src0=0 src1=1 src2=0
	v_mad_i32_i24 v9, v14, v87 /*v343*/, v9
	s_set_vgpr_msb 5                        ;  msbs: dst=0 src0=1 src1=1 src2=0
	v_mul_i32_i24_e32 v41, v192 /*v448*/, v89 /*v345*/
	v_mul_i32_i24_e32 v150, v114 /*v370*/, v213 /*v469*/
	s_set_vgpr_msb 0                        ;  msbs: dst=0 src0=0 src1=0 src2=0
	v_add3_u32 v8, v8, v58, v59
	s_set_vgpr_msb 5                        ;  msbs: dst=0 src0=1 src1=1 src2=0
	v_mul_i32_i24_e32 v58, v193 /*v449*/, v96 /*v352*/
	s_set_vgpr_msb 0                        ;  msbs: dst=0 src0=0 src1=0 src2=0
	v_add3_u32 v9, v9, v10, v11
	s_set_vgpr_msb 5                        ;  msbs: dst=0 src0=1 src1=1 src2=0
	v_mul_i32_i24_e32 v10, v190 /*v446*/, v93 /*v349*/
	v_mul_i32_i24_e32 v11, v191 /*v447*/, v94 /*v350*/
	s_set_vgpr_msb 0                        ;  msbs: dst=0 src0=0 src1=0 src2=0
	v_add3_u32 v8, v8, v60, v61
	s_set_vgpr_msb 5                        ;  msbs: dst=0 src0=1 src1=1 src2=0
	v_mul_i32_i24_e32 v60, v194 /*v450*/, v97 /*v353*/
	v_mul_i32_i24_e32 v61, v195 /*v451*/, v98 /*v354*/
	v_mul_i32_i24_e32 v59, v214 /*v470*/, v116 /*v372*/
	s_set_vgpr_msb 0                        ;  msbs: dst=0 src0=0 src1=0 src2=0
	v_add3_u32 v9, v9, v10, v11
	v_add3_u32 v8, v8, v62, v64
	s_set_vgpr_msb 5                        ;  msbs: dst=0 src0=1 src1=1 src2=0
	v_mul_i32_i24_e32 v62, v196 /*v452*/, v95 /*v351*/
	v_mul_i32_i24_e32 v64, v197 /*v453*/, v100 /*v356*/
	s_set_vgpr_msb 4                        ;  msbs: dst=0 src0=0 src1=1 src2=0
	v_mul_i32_i24_e32 v10, v13, v57 /*v313*/
	s_set_vgpr_msb 0                        ;  msbs: dst=0 src0=0 src1=0 src2=0
	v_add3_u32 v9, v9, v41, v58
	v_add3_u32 v8, v8, v65, v66
	s_set_vgpr_msb 5                        ;  msbs: dst=0 src0=1 src1=1 src2=0
	v_mul_i32_i24_e32 v65, v198 /*v454*/, v101 /*v357*/
	v_mul_i32_i24_e32 v66, v199 /*v455*/, v102 /*v358*/
	;; [unrolled: 1-line block ×3, first 2 shown]
	s_set_vgpr_msb 0                        ;  msbs: dst=0 src0=0 src1=0 src2=0
	v_add3_u32 v9, v9, v60, v61
	v_add3_u32 v8, v8, v68, v69
	s_set_vgpr_msb 5                        ;  msbs: dst=0 src0=1 src1=1 src2=0
	v_mul_i32_i24_e32 v68, v200 /*v456*/, v99 /*v355*/
	v_mul_i32_i24_e32 v69, v201 /*v457*/, v103 /*v359*/
	;; [unrolled: 1-line block ×3, first 2 shown]
	s_set_vgpr_msb 0                        ;  msbs: dst=0 src0=0 src1=0 src2=0
	v_add3_u32 v9, v9, v62, v64
	v_add3_u32 v8, v8, v70, v72
	s_set_vgpr_msb 21                       ;  msbs: dst=0 src0=1 src1=1 src2=1
	v_mul_i32_i24_e32 v70, v104 /*v360*/, v202 /*v458*/
	v_mul_i32_i24_e32 v72, v105 /*v361*/, v203 /*v459*/
	v_add3_u32 v58, v251 /*v507*/, v249 /*v505*/, v250 /*v506*/
	s_set_vgpr_msb 0                        ;  msbs: dst=0 src0=0 src1=0 src2=0
	v_add3_u32 v9, v9, v65, v66
	v_add3_u32 v8, v8, v74, v76
	s_set_vgpr_msb 5                        ;  msbs: dst=0 src0=1 src1=1 src2=0
	v_mul_i32_i24_e32 v74, v107 /*v363*/, v204 /*v460*/
	v_mul_i32_i24_e32 v76, v106 /*v362*/, v205 /*v461*/
	s_set_vgpr_msb 4                        ;  msbs: dst=0 src0=0 src1=1 src2=0
	v_mul_i32_i24_e32 v60, v173, v118 /*v374*/
	s_set_vgpr_msb 0                        ;  msbs: dst=0 src0=0 src1=0 src2=0
	v_add3_u32 v9, v9, v68, v69
	v_add3_u32 v8, v8, v78, v80
	s_set_vgpr_msb 5                        ;  msbs: dst=0 src0=1 src1=1 src2=0
	v_mul_i32_i24_e32 v78, v108 /*v364*/, v206 /*v462*/
	v_mul_i32_i24_e32 v80, v109 /*v365*/, v207 /*v463*/
	s_set_vgpr_msb 0                        ;  msbs: dst=0 src0=0 src1=0 src2=0
	v_mul_i32_i24_e32 v61, v173, v15
	v_add3_u32 v9, v9, v70, v72
	v_add3_u32 v8, v8, v82, v91
	s_set_vgpr_msb 5                        ;  msbs: dst=0 src0=1 src1=1 src2=0
	v_mul_i32_i24_e32 v82, v111 /*v367*/, v208 /*v464*/
	v_mul_i32_i24_e32 v91, v110 /*v366*/, v209 /*v465*/
	s_set_vgpr_msb 4                        ;  msbs: dst=0 src0=0 src1=1 src2=0
	v_mul_i32_i24_e32 v62, v121, v119 /*v375*/
	s_set_vgpr_msb 0                        ;  msbs: dst=0 src0=0 src1=0 src2=0
	v_add3_u32 v9, v9, v74, v76
	v_add3_u32 v8, v8, v93, v122
	s_set_vgpr_msb 5                        ;  msbs: dst=0 src0=1 src1=1 src2=0
	v_mul_i32_i24_e32 v93, v112 /*v368*/, v210 /*v466*/
	v_mul_i32_i24_e32 v122, v113 /*v369*/, v211 /*v467*/
	s_set_vgpr_msb 4                        ;  msbs: dst=0 src0=0 src1=1 src2=0
	v_mul_i32_i24_e32 v64, v121, v117 /*v373*/
	s_set_vgpr_msb 0                        ;  msbs: dst=0 src0=0 src1=0 src2=0
	v_add3_u32 v9, v9, v78, v80
	v_add3_u32 v8, v8, v124, v148
	s_set_vgpr_msb 5                        ;  msbs: dst=0 src0=1 src1=1 src2=0
	v_mul_i32_i24_e32 v65, v229 /*v485*/, v3 /*v259*/
	v_mul_i32_i24_e32 v66, v230 /*v486*/, v4 /*v260*/
	;; [unrolled: 1-line block ×3, first 2 shown]
	s_set_vgpr_msb 0                        ;  msbs: dst=0 src0=0 src1=0 src2=0
	v_add3_u32 v9, v9, v82, v91
	v_add3_u32 v8, v8, v10, v41
	v_mul_i32_i24_e32 v41, v12, v174
	s_set_vgpr_msb 5                        ;  msbs: dst=0 src0=1 src1=1 src2=0
	v_mul_i32_i24_e32 v69, v232 /*v488*/, v6 /*v262*/
	v_mul_i32_i24_e32 v70, v8 /*v264*/, v233 /*v489*/
	s_set_vgpr_msb 0                        ;  msbs: dst=0 src0=0 src1=0 src2=0
	v_add3_u32 v9, v9, v93, v122
	s_set_vgpr_msb 4                        ;  msbs: dst=0 src0=0 src1=1 src2=0
	v_mul_lo_u32 v8, v8, v55 /*v311*/
	s_set_vgpr_msb 5                        ;  msbs: dst=0 src0=1 src1=1 src2=0
	v_mul_i32_i24_e32 v72, v7 /*v263*/, v234 /*v490*/
	v_mul_i32_i24_e32 v74, v10 /*v266*/, v235 /*v491*/
	;; [unrolled: 1-line block ×3, first 2 shown]
	s_set_vgpr_msb 0                        ;  msbs: dst=0 src0=0 src1=0 src2=0
	v_add3_u32 v122, v9, v149, v150
	s_set_vgpr_msb 5                        ;  msbs: dst=0 src0=1 src1=1 src2=0
	v_mul_i32_i24_e32 v9, v179 /*v435*/, v57 /*v313*/
	v_mul_i32_i24_e32 v78, v12 /*v268*/, v237 /*v493*/
	v_mul_i32_i24_e32 v80, v11 /*v267*/, v238 /*v494*/
	v_mul_i32_i24_e32 v82, v14 /*v270*/, v239 /*v495*/
	s_set_vgpr_msb 0                        ;  msbs: dst=0 src0=0 src1=0 src2=0
	v_add3_u32 v41, v122, v59, v41
	v_add3_u32 v9, v58, v9, v11
	s_set_vgpr_msb 1                        ;  msbs: dst=0 src0=1 src1=0 src2=0
	v_mul_i32_i24_e32 v58, v176 /*v432*/, v174
	v_mul_i32_i24_e32 v59, v224 /*v480*/, v254
	s_set_vgpr_msb 5                        ;  msbs: dst=0 src0=1 src1=1 src2=0
	v_mul_i32_i24_e32 v91, v13 /*v269*/, v240 /*v496*/
	s_set_vgpr_msb 0                        ;  msbs: dst=0 src0=0 src1=0 src2=0
	v_add3_u32 v41, v41, v61, v64
	s_set_vgpr_msb 4                        ;  msbs: dst=0 src0=0 src1=1 src2=0
	v_mul_lo_u32 v10, v9, v55 /*v311*/
	s_set_vgpr_msb 5                        ;  msbs: dst=0 src0=1 src1=1 src2=0
	v_add3_u32 v58, v189 /*v445*/, v188 /*v444*/, v58
	s_set_vgpr_msb 0                        ;  msbs: dst=0 src0=0 src1=0 src2=0
	v_cvt_f32_i32_e32 v9, v8
	s_set_vgpr_msb 5                        ;  msbs: dst=0 src0=1 src1=1 src2=0
	v_mul_i32_i24_e32 v61, v226 /*v482*/, v0 /*v256*/
	s_set_vgpr_msb 0                        ;  msbs: dst=0 src0=0 src1=0 src2=0
	v_mul_lo_u32 v41, v41, v175
	s_set_vgpr_msb 5                        ;  msbs: dst=0 src0=1 src1=1 src2=0
	v_mul_i32_i24_e32 v64, v228 /*v484*/, v2 /*v258*/
	s_set_vgpr_msb 0                        ;  msbs: dst=0 src0=0 src1=0 src2=0
	v_add3_u32 v58, v58, v60, v62
	s_set_vgpr_msb 1                        ;  msbs: dst=0 src0=1 src1=0 src2=0
	v_mul_i32_i24_e32 v60, v225 /*v481*/, v255
	s_set_vgpr_msb 5                        ;  msbs: dst=0 src0=1 src1=1 src2=0
	v_mul_i32_i24_e32 v62, v227 /*v483*/, v1 /*v257*/
	v_mul_i32_i24_e32 v93, v17 /*v273*/, v241 /*v497*/
	;; [unrolled: 1-line block ×3, first 2 shown]
	s_set_vgpr_msb 0                        ;  msbs: dst=0 src0=0 src1=0 src2=0
	v_mul_lo_u32 v58, v58, v175
	v_cvt_f32_i32_e32 v8, v10
	v_pk_fma_f32 v[10:11], v[126:127], v[4:5], 0 op_sel_hi:[0,1,0]
	s_set_vgpr_msb 5                        ;  msbs: dst=0 src0=1 src1=1 src2=0
	v_mul_i32_i24_e32 v124, v45 /*v301*/, v213 /*v469*/
	s_set_vgpr_msb 0                        ;  msbs: dst=0 src0=0 src1=0 src2=0
	v_cvt_f32_i32_e32 v175, v41
	s_set_vgpr_msb 1                        ;  msbs: dst=0 src0=1 src1=0 src2=0
	v_mul_i32_i24_e32 v41, v222 /*v478*/, v252
	s_set_vgpr_msb 0                        ;  msbs: dst=0 src0=0 src1=0 src2=0
	v_pk_fma_f32 v[8:9], v[6:7], v[8:9], 0 op_sel_hi:[1,1,0]
	v_pk_fma_f32 v[10:11], v[120:121], v[2:3], v[10:11] op_sel_hi:[0,1,1]
	s_set_vgpr_msb 5                        ;  msbs: dst=0 src0=1 src1=1 src2=0
	v_mul_i32_i24_e32 v120, v15 /*v271*/, v242 /*v498*/
	v_mul_i32_i24_e32 v121, v243 /*v499*/, v21 /*v277*/
	;; [unrolled: 1-line block ×3, first 2 shown]
	s_set_vgpr_msb 0                        ;  msbs: dst=0 src0=0 src1=0 src2=0
	v_cvt_f32_i32_e32 v174, v58
	v_pk_mul_f32 v[10:11], v[10:11], v[106:107]
	s_set_vgpr_msb 1                        ;  msbs: dst=0 src0=1 src1=0 src2=0
	v_mul_i32_i24_e32 v58, v223 /*v479*/, v253
	s_set_vgpr_msb 0                        ;  msbs: dst=0 src0=0 src1=0 src2=0
	v_pk_fma_f32 v[8:9], v[0:1], v[174:175], v[8:9]
	s_delay_alu instid0(VALU_DEP_1)
	v_pk_fma_f32 v[8:9], v[8:9], v[98:99], v[10:11] neg_lo:[0,0,1] neg_hi:[0,0,1]
	s_set_vgpr_msb 1                        ;  msbs: dst=0 src0=1 src1=0 src2=0
	v_mul_i32_i24_e32 v10, v247 /*v503*/, v248
	v_mul_i32_i24_e32 v11, v221 /*v477*/, v251
	s_set_vgpr_msb 0                        ;  msbs: dst=0 src0=0 src1=0 src2=0
	v_pk_add_f32 v[20:21], v[20:21], v[8:9]
	s_set_vgpr_msb 1                        ;  msbs: dst=0 src0=1 src1=0 src2=0
	v_mul_i32_i24_e32 v8, v245 /*v501*/, v246
	v_mul_i32_i24_e32 v9, v246 /*v502*/, v247
	s_delay_alu instid0(VALU_DEP_2) | instskip(SKIP_1) | instid1(VALU_DEP_1)
	v_mad_i32_i24 v8, v218 /*v474*/, v245, v8
	s_set_vgpr_msb 0                        ;  msbs: dst=0 src0=0 src1=0 src2=0
	v_add3_u32 v8, v8, v9, v10
	s_set_vgpr_msb 1                        ;  msbs: dst=0 src0=1 src1=0 src2=0
	v_mul_i32_i24_e32 v9, v219 /*v475*/, v249
	v_mul_i32_i24_e32 v10, v220 /*v476*/, v250
	s_set_vgpr_msb 0                        ;  msbs: dst=0 src0=0 src1=0 src2=0
	s_delay_alu instid0(VALU_DEP_1)
	v_add3_u32 v8, v8, v9, v10
	s_set_vgpr_msb 5                        ;  msbs: dst=0 src0=1 src1=1 src2=0
	v_mul_i32_i24_e32 v9, v215 /*v471*/, v19 /*v275*/
	v_mul_i32_i24_e32 v10, v216 /*v472*/, v16 /*v272*/
	s_set_vgpr_msb 0                        ;  msbs: dst=0 src0=0 src1=0 src2=0
	v_add3_u32 v8, v8, v11, v41
	s_set_vgpr_msb 5                        ;  msbs: dst=0 src0=1 src1=1 src2=0
	v_mul_i32_i24_e32 v11, v217 /*v473*/, v22 /*v278*/
	s_set_vgpr_msb 4                        ;  msbs: dst=0 src0=0 src1=1 src2=0
	v_mad_i32_i24 v9, v14, v18 /*v274*/, v9
	s_set_vgpr_msb 5                        ;  msbs: dst=0 src0=1 src1=1 src2=0
	v_mul_i32_i24_e32 v41, v192 /*v448*/, v20 /*v276*/
	s_set_vgpr_msb 0                        ;  msbs: dst=0 src0=0 src1=0 src2=0
	v_add3_u32 v8, v8, v58, v59
	s_set_vgpr_msb 5                        ;  msbs: dst=0 src0=1 src1=1 src2=0
	v_mul_i32_i24_e32 v58, v193 /*v449*/, v27 /*v283*/
	s_set_vgpr_msb 0                        ;  msbs: dst=0 src0=0 src1=0 src2=0
	v_add3_u32 v9, v9, v10, v11
	s_set_vgpr_msb 5                        ;  msbs: dst=0 src0=1 src1=1 src2=0
	v_mul_i32_i24_e32 v10, v190 /*v446*/, v24 /*v280*/
	v_mul_i32_i24_e32 v11, v191 /*v447*/, v25 /*v281*/
	s_set_vgpr_msb 0                        ;  msbs: dst=0 src0=0 src1=0 src2=0
	v_add3_u32 v8, v8, v60, v61
	s_set_vgpr_msb 5                        ;  msbs: dst=0 src0=1 src1=1 src2=0
	v_mul_i32_i24_e32 v59, v194 /*v450*/, v28 /*v284*/
	v_mul_i32_i24_e32 v60, v195 /*v451*/, v29 /*v285*/
	;; [unrolled: 1-line block ×3, first 2 shown]
	s_set_vgpr_msb 0                        ;  msbs: dst=0 src0=0 src1=0 src2=0
	v_add3_u32 v9, v9, v10, v11
	v_add3_u32 v8, v8, v62, v64
	s_set_vgpr_msb 5                        ;  msbs: dst=0 src0=1 src1=1 src2=0
	v_mul_i32_i24_e32 v62, v197 /*v453*/, v31 /*v287*/
	v_mul_i32_i24_e32 v64, v198 /*v454*/, v32 /*v288*/
	s_set_vgpr_msb 0                        ;  msbs: dst=0 src0=0 src1=0 src2=0
	v_mul_i32_i24_e32 v10, v13, v244
	v_add3_u32 v9, v9, v41, v58
	v_add3_u32 v8, v8, v65, v66
	s_set_vgpr_msb 5                        ;  msbs: dst=0 src0=1 src1=1 src2=0
	v_mul_i32_i24_e32 v65, v199 /*v455*/, v33 /*v289*/
	v_mul_i32_i24_e32 v66, v200 /*v456*/, v30 /*v286*/
	s_set_vgpr_msb 4                        ;  msbs: dst=0 src0=0 src1=1 src2=0
	v_mul_i32_i24_e32 v11, v243, v121 /*v377*/
	s_set_vgpr_msb 0                        ;  msbs: dst=0 src0=0 src1=0 src2=0
	v_add3_u32 v9, v9, v59, v60
	v_add3_u32 v8, v8, v68, v69
	s_set_vgpr_msb 5                        ;  msbs: dst=0 src0=1 src1=1 src2=0
	v_mul_i32_i24_e32 v68, v201 /*v457*/, v34 /*v290*/
	v_mul_i32_i24_e32 v69, v35 /*v291*/, v202 /*v458*/
	s_set_vgpr_msb 4                        ;  msbs: dst=0 src0=0 src1=1 src2=0
	v_mul_i32_i24_e32 v58, v243, v120 /*v376*/
	s_set_vgpr_msb 0                        ;  msbs: dst=0 src0=0 src1=0 src2=0
	v_add3_u32 v9, v9, v61, v62
	v_add3_u32 v8, v8, v70, v72
	s_set_vgpr_msb 21                       ;  msbs: dst=0 src0=1 src1=1 src2=1
	v_mul_i32_i24_e32 v70, v36 /*v292*/, v203 /*v459*/
	v_mul_i32_i24_e32 v72, v38 /*v294*/, v204 /*v460*/
	v_add3_u32 v59, v187 /*v443*/, v185 /*v441*/, v186 /*v442*/
	s_set_vgpr_msb 0                        ;  msbs: dst=0 src0=0 src1=0 src2=0
	v_add3_u32 v9, v9, v64, v65
	v_add3_u32 v8, v8, v74, v76
	s_set_vgpr_msb 5                        ;  msbs: dst=0 src0=1 src1=1 src2=0
	v_mul_i32_i24_e32 v74, v37 /*v293*/, v205 /*v461*/
	v_mul_i32_i24_e32 v76, v39 /*v295*/, v206 /*v462*/
	s_set_vgpr_msb 4                        ;  msbs: dst=0 src0=0 src1=1 src2=0
	v_mul_i32_i24_e32 v60, v115, v118 /*v374*/
	s_set_vgpr_msb 0                        ;  msbs: dst=0 src0=0 src1=0 src2=0
	v_add3_u32 v9, v9, v66, v68
	v_add3_u32 v8, v8, v78, v80
	s_set_vgpr_msb 5                        ;  msbs: dst=0 src0=1 src1=1 src2=0
	v_mul_i32_i24_e32 v78, v40 /*v296*/, v207 /*v463*/
	v_mul_i32_i24_e32 v80, v42 /*v298*/, v208 /*v464*/
	s_set_vgpr_msb 0                        ;  msbs: dst=0 src0=0 src1=0 src2=0
	v_mul_i32_i24_e32 v61, v115, v15
	v_add3_u32 v9, v9, v69, v70
	v_add3_u32 v8, v8, v82, v91
	s_set_vgpr_msb 5                        ;  msbs: dst=0 src0=1 src1=1 src2=0
	v_mul_i32_i24_e32 v82, v41 /*v297*/, v209 /*v465*/
	v_mul_i32_i24_e32 v91, v43 /*v299*/, v210 /*v466*/
	s_set_vgpr_msb 4                        ;  msbs: dst=0 src0=0 src1=1 src2=0
	v_mul_i32_i24_e32 v62, v113, v119 /*v375*/
	s_set_vgpr_msb 0                        ;  msbs: dst=0 src0=0 src1=0 src2=0
	v_add3_u32 v9, v9, v72, v74
	v_add3_u32 v8, v8, v93, v120
	s_set_vgpr_msb 5                        ;  msbs: dst=0 src0=1 src1=1 src2=0
	v_mul_i32_i24_e32 v93, v44 /*v300*/, v211 /*v467*/
	v_mul_i32_i24_e32 v120, v46 /*v302*/, v212 /*v468*/
	s_set_vgpr_msb 4                        ;  msbs: dst=0 src0=0 src1=1 src2=0
	v_mul_i32_i24_e32 v64, v113, v117 /*v373*/
	s_set_vgpr_msb 0                        ;  msbs: dst=0 src0=0 src1=0 src2=0
	v_add3_u32 v9, v9, v76, v78
	v_add3_u32 v8, v8, v121, v122
	s_set_vgpr_msb 1                        ;  msbs: dst=0 src0=1 src1=0 src2=0
	v_mul_i32_i24_e32 v65, v229 /*v485*/, v197
	v_mul_i32_i24_e32 v66, v230 /*v486*/, v198
	;; [unrolled: 1-line block ×3, first 2 shown]
	s_set_vgpr_msb 0                        ;  msbs: dst=0 src0=0 src1=0 src2=0
	v_add3_u32 v9, v9, v80, v82
	v_add3_u32 v8, v8, v10, v58
	v_mul_i32_i24_e32 v58, v12, v117
	s_set_vgpr_msb 1                        ;  msbs: dst=0 src0=1 src1=0 src2=0
	v_mul_i32_i24_e32 v69, v232 /*v488*/, v200
	s_set_vgpr_msb 4                        ;  msbs: dst=0 src0=0 src1=1 src2=0
	v_mul_i32_i24_e32 v70, v202, v233 /*v489*/
	s_set_vgpr_msb 0                        ;  msbs: dst=0 src0=0 src1=0 src2=0
	v_add3_u32 v9, v9, v91, v93
	v_mul_lo_u32 v8, v8, v242
	s_set_vgpr_msb 4                        ;  msbs: dst=0 src0=0 src1=1 src2=0
	v_mul_i32_i24_e32 v72, v201, v234 /*v490*/
	v_mul_i32_i24_e32 v74, v204, v235 /*v491*/
	;; [unrolled: 1-line block ×3, first 2 shown]
	s_set_vgpr_msb 0                        ;  msbs: dst=0 src0=0 src1=0 src2=0
	v_add3_u32 v41, v9, v120, v124
	s_set_vgpr_msb 1                        ;  msbs: dst=0 src0=1 src1=0 src2=0
	v_mul_i32_i24_e32 v9, v179 /*v435*/, v244
	s_set_vgpr_msb 4                        ;  msbs: dst=0 src0=0 src1=1 src2=0
	v_mul_i32_i24_e32 v78, v206, v237 /*v493*/
	v_mul_i32_i24_e32 v80, v205, v238 /*v494*/
	;; [unrolled: 1-line block ×3, first 2 shown]
	s_set_vgpr_msb 0                        ;  msbs: dst=0 src0=0 src1=0 src2=0
	v_add3_u32 v41, v41, v126, v58
	v_add3_u32 v9, v59, v9, v11
	s_set_vgpr_msb 1                        ;  msbs: dst=0 src0=1 src1=0 src2=0
	v_mul_i32_i24_e32 v59, v176 /*v432*/, v117
	s_set_vgpr_msb 4                        ;  msbs: dst=0 src0=0 src1=1 src2=0
	v_mul_i32_i24_e32 v91, v207, v240 /*v496*/
	v_mul_i32_i24_e32 v93, v211, v241 /*v497*/
	s_set_vgpr_msb 0                        ;  msbs: dst=0 src0=0 src1=0 src2=0
	v_add3_u32 v41, v41, v61, v64
	v_mul_lo_u32 v10, v9, v242
	s_set_vgpr_msb 5                        ;  msbs: dst=0 src0=1 src1=1 src2=0
	v_add3_u32 v59, v184 /*v440*/, v183 /*v439*/, v59
	s_set_vgpr_msb 0                        ;  msbs: dst=0 src0=0 src1=0 src2=0
	v_cvt_f32_i32_e32 v9, v8
	s_set_vgpr_msb 1                        ;  msbs: dst=0 src0=1 src1=0 src2=0
	v_mul_i32_i24_e32 v61, v226 /*v482*/, v194
	s_set_vgpr_msb 0                        ;  msbs: dst=0 src0=0 src1=0 src2=0
	v_mul_lo_u32 v41, v41, v119
	s_set_vgpr_msb 1                        ;  msbs: dst=0 src0=1 src1=0 src2=0
	v_mul_i32_i24_e32 v64, v228 /*v484*/, v196
	s_set_vgpr_msb 0                        ;  msbs: dst=0 src0=0 src1=0 src2=0
	v_add3_u32 v58, v59, v60, v62
	s_set_vgpr_msb 1                        ;  msbs: dst=0 src0=1 src1=0 src2=0
	v_mul_i32_i24_e32 v59, v224 /*v480*/, v192
	v_mul_i32_i24_e32 v60, v225 /*v481*/, v193
	;; [unrolled: 1-line block ×3, first 2 shown]
	s_set_vgpr_msb 0                        ;  msbs: dst=0 src0=0 src1=0 src2=0
	v_mul_lo_u32 v58, v58, v119
	v_cvt_f32_i32_e32 v8, v10
	v_pk_fma_f32 v[10:11], v[112:113], v[4:5], 0 op_sel_hi:[0,1,0]
	v_pk_fma_f32 v[4:5], v[118:119], v[4:5], 0 op_sel_hi:[0,1,0]
	v_cvt_f32_i32_e32 v113, v41
	s_set_vgpr_msb 1                        ;  msbs: dst=0 src0=1 src1=0 src2=0
	v_mul_i32_i24_e32 v41, v222 /*v478*/, v190
	s_set_vgpr_msb 0                        ;  msbs: dst=0 src0=0 src1=0 src2=0
	v_pk_fma_f32 v[8:9], v[6:7], v[8:9], 0 op_sel_hi:[1,1,0]
	v_pk_fma_f32 v[10:11], v[114:115], v[2:3], v[10:11] op_sel_hi:[0,1,1]
	s_set_vgpr_msb 1                        ;  msbs: dst=0 src0=1 src1=0 src2=0
	v_mul_i32_i24_e32 v114, v244 /*v500*/, v217
	v_mul_i32_i24_e32 v115, v214 /*v470*/, v241
	s_set_vgpr_msb 0                        ;  msbs: dst=0 src0=0 src1=0 src2=0
	v_pk_fma_f32 v[2:3], v[116:117], v[2:3], v[4:5] op_sel_hi:[0,1,1]
	v_cvt_f32_i32_e32 v112, v58
	v_pk_mul_f32 v[10:11], v[10:11], v[108:109]
	s_set_vgpr_msb 1                        ;  msbs: dst=0 src0=1 src1=0 src2=0
	v_mul_i32_i24_e32 v58, v223 /*v479*/, v191
	s_set_vgpr_msb 0                        ;  msbs: dst=0 src0=0 src1=0 src2=0
	v_pk_mul_f32 v[2:3], v[2:3], v[110:111]
	v_pk_fma_f32 v[8:9], v[0:1], v[112:113], v[8:9]
	s_set_vgpr_msb 4                        ;  msbs: dst=0 src0=0 src1=1 src2=0
	v_mul_i32_i24_e32 v112, v209, v242 /*v498*/
	s_set_vgpr_msb 1                        ;  msbs: dst=0 src0=1 src1=0 src2=0
	v_mul_i32_i24_e32 v113, v243 /*v499*/, v215
	s_set_vgpr_msb 0                        ;  msbs: dst=0 src0=0 src1=0 src2=0
	v_pk_fma_f32 v[8:9], v[8:9], v[100:101], v[10:11] neg_lo:[0,0,1] neg_hi:[0,0,1]
	s_set_vgpr_msb 1                        ;  msbs: dst=0 src0=1 src1=0 src2=0
	v_mul_i32_i24_e32 v10, v247 /*v503*/, v186
	v_mul_i32_i24_e32 v11, v221 /*v477*/, v189
	s_set_vgpr_msb 0                        ;  msbs: dst=0 src0=0 src1=0 src2=0
	v_pk_add_f32 v[18:19], v[18:19], v[8:9]
	s_set_vgpr_msb 1                        ;  msbs: dst=0 src0=1 src1=0 src2=0
	v_mul_i32_i24_e32 v8, v245 /*v501*/, v184
	v_mul_i32_i24_e32 v9, v246 /*v502*/, v185
	s_delay_alu instid0(VALU_DEP_2) | instskip(SKIP_1) | instid1(VALU_DEP_1)
	v_mad_i32_i24 v8, v218 /*v474*/, v183, v8
	s_set_vgpr_msb 0                        ;  msbs: dst=0 src0=0 src1=0 src2=0
	v_add3_u32 v8, v8, v9, v10
	s_set_vgpr_msb 1                        ;  msbs: dst=0 src0=1 src1=0 src2=0
	v_mul_i32_i24_e32 v9, v219 /*v475*/, v187
	v_mul_i32_i24_e32 v10, v220 /*v476*/, v188
	s_set_vgpr_msb 0                        ;  msbs: dst=0 src0=0 src1=0 src2=0
	s_delay_alu instid0(VALU_DEP_1)
	v_add3_u32 v8, v8, v9, v10
	s_set_vgpr_msb 1                        ;  msbs: dst=0 src0=1 src1=0 src2=0
	v_mul_i32_i24_e32 v9, v215 /*v471*/, v213
	v_mul_i32_i24_e32 v10, v216 /*v472*/, v210
	s_set_vgpr_msb 0                        ;  msbs: dst=0 src0=0 src1=0 src2=0
	v_add3_u32 v8, v8, v11, v41
	s_set_vgpr_msb 1                        ;  msbs: dst=0 src0=1 src1=0 src2=0
	v_mul_i32_i24_e32 v11, v217 /*v473*/, v216
	s_set_vgpr_msb 0                        ;  msbs: dst=0 src0=0 src1=0 src2=0
	v_mad_i32_i24 v9, v14, v212, v9
	s_set_vgpr_msb 1                        ;  msbs: dst=0 src0=1 src1=0 src2=0
	v_mul_i32_i24_e32 v14, v192 /*v448*/, v214
	v_mul_i32_i24_e32 v41, v193 /*v449*/, v221
	s_set_vgpr_msb 0                        ;  msbs: dst=0 src0=0 src1=0 src2=0
	v_add3_u32 v8, v8, v58, v59
	s_set_vgpr_msb 1                        ;  msbs: dst=0 src0=1 src1=0 src2=0
	v_mul_i32_i24_e32 v58, v194 /*v450*/, v222
	s_set_vgpr_msb 0                        ;  msbs: dst=0 src0=0 src1=0 src2=0
	v_add3_u32 v9, v9, v10, v11
	s_set_vgpr_msb 1                        ;  msbs: dst=0 src0=1 src1=0 src2=0
	v_mul_i32_i24_e32 v10, v190 /*v446*/, v218
	v_mul_i32_i24_e32 v11, v191 /*v447*/, v219
	;; [unrolled: 1-line block ×3, first 2 shown]
	s_set_vgpr_msb 0                        ;  msbs: dst=0 src0=0 src1=0 src2=0
	v_add3_u32 v8, v8, v60, v61
	s_set_vgpr_msb 1                        ;  msbs: dst=0 src0=1 src1=0 src2=0
	v_mul_i32_i24_e32 v60, v196 /*v452*/, v220
	v_mul_i32_i24_e32 v61, v197 /*v453*/, v225
	s_set_vgpr_msb 0                        ;  msbs: dst=0 src0=0 src1=0 src2=0
	v_add3_u32 v9, v9, v10, v11
	v_mul_i32_i24_e32 v11, v13, v182
	v_add3_u32 v8, v8, v62, v64
	s_set_vgpr_msb 1                        ;  msbs: dst=0 src0=1 src1=0 src2=0
	v_mul_i32_i24_e32 v62, v198 /*v454*/, v226
	v_mul_i32_i24_e32 v64, v199 /*v455*/, v227
	s_set_vgpr_msb 0                        ;  msbs: dst=0 src0=0 src1=0 src2=0
	v_add3_u32 v9, v9, v14, v41
	s_set_vgpr_msb 4                        ;  msbs: dst=0 src0=0 src1=1 src2=0
	v_mul_i32_i24_e32 v13, v181, v121 /*v377*/
	s_set_vgpr_msb 0                        ;  msbs: dst=0 src0=0 src1=0 src2=0
	v_add3_u32 v8, v8, v65, v66
	s_set_vgpr_msb 1                        ;  msbs: dst=0 src0=1 src1=0 src2=0
	v_mul_i32_i24_e32 v65, v200 /*v456*/, v224
	v_mul_i32_i24_e32 v66, v201 /*v457*/, v228
	s_set_vgpr_msb 0                        ;  msbs: dst=0 src0=0 src1=0 src2=0
	v_add3_u32 v9, v9, v58, v59
	s_set_vgpr_msb 4                        ;  msbs: dst=0 src0=0 src1=1 src2=0
	v_mul_i32_i24_e32 v14, v181, v120 /*v376*/
	s_set_vgpr_msb 0                        ;  msbs: dst=0 src0=0 src1=0 src2=0
	v_add3_u32 v8, v8, v68, v69
	s_set_vgpr_msb 4                        ;  msbs: dst=0 src0=0 src1=1 src2=0
	v_mul_i32_i24_e32 v68, v229, v202 /*v458*/
	v_mul_i32_i24_e32 v69, v230, v203 /*v459*/
	s_set_vgpr_msb 0                        ;  msbs: dst=0 src0=0 src1=0 src2=0
	v_add3_u32 v9, v9, v60, v61
	s_set_vgpr_msb 21                       ;  msbs: dst=0 src0=1 src1=1 src2=1
	v_add3_u32 v41, v182 /*v438*/, v180 /*v436*/, v181 /*v437*/
	s_set_vgpr_msb 0                        ;  msbs: dst=0 src0=0 src1=0 src2=0
	v_add3_u32 v8, v8, v70, v72
	s_set_vgpr_msb 4                        ;  msbs: dst=0 src0=0 src1=1 src2=0
	v_mul_i32_i24_e32 v70, v232, v204 /*v460*/
	v_mul_i32_i24_e32 v72, v231, v205 /*v461*/
	s_set_vgpr_msb 0                        ;  msbs: dst=0 src0=0 src1=0 src2=0
	v_add3_u32 v9, v9, v62, v64
	v_add3_u32 v8, v8, v74, v76
	s_set_vgpr_msb 4                        ;  msbs: dst=0 src0=0 src1=1 src2=0
	v_mul_i32_i24_e32 v74, v233, v206 /*v462*/
	v_mul_i32_i24_e32 v76, v234, v207 /*v463*/
	s_set_vgpr_msb 0                        ;  msbs: dst=0 src0=0 src1=0 src2=0
	v_add3_u32 v9, v9, v65, v66
	;; [unrolled: 6-line block ×5, first 2 shown]
	v_add3_u32 v8, v8, v113, v114
	s_delay_alu instid0(VALU_DEP_2) | instskip(NEXT) | instid1(VALU_DEP_2)
	v_add3_u32 v9, v9, v78, v80
	v_add3_u32 v8, v8, v11, v14
	s_set_vgpr_msb 4                        ;  msbs: dst=0 src0=0 src1=1 src2=0
	v_mul_i32_i24_e32 v14, v176, v117 /*v373*/
	s_set_vgpr_msb 0                        ;  msbs: dst=0 src0=0 src1=0 src2=0
	v_add3_u32 v9, v9, v82, v91
	v_mul_lo_u32 v8, v8, v180
	s_delay_alu instid0(VALU_DEP_2) | instskip(SKIP_3) | instid1(VALU_DEP_1)
	v_add3_u32 v10, v9, v93, v112
	s_set_vgpr_msb 1                        ;  msbs: dst=0 src0=1 src1=0 src2=0
	v_mul_i32_i24_e32 v9, v179 /*v435*/, v182
	s_set_vgpr_msb 0                        ;  msbs: dst=0 src0=0 src1=0 src2=0
	v_add3_u32 v9, v41, v9, v13
	s_set_vgpr_msb 4                        ;  msbs: dst=0 src0=0 src1=1 src2=0
	v_mul_i32_i24_e32 v13, v176, v119 /*v375*/
	s_set_vgpr_msb 0                        ;  msbs: dst=0 src0=0 src1=0 src2=0
	s_delay_alu instid0(VALU_DEP_2) | instskip(SKIP_1) | instid1(VALU_DEP_2)
	v_mul_lo_u32 v11, v9, v180
	v_cvt_f32_i32_e32 v9, v8
	v_cvt_f32_i32_e32 v8, v11
	s_set_vgpr_msb 4                        ;  msbs: dst=0 src0=0 src1=1 src2=0
	v_mul_i32_i24_e32 v11, v177, v118 /*v374*/
	s_set_vgpr_msb 0                        ;  msbs: dst=0 src0=0 src1=0 src2=0
	s_delay_alu instid0(VALU_DEP_2)
	v_pk_fma_f32 v[6:7], v[6:7], v[8:9], 0 op_sel_hi:[1,1,0]
	v_mul_i32_i24_e32 v8, v12, v178
	s_set_vgpr_msb 1                        ;  msbs: dst=0 src0=1 src1=0 src2=0
	v_mul_i32_i24_e32 v9, v176 /*v432*/, v178
	s_set_vgpr_msb 0                        ;  msbs: dst=0 src0=0 src1=0 src2=0
	v_mul_i32_i24_e32 v12, v177, v15
	v_add3_u32 v8, v10, v115, v8
	s_set_vgpr_msb 5                        ;  msbs: dst=0 src0=1 src1=1 src2=0
	v_add3_u32 v9, v178 /*v434*/, v177 /*v433*/, v9
	s_set_vgpr_msb 0                        ;  msbs: dst=0 src0=0 src1=0 src2=0
	s_delay_alu instid0(VALU_DEP_2) | instskip(NEXT) | instid1(VALU_DEP_2)
	v_add3_u32 v8, v8, v12, v14
	v_add3_u32 v9, v9, v11, v13
	s_delay_alu instid0(VALU_DEP_2) | instskip(NEXT) | instid1(VALU_DEP_2)
	v_mul_lo_u32 v8, v8, v179
	v_mul_lo_u32 v10, v9, v179
	s_delay_alu instid0(VALU_DEP_2) | instskip(NEXT) | instid1(VALU_DEP_2)
	v_cvt_f32_i32_e32 v9, v8
	v_cvt_f32_i32_e32 v8, v10
	s_delay_alu instid0(VALU_DEP_1) | instskip(NEXT) | instid1(VALU_DEP_1)
	v_pk_fma_f32 v[0:1], v[0:1], v[8:9], v[6:7]
	v_pk_fma_f32 v[0:1], v[0:1], v[102:103], v[2:3] neg_lo:[0,0,1] neg_hi:[0,0,1]
	s_delay_alu instid0(VALU_DEP_1)
	v_pk_add_f32 v[16:17], v[16:17], v[0:1]
	s_cbranch_scc1 .LBB132_8
; %bb.9:                                ;   in Loop: Header=BB132_5 Depth=1
	s_add_co_i32 s0, s0, 1
	s_delay_alu instid0(SALU_CYCLE_1)
	s_cmp_eq_u32 s0, s7
	s_barrier_signal -1
	s_barrier_wait -1
	s_cbranch_scc0 .LBB132_5
; %bb.10:
	s_clause 0x2
	scratch_load_b32 v1, off, off offset:184 th:TH_LOAD_LU
	scratch_load_b32 v2, off, off offset:188 th:TH_LOAD_LU
	scratch_load_b32 v3, off, off offset:192
.LBB132_11:
	s_wait_xcnt 0x0
	s_mov_b32 s0, exec_lo
	s_wait_loadcnt 0x0
	v_cmpx_gt_u32_e64 s6, v3
	s_cbranch_execz .LBB132_62
; %bb.12:
	v_mul_lo_u32 v5, v3, s14
	v_add_nc_u32_e32 v0, s16, v2
	s_delay_alu instid0(VALU_DEP_1)
	v_cmp_gt_u32_e32 vcc_lo, s14, v0
	s_and_saveexec_b32 s0, vcc_lo
	s_cbranch_execz .LBB132_14
; %bb.13:
	s_delay_alu instid0(VALU_DEP_3)
	v_add_nc_u32_e32 v2, v0, v5
	s_wait_kmcnt 0x0
	global_store_b32 v2, v50, s[12:13] scale_offset
.LBB132_14:
	s_wait_xcnt 0x0
	s_or_b32 exec_lo, exec_lo, s0
	v_add_nc_u32_e32 v2, 32, v0
	s_delay_alu instid0(VALU_DEP_1)
	v_cmp_gt_u32_e64 s0, s14, v2
	s_and_saveexec_b32 s1, s0
	s_cbranch_execz .LBB132_16
; %bb.15:
	v_add_nc_u32_e32 v3, v2, v5
	s_wait_kmcnt 0x0
	global_store_b32 v3, v48, s[12:13] scale_offset
.LBB132_16:
	s_wait_xcnt 0x0
	s_or_b32 exec_lo, exec_lo, s1
	v_add_nc_u32_e32 v3, 64, v0
	s_delay_alu instid0(VALU_DEP_1)
	v_cmp_gt_u32_e64 s1, s14, v3
	s_and_saveexec_b32 s2, s1
	s_cbranch_execz .LBB132_18
; %bb.17:
	v_add_nc_u32_e32 v4, v3, v5
	s_wait_kmcnt 0x0
	global_store_b32 v4, v46, s[12:13] scale_offset
.LBB132_18:
	;; [unrolled: 12-line block ×3, first 2 shown]
	s_wait_xcnt 0x0
	s_or_b32 exec_lo, exec_lo, s3
	v_add3_u32 v5, v1, s15, 8
	s_delay_alu instid0(VALU_DEP_1)
	v_cmp_gt_u32_e64 s3, s6, v5
	s_and_b32 exec_lo, exec_lo, s3
	s_cbranch_execz .LBB132_62
; %bb.21:
	v_mul_lo_u32 v5, v5, s14
	s_and_saveexec_b32 s3, vcc_lo
	s_cbranch_execnz .LBB132_63
; %bb.22:
	s_or_b32 exec_lo, exec_lo, s3
	s_and_saveexec_b32 s3, s0
	s_cbranch_execnz .LBB132_64
.LBB132_23:
	s_or_b32 exec_lo, exec_lo, s3
	s_and_saveexec_b32 s3, s1
	s_cbranch_execnz .LBB132_65
.LBB132_24:
	s_or_b32 exec_lo, exec_lo, s3
	s_and_saveexec_b32 s3, s2
	s_cbranch_execz .LBB132_26
.LBB132_25:
	v_add_nc_u32_e32 v5, v5, v4
	s_wait_kmcnt 0x0
	global_store_b32 v5, v45, s[12:13] scale_offset
.LBB132_26:
	s_wait_xcnt 0x0
	s_or_b32 exec_lo, exec_lo, s3
	v_add3_u32 v5, v1, s15, 16
	s_delay_alu instid0(VALU_DEP_1)
	v_cmp_gt_u32_e64 s3, s6, v5
	s_and_b32 exec_lo, exec_lo, s3
	s_cbranch_execz .LBB132_62
; %bb.27:
	v_mul_lo_u32 v5, v5, s14
	s_and_saveexec_b32 s3, vcc_lo
	s_cbranch_execnz .LBB132_66
; %bb.28:
	s_or_b32 exec_lo, exec_lo, s3
	s_and_saveexec_b32 s3, s0
	s_cbranch_execnz .LBB132_67
.LBB132_29:
	s_or_b32 exec_lo, exec_lo, s3
	s_and_saveexec_b32 s3, s1
	s_cbranch_execnz .LBB132_68
.LBB132_30:
	s_or_b32 exec_lo, exec_lo, s3
	s_and_saveexec_b32 s3, s2
	s_cbranch_execz .LBB132_32
.LBB132_31:
	v_add_nc_u32_e32 v5, v5, v4
	s_wait_kmcnt 0x0
	global_store_b32 v5, v32, s[12:13] scale_offset
.LBB132_32:
	s_wait_xcnt 0x0
	s_or_b32 exec_lo, exec_lo, s3
	v_add3_u32 v5, v1, s15, 24
	s_delay_alu instid0(VALU_DEP_1)
	v_cmp_gt_u32_e64 s3, s6, v5
	s_and_b32 exec_lo, exec_lo, s3
	s_cbranch_execz .LBB132_62
; %bb.33:
	v_mul_lo_u32 v5, v5, s14
	s_and_saveexec_b32 s3, vcc_lo
	s_cbranch_execnz .LBB132_69
; %bb.34:
	s_or_b32 exec_lo, exec_lo, s3
	s_and_saveexec_b32 s3, s0
	s_cbranch_execnz .LBB132_70
.LBB132_35:
	s_or_b32 exec_lo, exec_lo, s3
	s_and_saveexec_b32 s3, s1
	s_cbranch_execnz .LBB132_71
.LBB132_36:
	s_or_b32 exec_lo, exec_lo, s3
	s_and_saveexec_b32 s3, s2
	s_cbranch_execz .LBB132_38
.LBB132_37:
	v_add_nc_u32_e32 v5, v5, v4
	s_wait_kmcnt 0x0
	global_store_b32 v5, v33, s[12:13] scale_offset
.LBB132_38:
	s_wait_xcnt 0x0
	s_or_b32 exec_lo, exec_lo, s3
	v_add3_u32 v5, v1, s15, 32
	s_delay_alu instid0(VALU_DEP_1)
	v_cmp_gt_u32_e64 s3, s6, v5
	s_and_b32 exec_lo, exec_lo, s3
	s_cbranch_execz .LBB132_62
; %bb.39:
	v_mul_lo_u32 v5, v5, s14
	s_and_saveexec_b32 s3, vcc_lo
	s_cbranch_execnz .LBB132_72
; %bb.40:
	s_or_b32 exec_lo, exec_lo, s3
	s_and_saveexec_b32 s3, s0
	s_cbranch_execnz .LBB132_73
.LBB132_41:
	s_or_b32 exec_lo, exec_lo, s3
	s_and_saveexec_b32 s3, s1
	s_cbranch_execnz .LBB132_74
.LBB132_42:
	s_or_b32 exec_lo, exec_lo, s3
	s_and_saveexec_b32 s3, s2
	s_cbranch_execz .LBB132_44
.LBB132_43:
	v_add_nc_u32_e32 v5, v5, v4
	s_wait_kmcnt 0x0
	global_store_b32 v5, v24, s[12:13] scale_offset
.LBB132_44:
	s_wait_xcnt 0x0
	s_or_b32 exec_lo, exec_lo, s3
	v_add3_u32 v5, v1, s15, 40
	s_delay_alu instid0(VALU_DEP_1)
	v_cmp_gt_u32_e64 s3, s6, v5
	s_and_b32 exec_lo, exec_lo, s3
	s_cbranch_execz .LBB132_62
; %bb.45:
	v_mul_lo_u32 v5, v5, s14
	s_and_saveexec_b32 s3, vcc_lo
	s_cbranch_execnz .LBB132_75
; %bb.46:
	s_or_b32 exec_lo, exec_lo, s3
	s_and_saveexec_b32 s3, s0
	s_cbranch_execnz .LBB132_76
.LBB132_47:
	s_or_b32 exec_lo, exec_lo, s3
	s_and_saveexec_b32 s3, s1
	s_cbranch_execnz .LBB132_77
.LBB132_48:
	s_or_b32 exec_lo, exec_lo, s3
	s_and_saveexec_b32 s3, s2
	s_cbranch_execz .LBB132_50
.LBB132_49:
	v_add_nc_u32_e32 v5, v5, v4
	s_wait_kmcnt 0x0
	global_store_b32 v5, v25, s[12:13] scale_offset
.LBB132_50:
	s_wait_xcnt 0x0
	s_or_b32 exec_lo, exec_lo, s3
	v_add3_u32 v5, v1, s15, 48
	s_delay_alu instid0(VALU_DEP_1)
	v_cmp_gt_u32_e64 s3, s6, v5
	s_and_b32 exec_lo, exec_lo, s3
	s_cbranch_execz .LBB132_62
; %bb.51:
	v_mul_lo_u32 v5, v5, s14
	s_and_saveexec_b32 s3, vcc_lo
	s_cbranch_execnz .LBB132_78
; %bb.52:
	s_or_b32 exec_lo, exec_lo, s3
	s_and_saveexec_b32 s3, s0
	s_cbranch_execnz .LBB132_79
.LBB132_53:
	s_or_b32 exec_lo, exec_lo, s3
	s_and_saveexec_b32 s3, s1
	s_cbranch_execnz .LBB132_80
.LBB132_54:
	s_or_b32 exec_lo, exec_lo, s3
	s_and_saveexec_b32 s3, s2
	s_cbranch_execz .LBB132_56
.LBB132_55:
	v_add_nc_u32_e32 v5, v5, v4
	s_wait_kmcnt 0x0
	global_store_b32 v5, v16, s[12:13] scale_offset
.LBB132_56:
	s_wait_xcnt 0x0
	s_or_b32 exec_lo, exec_lo, s3
	v_add3_u32 v1, v1, s15, 56
	s_delay_alu instid0(VALU_DEP_1)
	v_cmp_gt_u32_e64 s3, s6, v1
	s_and_b32 exec_lo, exec_lo, s3
	s_cbranch_execz .LBB132_62
; %bb.57:
	v_mul_lo_u32 v1, v1, s14
	s_and_saveexec_b32 s3, vcc_lo
	s_cbranch_execnz .LBB132_81
; %bb.58:
	s_or_b32 exec_lo, exec_lo, s3
	s_and_saveexec_b32 s3, s0
	s_cbranch_execnz .LBB132_82
.LBB132_59:
	s_or_b32 exec_lo, exec_lo, s3
	s_and_saveexec_b32 s0, s1
	s_cbranch_execnz .LBB132_83
.LBB132_60:
	s_or_b32 exec_lo, exec_lo, s0
	s_delay_alu instid0(SALU_CYCLE_1)
	s_and_b32 exec_lo, exec_lo, s2
	s_cbranch_execz .LBB132_62
.LBB132_61:
	v_add_nc_u32_e32 v0, v1, v4
	s_wait_kmcnt 0x0
	global_store_b32 v0, v17, s[12:13] scale_offset
.LBB132_62:
	s_sendmsg sendmsg(MSG_DEALLOC_VGPRS)
	s_endpgm
.LBB132_63:
	s_delay_alu instid0(VALU_DEP_1)
	v_add_nc_u32_e32 v6, v5, v0
	s_wait_kmcnt 0x0
	global_store_b32 v6, v51, s[12:13] scale_offset
	s_wait_xcnt 0x0
	s_or_b32 exec_lo, exec_lo, s3
	s_and_saveexec_b32 s3, s0
	s_cbranch_execz .LBB132_23
.LBB132_64:
	s_delay_alu instid0(VALU_DEP_1)
	v_add_nc_u32_e32 v6, v5, v2
	s_wait_kmcnt 0x0
	global_store_b32 v6, v49, s[12:13] scale_offset
	s_wait_xcnt 0x0
	s_or_b32 exec_lo, exec_lo, s3
	s_and_saveexec_b32 s3, s1
	s_cbranch_execz .LBB132_24
.LBB132_65:
	s_delay_alu instid0(VALU_DEP_1)
	v_add_nc_u32_e32 v6, v5, v3
	s_wait_kmcnt 0x0
	global_store_b32 v6, v47, s[12:13] scale_offset
	s_wait_xcnt 0x0
	s_or_b32 exec_lo, exec_lo, s3
	s_and_saveexec_b32 s3, s2
	s_cbranch_execnz .LBB132_25
	s_branch .LBB132_26
.LBB132_66:
	s_delay_alu instid0(VALU_DEP_1)
	v_add_nc_u32_e32 v6, v5, v0
	s_wait_kmcnt 0x0
	global_store_b32 v6, v38, s[12:13] scale_offset
	s_wait_xcnt 0x0
	s_or_b32 exec_lo, exec_lo, s3
	s_and_saveexec_b32 s3, s0
	s_cbranch_execz .LBB132_29
.LBB132_67:
	s_delay_alu instid0(VALU_DEP_1)
	v_add_nc_u32_e32 v6, v5, v2
	s_wait_kmcnt 0x0
	global_store_b32 v6, v36, s[12:13] scale_offset
	s_wait_xcnt 0x0
	s_or_b32 exec_lo, exec_lo, s3
	s_and_saveexec_b32 s3, s1
	s_cbranch_execz .LBB132_30
.LBB132_68:
	s_delay_alu instid0(VALU_DEP_1)
	v_add_nc_u32_e32 v6, v5, v3
	s_wait_kmcnt 0x0
	global_store_b32 v6, v34, s[12:13] scale_offset
	s_wait_xcnt 0x0
	s_or_b32 exec_lo, exec_lo, s3
	s_and_saveexec_b32 s3, s2
	s_cbranch_execnz .LBB132_31
	s_branch .LBB132_32
.LBB132_69:
	s_delay_alu instid0(VALU_DEP_1)
	v_add_nc_u32_e32 v6, v5, v0
	s_wait_kmcnt 0x0
	global_store_b32 v6, v39, s[12:13] scale_offset
	s_wait_xcnt 0x0
	s_or_b32 exec_lo, exec_lo, s3
	s_and_saveexec_b32 s3, s0
	s_cbranch_execz .LBB132_35
.LBB132_70:
	s_delay_alu instid0(VALU_DEP_1)
	v_add_nc_u32_e32 v6, v5, v2
	s_wait_kmcnt 0x0
	global_store_b32 v6, v37, s[12:13] scale_offset
	s_wait_xcnt 0x0
	s_or_b32 exec_lo, exec_lo, s3
	s_and_saveexec_b32 s3, s1
	s_cbranch_execz .LBB132_36
.LBB132_71:
	s_delay_alu instid0(VALU_DEP_1)
	v_add_nc_u32_e32 v6, v5, v3
	s_wait_kmcnt 0x0
	global_store_b32 v6, v35, s[12:13] scale_offset
	s_wait_xcnt 0x0
	s_or_b32 exec_lo, exec_lo, s3
	s_and_saveexec_b32 s3, s2
	s_cbranch_execnz .LBB132_37
	s_branch .LBB132_38
.LBB132_72:
	s_delay_alu instid0(VALU_DEP_1)
	v_add_nc_u32_e32 v6, v5, v0
	s_wait_kmcnt 0x0
	global_store_b32 v6, v30, s[12:13] scale_offset
	s_wait_xcnt 0x0
	s_or_b32 exec_lo, exec_lo, s3
	s_and_saveexec_b32 s3, s0
	s_cbranch_execz .LBB132_41
.LBB132_73:
	s_delay_alu instid0(VALU_DEP_1)
	v_add_nc_u32_e32 v6, v5, v2
	s_wait_kmcnt 0x0
	global_store_b32 v6, v28, s[12:13] scale_offset
	s_wait_xcnt 0x0
	s_or_b32 exec_lo, exec_lo, s3
	s_and_saveexec_b32 s3, s1
	s_cbranch_execz .LBB132_42
.LBB132_74:
	s_delay_alu instid0(VALU_DEP_1)
	v_add_nc_u32_e32 v6, v5, v3
	s_wait_kmcnt 0x0
	global_store_b32 v6, v26, s[12:13] scale_offset
	s_wait_xcnt 0x0
	s_or_b32 exec_lo, exec_lo, s3
	s_and_saveexec_b32 s3, s2
	s_cbranch_execnz .LBB132_43
	s_branch .LBB132_44
.LBB132_75:
	s_delay_alu instid0(VALU_DEP_1)
	v_add_nc_u32_e32 v6, v5, v0
	s_wait_kmcnt 0x0
	global_store_b32 v6, v31, s[12:13] scale_offset
	s_wait_xcnt 0x0
	s_or_b32 exec_lo, exec_lo, s3
	s_and_saveexec_b32 s3, s0
	s_cbranch_execz .LBB132_47
.LBB132_76:
	s_delay_alu instid0(VALU_DEP_1)
	v_add_nc_u32_e32 v6, v5, v2
	s_wait_kmcnt 0x0
	global_store_b32 v6, v29, s[12:13] scale_offset
	s_wait_xcnt 0x0
	s_or_b32 exec_lo, exec_lo, s3
	s_and_saveexec_b32 s3, s1
	s_cbranch_execz .LBB132_48
.LBB132_77:
	s_delay_alu instid0(VALU_DEP_1)
	v_add_nc_u32_e32 v6, v5, v3
	s_wait_kmcnt 0x0
	global_store_b32 v6, v27, s[12:13] scale_offset
	s_wait_xcnt 0x0
	s_or_b32 exec_lo, exec_lo, s3
	s_and_saveexec_b32 s3, s2
	s_cbranch_execnz .LBB132_49
	s_branch .LBB132_50
.LBB132_78:
	s_delay_alu instid0(VALU_DEP_1)
	v_add_nc_u32_e32 v6, v5, v0
	s_wait_kmcnt 0x0
	global_store_b32 v6, v22, s[12:13] scale_offset
	s_wait_xcnt 0x0
	s_or_b32 exec_lo, exec_lo, s3
	s_and_saveexec_b32 s3, s0
	s_cbranch_execz .LBB132_53
.LBB132_79:
	s_delay_alu instid0(VALU_DEP_1)
	v_add_nc_u32_e32 v6, v5, v2
	s_wait_kmcnt 0x0
	global_store_b32 v6, v20, s[12:13] scale_offset
	s_wait_xcnt 0x0
	s_or_b32 exec_lo, exec_lo, s3
	s_and_saveexec_b32 s3, s1
	s_cbranch_execz .LBB132_54
.LBB132_80:
	s_delay_alu instid0(VALU_DEP_1)
	v_add_nc_u32_e32 v6, v5, v3
	s_wait_kmcnt 0x0
	global_store_b32 v6, v18, s[12:13] scale_offset
	s_wait_xcnt 0x0
	s_or_b32 exec_lo, exec_lo, s3
	s_and_saveexec_b32 s3, s2
	s_cbranch_execnz .LBB132_55
	s_branch .LBB132_56
.LBB132_81:
	s_delay_alu instid0(VALU_DEP_1)
	v_add_nc_u32_e32 v0, v1, v0
	s_wait_kmcnt 0x0
	global_store_b32 v0, v23, s[12:13] scale_offset
	s_wait_xcnt 0x0
	s_or_b32 exec_lo, exec_lo, s3
	s_and_saveexec_b32 s3, s0
	s_cbranch_execz .LBB132_59
.LBB132_82:
	s_delay_alu instid0(VALU_DEP_1)
	v_add_nc_u32_e32 v0, v1, v2
	s_wait_kmcnt 0x0
	global_store_b32 v0, v21, s[12:13] scale_offset
	s_wait_xcnt 0x0
	s_or_b32 exec_lo, exec_lo, s3
	s_and_saveexec_b32 s0, s1
	s_cbranch_execz .LBB132_60
.LBB132_83:
	s_delay_alu instid0(VALU_DEP_1) | instskip(SKIP_4) | instid1(SALU_CYCLE_1)
	v_add_nc_u32_e32 v0, v1, v3
	s_wait_kmcnt 0x0
	global_store_b32 v0, v19, s[12:13] scale_offset
	s_wait_xcnt 0x0
	s_or_b32 exec_lo, exec_lo, s0
	s_and_b32 exec_lo, exec_lo, s2
	s_cbranch_execnz .LBB132_61
	s_branch .LBB132_62
	.section	.rodata,"a",@progbits
	.p2align	6, 0x0
	.amdhsa_kernel _ZL12mul_mat_q4_KIfLb1EEvPKvS1_PT_iiiii
		.amdhsa_group_segment_fixed_size 28752
		.amdhsa_private_segment_fixed_size 200
		.amdhsa_kernarg_size 44
		.amdhsa_user_sgpr_count 2
		.amdhsa_user_sgpr_dispatch_ptr 0
		.amdhsa_user_sgpr_queue_ptr 0
		.amdhsa_user_sgpr_kernarg_segment_ptr 1
		.amdhsa_user_sgpr_dispatch_id 0
		.amdhsa_user_sgpr_kernarg_preload_length 0
		.amdhsa_user_sgpr_kernarg_preload_offset 0
		.amdhsa_user_sgpr_private_segment_size 0
		.amdhsa_wavefront_size32 1
		.amdhsa_uses_dynamic_stack 0
		.amdhsa_enable_private_segment 1
		.amdhsa_system_sgpr_workgroup_id_x 1
		.amdhsa_system_sgpr_workgroup_id_y 1
		.amdhsa_system_sgpr_workgroup_id_z 0
		.amdhsa_system_sgpr_workgroup_info 0
		.amdhsa_system_vgpr_workitem_id 1
		.amdhsa_next_free_vgpr 512
		.amdhsa_next_free_sgpr 18
		.amdhsa_named_barrier_count 0
		.amdhsa_reserve_vcc 1
		.amdhsa_float_round_mode_32 0
		.amdhsa_float_round_mode_16_64 0
		.amdhsa_float_denorm_mode_32 3
		.amdhsa_float_denorm_mode_16_64 3
		.amdhsa_fp16_overflow 0
		.amdhsa_memory_ordered 1
		.amdhsa_forward_progress 1
		.amdhsa_inst_pref_size 255
		.amdhsa_round_robin_scheduling 0
		.amdhsa_exception_fp_ieee_invalid_op 0
		.amdhsa_exception_fp_denorm_src 0
		.amdhsa_exception_fp_ieee_div_zero 0
		.amdhsa_exception_fp_ieee_overflow 0
		.amdhsa_exception_fp_ieee_underflow 0
		.amdhsa_exception_fp_ieee_inexact 0
		.amdhsa_exception_int_div_zero 0
	.end_amdhsa_kernel
	.section	.text._ZL12mul_mat_q4_KIfLb1EEvPKvS1_PT_iiiii,"axG",@progbits,_ZL12mul_mat_q4_KIfLb1EEvPKvS1_PT_iiiii,comdat
.Lfunc_end132:
	.size	_ZL12mul_mat_q4_KIfLb1EEvPKvS1_PT_iiiii, .Lfunc_end132-_ZL12mul_mat_q4_KIfLb1EEvPKvS1_PT_iiiii
                                        ; -- End function
	.set _ZL12mul_mat_q4_KIfLb1EEvPKvS1_PT_iiiii.num_vgpr, 512
	.set _ZL12mul_mat_q4_KIfLb1EEvPKvS1_PT_iiiii.num_agpr, 0
	.set _ZL12mul_mat_q4_KIfLb1EEvPKvS1_PT_iiiii.numbered_sgpr, 18
	.set _ZL12mul_mat_q4_KIfLb1EEvPKvS1_PT_iiiii.num_named_barrier, 0
	.set _ZL12mul_mat_q4_KIfLb1EEvPKvS1_PT_iiiii.private_seg_size, 200
	.set _ZL12mul_mat_q4_KIfLb1EEvPKvS1_PT_iiiii.uses_vcc, 1
	.set _ZL12mul_mat_q4_KIfLb1EEvPKvS1_PT_iiiii.uses_flat_scratch, 1
	.set _ZL12mul_mat_q4_KIfLb1EEvPKvS1_PT_iiiii.has_dyn_sized_stack, 0
	.set _ZL12mul_mat_q4_KIfLb1EEvPKvS1_PT_iiiii.has_recursion, 0
	.set _ZL12mul_mat_q4_KIfLb1EEvPKvS1_PT_iiiii.has_indirect_call, 0
	.section	.AMDGPU.csdata,"",@progbits
; Kernel info:
; codeLenInByte = 75724
; TotalNumSgprs: 20
; NumVgprs: 512
; ScratchSize: 200
; MemoryBound: 0
; FloatMode: 240
; IeeeMode: 1
; LDSByteSize: 28752 bytes/workgroup (compile time only)
; SGPRBlocks: 0
; VGPRBlocks: 31
; NumSGPRsForWavesPerEU: 20
; NumVGPRsForWavesPerEU: 512
; NamedBarCnt: 0
; Occupancy: 2
; WaveLimiterHint : 0
; COMPUTE_PGM_RSRC2:SCRATCH_EN: 1
; COMPUTE_PGM_RSRC2:USER_SGPR: 2
; COMPUTE_PGM_RSRC2:TRAP_HANDLER: 0
; COMPUTE_PGM_RSRC2:TGID_X_EN: 1
; COMPUTE_PGM_RSRC2:TGID_Y_EN: 1
; COMPUTE_PGM_RSRC2:TGID_Z_EN: 0
; COMPUTE_PGM_RSRC2:TIDIG_COMP_CNT: 1
	.section	.text._ZL12mul_mat_q5_KIfLb0EEvPKvS1_PT_iiiii,"axG",@progbits,_ZL12mul_mat_q5_KIfLb0EEvPKvS1_PT_iiiii,comdat
	.globl	_ZL12mul_mat_q5_KIfLb0EEvPKvS1_PT_iiiii ; -- Begin function _ZL12mul_mat_q5_KIfLb0EEvPKvS1_PT_iiiii
	.p2align	8
	.type	_ZL12mul_mat_q5_KIfLb0EEvPKvS1_PT_iiiii,@function
_ZL12mul_mat_q5_KIfLb0EEvPKvS1_PT_iiiii: ; @_ZL12mul_mat_q5_KIfLb0EEvPKvS1_PT_iiiii
; %bb.0:
	s_clause 0x1
	s_load_b32 s10, s[0:1], 0x18
	s_load_b96 s[4:6], s[0:1], 0x20
	s_bfe_u32 s2, ttmp6, 0x4000c
	s_bfe_u32 s7, ttmp6, 0x40010
	s_add_co_i32 s2, s2, 1
	s_and_b32 s3, ttmp6, 15
	s_mul_i32 s2, ttmp9, s2
	s_add_co_i32 s7, s7, 1
	s_add_co_i32 s3, s3, s2
	s_mul_i32 s2, ttmp7, s7
	s_bfe_u32 s7, ttmp6, 0x40004
	s_getreg_b32 s8, hwreg(HW_REG_IB_STS2, 6, 4)
	s_add_co_i32 s7, s7, s2
	s_cmp_eq_u32 s8, 0
	v_bfe_u32 v53, v0, 10, 10
	s_cselect_b32 s7, ttmp7, s7
	v_and_b32_e32 v67, 0x3ff, v0
	s_cselect_b32 s2, ttmp9, s3
	s_lshl_b32 s7, s7, 6
	s_mov_b32 s3, 0
	s_wait_kmcnt 0x0
	s_cmp_gt_i32 s10, 0xff
	s_cbranch_scc1 .LBB133_2
; %bb.1:
	v_bfe_u32 v1, v0, 10, 10
	v_and_b32_e32 v2, 0x3ff, v0
	s_delay_alu instid0(VALU_DEP_2)
	v_add_nc_u32_e32 v69, s7, v1
	s_branch .LBB133_3
.LBB133_2:
	s_mov_b32 s3, -1
                                        ; implicit-def: $vgpr1
                                        ; implicit-def: $vgpr2
                                        ; implicit-def: $vgpr69
.LBB133_3:
	s_load_b64 s[8:9], s[0:1], 0x10
	v_dual_mov_b32 v29, 0 :: v_dual_mov_b32 v28, 0
	v_dual_mov_b32 v37, 0 :: v_dual_mov_b32 v36, 0
	v_dual_mov_b32 v45, 0 :: v_dual_mov_b32 v44, 0
	v_dual_mov_b32 v59, 0 :: v_dual_mov_b32 v58, 0
	v_dual_mov_b32 v31, 0 :: v_dual_mov_b32 v30, 0
	v_dual_mov_b32 v39, 0 :: v_dual_mov_b32 v38, 0
	v_dual_mov_b32 v47, 0 :: v_dual_mov_b32 v46, 0
	v_dual_mov_b32 v61, 0 :: v_dual_mov_b32 v60, 0
	v_dual_mov_b32 v33, 0 :: v_dual_mov_b32 v32, 0
	v_dual_mov_b32 v41, 0 :: v_dual_mov_b32 v40, 0
	v_dual_mov_b32 v49, 0 :: v_dual_mov_b32 v48, 0
	v_dual_mov_b32 v63, 0 :: v_dual_mov_b32 v62, 0
	v_dual_mov_b32 v35, 0 :: v_dual_mov_b32 v34, 0
	v_dual_mov_b32 v43, 0 :: v_dual_mov_b32 v42, 0
	v_dual_mov_b32 v51, 0 :: v_dual_mov_b32 v50, 0
	v_dual_mov_b32 v65, 0 :: v_dual_mov_b32 v64, 0
	s_and_not1_b32 vcc_lo, exec_lo, s3
	s_lshl_b32 s14, s2, 7
	s_cbranch_vccnz .LBB133_11
; %bb.4:
	v_dual_add_nc_u32 v69, s7, v53 :: v_dual_bitop2_b32 v20, 7, v0 bitop3:0x40
	s_add_co_i32 s16, s4, -1
	v_mul_u32_u24_e32 v23, 0x41, v53
	v_cvt_f64_i32_e32 v[2:3], s16
	s_delay_alu instid0(VALU_DEP_3) | instskip(SKIP_2) | instid1(VALU_DEP_3)
	v_dual_add_nc_u32 v1, 8, v69 :: v_dual_add_nc_u32 v8, 16, v69
	v_dual_add_nc_u32 v10, 24, v69 :: v_dual_add_nc_u32 v14, 40, v69
	v_add_nc_u32_e32 v16, 48, v69
	v_cvt_f64_u32_e32 v[6:7], v1
	v_add_nc_u32_e32 v1, 32, v69
	v_cvt_f64_u32_e32 v[8:9], v8
	v_cvt_f64_u32_e32 v[10:11], v10
	;; [unrolled: 1-line block ×6, first 2 shown]
	v_dual_add_nc_u32 v1, 56, v69 :: v_dual_lshlrev_b32 v21, 3, v67
	v_lshlrev_b32_e32 v20, 2, v20
	v_bfe_u32 v22, v0, 2, 8
	s_ashr_i32 s11, s10, 31
	s_delay_alu instid0(VALU_DEP_3)
	v_cvt_f64_u32_e32 v[18:19], v1
	v_lshlrev_b32_e32 v1, 2, v67
	v_and_or_b32 v20, 0xc0, v21, v20
	s_lshr_b32 s11, s11, 24
	s_ashr_i32 s12, s5, 31
	s_add_co_i32 s10, s10, s11
	s_lshr_b32 s12, s12, 27
	v_lshl_add_u32 v75, v23, 2, v20
	s_ashr_i32 s15, s10, 8
	s_add_co_i32 s5, s5, s12
	s_mul_i32 s10, s15, s14
	v_dual_mov_b32 v55, 0 :: v_dual_bitop2_b32 v56, 28, v1 bitop3:0x40
	s_ashr_i32 s11, s10, 31
	v_add_nc_u32_e32 v20, 8, v53
	s_mul_u64 s[12:13], s[10:11], 0xb0
	s_ashr_i32 s10, s5, 5
	s_lshl_b32 s5, s15, 3
	v_dual_mov_b32 v57, v55 :: v_dual_bitop2_b32 v71, 6, v22 bitop3:0x40
	v_dual_min_num_f64 v[6:7], v[6:7], v[2:3] :: v_dual_lshlrev_b32 v77, 5, v53
	v_dual_min_num_f64 v[8:9], v[8:9], v[2:3] :: v_dual_add_nc_u32 v21, 16, v53
	v_dual_min_num_f64 v[10:11], v[10:11], v[2:3] :: v_dual_add_nc_u32 v23, 24, v53
	;; [unrolled: 1-line block ×4, first 2 shown]
	v_min_num_f64_e32 v[4:5], v[4:5], v[2:3]
	v_dual_add_nc_u32 v24, v77, v67 :: v_dual_bitop2_b32 v26, 3, v0 bitop3:0x40
	v_dual_min_num_f64 v[14:15], v[14:15], v[2:3] :: v_dual_lshlrev_b32 v29, 3, v53
	v_mad_i32_i24 v66, s15, v53, s5
	s_delay_alu instid0(VALU_DEP_3) | instskip(SKIP_4) | instid1(VALU_DEP_4)
	v_lshrrev_b32_e32 v27, 3, v24
	v_and_b32_e32 v24, 0x7f, v24
	v_min_num_f64_e32 v[2:3], v[18:19], v[2:3]
	v_cmp_gt_u32_e32 vcc_lo, 2, v26
	v_dual_add_nc_u32 v30, 48, v53 :: v_dual_add_nc_u32 v31, 56, v53
	v_dual_lshlrev_b32 v27, 2, v24 :: v_dual_bitop2_b32 v19, 12, v27 bitop3:0x40
	v_bfe_u32 v131, v0, 3, 7
	s_wait_xcnt 0x0
	s_load_b128 s[0:3], s[0:1], 0x0
	v_bfe_u32 v52, v0, 5, 5
	v_dual_lshlrev_b32 v163, 5, v25 :: v_dual_lshlrev_b32 v164, 5, v28
	v_add3_u32 v79, v27, v19, 0xae40
	v_and_b32_e32 v27, 4, v1
	v_add_nc_u32_e32 v18, 0xfe, v26
	v_cvt_i32_f64_e32 v6, v[6:7]
	v_dual_lshlrev_b32 v165, 5, v30 :: v_dual_lshlrev_b32 v166, 5, v31
	v_cvt_i32_f64_e32 v7, v[8:9]
	v_cvt_i32_f64_e32 v8, v[10:11]
	v_and_b32_e32 v18, 0xff, v18
	v_cvt_i32_f64_e32 v9, v[12:13]
	v_add_nc_u16 v12, v22, v29
	v_cvt_i32_f64_e32 v13, v[16:17]
	s_movk_i32 s11, 0x4100
	v_cvt_i32_f64_e32 v5, v[4:5]
	v_cndmask_b32_e32 v18, v18, v26, vcc_lo
	v_lshrrev_b16 v12, 1, v12
	v_cvt_i32_f64_e32 v11, v[14:15]
	v_dual_lshlrev_b32 v15, 2, v26 :: v_dual_add_nc_u32 v19, v22, v29
	s_delay_alu instid0(VALU_DEP_3) | instskip(SKIP_2) | instid1(VALU_DEP_4)
	v_dual_lshlrev_b32 v85, 1, v18 :: v_dual_bitop2_b32 v12, 60, v12 bitop3:0x40
	v_cvt_i32_f64_e32 v2, v[2:3]
	v_cmp_ne_u32_e32 vcc_lo, 0, v26
	v_and_b32_e32 v10, 0x7f, v19
	v_bitop3_b32 v14, v19, 64, 0x7f bitop3:0x6c
	v_and_b32_e32 v16, 63, v19
	v_and_b32_e32 v22, 31, v0
	v_add_co_ci_u32_e64 v4, null, 0, v18, vcc_lo
	v_lshl_or_b32 v17, v10, 4, v15
	v_lshrrev_b32_e32 v3, 1, v14
	v_lshl_or_b32 v19, v14, 4, v15
	v_cmp_lt_u32_e32 vcc_lo, 1, v26
	s_wait_kmcnt 0x0
	v_add_nc_u64_e32 v[104:105], s[2:3], v[56:57]
	v_mov_b64_e32 v[64:65], 0
	v_and_b32_e32 v3, 60, v3
	v_mul_lo_u32 v97, s10, v6
	v_lshlrev_b32_e32 v6, 7, v20
	v_mul_lo_u32 v99, s10, v7
	v_mul_lo_u32 v101, s10, v8
	v_lshlrev_b32_e32 v8, 7, v23
	v_add3_u32 v87, v17, v12, 0xa200
	v_add_nc_u32_e32 v12, 32, v67
	v_mul_lo_u32 v109, s10, v13
	v_dual_add_nc_u32 v13, 64, v67 :: v_dual_add_nc_u32 v68, s5, v66
	v_add3_u32 v89, v19, v3, 0xa200
	s_delay_alu instid0(VALU_DEP_4) | instskip(SKIP_1) | instid1(VALU_DEP_4)
	v_lshlrev_b32_e32 v167, 4, v12
	v_mul_lo_u32 v95, s10, v5
	v_dual_lshlrev_b32 v168, 4, v13 :: v_dual_add_nc_u32 v70, s5, v68
	v_dual_lshlrev_b32 v5, 7, v53 :: v_dual_bitop2_b32 v18, s7, v16 bitop3:0x54
	v_lshlrev_b32_e32 v7, 7, v21
	v_mul_lo_u32 v103, s10, v9
	v_lshlrev_b32_e32 v9, 7, v25
	v_lshl_or_b32 v3, v22, 2, 0x8200
	v_dual_mov_b32 v73, v55 :: v_dual_add_nc_u32 v74, s5, v70
	v_min_i32_e32 v18, s16, v18
	v_mul_lo_u32 v107, s10, v11
	s_delay_alu instid0(VALU_DEP_4) | instskip(NEXT) | instid1(VALU_DEP_4)
	v_dual_lshlrev_b32 v11, 7, v28 :: v_dual_add_nc_u32 v172, v3, v7
	v_dual_add_nc_u32 v76, s5, v74 :: v_dual_lshlrev_b32 v178, 2, v1
	v_lshl_or_b32 v15, v16, 4, v15
	s_delay_alu instid0(VALU_DEP_3) | instskip(SKIP_1) | instid1(VALU_DEP_4)
	v_dual_add_nc_u32 v175, v3, v11 :: v_dual_lshlrev_b32 v16, 7, v30
	v_lshrrev_b32_e32 v129, 3, v12
	v_add_nc_u32_e32 v78, s5, v76
	s_delay_alu instid0(VALU_DEP_4) | instskip(SKIP_2) | instid1(VALU_DEP_4)
	v_add_nc_u32_e32 v93, 0xaa40, v15
	v_add_nc_u32_e32 v15, 0x60, v67
	v_mul_lo_u32 v127, s10, v2
	v_dual_lshrrev_b32 v2, 3, v13 :: v_dual_add_nc_u32 v82, s5, v78
	v_or_b32_e32 v181, 1, v71
	v_lshlrev_b32_e32 v186, 2, v131
	v_lshrrev_b32_e32 v17, 3, v15
	v_mad_u32 v91, v18, s10, v26
	v_dual_add_nc_u32 v84, s5, v82 :: v_dual_lshlrev_b32 v187, 2, v129
	v_cndmask_b32_e32 v83, 0, v27, vcc_lo
	v_dual_lshlrev_b32 v18, 7, v31 :: v_dual_lshlrev_b32 v19, 2, v52
	s_delay_alu instid0(VALU_DEP_3) | instskip(SKIP_1) | instid1(VALU_DEP_2)
	v_dual_add_nc_u32 v92, s5, v84 :: v_dual_bitop2_b32 v22, 60, v129 bitop3:0x40
	v_dual_lshlrev_b32 v160, 5, v20 :: v_dual_bitop2_b32 v26, 60, v2 bitop3:0x40
	v_dual_lshlrev_b32 v161, 5, v21 :: v_dual_add_nc_u32 v94, s5, v92
	v_dual_lshlrev_b32 v162, 5, v23 :: v_dual_bitop2_b32 v27, 60, v17 bitop3:0x40
	v_cndmask_b32_e64 v0, 0, 1, vcc_lo
	s_movk_i32 s10, 0x2080
	s_delay_alu instid0(VALU_DEP_3)
	v_add_nc_u32_e32 v96, s5, v94
	s_movk_i32 s16, 0x6180
	v_mov_b64_e32 v[50:51], 0
	v_mov_b64_e32 v[42:43], 0
	v_mov_b64_e32 v[34:35], 0
	v_add_nc_u32_e32 v98, s5, v96
	v_mov_b64_e32 v[62:63], 0
	v_mov_b64_e32 v[48:49], 0
	v_mov_b64_e32 v[40:41], 0
	v_mov_b64_e32 v[32:33], 0
	v_add_nc_u32_e32 v100, s5, v98
	v_mov_b64_e32 v[60:61], 0
	;; [unrolled: 5-line block ×3, first 2 shown]
	v_mov_b64_e32 v[44:45], 0
	v_mov_b64_e32 v[36:37], 0
	;; [unrolled: 1-line block ×3, first 2 shown]
	v_and_b32_e32 v54, 0x7c, v1
	v_add3_u32 v139, v19, v1, 0xae40
	v_add3_u32 v143, v1, v22, 0xae40
	v_add3_u32 v158, v1, v26, 0xae40
	v_add3_u32 v159, v1, v27, 0xae40
	v_dual_lshlrev_b32 v169, 4, v15 :: v_dual_lshlrev_b32 v72, 2, v4
	v_dual_add_nc_u32 v170, v3, v5 :: v_dual_add_nc_u32 v171, v3, v6
	v_dual_add_nc_u32 v173, v3, v8 :: v_dual_add_nc_u32 v174, v3, v9
	;; [unrolled: 1-line block ×3, first 2 shown]
	v_dual_mov_b32 v81, v55 :: v_dual_lshlrev_b32 v80, 2, v0
	v_dual_lshlrev_b32 v179, 2, v2 :: v_dual_lshlrev_b32 v180, 2, v17
	v_mul_i32_i24_e32 v86, s15, v24
	v_mul_i32_i24_e32 v88, s15, v10
	;; [unrolled: 1-line block ×3, first 2 shown]
	v_mul_u32_u24_e32 v182, 0x104, v67
	v_mad_u32_u24 v183, 0x104, v67, s10
	v_mad_u32_u24 v184, 0x104, v67, s11
	;; [unrolled: 1-line block ×3, first 2 shown]
	v_add_nc_u32_e32 v188, 0x800, v75
	v_add_nc_u32_e32 v189, 0x1000, v75
	;; [unrolled: 1-line block ×15, first 2 shown]
	v_mul_i32_i24_e32 v106, s15, v53
	v_add_nc_u32_e32 v108, s5, v102
	s_mov_b32 s11, 0
	s_add_nc_u64 s[0:1], s[0:1], s[12:13]
	s_mov_b32 s10, s11
.LBB133_5:                              ; =>This Loop Header: Depth=1
                                        ;     Child Loop BB133_6 Depth 2
                                        ;     Child Loop BB133_8 Depth 2
	s_delay_alu instid0(SALU_CYCLE_1)
	s_mul_u64 s[12:13], s[10:11], 0xb0
	s_lshl_b32 s5, s10, 3
	s_add_nc_u64 s[12:13], s[0:1], s[12:13]
	s_mov_b32 s16, 0
	v_mad_nc_u64_u32 v[0:1], 0xb0, v52, s[12:13]
	v_mad_nc_u64_u32 v[2:3], 0xb0, v88, s[12:13]
	;; [unrolled: 1-line block ×3, first 2 shown]
	s_delay_alu instid0(VALU_DEP_3) | instskip(SKIP_1) | instid1(VALU_DEP_4)
	v_mad_nc_u64_u32 v[6:7], 0xb0, v106, v[0:1]
	v_mad_nc_u64_u32 v[8:9], 0xb0, v66, v[0:1]
	v_add_nc_u64_e32 v[24:25], v[2:3], v[72:73]
	v_add_nc_u64_e32 v[2:3], v[2:3], v[80:81]
	;; [unrolled: 1-line block ×4, first 2 shown]
	v_mad_nc_u64_u32 v[10:11], 0xb0, v68, v[0:1]
	v_mad_nc_u64_u32 v[12:13], 0xb0, v70, v[0:1]
	s_clause 0x3
	global_load_b32 v118, v[24:25], off offset:4
	global_load_b32 v119, v[26:27], off offset:4
	;; [unrolled: 1-line block ×4, first 2 shown]
	s_wait_xcnt 0x1
	v_add_nc_u64_e32 v[2:3], v[6:7], v[54:55]
	v_add_nc_u64_e32 v[6:7], v[6:7], v[56:57]
	;; [unrolled: 1-line block ×4, first 2 shown]
	v_mad_nc_u64_u32 v[14:15], 0xb0, v74, v[0:1]
	v_mad_nc_u64_u32 v[16:17], 0xb0, v76, v[0:1]
	;; [unrolled: 1-line block ×3, first 2 shown]
	s_clause 0x3
	global_load_b32 v122, v[2:3], off offset:48
	global_load_b32 v123, v[6:7], off offset:16
	;; [unrolled: 1-line block ×4, first 2 shown]
	v_add_nc_u64_e32 v[2:3], v[10:11], v[54:55]
	v_add_nc_u64_e32 v[6:7], v[10:11], v[56:57]
	;; [unrolled: 1-line block ×3, first 2 shown]
	s_wait_xcnt 0x0
	v_add_nc_u64_e32 v[8:9], v[12:13], v[56:57]
	v_mad_nc_u64_u32 v[20:21], 0xb0, v82, v[0:1]
	v_mad_nc_u64_u32 v[22:23], 0xb0, v84, v[0:1]
	;; [unrolled: 1-line block ×3, first 2 shown]
	s_clause 0x3
	global_load_b32 v124, v[2:3], off offset:48
	global_load_b32 v125, v[6:7], off offset:16
	;; [unrolled: 1-line block ×4, first 2 shown]
	s_wait_xcnt 0x3
	v_add_nc_u64_e32 v[2:3], v[14:15], v[54:55]
	s_wait_xcnt 0x2
	v_add_nc_u64_e32 v[6:7], v[14:15], v[56:57]
	;; [unrolled: 2-line block ×4, first 2 shown]
	v_mad_nc_u64_u32 v[112:113], 0xb0, v94, v[0:1]
	v_mad_nc_u64_u32 v[114:115], 0xb0, v96, v[0:1]
	;; [unrolled: 1-line block ×3, first 2 shown]
	s_clause 0x3
	global_load_b32 v130, v[2:3], off offset:48
	global_load_b32 v132, v[6:7], off offset:16
	;; [unrolled: 1-line block ×4, first 2 shown]
	s_wait_xcnt 0x3
	v_add_nc_u64_e32 v[2:3], v[18:19], v[54:55]
	s_wait_xcnt 0x2
	v_add_nc_u64_e32 v[6:7], v[18:19], v[56:57]
	;; [unrolled: 2-line block ×4, first 2 shown]
	v_mad_nc_u64_u32 v[4:5], 0xb0, v100, v[0:1]
	v_mad_nc_u64_u32 v[26:27], 0xb0, v102, v[0:1]
	v_mad_nc_u64_u32 v[0:1], 0xb0, v108, v[0:1]
	s_clause 0x1
	global_load_b32 v20, v[2:3], off offset:48
	global_load_b32 v21, v[6:7], off offset:16
	s_wait_xcnt 0x1
	v_add_nc_u64_e32 v[2:3], v[22:23], v[54:55]
	s_wait_xcnt 0x0
	v_add_nc_u64_e32 v[6:7], v[22:23], v[56:57]
	s_clause 0x1
	global_load_b32 v22, v[10:11], off offset:48
	global_load_b32 v23, v[8:9], off offset:16
	s_wait_xcnt 0x1
	v_add_nc_u64_e32 v[10:11], v[110:111], v[54:55]
	s_wait_xcnt 0x0
	v_add_nc_u64_e32 v[8:9], v[110:111], v[56:57]
	;; [unrolled: 7-line block ×5, first 2 shown]
	s_clause 0x3
	global_load_b32 v24, v[10:11], off offset:48
	global_load_b32 v25, v[8:9], off offset:16
	;; [unrolled: 1-line block ×4, first 2 shown]
	s_wait_xcnt 0x3
	v_add_nc_u64_e32 v[10:11], v[4:5], v[54:55]
	v_add_nc_u64_e32 v[4:5], v[4:5], v[56:57]
	s_wait_xcnt 0x1
	v_add_nc_u64_e32 v[2:3], v[26:27], v[54:55]
	s_wait_xcnt 0x0
	v_add_nc_u64_e32 v[6:7], v[26:27], v[56:57]
	s_clause 0x1
	global_load_b32 v26, v[10:11], off offset:48
	global_load_b32 v27, v[4:5], off offset:16
	v_add_nc_u64_e32 v[8:9], v[0:1], v[54:55]
	v_add_nc_u64_e32 v[0:1], v[0:1], v[56:57]
	s_clause 0x3
	global_load_b32 v138, v[2:3], off offset:48
	global_load_b32 v140, v[6:7], off offset:16
	;; [unrolled: 1-line block ×4, first 2 shown]
	s_wait_xcnt 0x0
	v_add_nc_u32_e32 v0, s5, v131
	v_add_nc_u32_e32 v137, s5, v91
	v_mad_nc_u64_u32 v[8:9], 0xb0, v86, s[12:13]
	s_mov_b32 s12, -1
	s_delay_alu instid0(VALU_DEP_3)
	v_dual_add_nc_u32 v1, v0, v95 :: v_dual_add_nc_u32 v12, v0, v101
	v_dual_add_nc_u32 v2, v0, v99 :: v_dual_add_nc_u32 v6, v0, v109
	;; [unrolled: 1-line block ×3, first 2 shown]
	v_add_nc_u32_e32 v14, v0, v107
	v_add_nc_u32_e32 v16, v0, v127
	v_mad_nc_i64_i32 v[0:1], v1, 36, v[104:105]
	v_mad_nc_i64_i32 v[2:3], v2, 36, v[104:105]
	;; [unrolled: 1-line block ×8, first 2 shown]
	v_mad_nc_u64_u32 v[18:19], v137, 36, s[2:3]
	s_clause 0x3
	global_load_b32 v144, v[0:1], off offset:4
	global_load_b32 v145, v[2:3], off offset:4
	;; [unrolled: 1-line block ×4, first 2 shown]
	global_load_b32 v148, v[8:9], off
	s_clause 0x4
	global_load_b32 v149, v[10:11], off offset:4
	global_load_b32 v150, v[12:13], off offset:4
	;; [unrolled: 1-line block ×4, first 2 shown]
	global_load_b32 v153, v[18:19], off
	s_wait_loadcnt 0x2c
	s_wait_xcnt 0x9
	v_dual_ashrrev_i32 v0, v83, v118 :: v_dual_ashrrev_i32 v1, v83, v119
	s_wait_loadcnt 0x2a
	s_wait_xcnt 0x8
	v_dual_ashrrev_i32 v3, v85, v121 :: v_dual_ashrrev_i32 v2, v85, v120
	s_delay_alu instid0(VALU_DEP_2) | instskip(NEXT) | instid1(VALU_DEP_1)
	v_and_b32_e32 v0, 0xf0f0f0f, v0
	v_and_or_b32 v0, 0x30303030, v2, v0
	s_wait_loadcnt 0x28
	s_wait_xcnt 0x7
	v_dual_ashrrev_i32 v4, v71, v123 :: v_dual_ashrrev_i32 v5, v181, v123
	s_wait_loadcnt 0x27
	s_wait_xcnt 0x6
	v_lshrrev_b32_e32 v7, 4, v116
	v_and_b32_e32 v1, 0xf0f0f0f, v1
	s_wait_loadcnt 0x26
	s_wait_xcnt 0x5
	v_dual_ashrrev_i32 v8, v71, v117 :: v_dual_ashrrev_i32 v9, v181, v117
	v_and_b32_e32 v6, 0xf0f0f0f, v116
	v_and_b32_e32 v2, 0xf0f0f0f, v122
	v_and_or_b32 v1, 0x30303030, v3, v1
	s_wait_loadcnt 0x25
	s_wait_xcnt 0x4
	v_dual_lshrrev_b32 v3, 4, v122 :: v_dual_lshrrev_b32 v11, 4, v124
	s_wait_loadcnt 0x24
	s_wait_xcnt 0x3
	v_dual_ashrrev_i32 v12, v71, v125 :: v_dual_ashrrev_i32 v13, v181, v125
	s_wait_loadcnt 0x22
	s_wait_xcnt 0x1
	v_dual_lshrrev_b32 v15, 4, v126 :: v_dual_ashrrev_i32 v16, v71, v128
	v_ashrrev_i32_e32 v17, v181, v128
	v_and_b32_e32 v10, 0xf0f0f0f, v124
	v_and_b32_e32 v14, 0xf0f0f0f, v126
	v_and_b32_e32 v3, 0xf0f0f0f, v3
	v_dual_lshlrev_b32 v4, 4, v4 :: v_dual_lshlrev_b32 v5, 4, v5
	s_wait_loadcnt 0x20
	s_wait_xcnt 0x0
	v_dual_lshrrev_b32 v19, 4, v130 :: v_dual_ashrrev_i32 v116, v71, v132
	s_wait_loadcnt 0x1f
	v_dual_ashrrev_i32 v117, v181, v132 :: v_dual_lshrrev_b32 v119, 4, v133
	v_and_b32_e32 v18, 0xf0f0f0f, v130
	v_and_b32_e32 v118, 0xf0f0f0f, v133
	s_wait_loadcnt 0x1e
	v_dual_ashrrev_i32 v120, v71, v134 :: v_dual_ashrrev_i32 v121, v181, v134
	v_and_b32_e32 v7, 0xf0f0f0f, v7
	v_dual_lshlrev_b32 v8, 4, v8 :: v_dual_lshlrev_b32 v9, 4, v9
	s_wait_loadcnt 0x1d
	v_and_b32_e32 v122, 0xf0f0f0f, v20
	s_wait_loadcnt 0x1c
	v_dual_lshrrev_b32 v20, 4, v20 :: v_dual_ashrrev_i32 v123, v71, v21
	v_ashrrev_i32_e32 v21, v181, v21
	s_wait_loadcnt 0x1b
	v_and_b32_e32 v124, 0xf0f0f0f, v22
	s_wait_loadcnt 0x1a
	v_dual_lshrrev_b32 v22, 4, v22 :: v_dual_ashrrev_i32 v125, v71, v23
	v_ashrrev_i32_e32 v23, v181, v23
	v_and_b32_e32 v11, 0xf0f0f0f, v11
	s_wait_loadcnt 0x19
	v_and_b32_e32 v126, 0xf0f0f0f, v110
	s_wait_loadcnt 0x18
	v_dual_lshrrev_b32 v110, 4, v110 :: v_dual_ashrrev_i32 v128, v71, v111
	v_ashrrev_i32_e32 v111, v181, v111
	s_wait_loadcnt 0x17
	v_and_b32_e32 v130, 0xf0f0f0f, v112
	s_wait_loadcnt 0x16
	v_dual_lshrrev_b32 v112, 4, v112 :: v_dual_ashrrev_i32 v132, v71, v113
	v_dual_ashrrev_i32 v113, v181, v113 :: v_dual_lshlrev_b32 v12, 4, v12
	v_lshlrev_b32_e32 v13, 4, v13
	s_wait_loadcnt 0x15
	v_and_b32_e32 v133, 0xf0f0f0f, v114
	s_wait_loadcnt 0x14
	v_dual_lshrrev_b32 v114, 4, v114 :: v_dual_ashrrev_i32 v134, v71, v115
	v_ashrrev_i32_e32 v115, v181, v115
	s_wait_loadcnt 0x13
	v_and_b32_e32 v154, 0xf0f0f0f, v24
	s_wait_loadcnt 0x12
	v_dual_lshrrev_b32 v24, 4, v24 :: v_dual_ashrrev_i32 v155, v71, v25
	v_ashrrev_i32_e32 v25, v181, v25
	s_wait_loadcnt 0x11
	v_and_b32_e32 v156, 0xf0f0f0f, v135
	s_wait_loadcnt 0x10
	v_dual_lshrrev_b32 v135, 4, v135 :: v_dual_ashrrev_i32 v157, v71, v136
	v_ashrrev_i32_e32 v136, v181, v136
	v_and_b32_e32 v15, 0xf0f0f0f, v15
	v_dual_lshlrev_b32 v16, 4, v16 :: v_dual_lshlrev_b32 v17, 4, v17
	v_and_b32_e32 v19, 0xf0f0f0f, v19
	v_dual_lshlrev_b32 v116, 4, v116 :: v_dual_lshlrev_b32 v117, 4, v117
	s_wait_loadcnt 0xf
	v_and_b32_e32 v203, 0xf0f0f0f, v26
	s_wait_loadcnt 0xe
	v_dual_lshrrev_b32 v26, 4, v26 :: v_dual_ashrrev_i32 v204, v71, v27
	v_ashrrev_i32_e32 v27, v181, v27
	s_wait_loadcnt 0xd
	v_and_b32_e32 v205, 0xf0f0f0f, v138
	s_wait_loadcnt 0xc
	v_dual_lshrrev_b32 v138, 4, v138 :: v_dual_ashrrev_i32 v206, v71, v140
	v_ashrrev_i32_e32 v140, v181, v140
	;; [unrolled: 5-line block ×3, first 2 shown]
	v_and_b32_e32 v119, 0xf0f0f0f, v119
	v_dual_lshlrev_b32 v120, 4, v120 :: v_dual_lshlrev_b32 v121, 4, v121
	v_and_b32_e32 v20, 0xf0f0f0f, v20
	v_dual_lshlrev_b32 v123, 4, v123 :: v_dual_lshlrev_b32 v21, 4, v21
	v_and_b32_e32 v22, 0xf0f0f0f, v22
	v_dual_lshlrev_b32 v125, 4, v125 :: v_dual_lshlrev_b32 v23, 4, v23
	v_and_b32_e32 v110, 0xf0f0f0f, v110
	v_dual_lshlrev_b32 v128, 4, v128 :: v_dual_lshlrev_b32 v111, 4, v111
	v_and_b32_e32 v112, 0xf0f0f0f, v112
	v_dual_lshlrev_b32 v132, 4, v132 :: v_dual_lshlrev_b32 v113, 4, v113
	v_and_b32_e32 v114, 0xf0f0f0f, v114
	v_dual_lshlrev_b32 v134, 4, v134 :: v_dual_lshlrev_b32 v115, 4, v115
	v_and_b32_e32 v24, 0xf0f0f0f, v24
	v_dual_lshlrev_b32 v155, 4, v155 :: v_dual_lshlrev_b32 v25, 4, v25
	v_and_b32_e32 v135, 0xf0f0f0f, v135
	v_dual_lshlrev_b32 v157, 4, v157 :: v_dual_lshlrev_b32 v136, 4, v136
	v_and_b32_e32 v26, 0xf0f0f0f, v26
	v_dual_lshlrev_b32 v204, 4, v204 :: v_dual_lshlrev_b32 v27, 4, v27
	v_and_b32_e32 v138, 0xf0f0f0f, v138
	v_dual_lshlrev_b32 v206, 4, v206 :: v_dual_lshlrev_b32 v140, 4, v140
	v_and_b32_e32 v141, 0xf0f0f0f, v141
	v_dual_lshlrev_b32 v208, 4, v208 :: v_dual_lshlrev_b32 v142, 4, v142
	v_and_or_b32 v2, 0x10101010, v4, v2
	v_and_or_b32 v3, 0x10101010, v5, v3
	;; [unrolled: 1-line block ×32, first 2 shown]
	ds_store_2addr_b32 v75, v2, v3 offset1:8
	ds_store_2addr_b32 v188, v4, v5 offset0:8 offset1:16
	ds_store_2addr_b32 v189, v6, v7 offset0:16 offset1:24
	;; [unrolled: 1-line block ×15, first 2 shown]
	ds_store_b32 v87, v0
	ds_store_b32 v89, v1
	s_wait_loadcnt 0x9
	ds_store_b32 v170, v144
	s_wait_loadcnt 0x8
	;; [unrolled: 2-line block ×10, first 2 shown]
	ds_store_b32 v93, v153
	s_wait_dscnt 0x0
	s_barrier_signal -1
	s_barrier_wait -1
	ds_load_b32 v0, v139
	ds_load_b32 v1, v143 offset:128
	ds_load_b32 v2, v158 offset:256
	;; [unrolled: 1-line block ×3, first 2 shown]
	s_wait_dscnt 0x3
	v_cvt_f32_f16_e32 v110, v0
	v_lshrrev_b32_e32 v0, 16, v0
	s_wait_dscnt 0x2
	v_cvt_f32_f16_e32 v112, v1
	v_lshrrev_b32_e32 v1, 16, v1
	s_wait_dscnt 0x1
	v_cvt_f32_f16_e32 v114, v2
	s_wait_dscnt 0x0
	v_dual_lshrrev_b32 v2, 16, v2 :: v_dual_lshrrev_b32 v4, 16, v3
	v_cvt_f32_f16_e32 v116, v3
	v_cvt_f32_f16_e32 v118, v0
	;; [unrolled: 1-line block ×3, first 2 shown]
	s_delay_alu instid0(VALU_DEP_4) | instskip(SKIP_4) | instid1(VALU_DEP_4)
	v_cvt_f32_f16_e32 v122, v2
	v_cvt_f32_f16_e32 v124, v4
	v_dual_mov_b32 v111, v110 :: v_dual_mov_b32 v113, v112
	v_dual_mov_b32 v115, v114 :: v_dual_mov_b32 v117, v116
	;; [unrolled: 1-line block ×4, first 2 shown]
.LBB133_6:                              ;   Parent Loop BB133_5 Depth=1
                                        ; =>  This Inner Loop Header: Depth=2
	s_lshl_b32 s13, s16, 1
	s_lshr_b32 s17, s16, 2
	s_lshl_b32 s16, s16, 3
	s_delay_alu instid0(SALU_CYCLE_1) | instskip(SKIP_2) | instid1(VALU_DEP_2)
	v_dual_add_nc_u32 v138, s16, v182 :: v_dual_bitop2_b32 v0, s13, v77 bitop3:0x54
	s_add_co_i32 s17, s17, 0xa200
	v_dual_add_nc_u32 v133, s16, v183 :: v_dual_add_nc_u32 v228, s16, v184
	v_dual_lshlrev_b32 v1, 2, v0 :: v_dual_lshrrev_b32 v126, 1, v0
	v_add3_u32 v20, s17, v186, v178
	v_add3_u32 v132, s17, v187, v167
	ds_load_b128 v[14:17], v1 offset:33280
	ds_load_b128 v[6:9], v1 offset:33296
	;; [unrolled: 1-line block ×4, first 2 shown]
	ds_load_2addr_b32 v[0:1], v138 offset1:1
	s_set_vgpr_msb 64                       ;  msbs: dst=1 src0=0 src1=0 src2=0
	v_add_nc_u32_e32 v32 /*v288*/, s16, v185
	v_add3_u32 v31 /*v287*/, s17, v180, v169
	s_mov_b32 s16, 8
	s_and_b32 vcc_lo, exec_lo, s12
	s_mov_b32 s12, 0
	s_wait_dscnt 0x4
	s_set_vgpr_msb 0                        ;  msbs: dst=0 src0=0 src1=0 src2=0
	v_bfe_i32 v128, v14, 0, 8
	v_perm_b32 v216, v14, v14, 0xc0c0201
	v_perm_b32 v217, v15, v14, 0x6050403
	;; [unrolled: 1-line block ×3, first 2 shown]
	s_wait_dscnt 0x0
	v_bfe_i32 v250, v0, 0, 8
	v_perm_b32 v251, v0, v0, 0xc0c0201
	v_perm_b32 v252, v1, v0, 0x6050403
	;; [unrolled: 1-line block ×4, first 2 shown]
	v_mul_i32_i24_e32 v18, v250, v128
	v_perm_b32 v233, v7, v6, 0xc0c0403
	s_set_vgpr_msb 64                       ;  msbs: dst=1 src0=0 src1=0 src2=0
	v_perm_b32 v1 /*v257*/, v7, v7, 0xc0c0201
	v_perm_b32 v4 /*v260*/, v8, v7, 0xc0c0403
	;; [unrolled: 1-line block ×3, first 2 shown]
	s_set_vgpr_msb 0                        ;  msbs: dst=0 src0=0 src1=0 src2=0
	v_dot4_i32_iu8 v21, v251, v216, v18 neg_lo:[1,1,0]
	ds_load_2addr_b32 v[18:19], v138 offset0:2 offset1:3
	ds_load_b32 v22, v138 offset:16
	ds_load_b96 v[208:210], v138 offset:19
	ds_load_i8 v142, v138 offset:31
	s_set_vgpr_msb 64                       ;  msbs: dst=1 src0=0 src1=0 src2=0
	v_perm_b32 v28 /*v284*/, v9, v8, 0xc0c0403
	v_perm_b32 v44 /*v300*/, v9, v9, 0xc030201
	s_set_vgpr_msb 0                        ;  msbs: dst=0 src0=0 src1=0 src2=0
	v_bfe_i32 v141, v10, 0, 8
	v_dot4_i32_iu8 v0, v252, v217, v21 neg_lo:[1,1,0]
	s_set_vgpr_msb 64                       ;  msbs: dst=1 src0=0 src1=0 src2=0
	v_perm_b32 v46 /*v302*/, v11, v10, 0x6050403
	v_perm_b32 v47 /*v303*/, v2, v13, 0x6050403
	;; [unrolled: 1-line block ×6, first 2 shown]
	s_wait_dscnt 0x3
	s_set_vgpr_msb 0                        ;  msbs: dst=0 src0=0 src1=0 src2=0
	v_perm_b32 v253, v18, v1, 0x6050403
	v_perm_b32 v254, v19, v18, 0x6050403
	s_wait_dscnt 0x2
	v_perm_b32 v255, v22, v19, 0x6050403
	s_wait_dscnt 0x1
	v_perm_b32 v1, v208, v208, 0xc0c0100
	v_bfe_i32 v249, v208, 0, 8
	v_dot4_i32_iu8 v0, v253, v218, v0 neg_lo:[1,1,0]
	s_set_vgpr_msb 64                       ;  msbs: dst=1 src0=0 src1=0 src2=0
	v_perm_b32 v5 /*v261*/, v209, v208, 0x4030201
	v_perm_b32 v6 /*v262*/, v210, v209, 0x4030201
	s_wait_dscnt 0x0
	v_perm_b32 v0 /*v256*/, v142, v210, 0x4030201
	s_set_vgpr_msb 0                        ;  msbs: dst=0 src0=0 src1=0 src2=0
	v_dot4_i32_iu8 v0, v254, v219, v0 neg_lo:[1,1,0]
	s_delay_alu instid0(VALU_DEP_1) | instskip(NEXT) | instid1(VALU_DEP_1)
	v_dot4_i32_iu8 v0, v255, v231, v0 neg_lo:[1,1,0]
	v_dot4_i32_iu8 v0, v233, v1, v0 neg_lo:[1,1,0]
	v_perm_b32 v1, v208, v208, 0xc0c0302
	s_set_vgpr_msb 1                        ;  msbs: dst=0 src0=1 src1=0 src2=0
	s_delay_alu instid0(VALU_DEP_1) | instskip(SKIP_3) | instid1(VALU_DEP_1)
	v_dot4_i32_iu8 v0, v1 /*v257*/, v1, v0 neg_lo:[1,1,0]
	s_set_vgpr_msb 0                        ;  msbs: dst=0 src0=0 src1=0 src2=0
	v_perm_b32 v1, v209, v209, 0xc0c0100
	s_set_vgpr_msb 1                        ;  msbs: dst=0 src0=1 src1=0 src2=0
	v_dot4_i32_iu8 v0, v4 /*v260*/, v1, v0 neg_lo:[1,1,0]
	s_set_vgpr_msb 0                        ;  msbs: dst=0 src0=0 src1=0 src2=0
	v_perm_b32 v1, v209, v209, 0xc0c0302
	s_set_vgpr_msb 1                        ;  msbs: dst=0 src0=1 src1=0 src2=0
	s_delay_alu instid0(VALU_DEP_1) | instskip(SKIP_3) | instid1(VALU_DEP_1)
	v_dot4_i32_iu8 v0, v7 /*v263*/, v1, v0 neg_lo:[1,1,0]
	s_set_vgpr_msb 0                        ;  msbs: dst=0 src0=0 src1=0 src2=0
	v_perm_b32 v1, v210, v210, 0xc0c0100
	s_set_vgpr_msb 1                        ;  msbs: dst=0 src0=1 src1=0 src2=0
	v_dot4_i32_iu8 v150, v28 /*v284*/, v1, v0 neg_lo:[1,1,0]
	s_set_vgpr_msb 0                        ;  msbs: dst=0 src0=0 src1=0 src2=0
	ds_load_u16 v0, v20
	ds_load_u16 v1, v20 offset:8
	ds_load_2addr_b32 v[134:135], v138 offset0:14 offset1:15
	s_wait_dscnt 0x2
	v_lshrrev_b16 v18, 8, v0
	v_and_b32_e32 v203, 0xff, v0
	s_wait_dscnt 0x1
	v_cvt_f32_ubyte0_e32 v136, v1
	v_cvt_f32_ubyte1_e32 v130, v1
	ds_load_2addr_b32 v[0:1], v133 offset1:1
	v_and_b32_e32 v151, 0xffff, v18
	s_wait_dscnt 0x0
	v_bfe_i32 v220, v0, 0, 8
	v_perm_b32 v221, v0, v0, 0xc0c0201
	v_perm_b32 v224, v1, v0, 0x6050403
	s_delay_alu instid0(VALU_DEP_3) | instskip(NEXT) | instid1(VALU_DEP_1)
	v_mul_i32_i24_e32 v18, v220, v128
	v_dot4_i32_iu8 v140, v221, v216, v18 neg_lo:[1,1,0]
	ds_load_2addr_b32 v[26:27], v133 offset0:2 offset1:3
	ds_load_b32 v144, v133 offset:16
	ds_load_b128 v[18:21], v133 offset:19
	ds_load_b128 v[22:25], v133 offset:35
	ds_load_b96 v[246:248], v133 offset:51
	s_set_vgpr_msb 64                       ;  msbs: dst=1 src0=0 src1=0 src2=0
	ds_load_i8 v29 /*v285*/, v133 offset:63
	s_set_vgpr_msb 0                        ;  msbs: dst=0 src0=0 src1=0 src2=0
	v_dot4_i32_iu8 v0, v224, v217, v140 neg_lo:[1,1,0]
	s_wait_dscnt 0x5
	v_perm_b32 v225, v26, v1, 0x6050403
	v_perm_b32 v226, v27, v26, 0x6050403
	s_wait_dscnt 0x4
	v_perm_b32 v227, v144, v27, 0x6050403
	s_wait_dscnt 0x3
	;; [unrolled: 2-line block ×3, first 2 shown]
	v_perm_b32 v205, v22, v21, 0x4030201
	v_dot4_i32_iu8 v0, v225, v218, v0 neg_lo:[1,1,0]
	v_perm_b32 v206, v23, v22, 0x4030201
	v_add3_u32 v26, s17, v179, v168
	v_perm_b32 v242, v24, v23, 0x4030201
	v_perm_b32 v243, v25, v24, 0x4030201
	v_dot4_i32_iu8 v0, v226, v219, v0 neg_lo:[1,1,0]
	s_wait_dscnt 0x1
	v_perm_b32 v244, v246, v25, 0x4030201
	v_perm_b32 v245, v247, v246, 0x4030201
	;; [unrolled: 1-line block ×3, first 2 shown]
	v_bfe_i32 v222, v18, 0, 8
	v_dot4_i32_iu8 v0, v227, v231, v0 neg_lo:[1,1,0]
	s_delay_alu instid0(VALU_DEP_1) | instskip(SKIP_2) | instid1(VALU_DEP_1)
	v_dot4_i32_iu8 v0, v233, v1, v0 neg_lo:[1,1,0]
	v_perm_b32 v1, v18, v18, 0xc0c0302
	s_set_vgpr_msb 1                        ;  msbs: dst=0 src0=1 src1=0 src2=0
	v_dot4_i32_iu8 v0, v1 /*v257*/, v1, v0 neg_lo:[1,1,0]
	s_set_vgpr_msb 0                        ;  msbs: dst=0 src0=0 src1=0 src2=0
	v_perm_b32 v1, v19, v19, 0xc0c0100
	s_set_vgpr_msb 1                        ;  msbs: dst=0 src0=1 src1=0 src2=0
	s_delay_alu instid0(VALU_DEP_1) | instskip(SKIP_3) | instid1(VALU_DEP_1)
	v_dot4_i32_iu8 v0, v4 /*v260*/, v1, v0 neg_lo:[1,1,0]
	s_set_vgpr_msb 0                        ;  msbs: dst=0 src0=0 src1=0 src2=0
	v_perm_b32 v1, v19, v19, 0xc0c0302
	s_set_vgpr_msb 1                        ;  msbs: dst=0 src0=1 src1=0 src2=0
	v_dot4_i32_iu8 v0, v7 /*v263*/, v1, v0 neg_lo:[1,1,0]
	s_set_vgpr_msb 0                        ;  msbs: dst=0 src0=0 src1=0 src2=0
	v_perm_b32 v1, v20, v20, 0xc0c0100
	s_set_vgpr_msb 0x41                     ;  msbs: dst=1 src0=1 src1=0 src2=0
	s_delay_alu instid0(VALU_DEP_1)
	v_dot4_i32_iu8 v30 /*v286*/, v28 /*v284*/, v1, v0 neg_lo:[1,1,0]
	s_set_vgpr_msb 0                        ;  msbs: dst=0 src0=0 src1=0 src2=0
	ds_load_u16 v0, v132
	ds_load_u16 v207, v132 offset:8
	s_wait_dscnt 0x1
	v_lshrrev_b16 v223, 8, v0
	v_and_b32_e32 v204, 0xff, v0
	v_dot4_i32_iu8 v0, v205, v10, 0 neg_lo:[1,1,0]
	s_wait_dscnt 0x0
	v_cvt_f32_ubyte0_e32 v140, v207
	s_delay_alu instid0(VALU_DEP_2) | instskip(SKIP_1) | instid1(VALU_DEP_1)
	v_dot4_i32_iu8 v22, v206, v11, v0 neg_lo:[1,1,0]
	v_or_b32_e32 v0, s13, v160
	v_dual_lshlrev_b32 v156, 2, v0 :: v_dual_lshrrev_b32 v211, 1, v0
	ds_load_b64 v[0:1], v126 offset:43584
	ds_load_2addr_b32 v[148:149], v228 offset1:1
	ds_load_2addr_b32 v[146:147], v228 offset0:2 offset1:3
	ds_load_2addr_b32 v[144:145], v228 offset0:4 offset1:5
	;; [unrolled: 1-line block ×3, first 2 shown]
	ds_load_u16 v126, v26
	s_set_vgpr_msb 64                       ;  msbs: dst=1 src0=0 src1=0 src2=0
	ds_load_u16 v33 /*v289*/, v26 offset:8
	s_set_vgpr_msb 0                        ;  msbs: dst=0 src0=0 src1=0 src2=0
	ds_load_2addr_b32 v[26:27], v228 offset0:8 offset1:9
	ds_load_2addr_b32 v[212:213], v228 offset0:10 offset1:11
	;; [unrolled: 1-line block ×3, first 2 shown]
	s_wait_dscnt 0x9
	s_set_vgpr_msb 64                       ;  msbs: dst=1 src0=0 src1=0 src2=0
	v_cvt_f32_f16_e64 v20 /*v276*/, v0
	v_cvt_f32_f16_e64 v24 /*v280*/, v1
	s_wait_dscnt 0x4
	v_lshrrev_b16 v34 /*v290*/, 8, v126
	s_wait_dscnt 0x0
	s_set_vgpr_msb 0                        ;  msbs: dst=0 src0=0 src1=0 src2=0
	v_lshrrev_b16 v154, 8, v153
	v_dot4_i32_iu8 v155, v152, v10, 0 neg_lo:[1,1,0]
	v_bfe_i32 v230, v153, 16, 8
	v_ashrrev_i32_e32 v229, 24, v153
	v_bfe_i32 v234, v153, 0, 8
	v_bfe_i32 v232, v154, 0, 8
	v_dot4_i32_iu8 v157, v153, v11, v155 neg_lo:[1,1,0]
	ds_load_2addr_b32 v[154:155], v138 offset0:10 offset1:11
	ds_load_b128 v[236:239], v156 offset:33280
	s_set_vgpr_msb 64                       ;  msbs: dst=1 src0=0 src1=0 src2=0
	ds_load_b128 v[8:11] /*v[264:267]*/, v156 offset:33296
	ds_load_b128 v[12:15] /*v[268:271]*/, v156 offset:33312
	;; [unrolled: 1-line block ×3, first 2 shown]
	s_wait_dscnt 0x3
	v_bfe_i32 v35 /*v291*/, v236, 0, 8
	v_perm_b32 v36 /*v292*/, v236, v236, 0xc0c0201
	s_set_vgpr_msb 0                        ;  msbs: dst=0 src0=0 src1=0 src2=0
	v_dot4_i32_iu8 v157, v154, v12, v157 neg_lo:[1,1,0]
	s_set_vgpr_msb 64                       ;  msbs: dst=1 src0=0 src1=0 src2=0
	v_perm_b32 v37 /*v293*/, v237, v236, 0x6050403
	v_perm_b32 v41 /*v297*/, v238, v237, 0x6050403
	s_set_vgpr_msb 1                        ;  msbs: dst=0 src0=1 src1=0 src2=0
	v_mul_i32_i24_e32 v156, v35 /*v291*/, v250
	s_set_vgpr_msb 64                       ;  msbs: dst=1 src0=0 src1=0 src2=0
	v_perm_b32 v42 /*v298*/, v239, v238, 0x6050403
	s_set_vgpr_msb 0                        ;  msbs: dst=0 src0=0 src1=0 src2=0
	v_dot4_i32_iu8 v214, v155, v13, v157 neg_lo:[1,1,0]
	s_wait_dscnt 0x2
	s_set_vgpr_msb 0x41                     ;  msbs: dst=1 src0=1 src1=0 src2=0
	v_perm_b32 v43 /*v299*/, v8 /*v264*/, v239, 0x6050403
	s_set_vgpr_msb 0x44                     ;  msbs: dst=1 src0=0 src1=1 src2=0
	v_ashrrev_i32_e32 v38 /*v294*/, 24, v8 /*v264*/
	s_set_vgpr_msb 1                        ;  msbs: dst=0 src0=1 src1=0 src2=0
	v_dot4_i32_iu8 v215, v36 /*v292*/, v251, v156 neg_lo:[1,1,0]
	s_set_vgpr_msb 0                        ;  msbs: dst=0 src0=0 src1=0 src2=0
	ds_load_2addr_b32 v[156:157], v138 offset0:12 offset1:13
	s_wait_dscnt 0x2
	s_set_vgpr_msb 1                        ;  msbs: dst=0 src0=1 src1=0 src2=0
	v_bfe_i32 v241, v13 /*v269*/, 0, 8
	s_set_vgpr_msb 0x41                     ;  msbs: dst=1 src0=1 src1=0 src2=0
	v_bfe_i32 v39 /*v295*/, v12 /*v268*/, 0, 8
	s_wait_dscnt 0x1
	s_set_vgpr_msb 0x44                     ;  msbs: dst=1 src0=0 src1=1 src2=0
	v_ashrrev_i32_e32 v40 /*v296*/, 24, v16 /*v272*/
	s_set_vgpr_msb 1                        ;  msbs: dst=0 src0=1 src1=0 src2=0
	v_dot4_i32_iu8 v235, v37 /*v293*/, v252, v215 neg_lo:[1,1,0]
	s_wait_dscnt 0x0
	s_set_vgpr_msb 0                        ;  msbs: dst=0 src0=0 src1=0 src2=0
	v_dot4_i32_iu8 v138, v156, v2, v214 neg_lo:[1,1,0]
	ds_load_b64 v[214:215], v211 offset:43584
	v_lshrrev_b32_e32 v0, 16, v0
	v_dot4_i32_iu8 v138, v157, v3, v138 neg_lo:[1,1,0]
	s_delay_alu instid0(VALU_DEP_1) | instskip(NEXT) | instid1(VALU_DEP_1)
	v_dot4_i32_iu8 v138, v134, v4, v138 neg_lo:[1,1,0]
	v_dot4_i32_iu8 v138, v5, v135, v138 neg_lo:[1,1,0]
	s_delay_alu instid0(VALU_DEP_1)
	v_mul_lo_u32 v138, v138, v151
	s_wait_dscnt 0x0
	v_lshrrev_b32_e32 v211, 16, v214
	s_set_vgpr_msb 64                       ;  msbs: dst=1 src0=0 src1=0 src2=0
	v_cvt_f32_f16_e64 v22 /*v278*/, v0
	s_set_vgpr_msb 4                        ;  msbs: dst=0 src0=0 src1=1 src2=0
	v_lshrrev_b16 v0, 8, v13 /*v269*/
	s_set_vgpr_msb 64                       ;  msbs: dst=1 src0=0 src1=0 src2=0
	v_cvt_f32_f16_e64 v21 /*v277*/, v214
	s_set_vgpr_msb 1                        ;  msbs: dst=0 src0=1 src1=0 src2=0
	v_bfe_i32 v214, v13 /*v269*/, 16, 8
	s_set_vgpr_msb 64                       ;  msbs: dst=1 src0=0 src1=0 src2=0
	v_cvt_f32_f16_e64 v23 /*v279*/, v211
	s_set_vgpr_msb 4                        ;  msbs: dst=0 src0=0 src1=1 src2=0
	v_ashrrev_i32_e32 v211, 24, v13 /*v269*/
	v_bfe_i32 v240, v0, 0, 8
	s_set_vgpr_msb 0                        ;  msbs: dst=0 src0=0 src1=0 src2=0
	v_dual_lshrrev_b32 v0, 16, v1 :: v_dual_lshrrev_b32 v1, 16, v215
	s_set_vgpr_msb 64                       ;  msbs: dst=1 src0=0 src1=0 src2=0
	v_cvt_f32_f16_e64 v25 /*v281*/, v215
	s_set_vgpr_msb 5                        ;  msbs: dst=0 src0=1 src1=1 src2=0
	v_perm_b32 v215, v14 /*v270*/, v12 /*v268*/, 0xc0c0501
	s_set_vgpr_msb 0                        ;  msbs: dst=0 src0=0 src1=0 src2=0
	v_mul_i32_i24_e32 v211, v211, v229
	s_set_vgpr_msb 64                       ;  msbs: dst=1 src0=0 src1=0 src2=0
	v_cvt_f32_f16_e64 v26 /*v282*/, v0
	s_set_vgpr_msb 1                        ;  msbs: dst=0 src0=1 src1=0 src2=0
	v_dot4_i32_iu8 v0, v41 /*v297*/, v253, v235 neg_lo:[1,1,0]
	s_set_vgpr_msb 64                       ;  msbs: dst=1 src0=0 src1=0 src2=0
	v_cvt_f32_f16_e64 v27 /*v283*/, v1
	s_set_vgpr_msb 0                        ;  msbs: dst=0 src0=0 src1=0 src2=0
	v_perm_b32 v1, v142, v210, 0xc040302
	v_mul_i32_i24_e32 v210, v214, v230
	v_perm_b32 v214, v154, v152, 0xc0c0501
	s_set_vgpr_msb 1                        ;  msbs: dst=0 src0=1 src1=0 src2=0
	v_dot4_i32_iu8 v0, v42 /*v298*/, v254, v0 neg_lo:[1,1,0]
	s_set_vgpr_msb 5                        ;  msbs: dst=0 src0=1 src1=1 src2=0
	v_perm_b32 v229, v18 /*v274*/, v17 /*v273*/, 0x6020c0c
	s_set_vgpr_msb 4                        ;  msbs: dst=0 src0=0 src1=1 src2=0
	v_dot4_i32_iu8 v1, v1, v44 /*v300*/, v150 neg_lo:[1,1,0]
	s_set_vgpr_msb 0                        ;  msbs: dst=0 src0=0 src1=0 src2=0
	v_mul_i32_i24_e32 v150, v240, v232
	s_set_vgpr_msb 4                        ;  msbs: dst=0 src0=0 src1=1 src2=0
	v_pk_fma_f32 v[208:209], v[136:137], v[22:23] /*v[278:279]*/, 0 op_sel_hi:[0,1,0]
	s_set_vgpr_msb 1                        ;  msbs: dst=0 src0=1 src1=0 src2=0
	v_dot4_i32_iu8 v0, v43 /*v299*/, v255, v0 neg_lo:[1,1,0]
	s_set_vgpr_msb 0                        ;  msbs: dst=0 src0=0 src1=0 src2=0
	v_bfe_i32 v240, v26, 0, 8
	v_mul_lo_u32 v142, v1, v203
	v_dot4_i32_iu8 v150, v215, v214, v150 neg_lo:[1,1,0]
	v_perm_b32 v214, v154, v152, 0xc0c0703
	s_set_vgpr_msb 4                        ;  msbs: dst=0 src0=0 src1=1 src2=0
	v_mad_i32_i24 v0, v249, v38 /*v294*/, v0
	s_set_vgpr_msb 5                        ;  msbs: dst=0 src0=1 src1=1 src2=0
	v_perm_b32 v215, v14 /*v270*/, v12 /*v268*/, 0xc0c0703
	s_set_vgpr_msb 4                        ;  msbs: dst=0 src0=0 src1=1 src2=0
	v_pk_fma_f32 v[208:209], v[130:131], v[26:27] /*v[282:283]*/, v[208:209] op_sel_hi:[0,1,1]
	s_set_vgpr_msb 0                        ;  msbs: dst=0 src0=0 src1=0 src2=0
	v_perm_b32 v232, v26, v26, 0xc0c0201
	v_perm_b32 v235, v212, v27, 0x6050403
	s_set_vgpr_msb 5                        ;  msbs: dst=0 src0=1 src1=1 src2=0
	v_dot4_i32_iu8 v0, v5 /*v261*/, v9 /*v265*/, v0 neg_lo:[1,1,0]
	s_set_vgpr_msb 0                        ;  msbs: dst=0 src0=0 src1=0 src2=0
	v_dot4_i32_iu8 v211, v215, v214, v211 neg_lo:[1,1,0]
	v_perm_b32 v214, v154, v152, 0xc0c0400
	s_set_vgpr_msb 5                        ;  msbs: dst=0 src0=1 src1=1 src2=0
	v_perm_b32 v215, v14 /*v270*/, v12 /*v268*/, 0xc0c0400
	s_set_vgpr_msb 0                        ;  msbs: dst=0 src0=0 src1=0 src2=0
	v_pk_mul_f32 v[208:209], v[208:209], v[118:119]
	s_set_vgpr_msb 5                        ;  msbs: dst=0 src0=1 src1=1 src2=0
	v_dot4_i32_iu8 v0, v6 /*v262*/, v10 /*v266*/, v0 neg_lo:[1,1,0]
	s_set_vgpr_msb 0                        ;  msbs: dst=0 src0=0 src1=0 src2=0
	v_perm_b32 v230, v213, v212, 0x6050403
	s_set_vgpr_msb 5                        ;  msbs: dst=0 src0=1 src1=1 src2=0
	s_delay_alu instid0(VALU_DEP_2) | instskip(SKIP_1) | instid1(VALU_DEP_1)
	v_dot4_i32_iu8 v0, v11 /*v267*/, v0 /*v256*/, v0 neg_lo:[1,1,0]
	s_set_vgpr_msb 0                        ;  msbs: dst=0 src0=0 src1=0 src2=0
	v_mul_lo_u32 v0, v0, v203
	s_delay_alu instid0(VALU_DEP_1)
	v_cvt_f32_i32_e32 v1, v0
	v_cvt_f32_i32_e32 v0, v142
	v_mul_i32_i24_e32 v142, v241, v234
	v_and_b32_e32 v241, 0xffff, v223
	v_and_b32_e32 v223, 0xff, v126
	v_perm_b32 v126, v10, v10, 0xc0c0201
	s_set_vgpr_msb 1                        ;  msbs: dst=0 src0=1 src1=0 src2=0
	v_pk_fma_f32 v[0:1], v[20:21] /*v[276:277]*/, v[0:1], 0 op_sel_hi:[1,1,0]
	s_set_vgpr_msb 0                        ;  msbs: dst=0 src0=0 src1=0 src2=0
	v_dot4_i32_iu8 v142, v215, v214, v142 neg_lo:[1,1,0]
	v_perm_b32 v214, v154, v152, 0xc0c0602
	s_set_vgpr_msb 5                        ;  msbs: dst=0 src0=1 src1=1 src2=0
	v_perm_b32 v215, v14 /*v270*/, v12 /*v268*/, 0xc0c0602
	s_set_vgpr_msb 0                        ;  msbs: dst=0 src0=0 src1=0 src2=0
	v_perm_b32 v234, v27, v26, 0x6050403
	v_perm_b32 v26, v12, v11, 0x6050403
	;; [unrolled: 1-line block ×3, first 2 shown]
	v_dot4_i32_iu8 v210, v215, v214, v210 neg_lo:[1,1,0]
	v_perm_b32 v214, v156, v155, 0xc0c0602
	v_perm_b32 v215, v134, v157, 0x6020c0c
	s_delay_alu instid0(VALU_DEP_1) | instskip(SKIP_3) | instid1(VALU_DEP_1)
	v_or_b32_e32 v214, v215, v214
	s_set_vgpr_msb 5                        ;  msbs: dst=0 src0=1 src1=1 src2=0
	v_perm_b32 v215, v16 /*v272*/, v15 /*v271*/, 0xc0c0602
	s_set_vgpr_msb 0                        ;  msbs: dst=0 src0=0 src1=0 src2=0
	v_or_b32_e32 v215, v229, v215
	s_set_vgpr_msb 5                        ;  msbs: dst=0 src0=1 src1=1 src2=0
	v_perm_b32 v229, v18 /*v274*/, v17 /*v273*/, 0x4000c0c
	s_set_vgpr_msb 0                        ;  msbs: dst=0 src0=0 src1=0 src2=0
	s_delay_alu instid0(VALU_DEP_2) | instskip(SKIP_2) | instid1(VALU_DEP_1)
	v_dot4_i32_iu8 v210, v215, v214, v210 neg_lo:[1,1,0]
	v_perm_b32 v214, v156, v155, 0xc0c0400
	v_perm_b32 v215, v134, v157, 0x4000c0c
	v_or_b32_e32 v214, v215, v214
	s_set_vgpr_msb 5                        ;  msbs: dst=0 src0=1 src1=1 src2=0
	v_perm_b32 v215, v16 /*v272*/, v15 /*v271*/, 0xc0c0400
	s_set_vgpr_msb 0                        ;  msbs: dst=0 src0=0 src1=0 src2=0
	s_delay_alu instid0(VALU_DEP_1) | instskip(SKIP_3) | instid1(VALU_DEP_2)
	v_or_b32_e32 v215, v229, v215
	s_set_vgpr_msb 5                        ;  msbs: dst=0 src0=1 src1=1 src2=0
	v_perm_b32 v229, v18 /*v274*/, v17 /*v273*/, 0x7030c0c
	s_set_vgpr_msb 0                        ;  msbs: dst=0 src0=0 src1=0 src2=0
	v_dot4_i32_iu8 v142, v215, v214, v142 neg_lo:[1,1,0]
	v_perm_b32 v214, v156, v155, 0xc0c0703
	v_perm_b32 v215, v134, v157, 0x7030c0c
	s_delay_alu instid0(VALU_DEP_1) | instskip(SKIP_3) | instid1(VALU_DEP_1)
	v_or_b32_e32 v214, v215, v214
	s_set_vgpr_msb 5                        ;  msbs: dst=0 src0=1 src1=1 src2=0
	v_perm_b32 v215, v16 /*v272*/, v15 /*v271*/, 0xc0c0703
	s_set_vgpr_msb 0                        ;  msbs: dst=0 src0=0 src1=0 src2=0
	v_or_b32_e32 v215, v229, v215
	s_set_vgpr_msb 5                        ;  msbs: dst=0 src0=1 src1=1 src2=0
	v_perm_b32 v229, v18 /*v274*/, v17 /*v273*/, 0x5010c0c
	s_set_vgpr_msb 0                        ;  msbs: dst=0 src0=0 src1=0 src2=0
	s_delay_alu instid0(VALU_DEP_2) | instskip(SKIP_2) | instid1(VALU_DEP_1)
	v_dot4_i32_iu8 v211, v215, v214, v211 neg_lo:[1,1,0]
	v_perm_b32 v214, v156, v155, 0xc0c0501
	v_perm_b32 v215, v134, v157, 0x5010c0c
	v_or_b32_e32 v214, v215, v214
	s_set_vgpr_msb 5                        ;  msbs: dst=0 src0=1 src1=1 src2=0
	v_perm_b32 v215, v16 /*v272*/, v15 /*v271*/, 0xc0c0501
	s_set_vgpr_msb 0                        ;  msbs: dst=0 src0=0 src1=0 src2=0
	s_delay_alu instid0(VALU_DEP_1) | instskip(NEXT) | instid1(VALU_DEP_1)
	v_or_b32_e32 v215, v229, v215
	v_dot4_i32_iu8 v150, v215, v214, v150 neg_lo:[1,1,0]
	s_delay_alu instid0(VALU_DEP_1) | instskip(NEXT) | instid1(VALU_DEP_1)
	v_add_nc_u32_e32 v150, v150, v211
	v_add3_u32 v142, v142, v210, v150
	v_cvt_f32_i32_e32 v210, v138
	v_cvt_f32_ubyte1_e32 v150, v207
	s_set_vgpr_msb 1                        ;  msbs: dst=0 src0=1 src1=0 src2=0
	v_cvt_f32_ubyte0_e32 v138, v33 /*v289*/
	v_dot4_i32_iu8 v142, v19 /*v275*/, v135, v142 neg_lo:[1,1,0]
	s_set_vgpr_msb 0                        ;  msbs: dst=0 src0=0 src1=0 src2=0
	s_delay_alu instid0(VALU_DEP_1) | instskip(NEXT) | instid1(VALU_DEP_1)
	v_mul_lo_u32 v142, v142, v151
	v_cvt_f32_i32_e32 v211, v142
	s_set_vgpr_msb 1                        ;  msbs: dst=0 src0=1 src1=0 src2=0
	v_cvt_f32_ubyte1_e32 v142, v33 /*v289*/
	s_delay_alu instid0(VALU_DEP_2) | instskip(SKIP_3) | instid1(VALU_DEP_2)
	v_pk_fma_f32 v[0:1], v[24:25] /*v[280:281]*/, v[210:211], v[0:1]
	s_set_vgpr_msb 4                        ;  msbs: dst=0 src0=0 src1=1 src2=0
	v_and_b32_e32 v210, 0xffff, v34 /*v290*/
	s_set_vgpr_msb 64                       ;  msbs: dst=1 src0=0 src1=0 src2=0
	v_pk_fma_f32 v[2:3] /*v[258:259]*/, v[0:1], v[110:111], v[208:209] neg_lo:[0,0,1] neg_hi:[0,0,1]
	s_set_vgpr_msb 0                        ;  msbs: dst=0 src0=0 src1=0 src2=0
	v_dot4_i32_iu8 v0, v242, v12, v22 neg_lo:[1,1,0]
	s_set_vgpr_msb 4                        ;  msbs: dst=0 src0=0 src1=1 src2=0
	s_delay_alu instid0(VALU_DEP_2) | instskip(SKIP_1) | instid1(VALU_DEP_2)
	v_pk_add_f32 v[64:65], v[64:65], v[2:3] /*v[258:259]*/
	s_set_vgpr_msb 0                        ;  msbs: dst=0 src0=0 src1=0 src2=0
	v_dot4_i32_iu8 v0, v243, v13, v0 neg_lo:[1,1,0]
	s_set_vgpr_msb 64                       ;  msbs: dst=1 src0=0 src1=0 src2=0
	v_perm_b32 v3 /*v259*/, v19, v18, 0x4030201
	s_set_vgpr_msb 1                        ;  msbs: dst=0 src0=1 src1=0 src2=0
	v_dot4_i32_iu8 v18, v12 /*v268*/, v205, 0 neg_lo:[1,1,0]
	s_set_vgpr_msb 0x41                     ;  msbs: dst=1 src0=1 src1=0 src2=0
	v_perm_b32 v2 /*v258*/, v29 /*v285*/, v248, 0x4030201
	s_set_vgpr_msb 0                        ;  msbs: dst=0 src0=0 src1=0 src2=0
	v_dot4_i32_iu8 v0, v244, v2, v0 neg_lo:[1,1,0]
	s_set_vgpr_msb 1                        ;  msbs: dst=0 src0=1 src1=0 src2=0
	v_dot4_i32_iu8 v18, v13 /*v269*/, v206, v18 neg_lo:[1,1,0]
	s_set_vgpr_msb 0                        ;  msbs: dst=0 src0=0 src1=0 src2=0
	s_delay_alu instid0(VALU_DEP_2) | instskip(SKIP_1) | instid1(VALU_DEP_2)
	v_dot4_i32_iu8 v0, v245, v3, v0 neg_lo:[1,1,0]
	s_set_vgpr_msb 1                        ;  msbs: dst=0 src0=1 src1=0 src2=0
	v_dot4_i32_iu8 v18, v14 /*v270*/, v242, v18 neg_lo:[1,1,0]
	s_set_vgpr_msb 0                        ;  msbs: dst=0 src0=0 src1=0 src2=0
	s_delay_alu instid0(VALU_DEP_2)
	v_dot4_i32_iu8 v247, v246, v4, v0 neg_lo:[1,1,0]
	v_dot4_i32_iu8 v0, v148, v14, 0 neg_lo:[1,1,0]
	v_perm_b32 v4, v5, v4, 0xc0c0403
	s_set_vgpr_msb 1                        ;  msbs: dst=0 src0=1 src1=0 src2=0
	v_dot4_i32_iu8 v18, v15 /*v271*/, v243, v18 neg_lo:[1,1,0]
	s_set_vgpr_msb 0                        ;  msbs: dst=0 src0=0 src1=0 src2=0
	v_dot4_i32_iu8 v0, v149, v15, v0 neg_lo:[1,1,0]
	s_set_vgpr_msb 1                        ;  msbs: dst=0 src0=1 src1=0 src2=0
	s_delay_alu instid0(VALU_DEP_2) | instskip(SKIP_1) | instid1(VALU_DEP_2)
	v_dot4_i32_iu8 v18, v16 /*v272*/, v244, v18 neg_lo:[1,1,0]
	s_set_vgpr_msb 0                        ;  msbs: dst=0 src0=0 src1=0 src2=0
	v_dot4_i32_iu8 v0, v146, v16, v0 neg_lo:[1,1,0]
	s_set_vgpr_msb 1                        ;  msbs: dst=0 src0=1 src1=0 src2=0
	s_delay_alu instid0(VALU_DEP_2) | instskip(SKIP_1) | instid1(VALU_DEP_2)
	v_dot4_i32_iu8 v18, v17 /*v273*/, v245, v18 neg_lo:[1,1,0]
	s_set_vgpr_msb 0                        ;  msbs: dst=0 src0=0 src1=0 src2=0
	v_dot4_i32_iu8 v0, v147, v17, v0 neg_lo:[1,1,0]
	s_delay_alu instid0(VALU_DEP_1) | instskip(NEXT) | instid1(VALU_DEP_1)
	v_dot4_i32_iu8 v0, v144, v6, v0 neg_lo:[1,1,0]
	v_dot4_i32_iu8 v0, v145, v7, v0 neg_lo:[1,1,0]
	s_delay_alu instid0(VALU_DEP_1)
	v_dot4_i32_iu8 v17, v132, v8, v0 neg_lo:[1,1,0]
	v_mul_i32_i24_e32 v0, v240, v141
	ds_load_b32 v1, v228 offset:48
	ds_load_b96 v[6:8], v228 offset:51
	s_set_vgpr_msb 64                       ;  msbs: dst=1 src0=0 src1=0 src2=0
	ds_load_i8 v45 /*v301*/, v228 offset:63
	s_set_vgpr_msb 1                        ;  msbs: dst=0 src0=1 src1=0 src2=0
	ds_load_2addr_b32 v[22:23], v32 /*v288*/ offset1:1
	s_set_vgpr_msb 0                        ;  msbs: dst=0 src0=0 src1=0 src2=0
	v_dot4_i32_iu8 v0, v232, v126, v0 neg_lo:[1,1,0]
	s_set_vgpr_msb 4                        ;  msbs: dst=0 src0=0 src1=1 src2=0
	s_delay_alu instid0(VALU_DEP_1) | instskip(SKIP_1) | instid1(VALU_DEP_1)
	v_dot4_i32_iu8 v0, v234, v46 /*v302*/, v0 neg_lo:[1,1,0]
	s_set_vgpr_msb 0                        ;  msbs: dst=0 src0=0 src1=0 src2=0
	v_dot4_i32_iu8 v0, v235, v26, v0 neg_lo:[1,1,0]
	s_wait_dscnt 0x3
	v_perm_b32 v229, v1, v213, 0x6050403
	s_delay_alu instid0(VALU_DEP_2)
	v_dot4_i32_iu8 v0, v230, v27, v0 neg_lo:[1,1,0]
	s_wait_dscnt 0x2
	v_perm_b32 v1, v6, v6, 0xc0c0100
	s_wait_dscnt 0x0
	v_bfe_i32 v207, v22, 0, 8
	v_perm_b32 v208, v22, v22, 0xc0c0201
	v_perm_b32 v211, v23, v22, 0x6050403
	s_set_vgpr_msb 4                        ;  msbs: dst=0 src0=0 src1=1 src2=0
	v_dot4_i32_iu8 v0, v229, v47 /*v303*/, v0 neg_lo:[1,1,0]
	v_bfe_i32 v228, v6, 0, 8
	s_set_vgpr_msb 0                        ;  msbs: dst=0 src0=0 src1=0 src2=0
	v_perm_b32 v248, v8, v7, 0x4030201
	s_set_vgpr_msb 1                        ;  msbs: dst=0 src0=1 src1=0 src2=0
	v_dot4_i32_iu8 v0, v48 /*v304*/, v1, v0 neg_lo:[1,1,0]
	s_set_vgpr_msb 0                        ;  msbs: dst=0 src0=0 src1=0 src2=0
	v_perm_b32 v1, v6, v6, 0xc0c0302
	s_set_vgpr_msb 1                        ;  msbs: dst=0 src0=1 src1=0 src2=0
	s_delay_alu instid0(VALU_DEP_1) | instskip(SKIP_3) | instid1(VALU_DEP_1)
	v_dot4_i32_iu8 v0, v49 /*v305*/, v1, v0 neg_lo:[1,1,0]
	s_set_vgpr_msb 0                        ;  msbs: dst=0 src0=0 src1=0 src2=0
	v_perm_b32 v1, v7, v7, 0xc0c0100
	s_set_vgpr_msb 1                        ;  msbs: dst=0 src0=1 src1=0 src2=0
	v_dot4_i32_iu8 v0, v50 /*v306*/, v1, v0 neg_lo:[1,1,0]
	s_set_vgpr_msb 0                        ;  msbs: dst=0 src0=0 src1=0 src2=0
	v_perm_b32 v1, v7, v7, 0xc0c0302
	s_set_vgpr_msb 1                        ;  msbs: dst=0 src0=1 src1=0 src2=0
	s_delay_alu instid0(VALU_DEP_1) | instskip(SKIP_3) | instid1(VALU_DEP_1)
	v_dot4_i32_iu8 v0, v51 /*v307*/, v1, v0 neg_lo:[1,1,0]
	s_set_vgpr_msb 0                        ;  msbs: dst=0 src0=0 src1=0 src2=0
	v_perm_b32 v1, v8, v8, 0xc0c0100
	s_set_vgpr_msb 64                       ;  msbs: dst=1 src0=0 src1=0 src2=0
	v_dot4_i32_iu8 v52 /*v308*/, v4, v1, v0 neg_lo:[1,1,0]
	s_set_vgpr_msb 0                        ;  msbs: dst=0 src0=0 src1=0 src2=0
	v_mul_i32_i24_e32 v0, v207, v128
	s_delay_alu instid0(VALU_DEP_1)
	v_dot4_i32_iu8 v128, v208, v216, v0 neg_lo:[1,1,0]
	s_set_vgpr_msb 1                        ;  msbs: dst=0 src0=1 src1=0 src2=0
	ds_load_2addr_b32 v[24:25], v32 /*v288*/ offset0:2 offset1:3
	ds_load_b32 v214, v32 /*v288*/ offset:16
	ds_load_b128 v[10:13], v32 /*v288*/ offset:19
	ds_load_b128 v[0:3], v32 /*v288*/ offset:35
	ds_load_b96 v[14:16], v32 /*v288*/ offset:51
	s_set_vgpr_msb 0x41                     ;  msbs: dst=1 src0=1 src1=0 src2=0
	ds_load_i8 v32 /*v288*/, v32 /*v288*/ offset:63
	s_set_vgpr_msb 0                        ;  msbs: dst=0 src0=0 src1=0 src2=0
	v_dot4_i32_iu8 v22, v211, v217, v128 neg_lo:[1,1,0]
	s_wait_dscnt 0x5
	v_perm_b32 v212, v24, v23, 0x6050403
	v_perm_b32 v213, v25, v24, 0x6050403
	s_wait_dscnt 0x4
	v_perm_b32 v215, v214, v25, 0x6050403
	s_wait_dscnt 0x3
	v_perm_b32 v23, v10, v10, 0xc0c0100
	v_bfe_i32 v217, v13, 8, 8
	v_dot4_i32_iu8 v22, v212, v218, v22 neg_lo:[1,1,0]
	v_perm_b32 v218, v13, v13, 0xc0c0302
	v_bfe_i32 v209, v10, 0, 8
	s_wait_dscnt 0x1
	v_bfe_i32 v216, v14, 0, 8
	v_dot4_i32_iu8 v22, v213, v219, v22 neg_lo:[1,1,0]
	s_wait_dscnt 0x0
	s_set_vgpr_msb 1                        ;  msbs: dst=0 src0=1 src1=0 src2=0
	v_perm_b32 v219, v32 /*v288*/, v16, 0x4030201
	s_set_vgpr_msb 0                        ;  msbs: dst=0 src0=0 src1=0 src2=0
	v_dot4_i32_iu8 v22, v215, v231, v22 neg_lo:[1,1,0]
	s_set_vgpr_msb 1                        ;  msbs: dst=0 src0=1 src1=0 src2=0
	v_perm_b32 v231, v45 /*v301*/, v8, 0x4030201
	v_perm_b32 v8, v45 /*v301*/, v8, 0xc040302
	s_set_vgpr_msb 0                        ;  msbs: dst=0 src0=0 src1=0 src2=0
	v_dot4_i32_iu8 v22, v233, v23, v22 neg_lo:[1,1,0]
	v_perm_b32 v23, v10, v10, 0xc0c0302
	v_perm_b32 v233, v11, v10, 0x4030201
	s_set_vgpr_msb 1                        ;  msbs: dst=0 src0=1 src1=0 src2=0
	v_perm_b32 v10, v32 /*v288*/, v16, 0xc040302
	s_delay_alu instid0(VALU_DEP_3)
	v_dot4_i32_iu8 v22, v1 /*v257*/, v23, v22 neg_lo:[1,1,0]
	s_set_vgpr_msb 0                        ;  msbs: dst=0 src0=0 src1=0 src2=0
	v_perm_b32 v23, v11, v11, 0xc0c0100
	s_set_vgpr_msb 64                       ;  msbs: dst=1 src0=0 src1=0 src2=0
	v_perm_b32 v1 /*v257*/, v21, v20, 0x4030201
	s_set_vgpr_msb 1                        ;  msbs: dst=0 src0=1 src1=0 src2=0
	s_delay_alu instid0(VALU_DEP_2)
	v_dot4_i32_iu8 v22, v4 /*v260*/, v23, v22 neg_lo:[1,1,0]
	s_set_vgpr_msb 0                        ;  msbs: dst=0 src0=0 src1=0 src2=0
	v_perm_b32 v23, v11, v11, 0xc0c0302
	s_set_vgpr_msb 64                       ;  msbs: dst=1 src0=0 src1=0 src2=0
	v_perm_b32 v4 /*v260*/, v20, v19, 0x4030201
	s_set_vgpr_msb 1                        ;  msbs: dst=0 src0=1 src1=0 src2=0
	s_delay_alu instid0(VALU_DEP_2) | instskip(SKIP_3) | instid1(VALU_DEP_1)
	v_dot4_i32_iu8 v22, v7 /*v263*/, v23, v22 neg_lo:[1,1,0]
	s_set_vgpr_msb 0                        ;  msbs: dst=0 src0=0 src1=0 src2=0
	v_perm_b32 v23, v12, v12, 0xc0c0100
	s_set_vgpr_msb 1                        ;  msbs: dst=0 src0=1 src1=0 src2=0
	v_dot4_i32_iu8 v24, v28 /*v284*/, v23, v22 neg_lo:[1,1,0]
	ds_load_u16 v22, v31 /*v287*/
	ds_load_u16 v23, v31 /*v287*/ offset:8
	s_wait_dscnt 0x1
	v_lshrrev_b16 v25, 8, v22
	v_and_b32_e32 v214, 0xff, v22
	s_set_vgpr_msb 0                        ;  msbs: dst=0 src0=0 src1=0 src2=0
	v_mul_i32_i24_e32 v22, v217, v141
	s_wait_dscnt 0x0
	v_cvt_f32_ubyte0_e32 v128, v23
	v_and_b32_e32 v141, 0xffff, v25
	s_set_vgpr_msb 5                        ;  msbs: dst=0 src0=1 src1=1 src2=0
	v_perm_b32 v25, v16 /*v272*/, v15 /*v271*/, 0x6050403
	s_set_vgpr_msb 0                        ;  msbs: dst=0 src0=0 src1=0 src2=0
	v_dot4_i32_iu8 v22, v218, v126, v22 neg_lo:[1,1,0]
	v_cvt_f32_ubyte1_e32 v126, v23
	s_set_vgpr_msb 4                        ;  msbs: dst=0 src0=0 src1=1 src2=0
	s_delay_alu instid0(VALU_DEP_2) | instskip(SKIP_1) | instid1(VALU_DEP_1)
	v_dot4_i32_iu8 v22, v0, v46 /*v302*/, v22 neg_lo:[1,1,0]
	s_set_vgpr_msb 0                        ;  msbs: dst=0 src0=0 src1=0 src2=0
	v_dot4_i32_iu8 v22, v1, v26, v22 neg_lo:[1,1,0]
	v_perm_b32 v26, v14, v14, 0xc0c0100
	s_delay_alu instid0(VALU_DEP_2) | instskip(SKIP_1) | instid1(VALU_DEP_1)
	v_dot4_i32_iu8 v22, v2, v27, v22 neg_lo:[1,1,0]
	s_set_vgpr_msb 4                        ;  msbs: dst=0 src0=0 src1=1 src2=0
	v_dot4_i32_iu8 v22, v3, v47 /*v303*/, v22 neg_lo:[1,1,0]
	s_set_vgpr_msb 1                        ;  msbs: dst=0 src0=1 src1=0 src2=0
	s_delay_alu instid0(VALU_DEP_1) | instskip(SKIP_3) | instid1(VALU_DEP_1)
	v_dot4_i32_iu8 v22, v48 /*v304*/, v26, v22 neg_lo:[1,1,0]
	s_set_vgpr_msb 0                        ;  msbs: dst=0 src0=0 src1=0 src2=0
	v_perm_b32 v26, v14, v14, 0xc0c0302
	s_set_vgpr_msb 1                        ;  msbs: dst=0 src0=1 src1=0 src2=0
	v_dot4_i32_iu8 v22, v49 /*v305*/, v26, v22 neg_lo:[1,1,0]
	s_set_vgpr_msb 0                        ;  msbs: dst=0 src0=0 src1=0 src2=0
	v_perm_b32 v26, v15, v15, 0xc0c0100
	s_set_vgpr_msb 1                        ;  msbs: dst=0 src0=1 src1=0 src2=0
	s_delay_alu instid0(VALU_DEP_1) | instskip(SKIP_3) | instid1(VALU_DEP_1)
	v_dot4_i32_iu8 v22, v50 /*v306*/, v26, v22 neg_lo:[1,1,0]
	s_set_vgpr_msb 0                        ;  msbs: dst=0 src0=0 src1=0 src2=0
	v_perm_b32 v26, v15, v15, 0xc0c0302
	s_set_vgpr_msb 1                        ;  msbs: dst=0 src0=1 src1=0 src2=0
	v_dot4_i32_iu8 v22, v51 /*v307*/, v26, v22 neg_lo:[1,1,0]
	s_set_vgpr_msb 0                        ;  msbs: dst=0 src0=0 src1=0 src2=0
	v_perm_b32 v26, v16, v16, 0xc0c0100
	s_delay_alu instid0(VALU_DEP_1)
	v_dot4_i32_iu8 v26, v4, v26, v22 neg_lo:[1,1,0]
	s_set_vgpr_msb 1                        ;  msbs: dst=0 src0=1 src1=0 src2=0
	v_mul_i32_i24_e32 v4, v35 /*v291*/, v220
	v_dot4_i32_iu8 v22, v18 /*v274*/, v246, v18 neg_lo:[1,1,0]
	s_set_vgpr_msb 0                        ;  msbs: dst=0 src0=0 src1=0 src2=0
	v_perm_b32 v18, v21, v20, 0xc040302
	s_set_vgpr_msb 4                        ;  msbs: dst=0 src0=0 src1=1 src2=0
	v_pk_fma_f32 v[20:21], v[140:141], v[22:23] /*v[278:279]*/, 0 op_sel_hi:[0,1,0]
	s_set_vgpr_msb 1                        ;  msbs: dst=0 src0=1 src1=0 src2=0
	v_dot4_i32_iu8 v4, v36 /*v292*/, v221, v4 neg_lo:[1,1,0]
	s_set_vgpr_msb 20                       ;  msbs: dst=0 src0=0 src1=1 src2=1
	v_dot4_i32_iu8 v18, v18, v44 /*v300*/, v30 /*v286*/ neg_lo:[1,1,0]
	s_set_vgpr_msb 4                        ;  msbs: dst=0 src0=0 src1=1 src2=0
	v_pk_fma_f32 v[20:21], v[150:151], v[26:27] /*v[282:283]*/, v[20:21] op_sel_hi:[0,1,1]
	s_set_vgpr_msb 1                        ;  msbs: dst=0 src0=1 src1=0 src2=0
	v_dot4_i32_iu8 v4, v37 /*v293*/, v224, v4 neg_lo:[1,1,0]
	s_set_vgpr_msb 0                        ;  msbs: dst=0 src0=0 src1=0 src2=0
	v_mul_lo_u32 v18, v18, v204
	v_pk_mul_f32 v[20:21], v[20:21], v[120:121]
	s_set_vgpr_msb 1                        ;  msbs: dst=0 src0=1 src1=0 src2=0
	v_dot4_i32_iu8 v4, v41 /*v297*/, v225, v4 neg_lo:[1,1,0]
	s_delay_alu instid0(VALU_DEP_1) | instskip(SKIP_1) | instid1(VALU_DEP_4)
	v_dot4_i32_iu8 v4, v42 /*v298*/, v226, v4 neg_lo:[1,1,0]
	s_set_vgpr_msb 0                        ;  msbs: dst=0 src0=0 src1=0 src2=0
	v_cvt_f32_i32_e32 v18, v18
	s_set_vgpr_msb 1                        ;  msbs: dst=0 src0=1 src1=0 src2=0
	s_delay_alu instid0(VALU_DEP_2) | instskip(SKIP_1) | instid1(VALU_DEP_1)
	v_dot4_i32_iu8 v4, v43 /*v299*/, v227, v4 neg_lo:[1,1,0]
	s_set_vgpr_msb 4                        ;  msbs: dst=0 src0=0 src1=1 src2=0
	v_mad_i32_i24 v4, v222, v38 /*v294*/, v4
	s_set_vgpr_msb 5                        ;  msbs: dst=0 src0=1 src1=1 src2=0
	s_delay_alu instid0(VALU_DEP_1) | instskip(NEXT) | instid1(VALU_DEP_1)
	v_dot4_i32_iu8 v4, v3 /*v259*/, v9 /*v265*/, v4 neg_lo:[1,1,0]
	v_dot4_i32_iu8 v4, v4 /*v260*/, v10 /*v266*/, v4 neg_lo:[1,1,0]
	s_delay_alu instid0(VALU_DEP_1) | instskip(SKIP_1) | instid1(VALU_DEP_1)
	v_dot4_i32_iu8 v4, v11 /*v267*/, v1 /*v257*/, v4 neg_lo:[1,1,0]
	s_set_vgpr_msb 0                        ;  msbs: dst=0 src0=0 src1=0 src2=0
	v_mul_lo_u32 v4, v4, v204
	s_delay_alu instid0(VALU_DEP_1)
	v_cvt_f32_i32_e32 v19, v4
	s_set_vgpr_msb 5                        ;  msbs: dst=0 src0=1 src1=1 src2=0
	v_dot4_i32_iu8 v4, v19 /*v275*/, v2 /*v258*/, v22 neg_lo:[1,1,0]
	s_set_vgpr_msb 4                        ;  msbs: dst=0 src0=0 src1=1 src2=0
	v_dot4_i32_iu8 v22, v5, v2 /*v258*/, v247 neg_lo:[1,1,0]
	s_set_vgpr_msb 0                        ;  msbs: dst=0 src0=0 src1=0 src2=0
	v_perm_b32 v247, v7, v6, 0x4030201
	s_set_vgpr_msb 1                        ;  msbs: dst=0 src0=1 src1=0 src2=0
	v_pk_fma_f32 v[18:19], v[20:21] /*v[276:277]*/, v[18:19], 0 op_sel_hi:[1,1,0]
	s_set_vgpr_msb 0                        ;  msbs: dst=0 src0=0 src1=0 src2=0
	v_mul_lo_u32 v4, v4, v241
	v_mul_lo_u32 v22, v22, v241
	s_delay_alu instid0(VALU_DEP_2) | instskip(NEXT) | instid1(VALU_DEP_2)
	v_cvt_f32_i32_e32 v23, v4
	v_cvt_f32_i32_e32 v22, v22
	v_dot4_i32_iu8 v4, v236, v148, 0 neg_lo:[1,1,0]
	v_perm_b32 v236, v12, v11, 0x4030201
	s_set_vgpr_msb 1                        ;  msbs: dst=0 src0=1 src1=0 src2=0
	s_delay_alu instid0(VALU_DEP_3)
	v_pk_fma_f32 v[18:19], v[24:25] /*v[280:281]*/, v[22:23], v[18:19]
	s_set_vgpr_msb 0                        ;  msbs: dst=0 src0=0 src1=0 src2=0
	v_dot4_i32_iu8 v4, v237, v149, v4 neg_lo:[1,1,0]
	s_set_vgpr_msb 5                        ;  msbs: dst=0 src0=1 src1=1 src2=0
	v_perm_b32 v22, v14 /*v270*/, v13 /*v269*/, 0x6050403
	v_perm_b32 v23, v15 /*v271*/, v14 /*v270*/, 0x6050403
	s_set_vgpr_msb 0                        ;  msbs: dst=0 src0=0 src1=0 src2=0
	v_perm_b32 v237, v15, v14, 0x4030201
	v_pk_fma_f32 v[18:19], v[18:19], v[112:113], v[20:21] neg_lo:[0,0,1] neg_hi:[0,0,1]
	s_set_vgpr_msb 5                        ;  msbs: dst=0 src0=1 src1=1 src2=0
	v_perm_b32 v20, v12 /*v268*/, v12 /*v268*/, 0xc0c0201
	s_set_vgpr_msb 0                        ;  msbs: dst=0 src0=0 src1=0 src2=0
	v_dot4_i32_iu8 v4, v238, v146, v4 neg_lo:[1,1,0]
	s_set_vgpr_msb 5                        ;  msbs: dst=0 src0=1 src1=1 src2=0
	v_perm_b32 v21, v13 /*v269*/, v12 /*v268*/, 0x6050403
	s_set_vgpr_msb 0                        ;  msbs: dst=0 src0=0 src1=0 src2=0
	v_perm_b32 v238, v16, v15, 0x4030201
	v_pk_add_f32 v[62:63], v[62:63], v[18:19]
	s_set_vgpr_msb 1                        ;  msbs: dst=0 src0=1 src1=0 src2=0
	v_mul_i32_i24_e32 v18, v39 /*v295*/, v240
	s_set_vgpr_msb 0                        ;  msbs: dst=0 src0=0 src1=0 src2=0
	v_dot4_i32_iu8 v4, v239, v147, v4 neg_lo:[1,1,0]
	v_perm_b32 v239, v13, v12, 0x4030201
	s_delay_alu instid0(VALU_DEP_3) | instskip(SKIP_1) | instid1(VALU_DEP_3)
	v_dot4_i32_iu8 v18, v20, v232, v18 neg_lo:[1,1,0]
	s_set_vgpr_msb 1                        ;  msbs: dst=0 src0=1 src1=0 src2=0
	v_dot4_i32_iu8 v4, v8 /*v264*/, v144, v4 neg_lo:[1,1,0]
	s_set_vgpr_msb 0                        ;  msbs: dst=0 src0=0 src1=0 src2=0
	s_delay_alu instid0(VALU_DEP_2) | instskip(SKIP_1) | instid1(VALU_DEP_2)
	v_dot4_i32_iu8 v18, v21, v234, v18 neg_lo:[1,1,0]
	s_set_vgpr_msb 1                        ;  msbs: dst=0 src0=1 src1=0 src2=0
	v_dot4_i32_iu8 v4, v9 /*v265*/, v145, v4 neg_lo:[1,1,0]
	s_set_vgpr_msb 0                        ;  msbs: dst=0 src0=0 src1=0 src2=0
	s_delay_alu instid0(VALU_DEP_2) | instskip(SKIP_1) | instid1(VALU_DEP_2)
	;; [unrolled: 5-line block ×3, first 2 shown]
	v_dot4_i32_iu8 v18, v23, v230, v18 neg_lo:[1,1,0]
	s_set_vgpr_msb 1                        ;  msbs: dst=0 src0=1 src1=0 src2=0
	v_dot4_i32_iu8 v4, v11 /*v267*/, v133, v4 neg_lo:[1,1,0]
	s_set_vgpr_msb 0                        ;  msbs: dst=0 src0=0 src1=0 src2=0
	s_delay_alu instid0(VALU_DEP_2) | instskip(NEXT) | instid1(VALU_DEP_2)
	v_dot4_i32_iu8 v18, v25, v229, v18 neg_lo:[1,1,0]
	v_mul_lo_u32 v4, v4, v223
	s_set_vgpr_msb 1                        ;  msbs: dst=0 src0=1 src1=0 src2=0
	s_delay_alu instid0(VALU_DEP_2) | instskip(NEXT) | instid1(VALU_DEP_1)
	v_mad_i32_i24 v18, v40 /*v296*/, v228, v18
	v_dot4_i32_iu8 v6, v17 /*v273*/, v247, v18 neg_lo:[1,1,0]
	s_set_vgpr_msb 4                        ;  msbs: dst=0 src0=0 src1=1 src2=0
	v_pk_fma_f32 v[18:19], v[138:139], v[22:23] /*v[278:279]*/, 0 op_sel_hi:[0,1,0]
	s_delay_alu instid0(VALU_DEP_4)
	v_cvt_f32_i32_e32 v7, v4
	s_set_vgpr_msb 1                        ;  msbs: dst=0 src0=1 src1=0 src2=0
	v_dot4_i32_iu8 v27, v18 /*v274*/, v248, v6 neg_lo:[1,1,0]
	s_set_vgpr_msb 0                        ;  msbs: dst=0 src0=0 src1=0 src2=0
	v_dot4_i32_iu8 v6, v133, v9, v17 neg_lo:[1,1,0]
	v_perm_b32 v9, v5, v5, 0xc030201
	s_set_vgpr_msb 1                        ;  msbs: dst=0 src0=1 src1=0 src2=0
	v_dot4_i32_iu8 v4, v19 /*v275*/, v231, v27 neg_lo:[1,1,0]
	s_set_vgpr_msb 16                       ;  msbs: dst=0 src0=0 src1=0 src2=1
	v_mul_lo_u32 v6, v6, v223
	v_dot4_i32_iu8 v5, v9, v8, v52 /*v308*/ neg_lo:[1,1,0]
	s_set_vgpr_msb 0                        ;  msbs: dst=0 src0=0 src1=0 src2=0
	v_dot4_i32_iu8 v9, v9, v10, v26 neg_lo:[1,1,0]
	v_mul_lo_u32 v4, v4, v210
	s_delay_alu instid0(VALU_DEP_3) | instskip(NEXT) | instid1(VALU_DEP_3)
	v_mul_lo_u32 v8, v5, v210
	v_mul_lo_u32 v10, v9, v141
	v_cvt_f32_i32_e32 v6, v6
	s_delay_alu instid0(VALU_DEP_4) | instskip(SKIP_1) | instid1(VALU_DEP_2)
	v_cvt_f32_i32_e32 v5, v4
	s_set_vgpr_msb 1                        ;  msbs: dst=0 src0=1 src1=0 src2=0
	v_pk_fma_f32 v[6:7], v[20:21] /*v[276:277]*/, v[6:7], 0 op_sel_hi:[1,1,0]
	s_set_vgpr_msb 0                        ;  msbs: dst=0 src0=0 src1=0 src2=0
	v_cvt_f32_i32_e32 v4, v8
	s_set_vgpr_msb 1                        ;  msbs: dst=0 src0=1 src1=0 src2=0
	s_delay_alu instid0(VALU_DEP_1) | instskip(SKIP_3) | instid1(VALU_DEP_1)
	v_pk_fma_f32 v[4:5], v[24:25] /*v[280:281]*/, v[4:5], v[6:7]
	s_set_vgpr_msb 4                        ;  msbs: dst=0 src0=0 src1=1 src2=0
	v_pk_fma_f32 v[6:7], v[142:143], v[26:27] /*v[282:283]*/, v[18:19] op_sel_hi:[0,1,1]
	s_set_vgpr_msb 0                        ;  msbs: dst=0 src0=0 src1=0 src2=0
	v_pk_mul_f32 v[6:7], v[6:7], v[122:123]
	s_delay_alu instid0(VALU_DEP_1) | instskip(NEXT) | instid1(VALU_DEP_1)
	v_pk_fma_f32 v[4:5], v[4:5], v[114:115], v[6:7] neg_lo:[0,0,1] neg_hi:[0,0,1]
	v_pk_add_f32 v[60:61], v[60:61], v[4:5]
	s_set_vgpr_msb 1                        ;  msbs: dst=0 src0=1 src1=0 src2=0
	v_mul_i32_i24_e32 v4, v35 /*v291*/, v207
	v_mul_i32_i24_e32 v5, v39 /*v295*/, v217
	s_delay_alu instid0(VALU_DEP_2) | instskip(SKIP_1) | instid1(VALU_DEP_2)
	v_dot4_i32_iu8 v4, v36 /*v292*/, v208, v4 neg_lo:[1,1,0]
	s_set_vgpr_msb 0                        ;  msbs: dst=0 src0=0 src1=0 src2=0
	v_dot4_i32_iu8 v5, v20, v218, v5 neg_lo:[1,1,0]
	s_set_vgpr_msb 1                        ;  msbs: dst=0 src0=1 src1=0 src2=0
	s_delay_alu instid0(VALU_DEP_2) | instskip(SKIP_1) | instid1(VALU_DEP_2)
	v_dot4_i32_iu8 v4, v37 /*v293*/, v211, v4 neg_lo:[1,1,0]
	s_set_vgpr_msb 0                        ;  msbs: dst=0 src0=0 src1=0 src2=0
	v_dot4_i32_iu8 v5, v21, v0, v5 neg_lo:[1,1,0]
	s_set_vgpr_msb 1                        ;  msbs: dst=0 src0=1 src1=0 src2=0
	;; [unrolled: 5-line block ×5, first 2 shown]
	s_delay_alu instid0(VALU_DEP_2) | instskip(SKIP_1) | instid1(VALU_DEP_2)
	v_mad_i32_i24 v4, v209, v38 /*v294*/, v4
	s_set_vgpr_msb 1                        ;  msbs: dst=0 src0=1 src1=0 src2=0
	v_mad_i32_i24 v5, v40 /*v296*/, v216, v5
	s_set_vgpr_msb 4                        ;  msbs: dst=0 src0=0 src1=1 src2=0
	s_delay_alu instid0(VALU_DEP_2) | instskip(SKIP_1) | instid1(VALU_DEP_2)
	v_dot4_i32_iu8 v4, v233, v9 /*v265*/, v4 neg_lo:[1,1,0]
	s_set_vgpr_msb 1                        ;  msbs: dst=0 src0=1 src1=0 src2=0
	v_dot4_i32_iu8 v5, v17 /*v273*/, v237, v5 neg_lo:[1,1,0]
	s_set_vgpr_msb 4                        ;  msbs: dst=0 src0=0 src1=1 src2=0
	s_delay_alu instid0(VALU_DEP_2) | instskip(SKIP_1) | instid1(VALU_DEP_2)
	v_dot4_i32_iu8 v4, v236, v10 /*v266*/, v4 neg_lo:[1,1,0]
	s_set_vgpr_msb 1                        ;  msbs: dst=0 src0=1 src1=0 src2=0
	v_dot4_i32_iu8 v8, v18 /*v274*/, v238, v5 neg_lo:[1,1,0]
	s_set_vgpr_msb 0                        ;  msbs: dst=0 src0=0 src1=0 src2=0
	v_perm_b32 v5, v13, v12, 0xc040302
	s_set_vgpr_msb 1                        ;  msbs: dst=0 src0=1 src1=0 src2=0
	v_dot4_i32_iu8 v4, v11 /*v267*/, v239, v4 neg_lo:[1,1,0]
	v_dot4_i32_iu8 v8, v19 /*v275*/, v219, v8 neg_lo:[1,1,0]
	s_set_vgpr_msb 4                        ;  msbs: dst=0 src0=0 src1=1 src2=0
	v_dot4_i32_iu8 v5, v5, v44 /*v300*/, v24 neg_lo:[1,1,0]
	s_set_vgpr_msb 0                        ;  msbs: dst=0 src0=0 src1=0 src2=0
	v_mul_lo_u32 v4, v4, v214
	v_mul_lo_u32 v8, v8, v141
	s_delay_alu instid0(VALU_DEP_3) | instskip(NEXT) | instid1(VALU_DEP_3)
	v_mul_lo_u32 v6, v5, v214
	v_cvt_f32_i32_e32 v5, v4
	s_delay_alu instid0(VALU_DEP_3) | instskip(NEXT) | instid1(VALU_DEP_3)
	v_cvt_f32_i32_e32 v9, v8
	v_cvt_f32_i32_e32 v4, v6
	s_set_vgpr_msb 4                        ;  msbs: dst=0 src0=0 src1=1 src2=0
	v_pk_fma_f32 v[6:7], v[128:129], v[22:23] /*v[278:279]*/, 0 op_sel_hi:[0,1,0]
	v_cvt_f32_i32_e32 v8, v10
	s_set_vgpr_msb 1                        ;  msbs: dst=0 src0=1 src1=0 src2=0
	v_pk_fma_f32 v[4:5], v[20:21] /*v[276:277]*/, v[4:5], 0 op_sel_hi:[1,1,0]
	s_set_vgpr_msb 4                        ;  msbs: dst=0 src0=0 src1=1 src2=0
	v_pk_fma_f32 v[6:7], v[126:127], v[26:27] /*v[282:283]*/, v[6:7] op_sel_hi:[0,1,1]
	s_set_vgpr_msb 1                        ;  msbs: dst=0 src0=1 src1=0 src2=0
	s_delay_alu instid0(VALU_DEP_2) | instskip(SKIP_1) | instid1(VALU_DEP_2)
	v_pk_fma_f32 v[4:5], v[24:25] /*v[280:281]*/, v[8:9], v[4:5]
	s_set_vgpr_msb 0                        ;  msbs: dst=0 src0=0 src1=0 src2=0
	v_pk_mul_f32 v[6:7], v[6:7], v[124:125]
	s_delay_alu instid0(VALU_DEP_1) | instskip(NEXT) | instid1(VALU_DEP_1)
	v_pk_fma_f32 v[4:5], v[4:5], v[116:117], v[6:7] neg_lo:[0,0,1] neg_hi:[0,0,1]
	v_pk_add_f32 v[58:59], v[58:59], v[4:5]
	v_or_b32_e32 v4, s13, v161
	s_delay_alu instid0(VALU_DEP_1)
	v_lshlrev_b32_e32 v16, 2, v4
	s_set_vgpr_msb 64                       ;  msbs: dst=1 src0=0 src1=0 src2=0
	v_lshrrev_b32_e32 v7 /*v263*/, 1, v4
	s_set_vgpr_msb 0                        ;  msbs: dst=0 src0=0 src1=0 src2=0
	ds_load_b128 v[4:7], v16 offset:33280
	ds_load_b128 v[8:11], v16 offset:33296
	;; [unrolled: 1-line block ×4, first 2 shown]
	s_wait_dscnt 0x3
	v_bfe_i32 v20, v4, 0, 8
	v_perm_b32 v25, v4, v4, 0xc0c0201
	v_perm_b32 v26, v5, v4, 0x6050403
	;; [unrolled: 1-line block ×3, first 2 shown]
	s_set_vgpr_msb 64                       ;  msbs: dst=1 src0=0 src1=0 src2=0
	v_perm_b32 v8 /*v264*/, v7, v6, 0x6050403
	s_set_vgpr_msb 0                        ;  msbs: dst=0 src0=0 src1=0 src2=0
	v_mul_i32_i24_e32 v24, v20, v250
	s_wait_dscnt 0x2
	s_set_vgpr_msb 64                       ;  msbs: dst=1 src0=0 src1=0 src2=0
	v_perm_b32 v9 /*v265*/, v8, v7, 0x6050403
	s_set_vgpr_msb 0                        ;  msbs: dst=0 src0=0 src1=0 src2=0
	v_ashrrev_i32_e32 v21, 24, v8
	v_dot4_i32_iu8 v4, v4, v148, 0 neg_lo:[1,1,0]
	s_wait_dscnt 0x1
	v_bfe_i32 v22, v12, 0, 8
	v_dot4_i32_iu8 v24, v25, v251, v24 neg_lo:[1,1,0]
	s_wait_dscnt 0x0
	v_ashrrev_i32_e32 v23, 24, v16
	v_dot4_i32_iu8 v4, v5, v149, v4 neg_lo:[1,1,0]
	v_perm_b32 v5, v12, v12, 0xc0c0201
	v_dot4_i32_iu8 v24, v26, v252, v24 neg_lo:[1,1,0]
	s_delay_alu instid0(VALU_DEP_3) | instskip(SKIP_1) | instid1(VALU_DEP_3)
	v_dot4_i32_iu8 v4, v6, v146, v4 neg_lo:[1,1,0]
	v_perm_b32 v6, v13, v12, 0x6050403
	v_dot4_i32_iu8 v24, v27, v253, v24 neg_lo:[1,1,0]
	s_delay_alu instid0(VALU_DEP_3) | instskip(SKIP_2) | instid1(VALU_DEP_3)
	v_dot4_i32_iu8 v4, v7, v147, v4 neg_lo:[1,1,0]
	v_perm_b32 v7, v14, v13, 0x6050403
	s_set_vgpr_msb 1                        ;  msbs: dst=0 src0=1 src1=0 src2=0
	v_dot4_i32_iu8 v24, v8 /*v264*/, v254, v24 neg_lo:[1,1,0]
	s_set_vgpr_msb 0                        ;  msbs: dst=0 src0=0 src1=0 src2=0
	v_dot4_i32_iu8 v4, v8, v144, v4 neg_lo:[1,1,0]
	v_perm_b32 v8, v15, v14, 0x6050403
	s_set_vgpr_msb 1                        ;  msbs: dst=0 src0=1 src1=0 src2=0
	v_dot4_i32_iu8 v24, v9 /*v265*/, v255, v24 neg_lo:[1,1,0]
	s_set_vgpr_msb 0                        ;  msbs: dst=0 src0=0 src1=0 src2=0
	v_dot4_i32_iu8 v4, v9, v145, v4 neg_lo:[1,1,0]
	s_delay_alu instid0(VALU_DEP_2) | instskip(SKIP_1) | instid1(VALU_DEP_2)
	v_mad_i32_i24 v24, v249, v21, v24
	s_set_vgpr_msb 64                       ;  msbs: dst=1 src0=0 src1=0 src2=0
	v_dot4_i32_iu8 v20 /*v276*/, v10, v132, v4 neg_lo:[1,1,0]
	s_set_vgpr_msb 0                        ;  msbs: dst=0 src0=0 src1=0 src2=0
	v_mul_i32_i24_e32 v4, v22, v240
	s_set_vgpr_msb 1                        ;  msbs: dst=0 src0=1 src1=0 src2=0
	v_dot4_i32_iu8 v24, v5 /*v261*/, v9, v24 neg_lo:[1,1,0]
	s_set_vgpr_msb 0                        ;  msbs: dst=0 src0=0 src1=0 src2=0
	s_delay_alu instid0(VALU_DEP_2) | instskip(SKIP_1) | instid1(VALU_DEP_2)
	v_dot4_i32_iu8 v4, v5, v232, v4 neg_lo:[1,1,0]
	s_set_vgpr_msb 0x41                     ;  msbs: dst=1 src0=1 src1=0 src2=0
	v_dot4_i32_iu8 v14 /*v270*/, v6 /*v262*/, v10, v24 neg_lo:[1,1,0]
	s_set_vgpr_msb 0                        ;  msbs: dst=0 src0=0 src1=0 src2=0
	v_dot4_i32_iu8 v24, v152, v12, 0 neg_lo:[1,1,0]
	v_dot4_i32_iu8 v4, v6, v234, v4 neg_lo:[1,1,0]
	s_delay_alu instid0(VALU_DEP_2) | instskip(NEXT) | instid1(VALU_DEP_2)
	v_dot4_i32_iu8 v24, v153, v13, v24 neg_lo:[1,1,0]
	v_dot4_i32_iu8 v4, v7, v235, v4 neg_lo:[1,1,0]
	s_delay_alu instid0(VALU_DEP_2) | instskip(NEXT) | instid1(VALU_DEP_2)
	v_dot4_i32_iu8 v24, v154, v14, v24 neg_lo:[1,1,0]
	v_dot4_i32_iu8 v4, v8, v230, v4 neg_lo:[1,1,0]
	s_delay_alu instid0(VALU_DEP_2) | instskip(NEXT) | instid1(VALU_DEP_1)
	v_dot4_i32_iu8 v24, v155, v15, v24 neg_lo:[1,1,0]
	v_dot4_i32_iu8 v24, v156, v16, v24 neg_lo:[1,1,0]
	s_delay_alu instid0(VALU_DEP_1) | instskip(SKIP_1) | instid1(VALU_DEP_1)
	v_dot4_i32_iu8 v24, v157, v17, v24 neg_lo:[1,1,0]
	s_set_vgpr_msb 64                       ;  msbs: dst=1 src0=0 src1=0 src2=0
	v_dot4_i32_iu8 v16 /*v272*/, v134, v18, v24 neg_lo:[1,1,0]
	s_set_vgpr_msb 0                        ;  msbs: dst=0 src0=0 src1=0 src2=0
	v_mul_i32_i24_e32 v24, v20, v220
	s_set_vgpr_msb 0x50                     ;  msbs: dst=1 src0=0 src1=0 src2=1
	s_delay_alu instid0(VALU_DEP_2) | instskip(SKIP_1) | instid1(VALU_DEP_2)
	v_dot4_i32_iu8 v16 /*v272*/, v19, v135, v16 /*v272*/ neg_lo:[1,1,0]
	s_set_vgpr_msb 0                        ;  msbs: dst=0 src0=0 src1=0 src2=0
	v_dot4_i32_iu8 v24, v25, v221, v24 neg_lo:[1,1,0]
	s_set_vgpr_msb 0x41                     ;  msbs: dst=1 src0=1 src1=0 src2=0
	s_delay_alu instid0(VALU_DEP_2) | instskip(SKIP_1) | instid1(VALU_DEP_2)
	v_mul_lo_u32 v16 /*v272*/, v16 /*v272*/, v151
	s_set_vgpr_msb 0                        ;  msbs: dst=0 src0=0 src1=0 src2=0
	v_dot4_i32_iu8 v24, v26, v224, v24 neg_lo:[1,1,0]
	s_delay_alu instid0(VALU_DEP_1) | instskip(SKIP_1) | instid1(VALU_DEP_1)
	v_dot4_i32_iu8 v24, v27, v225, v24 neg_lo:[1,1,0]
	s_set_vgpr_msb 1                        ;  msbs: dst=0 src0=1 src1=0 src2=0
	v_dot4_i32_iu8 v24, v8 /*v264*/, v226, v24 neg_lo:[1,1,0]
	s_set_vgpr_msb 0x41                     ;  msbs: dst=1 src0=1 src1=0 src2=0
	s_delay_alu instid0(VALU_DEP_4) | instskip(SKIP_1) | instid1(VALU_DEP_2)
	v_cvt_f32_i32_e32 v16 /*v272*/, v16 /*v272*/
	s_set_vgpr_msb 1                        ;  msbs: dst=0 src0=1 src1=0 src2=0
	v_dot4_i32_iu8 v24, v9 /*v265*/, v227, v24 neg_lo:[1,1,0]
	s_set_vgpr_msb 0                        ;  msbs: dst=0 src0=0 src1=0 src2=0
	s_delay_alu instid0(VALU_DEP_1) | instskip(SKIP_1) | instid1(VALU_DEP_1)
	v_mad_i32_i24 v24, v222, v21, v24
	s_set_vgpr_msb 1                        ;  msbs: dst=0 src0=1 src1=0 src2=0
	v_dot4_i32_iu8 v24, v3 /*v259*/, v9, v24 neg_lo:[1,1,0]
	s_set_vgpr_msb 0x41                     ;  msbs: dst=1 src0=1 src1=0 src2=0
	s_delay_alu instid0(VALU_DEP_1) | instskip(SKIP_3) | instid1(VALU_DEP_2)
	v_dot4_i32_iu8 v18 /*v274*/, v4 /*v260*/, v10, v24 neg_lo:[1,1,0]
	s_set_vgpr_msb 0                        ;  msbs: dst=0 src0=0 src1=0 src2=0
	v_dot4_i32_iu8 v24, v12, v205, 0 neg_lo:[1,1,0]
	v_perm_b32 v12, v16, v15, 0x6050403
	v_dot4_i32_iu8 v24, v13, v206, v24 neg_lo:[1,1,0]
	s_delay_alu instid0(VALU_DEP_2) | instskip(NEXT) | instid1(VALU_DEP_2)
	v_dot4_i32_iu8 v4, v12, v229, v4 neg_lo:[1,1,0]
	v_dot4_i32_iu8 v24, v14, v242, v24 neg_lo:[1,1,0]
	s_delay_alu instid0(VALU_DEP_2) | instskip(NEXT) | instid1(VALU_DEP_2)
	v_mad_i32_i24 v4, v228, v23, v4
	v_dot4_i32_iu8 v24, v15, v243, v24 neg_lo:[1,1,0]
	s_delay_alu instid0(VALU_DEP_2) | instskip(NEXT) | instid1(VALU_DEP_2)
	v_dot4_i32_iu8 v4, v247, v17, v4 neg_lo:[1,1,0]
	v_dot4_i32_iu8 v24, v16, v244, v24 neg_lo:[1,1,0]
	s_set_vgpr_msb 64                       ;  msbs: dst=1 src0=0 src1=0 src2=0
	s_delay_alu instid0(VALU_DEP_2) | instskip(SKIP_3) | instid1(VALU_DEP_2)
	v_dot4_i32_iu8 v21 /*v277*/, v248, v18, v4 neg_lo:[1,1,0]
	s_set_vgpr_msb 0                        ;  msbs: dst=0 src0=0 src1=0 src2=0
	v_mul_i32_i24_e32 v4, v20, v207
	v_dot4_i32_iu8 v24, v17, v245, v24 neg_lo:[1,1,0]
	v_dot4_i32_iu8 v4, v25, v208, v4 neg_lo:[1,1,0]
	s_set_vgpr_msb 64                       ;  msbs: dst=1 src0=0 src1=0 src2=0
	s_delay_alu instid0(VALU_DEP_2) | instskip(SKIP_1) | instid1(VALU_DEP_2)
	v_dot4_i32_iu8 v19 /*v275*/, v18, v246, v24 neg_lo:[1,1,0]
	s_set_vgpr_msb 0                        ;  msbs: dst=0 src0=0 src1=0 src2=0
	v_dot4_i32_iu8 v4, v26, v211, v4 neg_lo:[1,1,0]
	s_delay_alu instid0(VALU_DEP_1) | instskip(SKIP_1) | instid1(VALU_DEP_1)
	v_dot4_i32_iu8 v4, v27, v212, v4 neg_lo:[1,1,0]
	s_set_vgpr_msb 1                        ;  msbs: dst=0 src0=1 src1=0 src2=0
	v_dot4_i32_iu8 v4, v8 /*v264*/, v213, v4 neg_lo:[1,1,0]
	s_delay_alu instid0(VALU_DEP_1) | instskip(SKIP_1) | instid1(VALU_DEP_1)
	v_dot4_i32_iu8 v4, v9 /*v265*/, v215, v4 neg_lo:[1,1,0]
	s_set_vgpr_msb 0                        ;  msbs: dst=0 src0=0 src1=0 src2=0
	v_mad_i32_i24 v4, v209, v21, v4
	s_delay_alu instid0(VALU_DEP_1) | instskip(NEXT) | instid1(VALU_DEP_1)
	v_dot4_i32_iu8 v4, v233, v9, v4 neg_lo:[1,1,0]
	v_dot4_i32_iu8 v10, v236, v10, v4 neg_lo:[1,1,0]
	v_mul_i32_i24_e32 v4, v22, v217
	s_delay_alu instid0(VALU_DEP_1) | instskip(NEXT) | instid1(VALU_DEP_1)
	v_dot4_i32_iu8 v4, v5, v218, v4 neg_lo:[1,1,0]
	v_dot4_i32_iu8 v4, v6, v0, v4 neg_lo:[1,1,0]
	s_delay_alu instid0(VALU_DEP_1) | instskip(NEXT) | instid1(VALU_DEP_1)
	v_dot4_i32_iu8 v4, v7, v1, v4 neg_lo:[1,1,0]
	v_dot4_i32_iu8 v4, v8, v2, v4 neg_lo:[1,1,0]
	s_delay_alu instid0(VALU_DEP_1) | instskip(NEXT) | instid1(VALU_DEP_1)
	v_dot4_i32_iu8 v4, v12, v3, v4 neg_lo:[1,1,0]
	v_mad_i32_i24 v4, v216, v23, v4
	s_delay_alu instid0(VALU_DEP_1) | instskip(NEXT) | instid1(VALU_DEP_1)
	v_dot4_i32_iu8 v4, v237, v17, v4 neg_lo:[1,1,0]
	v_dot4_i32_iu8 v18, v238, v18, v4 neg_lo:[1,1,0]
	v_or_b32_e32 v4, s13, v162
	s_delay_alu instid0(VALU_DEP_1)
	v_dual_lshlrev_b32 v8, 2, v4 :: v_dual_lshrrev_b32 v16, 1, v4
	ds_load_b128 v[4:7], v8 offset:33280
	ds_load_b128 v[12:15], v8 offset:33296
	;; [unrolled: 1-line block ×4, first 2 shown]
	ds_load_b64 v[16:17], v16 offset:43584
	s_wait_dscnt 0x4
	s_set_vgpr_msb 64                       ;  msbs: dst=1 src0=0 src1=0 src2=0
	v_bfe_i32 v22 /*v278*/, v4, 0, 8
	v_perm_b32 v26 /*v282*/, v4, v4, 0xc0c0201
	v_perm_b32 v27 /*v283*/, v5, v4, 0x6050403
	;; [unrolled: 1-line block ×4, first 2 shown]
	s_set_vgpr_msb 1                        ;  msbs: dst=0 src0=1 src1=0 src2=0
	v_mul_i32_i24_e32 v8, v22 /*v278*/, v250
	s_wait_dscnt 0x3
	s_set_vgpr_msb 64                       ;  msbs: dst=1 src0=0 src1=0 src2=0
	v_perm_b32 v30 /*v286*/, v12, v7, 0x6050403
	v_ashrrev_i32_e32 v23 /*v279*/, 24, v12
	s_wait_dscnt 0x0
	v_cvt_f32_f16_e64 v9 /*v265*/, v16
	v_cvt_f32_f16_e64 v13 /*v269*/, v17
	s_set_vgpr_msb 1                        ;  msbs: dst=0 src0=1 src1=0 src2=0
	v_dot4_i32_iu8 v8, v26 /*v282*/, v251, v8 neg_lo:[1,1,0]
	s_set_vgpr_msb 0                        ;  msbs: dst=0 src0=0 src1=0 src2=0
	v_dot4_i32_iu8 v4, v4, v148, 0 neg_lo:[1,1,0]
	s_set_vgpr_msb 64                       ;  msbs: dst=1 src0=0 src1=0 src2=0
	v_bfe_i32 v24 /*v280*/, v20, 0, 8
	v_ashrrev_i32_e32 v25 /*v281*/, 24, v24
	s_set_vgpr_msb 1                        ;  msbs: dst=0 src0=1 src1=0 src2=0
	v_dot4_i32_iu8 v8, v27 /*v283*/, v252, v8 neg_lo:[1,1,0]
	s_set_vgpr_msb 0                        ;  msbs: dst=0 src0=0 src1=0 src2=0
	v_dot4_i32_iu8 v4, v5, v149, v4 neg_lo:[1,1,0]
	s_set_vgpr_msb 1                        ;  msbs: dst=0 src0=1 src1=0 src2=0
	v_mul_i32_i24_e32 v5, v24 /*v280*/, v240
	v_dot4_i32_iu8 v8, v28 /*v284*/, v253, v8 neg_lo:[1,1,0]
	s_set_vgpr_msb 0                        ;  msbs: dst=0 src0=0 src1=0 src2=0
	v_dot4_i32_iu8 v4, v6, v146, v4 neg_lo:[1,1,0]
	s_set_vgpr_msb 1                        ;  msbs: dst=0 src0=1 src1=0 src2=0
	s_delay_alu instid0(VALU_DEP_2) | instskip(SKIP_1) | instid1(VALU_DEP_2)
	v_dot4_i32_iu8 v8, v29 /*v285*/, v254, v8 neg_lo:[1,1,0]
	s_set_vgpr_msb 0                        ;  msbs: dst=0 src0=0 src1=0 src2=0
	v_dot4_i32_iu8 v4, v7, v147, v4 neg_lo:[1,1,0]
	s_set_vgpr_msb 1                        ;  msbs: dst=0 src0=1 src1=0 src2=0
	s_delay_alu instid0(VALU_DEP_2) | instskip(SKIP_1) | instid1(VALU_DEP_2)
	v_dot4_i32_iu8 v8, v30 /*v286*/, v255, v8 neg_lo:[1,1,0]
	s_set_vgpr_msb 0                        ;  msbs: dst=0 src0=0 src1=0 src2=0
	v_dot4_i32_iu8 v4, v12, v144, v4 neg_lo:[1,1,0]
	v_perm_b32 v12, v20, v20, 0xc0c0201
	s_set_vgpr_msb 4                        ;  msbs: dst=0 src0=0 src1=1 src2=0
	v_mad_i32_i24 v8, v249, v23 /*v279*/, v8
	s_set_vgpr_msb 0                        ;  msbs: dst=0 src0=0 src1=0 src2=0
	v_dot4_i32_iu8 v4, v13, v145, v4 neg_lo:[1,1,0]
	v_dot4_i32_iu8 v5, v12, v232, v5 neg_lo:[1,1,0]
	s_set_vgpr_msb 1                        ;  msbs: dst=0 src0=1 src1=0 src2=0
	v_dot4_i32_iu8 v8, v5 /*v261*/, v13, v8 neg_lo:[1,1,0]
	s_set_vgpr_msb 0                        ;  msbs: dst=0 src0=0 src1=0 src2=0
	v_dot4_i32_iu8 v4, v14, v132, v4 neg_lo:[1,1,0]
	s_set_vgpr_msb 0x41                     ;  msbs: dst=1 src0=1 src1=0 src2=0
	s_delay_alu instid0(VALU_DEP_2) | instskip(SKIP_3) | instid1(VALU_DEP_2)
	v_dot4_i32_iu8 v15 /*v271*/, v6 /*v262*/, v14, v8 neg_lo:[1,1,0]
	s_set_vgpr_msb 0                        ;  msbs: dst=0 src0=0 src1=0 src2=0
	v_dot4_i32_iu8 v8, v152, v20, 0 neg_lo:[1,1,0]
	v_dot4_i32_iu8 v4, v15, v133, v4 neg_lo:[1,1,0]
	;; [unrolled: 1-line block ×3, first 2 shown]
	s_delay_alu instid0(VALU_DEP_2) | instskip(NEXT) | instid1(VALU_DEP_2)
	v_mul_lo_u32 v4, v4, v223
	v_dot4_i32_iu8 v8, v154, v22, v8 neg_lo:[1,1,0]
	s_delay_alu instid0(VALU_DEP_1) | instskip(NEXT) | instid1(VALU_DEP_1)
	v_dot4_i32_iu8 v8, v155, v23, v8 neg_lo:[1,1,0]
	v_dot4_i32_iu8 v8, v156, v24, v8 neg_lo:[1,1,0]
	s_delay_alu instid0(VALU_DEP_1) | instskip(SKIP_1) | instid1(VALU_DEP_1)
	v_dot4_i32_iu8 v8, v157, v25, v8 neg_lo:[1,1,0]
	s_set_vgpr_msb 64                       ;  msbs: dst=1 src0=0 src1=0 src2=0
	v_dot4_i32_iu8 v17 /*v273*/, v134, v26, v8 neg_lo:[1,1,0]
	s_set_vgpr_msb 1                        ;  msbs: dst=0 src0=1 src1=0 src2=0
	ds_load_b64 v[8:9], v7 /*v263*/ offset:43584
	s_wait_dscnt 0x0
	s_set_vgpr_msb 64                       ;  msbs: dst=1 src0=0 src1=0 src2=0
	v_lshrrev_b32_e32 v7 /*v263*/, 16, v8
	v_cvt_f32_f16_e64 v8 /*v264*/, v8
	s_set_vgpr_msb 0                        ;  msbs: dst=0 src0=0 src1=0 src2=0
	v_lshrrev_b32_e32 v8, 16, v16
	s_set_vgpr_msb 64                       ;  msbs: dst=1 src0=0 src1=0 src2=0
	v_cvt_f32_f16_e64 v12 /*v268*/, v9
	s_set_vgpr_msb 20                       ;  msbs: dst=0 src0=0 src1=1 src2=1
	v_dot4_i32_iu8 v16, v15, v0 /*v256*/, v15 /*v271*/ neg_lo:[1,1,0]
	s_set_vgpr_msb 0x41                     ;  msbs: dst=1 src0=1 src1=0 src2=0
	v_cvt_f32_f16_e64 v10 /*v266*/, v7 /*v263*/
	s_set_vgpr_msb 64                       ;  msbs: dst=1 src0=0 src1=0 src2=0
	v_cvt_f32_f16_e64 v11 /*v267*/, v8
	s_set_vgpr_msb 0                        ;  msbs: dst=0 src0=0 src1=0 src2=0
	v_lshrrev_b32_e32 v8, 16, v9
	v_lshrrev_b32_e32 v9, 16, v17
	s_set_vgpr_msb 20                       ;  msbs: dst=0 src0=0 src1=1 src2=1
	v_dot4_i32_iu8 v17, v11, v0 /*v256*/, v14 /*v270*/ neg_lo:[1,1,0]
	s_set_vgpr_msb 0                        ;  msbs: dst=0 src0=0 src1=0 src2=0
	v_mul_lo_u32 v16, v16, v203
	s_set_vgpr_msb 0x44                     ;  msbs: dst=1 src0=0 src1=1 src2=0
	v_pk_fma_f32 v[14:15] /*v[270:271]*/, v[136:137], v[10:11] /*v[266:267]*/, 0 op_sel_hi:[0,1,0]
	s_set_vgpr_msb 0                        ;  msbs: dst=0 src0=0 src1=0 src2=0
	v_cvt_f32_f16_e32 v8, v8
	v_cvt_f32_f16_e32 v9, v9
	s_set_vgpr_msb 0x50                     ;  msbs: dst=1 src0=0 src1=0 src2=1
	v_mul_lo_u32 v7 /*v263*/, v17, v203
	s_delay_alu instid0(VALU_DEP_2) | instskip(SKIP_3) | instid1(VALU_DEP_2)
	v_pk_fma_f32 v[14:15] /*v[270:271]*/, v[130:131], v[8:9], v[14:15] /*v[270:271]*/ op_sel_hi:[0,1,1]
	s_set_vgpr_msb 0                        ;  msbs: dst=0 src0=0 src1=0 src2=0
	v_cvt_f32_i32_e32 v17, v16
	s_set_vgpr_msb 0x41                     ;  msbs: dst=1 src0=1 src1=0 src2=0
	v_pk_mul_f32 v[14:15] /*v[270:271]*/, v[14:15] /*v[270:271]*/, v[118:119]
	s_set_vgpr_msb 1                        ;  msbs: dst=0 src0=1 src1=0 src2=0
	s_delay_alu instid0(VALU_DEP_4) | instskip(SKIP_3) | instid1(VALU_DEP_2)
	v_cvt_f32_i32_e32 v16, v7 /*v263*/
	s_set_vgpr_msb 0x50                     ;  msbs: dst=1 src0=0 src1=0 src2=1
	v_dot4_i32_iu8 v7 /*v263*/, v27, v135, v17 /*v273*/ neg_lo:[1,1,0]
	s_set_vgpr_msb 1                        ;  msbs: dst=0 src0=1 src1=0 src2=0
	v_pk_fma_f32 v[16:17], v[8:9] /*v[264:265]*/, v[16:17], 0 op_sel_hi:[1,1,0]
	s_set_vgpr_msb 0x41                     ;  msbs: dst=1 src0=1 src1=0 src2=0
	s_delay_alu instid0(VALU_DEP_2) | instskip(NEXT) | instid1(VALU_DEP_1)
	v_mul_lo_u32 v7 /*v263*/, v7 /*v263*/, v151
	v_cvt_f32_i32_e32 v17 /*v273*/, v7 /*v263*/
	s_set_vgpr_msb 5                        ;  msbs: dst=0 src0=1 src1=1 src2=0
	s_delay_alu instid0(VALU_DEP_1) | instskip(SKIP_3) | instid1(VALU_DEP_2)
	v_pk_fma_f32 v[16:17], v[12:13] /*v[268:269]*/, v[16:17] /*v[272:273]*/, v[16:17]
	s_set_vgpr_msb 0x54                     ;  msbs: dst=1 src0=0 src1=1 src2=1
	v_dot4_i32_iu8 v16 /*v272*/, v19, v2 /*v258*/, v19 /*v275*/ neg_lo:[1,1,0]
	s_set_vgpr_msb 16                       ;  msbs: dst=0 src0=0 src1=0 src2=1
	v_pk_fma_f32 v[16:17], v[16:17], v[110:111], v[14:15] /*v[270:271]*/ neg_lo:[0,0,1] neg_hi:[0,0,1]
	s_set_vgpr_msb 0x41                     ;  msbs: dst=1 src0=1 src1=0 src2=0
	s_delay_alu instid0(VALU_DEP_2) | instskip(SKIP_1) | instid1(VALU_DEP_2)
	v_mul_lo_u32 v16 /*v272*/, v16 /*v272*/, v241
	s_set_vgpr_msb 0                        ;  msbs: dst=0 src0=0 src1=0 src2=0
	v_pk_add_f32 v[50:51], v[50:51], v[16:17]
	s_set_vgpr_msb 1                        ;  msbs: dst=0 src0=1 src1=0 src2=0
	v_mul_i32_i24_e32 v16, v22 /*v278*/, v220
	s_set_vgpr_msb 0                        ;  msbs: dst=0 src0=0 src1=0 src2=0
	v_dot4_i32_iu8 v17, v20, v205, 0 neg_lo:[1,1,0]
	v_perm_b32 v20, v21, v20, 0x6050403
	s_set_vgpr_msb 1                        ;  msbs: dst=0 src0=1 src1=0 src2=0
	v_dot4_i32_iu8 v16, v26 /*v282*/, v221, v16 neg_lo:[1,1,0]
	s_set_vgpr_msb 0                        ;  msbs: dst=0 src0=0 src1=0 src2=0
	v_dot4_i32_iu8 v17, v21, v206, v17 neg_lo:[1,1,0]
	v_dot4_i32_iu8 v5, v20, v234, v5 neg_lo:[1,1,0]
	v_perm_b32 v21, v22, v21, 0x6050403
	s_set_vgpr_msb 0x41                     ;  msbs: dst=1 src0=1 src1=0 src2=0
	v_cvt_f32_i32_e32 v16 /*v272*/, v16 /*v272*/
	s_set_vgpr_msb 1                        ;  msbs: dst=0 src0=1 src1=0 src2=0
	v_dot4_i32_iu8 v16, v27 /*v283*/, v224, v16 neg_lo:[1,1,0]
	s_set_vgpr_msb 0                        ;  msbs: dst=0 src0=0 src1=0 src2=0
	v_dot4_i32_iu8 v17, v22, v242, v17 neg_lo:[1,1,0]
	v_perm_b32 v22, v23, v22, 0x6050403
	v_dot4_i32_iu8 v5, v21, v235, v5 neg_lo:[1,1,0]
	s_set_vgpr_msb 1                        ;  msbs: dst=0 src0=1 src1=0 src2=0
	v_dot4_i32_iu8 v16, v28 /*v284*/, v225, v16 neg_lo:[1,1,0]
	s_set_vgpr_msb 0                        ;  msbs: dst=0 src0=0 src1=0 src2=0
	v_dot4_i32_iu8 v17, v23, v243, v17 neg_lo:[1,1,0]
	v_perm_b32 v23, v24, v23, 0x6050403
	v_dot4_i32_iu8 v5, v22, v230, v5 neg_lo:[1,1,0]
	s_set_vgpr_msb 1                        ;  msbs: dst=0 src0=1 src1=0 src2=0
	v_dot4_i32_iu8 v16, v29 /*v285*/, v226, v16 neg_lo:[1,1,0]
	s_set_vgpr_msb 0                        ;  msbs: dst=0 src0=0 src1=0 src2=0
	v_dot4_i32_iu8 v17, v24, v244, v17 neg_lo:[1,1,0]
	v_dot4_i32_iu8 v5, v23, v229, v5 neg_lo:[1,1,0]
	s_set_vgpr_msb 1                        ;  msbs: dst=0 src0=1 src1=0 src2=0
	v_dot4_i32_iu8 v16, v30 /*v286*/, v227, v16 neg_lo:[1,1,0]
	s_set_vgpr_msb 0                        ;  msbs: dst=0 src0=0 src1=0 src2=0
	v_dot4_i32_iu8 v17, v25, v245, v17 neg_lo:[1,1,0]
	s_set_vgpr_msb 4                        ;  msbs: dst=0 src0=0 src1=1 src2=0
	v_mad_i32_i24 v5, v228, v25 /*v281*/, v5
	v_mad_i32_i24 v16, v222, v23 /*v279*/, v16
	s_set_vgpr_msb 64                       ;  msbs: dst=1 src0=0 src1=0 src2=0
	v_dot4_i32_iu8 v7 /*v263*/, v26, v246, v17 neg_lo:[1,1,0]
	s_set_vgpr_msb 20                       ;  msbs: dst=0 src0=0 src1=1 src2=1
	v_dot4_i32_iu8 v17, v11, v1 /*v257*/, v18 /*v274*/ neg_lo:[1,1,0]
	s_set_vgpr_msb 0                        ;  msbs: dst=0 src0=0 src1=0 src2=0
	v_dot4_i32_iu8 v5, v247, v25, v5 neg_lo:[1,1,0]
	s_set_vgpr_msb 1                        ;  msbs: dst=0 src0=1 src1=0 src2=0
	v_dot4_i32_iu8 v16, v3 /*v259*/, v13, v16 neg_lo:[1,1,0]
	s_set_vgpr_msb 0x54                     ;  msbs: dst=1 src0=0 src1=1 src2=1
	v_dot4_i32_iu8 v7 /*v263*/, v27, v2 /*v258*/, v7 /*v263*/ neg_lo:[1,1,0]
	s_set_vgpr_msb 64                       ;  msbs: dst=1 src0=0 src1=0 src2=0
	v_mul_lo_u32 v14 /*v270*/, v17, v204
	s_set_vgpr_msb 1                        ;  msbs: dst=0 src0=1 src1=0 src2=0
	v_dot4_i32_iu8 v16, v4 /*v260*/, v14, v16 neg_lo:[1,1,0]
	s_set_vgpr_msb 0x41                     ;  msbs: dst=1 src0=1 src1=0 src2=0
	v_mul_lo_u32 v7 /*v263*/, v7 /*v263*/, v241
	s_set_vgpr_msb 4                        ;  msbs: dst=0 src0=0 src1=1 src2=0
	s_delay_alu instid0(VALU_DEP_2) | instskip(SKIP_1) | instid1(VALU_DEP_1)
	v_dot4_i32_iu8 v16, v15, v1 /*v257*/, v16 neg_lo:[1,1,0]
	s_set_vgpr_msb 0                        ;  msbs: dst=0 src0=0 src1=0 src2=0
	v_mul_lo_u32 v16, v16, v204
	s_set_vgpr_msb 0x41                     ;  msbs: dst=1 src0=1 src1=0 src2=0
	s_delay_alu instid0(VALU_DEP_3) | instskip(SKIP_1) | instid1(VALU_DEP_2)
	v_cvt_f32_i32_e32 v17 /*v273*/, v7 /*v263*/
	s_set_vgpr_msb 0                        ;  msbs: dst=0 src0=0 src1=0 src2=0
	v_cvt_f32_i32_e32 v17, v16
	s_set_vgpr_msb 1                        ;  msbs: dst=0 src0=1 src1=0 src2=0
	v_cvt_f32_i32_e32 v16, v14 /*v270*/
	s_set_vgpr_msb 0x44                     ;  msbs: dst=1 src0=0 src1=1 src2=0
	v_pk_fma_f32 v[14:15] /*v[270:271]*/, v[140:141], v[10:11] /*v[266:267]*/, 0 op_sel_hi:[0,1,0]
	s_set_vgpr_msb 1                        ;  msbs: dst=0 src0=1 src1=0 src2=0
	s_delay_alu instid0(VALU_DEP_2) | instskip(SKIP_1) | instid1(VALU_DEP_2)
	v_pk_fma_f32 v[16:17], v[8:9] /*v[264:265]*/, v[16:17], 0 op_sel_hi:[1,1,0]
	s_set_vgpr_msb 0x50                     ;  msbs: dst=1 src0=0 src1=0 src2=1
	v_pk_fma_f32 v[14:15] /*v[270:271]*/, v[150:151], v[8:9], v[14:15] /*v[270:271]*/ op_sel_hi:[0,1,1]
	s_set_vgpr_msb 5                        ;  msbs: dst=0 src0=1 src1=1 src2=0
	s_delay_alu instid0(VALU_DEP_2) | instskip(SKIP_1) | instid1(VALU_DEP_2)
	v_pk_fma_f32 v[16:17], v[12:13] /*v[268:269]*/, v[16:17] /*v[272:273]*/, v[16:17]
	s_set_vgpr_msb 0x41                     ;  msbs: dst=1 src0=1 src1=0 src2=0
	v_pk_mul_f32 v[14:15] /*v[270:271]*/, v[14:15] /*v[270:271]*/, v[120:121]
	s_set_vgpr_msb 16                       ;  msbs: dst=0 src0=0 src1=0 src2=1
	s_delay_alu instid0(VALU_DEP_1) | instskip(NEXT) | instid1(VALU_DEP_1)
	v_pk_fma_f32 v[16:17], v[16:17], v[112:113], v[14:15] /*v[270:271]*/ neg_lo:[0,0,1] neg_hi:[0,0,1]
	v_pk_add_f32 v[48:49], v[48:49], v[16:17]
	s_set_vgpr_msb 0                        ;  msbs: dst=0 src0=0 src1=0 src2=0
	v_dot4_i32_iu8 v16, v248, v26, v5 neg_lo:[1,1,0]
	s_set_vgpr_msb 16                       ;  msbs: dst=0 src0=0 src1=0 src2=1
	v_dot4_i32_iu8 v5, v11, v133, v20 /*v276*/ neg_lo:[1,1,0]
	v_dot4_i32_iu8 v17, v19, v231, v21 /*v277*/ neg_lo:[1,1,0]
	s_set_vgpr_msb 0                        ;  msbs: dst=0 src0=0 src1=0 src2=0
	v_dot4_i32_iu8 v16, v27, v231, v16 neg_lo:[1,1,0]
	s_delay_alu instid0(VALU_DEP_3) | instskip(NEXT) | instid1(VALU_DEP_3)
	v_mul_lo_u32 v6, v5, v223
	v_mul_lo_u32 v24, v17, v210
	v_cvt_f32_i32_e32 v5, v4
	s_delay_alu instid0(VALU_DEP_4) | instskip(NEXT) | instid1(VALU_DEP_4)
	v_mul_lo_u32 v16, v16, v210
	v_cvt_f32_i32_e32 v4, v6
	s_set_vgpr_msb 4                        ;  msbs: dst=0 src0=0 src1=1 src2=0
	v_pk_fma_f32 v[6:7], v[138:139], v[10:11] /*v[266:267]*/, 0 op_sel_hi:[0,1,0]
	s_delay_alu instid0(VALU_DEP_3)
	v_cvt_f32_i32_e32 v17, v16
	s_set_vgpr_msb 1                        ;  msbs: dst=0 src0=1 src1=0 src2=0
	v_pk_fma_f32 v[4:5], v[8:9] /*v[264:265]*/, v[4:5], 0 op_sel_hi:[1,1,0]
	s_set_vgpr_msb 0                        ;  msbs: dst=0 src0=0 src1=0 src2=0
	v_cvt_f32_i32_e32 v16, v24
	v_pk_fma_f32 v[6:7], v[142:143], v[8:9], v[6:7] op_sel_hi:[0,1,1]
	s_set_vgpr_msb 1                        ;  msbs: dst=0 src0=1 src1=0 src2=0
	s_delay_alu instid0(VALU_DEP_2) | instskip(SKIP_1) | instid1(VALU_DEP_2)
	v_pk_fma_f32 v[4:5], v[12:13] /*v[268:269]*/, v[16:17], v[4:5]
	s_set_vgpr_msb 0                        ;  msbs: dst=0 src0=0 src1=0 src2=0
	v_pk_mul_f32 v[6:7], v[6:7], v[122:123]
	s_delay_alu instid0(VALU_DEP_1) | instskip(NEXT) | instid1(VALU_DEP_1)
	v_pk_fma_f32 v[4:5], v[4:5], v[114:115], v[6:7] neg_lo:[0,0,1] neg_hi:[0,0,1]
	v_pk_add_f32 v[46:47], v[46:47], v[4:5]
	s_set_vgpr_msb 1                        ;  msbs: dst=0 src0=1 src1=0 src2=0
	v_mul_i32_i24_e32 v4, v22 /*v278*/, v207
	v_mul_i32_i24_e32 v5, v24 /*v280*/, v217
	s_delay_alu instid0(VALU_DEP_2) | instskip(SKIP_1) | instid1(VALU_DEP_2)
	v_dot4_i32_iu8 v4, v26 /*v282*/, v208, v4 neg_lo:[1,1,0]
	s_set_vgpr_msb 0                        ;  msbs: dst=0 src0=0 src1=0 src2=0
	v_dot4_i32_iu8 v5, v12, v218, v5 neg_lo:[1,1,0]
	s_set_vgpr_msb 1                        ;  msbs: dst=0 src0=1 src1=0 src2=0
	s_delay_alu instid0(VALU_DEP_2) | instskip(SKIP_1) | instid1(VALU_DEP_2)
	v_dot4_i32_iu8 v4, v27 /*v283*/, v211, v4 neg_lo:[1,1,0]
	s_set_vgpr_msb 0                        ;  msbs: dst=0 src0=0 src1=0 src2=0
	v_dot4_i32_iu8 v5, v20, v0, v5 neg_lo:[1,1,0]
	s_set_vgpr_msb 1                        ;  msbs: dst=0 src0=1 src1=0 src2=0
	;; [unrolled: 5-line block ×5, first 2 shown]
	s_delay_alu instid0(VALU_DEP_2) | instskip(NEXT) | instid1(VALU_DEP_2)
	v_mad_i32_i24 v4, v209, v23 /*v279*/, v4
	v_mad_i32_i24 v5, v216, v25 /*v281*/, v5
	s_set_vgpr_msb 0                        ;  msbs: dst=0 src0=0 src1=0 src2=0
	s_delay_alu instid0(VALU_DEP_2) | instskip(NEXT) | instid1(VALU_DEP_2)
	v_dot4_i32_iu8 v4, v233, v13, v4 neg_lo:[1,1,0]
	v_dot4_i32_iu8 v5, v237, v25, v5 neg_lo:[1,1,0]
	s_delay_alu instid0(VALU_DEP_2) | instskip(NEXT) | instid1(VALU_DEP_2)
	v_dot4_i32_iu8 v4, v236, v14, v4 neg_lo:[1,1,0]
	v_dot4_i32_iu8 v12, v238, v26, v5 neg_lo:[1,1,0]
	;; [unrolled: 1-line block ×4, first 2 shown]
	s_delay_alu instid0(VALU_DEP_4) | instskip(NEXT) | instid1(VALU_DEP_4)
	v_dot4_i32_iu8 v4, v15, v239, v4 neg_lo:[1,1,0]
	v_dot4_i32_iu8 v10, v27, v219, v12 neg_lo:[1,1,0]
	s_delay_alu instid0(VALU_DEP_4) | instskip(NEXT) | instid1(VALU_DEP_4)
	v_mul_lo_u32 v6, v5, v214
	v_mul_lo_u32 v12, v11, v141
	s_delay_alu instid0(VALU_DEP_4) | instskip(NEXT) | instid1(VALU_DEP_4)
	v_mul_lo_u32 v4, v4, v214
	v_mul_lo_u32 v10, v10, v141
	s_delay_alu instid0(VALU_DEP_2) | instskip(SKIP_3) | instid1(VALU_DEP_4)
	v_cvt_f32_i32_e32 v5, v4
	v_cvt_f32_i32_e32 v4, v6
	s_set_vgpr_msb 4                        ;  msbs: dst=0 src0=0 src1=1 src2=0
	v_pk_fma_f32 v[6:7], v[128:129], v[10:11] /*v[266:267]*/, 0 op_sel_hi:[0,1,0]
	v_cvt_f32_i32_e32 v11, v10
	v_cvt_f32_i32_e32 v10, v12
	s_set_vgpr_msb 1                        ;  msbs: dst=0 src0=1 src1=0 src2=0
	v_pk_fma_f32 v[4:5], v[8:9] /*v[264:265]*/, v[4:5], 0 op_sel_hi:[1,1,0]
	s_set_vgpr_msb 0                        ;  msbs: dst=0 src0=0 src1=0 src2=0
	v_pk_fma_f32 v[6:7], v[126:127], v[8:9], v[6:7] op_sel_hi:[0,1,1]
	s_set_vgpr_msb 1                        ;  msbs: dst=0 src0=1 src1=0 src2=0
	s_delay_alu instid0(VALU_DEP_2) | instskip(SKIP_1) | instid1(VALU_DEP_2)
	v_pk_fma_f32 v[4:5], v[12:13] /*v[268:269]*/, v[10:11], v[4:5]
	s_set_vgpr_msb 0                        ;  msbs: dst=0 src0=0 src1=0 src2=0
	v_pk_mul_f32 v[6:7], v[6:7], v[124:125]
	s_delay_alu instid0(VALU_DEP_1) | instskip(NEXT) | instid1(VALU_DEP_1)
	v_pk_fma_f32 v[4:5], v[4:5], v[116:117], v[6:7] neg_lo:[0,0,1] neg_hi:[0,0,1]
	v_pk_add_f32 v[44:45], v[44:45], v[4:5]
	v_or_b32_e32 v4, s13, v163
	s_delay_alu instid0(VALU_DEP_1)
	v_lshlrev_b32_e32 v16, 2, v4
	s_set_vgpr_msb 64                       ;  msbs: dst=1 src0=0 src1=0 src2=0
	v_lshrrev_b32_e32 v7 /*v263*/, 1, v4
	s_set_vgpr_msb 0                        ;  msbs: dst=0 src0=0 src1=0 src2=0
	ds_load_b128 v[4:7], v16 offset:33280
	ds_load_b128 v[8:11], v16 offset:33296
	;; [unrolled: 1-line block ×4, first 2 shown]
	s_wait_dscnt 0x3
	v_bfe_i32 v20, v4, 0, 8
	v_perm_b32 v25, v4, v4, 0xc0c0201
	v_perm_b32 v26, v5, v4, 0x6050403
	;; [unrolled: 1-line block ×3, first 2 shown]
	s_set_vgpr_msb 64                       ;  msbs: dst=1 src0=0 src1=0 src2=0
	v_perm_b32 v8 /*v264*/, v7, v6, 0x6050403
	s_set_vgpr_msb 0                        ;  msbs: dst=0 src0=0 src1=0 src2=0
	v_mul_i32_i24_e32 v24, v20, v250
	s_wait_dscnt 0x2
	s_set_vgpr_msb 64                       ;  msbs: dst=1 src0=0 src1=0 src2=0
	v_perm_b32 v9 /*v265*/, v8, v7, 0x6050403
	s_set_vgpr_msb 0                        ;  msbs: dst=0 src0=0 src1=0 src2=0
	v_ashrrev_i32_e32 v21, 24, v8
	v_dot4_i32_iu8 v4, v4, v148, 0 neg_lo:[1,1,0]
	s_wait_dscnt 0x1
	v_bfe_i32 v22, v12, 0, 8
	v_dot4_i32_iu8 v24, v25, v251, v24 neg_lo:[1,1,0]
	s_wait_dscnt 0x0
	v_ashrrev_i32_e32 v23, 24, v16
	v_dot4_i32_iu8 v4, v5, v149, v4 neg_lo:[1,1,0]
	v_perm_b32 v5, v12, v12, 0xc0c0201
	v_dot4_i32_iu8 v24, v26, v252, v24 neg_lo:[1,1,0]
	s_delay_alu instid0(VALU_DEP_3) | instskip(SKIP_1) | instid1(VALU_DEP_3)
	v_dot4_i32_iu8 v4, v6, v146, v4 neg_lo:[1,1,0]
	v_perm_b32 v6, v13, v12, 0x6050403
	v_dot4_i32_iu8 v24, v27, v253, v24 neg_lo:[1,1,0]
	s_delay_alu instid0(VALU_DEP_3) | instskip(SKIP_2) | instid1(VALU_DEP_3)
	v_dot4_i32_iu8 v4, v7, v147, v4 neg_lo:[1,1,0]
	v_perm_b32 v7, v14, v13, 0x6050403
	s_set_vgpr_msb 1                        ;  msbs: dst=0 src0=1 src1=0 src2=0
	v_dot4_i32_iu8 v24, v8 /*v264*/, v254, v24 neg_lo:[1,1,0]
	s_set_vgpr_msb 0                        ;  msbs: dst=0 src0=0 src1=0 src2=0
	v_dot4_i32_iu8 v4, v8, v144, v4 neg_lo:[1,1,0]
	v_perm_b32 v8, v15, v14, 0x6050403
	s_set_vgpr_msb 1                        ;  msbs: dst=0 src0=1 src1=0 src2=0
	v_dot4_i32_iu8 v24, v9 /*v265*/, v255, v24 neg_lo:[1,1,0]
	s_set_vgpr_msb 0                        ;  msbs: dst=0 src0=0 src1=0 src2=0
	v_dot4_i32_iu8 v4, v9, v145, v4 neg_lo:[1,1,0]
	s_delay_alu instid0(VALU_DEP_2) | instskip(SKIP_1) | instid1(VALU_DEP_2)
	v_mad_i32_i24 v24, v249, v21, v24
	s_set_vgpr_msb 64                       ;  msbs: dst=1 src0=0 src1=0 src2=0
	v_dot4_i32_iu8 v20 /*v276*/, v10, v132, v4 neg_lo:[1,1,0]
	s_set_vgpr_msb 0                        ;  msbs: dst=0 src0=0 src1=0 src2=0
	v_mul_i32_i24_e32 v4, v22, v240
	s_set_vgpr_msb 1                        ;  msbs: dst=0 src0=1 src1=0 src2=0
	v_dot4_i32_iu8 v24, v5 /*v261*/, v9, v24 neg_lo:[1,1,0]
	s_set_vgpr_msb 0                        ;  msbs: dst=0 src0=0 src1=0 src2=0
	s_delay_alu instid0(VALU_DEP_2) | instskip(SKIP_1) | instid1(VALU_DEP_2)
	v_dot4_i32_iu8 v4, v5, v232, v4 neg_lo:[1,1,0]
	s_set_vgpr_msb 0x41                     ;  msbs: dst=1 src0=1 src1=0 src2=0
	v_dot4_i32_iu8 v14 /*v270*/, v6 /*v262*/, v10, v24 neg_lo:[1,1,0]
	s_set_vgpr_msb 0                        ;  msbs: dst=0 src0=0 src1=0 src2=0
	v_dot4_i32_iu8 v24, v152, v12, 0 neg_lo:[1,1,0]
	v_dot4_i32_iu8 v4, v6, v234, v4 neg_lo:[1,1,0]
	s_delay_alu instid0(VALU_DEP_2) | instskip(NEXT) | instid1(VALU_DEP_2)
	v_dot4_i32_iu8 v24, v153, v13, v24 neg_lo:[1,1,0]
	v_dot4_i32_iu8 v4, v7, v235, v4 neg_lo:[1,1,0]
	s_delay_alu instid0(VALU_DEP_2) | instskip(NEXT) | instid1(VALU_DEP_2)
	v_dot4_i32_iu8 v24, v154, v14, v24 neg_lo:[1,1,0]
	v_dot4_i32_iu8 v4, v8, v230, v4 neg_lo:[1,1,0]
	s_delay_alu instid0(VALU_DEP_2) | instskip(NEXT) | instid1(VALU_DEP_1)
	v_dot4_i32_iu8 v24, v155, v15, v24 neg_lo:[1,1,0]
	v_dot4_i32_iu8 v24, v156, v16, v24 neg_lo:[1,1,0]
	s_delay_alu instid0(VALU_DEP_1) | instskip(SKIP_1) | instid1(VALU_DEP_1)
	v_dot4_i32_iu8 v24, v157, v17, v24 neg_lo:[1,1,0]
	s_set_vgpr_msb 64                       ;  msbs: dst=1 src0=0 src1=0 src2=0
	v_dot4_i32_iu8 v16 /*v272*/, v134, v18, v24 neg_lo:[1,1,0]
	s_set_vgpr_msb 0                        ;  msbs: dst=0 src0=0 src1=0 src2=0
	v_mul_i32_i24_e32 v24, v20, v220
	s_set_vgpr_msb 0x50                     ;  msbs: dst=1 src0=0 src1=0 src2=1
	s_delay_alu instid0(VALU_DEP_2) | instskip(SKIP_1) | instid1(VALU_DEP_2)
	v_dot4_i32_iu8 v16 /*v272*/, v19, v135, v16 /*v272*/ neg_lo:[1,1,0]
	s_set_vgpr_msb 0                        ;  msbs: dst=0 src0=0 src1=0 src2=0
	v_dot4_i32_iu8 v24, v25, v221, v24 neg_lo:[1,1,0]
	s_set_vgpr_msb 0x41                     ;  msbs: dst=1 src0=1 src1=0 src2=0
	s_delay_alu instid0(VALU_DEP_2) | instskip(SKIP_1) | instid1(VALU_DEP_2)
	v_mul_lo_u32 v16 /*v272*/, v16 /*v272*/, v151
	s_set_vgpr_msb 0                        ;  msbs: dst=0 src0=0 src1=0 src2=0
	v_dot4_i32_iu8 v24, v26, v224, v24 neg_lo:[1,1,0]
	s_delay_alu instid0(VALU_DEP_1) | instskip(SKIP_1) | instid1(VALU_DEP_1)
	v_dot4_i32_iu8 v24, v27, v225, v24 neg_lo:[1,1,0]
	s_set_vgpr_msb 1                        ;  msbs: dst=0 src0=1 src1=0 src2=0
	v_dot4_i32_iu8 v24, v8 /*v264*/, v226, v24 neg_lo:[1,1,0]
	s_set_vgpr_msb 0x41                     ;  msbs: dst=1 src0=1 src1=0 src2=0
	s_delay_alu instid0(VALU_DEP_4) | instskip(SKIP_1) | instid1(VALU_DEP_2)
	v_cvt_f32_i32_e32 v16 /*v272*/, v16 /*v272*/
	s_set_vgpr_msb 1                        ;  msbs: dst=0 src0=1 src1=0 src2=0
	v_dot4_i32_iu8 v24, v9 /*v265*/, v227, v24 neg_lo:[1,1,0]
	s_set_vgpr_msb 0                        ;  msbs: dst=0 src0=0 src1=0 src2=0
	s_delay_alu instid0(VALU_DEP_1) | instskip(SKIP_1) | instid1(VALU_DEP_1)
	v_mad_i32_i24 v24, v222, v21, v24
	s_set_vgpr_msb 1                        ;  msbs: dst=0 src0=1 src1=0 src2=0
	v_dot4_i32_iu8 v24, v3 /*v259*/, v9, v24 neg_lo:[1,1,0]
	s_set_vgpr_msb 0x41                     ;  msbs: dst=1 src0=1 src1=0 src2=0
	s_delay_alu instid0(VALU_DEP_1) | instskip(SKIP_3) | instid1(VALU_DEP_2)
	v_dot4_i32_iu8 v18 /*v274*/, v4 /*v260*/, v10, v24 neg_lo:[1,1,0]
	s_set_vgpr_msb 0                        ;  msbs: dst=0 src0=0 src1=0 src2=0
	v_dot4_i32_iu8 v24, v12, v205, 0 neg_lo:[1,1,0]
	v_perm_b32 v12, v16, v15, 0x6050403
	v_dot4_i32_iu8 v24, v13, v206, v24 neg_lo:[1,1,0]
	s_delay_alu instid0(VALU_DEP_2) | instskip(NEXT) | instid1(VALU_DEP_2)
	v_dot4_i32_iu8 v4, v12, v229, v4 neg_lo:[1,1,0]
	v_dot4_i32_iu8 v24, v14, v242, v24 neg_lo:[1,1,0]
	s_delay_alu instid0(VALU_DEP_2) | instskip(NEXT) | instid1(VALU_DEP_2)
	v_mad_i32_i24 v4, v228, v23, v4
	v_dot4_i32_iu8 v24, v15, v243, v24 neg_lo:[1,1,0]
	s_delay_alu instid0(VALU_DEP_2) | instskip(NEXT) | instid1(VALU_DEP_2)
	v_dot4_i32_iu8 v4, v247, v17, v4 neg_lo:[1,1,0]
	v_dot4_i32_iu8 v24, v16, v244, v24 neg_lo:[1,1,0]
	s_set_vgpr_msb 64                       ;  msbs: dst=1 src0=0 src1=0 src2=0
	s_delay_alu instid0(VALU_DEP_2) | instskip(SKIP_3) | instid1(VALU_DEP_2)
	v_dot4_i32_iu8 v21 /*v277*/, v248, v18, v4 neg_lo:[1,1,0]
	s_set_vgpr_msb 0                        ;  msbs: dst=0 src0=0 src1=0 src2=0
	v_mul_i32_i24_e32 v4, v20, v207
	v_dot4_i32_iu8 v24, v17, v245, v24 neg_lo:[1,1,0]
	v_dot4_i32_iu8 v4, v25, v208, v4 neg_lo:[1,1,0]
	s_set_vgpr_msb 64                       ;  msbs: dst=1 src0=0 src1=0 src2=0
	s_delay_alu instid0(VALU_DEP_2) | instskip(SKIP_1) | instid1(VALU_DEP_2)
	v_dot4_i32_iu8 v19 /*v275*/, v18, v246, v24 neg_lo:[1,1,0]
	s_set_vgpr_msb 0                        ;  msbs: dst=0 src0=0 src1=0 src2=0
	v_dot4_i32_iu8 v4, v26, v211, v4 neg_lo:[1,1,0]
	s_delay_alu instid0(VALU_DEP_1) | instskip(SKIP_1) | instid1(VALU_DEP_1)
	v_dot4_i32_iu8 v4, v27, v212, v4 neg_lo:[1,1,0]
	s_set_vgpr_msb 1                        ;  msbs: dst=0 src0=1 src1=0 src2=0
	v_dot4_i32_iu8 v4, v8 /*v264*/, v213, v4 neg_lo:[1,1,0]
	s_delay_alu instid0(VALU_DEP_1) | instskip(SKIP_1) | instid1(VALU_DEP_1)
	v_dot4_i32_iu8 v4, v9 /*v265*/, v215, v4 neg_lo:[1,1,0]
	s_set_vgpr_msb 0                        ;  msbs: dst=0 src0=0 src1=0 src2=0
	v_mad_i32_i24 v4, v209, v21, v4
	s_delay_alu instid0(VALU_DEP_1) | instskip(NEXT) | instid1(VALU_DEP_1)
	v_dot4_i32_iu8 v4, v233, v9, v4 neg_lo:[1,1,0]
	v_dot4_i32_iu8 v10, v236, v10, v4 neg_lo:[1,1,0]
	v_mul_i32_i24_e32 v4, v22, v217
	s_delay_alu instid0(VALU_DEP_1) | instskip(NEXT) | instid1(VALU_DEP_1)
	v_dot4_i32_iu8 v4, v5, v218, v4 neg_lo:[1,1,0]
	v_dot4_i32_iu8 v4, v6, v0, v4 neg_lo:[1,1,0]
	s_delay_alu instid0(VALU_DEP_1) | instskip(NEXT) | instid1(VALU_DEP_1)
	v_dot4_i32_iu8 v4, v7, v1, v4 neg_lo:[1,1,0]
	v_dot4_i32_iu8 v4, v8, v2, v4 neg_lo:[1,1,0]
	s_delay_alu instid0(VALU_DEP_1) | instskip(NEXT) | instid1(VALU_DEP_1)
	v_dot4_i32_iu8 v4, v12, v3, v4 neg_lo:[1,1,0]
	v_mad_i32_i24 v4, v216, v23, v4
	s_delay_alu instid0(VALU_DEP_1) | instskip(NEXT) | instid1(VALU_DEP_1)
	v_dot4_i32_iu8 v4, v237, v17, v4 neg_lo:[1,1,0]
	v_dot4_i32_iu8 v18, v238, v18, v4 neg_lo:[1,1,0]
	v_or_b32_e32 v4, s13, v164
	s_delay_alu instid0(VALU_DEP_1)
	v_dual_lshlrev_b32 v8, 2, v4 :: v_dual_lshrrev_b32 v16, 1, v4
	ds_load_b128 v[4:7], v8 offset:33280
	ds_load_b128 v[12:15], v8 offset:33296
	;; [unrolled: 1-line block ×4, first 2 shown]
	ds_load_b64 v[16:17], v16 offset:43584
	s_wait_dscnt 0x4
	s_set_vgpr_msb 64                       ;  msbs: dst=1 src0=0 src1=0 src2=0
	v_bfe_i32 v22 /*v278*/, v4, 0, 8
	v_perm_b32 v26 /*v282*/, v4, v4, 0xc0c0201
	v_perm_b32 v27 /*v283*/, v5, v4, 0x6050403
	;; [unrolled: 1-line block ×4, first 2 shown]
	s_set_vgpr_msb 1                        ;  msbs: dst=0 src0=1 src1=0 src2=0
	v_mul_i32_i24_e32 v8, v22 /*v278*/, v250
	s_wait_dscnt 0x3
	s_set_vgpr_msb 64                       ;  msbs: dst=1 src0=0 src1=0 src2=0
	v_perm_b32 v30 /*v286*/, v12, v7, 0x6050403
	v_ashrrev_i32_e32 v23 /*v279*/, 24, v12
	s_wait_dscnt 0x0
	v_cvt_f32_f16_e64 v9 /*v265*/, v16
	v_cvt_f32_f16_e64 v13 /*v269*/, v17
	s_set_vgpr_msb 1                        ;  msbs: dst=0 src0=1 src1=0 src2=0
	v_dot4_i32_iu8 v8, v26 /*v282*/, v251, v8 neg_lo:[1,1,0]
	s_set_vgpr_msb 0                        ;  msbs: dst=0 src0=0 src1=0 src2=0
	v_dot4_i32_iu8 v4, v4, v148, 0 neg_lo:[1,1,0]
	s_set_vgpr_msb 64                       ;  msbs: dst=1 src0=0 src1=0 src2=0
	v_bfe_i32 v24 /*v280*/, v20, 0, 8
	v_ashrrev_i32_e32 v25 /*v281*/, 24, v24
	s_set_vgpr_msb 1                        ;  msbs: dst=0 src0=1 src1=0 src2=0
	v_dot4_i32_iu8 v8, v27 /*v283*/, v252, v8 neg_lo:[1,1,0]
	s_set_vgpr_msb 0                        ;  msbs: dst=0 src0=0 src1=0 src2=0
	v_dot4_i32_iu8 v4, v5, v149, v4 neg_lo:[1,1,0]
	s_set_vgpr_msb 1                        ;  msbs: dst=0 src0=1 src1=0 src2=0
	v_mul_i32_i24_e32 v5, v24 /*v280*/, v240
	v_dot4_i32_iu8 v8, v28 /*v284*/, v253, v8 neg_lo:[1,1,0]
	s_set_vgpr_msb 0                        ;  msbs: dst=0 src0=0 src1=0 src2=0
	v_dot4_i32_iu8 v4, v6, v146, v4 neg_lo:[1,1,0]
	s_set_vgpr_msb 1                        ;  msbs: dst=0 src0=1 src1=0 src2=0
	s_delay_alu instid0(VALU_DEP_2) | instskip(SKIP_1) | instid1(VALU_DEP_2)
	v_dot4_i32_iu8 v8, v29 /*v285*/, v254, v8 neg_lo:[1,1,0]
	s_set_vgpr_msb 0                        ;  msbs: dst=0 src0=0 src1=0 src2=0
	v_dot4_i32_iu8 v4, v7, v147, v4 neg_lo:[1,1,0]
	s_set_vgpr_msb 1                        ;  msbs: dst=0 src0=1 src1=0 src2=0
	s_delay_alu instid0(VALU_DEP_2) | instskip(SKIP_1) | instid1(VALU_DEP_2)
	v_dot4_i32_iu8 v8, v30 /*v286*/, v255, v8 neg_lo:[1,1,0]
	s_set_vgpr_msb 0                        ;  msbs: dst=0 src0=0 src1=0 src2=0
	v_dot4_i32_iu8 v4, v12, v144, v4 neg_lo:[1,1,0]
	v_perm_b32 v12, v20, v20, 0xc0c0201
	s_set_vgpr_msb 4                        ;  msbs: dst=0 src0=0 src1=1 src2=0
	v_mad_i32_i24 v8, v249, v23 /*v279*/, v8
	s_set_vgpr_msb 0                        ;  msbs: dst=0 src0=0 src1=0 src2=0
	v_dot4_i32_iu8 v4, v13, v145, v4 neg_lo:[1,1,0]
	v_dot4_i32_iu8 v5, v12, v232, v5 neg_lo:[1,1,0]
	s_set_vgpr_msb 1                        ;  msbs: dst=0 src0=1 src1=0 src2=0
	v_dot4_i32_iu8 v8, v5 /*v261*/, v13, v8 neg_lo:[1,1,0]
	s_set_vgpr_msb 0                        ;  msbs: dst=0 src0=0 src1=0 src2=0
	v_dot4_i32_iu8 v4, v14, v132, v4 neg_lo:[1,1,0]
	s_set_vgpr_msb 0x41                     ;  msbs: dst=1 src0=1 src1=0 src2=0
	s_delay_alu instid0(VALU_DEP_2) | instskip(SKIP_3) | instid1(VALU_DEP_2)
	v_dot4_i32_iu8 v15 /*v271*/, v6 /*v262*/, v14, v8 neg_lo:[1,1,0]
	s_set_vgpr_msb 0                        ;  msbs: dst=0 src0=0 src1=0 src2=0
	v_dot4_i32_iu8 v8, v152, v20, 0 neg_lo:[1,1,0]
	v_dot4_i32_iu8 v4, v15, v133, v4 neg_lo:[1,1,0]
	;; [unrolled: 1-line block ×3, first 2 shown]
	s_delay_alu instid0(VALU_DEP_2) | instskip(NEXT) | instid1(VALU_DEP_2)
	v_mul_lo_u32 v4, v4, v223
	v_dot4_i32_iu8 v8, v154, v22, v8 neg_lo:[1,1,0]
	s_delay_alu instid0(VALU_DEP_1) | instskip(NEXT) | instid1(VALU_DEP_1)
	v_dot4_i32_iu8 v8, v155, v23, v8 neg_lo:[1,1,0]
	v_dot4_i32_iu8 v8, v156, v24, v8 neg_lo:[1,1,0]
	s_delay_alu instid0(VALU_DEP_1) | instskip(SKIP_1) | instid1(VALU_DEP_1)
	v_dot4_i32_iu8 v8, v157, v25, v8 neg_lo:[1,1,0]
	s_set_vgpr_msb 64                       ;  msbs: dst=1 src0=0 src1=0 src2=0
	v_dot4_i32_iu8 v17 /*v273*/, v134, v26, v8 neg_lo:[1,1,0]
	s_set_vgpr_msb 1                        ;  msbs: dst=0 src0=1 src1=0 src2=0
	ds_load_b64 v[8:9], v7 /*v263*/ offset:43584
	s_wait_dscnt 0x0
	s_set_vgpr_msb 64                       ;  msbs: dst=1 src0=0 src1=0 src2=0
	v_lshrrev_b32_e32 v7 /*v263*/, 16, v8
	v_cvt_f32_f16_e64 v8 /*v264*/, v8
	s_set_vgpr_msb 0                        ;  msbs: dst=0 src0=0 src1=0 src2=0
	v_lshrrev_b32_e32 v8, 16, v16
	s_set_vgpr_msb 64                       ;  msbs: dst=1 src0=0 src1=0 src2=0
	v_cvt_f32_f16_e64 v12 /*v268*/, v9
	s_set_vgpr_msb 20                       ;  msbs: dst=0 src0=0 src1=1 src2=1
	v_dot4_i32_iu8 v16, v15, v0 /*v256*/, v15 /*v271*/ neg_lo:[1,1,0]
	s_set_vgpr_msb 0x41                     ;  msbs: dst=1 src0=1 src1=0 src2=0
	v_cvt_f32_f16_e64 v10 /*v266*/, v7 /*v263*/
	s_set_vgpr_msb 64                       ;  msbs: dst=1 src0=0 src1=0 src2=0
	v_cvt_f32_f16_e64 v11 /*v267*/, v8
	s_set_vgpr_msb 0                        ;  msbs: dst=0 src0=0 src1=0 src2=0
	v_lshrrev_b32_e32 v8, 16, v9
	v_lshrrev_b32_e32 v9, 16, v17
	s_set_vgpr_msb 20                       ;  msbs: dst=0 src0=0 src1=1 src2=1
	v_dot4_i32_iu8 v17, v11, v0 /*v256*/, v14 /*v270*/ neg_lo:[1,1,0]
	s_set_vgpr_msb 0                        ;  msbs: dst=0 src0=0 src1=0 src2=0
	v_mul_lo_u32 v16, v16, v203
	s_set_vgpr_msb 0x44                     ;  msbs: dst=1 src0=0 src1=1 src2=0
	v_pk_fma_f32 v[14:15] /*v[270:271]*/, v[136:137], v[10:11] /*v[266:267]*/, 0 op_sel_hi:[0,1,0]
	s_set_vgpr_msb 0                        ;  msbs: dst=0 src0=0 src1=0 src2=0
	v_cvt_f32_f16_e32 v8, v8
	v_cvt_f32_f16_e32 v9, v9
	s_set_vgpr_msb 0x50                     ;  msbs: dst=1 src0=0 src1=0 src2=1
	v_mul_lo_u32 v7 /*v263*/, v17, v203
	s_delay_alu instid0(VALU_DEP_2) | instskip(SKIP_3) | instid1(VALU_DEP_2)
	v_pk_fma_f32 v[14:15] /*v[270:271]*/, v[130:131], v[8:9], v[14:15] /*v[270:271]*/ op_sel_hi:[0,1,1]
	s_set_vgpr_msb 0                        ;  msbs: dst=0 src0=0 src1=0 src2=0
	v_cvt_f32_i32_e32 v17, v16
	s_set_vgpr_msb 0x41                     ;  msbs: dst=1 src0=1 src1=0 src2=0
	v_pk_mul_f32 v[14:15] /*v[270:271]*/, v[14:15] /*v[270:271]*/, v[118:119]
	s_set_vgpr_msb 1                        ;  msbs: dst=0 src0=1 src1=0 src2=0
	s_delay_alu instid0(VALU_DEP_4) | instskip(SKIP_3) | instid1(VALU_DEP_2)
	v_cvt_f32_i32_e32 v16, v7 /*v263*/
	s_set_vgpr_msb 0x50                     ;  msbs: dst=1 src0=0 src1=0 src2=1
	v_dot4_i32_iu8 v7 /*v263*/, v27, v135, v17 /*v273*/ neg_lo:[1,1,0]
	s_set_vgpr_msb 1                        ;  msbs: dst=0 src0=1 src1=0 src2=0
	v_pk_fma_f32 v[16:17], v[8:9] /*v[264:265]*/, v[16:17], 0 op_sel_hi:[1,1,0]
	s_set_vgpr_msb 0x41                     ;  msbs: dst=1 src0=1 src1=0 src2=0
	s_delay_alu instid0(VALU_DEP_2) | instskip(NEXT) | instid1(VALU_DEP_1)
	v_mul_lo_u32 v7 /*v263*/, v7 /*v263*/, v151
	v_cvt_f32_i32_e32 v17 /*v273*/, v7 /*v263*/
	s_set_vgpr_msb 5                        ;  msbs: dst=0 src0=1 src1=1 src2=0
	s_delay_alu instid0(VALU_DEP_1) | instskip(SKIP_3) | instid1(VALU_DEP_2)
	v_pk_fma_f32 v[16:17], v[12:13] /*v[268:269]*/, v[16:17] /*v[272:273]*/, v[16:17]
	s_set_vgpr_msb 0x54                     ;  msbs: dst=1 src0=0 src1=1 src2=1
	v_dot4_i32_iu8 v16 /*v272*/, v19, v2 /*v258*/, v19 /*v275*/ neg_lo:[1,1,0]
	s_set_vgpr_msb 16                       ;  msbs: dst=0 src0=0 src1=0 src2=1
	v_pk_fma_f32 v[16:17], v[16:17], v[110:111], v[14:15] /*v[270:271]*/ neg_lo:[0,0,1] neg_hi:[0,0,1]
	s_set_vgpr_msb 0x41                     ;  msbs: dst=1 src0=1 src1=0 src2=0
	s_delay_alu instid0(VALU_DEP_2) | instskip(SKIP_1) | instid1(VALU_DEP_2)
	v_mul_lo_u32 v16 /*v272*/, v16 /*v272*/, v241
	s_set_vgpr_msb 0                        ;  msbs: dst=0 src0=0 src1=0 src2=0
	v_pk_add_f32 v[42:43], v[42:43], v[16:17]
	s_set_vgpr_msb 1                        ;  msbs: dst=0 src0=1 src1=0 src2=0
	v_mul_i32_i24_e32 v16, v22 /*v278*/, v220
	s_set_vgpr_msb 0                        ;  msbs: dst=0 src0=0 src1=0 src2=0
	v_dot4_i32_iu8 v17, v20, v205, 0 neg_lo:[1,1,0]
	v_perm_b32 v20, v21, v20, 0x6050403
	s_set_vgpr_msb 1                        ;  msbs: dst=0 src0=1 src1=0 src2=0
	v_dot4_i32_iu8 v16, v26 /*v282*/, v221, v16 neg_lo:[1,1,0]
	s_set_vgpr_msb 0                        ;  msbs: dst=0 src0=0 src1=0 src2=0
	v_dot4_i32_iu8 v17, v21, v206, v17 neg_lo:[1,1,0]
	v_dot4_i32_iu8 v5, v20, v234, v5 neg_lo:[1,1,0]
	v_perm_b32 v21, v22, v21, 0x6050403
	s_set_vgpr_msb 0x41                     ;  msbs: dst=1 src0=1 src1=0 src2=0
	v_cvt_f32_i32_e32 v16 /*v272*/, v16 /*v272*/
	s_set_vgpr_msb 1                        ;  msbs: dst=0 src0=1 src1=0 src2=0
	v_dot4_i32_iu8 v16, v27 /*v283*/, v224, v16 neg_lo:[1,1,0]
	s_set_vgpr_msb 0                        ;  msbs: dst=0 src0=0 src1=0 src2=0
	v_dot4_i32_iu8 v17, v22, v242, v17 neg_lo:[1,1,0]
	v_perm_b32 v22, v23, v22, 0x6050403
	v_dot4_i32_iu8 v5, v21, v235, v5 neg_lo:[1,1,0]
	s_set_vgpr_msb 1                        ;  msbs: dst=0 src0=1 src1=0 src2=0
	v_dot4_i32_iu8 v16, v28 /*v284*/, v225, v16 neg_lo:[1,1,0]
	s_set_vgpr_msb 0                        ;  msbs: dst=0 src0=0 src1=0 src2=0
	v_dot4_i32_iu8 v17, v23, v243, v17 neg_lo:[1,1,0]
	v_perm_b32 v23, v24, v23, 0x6050403
	v_dot4_i32_iu8 v5, v22, v230, v5 neg_lo:[1,1,0]
	s_set_vgpr_msb 1                        ;  msbs: dst=0 src0=1 src1=0 src2=0
	v_dot4_i32_iu8 v16, v29 /*v285*/, v226, v16 neg_lo:[1,1,0]
	s_set_vgpr_msb 0                        ;  msbs: dst=0 src0=0 src1=0 src2=0
	v_dot4_i32_iu8 v17, v24, v244, v17 neg_lo:[1,1,0]
	v_dot4_i32_iu8 v5, v23, v229, v5 neg_lo:[1,1,0]
	s_set_vgpr_msb 1                        ;  msbs: dst=0 src0=1 src1=0 src2=0
	v_dot4_i32_iu8 v16, v30 /*v286*/, v227, v16 neg_lo:[1,1,0]
	s_set_vgpr_msb 0                        ;  msbs: dst=0 src0=0 src1=0 src2=0
	v_dot4_i32_iu8 v17, v25, v245, v17 neg_lo:[1,1,0]
	s_set_vgpr_msb 4                        ;  msbs: dst=0 src0=0 src1=1 src2=0
	v_mad_i32_i24 v5, v228, v25 /*v281*/, v5
	v_mad_i32_i24 v16, v222, v23 /*v279*/, v16
	s_set_vgpr_msb 64                       ;  msbs: dst=1 src0=0 src1=0 src2=0
	v_dot4_i32_iu8 v7 /*v263*/, v26, v246, v17 neg_lo:[1,1,0]
	s_set_vgpr_msb 20                       ;  msbs: dst=0 src0=0 src1=1 src2=1
	v_dot4_i32_iu8 v17, v11, v1 /*v257*/, v18 /*v274*/ neg_lo:[1,1,0]
	s_set_vgpr_msb 0                        ;  msbs: dst=0 src0=0 src1=0 src2=0
	v_dot4_i32_iu8 v5, v247, v25, v5 neg_lo:[1,1,0]
	s_set_vgpr_msb 1                        ;  msbs: dst=0 src0=1 src1=0 src2=0
	v_dot4_i32_iu8 v16, v3 /*v259*/, v13, v16 neg_lo:[1,1,0]
	s_set_vgpr_msb 0x54                     ;  msbs: dst=1 src0=0 src1=1 src2=1
	v_dot4_i32_iu8 v7 /*v263*/, v27, v2 /*v258*/, v7 /*v263*/ neg_lo:[1,1,0]
	s_set_vgpr_msb 64                       ;  msbs: dst=1 src0=0 src1=0 src2=0
	v_mul_lo_u32 v14 /*v270*/, v17, v204
	s_set_vgpr_msb 1                        ;  msbs: dst=0 src0=1 src1=0 src2=0
	v_dot4_i32_iu8 v16, v4 /*v260*/, v14, v16 neg_lo:[1,1,0]
	s_set_vgpr_msb 0x41                     ;  msbs: dst=1 src0=1 src1=0 src2=0
	v_mul_lo_u32 v7 /*v263*/, v7 /*v263*/, v241
	s_set_vgpr_msb 4                        ;  msbs: dst=0 src0=0 src1=1 src2=0
	s_delay_alu instid0(VALU_DEP_2) | instskip(SKIP_1) | instid1(VALU_DEP_1)
	v_dot4_i32_iu8 v16, v15, v1 /*v257*/, v16 neg_lo:[1,1,0]
	s_set_vgpr_msb 0                        ;  msbs: dst=0 src0=0 src1=0 src2=0
	v_mul_lo_u32 v16, v16, v204
	s_set_vgpr_msb 0x41                     ;  msbs: dst=1 src0=1 src1=0 src2=0
	s_delay_alu instid0(VALU_DEP_3) | instskip(SKIP_1) | instid1(VALU_DEP_2)
	v_cvt_f32_i32_e32 v17 /*v273*/, v7 /*v263*/
	s_set_vgpr_msb 0                        ;  msbs: dst=0 src0=0 src1=0 src2=0
	v_cvt_f32_i32_e32 v17, v16
	s_set_vgpr_msb 1                        ;  msbs: dst=0 src0=1 src1=0 src2=0
	v_cvt_f32_i32_e32 v16, v14 /*v270*/
	s_set_vgpr_msb 0x44                     ;  msbs: dst=1 src0=0 src1=1 src2=0
	v_pk_fma_f32 v[14:15] /*v[270:271]*/, v[140:141], v[10:11] /*v[266:267]*/, 0 op_sel_hi:[0,1,0]
	s_set_vgpr_msb 1                        ;  msbs: dst=0 src0=1 src1=0 src2=0
	s_delay_alu instid0(VALU_DEP_2) | instskip(SKIP_1) | instid1(VALU_DEP_2)
	v_pk_fma_f32 v[16:17], v[8:9] /*v[264:265]*/, v[16:17], 0 op_sel_hi:[1,1,0]
	s_set_vgpr_msb 0x50                     ;  msbs: dst=1 src0=0 src1=0 src2=1
	v_pk_fma_f32 v[14:15] /*v[270:271]*/, v[150:151], v[8:9], v[14:15] /*v[270:271]*/ op_sel_hi:[0,1,1]
	s_set_vgpr_msb 5                        ;  msbs: dst=0 src0=1 src1=1 src2=0
	s_delay_alu instid0(VALU_DEP_2) | instskip(SKIP_1) | instid1(VALU_DEP_2)
	v_pk_fma_f32 v[16:17], v[12:13] /*v[268:269]*/, v[16:17] /*v[272:273]*/, v[16:17]
	s_set_vgpr_msb 0x41                     ;  msbs: dst=1 src0=1 src1=0 src2=0
	v_pk_mul_f32 v[14:15] /*v[270:271]*/, v[14:15] /*v[270:271]*/, v[120:121]
	s_set_vgpr_msb 16                       ;  msbs: dst=0 src0=0 src1=0 src2=1
	s_delay_alu instid0(VALU_DEP_1) | instskip(NEXT) | instid1(VALU_DEP_1)
	v_pk_fma_f32 v[16:17], v[16:17], v[112:113], v[14:15] /*v[270:271]*/ neg_lo:[0,0,1] neg_hi:[0,0,1]
	v_pk_add_f32 v[40:41], v[40:41], v[16:17]
	s_set_vgpr_msb 0                        ;  msbs: dst=0 src0=0 src1=0 src2=0
	v_dot4_i32_iu8 v16, v248, v26, v5 neg_lo:[1,1,0]
	s_set_vgpr_msb 16                       ;  msbs: dst=0 src0=0 src1=0 src2=1
	v_dot4_i32_iu8 v5, v11, v133, v20 /*v276*/ neg_lo:[1,1,0]
	v_dot4_i32_iu8 v17, v19, v231, v21 /*v277*/ neg_lo:[1,1,0]
	s_set_vgpr_msb 0                        ;  msbs: dst=0 src0=0 src1=0 src2=0
	v_dot4_i32_iu8 v16, v27, v231, v16 neg_lo:[1,1,0]
	s_delay_alu instid0(VALU_DEP_3) | instskip(NEXT) | instid1(VALU_DEP_3)
	v_mul_lo_u32 v6, v5, v223
	v_mul_lo_u32 v24, v17, v210
	v_cvt_f32_i32_e32 v5, v4
	s_delay_alu instid0(VALU_DEP_4) | instskip(NEXT) | instid1(VALU_DEP_4)
	v_mul_lo_u32 v16, v16, v210
	v_cvt_f32_i32_e32 v4, v6
	s_set_vgpr_msb 4                        ;  msbs: dst=0 src0=0 src1=1 src2=0
	v_pk_fma_f32 v[6:7], v[138:139], v[10:11] /*v[266:267]*/, 0 op_sel_hi:[0,1,0]
	s_delay_alu instid0(VALU_DEP_3)
	v_cvt_f32_i32_e32 v17, v16
	s_set_vgpr_msb 1                        ;  msbs: dst=0 src0=1 src1=0 src2=0
	v_pk_fma_f32 v[4:5], v[8:9] /*v[264:265]*/, v[4:5], 0 op_sel_hi:[1,1,0]
	s_set_vgpr_msb 0                        ;  msbs: dst=0 src0=0 src1=0 src2=0
	v_cvt_f32_i32_e32 v16, v24
	v_pk_fma_f32 v[6:7], v[142:143], v[8:9], v[6:7] op_sel_hi:[0,1,1]
	s_set_vgpr_msb 1                        ;  msbs: dst=0 src0=1 src1=0 src2=0
	s_delay_alu instid0(VALU_DEP_2) | instskip(SKIP_1) | instid1(VALU_DEP_2)
	v_pk_fma_f32 v[4:5], v[12:13] /*v[268:269]*/, v[16:17], v[4:5]
	s_set_vgpr_msb 0                        ;  msbs: dst=0 src0=0 src1=0 src2=0
	v_pk_mul_f32 v[6:7], v[6:7], v[122:123]
	s_delay_alu instid0(VALU_DEP_1) | instskip(NEXT) | instid1(VALU_DEP_1)
	v_pk_fma_f32 v[4:5], v[4:5], v[114:115], v[6:7] neg_lo:[0,0,1] neg_hi:[0,0,1]
	v_pk_add_f32 v[38:39], v[38:39], v[4:5]
	s_set_vgpr_msb 1                        ;  msbs: dst=0 src0=1 src1=0 src2=0
	v_mul_i32_i24_e32 v4, v22 /*v278*/, v207
	v_mul_i32_i24_e32 v5, v24 /*v280*/, v217
	s_delay_alu instid0(VALU_DEP_2) | instskip(SKIP_1) | instid1(VALU_DEP_2)
	v_dot4_i32_iu8 v4, v26 /*v282*/, v208, v4 neg_lo:[1,1,0]
	s_set_vgpr_msb 0                        ;  msbs: dst=0 src0=0 src1=0 src2=0
	v_dot4_i32_iu8 v5, v12, v218, v5 neg_lo:[1,1,0]
	s_set_vgpr_msb 1                        ;  msbs: dst=0 src0=1 src1=0 src2=0
	s_delay_alu instid0(VALU_DEP_2) | instskip(SKIP_1) | instid1(VALU_DEP_2)
	v_dot4_i32_iu8 v4, v27 /*v283*/, v211, v4 neg_lo:[1,1,0]
	s_set_vgpr_msb 0                        ;  msbs: dst=0 src0=0 src1=0 src2=0
	v_dot4_i32_iu8 v5, v20, v0, v5 neg_lo:[1,1,0]
	s_set_vgpr_msb 1                        ;  msbs: dst=0 src0=1 src1=0 src2=0
	;; [unrolled: 5-line block ×5, first 2 shown]
	s_delay_alu instid0(VALU_DEP_2) | instskip(NEXT) | instid1(VALU_DEP_2)
	v_mad_i32_i24 v4, v209, v23 /*v279*/, v4
	v_mad_i32_i24 v5, v216, v25 /*v281*/, v5
	s_set_vgpr_msb 0                        ;  msbs: dst=0 src0=0 src1=0 src2=0
	s_delay_alu instid0(VALU_DEP_2) | instskip(NEXT) | instid1(VALU_DEP_2)
	v_dot4_i32_iu8 v4, v233, v13, v4 neg_lo:[1,1,0]
	v_dot4_i32_iu8 v5, v237, v25, v5 neg_lo:[1,1,0]
	s_delay_alu instid0(VALU_DEP_2) | instskip(NEXT) | instid1(VALU_DEP_2)
	v_dot4_i32_iu8 v4, v236, v14, v4 neg_lo:[1,1,0]
	v_dot4_i32_iu8 v12, v238, v26, v5 neg_lo:[1,1,0]
	;; [unrolled: 1-line block ×4, first 2 shown]
	s_delay_alu instid0(VALU_DEP_4) | instskip(NEXT) | instid1(VALU_DEP_4)
	v_dot4_i32_iu8 v4, v15, v239, v4 neg_lo:[1,1,0]
	v_dot4_i32_iu8 v10, v27, v219, v12 neg_lo:[1,1,0]
	s_delay_alu instid0(VALU_DEP_4) | instskip(NEXT) | instid1(VALU_DEP_4)
	v_mul_lo_u32 v6, v5, v214
	v_mul_lo_u32 v12, v11, v141
	s_delay_alu instid0(VALU_DEP_4) | instskip(NEXT) | instid1(VALU_DEP_4)
	v_mul_lo_u32 v4, v4, v214
	v_mul_lo_u32 v10, v10, v141
	s_delay_alu instid0(VALU_DEP_2) | instskip(SKIP_3) | instid1(VALU_DEP_4)
	v_cvt_f32_i32_e32 v5, v4
	v_cvt_f32_i32_e32 v4, v6
	s_set_vgpr_msb 4                        ;  msbs: dst=0 src0=0 src1=1 src2=0
	v_pk_fma_f32 v[6:7], v[128:129], v[10:11] /*v[266:267]*/, 0 op_sel_hi:[0,1,0]
	v_cvt_f32_i32_e32 v11, v10
	v_cvt_f32_i32_e32 v10, v12
	s_set_vgpr_msb 1                        ;  msbs: dst=0 src0=1 src1=0 src2=0
	v_pk_fma_f32 v[4:5], v[8:9] /*v[264:265]*/, v[4:5], 0 op_sel_hi:[1,1,0]
	s_set_vgpr_msb 0                        ;  msbs: dst=0 src0=0 src1=0 src2=0
	v_pk_fma_f32 v[6:7], v[126:127], v[8:9], v[6:7] op_sel_hi:[0,1,1]
	s_set_vgpr_msb 1                        ;  msbs: dst=0 src0=1 src1=0 src2=0
	s_delay_alu instid0(VALU_DEP_2) | instskip(SKIP_1) | instid1(VALU_DEP_2)
	v_pk_fma_f32 v[4:5], v[12:13] /*v[268:269]*/, v[10:11], v[4:5]
	s_set_vgpr_msb 0                        ;  msbs: dst=0 src0=0 src1=0 src2=0
	v_pk_mul_f32 v[6:7], v[6:7], v[124:125]
	s_delay_alu instid0(VALU_DEP_1) | instskip(NEXT) | instid1(VALU_DEP_1)
	v_pk_fma_f32 v[4:5], v[4:5], v[116:117], v[6:7] neg_lo:[0,0,1] neg_hi:[0,0,1]
	v_pk_add_f32 v[36:37], v[36:37], v[4:5]
	v_or_b32_e32 v4, s13, v165
	s_delay_alu instid0(VALU_DEP_1)
	v_lshlrev_b32_e32 v5, 2, v4
	s_set_vgpr_msb 64                       ;  msbs: dst=1 src0=0 src1=0 src2=0
	v_lshrrev_b32_e32 v9 /*v265*/, 1, v4
	s_set_vgpr_msb 0                        ;  msbs: dst=0 src0=0 src1=0 src2=0
	ds_load_b128 v[12:15], v5 offset:33280
	ds_load_b128 v[8:11], v5 offset:33296
	;; [unrolled: 1-line block ×4, first 2 shown]
	s_wait_dscnt 0x3
	v_bfe_i32 v20, v12, 0, 8
	v_perm_b32 v25, v12, v12, 0xc0c0201
	v_perm_b32 v26, v13, v12, 0x6050403
	;; [unrolled: 1-line block ×3, first 2 shown]
	s_set_vgpr_msb 64                       ;  msbs: dst=1 src0=0 src1=0 src2=0
	v_perm_b32 v10 /*v266*/, v15, v14, 0x6050403
	s_set_vgpr_msb 0                        ;  msbs: dst=0 src0=0 src1=0 src2=0
	v_mul_i32_i24_e32 v24, v20, v250
	s_wait_dscnt 0x2
	s_set_vgpr_msb 64                       ;  msbs: dst=1 src0=0 src1=0 src2=0
	v_perm_b32 v11 /*v267*/, v8, v15, 0x6050403
	s_set_vgpr_msb 0                        ;  msbs: dst=0 src0=0 src1=0 src2=0
	v_ashrrev_i32_e32 v21, 24, v8
	v_dot4_i32_iu8 v12, v12, v148, 0 neg_lo:[1,1,0]
	s_wait_dscnt 0x1
	v_bfe_i32 v22, v16, 0, 8
	v_dot4_i32_iu8 v24, v25, v251, v24 neg_lo:[1,1,0]
	s_wait_dscnt 0x0
	v_ashrrev_i32_e32 v23, 24, v4
	v_dot4_i32_iu8 v12, v13, v149, v12 neg_lo:[1,1,0]
	v_perm_b32 v13, v17, v16, 0x6050403
	v_dot4_i32_iu8 v24, v26, v252, v24 neg_lo:[1,1,0]
	s_delay_alu instid0(VALU_DEP_3) | instskip(SKIP_1) | instid1(VALU_DEP_3)
	v_dot4_i32_iu8 v12, v14, v146, v12 neg_lo:[1,1,0]
	v_perm_b32 v14, v18, v17, 0x6050403
	v_dot4_i32_iu8 v24, v27, v253, v24 neg_lo:[1,1,0]
	s_delay_alu instid0(VALU_DEP_3) | instskip(SKIP_2) | instid1(VALU_DEP_3)
	v_dot4_i32_iu8 v12, v15, v147, v12 neg_lo:[1,1,0]
	v_perm_b32 v15, v19, v18, 0x6050403
	s_set_vgpr_msb 1                        ;  msbs: dst=0 src0=1 src1=0 src2=0
	v_dot4_i32_iu8 v24, v10 /*v266*/, v254, v24 neg_lo:[1,1,0]
	s_set_vgpr_msb 0                        ;  msbs: dst=0 src0=0 src1=0 src2=0
	v_dot4_i32_iu8 v8, v8, v144, v12 neg_lo:[1,1,0]
	v_perm_b32 v12, v16, v16, 0xc0c0201
	s_set_vgpr_msb 1                        ;  msbs: dst=0 src0=1 src1=0 src2=0
	v_dot4_i32_iu8 v24, v11 /*v267*/, v255, v24 neg_lo:[1,1,0]
	s_set_vgpr_msb 0                        ;  msbs: dst=0 src0=0 src1=0 src2=0
	v_dot4_i32_iu8 v8, v9, v145, v8 neg_lo:[1,1,0]
	s_delay_alu instid0(VALU_DEP_2) | instskip(SKIP_1) | instid1(VALU_DEP_2)
	v_mad_i32_i24 v24, v249, v21, v24
	s_set_vgpr_msb 64                       ;  msbs: dst=1 src0=0 src1=0 src2=0
	v_dot4_i32_iu8 v8 /*v264*/, v10, v132, v8 neg_lo:[1,1,0]
	s_set_vgpr_msb 0                        ;  msbs: dst=0 src0=0 src1=0 src2=0
	v_mul_i32_i24_e32 v8, v22, v240
	s_set_vgpr_msb 1                        ;  msbs: dst=0 src0=1 src1=0 src2=0
	v_dot4_i32_iu8 v24, v5 /*v261*/, v9, v24 neg_lo:[1,1,0]
	s_set_vgpr_msb 0                        ;  msbs: dst=0 src0=0 src1=0 src2=0
	s_delay_alu instid0(VALU_DEP_2) | instskip(SKIP_1) | instid1(VALU_DEP_2)
	v_dot4_i32_iu8 v8, v12, v232, v8 neg_lo:[1,1,0]
	s_set_vgpr_msb 0x41                     ;  msbs: dst=1 src0=1 src1=0 src2=0
	v_dot4_i32_iu8 v12 /*v268*/, v6 /*v262*/, v10, v24 neg_lo:[1,1,0]
	s_set_vgpr_msb 0                        ;  msbs: dst=0 src0=0 src1=0 src2=0
	v_dot4_i32_iu8 v24, v152, v16, 0 neg_lo:[1,1,0]
	v_dot4_i32_iu8 v8, v13, v234, v8 neg_lo:[1,1,0]
	s_delay_alu instid0(VALU_DEP_2) | instskip(NEXT) | instid1(VALU_DEP_2)
	v_dot4_i32_iu8 v24, v153, v17, v24 neg_lo:[1,1,0]
	v_dot4_i32_iu8 v8, v14, v235, v8 neg_lo:[1,1,0]
	s_delay_alu instid0(VALU_DEP_2) | instskip(NEXT) | instid1(VALU_DEP_2)
	v_dot4_i32_iu8 v24, v154, v18, v24 neg_lo:[1,1,0]
	v_dot4_i32_iu8 v8, v15, v230, v8 neg_lo:[1,1,0]
	s_delay_alu instid0(VALU_DEP_2) | instskip(NEXT) | instid1(VALU_DEP_1)
	v_dot4_i32_iu8 v24, v155, v19, v24 neg_lo:[1,1,0]
	v_dot4_i32_iu8 v24, v156, v4, v24 neg_lo:[1,1,0]
	s_delay_alu instid0(VALU_DEP_1) | instskip(SKIP_1) | instid1(VALU_DEP_1)
	v_dot4_i32_iu8 v24, v157, v5, v24 neg_lo:[1,1,0]
	s_set_vgpr_msb 64                       ;  msbs: dst=1 src0=0 src1=0 src2=0
	v_dot4_i32_iu8 v13 /*v269*/, v134, v6, v24 neg_lo:[1,1,0]
	s_set_vgpr_msb 0                        ;  msbs: dst=0 src0=0 src1=0 src2=0
	v_mul_i32_i24_e32 v24, v20, v220
	s_delay_alu instid0(VALU_DEP_1) | instskip(NEXT) | instid1(VALU_DEP_1)
	v_dot4_i32_iu8 v24, v25, v221, v24 neg_lo:[1,1,0]
	v_dot4_i32_iu8 v24, v26, v224, v24 neg_lo:[1,1,0]
	s_delay_alu instid0(VALU_DEP_1) | instskip(SKIP_1) | instid1(VALU_DEP_1)
	v_dot4_i32_iu8 v24, v27, v225, v24 neg_lo:[1,1,0]
	s_set_vgpr_msb 1                        ;  msbs: dst=0 src0=1 src1=0 src2=0
	v_dot4_i32_iu8 v24, v10 /*v266*/, v226, v24 neg_lo:[1,1,0]
	s_delay_alu instid0(VALU_DEP_1) | instskip(SKIP_1) | instid1(VALU_DEP_1)
	v_dot4_i32_iu8 v24, v11 /*v267*/, v227, v24 neg_lo:[1,1,0]
	s_set_vgpr_msb 0                        ;  msbs: dst=0 src0=0 src1=0 src2=0
	v_mad_i32_i24 v24, v222, v21, v24
	s_set_vgpr_msb 1                        ;  msbs: dst=0 src0=1 src1=0 src2=0
	s_delay_alu instid0(VALU_DEP_1) | instskip(SKIP_1) | instid1(VALU_DEP_1)
	v_dot4_i32_iu8 v24, v3 /*v259*/, v9, v24 neg_lo:[1,1,0]
	s_set_vgpr_msb 0x41                     ;  msbs: dst=1 src0=1 src1=0 src2=0
	v_dot4_i32_iu8 v14 /*v270*/, v4 /*v260*/, v10, v24 neg_lo:[1,1,0]
	s_set_vgpr_msb 0                        ;  msbs: dst=0 src0=0 src1=0 src2=0
	v_dot4_i32_iu8 v24, v16, v205, 0 neg_lo:[1,1,0]
	s_delay_alu instid0(VALU_DEP_1) | instskip(NEXT) | instid1(VALU_DEP_1)
	v_dot4_i32_iu8 v24, v17, v206, v24 neg_lo:[1,1,0]
	v_dot4_i32_iu8 v24, v18, v242, v24 neg_lo:[1,1,0]
	s_delay_alu instid0(VALU_DEP_1) | instskip(NEXT) | instid1(VALU_DEP_1)
	v_dot4_i32_iu8 v24, v19, v243, v24 neg_lo:[1,1,0]
	v_dot4_i32_iu8 v24, v4, v244, v24 neg_lo:[1,1,0]
	v_perm_b32 v4, v4, v19, 0x6050403
	s_delay_alu instid0(VALU_DEP_2) | instskip(NEXT) | instid1(VALU_DEP_2)
	v_dot4_i32_iu8 v24, v5, v245, v24 neg_lo:[1,1,0]
	v_dot4_i32_iu8 v8, v4, v229, v8 neg_lo:[1,1,0]
	s_set_vgpr_msb 64                       ;  msbs: dst=1 src0=0 src1=0 src2=0
	s_delay_alu instid0(VALU_DEP_2) | instskip(SKIP_1) | instid1(VALU_DEP_2)
	v_dot4_i32_iu8 v15 /*v271*/, v6, v246, v24 neg_lo:[1,1,0]
	s_set_vgpr_msb 0                        ;  msbs: dst=0 src0=0 src1=0 src2=0
	v_mad_i32_i24 v8, v228, v23, v8
	s_delay_alu instid0(VALU_DEP_1) | instskip(SKIP_1) | instid1(VALU_DEP_1)
	v_dot4_i32_iu8 v8, v247, v5, v8 neg_lo:[1,1,0]
	s_set_vgpr_msb 64                       ;  msbs: dst=1 src0=0 src1=0 src2=0
	v_dot4_i32_iu8 v7 /*v263*/, v248, v6, v8 neg_lo:[1,1,0]
	s_set_vgpr_msb 0                        ;  msbs: dst=0 src0=0 src1=0 src2=0
	v_mul_i32_i24_e32 v8, v20, v207
	s_delay_alu instid0(VALU_DEP_1) | instskip(NEXT) | instid1(VALU_DEP_1)
	v_dot4_i32_iu8 v8, v25, v208, v8 neg_lo:[1,1,0]
	v_dot4_i32_iu8 v8, v26, v211, v8 neg_lo:[1,1,0]
	s_delay_alu instid0(VALU_DEP_1) | instskip(SKIP_1) | instid1(VALU_DEP_1)
	v_dot4_i32_iu8 v8, v27, v212, v8 neg_lo:[1,1,0]
	s_set_vgpr_msb 1                        ;  msbs: dst=0 src0=1 src1=0 src2=0
	v_dot4_i32_iu8 v8, v10 /*v266*/, v213, v8 neg_lo:[1,1,0]
	s_delay_alu instid0(VALU_DEP_1) | instskip(SKIP_1) | instid1(VALU_DEP_1)
	v_dot4_i32_iu8 v8, v11 /*v267*/, v215, v8 neg_lo:[1,1,0]
	s_set_vgpr_msb 0                        ;  msbs: dst=0 src0=0 src1=0 src2=0
	v_mad_i32_i24 v8, v209, v21, v8
	s_delay_alu instid0(VALU_DEP_1) | instskip(NEXT) | instid1(VALU_DEP_1)
	v_dot4_i32_iu8 v8, v233, v9, v8 neg_lo:[1,1,0]
	v_dot4_i32_iu8 v10, v236, v10, v8 neg_lo:[1,1,0]
	v_mul_i32_i24_e32 v8, v22, v217
	s_delay_alu instid0(VALU_DEP_1) | instskip(NEXT) | instid1(VALU_DEP_1)
	v_dot4_i32_iu8 v8, v12, v218, v8 neg_lo:[1,1,0]
	v_dot4_i32_iu8 v8, v13, v0, v8 neg_lo:[1,1,0]
	s_delay_alu instid0(VALU_DEP_1) | instskip(NEXT) | instid1(VALU_DEP_1)
	v_dot4_i32_iu8 v8, v14, v1, v8 neg_lo:[1,1,0]
	v_dot4_i32_iu8 v8, v15, v2, v8 neg_lo:[1,1,0]
	s_delay_alu instid0(VALU_DEP_1) | instskip(NEXT) | instid1(VALU_DEP_1)
	v_dot4_i32_iu8 v4, v4, v3, v8 neg_lo:[1,1,0]
	v_mad_i32_i24 v4, v216, v23, v4
	s_delay_alu instid0(VALU_DEP_1) | instskip(NEXT) | instid1(VALU_DEP_1)
	v_dot4_i32_iu8 v4, v237, v5, v4 neg_lo:[1,1,0]
	v_dot4_i32_iu8 v6, v238, v6, v4 neg_lo:[1,1,0]
	v_or_b32_e32 v4, s13, v166
	s_delay_alu instid0(VALU_DEP_1)
	v_dual_lshlrev_b32 v5, 2, v4 :: v_dual_lshrrev_b32 v4, 1, v4
	ds_load_b128 v[24:27], v5 offset:33280
	ds_load_b128 v[16:19], v5 offset:33296
	;; [unrolled: 1-line block ×4, first 2 shown]
	s_set_vgpr_msb 1                        ;  msbs: dst=0 src0=1 src1=0 src2=0
	ds_load_b64 v[8:9], v9 /*v265*/ offset:43584
	s_wait_dscnt 0x4
	s_set_vgpr_msb 64                       ;  msbs: dst=1 src0=0 src1=0 src2=0
	v_bfe_i32 v10 /*v266*/, v24, 0, 8
	v_perm_b32 v18 /*v274*/, v24, v24, 0xc0c0201
	v_perm_b32 v19 /*v275*/, v25, v24, 0x6050403
	s_wait_dscnt 0x3
	v_ashrrev_i32_e32 v11 /*v267*/, 24, v16
	s_set_vgpr_msb 0                        ;  msbs: dst=0 src0=0 src1=0 src2=0
	v_dot4_i32_iu8 v24, v24, v148, 0 neg_lo:[1,1,0]
	s_set_vgpr_msb 1                        ;  msbs: dst=0 src0=1 src1=0 src2=0
	v_mul_i32_i24_e32 v5, v10 /*v266*/, v250
	s_wait_dscnt 0x2
	s_set_vgpr_msb 64                       ;  msbs: dst=1 src0=0 src1=0 src2=0
	v_bfe_i32 v16 /*v272*/, v20, 0, 8
	s_wait_dscnt 0x1
	v_ashrrev_i32_e32 v17 /*v273*/, 24, v12
	s_set_vgpr_msb 0                        ;  msbs: dst=0 src0=0 src1=0 src2=0
	v_dot4_i32_iu8 v24, v25, v149, v24 neg_lo:[1,1,0]
	s_set_vgpr_msb 1                        ;  msbs: dst=0 src0=1 src1=0 src2=0
	v_dot4_i32_iu8 v5, v18 /*v274*/, v251, v5 neg_lo:[1,1,0]
	s_set_vgpr_msb 0                        ;  msbs: dst=0 src0=0 src1=0 src2=0
	s_delay_alu instid0(VALU_DEP_2) | instskip(SKIP_1) | instid1(VALU_DEP_2)
	v_dot4_i32_iu8 v24, v26, v146, v24 neg_lo:[1,1,0]
	s_set_vgpr_msb 1                        ;  msbs: dst=0 src0=1 src1=0 src2=0
	v_dot4_i32_iu8 v5, v19 /*v275*/, v252, v5 neg_lo:[1,1,0]
	s_set_vgpr_msb 0                        ;  msbs: dst=0 src0=0 src1=0 src2=0
	v_perm_b32 v252, v26, v25, 0x6050403
	v_dot4_i32_iu8 v24, v27, v147, v24 neg_lo:[1,1,0]
	s_delay_alu instid0(VALU_DEP_2) | instskip(SKIP_2) | instid1(VALU_DEP_2)
	v_dot4_i32_iu8 v5, v252, v253, v5 neg_lo:[1,1,0]
	v_perm_b32 v253, v27, v26, 0x6050403
	v_perm_b32 v26, v20, v20, 0xc0c0201
	v_dot4_i32_iu8 v5, v253, v254, v5 neg_lo:[1,1,0]
	v_perm_b32 v254, v16, v27, 0x6050403
	v_dot4_i32_iu8 v16, v16, v144, v24 neg_lo:[1,1,0]
	s_set_vgpr_msb 1                        ;  msbs: dst=0 src0=1 src1=0 src2=0
	v_mul_i32_i24_e32 v24, v16 /*v272*/, v240
	s_set_vgpr_msb 0                        ;  msbs: dst=0 src0=0 src1=0 src2=0
	v_perm_b32 v27, v21, v20, 0x6050403
	v_dot4_i32_iu8 v5, v254, v255, v5 neg_lo:[1,1,0]
	v_dot4_i32_iu8 v16, v17, v145, v16 neg_lo:[1,1,0]
	;; [unrolled: 1-line block ×3, first 2 shown]
	s_set_vgpr_msb 4                        ;  msbs: dst=0 src0=0 src1=1 src2=0
	s_delay_alu instid0(VALU_DEP_3)
	v_mad_i32_i24 v5, v249, v11 /*v267*/, v5
	s_set_vgpr_msb 0                        ;  msbs: dst=0 src0=0 src1=0 src2=0
	v_dot4_i32_iu8 v16, v18, v132, v16 neg_lo:[1,1,0]
	v_perm_b32 v132, v23, v22, 0x6050403
	s_set_vgpr_msb 1                        ;  msbs: dst=0 src0=1 src1=0 src2=0
	v_dot4_i32_iu8 v5, v5 /*v261*/, v17, v5 neg_lo:[1,1,0]
	s_set_vgpr_msb 0                        ;  msbs: dst=0 src0=0 src1=0 src2=0
	v_dot4_i32_iu8 v16, v19, v133, v16 neg_lo:[1,1,0]
	s_set_vgpr_msb 1                        ;  msbs: dst=0 src0=1 src1=0 src2=0
	s_delay_alu instid0(VALU_DEP_2) | instskip(SKIP_3) | instid1(VALU_DEP_2)
	v_dot4_i32_iu8 v249, v6 /*v262*/, v18, v5 neg_lo:[1,1,0]
	s_set_vgpr_msb 0                        ;  msbs: dst=0 src0=0 src1=0 src2=0
	v_dot4_i32_iu8 v5, v152, v20, 0 neg_lo:[1,1,0]
	v_mul_lo_u32 v16, v16, v223
	v_dot4_i32_iu8 v5, v153, v21, v5 neg_lo:[1,1,0]
	s_delay_alu instid0(VALU_DEP_1) | instskip(NEXT) | instid1(VALU_DEP_1)
	v_dot4_i32_iu8 v5, v154, v22, v5 neg_lo:[1,1,0]
	v_dot4_i32_iu8 v5, v155, v23, v5 neg_lo:[1,1,0]
	s_delay_alu instid0(VALU_DEP_1) | instskip(NEXT) | instid1(VALU_DEP_1)
	v_dot4_i32_iu8 v5, v156, v12, v5 neg_lo:[1,1,0]
	v_dot4_i32_iu8 v5, v157, v13, v5 neg_lo:[1,1,0]
	ds_load_b64 v[156:157], v4 offset:43584
	s_wait_dscnt 0x1
	v_lshrrev_b32_e32 v152, 16, v8
	v_cvt_f32_f16_e32 v4, v8
	v_dot4_i32_iu8 v134, v134, v14, v5 neg_lo:[1,1,0]
	s_delay_alu instid0(VALU_DEP_1) | instskip(SKIP_2) | instid1(VALU_DEP_2)
	v_dot4_i32_iu8 v134, v15, v135, v134 neg_lo:[1,1,0]
	s_set_vgpr_msb 16                       ;  msbs: dst=0 src0=0 src1=0 src2=1
	v_dot4_i32_iu8 v135, v7, v135, v13 /*v269*/ neg_lo:[1,1,0]
	v_mul_lo_u32 v134, v134, v151
	s_wait_dscnt 0x0
	v_lshrrev_b32_e32 v8, 16, v156
	v_cvt_f32_f16_e64 v5, v156
	v_cvt_f32_f16_e64 v153, v157
	s_set_vgpr_msb 4                        ;  msbs: dst=0 src0=0 src1=1 src2=0
	v_dot4_i32_iu8 v156, v19, v0 /*v256*/, v249 neg_lo:[1,1,0]
	v_cvt_f32_f16_e64 v155, v8
	s_set_vgpr_msb 0                        ;  msbs: dst=0 src0=0 src1=0 src2=0
	v_lshrrev_b32_e32 v8, 16, v9
	v_cvt_f32_f16_e64 v154, v152
	v_cvt_f32_f16_e64 v152, v9
	v_lshrrev_b32_e32 v9, 16, v157
	s_set_vgpr_msb 20                       ;  msbs: dst=0 src0=0 src1=1 src2=1
	v_dot4_i32_iu8 v157, v11, v0 /*v256*/, v12 /*v268*/ neg_lo:[1,1,0]
	s_set_vgpr_msb 0                        ;  msbs: dst=0 src0=0 src1=0 src2=0
	v_mul_lo_u32 v156, v156, v203
	v_pk_fma_f32 v[250:251], v[136:137], v[154:155], 0 op_sel_hi:[0,1,0]
	v_mul_lo_u32 v136, v135, v151
	v_cvt_f32_f16_e32 v9, v9
	v_mul_lo_u32 v249, v157, v203
	v_cvt_f32_f16_e32 v8, v8
	v_cvt_f32_i32_e32 v135, v134
	v_cvt_f32_i32_e32 v157, v156
	;; [unrolled: 1-line block ×4, first 2 shown]
	s_delay_alu instid0(VALU_DEP_1) | instskip(NEXT) | instid1(VALU_DEP_1)
	v_pk_fma_f32 v[156:157], v[4:5], v[156:157], 0 op_sel_hi:[1,1,0]
	v_pk_fma_f32 v[134:135], v[152:153], v[134:135], v[156:157]
	v_pk_fma_f32 v[156:157], v[130:131], v[8:9], v[250:251] op_sel_hi:[0,1,1]
	s_set_vgpr_msb 1                        ;  msbs: dst=0 src0=1 src1=0 src2=0
	v_mul_i32_i24_e32 v130, v10 /*v266*/, v220
	s_set_vgpr_msb 0                        ;  msbs: dst=0 src0=0 src1=0 src2=0
	s_delay_alu instid0(VALU_DEP_2) | instskip(SKIP_1) | instid1(VALU_DEP_2)
	v_pk_mul_f32 v[156:157], v[156:157], v[118:119]
	s_set_vgpr_msb 1                        ;  msbs: dst=0 src0=1 src1=0 src2=0
	v_dot4_i32_iu8 v130, v18 /*v274*/, v221, v130 neg_lo:[1,1,0]
	s_set_vgpr_msb 0                        ;  msbs: dst=0 src0=0 src1=0 src2=0
	s_delay_alu instid0(VALU_DEP_2) | instskip(SKIP_1) | instid1(VALU_DEP_2)
	v_pk_fma_f32 v[134:135], v[134:135], v[110:111], v[156:157] neg_lo:[0,0,1] neg_hi:[0,0,1]
	s_set_vgpr_msb 1                        ;  msbs: dst=0 src0=1 src1=0 src2=0
	v_dot4_i32_iu8 v130, v19 /*v275*/, v224, v130 neg_lo:[1,1,0]
	s_set_vgpr_msb 0                        ;  msbs: dst=0 src0=0 src1=0 src2=0
	v_pk_fma_f32 v[156:157], v[140:141], v[154:155], 0 op_sel_hi:[0,1,0]
	v_pk_add_f32 v[34:35], v[34:35], v[134:135]
	s_delay_alu instid0(VALU_DEP_3) | instskip(SKIP_3) | instid1(VALU_DEP_4)
	v_dot4_i32_iu8 v130, v252, v225, v130 neg_lo:[1,1,0]
	v_dot4_i32_iu8 v134, v20, v205, 0 neg_lo:[1,1,0]
	;; [unrolled: 1-line block ×3, first 2 shown]
	v_pk_fma_f32 v[150:151], v[150:151], v[8:9], v[156:157] op_sel_hi:[0,1,1]
	v_dot4_i32_iu8 v130, v253, v226, v130 neg_lo:[1,1,0]
	s_delay_alu instid0(VALU_DEP_4) | instskip(NEXT) | instid1(VALU_DEP_3)
	v_dot4_i32_iu8 v134, v21, v206, v134 neg_lo:[1,1,0]
	v_pk_mul_f32 v[150:151], v[150:151], v[120:121]
	s_delay_alu instid0(VALU_DEP_3) | instskip(NEXT) | instid1(VALU_DEP_3)
	v_dot4_i32_iu8 v130, v254, v227, v130 neg_lo:[1,1,0]
	v_dot4_i32_iu8 v134, v22, v242, v134 neg_lo:[1,1,0]
	s_set_vgpr_msb 4                        ;  msbs: dst=0 src0=0 src1=1 src2=0
	s_delay_alu instid0(VALU_DEP_2) | instskip(SKIP_1) | instid1(VALU_DEP_2)
	v_mad_i32_i24 v130, v222, v11 /*v267*/, v130
	s_set_vgpr_msb 0                        ;  msbs: dst=0 src0=0 src1=0 src2=0
	v_dot4_i32_iu8 v134, v23, v243, v134 neg_lo:[1,1,0]
	s_set_vgpr_msb 1                        ;  msbs: dst=0 src0=1 src1=0 src2=0
	s_delay_alu instid0(VALU_DEP_2) | instskip(SKIP_1) | instid1(VALU_DEP_2)
	v_dot4_i32_iu8 v130, v3 /*v259*/, v17, v130 neg_lo:[1,1,0]
	s_set_vgpr_msb 0                        ;  msbs: dst=0 src0=0 src1=0 src2=0
	v_dot4_i32_iu8 v134, v12, v244, v134 neg_lo:[1,1,0]
	v_perm_b32 v12, v12, v23, 0x6050403
	s_set_vgpr_msb 1                        ;  msbs: dst=0 src0=1 src1=0 src2=0
	v_dot4_i32_iu8 v130, v4 /*v260*/, v18, v130 neg_lo:[1,1,0]
	s_set_vgpr_msb 0                        ;  msbs: dst=0 src0=0 src1=0 src2=0
	v_dot4_i32_iu8 v134, v13, v245, v134 neg_lo:[1,1,0]
	s_set_vgpr_msb 4                        ;  msbs: dst=0 src0=0 src1=1 src2=0
	s_delay_alu instid0(VALU_DEP_2) | instskip(SKIP_1) | instid1(VALU_DEP_2)
	v_dot4_i32_iu8 v130, v19, v1 /*v257*/, v130 neg_lo:[1,1,0]
	s_set_vgpr_msb 0                        ;  msbs: dst=0 src0=0 src1=0 src2=0
	v_dot4_i32_iu8 v136, v14, v246, v134 neg_lo:[1,1,0]
	s_set_vgpr_msb 20                       ;  msbs: dst=0 src0=0 src1=1 src2=1
	v_dot4_i32_iu8 v134, v11, v1 /*v257*/, v14 /*v270*/ neg_lo:[1,1,0]
	s_set_vgpr_msb 0                        ;  msbs: dst=0 src0=0 src1=0 src2=0
	v_mul_lo_u32 v130, v130, v204
	s_delay_alu instid0(VALU_DEP_2) | instskip(NEXT) | instid1(VALU_DEP_2)
	v_mul_lo_u32 v134, v134, v204
	v_cvt_f32_i32_e32 v135, v130
	s_set_vgpr_msb 4                        ;  msbs: dst=0 src0=0 src1=1 src2=0
	v_dot4_i32_iu8 v130, v15, v2 /*v258*/, v136 neg_lo:[1,1,0]
	s_delay_alu instid0(VALU_DEP_3)
	v_cvt_f32_i32_e32 v134, v134
	s_set_vgpr_msb 20                       ;  msbs: dst=0 src0=0 src1=1 src2=1
	v_dot4_i32_iu8 v136, v7, v2 /*v258*/, v15 /*v271*/ neg_lo:[1,1,0]
	s_set_vgpr_msb 0                        ;  msbs: dst=0 src0=0 src1=0 src2=0
	v_mul_lo_u32 v130, v130, v241
	v_pk_fma_f32 v[134:135], v[4:5], v[134:135], 0 op_sel_hi:[1,1,0]
	s_delay_alu instid0(VALU_DEP_3) | instskip(NEXT) | instid1(VALU_DEP_3)
	v_mul_lo_u32 v136, v136, v241
	v_cvt_f32_i32_e32 v205, v130
	v_perm_b32 v130, v22, v21, 0x6050403
	v_cvt_f32_i32_e32 v21, v16
	v_pk_fma_f32 v[22:23], v[138:139], v[154:155], 0 op_sel_hi:[0,1,0]
	v_cvt_f32_i32_e32 v204, v136
	s_delay_alu instid0(VALU_DEP_4) | instskip(NEXT) | instid1(VALU_DEP_3)
	v_dot4_i32_iu8 v20, v130, v235, v20 neg_lo:[1,1,0]
	v_pk_fma_f32 v[22:23], v[142:143], v[8:9], v[22:23] op_sel_hi:[0,1,1]
	s_delay_alu instid0(VALU_DEP_3) | instskip(NEXT) | instid1(VALU_DEP_3)
	v_pk_fma_f32 v[134:135], v[152:153], v[204:205], v[134:135]
	v_dot4_i32_iu8 v20, v132, v230, v20 neg_lo:[1,1,0]
	s_delay_alu instid0(VALU_DEP_3) | instskip(NEXT) | instid1(VALU_DEP_3)
	v_pk_mul_f32 v[22:23], v[22:23], v[122:123]
	v_pk_fma_f32 v[134:135], v[134:135], v[112:113], v[150:151] neg_lo:[0,0,1] neg_hi:[0,0,1]
	s_delay_alu instid0(VALU_DEP_3) | instskip(NEXT) | instid1(VALU_DEP_2)
	v_dot4_i32_iu8 v20, v12, v229, v20 neg_lo:[1,1,0]
	v_pk_add_f32 v[32:33], v[32:33], v[134:135]
	s_set_vgpr_msb 4                        ;  msbs: dst=0 src0=0 src1=1 src2=0
	s_delay_alu instid0(VALU_DEP_2) | instskip(SKIP_1) | instid1(VALU_DEP_1)
	v_mad_i32_i24 v20, v228, v17 /*v273*/, v20
	s_set_vgpr_msb 0                        ;  msbs: dst=0 src0=0 src1=0 src2=0
	v_dot4_i32_iu8 v20, v247, v13, v20 neg_lo:[1,1,0]
	s_delay_alu instid0(VALU_DEP_1) | instskip(SKIP_3) | instid1(VALU_DEP_2)
	v_dot4_i32_iu8 v24, v248, v14, v20 neg_lo:[1,1,0]
	s_set_vgpr_msb 16                       ;  msbs: dst=0 src0=0 src1=0 src2=1
	v_dot4_i32_iu8 v20, v11, v133, v8 /*v264*/ neg_lo:[1,1,0]
	s_set_vgpr_msb 0                        ;  msbs: dst=0 src0=0 src1=0 src2=0
	v_dot4_i32_iu8 v16, v15, v231, v24 neg_lo:[1,1,0]
	s_delay_alu instid0(VALU_DEP_2) | instskip(SKIP_2) | instid1(VALU_DEP_3)
	v_mul_lo_u32 v20, v20, v223
	s_set_vgpr_msb 16                       ;  msbs: dst=0 src0=0 src1=0 src2=1
	v_dot4_i32_iu8 v24, v7, v231, v7 /*v263*/ neg_lo:[1,1,0]
	v_mul_lo_u32 v16, v16, v210
	s_delay_alu instid0(VALU_DEP_2) | instskip(NEXT) | instid1(VALU_DEP_4)
	v_mul_lo_u32 v24, v24, v210
	v_cvt_f32_i32_e32 v20, v20
	s_delay_alu instid0(VALU_DEP_3)
	v_cvt_f32_i32_e32 v25, v16
	s_set_vgpr_msb 1                        ;  msbs: dst=0 src0=1 src1=0 src2=0
	v_mul_i32_i24_e32 v16, v10 /*v266*/, v207
	s_set_vgpr_msb 0                        ;  msbs: dst=0 src0=0 src1=0 src2=0
	v_pk_fma_f32 v[20:21], v[4:5], v[20:21], 0 op_sel_hi:[1,1,0]
	v_cvt_f32_i32_e32 v24, v24
	s_set_vgpr_msb 1                        ;  msbs: dst=0 src0=1 src1=0 src2=0
	v_dot4_i32_iu8 v16, v18 /*v274*/, v208, v16 neg_lo:[1,1,0]
	s_set_vgpr_msb 0                        ;  msbs: dst=0 src0=0 src1=0 src2=0
	s_delay_alu instid0(VALU_DEP_2) | instskip(SKIP_1) | instid1(VALU_DEP_2)
	v_pk_fma_f32 v[20:21], v[152:153], v[24:25], v[20:21]
	s_set_vgpr_msb 1                        ;  msbs: dst=0 src0=1 src1=0 src2=0
	v_dot4_i32_iu8 v16, v19 /*v275*/, v211, v16 neg_lo:[1,1,0]
	s_set_vgpr_msb 0                        ;  msbs: dst=0 src0=0 src1=0 src2=0
	s_delay_alu instid0(VALU_DEP_2) | instskip(NEXT) | instid1(VALU_DEP_2)
	v_pk_fma_f32 v[20:21], v[20:21], v[114:115], v[22:23] neg_lo:[0,0,1] neg_hi:[0,0,1]
	v_dot4_i32_iu8 v16, v252, v212, v16 neg_lo:[1,1,0]
	s_delay_alu instid0(VALU_DEP_2) | instskip(NEXT) | instid1(VALU_DEP_2)
	v_pk_add_f32 v[30:31], v[30:31], v[20:21]
	v_dot4_i32_iu8 v16, v253, v213, v16 neg_lo:[1,1,0]
	s_delay_alu instid0(VALU_DEP_1) | instskip(SKIP_1) | instid1(VALU_DEP_1)
	v_dot4_i32_iu8 v16, v254, v215, v16 neg_lo:[1,1,0]
	s_set_vgpr_msb 4                        ;  msbs: dst=0 src0=0 src1=1 src2=0
	v_mad_i32_i24 v16, v209, v11 /*v267*/, v16
	s_set_vgpr_msb 0                        ;  msbs: dst=0 src0=0 src1=0 src2=0
	s_delay_alu instid0(VALU_DEP_1) | instskip(SKIP_3) | instid1(VALU_DEP_2)
	v_dot4_i32_iu8 v16, v233, v17, v16 neg_lo:[1,1,0]
	s_set_vgpr_msb 1                        ;  msbs: dst=0 src0=1 src1=0 src2=0
	v_mul_i32_i24_e32 v17, v16 /*v272*/, v217
	s_set_vgpr_msb 0                        ;  msbs: dst=0 src0=0 src1=0 src2=0
	v_dot4_i32_iu8 v16, v236, v18, v16 neg_lo:[1,1,0]
	s_delay_alu instid0(VALU_DEP_2) | instskip(NEXT) | instid1(VALU_DEP_1)
	v_dot4_i32_iu8 v17, v26, v218, v17 neg_lo:[1,1,0]
	v_dot4_i32_iu8 v0, v27, v0, v17 neg_lo:[1,1,0]
	s_delay_alu instid0(VALU_DEP_1) | instskip(SKIP_1) | instid1(VALU_DEP_2)
	v_dot4_i32_iu8 v0, v130, v1, v0 neg_lo:[1,1,0]
	v_dot4_i32_iu8 v1, v11, v239, v10 neg_lo:[1,1,0]
	;; [unrolled: 1-line block ×3, first 2 shown]
	s_delay_alu instid0(VALU_DEP_2) | instskip(NEXT) | instid1(VALU_DEP_2)
	v_mul_lo_u32 v2, v1, v214
	v_dot4_i32_iu8 v0, v12, v3, v0 neg_lo:[1,1,0]
	s_set_vgpr_msb 4                        ;  msbs: dst=0 src0=0 src1=1 src2=0
	s_delay_alu instid0(VALU_DEP_1) | instskip(SKIP_1) | instid1(VALU_DEP_1)
	v_mad_i32_i24 v0, v216, v17 /*v273*/, v0
	s_set_vgpr_msb 0                        ;  msbs: dst=0 src0=0 src1=0 src2=0
	v_dot4_i32_iu8 v0, v237, v13, v0 neg_lo:[1,1,0]
	s_delay_alu instid0(VALU_DEP_1) | instskip(SKIP_1) | instid1(VALU_DEP_1)
	v_dot4_i32_iu8 v12, v238, v14, v0 neg_lo:[1,1,0]
	v_dot4_i32_iu8 v0, v19, v239, v16 neg_lo:[1,1,0]
	v_mul_lo_u32 v0, v0, v214
	s_delay_alu instid0(VALU_DEP_1) | instskip(SKIP_2) | instid1(VALU_DEP_2)
	v_cvt_f32_i32_e32 v1, v0
	v_cvt_f32_i32_e32 v0, v2
	v_pk_fma_f32 v[2:3], v[128:129], v[154:155], 0 op_sel_hi:[0,1,0]
	v_pk_fma_f32 v[0:1], v[4:5], v[0:1], 0 op_sel_hi:[1,1,0]
	v_dot4_i32_iu8 v4, v15, v219, v12 neg_lo:[1,1,0]
	v_dot4_i32_iu8 v5, v7, v219, v6 neg_lo:[1,1,0]
	s_delay_alu instid0(VALU_DEP_4) | instskip(NEXT) | instid1(VALU_DEP_3)
	v_pk_fma_f32 v[2:3], v[126:127], v[8:9], v[2:3] op_sel_hi:[0,1,1]
	v_mul_lo_u32 v4, v4, v141
	s_delay_alu instid0(VALU_DEP_3) | instskip(NEXT) | instid1(VALU_DEP_3)
	v_mul_lo_u32 v6, v5, v141
	v_pk_mul_f32 v[2:3], v[2:3], v[124:125]
	s_delay_alu instid0(VALU_DEP_3) | instskip(NEXT) | instid1(VALU_DEP_3)
	v_cvt_f32_i32_e32 v5, v4
	v_cvt_f32_i32_e32 v4, v6
	s_delay_alu instid0(VALU_DEP_1) | instskip(NEXT) | instid1(VALU_DEP_1)
	v_pk_fma_f32 v[0:1], v[152:153], v[4:5], v[0:1]
	v_pk_fma_f32 v[0:1], v[0:1], v[116:117], v[2:3] neg_lo:[0,0,1] neg_hi:[0,0,1]
	s_delay_alu instid0(VALU_DEP_1)
	v_pk_add_f32 v[28:29], v[28:29], v[0:1]
	s_cbranch_vccnz .LBB133_6
; %bb.7:                                ;   in Loop: Header=BB133_5 Depth=1
	v_add_nc_u32_e32 v8, s5, v129
	s_barrier_signal -1
	s_barrier_wait -1
	s_delay_alu instid0(VALU_DEP_1) | instskip(SKIP_3) | instid1(VALU_DEP_4)
	v_dual_add_nc_u32 v6, v8, v127 :: v_dual_add_nc_u32 v14, v8, v109
	v_dual_add_nc_u32 v0, v8, v95 :: v_dual_add_nc_u32 v2, v8, v97
	;; [unrolled: 1-line block ×4, first 2 shown]
	v_mad_nc_i64_i32 v[6:7], v6, 36, v[104:105]
	s_delay_alu instid0(VALU_DEP_4)
	v_mad_nc_i64_i32 v[0:1], v0, 36, v[104:105]
	v_add_nc_u32_e32 v12, v8, v107
	v_mad_nc_i64_i32 v[2:3], v2, 36, v[104:105]
	v_mad_nc_i64_i32 v[4:5], v4, 36, v[104:105]
	;; [unrolled: 1-line block ×6, first 2 shown]
	v_mad_nc_u64_u32 v[16:17], v16, 36, s[2:3]
	s_clause 0x8
	global_load_b32 v18, v[6:7], off offset:4
	global_load_b32 v19, v[0:1], off offset:4
	;; [unrolled: 1-line block ×8, first 2 shown]
	global_load_b32 v26, v[16:17], off
	s_mov_b32 s5, 16
	s_wait_loadcnt 0x8
	ds_store_b32 v177, v18
	s_wait_loadcnt 0x7
	ds_store_b32 v170, v19
	;; [unrolled: 2-line block ×9, first 2 shown]
	s_wait_dscnt 0x0
	s_barrier_signal -1
	s_barrier_wait -1
	ds_load_b32 v0, v139
	ds_load_b32 v1, v143 offset:128
	ds_load_b32 v2, v158 offset:256
	;; [unrolled: 1-line block ×3, first 2 shown]
	s_wait_dscnt 0x3
	v_cvt_f32_f16_e32 v22, v0
	v_lshrrev_b32_e32 v0, 16, v0
	s_wait_dscnt 0x2
	v_cvt_f32_f16_e32 v24, v1
	v_lshrrev_b32_e32 v1, 16, v1
	s_wait_dscnt 0x1
	v_cvt_f32_f16_e32 v26, v2
	s_wait_dscnt 0x0
	v_dual_lshrrev_b32 v2, 16, v2 :: v_dual_lshrrev_b32 v4, 16, v3
	v_cvt_f32_f16_e32 v110, v3
	v_cvt_f32_f16_e32 v112, v0
	;; [unrolled: 1-line block ×3, first 2 shown]
	s_delay_alu instid0(VALU_DEP_4) | instskip(SKIP_4) | instid1(VALU_DEP_4)
	v_cvt_f32_f16_e32 v116, v2
	v_cvt_f32_f16_e32 v118, v4
	v_dual_mov_b32 v23, v22 :: v_dual_mov_b32 v25, v24
	v_dual_mov_b32 v27, v26 :: v_dual_mov_b32 v111, v110
	;; [unrolled: 1-line block ×4, first 2 shown]
.LBB133_8:                              ;   Parent Loop BB133_5 Depth=1
                                        ; =>  This Inner Loop Header: Depth=2
	s_lshr_b32 s12, s5, 2
	s_lshl_b32 s16, s5, 3
	s_and_b32 s13, s12, 0x3ffffffe
	s_lshl_b32 s12, s5, 1
	s_add_co_i32 s13, s13, 0xa200
	s_and_b32 s12, s12, 16
	s_delay_alu instid0(SALU_CYCLE_1)
	v_dual_add_nc_u32 v216, s16, v182 :: v_dual_bitop2_b32 v0, s12, v77 bitop3:0x54
	v_add3_u32 v16, s13, v186, v178
	v_add_nc_u32_e32 v132, s16, v183
	v_add3_u32 v128, s13, v187, v167
	s_set_vgpr_msb 64                       ;  msbs: dst=1 src0=0 src1=0 src2=0
	v_dual_add_nc_u32 v22 /*v278*/, s16, v184 :: v_dual_add_nc_u32 v38 /*v294*/, s16, v185
	s_set_vgpr_msb 0                        ;  msbs: dst=0 src0=0 src1=0 src2=0
	v_dual_lshlrev_b32 v8, 2, v0 :: v_dual_lshrrev_b32 v19, 1, v0
	s_set_vgpr_msb 64                       ;  msbs: dst=1 src0=0 src1=0 src2=0
	v_add3_u32 v37 /*v293*/, s13, v180, v169
	s_set_vgpr_msb 0                        ;  msbs: dst=0 src0=0 src1=0 src2=0
	ds_load_b128 v[12:15], v8 offset:33280
	ds_load_b128 v[0:3], v8 offset:33296
	;; [unrolled: 1-line block ×4, first 2 shown]
	ds_load_2addr_b32 v[20:21], v216 offset1:1
	ds_load_2addr_b32 v[120:121], v216 offset0:2 offset1:3
	ds_load_b32 v148, v216 offset:16
	ds_load_b96 v[136:138], v216 offset:19
	ds_load_i8 v220, v216 offset:31
	s_wait_dscnt 0x8
	v_bfe_i32 v130, v12, 0, 8
	v_perm_b32 v223, v13, v12, 0x4030201
	v_perm_b32 v241, v14, v13, 0x4030201
	;; [unrolled: 1-line block ×3, first 2 shown]
	s_wait_dscnt 0x4
	v_bfe_i32 v150, v20, 0, 8
	v_perm_b32 v18, v21, v20, 0x4030201
	v_perm_b32 v250, v0, v15, 0x4030201
	;; [unrolled: 1-line block ×4, first 2 shown]
	v_mul_i32_i24_e32 v17, v150, v130
	v_perm_b32 v255, v1, v1, 0xc0c0201
	s_set_vgpr_msb 64                       ;  msbs: dst=1 src0=0 src1=0 src2=0
	v_perm_b32 v0 /*v256*/, v2, v1, 0xc0c0403
	v_perm_b32 v1 /*v257*/, v2, v2, 0xc0c0201
	;; [unrolled: 1-line block ×3, first 2 shown]
	s_set_vgpr_msb 0                        ;  msbs: dst=0 src0=0 src1=0 src2=0
	v_dot4_i32_iu8 v17, v18, v223, v17 neg_lo:[1,1,0]
	s_wait_dscnt 0x3
	v_perm_b32 v18, v120, v21, 0x4030201
	v_bfe_i32 v152, v4, 0, 8
	v_perm_b32 v153, v5, v4, 0x4030201
	s_set_vgpr_msb 64                       ;  msbs: dst=1 src0=0 src1=0 src2=0
	v_perm_b32 v9 /*v265*/, v20, v20, 0xc0c0201
	v_perm_b32 v10 /*v266*/, v21, v20, 0x6050403
	s_set_vgpr_msb 0                        ;  msbs: dst=0 src0=0 src1=0 src2=0
	v_dot4_i32_iu8 v17, v18, v241, v17 neg_lo:[1,1,0]
	v_perm_b32 v18, v121, v120, 0x4030201
	s_set_vgpr_msb 64                       ;  msbs: dst=1 src0=0 src1=0 src2=0
	v_perm_b32 v11 /*v267*/, v120, v21, 0x6050403
	v_perm_b32 v12 /*v268*/, v121, v120, 0x6050403
	;; [unrolled: 1-line block ×4, first 2 shown]
	s_set_vgpr_msb 0                        ;  msbs: dst=0 src0=0 src1=0 src2=0
	v_dot4_i32_iu8 v17, v18, v242, v17 neg_lo:[1,1,0]
	s_wait_dscnt 0x2
	v_perm_b32 v18, v148, v121, 0x4030201
	s_wait_dscnt 0x1
	v_bfe_i32 v149, v136, 0, 8
	s_set_vgpr_msb 64                       ;  msbs: dst=1 src0=0 src1=0 src2=0
	v_perm_b32 v46 /*v302*/, v9, v8, 0x4030201
	v_perm_b32 v13 /*v269*/, v136, v136, 0xc0c0201
	;; [unrolled: 1-line block ×3, first 2 shown]
	s_set_vgpr_msb 0                        ;  msbs: dst=0 src0=0 src1=0 src2=0
	v_dot4_i32_iu8 v17, v18, v250, v17 neg_lo:[1,1,0]
	v_perm_b32 v18, v148, v148, 0xc0c0201
	s_set_vgpr_msb 64                       ;  msbs: dst=1 src0=0 src1=0 src2=0
	v_perm_b32 v14 /*v270*/, v137, v136, 0x6050403
	v_bfe_i32 v15 /*v271*/, v3, 8, 8
	s_set_vgpr_msb 0                        ;  msbs: dst=0 src0=0 src1=0 src2=0
	v_bfe_i32 v221, v138, 16, 8
	v_perm_b32 v252, v138, v137, 0x6050403
	v_dot4_i32_iu8 v17, v253, v18, v17 neg_lo:[1,1,0]
	v_perm_b32 v18, v136, v136, 0xc0c0100
	s_set_vgpr_msb 64                       ;  msbs: dst=1 src0=0 src1=0 src2=0
	v_perm_b32 v61 /*v317*/, v3, v3, 0xc0c0302
	v_bfe_i32 v23 /*v279*/, v11, 0, 8
	s_set_vgpr_msb 0                        ;  msbs: dst=0 src0=0 src1=0 src2=0
	v_bfe_i32 v142, v12, 8, 8
	v_perm_b32 v12, v13, v12, 0x5040302
	v_dot4_i32_iu8 v17, v254, v18, v17 neg_lo:[1,1,0]
	v_perm_b32 v18, v136, v136, 0xc0c0302
	s_delay_alu instid0(VALU_DEP_1) | instskip(SKIP_2) | instid1(VALU_DEP_1)
	v_dot4_i32_iu8 v17, v255, v18, v17 neg_lo:[1,1,0]
	v_perm_b32 v18, v137, v137, 0xc0c0100
	s_set_vgpr_msb 1                        ;  msbs: dst=0 src0=1 src1=0 src2=0
	v_dot4_i32_iu8 v17, v0 /*v256*/, v18, v17 neg_lo:[1,1,0]
	s_set_vgpr_msb 0                        ;  msbs: dst=0 src0=0 src1=0 src2=0
	v_perm_b32 v18, v137, v137, 0xc0c0302
	s_set_vgpr_msb 1                        ;  msbs: dst=0 src0=1 src1=0 src2=0
	s_delay_alu instid0(VALU_DEP_1) | instskip(SKIP_3) | instid1(VALU_DEP_1)
	v_dot4_i32_iu8 v17, v1 /*v257*/, v18, v17 neg_lo:[1,1,0]
	s_set_vgpr_msb 0                        ;  msbs: dst=0 src0=0 src1=0 src2=0
	v_perm_b32 v18, v138, v138, 0xc0c0100
	s_set_vgpr_msb 1                        ;  msbs: dst=0 src0=1 src1=0 src2=0
	v_dot4_i32_iu8 v222, v2 /*v258*/, v18, v17 neg_lo:[1,1,0]
	s_set_vgpr_msb 0                        ;  msbs: dst=0 src0=0 src1=0 src2=0
	ds_load_u16 v17, v16
	ds_load_u16 v16, v16 offset:8
	ds_load_2addr_b32 v[124:125], v216 offset0:14 offset1:15
	ds_load_2addr_b32 v[248:249], v132 offset1:1
	s_wait_dscnt 0x3
	v_lshrrev_b16 v18, 8, v17
	v_and_b32_e32 v154, 0xff, v17
	s_wait_dscnt 0x2
	v_cvt_f32_ubyte0_e32 v126, v16
	v_cvt_f32_ubyte1_e32 v122, v16
	s_wait_dscnt 0x0
	v_bfe_i32 v156, v248, 0, 8
	v_and_b32_e32 v123, 0xffff, v18
	ds_load_2addr_b32 v[134:135], v132 offset0:2 offset1:3
	ds_load_b32 v155, v132 offset:16
	ds_load_b128 v[224:227], v132 offset:19
	ds_load_b128 v[144:147], v132 offset:35
	ds_load_b96 v[16:18], v132 offset:51
	s_set_vgpr_msb 64                       ;  msbs: dst=1 src0=0 src1=0 src2=0
	ds_load_i8 v36 /*v292*/, v132 offset:63
	s_set_vgpr_msb 0                        ;  msbs: dst=0 src0=0 src1=0 src2=0
	v_perm_b32 v132, v249, v248, 0x4030201
	v_bfe_i32 v236, v125, 0, 8
	v_mul_i32_i24_e32 v133, v156, v130
	s_delay_alu instid0(VALU_DEP_1)
	v_dot4_i32_iu8 v132, v132, v223, v133 neg_lo:[1,1,0]
	s_wait_dscnt 0x5
	v_perm_b32 v133, v134, v249, 0x4030201
	s_wait_dscnt 0x3
	v_bfe_i32 v204, v227, 8, 8
	s_wait_dscnt 0x2
	v_perm_b32 v205, v144, v227, 0x5040302
	v_bfe_i32 v157, v224, 0, 8
	v_dot4_i32_iu8 v132, v133, v241, v132 neg_lo:[1,1,0]
	v_perm_b32 v133, v135, v134, 0x4030201
	s_set_vgpr_msb 64                       ;  msbs: dst=1 src0=0 src1=0 src2=0
	v_bfe_i32 v3 /*v259*/, v226, 16, 8
	s_set_vgpr_msb 0                        ;  msbs: dst=0 src0=0 src1=0 src2=0
	s_delay_alu instid0(VALU_DEP_2) | instskip(SKIP_1) | instid1(VALU_DEP_1)
	v_dot4_i32_iu8 v132, v133, v242, v132 neg_lo:[1,1,0]
	v_perm_b32 v133, v155, v135, 0x4030201
	v_dot4_i32_iu8 v132, v133, v250, v132 neg_lo:[1,1,0]
	v_perm_b32 v133, v155, v155, 0xc0c0201
	s_delay_alu instid0(VALU_DEP_1) | instskip(SKIP_1) | instid1(VALU_DEP_1)
	v_dot4_i32_iu8 v132, v253, v133, v132 neg_lo:[1,1,0]
	v_perm_b32 v133, v224, v224, 0xc0c0100
	v_dot4_i32_iu8 v132, v254, v133, v132 neg_lo:[1,1,0]
	v_perm_b32 v133, v224, v224, 0xc0c0302
	s_delay_alu instid0(VALU_DEP_1) | instskip(SKIP_2) | instid1(VALU_DEP_1)
	v_dot4_i32_iu8 v132, v255, v133, v132 neg_lo:[1,1,0]
	v_perm_b32 v133, v225, v225, 0xc0c0100
	s_set_vgpr_msb 1                        ;  msbs: dst=0 src0=1 src1=0 src2=0
	v_dot4_i32_iu8 v132, v0 /*v256*/, v133, v132 neg_lo:[1,1,0]
	s_set_vgpr_msb 0                        ;  msbs: dst=0 src0=0 src1=0 src2=0
	v_perm_b32 v133, v225, v225, 0xc0c0302
	s_set_vgpr_msb 1                        ;  msbs: dst=0 src0=1 src1=0 src2=0
	s_delay_alu instid0(VALU_DEP_1) | instskip(SKIP_3) | instid1(VALU_DEP_1)
	v_dot4_i32_iu8 v132, v1 /*v257*/, v133, v132 neg_lo:[1,1,0]
	s_set_vgpr_msb 0                        ;  msbs: dst=0 src0=0 src1=0 src2=0
	v_perm_b32 v133, v226, v226, 0xc0c0100
	s_set_vgpr_msb 0x41                     ;  msbs: dst=1 src0=1 src1=0 src2=0
	v_dot4_i32_iu8 v4 /*v260*/, v2 /*v258*/, v133, v132 neg_lo:[1,1,0]
	s_set_vgpr_msb 0                        ;  msbs: dst=0 src0=0 src1=0 src2=0
	ds_load_u16 v132, v128
	s_set_vgpr_msb 64                       ;  msbs: dst=1 src0=0 src1=0 src2=0
	ds_load_u16 v20 /*v276*/, v128 offset:8
	s_set_vgpr_msb 0                        ;  msbs: dst=0 src0=0 src1=0 src2=0
	v_or_b32_e32 v133, s12, v160
	s_delay_alu instid0(VALU_DEP_1)
	v_dual_lshlrev_b32 v217, 2, v133 :: v_dual_lshrrev_b32 v218, 1, v133
	s_wait_dscnt 0x1
	s_set_vgpr_msb 64                       ;  msbs: dst=1 src0=0 src1=0 src2=0
	v_lshrrev_b16 v21 /*v277*/, 8, v132
	s_set_vgpr_msb 0                        ;  msbs: dst=0 src0=0 src1=0 src2=0
	v_and_b32_e32 v203, 0xff, v132
	v_mul_i32_i24_e32 v132, v204, v152
	s_wait_dscnt 0x0
	s_set_vgpr_msb 1                        ;  msbs: dst=0 src0=1 src1=0 src2=0
	v_cvt_f32_ubyte0_e32 v128, v20 /*v276*/
	s_set_vgpr_msb 0                        ;  msbs: dst=0 src0=0 src1=0 src2=0
	v_dot4_i32_iu8 v237, v205, v153, v132 neg_lo:[1,1,0]
	v_add3_u32 v132, s13, v179, v168
	ds_load_b64 v[140:141], v19 offset:43584
	s_set_vgpr_msb 1                        ;  msbs: dst=0 src0=1 src1=0 src2=0
	ds_load_2addr_b32 v[206:207], v22 /*v278*/ offset1:1
	ds_load_2addr_b32 v[208:209], v22 /*v278*/ offset0:2 offset1:3
	ds_load_2addr_b32 v[210:211], v22 /*v278*/ offset0:4 offset1:5
	s_set_vgpr_msb 0x41                     ;  msbs: dst=1 src0=1 src1=0 src2=0
	ds_load_2addr_b32 v[24:25] /*v[280:281]*/, v22 /*v278*/ offset0:6 offset1:7
	s_set_vgpr_msb 0                        ;  msbs: dst=0 src0=0 src1=0 src2=0
	ds_load_u16 v19, v132
	s_set_vgpr_msb 64                       ;  msbs: dst=1 src0=0 src1=0 src2=0
	ds_load_u16 v39 /*v295*/, v132 offset:8
	s_set_vgpr_msb 0x41                     ;  msbs: dst=1 src0=1 src1=0 src2=0
	ds_load_2addr_b32 v[26:27] /*v[282:283]*/, v22 /*v278*/ offset0:8 offset1:9
	s_set_vgpr_msb 1                        ;  msbs: dst=0 src0=1 src1=0 src2=0
	ds_load_2addr_b32 v[132:133], v22 /*v278*/ offset0:10 offset1:11
	s_set_vgpr_msb 0                        ;  msbs: dst=0 src0=0 src1=0 src2=0
	ds_load_2addr_b32 v[212:213], v216 offset0:8 offset1:9
	s_wait_dscnt 0x9
	s_set_vgpr_msb 64                       ;  msbs: dst=1 src0=0 src1=0 src2=0
	v_cvt_f32_f16_e64 v28 /*v284*/, v140
	s_set_vgpr_msb 0                        ;  msbs: dst=0 src0=0 src1=0 src2=0
	v_lshrrev_b32_e32 v140, 16, v140
	s_set_vgpr_msb 64                       ;  msbs: dst=1 src0=0 src1=0 src2=0
	v_cvt_f32_f16_e64 v32 /*v288*/, v141
	s_set_vgpr_msb 0                        ;  msbs: dst=0 src0=0 src1=0 src2=0
	v_lshrrev_b32_e32 v141, 16, v141
	s_wait_dscnt 0x4
	s_set_vgpr_msb 64                       ;  msbs: dst=1 src0=0 src1=0 src2=0
	v_lshrrev_b16 v40 /*v296*/, 8, v19
	v_cvt_f32_f16_e64 v30 /*v286*/, v140
	s_wait_dscnt 0x0
	s_set_vgpr_msb 0                        ;  msbs: dst=0 src0=0 src1=0 src2=0
	v_bfe_i32 v151, v212, 0, 8
	v_lshrrev_b16 v214, 8, v213
	v_ashrrev_i32_e32 v238, 24, v213
	v_bfe_i32 v239, v213, 16, 8
	v_bfe_i32 v243, v213, 0, 8
	v_mul_i32_i24_e32 v215, v151, v152
	v_perm_b32 v152, v213, v212, 0x4030201
	v_bfe_i32 v240, v214, 0, 8
	s_set_vgpr_msb 64                       ;  msbs: dst=1 src0=0 src1=0 src2=0
	v_cvt_f32_f16_e64 v34 /*v290*/, v141
	s_set_vgpr_msb 0                        ;  msbs: dst=0 src0=0 src1=0 src2=0
	v_dot4_i32_iu8 v219, v152, v153, v215 neg_lo:[1,1,0]
	ds_load_2addr_b32 v[214:215], v216 offset0:10 offset1:11
	ds_load_b128 v[228:231], v217 offset:33280
	ds_load_b128 v[232:235], v217 offset:33296
	;; [unrolled: 1-line block ×3, first 2 shown]
	s_set_vgpr_msb 64                       ;  msbs: dst=1 src0=0 src1=0 src2=0
	ds_load_b128 v[16:19] /*v[272:275]*/, v217 offset:33328
	s_set_vgpr_msb 0                        ;  msbs: dst=0 src0=0 src1=0 src2=0
	ds_load_2addr_b32 v[216:217], v216 offset0:12 offset1:13
	s_wait_dscnt 0x4
	s_set_vgpr_msb 64                       ;  msbs: dst=1 src0=0 src1=0 src2=0
	v_bfe_i32 v42 /*v298*/, v228, 0, 8
	v_perm_b32 v45 /*v301*/, v228, v228, 0xc0c0201
	v_perm_b32 v47 /*v303*/, v229, v228, 0x6050403
	;; [unrolled: 1-line block ×3, first 2 shown]
	s_set_vgpr_msb 0                        ;  msbs: dst=0 src0=0 src1=0 src2=0
	v_perm_b32 v153, v214, v213, 0x4030201
	s_set_vgpr_msb 1                        ;  msbs: dst=0 src0=1 src1=0 src2=0
	v_mul_i32_i24_e32 v251, v42 /*v298*/, v150
	s_set_vgpr_msb 0                        ;  msbs: dst=0 src0=0 src1=0 src2=0
	v_perm_b32 v213, v6, v5, 0x4030201
	s_set_vgpr_msb 64                       ;  msbs: dst=1 src0=0 src1=0 src2=0
	v_perm_b32 v56 /*v312*/, v231, v230, 0x6050403
	v_perm_b32 v5 /*v261*/, v215, v214, 0x4030201
	s_wait_dscnt 0x3
	s_set_vgpr_msb 0                        ;  msbs: dst=0 src0=0 src1=0 src2=0
	v_perm_b32 v21, v232, v121, 0x6050403
	s_set_vgpr_msb 5                        ;  msbs: dst=0 src0=1 src1=1 src2=0
	v_dot4_i32_iu8 v251, v45 /*v301*/, v9 /*v265*/, v251 neg_lo:[1,1,0]
	s_set_vgpr_msb 0                        ;  msbs: dst=0 src0=0 src1=0 src2=0
	v_dot4_i32_iu8 v219, v153, v213, v219 neg_lo:[1,1,0]
	v_perm_b32 v120, v148, v231, 0x6050403
	s_wait_dscnt 0x0
	s_set_vgpr_msb 64                       ;  msbs: dst=1 src0=0 src1=0 src2=0
	v_perm_b32 v6 /*v262*/, v216, v215, 0x4030201
	v_ashrrev_i32_e32 v50 /*v306*/, 24, v232
	s_set_vgpr_msb 5                        ;  msbs: dst=0 src0=1 src1=1 src2=0
	v_dot4_i32_iu8 v20, v47 /*v303*/, v10 /*v266*/, v251 neg_lo:[1,1,0]
	v_dot4_i32_iu8 v219, v5 /*v261*/, v41 /*v297*/, v219 neg_lo:[1,1,0]
	s_set_vgpr_msb 64                       ;  msbs: dst=1 src0=0 src1=0 src2=0
	v_perm_b32 v7 /*v263*/, v217, v216, 0x4030201
	v_perm_b32 v57 /*v313*/, v233, v233, 0xc0c0100
	;; [unrolled: 1-line block ×3, first 2 shown]
	s_set_vgpr_msb 5                        ;  msbs: dst=0 src0=1 src1=1 src2=0
	v_dot4_i32_iu8 v20, v55 /*v311*/, v11 /*v267*/, v20 neg_lo:[1,1,0]
	v_dot4_i32_iu8 v219, v6 /*v262*/, v44 /*v300*/, v219 neg_lo:[1,1,0]
	s_set_vgpr_msb 64                       ;  msbs: dst=1 src0=0 src1=0 src2=0
	v_perm_b32 v58 /*v314*/, v234, v233, 0x5040302
	v_perm_b32 v59 /*v315*/, v235, v234, 0x5040302
	s_set_vgpr_msb 0                        ;  msbs: dst=0 src0=0 src1=0 src2=0
	v_perm_b32 v251, v220, v138, 0xc0c0403
	s_set_vgpr_msb 5                        ;  msbs: dst=0 src0=1 src1=1 src2=0
	v_dot4_i32_iu8 v20, v56 /*v312*/, v12 /*v268*/, v20 neg_lo:[1,1,0]
	v_dot4_i32_iu8 v219, v7 /*v263*/, v46 /*v302*/, v219 neg_lo:[1,1,0]
	s_set_vgpr_msb 64                       ;  msbs: dst=1 src0=0 src1=0 src2=0
	v_perm_b32 v60 /*v316*/, v235, v235, 0xc0c0302
	s_set_vgpr_msb 0                        ;  msbs: dst=0 src0=0 src1=0 src2=0
	v_lshrrev_b16 v140, 8, v245
	s_set_vgpr_msb 64                       ;  msbs: dst=1 src0=0 src1=0 src2=0
	v_bfe_i32 v53 /*v309*/, v245, 0, 8
	s_set_vgpr_msb 0                        ;  msbs: dst=0 src0=0 src1=0 src2=0
	v_dot4_i32_iu8 v20, v120, v21, v20 neg_lo:[1,1,0]
	s_set_vgpr_msb 0x45                     ;  msbs: dst=1 src0=1 src1=1 src2=0
	v_dot4_i32_iu8 v49 /*v305*/, v8 /*v264*/, v48 /*v304*/, v219 neg_lo:[1,1,0]
	s_set_vgpr_msb 4                        ;  msbs: dst=0 src0=0 src1=1 src2=0
	ds_load_b64 v[218:219], v218 offset:43584
	v_mad_i32_i24 v21, v221, v15 /*v271*/, v222
	s_set_vgpr_msb 64                       ;  msbs: dst=1 src0=0 src1=0 src2=0
	v_bfe_i32 v52 /*v308*/, v245, 16, 8
	s_set_vgpr_msb 4                        ;  msbs: dst=0 src0=0 src1=1 src2=0
	v_mad_i32_i24 v20, v149, v50 /*v306*/, v20
	v_bfe_i32 v140, v140, 0, 8
	s_set_vgpr_msb 0                        ;  msbs: dst=0 src0=0 src1=0 src2=0
	v_perm_b32 v220, v246, v244, 0xc0c0400
	s_set_vgpr_msb 4                        ;  msbs: dst=0 src0=0 src1=1 src2=0
	v_dot4_i32_iu8 v21, v251, v61 /*v317*/, v21 neg_lo:[1,1,0]
	s_set_vgpr_msb 0x41                     ;  msbs: dst=1 src0=1 src1=0 src2=0
	v_bfe_i32 v54 /*v310*/, v19 /*v275*/, 0, 8
	s_set_vgpr_msb 5                        ;  msbs: dst=0 src0=1 src1=1 src2=0
	v_dot4_i32_iu8 v20, v13 /*v269*/, v57 /*v313*/, v20 neg_lo:[1,1,0]
	s_set_vgpr_msb 0                        ;  msbs: dst=0 src0=0 src1=0 src2=0
	v_mul_i32_i24_e32 v138, v140, v240
	s_set_vgpr_msb 1                        ;  msbs: dst=0 src0=1 src1=0 src2=0
	v_mul_i32_i24_e32 v140, v52 /*v308*/, v239
	s_set_vgpr_msb 0                        ;  msbs: dst=0 src0=0 src1=0 src2=0
	v_mul_lo_u32 v120, v21, v154
	v_perm_b32 v234, v11, v10, 0x4030201
	s_set_vgpr_msb 5                        ;  msbs: dst=0 src0=1 src1=1 src2=0
	v_dot4_i32_iu8 v20, v14 /*v270*/, v58 /*v314*/, v20 neg_lo:[1,1,0]
	s_set_vgpr_msb 64                       ;  msbs: dst=1 src0=0 src1=0 src2=0
	v_perm_b32 v52 /*v308*/, v11, v11, 0xc070601
	s_set_vgpr_msb 0                        ;  msbs: dst=0 src0=0 src1=0 src2=0
	v_perm_b32 v239, v16, v147, 0x5040302
	v_perm_b32 v240, v17, v16, 0x5040302
	s_set_vgpr_msb 1                        ;  msbs: dst=0 src0=1 src1=0 src2=0
	v_perm_b32 v221, v24 /*v280*/, v211, 0x5040302
	v_dot4_i32_iu8 v20, v59 /*v315*/, v252, v20 neg_lo:[1,1,0]
	s_set_vgpr_msb 64                       ;  msbs: dst=1 src0=0 src1=0 src2=0
	v_bfe_i32 v51 /*v307*/, v244, 0, 8
	s_wait_dscnt 0x0
	v_cvt_f32_f16_e64 v29 /*v285*/, v218
	s_set_vgpr_msb 0                        ;  msbs: dst=0 src0=0 src1=0 src2=0
	v_lshrrev_b32_e32 v218, 16, v218
	s_set_vgpr_msb 64                       ;  msbs: dst=1 src0=0 src1=0 src2=0
	v_cvt_f32_f16_e64 v33 /*v289*/, v219
	s_set_vgpr_msb 4                        ;  msbs: dst=0 src0=0 src1=1 src2=0
	v_dot4_i32_iu8 v20, v251, v60 /*v316*/, v20 neg_lo:[1,1,0]
	s_set_vgpr_msb 0                        ;  msbs: dst=0 src0=0 src1=0 src2=0
	v_lshrrev_b32_e32 v219, 16, v219
	s_set_vgpr_msb 64                       ;  msbs: dst=1 src0=0 src1=0 src2=0
	v_bfe_i32 v43 /*v299*/, v228, 8, 8
	v_cvt_f32_f16_e64 v31 /*v287*/, v218
	s_set_vgpr_msb 0                        ;  msbs: dst=0 src0=0 src1=0 src2=0
	v_ashrrev_i32_e32 v218, 24, v245
	v_mul_lo_u32 v20, v20, v154
	s_set_vgpr_msb 64                       ;  msbs: dst=1 src0=0 src1=0 src2=0
	v_cvt_f32_f16_e64 v35 /*v291*/, v219
	s_set_vgpr_msb 0                        ;  msbs: dst=0 src0=0 src1=0 src2=0
	v_perm_b32 v219, v214, v212, 0xc0c0400
	s_set_vgpr_msb 4                        ;  msbs: dst=0 src0=0 src1=1 src2=0
	v_pk_fma_f32 v[136:137], v[126:127], v[30:31] /*v[286:287]*/, 0 op_sel_hi:[0,1,0]
	s_set_vgpr_msb 0                        ;  msbs: dst=0 src0=0 src1=0 src2=0
	v_mul_i32_i24_e32 v141, v218, v238
	s_set_vgpr_msb 1                        ;  msbs: dst=0 src0=1 src1=0 src2=0
	v_mul_i32_i24_e32 v218, v54 /*v310*/, v236
	s_set_vgpr_msb 0                        ;  msbs: dst=0 src0=0 src1=0 src2=0
	v_perm_b32 v236, v145, v144, 0x5040302
	v_perm_b32 v238, v147, v146, 0x5040302
	s_set_vgpr_msb 4                        ;  msbs: dst=0 src0=0 src1=1 src2=0
	v_pk_fma_f32 v[136:137], v[122:123], v[34:35] /*v[290:291]*/, v[136:137] op_sel_hi:[0,1,1]
	s_set_vgpr_msb 1                        ;  msbs: dst=0 src0=1 src1=0 src2=0
	v_cvt_f32_ubyte1_e32 v144, v20 /*v276*/
	v_bfe_i32 v222, v26 /*v282*/, 0, 8
	s_set_vgpr_msb 0                        ;  msbs: dst=0 src0=0 src1=0 src2=0
	v_cvt_f32_i32_e32 v21, v20
	v_cvt_f32_i32_e32 v20, v120
	s_set_vgpr_msb 1                        ;  msbs: dst=0 src0=1 src1=0 src2=0
	v_mul_i32_i24_e32 v120, v53 /*v309*/, v243
	s_set_vgpr_msb 0                        ;  msbs: dst=0 src0=0 src1=0 src2=0
	v_perm_b32 v243, v125, v125, 0xc030201
	v_pk_mul_f32 v[136:137], v[136:137], v[112:113]
	s_set_vgpr_msb 1                        ;  msbs: dst=0 src0=1 src1=0 src2=0
	v_pk_fma_f32 v[20:21], v[28:29] /*v[284:285]*/, v[20:21], 0 op_sel_hi:[1,1,0]
	s_set_vgpr_msb 0                        ;  msbs: dst=0 src0=0 src1=0 src2=0
	v_dot4_i32_iu8 v120, v220, v219, v120 neg_lo:[1,1,0]
	v_perm_b32 v219, v214, v212, 0xc0c0602
	v_perm_b32 v220, v246, v244, 0xc0c0602
	s_delay_alu instid0(VALU_DEP_1) | instskip(SKIP_4) | instid1(VALU_DEP_2)
	v_dot4_i32_iu8 v140, v220, v219, v140 neg_lo:[1,1,0]
	v_perm_b32 v219, v214, v212, 0xc0c0501
	v_perm_b32 v212, v214, v212, 0xc0c0703
	;; [unrolled: 1-line block ×4, first 2 shown]
	v_dot4_i32_iu8 v141, v214, v212, v141 neg_lo:[1,1,0]
	v_perm_b32 v212, v216, v215, 0xc0c0703
	v_perm_b32 v214, v124, v217, 0x7030c0c
	s_delay_alu instid0(VALU_DEP_4)
	v_dot4_i32_iu8 v138, v220, v219, v138 neg_lo:[1,1,0]
	s_set_vgpr_msb 5                        ;  msbs: dst=0 src0=1 src1=1 src2=0
	v_perm_b32 v219, v18 /*v274*/, v17 /*v273*/, 0x7030c0c
	v_and_b32_e32 v220, 0xffff, v21 /*v277*/
	s_set_vgpr_msb 0                        ;  msbs: dst=0 src0=0 src1=0 src2=0
	v_or_b32_e32 v212, v214, v212
	s_set_vgpr_msb 1                        ;  msbs: dst=0 src0=1 src1=0 src2=0
	v_perm_b32 v214, v16 /*v272*/, v247, 0xc0c0703
	s_set_vgpr_msb 0                        ;  msbs: dst=0 src0=0 src1=0 src2=0
	s_delay_alu instid0(VALU_DEP_1) | instskip(SKIP_3) | instid1(VALU_DEP_2)
	v_or_b32_e32 v214, v219, v214
	s_set_vgpr_msb 5                        ;  msbs: dst=0 src0=1 src1=1 src2=0
	v_perm_b32 v219, v18 /*v274*/, v17 /*v273*/, 0x5010c0c
	s_set_vgpr_msb 0                        ;  msbs: dst=0 src0=0 src1=0 src2=0
	v_dot4_i32_iu8 v141, v214, v212, v141 neg_lo:[1,1,0]
	v_perm_b32 v212, v216, v215, 0xc0c0501
	v_perm_b32 v214, v124, v217, 0x5010c0c
	s_delay_alu instid0(VALU_DEP_1) | instskip(SKIP_3) | instid1(VALU_DEP_1)
	v_or_b32_e32 v212, v214, v212
	s_set_vgpr_msb 1                        ;  msbs: dst=0 src0=1 src1=0 src2=0
	v_perm_b32 v214, v16 /*v272*/, v247, 0xc0c0501
	s_set_vgpr_msb 0                        ;  msbs: dst=0 src0=0 src1=0 src2=0
	v_or_b32_e32 v214, v219, v214
	s_set_vgpr_msb 5                        ;  msbs: dst=0 src0=1 src1=1 src2=0
	v_perm_b32 v219, v18 /*v274*/, v17 /*v273*/, 0x6020c0c
	s_set_vgpr_msb 0                        ;  msbs: dst=0 src0=0 src1=0 src2=0
	s_delay_alu instid0(VALU_DEP_2) | instskip(SKIP_2) | instid1(VALU_DEP_3)
	v_dot4_i32_iu8 v138, v214, v212, v138 neg_lo:[1,1,0]
	v_perm_b32 v212, v216, v215, 0xc0c0602
	v_perm_b32 v214, v124, v217, 0x6020c0c
	v_add_nc_u32_e32 v138, v138, v141
	s_delay_alu instid0(VALU_DEP_2) | instskip(SKIP_3) | instid1(VALU_DEP_1)
	v_or_b32_e32 v212, v214, v212
	s_set_vgpr_msb 1                        ;  msbs: dst=0 src0=1 src1=0 src2=0
	v_perm_b32 v214, v16 /*v272*/, v247, 0xc0c0602
	s_set_vgpr_msb 0                        ;  msbs: dst=0 src0=0 src1=0 src2=0
	v_or_b32_e32 v214, v219, v214
	v_perm_b32 v219, v211, v210, 0x5040302
	s_delay_alu instid0(VALU_DEP_2)
	v_dot4_i32_iu8 v140, v214, v212, v140 neg_lo:[1,1,0]
	v_perm_b32 v212, v216, v215, 0xc0c0400
	v_perm_b32 v214, v124, v217, 0x4000c0c
	s_set_vgpr_msb 5                        ;  msbs: dst=0 src0=1 src1=1 src2=0
	v_perm_b32 v215, v18 /*v274*/, v17 /*v273*/, 0x4000c0c
	s_set_vgpr_msb 0                        ;  msbs: dst=0 src0=0 src1=0 src2=0
	v_perm_b32 v216, v208, v207, 0x5040302
	v_perm_b32 v217, v209, v208, 0x5040302
	v_or_b32_e32 v212, v214, v212
	s_set_vgpr_msb 1                        ;  msbs: dst=0 src0=1 src1=0 src2=0
	v_perm_b32 v214, v16 /*v272*/, v247, 0xc0c0400
	s_set_vgpr_msb 0                        ;  msbs: dst=0 src0=0 src1=0 src2=0
	s_delay_alu instid0(VALU_DEP_1) | instskip(SKIP_1) | instid1(VALU_DEP_2)
	v_or_b32_e32 v214, v215, v214
	v_perm_b32 v215, v207, v206, 0x5040302
	v_dot4_i32_iu8 v120, v214, v212, v120 neg_lo:[1,1,0]
	v_bfe_i32 v214, v206, 8, 8
	v_and_b32_e32 v212, 0xff, v19
	s_delay_alu instid0(VALU_DEP_3) | instskip(NEXT) | instid1(VALU_DEP_1)
	v_add_nc_u32_e32 v120, v120, v140
	v_add3_u32 v120, v120, v138, v218
	v_perm_b32 v138, v125, v124, 0x4030201
	v_perm_b32 v218, v210, v209, 0x5040302
	s_set_vgpr_msb 4                        ;  msbs: dst=0 src0=0 src1=1 src2=0
	v_and_b32_e32 v209, 0xffff, v40 /*v296*/
	s_set_vgpr_msb 16                       ;  msbs: dst=0 src0=0 src1=0 src2=1
	v_dot4_i32_iu8 v138, v138, v234, v49 /*v305*/ neg_lo:[1,1,0]
	s_set_vgpr_msb 0x45                     ;  msbs: dst=1 src0=1 src1=1 src2=0
	v_perm_b32 v49 /*v305*/, v19 /*v275*/, v19 /*v275*/, 0xc070601
	s_set_vgpr_msb 4                        ;  msbs: dst=0 src0=0 src1=1 src2=0
	s_delay_alu instid0(VALU_DEP_2) | instskip(NEXT) | instid1(VALU_DEP_2)
	v_dot4_i32_iu8 v11, v243, v52 /*v308*/, v138 neg_lo:[1,1,0]
	v_dot4_i32_iu8 v120, v243, v49 /*v305*/, v120 neg_lo:[1,1,0]
	s_set_vgpr_msb 1                        ;  msbs: dst=0 src0=1 src1=0 src2=0
	v_cvt_f32_ubyte0_e32 v138, v39 /*v295*/
	s_set_vgpr_msb 0                        ;  msbs: dst=0 src0=0 src1=0 src2=0
	v_mul_lo_u32 v11, v11, v123
	v_mul_lo_u32 v120, v120, v123
	s_delay_alu instid0(VALU_DEP_2)
	v_cvt_f32_i32_e32 v140, v11
	v_dot4_i32_iu8 v11, v236, v213, v237 neg_lo:[1,1,0]
	v_perm_b32 v237, v146, v145, 0x5040302
	v_bfe_i32 v213, v206, 0, 8
	v_cvt_f32_i32_e32 v141, v120
	v_perm_b32 v120, v8, v8, 0xc0c0100
	v_perm_b32 v145, v8, v8, 0xc0c0302
	s_set_vgpr_msb 4                        ;  msbs: dst=0 src0=0 src1=1 src2=0
	v_dot4_i32_iu8 v11, v237, v41 /*v297*/, v11 neg_lo:[1,1,0]
	s_set_vgpr_msb 64                       ;  msbs: dst=1 src0=0 src1=0 src2=0
	v_perm_b32 v41 /*v297*/, v9, v9, 0xc0c0100
	s_set_vgpr_msb 1                        ;  msbs: dst=0 src0=1 src1=0 src2=0
	v_pk_fma_f32 v[20:21], v[32:33] /*v[288:289]*/, v[140:141], v[20:21]
	s_set_vgpr_msb 4                        ;  msbs: dst=0 src0=0 src1=1 src2=0
	v_dot4_i32_iu8 v11, v238, v44 /*v300*/, v11 neg_lo:[1,1,0]
	s_set_vgpr_msb 64                       ;  msbs: dst=1 src0=0 src1=0 src2=0
	v_perm_b32 v44 /*v300*/, v9, v9, 0xc0c0302
	s_set_vgpr_msb 0                        ;  msbs: dst=0 src0=0 src1=0 src2=0
	v_pk_fma_f32 v[20:21], v[20:21], v[22:23], v[136:137] neg_lo:[0,0,1] neg_hi:[0,0,1]
	s_set_vgpr_msb 1                        ;  msbs: dst=0 src0=1 src1=0 src2=0
	ds_load_2addr_b32 v[146:147], v22 /*v278*/ offset0:12 offset1:13
	ds_load_2addr_b32 v[136:137], v22 /*v278*/ offset0:14 offset1:15
	s_set_vgpr_msb 4                        ;  msbs: dst=0 src0=0 src1=1 src2=0
	v_dot4_i32_iu8 v11, v239, v46 /*v302*/, v11 neg_lo:[1,1,0]
	s_set_vgpr_msb 64                       ;  msbs: dst=1 src0=0 src1=0 src2=0
	v_perm_b32 v46 /*v302*/, v10, v10, 0xc0c0100
	s_set_vgpr_msb 0                        ;  msbs: dst=0 src0=0 src1=0 src2=0
	v_pk_add_f32 v[64:65], v[64:65], v[20:21]
	v_perm_b32 v20, v245, v244, 0x4030201
	v_perm_b32 v21, v246, v245, 0x4030201
	s_set_vgpr_msb 4                        ;  msbs: dst=0 src0=0 src1=1 src2=0
	v_dot4_i32_iu8 v16, v240, v48 /*v304*/, v11 neg_lo:[1,1,0]
	s_set_vgpr_msb 0                        ;  msbs: dst=0 src0=0 src1=0 src2=0
	v_mul_i32_i24_e32 v11, v213, v130
	s_set_vgpr_msb 64                       ;  msbs: dst=1 src0=0 src1=0 src2=0
	v_perm_b32 v48 /*v304*/, v10, v10, 0xc0c0302
	s_set_vgpr_msb 5                        ;  msbs: dst=0 src0=1 src1=1 src2=0
	v_perm_b32 v244, v27 /*v283*/, v26 /*v282*/, 0x4030201
	s_set_vgpr_msb 4                        ;  msbs: dst=0 src0=0 src1=1 src2=0
	v_perm_b32 v245, v132, v27 /*v283*/, 0x4030201
	s_set_vgpr_msb 0                        ;  msbs: dst=0 src0=0 src1=0 src2=0
	v_mad_i32_i24 v11, v214, v142, v11
	s_set_vgpr_msb 1                        ;  msbs: dst=0 src0=1 src1=0 src2=0
	v_cvt_f32_ubyte1_e32 v142, v39 /*v295*/
	s_set_vgpr_msb 0                        ;  msbs: dst=0 src0=0 src1=0 src2=0
	s_delay_alu instid0(VALU_DEP_2) | instskip(SKIP_3) | instid1(VALU_DEP_2)
	v_dot4_i32_iu8 v11, v215, v12, v11 neg_lo:[1,1,0]
	v_perm_b32 v12, v14, v13, 0x5040302
	s_wait_dscnt 0x0
	v_bfe_i32 v19, v137, 0, 8
	v_dot4_i32_iu8 v11, v216, v12, v11 neg_lo:[1,1,0]
	v_perm_b32 v12, v15, v14, 0x5040302
	s_delay_alu instid0(VALU_DEP_1) | instskip(SKIP_4) | instid1(VALU_DEP_4)
	v_dot4_i32_iu8 v11, v217, v12, v11 neg_lo:[1,1,0]
	v_perm_b32 v12, v0, v15, 0x5040302
	v_perm_b32 v0, v1, v0, 0x5040302
	;; [unrolled: 1-line block ×4, first 2 shown]
	v_dot4_i32_iu8 v11, v218, v12, v11 neg_lo:[1,1,0]
	s_delay_alu instid0(VALU_DEP_1) | instskip(NEXT) | instid1(VALU_DEP_1)
	v_dot4_i32_iu8 v0, v219, v0, v11 neg_lo:[1,1,0]
	v_dot4_i32_iu8 v235, v221, v1, v0 neg_lo:[1,1,0]
	s_set_vgpr_msb 1                        ;  msbs: dst=0 src0=1 src1=0 src2=0
	v_dot4_i32_iu8 v0, v26 /*v282*/, v4, 0 neg_lo:[1,1,0]
	s_set_vgpr_msb 0                        ;  msbs: dst=0 src0=0 src1=0 src2=0
	v_perm_b32 v1, v146, v146, 0xc0c0100
	s_set_vgpr_msb 1                        ;  msbs: dst=0 src0=1 src1=0 src2=0
	s_delay_alu instid0(VALU_DEP_2) | instskip(SKIP_1) | instid1(VALU_DEP_1)
	v_dot4_i32_iu8 v0, v27 /*v283*/, v5, v0 neg_lo:[1,1,0]
	s_set_vgpr_msb 0                        ;  msbs: dst=0 src0=0 src1=0 src2=0
	v_dot4_i32_iu8 v0, v132, v6, v0 neg_lo:[1,1,0]
	s_delay_alu instid0(VALU_DEP_1) | instskip(NEXT) | instid1(VALU_DEP_1)
	v_dot4_i32_iu8 v0, v133, v7, v0 neg_lo:[1,1,0]
	v_dot4_i32_iu8 v0, v120, v1, v0 neg_lo:[1,1,0]
	v_perm_b32 v1, v146, v146, 0xc0c0302
	s_delay_alu instid0(VALU_DEP_1) | instskip(SKIP_2) | instid1(VALU_DEP_1)
	v_dot4_i32_iu8 v0, v145, v1, v0 neg_lo:[1,1,0]
	v_perm_b32 v1, v147, v147, 0xc0c0100
	s_set_vgpr_msb 1                        ;  msbs: dst=0 src0=1 src1=0 src2=0
	v_dot4_i32_iu8 v0, v41 /*v297*/, v1, v0 neg_lo:[1,1,0]
	s_set_vgpr_msb 0                        ;  msbs: dst=0 src0=0 src1=0 src2=0
	v_perm_b32 v1, v147, v147, 0xc0c0302
	s_set_vgpr_msb 1                        ;  msbs: dst=0 src0=1 src1=0 src2=0
	s_delay_alu instid0(VALU_DEP_1) | instskip(SKIP_3) | instid1(VALU_DEP_1)
	v_dot4_i32_iu8 v0, v44 /*v300*/, v1, v0 neg_lo:[1,1,0]
	s_set_vgpr_msb 0                        ;  msbs: dst=0 src0=0 src1=0 src2=0
	v_perm_b32 v1, v136, v136, 0xc0c0100
	s_set_vgpr_msb 1                        ;  msbs: dst=0 src0=1 src1=0 src2=0
	v_dot4_i32_iu8 v0, v46 /*v302*/, v1, v0 neg_lo:[1,1,0]
	s_set_vgpr_msb 0                        ;  msbs: dst=0 src0=0 src1=0 src2=0
	v_perm_b32 v1, v136, v136, 0xc0c0302
	s_set_vgpr_msb 0x41                     ;  msbs: dst=1 src0=1 src1=0 src2=0
	s_delay_alu instid0(VALU_DEP_1)
	v_dot4_i32_iu8 v53 /*v309*/, v48 /*v304*/, v1, v0 neg_lo:[1,1,0]
	s_set_vgpr_msb 1                        ;  msbs: dst=0 src0=1 src1=0 src2=0
	ds_load_2addr_b32 v[0:1], v38 /*v294*/ offset1:1
	ds_load_2addr_b32 v[140:141], v38 /*v294*/ offset0:2 offset1:3
	ds_load_b32 v206, v38 /*v294*/ offset:16
	ds_load_b128 v[8:11], v38 /*v294*/ offset:19
	s_set_vgpr_msb 0x41                     ;  msbs: dst=1 src0=1 src1=0 src2=0
	ds_load_b96 v[20:22] /*v[276:278]*/, v38 /*v294*/ offset:35
	s_set_vgpr_msb 1                        ;  msbs: dst=0 src0=1 src1=0 src2=0
	ds_load_b128 v[12:15], v38 /*v294*/ offset:47
	s_set_vgpr_msb 0x41                     ;  msbs: dst=1 src0=1 src1=0 src2=0
	ds_load_i8 v38 /*v294*/, v38 /*v294*/ offset:63
	s_wait_dscnt 0x3
	s_set_vgpr_msb 0                        ;  msbs: dst=0 src0=0 src1=0 src2=0
	v_bfe_i32 v211, v11, 8, 8
	v_bfe_i32 v208, v8, 0, 8
	;; [unrolled: 1-line block ×3, first 2 shown]
	v_perm_b32 v210, v1, v0, 0x4030201
	s_set_vgpr_msb 64                       ;  msbs: dst=1 src0=0 src1=0 src2=0
	v_bfe_i32 v39 /*v295*/, v10, 16, 8
	s_set_vgpr_msb 0                        ;  msbs: dst=0 src0=0 src1=0 src2=0
	v_mul_i32_i24_e32 v130, v207, v130
	s_delay_alu instid0(VALU_DEP_1) | instskip(SKIP_1) | instid1(VALU_DEP_1)
	v_dot4_i32_iu8 v130, v210, v223, v130 neg_lo:[1,1,0]
	v_perm_b32 v210, v140, v1, 0x4030201
	v_dot4_i32_iu8 v130, v210, v241, v130 neg_lo:[1,1,0]
	v_perm_b32 v210, v141, v140, 0x4030201
	s_delay_alu instid0(VALU_DEP_1)
	v_dot4_i32_iu8 v130, v210, v242, v130 neg_lo:[1,1,0]
	s_wait_dscnt 0x2
	s_set_vgpr_msb 1                        ;  msbs: dst=0 src0=1 src1=0 src2=0
	v_perm_b32 v242, v20 /*v276*/, v11, 0x4030201
	s_set_vgpr_msb 0                        ;  msbs: dst=0 src0=0 src1=0 src2=0
	v_perm_b32 v210, v206, v141, 0x4030201
	s_delay_alu instid0(VALU_DEP_2)
	v_dot4_i32_iu8 v4, v242, v4, 0 neg_lo:[1,1,0]
	s_set_vgpr_msb 5                        ;  msbs: dst=0 src0=1 src1=1 src2=0
	v_perm_b32 v242, v21 /*v277*/, v20 /*v276*/, 0x4030201
	s_set_vgpr_msb 0                        ;  msbs: dst=0 src0=0 src1=0 src2=0
	v_dot4_i32_iu8 v130, v210, v250, v130 neg_lo:[1,1,0]
	v_perm_b32 v210, v206, v206, 0xc0c0201
	s_set_vgpr_msb 5                        ;  msbs: dst=0 src0=1 src1=1 src2=0
	v_perm_b32 v250, v25 /*v281*/, v25 /*v281*/, 0xc0c0302
	s_set_vgpr_msb 0                        ;  msbs: dst=0 src0=0 src1=0 src2=0
	v_dot4_i32_iu8 v4, v242, v5, v4 neg_lo:[1,1,0]
	s_set_vgpr_msb 5                        ;  msbs: dst=0 src0=1 src1=1 src2=0
	v_perm_b32 v5, v22 /*v278*/, v21 /*v277*/, 0x4030201
	s_set_vgpr_msb 0                        ;  msbs: dst=0 src0=0 src1=0 src2=0
	v_dot4_i32_iu8 v130, v253, v210, v130 neg_lo:[1,1,0]
	v_perm_b32 v210, v8, v8, 0xc0c0100
	v_perm_b32 v253, v248, v248, 0xc0c0201
	s_set_vgpr_msb 1                        ;  msbs: dst=0 src0=1 src1=0 src2=0
	v_perm_b32 v242, v36 /*v292*/, v18, 0xc040302
	s_set_vgpr_msb 0                        ;  msbs: dst=0 src0=0 src1=0 src2=0
	v_dot4_i32_iu8 v4, v5, v6, v4 neg_lo:[1,1,0]
	s_wait_dscnt 0x1
	s_set_vgpr_msb 4                        ;  msbs: dst=0 src0=0 src1=1 src2=0
	v_perm_b32 v5, v12, v22 /*v278*/, 0x4030201
	s_set_vgpr_msb 0                        ;  msbs: dst=0 src0=0 src1=0 src2=0
	v_dot4_i32_iu8 v130, v254, v210, v130 neg_lo:[1,1,0]
	v_perm_b32 v210, v8, v8, 0xc0c0302
	v_perm_b32 v254, v249, v248, 0x6050403
	;; [unrolled: 1-line block ×3, first 2 shown]
	v_dot4_i32_iu8 v4, v5, v7, v4 neg_lo:[1,1,0]
	v_perm_b32 v5, v12, v12, 0xc0c0201
	v_dot4_i32_iu8 v130, v255, v210, v130 neg_lo:[1,1,0]
	v_perm_b32 v210, v9, v9, 0xc0c0100
	v_perm_b32 v255, v134, v249, 0x6050403
	;; [unrolled: 1-line block ×3, first 2 shown]
	v_dot4_i32_iu8 v4, v120, v5, v4 neg_lo:[1,1,0]
	v_perm_b32 v5, v13, v12, 0xc0c0403
	s_set_vgpr_msb 1                        ;  msbs: dst=0 src0=1 src1=0 src2=0
	v_dot4_i32_iu8 v130, v0 /*v256*/, v210, v130 neg_lo:[1,1,0]
	s_set_vgpr_msb 64                       ;  msbs: dst=1 src0=0 src1=0 src2=0
	v_perm_b32 v0 /*v256*/, v135, v134, 0x6050403
	s_set_vgpr_msb 0                        ;  msbs: dst=0 src0=0 src1=0 src2=0
	v_perm_b32 v210, v9, v9, 0xc0c0302
	v_perm_b32 v134, v247, v246, 0x4030201
	v_dot4_i32_iu8 v4, v145, v5, v4 neg_lo:[1,1,0]
	v_perm_b32 v5, v13, v13, 0xc0c0201
	v_perm_b32 v246, v133, v132, 0x4030201
	s_set_vgpr_msb 1                        ;  msbs: dst=0 src0=1 src1=0 src2=0
	v_dot4_i32_iu8 v130, v1 /*v257*/, v210, v130 neg_lo:[1,1,0]
	s_set_vgpr_msb 0                        ;  msbs: dst=0 src0=0 src1=0 src2=0
	v_perm_b32 v210, v10, v10, 0xc0c0100
	s_set_vgpr_msb 64                       ;  msbs: dst=1 src0=0 src1=0 src2=0
	v_perm_b32 v1 /*v257*/, v224, v224, 0xc0c0201
	s_set_vgpr_msb 1                        ;  msbs: dst=0 src0=1 src1=0 src2=0
	v_dot4_i32_iu8 v4, v41 /*v297*/, v5, v4 neg_lo:[1,1,0]
	s_set_vgpr_msb 0                        ;  msbs: dst=0 src0=0 src1=0 src2=0
	v_perm_b32 v5, v14, v13, 0xc0c0403
	s_set_vgpr_msb 5                        ;  msbs: dst=0 src0=1 src1=1 src2=0
	v_perm_b32 v249, v25 /*v281*/, v24 /*v280*/, 0x5040302
	s_set_vgpr_msb 0x41                     ;  msbs: dst=1 src0=1 src1=0 src2=0
	v_dot4_i32_iu8 v40 /*v296*/, v2 /*v258*/, v210, v130 neg_lo:[1,1,0]
	s_set_vgpr_msb 1                        ;  msbs: dst=0 src0=1 src1=0 src2=0
	ds_load_u16 v130, v37 /*v293*/
	ds_load_u16 v223, v37 /*v293*/ offset:8
	s_set_vgpr_msb 64                       ;  msbs: dst=1 src0=0 src1=0 src2=0
	v_perm_b32 v2 /*v258*/, v225, v224, 0x6050403
	s_set_vgpr_msb 1                        ;  msbs: dst=0 src0=1 src1=0 src2=0
	v_dot4_i32_iu8 v4, v44 /*v300*/, v5, v4 neg_lo:[1,1,0]
	s_set_vgpr_msb 0                        ;  msbs: dst=0 src0=0 src1=0 src2=0
	v_perm_b32 v5, v14, v14, 0xc0c0201
	s_set_vgpr_msb 0x41                     ;  msbs: dst=1 src0=1 src1=0 src2=0
	v_perm_b32 v44 /*v300*/, v16 /*v272*/, v247, 0x4030201
	s_set_vgpr_msb 0x45                     ;  msbs: dst=1 src0=1 src1=1 src2=0
	v_perm_b32 v16 /*v272*/, v17 /*v273*/, v16 /*v272*/, 0x4030201
	v_perm_b32 v17 /*v273*/, v18 /*v274*/, v17 /*v273*/, 0x4030201
	;; [unrolled: 1-line block ×3, first 2 shown]
	s_set_vgpr_msb 1                        ;  msbs: dst=0 src0=1 src1=0 src2=0
	v_dot4_i32_iu8 v4, v46 /*v302*/, v5, v4 neg_lo:[1,1,0]
	s_set_vgpr_msb 0                        ;  msbs: dst=0 src0=0 src1=0 src2=0
	v_perm_b32 v5, v15, v14, 0xc0c0403
	v_perm_b32 v247, v147, v146, 0x4030201
	v_dot4_i32_iu8 v2, v249, v2, v235 neg_lo:[1,1,0]
	v_perm_b32 v147, v137, v137, 0xc030201
	v_perm_b32 v224, v1, v0, 0x6050403
	s_set_vgpr_msb 0x41                     ;  msbs: dst=1 src0=1 src1=0 src2=0
	v_dot4_i32_iu8 v41 /*v297*/, v48 /*v304*/, v5, v4 neg_lo:[1,1,0]
	s_set_vgpr_msb 1                        ;  msbs: dst=0 src0=1 src1=0 src2=0
	v_mul_i32_i24_e32 v4, v42 /*v298*/, v156
	s_set_vgpr_msb 0                        ;  msbs: dst=0 src0=0 src1=0 src2=0
	v_perm_b32 v5, v232, v135, 0x6050403
	s_set_vgpr_msb 4                        ;  msbs: dst=0 src0=0 src1=1 src2=0
	v_dot4_i32_iu8 v2, v250, v61 /*v317*/, v2 neg_lo:[1,1,0]
	s_set_vgpr_msb 64                       ;  msbs: dst=1 src0=0 src1=0 src2=0
	v_bfe_i32 v37 /*v293*/, v15, 8, 8
	s_wait_dscnt 0x1
	s_set_vgpr_msb 1                        ;  msbs: dst=0 src0=1 src1=0 src2=0
	v_lshrrev_b16 v241, 8, v130
	v_dot4_i32_iu8 v4, v45 /*v301*/, v253, v4 neg_lo:[1,1,0]
	v_and_b32_e32 v210, 0xff, v130
	s_wait_dscnt 0x0
	s_set_vgpr_msb 0                        ;  msbs: dst=0 src0=0 src1=0 src2=0
	v_cvt_f32_ubyte0_e32 v130, v223
	v_cvt_f32_ubyte1_e32 v120, v223
	v_and_b32_e32 v145, 0xffff, v241
	s_set_vgpr_msb 1                        ;  msbs: dst=0 src0=1 src1=0 src2=0
	v_dot4_i32_iu8 v4, v47 /*v303*/, v254, v4 neg_lo:[1,1,0]
	s_set_vgpr_msb 0                        ;  msbs: dst=0 src0=0 src1=0 src2=0
	v_perm_b32 v241, v18, v17, 0x5040302
	v_mul_lo_u32 v2, v2, v212
	v_perm_b32 v235, v11, v10, 0xc0c0403
	v_perm_b32 v132, v15, v14, 0x5040302
	s_set_vgpr_msb 1                        ;  msbs: dst=0 src0=1 src1=0 src2=0
	v_dot4_i32_iu8 v4, v55 /*v311*/, v255, v4 neg_lo:[1,1,0]
	s_set_vgpr_msb 0                        ;  msbs: dst=0 src0=0 src1=0 src2=0
	v_dot4_i32_iu8 v16, v241, v234, v16 neg_lo:[1,1,0]
	v_perm_b32 v234, v10, v9, 0x6050403
	s_set_vgpr_msb 5                        ;  msbs: dst=0 src0=1 src1=1 src2=0
	v_dot4_i32_iu8 v4, v56 /*v312*/, v0 /*v256*/, v4 neg_lo:[1,1,0]
	s_set_vgpr_msb 4                        ;  msbs: dst=0 src0=0 src1=1 src2=0
	v_dot4_i32_iu8 v16, v242, v52 /*v308*/, v16 neg_lo:[1,1,0]
	v_cvt_f32_i32_e32 v2, v2
	s_set_vgpr_msb 0                        ;  msbs: dst=0 src0=0 src1=0 src2=0
	v_dot4_i32_iu8 v4, v6, v5, v4 neg_lo:[1,1,0]
	s_set_vgpr_msb 1                        ;  msbs: dst=0 src0=1 src1=0 src2=0
	v_mul_i32_i24_e32 v5, v51 /*v307*/, v204
	s_set_vgpr_msb 0                        ;  msbs: dst=0 src0=0 src1=0 src2=0
	v_mul_lo_u32 v16, v16, v220
	s_set_vgpr_msb 4                        ;  msbs: dst=0 src0=0 src1=1 src2=0
	v_mad_i32_i24 v4, v157, v50 /*v306*/, v4
	s_set_vgpr_msb 0                        ;  msbs: dst=0 src0=0 src1=0 src2=0
	v_dot4_i32_iu8 v5, v20, v205, v5 neg_lo:[1,1,0]
	s_set_vgpr_msb 5                        ;  msbs: dst=0 src0=1 src1=1 src2=0
	s_delay_alu instid0(VALU_DEP_2) | instskip(SKIP_1) | instid1(VALU_DEP_2)
	v_dot4_i32_iu8 v4, v1 /*v257*/, v57 /*v313*/, v4 neg_lo:[1,1,0]
	s_set_vgpr_msb 0                        ;  msbs: dst=0 src0=0 src1=0 src2=0
	v_dot4_i32_iu8 v5, v21, v236, v5 neg_lo:[1,1,0]
	v_cvt_f32_i32_e32 v16, v16
	s_set_vgpr_msb 5                        ;  msbs: dst=0 src0=1 src1=1 src2=0
	v_dot4_i32_iu8 v4, v2 /*v258*/, v58 /*v314*/, v4 neg_lo:[1,1,0]
	s_set_vgpr_msb 0                        ;  msbs: dst=0 src0=0 src1=0 src2=0
	v_dot4_i32_iu8 v5, v134, v237, v5 neg_lo:[1,1,0]
	s_set_vgpr_msb 1                        ;  msbs: dst=0 src0=1 src1=0 src2=0
	s_delay_alu instid0(VALU_DEP_1) | instskip(NEXT) | instid1(VALU_DEP_1)
	v_dot4_i32_iu8 v5, v44 /*v300*/, v238, v5 neg_lo:[1,1,0]
	v_dot4_i32_iu8 v5, v16 /*v272*/, v239, v5 neg_lo:[1,1,0]
	s_delay_alu instid0(VALU_DEP_1)
	v_dot4_i32_iu8 v223, v17 /*v273*/, v240, v5 neg_lo:[1,1,0]
	s_set_vgpr_msb 21                       ;  msbs: dst=0 src0=1 src1=1 src2=1
	v_mad_i32_i24 v5, v3 /*v259*/, v15 /*v271*/, v4 /*v260*/
	s_set_vgpr_msb 64                       ;  msbs: dst=1 src0=0 src1=0 src2=0
	v_perm_b32 v3 /*v259*/, v226, v225, 0x6050403
	v_perm_b32 v4 /*v260*/, v227, v226, 0xc0c0403
	s_set_vgpr_msb 0                        ;  msbs: dst=0 src0=0 src1=0 src2=0
	v_perm_b32 v225, v140, v1, 0x6050403
	s_set_vgpr_msb 1                        ;  msbs: dst=0 src0=1 src1=0 src2=0
	v_dot4_i32_iu8 v17, v18 /*v274*/, v241, v223 neg_lo:[1,1,0]
	s_set_vgpr_msb 0                        ;  msbs: dst=0 src0=0 src1=0 src2=0
	v_perm_b32 v223, v0, v0, 0xc0c0201
	s_set_vgpr_msb 5                        ;  msbs: dst=0 src0=1 src1=1 src2=0
	v_dot4_i32_iu8 v4, v59 /*v315*/, v3 /*v259*/, v4 neg_lo:[1,1,0]
	v_dot4_i32_iu8 v5, v4 /*v260*/, v61 /*v317*/, v5 neg_lo:[1,1,0]
	s_set_vgpr_msb 0                        ;  msbs: dst=0 src0=0 src1=0 src2=0
	v_perm_b32 v140, v141, v140, 0x6050403
	s_set_vgpr_msb 4                        ;  msbs: dst=0 src0=0 src1=1 src2=0
	v_dot4_i32_iu8 v17, v242, v49 /*v305*/, v17 neg_lo:[1,1,0]
	s_set_vgpr_msb 0                        ;  msbs: dst=0 src0=0 src1=0 src2=0
	v_perm_b32 v1, v232, v141, 0x6050403
	s_set_vgpr_msb 5                        ;  msbs: dst=0 src0=1 src1=1 src2=0
	v_dot4_i32_iu8 v4, v4 /*v260*/, v60 /*v316*/, v4 neg_lo:[1,1,0]
	s_set_vgpr_msb 0                        ;  msbs: dst=0 src0=0 src1=0 src2=0
	v_mul_lo_u32 v6, v5, v203
	v_perm_b32 v226, v8, v8, 0xc0c0201
	v_mul_lo_u32 v17, v17, v220
	v_perm_b32 v227, v9, v8, 0x6050403
	v_mul_lo_u32 v4, v4, v203
	s_delay_alu instid0(VALU_DEP_3) | instskip(NEXT) | instid1(VALU_DEP_2)
	v_cvt_f32_i32_e32 v17, v17
	v_cvt_f32_i32_e32 v5, v4
	;; [unrolled: 1-line block ×3, first 2 shown]
	s_set_vgpr_msb 4                        ;  msbs: dst=0 src0=0 src1=1 src2=0
	v_pk_fma_f32 v[6:7], v[128:129], v[30:31] /*v[286:287]*/, 0 op_sel_hi:[0,1,0]
	s_set_vgpr_msb 1                        ;  msbs: dst=0 src0=1 src1=0 src2=0
	s_delay_alu instid0(VALU_DEP_2) | instskip(SKIP_1) | instid1(VALU_DEP_2)
	v_pk_fma_f32 v[4:5], v[28:29] /*v[284:285]*/, v[4:5], 0 op_sel_hi:[1,1,0]
	s_set_vgpr_msb 4                        ;  msbs: dst=0 src0=0 src1=1 src2=0
	v_pk_fma_f32 v[6:7], v[144:145], v[34:35] /*v[290:291]*/, v[6:7] op_sel_hi:[0,1,1]
	s_set_vgpr_msb 1                        ;  msbs: dst=0 src0=1 src1=0 src2=0
	s_delay_alu instid0(VALU_DEP_2) | instskip(SKIP_1) | instid1(VALU_DEP_2)
	v_pk_fma_f32 v[4:5], v[32:33] /*v[288:289]*/, v[16:17], v[4:5]
	s_set_vgpr_msb 0                        ;  msbs: dst=0 src0=0 src1=0 src2=0
	v_pk_mul_f32 v[6:7], v[6:7], v[114:115]
	s_delay_alu instid0(VALU_DEP_1) | instskip(SKIP_2) | instid1(VALU_DEP_3)
	v_pk_fma_f32 v[4:5], v[4:5], v[24:25], v[6:7] neg_lo:[0,0,1] neg_hi:[0,0,1]
	v_perm_b32 v6, v146, v133, 0x4030201
	v_perm_b32 v7, v137, v136, 0x4030201
	v_pk_add_f32 v[62:63], v[62:63], v[4:5]
	s_set_vgpr_msb 1                        ;  msbs: dst=0 src0=1 src1=0 src2=0
	v_mul_i32_i24_e32 v4, v42 /*v298*/, v213
	s_set_vgpr_msb 0                        ;  msbs: dst=0 src0=0 src1=0 src2=0
	v_perm_b32 v5, v229, v228, 0x5040302
	s_set_vgpr_msb 1                        ;  msbs: dst=0 src0=1 src1=0 src2=0
	v_perm_b32 v228, v20 /*v276*/, v11, 0x5040302
	v_mad_i32_i24 v4, v43 /*v299*/, v214, v4
	s_set_vgpr_msb 0                        ;  msbs: dst=0 src0=0 src1=0 src2=0
	s_delay_alu instid0(VALU_DEP_1) | instskip(SKIP_4) | instid1(VALU_DEP_2)
	v_dot4_i32_iu8 v4, v5, v215, v4 neg_lo:[1,1,0]
	v_perm_b32 v5, v230, v229, 0x5040302
	s_set_vgpr_msb 5                        ;  msbs: dst=0 src0=1 src1=1 src2=0
	v_perm_b32 v229, v21 /*v277*/, v20 /*v276*/, 0x5040302
	s_set_vgpr_msb 0                        ;  msbs: dst=0 src0=0 src1=0 src2=0
	v_dot4_i32_iu8 v4, v5, v216, v4 neg_lo:[1,1,0]
	v_perm_b32 v5, v231, v230, 0x5040302
	s_set_vgpr_msb 5                        ;  msbs: dst=0 src0=1 src1=1 src2=0
	v_perm_b32 v230, v22 /*v278*/, v21 /*v277*/, 0x5040302
	s_set_vgpr_msb 0                        ;  msbs: dst=0 src0=0 src1=0 src2=0
	s_delay_alu instid0(VALU_DEP_2) | instskip(SKIP_1) | instid1(VALU_DEP_1)
	v_dot4_i32_iu8 v4, v5, v217, v4 neg_lo:[1,1,0]
	v_perm_b32 v5, v232, v231, 0x5040302
	v_dot4_i32_iu8 v4, v5, v218, v4 neg_lo:[1,1,0]
	v_perm_b32 v5, v233, v232, 0x5040302
	v_perm_b32 v232, v13, v12, 0x5040302
	;; [unrolled: 1-line block ×3, first 2 shown]
	s_delay_alu instid0(VALU_DEP_3) | instskip(SKIP_2) | instid1(VALU_DEP_2)
	v_dot4_i32_iu8 v4, v5, v219, v4 neg_lo:[1,1,0]
	s_set_vgpr_msb 1                        ;  msbs: dst=0 src0=1 src1=0 src2=0
	v_mul_i32_i24_e32 v5, v51 /*v307*/, v222
	v_dot4_i32_iu8 v4, v58 /*v314*/, v221, v4 neg_lo:[1,1,0]
	s_set_vgpr_msb 0                        ;  msbs: dst=0 src0=0 src1=0 src2=0
	s_delay_alu instid0(VALU_DEP_2) | instskip(SKIP_1) | instid1(VALU_DEP_2)
	v_dot4_i32_iu8 v5, v20, v244, v5 neg_lo:[1,1,0]
	s_set_vgpr_msb 1                        ;  msbs: dst=0 src0=1 src1=0 src2=0
	v_dot4_i32_iu8 v3, v59 /*v315*/, v249, v4 neg_lo:[1,1,0]
	s_set_vgpr_msb 0                        ;  msbs: dst=0 src0=0 src1=0 src2=0
	s_delay_alu instid0(VALU_DEP_2) | instskip(SKIP_1) | instid1(VALU_DEP_2)
	v_dot4_i32_iu8 v5, v21, v245, v5 neg_lo:[1,1,0]
	s_set_vgpr_msb 4                        ;  msbs: dst=0 src0=0 src1=1 src2=0
	v_dot4_i32_iu8 v3, v250, v60 /*v316*/, v3 neg_lo:[1,1,0]
	s_set_vgpr_msb 0                        ;  msbs: dst=0 src0=0 src1=0 src2=0
	s_delay_alu instid0(VALU_DEP_2) | instskip(NEXT) | instid1(VALU_DEP_2)
	v_dot4_i32_iu8 v5, v134, v246, v5 neg_lo:[1,1,0]
	v_mul_lo_u32 v3, v3, v212
	s_set_vgpr_msb 1                        ;  msbs: dst=0 src0=1 src1=0 src2=0
	s_delay_alu instid0(VALU_DEP_2) | instskip(NEXT) | instid1(VALU_DEP_1)
	v_dot4_i32_iu8 v5, v44 /*v300*/, v6, v5 neg_lo:[1,1,0]
	v_dot4_i32_iu8 v5, v16 /*v272*/, v247, v5 neg_lo:[1,1,0]
	s_delay_alu instid0(VALU_DEP_1) | instskip(SKIP_1) | instid1(VALU_DEP_4)
	v_dot4_i32_iu8 v6, v17 /*v273*/, v248, v5 neg_lo:[1,1,0]
	s_set_vgpr_msb 4                        ;  msbs: dst=0 src0=0 src1=1 src2=0
	v_cvt_f32_i32_e32 v3, v3
	v_pk_fma_f32 v[4:5], v[138:139], v[30:31] /*v[286:287]*/, 0 op_sel_hi:[0,1,0]
	s_set_vgpr_msb 1                        ;  msbs: dst=0 src0=1 src1=0 src2=0
	v_dot4_i32_iu8 v6, v18 /*v274*/, v7, v6 neg_lo:[1,1,0]
	s_set_vgpr_msb 20                       ;  msbs: dst=0 src0=0 src1=1 src2=1
	v_mad_i32_i24 v7, v19, v23 /*v279*/, v53 /*v309*/
	s_set_vgpr_msb 1                        ;  msbs: dst=0 src0=1 src1=0 src2=0
	v_pk_fma_f32 v[2:3], v[28:29] /*v[284:285]*/, v[2:3], 0 op_sel_hi:[1,1,0]
	s_set_vgpr_msb 4                        ;  msbs: dst=0 src0=0 src1=1 src2=0
	v_pk_fma_f32 v[4:5], v[142:143], v[34:35] /*v[290:291]*/, v[4:5] op_sel_hi:[0,1,1]
	v_dot4_i32_iu8 v6, v147, v49 /*v305*/, v6 neg_lo:[1,1,0]
	v_dot4_i32_iu8 v7, v147, v52 /*v308*/, v7 neg_lo:[1,1,0]
	s_set_vgpr_msb 0                        ;  msbs: dst=0 src0=0 src1=0 src2=0
	s_delay_alu instid0(VALU_DEP_3) | instskip(NEXT) | instid1(VALU_DEP_3)
	v_pk_mul_f32 v[4:5], v[4:5], v[116:117]
	v_mul_lo_u32 v6, v6, v209
	s_delay_alu instid0(VALU_DEP_3) | instskip(NEXT) | instid1(VALU_DEP_2)
	v_mul_lo_u32 v16, v7, v209
	v_cvt_f32_i32_e32 v7, v6
	s_delay_alu instid0(VALU_DEP_2) | instskip(SKIP_1) | instid1(VALU_DEP_1)
	v_cvt_f32_i32_e32 v6, v16
	s_set_vgpr_msb 1                        ;  msbs: dst=0 src0=1 src1=0 src2=0
	v_pk_fma_f32 v[2:3], v[32:33] /*v[288:289]*/, v[6:7], v[2:3]
	s_set_vgpr_msb 0                        ;  msbs: dst=0 src0=0 src1=0 src2=0
	s_delay_alu instid0(VALU_DEP_1) | instskip(SKIP_3) | instid1(VALU_DEP_2)
	v_pk_fma_f32 v[2:3], v[2:3], v[26:27], v[4:5] neg_lo:[0,0,1] neg_hi:[0,0,1]
	s_set_vgpr_msb 21                       ;  msbs: dst=0 src0=1 src1=1 src2=1
	v_mad_i32_i24 v5, v37 /*v293*/, v23 /*v279*/, v41 /*v297*/
	s_set_vgpr_msb 0                        ;  msbs: dst=0 src0=0 src1=0 src2=0
	v_pk_add_f32 v[60:61], v[60:61], v[2:3]
	s_set_vgpr_msb 1                        ;  msbs: dst=0 src0=1 src1=0 src2=0
	v_mul_i32_i24_e32 v2, v42 /*v298*/, v207
	s_delay_alu instid0(VALU_DEP_1) | instskip(NEXT) | instid1(VALU_DEP_1)
	v_dot4_i32_iu8 v2, v45 /*v301*/, v223, v2 neg_lo:[1,1,0]
	v_dot4_i32_iu8 v0, v47 /*v303*/, v224, v2 neg_lo:[1,1,0]
	s_set_vgpr_msb 0                        ;  msbs: dst=0 src0=0 src1=0 src2=0
	v_perm_b32 v2, v206, v231, 0x6050403
	s_set_vgpr_msb 4                        ;  msbs: dst=0 src0=0 src1=1 src2=0
	v_perm_b32 v231, v12, v22 /*v278*/, 0x5040302
	s_set_vgpr_msb 1                        ;  msbs: dst=0 src0=1 src1=0 src2=0
	v_dot4_i32_iu8 v0, v55 /*v311*/, v225, v0 neg_lo:[1,1,0]
	s_delay_alu instid0(VALU_DEP_1) | instskip(SKIP_1) | instid1(VALU_DEP_1)
	v_dot4_i32_iu8 v0, v56 /*v312*/, v140, v0 neg_lo:[1,1,0]
	s_set_vgpr_msb 0                        ;  msbs: dst=0 src0=0 src1=0 src2=0
	v_dot4_i32_iu8 v0, v2, v1, v0 neg_lo:[1,1,0]
	s_set_vgpr_msb 1                        ;  msbs: dst=0 src0=1 src1=0 src2=0
	v_mul_i32_i24_e32 v1, v51 /*v307*/, v211
	s_set_vgpr_msb 4                        ;  msbs: dst=0 src0=0 src1=1 src2=0
	s_delay_alu instid0(VALU_DEP_2) | instskip(SKIP_1) | instid1(VALU_DEP_2)
	v_mad_i32_i24 v0, v208, v50 /*v306*/, v0
	s_set_vgpr_msb 0                        ;  msbs: dst=0 src0=0 src1=0 src2=0
	v_dot4_i32_iu8 v1, v20, v228, v1 neg_lo:[1,1,0]
	s_set_vgpr_msb 4                        ;  msbs: dst=0 src0=0 src1=1 src2=0
	s_delay_alu instid0(VALU_DEP_2) | instskip(SKIP_1) | instid1(VALU_DEP_2)
	v_dot4_i32_iu8 v0, v226, v57 /*v313*/, v0 neg_lo:[1,1,0]
	s_set_vgpr_msb 0                        ;  msbs: dst=0 src0=0 src1=0 src2=0
	v_dot4_i32_iu8 v1, v21, v229, v1 neg_lo:[1,1,0]
	s_set_vgpr_msb 4                        ;  msbs: dst=0 src0=0 src1=1 src2=0
	s_delay_alu instid0(VALU_DEP_2) | instskip(SKIP_1) | instid1(VALU_DEP_2)
	v_dot4_i32_iu8 v0, v227, v58 /*v314*/, v0 neg_lo:[1,1,0]
	s_set_vgpr_msb 0                        ;  msbs: dst=0 src0=0 src1=0 src2=0
	v_dot4_i32_iu8 v1, v134, v230, v1 neg_lo:[1,1,0]
	s_set_vgpr_msb 1                        ;  msbs: dst=0 src0=1 src1=0 src2=0
	v_perm_b32 v134, v38 /*v294*/, v15, 0xc040302
	v_dot4_i32_iu8 v0, v59 /*v315*/, v234, v0 neg_lo:[1,1,0]
	s_delay_alu instid0(VALU_DEP_3) | instskip(SKIP_1) | instid1(VALU_DEP_3)
	v_dot4_i32_iu8 v1, v44 /*v300*/, v231, v1 neg_lo:[1,1,0]
	s_set_vgpr_msb 4                        ;  msbs: dst=0 src0=0 src1=1 src2=0
	v_dot4_i32_iu8 v5, v134, v52 /*v308*/, v5 neg_lo:[1,1,0]
	s_delay_alu instid0(VALU_DEP_3)
	v_dot4_i32_iu8 v0, v235, v60 /*v316*/, v0 neg_lo:[1,1,0]
	s_set_vgpr_msb 1                        ;  msbs: dst=0 src0=1 src1=0 src2=0
	v_dot4_i32_iu8 v1, v16 /*v272*/, v232, v1 neg_lo:[1,1,0]
	s_set_vgpr_msb 0                        ;  msbs: dst=0 src0=0 src1=0 src2=0
	v_mul_lo_u32 v6, v5, v145
	v_mul_lo_u32 v0, v0, v210
	s_set_vgpr_msb 1                        ;  msbs: dst=0 src0=1 src1=0 src2=0
	v_dot4_i32_iu8 v4, v17 /*v273*/, v233, v1 neg_lo:[1,1,0]
	s_set_vgpr_msb 21                       ;  msbs: dst=0 src0=1 src1=1 src2=1
	v_mad_i32_i24 v1, v39 /*v295*/, v15 /*v271*/, v40 /*v296*/
	s_set_vgpr_msb 1                        ;  msbs: dst=0 src0=1 src1=0 src2=0
	s_delay_alu instid0(VALU_DEP_2) | instskip(SKIP_1) | instid1(VALU_DEP_2)
	v_dot4_i32_iu8 v4, v18 /*v274*/, v132, v4 neg_lo:[1,1,0]
	s_set_vgpr_msb 4                        ;  msbs: dst=0 src0=0 src1=1 src2=0
	v_dot4_i32_iu8 v1, v235, v61 /*v317*/, v1 neg_lo:[1,1,0]
	s_delay_alu instid0(VALU_DEP_2) | instskip(SKIP_1) | instid1(VALU_DEP_2)
	v_dot4_i32_iu8 v4, v134, v49 /*v305*/, v4 neg_lo:[1,1,0]
	s_set_vgpr_msb 0                        ;  msbs: dst=0 src0=0 src1=0 src2=0
	v_mul_lo_u32 v2, v1, v210
	v_cvt_f32_i32_e32 v1, v0
	s_delay_alu instid0(VALU_DEP_3) | instskip(NEXT) | instid1(VALU_DEP_3)
	v_mul_lo_u32 v4, v4, v145
	v_cvt_f32_i32_e32 v0, v2
	s_set_vgpr_msb 4                        ;  msbs: dst=0 src0=0 src1=1 src2=0
	v_pk_fma_f32 v[2:3], v[130:131], v[30:31] /*v[286:287]*/, 0 op_sel_hi:[0,1,0]
	s_delay_alu instid0(VALU_DEP_3)
	v_cvt_f32_i32_e32 v5, v4
	s_set_vgpr_msb 1                        ;  msbs: dst=0 src0=1 src1=0 src2=0
	v_pk_fma_f32 v[0:1], v[28:29] /*v[284:285]*/, v[0:1], 0 op_sel_hi:[1,1,0]
	s_set_vgpr_msb 4                        ;  msbs: dst=0 src0=0 src1=1 src2=0
	v_cvt_f32_i32_e32 v4, v6
	v_pk_fma_f32 v[2:3], v[120:121], v[34:35] /*v[290:291]*/, v[2:3] op_sel_hi:[0,1,1]
	s_set_vgpr_msb 1                        ;  msbs: dst=0 src0=1 src1=0 src2=0
	s_delay_alu instid0(VALU_DEP_2) | instskip(SKIP_1) | instid1(VALU_DEP_2)
	v_pk_fma_f32 v[0:1], v[32:33] /*v[288:289]*/, v[4:5], v[0:1]
	s_set_vgpr_msb 0                        ;  msbs: dst=0 src0=0 src1=0 src2=0
	v_pk_mul_f32 v[2:3], v[2:3], v[118:119]
	s_delay_alu instid0(VALU_DEP_1) | instskip(NEXT) | instid1(VALU_DEP_1)
	v_pk_fma_f32 v[0:1], v[0:1], v[110:111], v[2:3] neg_lo:[0,0,1] neg_hi:[0,0,1]
	v_pk_add_f32 v[58:59], v[58:59], v[0:1]
	v_or_b32_e32 v0, s12, v161
	s_delay_alu instid0(VALU_DEP_1)
	v_dual_lshlrev_b32 v1, 2, v0 :: v_dual_lshrrev_b32 v20, 1, v0
	ds_load_b128 v[4:7], v1 offset:33280
	ds_load_b128 v[8:11], v1 offset:33296
	;; [unrolled: 1-line block ×4, first 2 shown]
	s_wait_dscnt 0x3
	v_bfe_i32 v16, v4, 0, 8
	s_set_vgpr_msb 64                       ;  msbs: dst=1 src0=0 src1=0 src2=0
	v_perm_b32 v15 /*v271*/, v4, v4, 0xc0c0201
	v_perm_b32 v16 /*v272*/, v5, v4, 0x6050403
	;; [unrolled: 1-line block ×4, first 2 shown]
	s_set_vgpr_msb 0                        ;  msbs: dst=0 src0=0 src1=0 src2=0
	v_mul_i32_i24_e32 v21, v16, v150
	s_wait_dscnt 0x2
	s_set_vgpr_msb 64                       ;  msbs: dst=1 src0=0 src1=0 src2=0
	v_perm_b32 v19 /*v275*/, v8, v121, 0x6050403
	v_perm_b32 v20 /*v276*/, v148, v7, 0x6050403
	s_set_vgpr_msb 0                        ;  msbs: dst=0 src0=0 src1=0 src2=0
	v_ashrrev_i32_e32 v18, 24, v8
	s_wait_dscnt 0x1
	v_bfe_i32 v19, v12, 0, 8
	s_set_vgpr_msb 5                        ;  msbs: dst=0 src0=1 src1=1 src2=0
	v_dot4_i32_iu8 v21, v15 /*v271*/, v9 /*v265*/, v21 neg_lo:[1,1,0]
	s_set_vgpr_msb 0                        ;  msbs: dst=0 src0=0 src1=0 src2=0
	v_perm_b32 v12, v13, v12, 0x4030201
	v_perm_b32 v13, v14, v13, 0x4030201
	;; [unrolled: 1-line block ×3, first 2 shown]
	s_wait_dscnt 0x0
	s_set_vgpr_msb 64                       ;  msbs: dst=1 src0=0 src1=0 src2=0
	v_perm_b32 v21 /*v277*/, v0, v15, 0x4030201
	s_set_vgpr_msb 5                        ;  msbs: dst=0 src0=1 src1=1 src2=0
	v_dot4_i32_iu8 v21, v16 /*v272*/, v10 /*v266*/, v21 neg_lo:[1,1,0]
	s_set_vgpr_msb 64                       ;  msbs: dst=1 src0=0 src1=0 src2=0
	v_perm_b32 v23 /*v279*/, v1, v0, 0x4030201
	s_set_vgpr_msb 0                        ;  msbs: dst=0 src0=0 src1=0 src2=0
	v_perm_b32 v1, v2, v1, 0x4030201
	s_set_vgpr_msb 64                       ;  msbs: dst=1 src0=0 src1=0 src2=0
	v_perm_b32 v25 /*v281*/, v8, v135, 0x6050403
	v_perm_b32 v26 /*v282*/, v155, v7, 0x6050403
	s_set_vgpr_msb 5                        ;  msbs: dst=0 src0=1 src1=1 src2=0
	v_dot4_i32_iu8 v21, v17 /*v273*/, v11 /*v267*/, v21 neg_lo:[1,1,0]
	s_set_vgpr_msb 0                        ;  msbs: dst=0 src0=0 src1=0 src2=0
	v_bfe_i32 v17, v4, 8, 8
	v_perm_b32 v4, v5, v4, 0x5040302
	v_perm_b32 v5, v6, v5, 0x5040302
	;; [unrolled: 1-line block ×3, first 2 shown]
	s_set_vgpr_msb 5                        ;  msbs: dst=0 src0=1 src1=1 src2=0
	v_dot4_i32_iu8 v21, v18 /*v274*/, v12 /*v268*/, v21 neg_lo:[1,1,0]
	s_set_vgpr_msb 64                       ;  msbs: dst=1 src0=0 src1=0 src2=0
	v_perm_b32 v45 /*v301*/, v11, v10, 0x5040302
	v_perm_b32 v46 /*v302*/, v11, v11, 0xc0c0302
	s_set_vgpr_msb 5                        ;  msbs: dst=0 src0=1 src1=1 src2=0
	v_dot4_i32_iu8 v21, v20 /*v276*/, v19 /*v275*/, v21 neg_lo:[1,1,0]
	s_set_vgpr_msb 64                       ;  msbs: dst=1 src0=0 src1=0 src2=0
	v_perm_b32 v19 /*v275*/, v9, v9, 0xc0c0100
	v_perm_b32 v20 /*v276*/, v10, v9, 0x5040302
	s_set_vgpr_msb 0                        ;  msbs: dst=0 src0=0 src1=0 src2=0
	v_mad_i32_i24 v21, v149, v18, v21
	s_set_vgpr_msb 5                        ;  msbs: dst=0 src0=1 src1=1 src2=0
	s_delay_alu instid0(VALU_DEP_1) | instskip(SKIP_1) | instid1(VALU_DEP_1)
	v_dot4_i32_iu8 v21, v13 /*v269*/, v19 /*v275*/, v21 neg_lo:[1,1,0]
	s_set_vgpr_msb 0x45                     ;  msbs: dst=1 src0=1 src1=1 src2=0
	v_dot4_i32_iu8 v22 /*v278*/, v14 /*v270*/, v20 /*v276*/, v21 neg_lo:[1,1,0]
	s_set_vgpr_msb 0                        ;  msbs: dst=0 src0=0 src1=0 src2=0
	v_mul_i32_i24_e32 v21, v151, v19
	s_delay_alu instid0(VALU_DEP_1) | instskip(NEXT) | instid1(VALU_DEP_1)
	v_dot4_i32_iu8 v21, v152, v12, v21 neg_lo:[1,1,0]
	v_dot4_i32_iu8 v21, v153, v13, v21 neg_lo:[1,1,0]
	s_set_vgpr_msb 1                        ;  msbs: dst=0 src0=1 src1=0 src2=0
	s_delay_alu instid0(VALU_DEP_1) | instskip(SKIP_1) | instid1(VALU_DEP_1)
	v_dot4_i32_iu8 v21, v5 /*v261*/, v14, v21 neg_lo:[1,1,0]
	s_set_vgpr_msb 5                        ;  msbs: dst=0 src0=1 src1=1 src2=0
	v_dot4_i32_iu8 v21, v6 /*v262*/, v21 /*v277*/, v21 neg_lo:[1,1,0]
	s_delay_alu instid0(VALU_DEP_1) | instskip(SKIP_1) | instid1(VALU_DEP_1)
	v_dot4_i32_iu8 v21, v7 /*v263*/, v23 /*v279*/, v21 neg_lo:[1,1,0]
	s_set_vgpr_msb 0x41                     ;  msbs: dst=1 src0=1 src1=0 src2=0
	v_dot4_i32_iu8 v24 /*v280*/, v8 /*v264*/, v1, v21 neg_lo:[1,1,0]
	s_set_vgpr_msb 0                        ;  msbs: dst=0 src0=0 src1=0 src2=0
	v_mul_i32_i24_e32 v21, v16, v156
	s_set_vgpr_msb 1                        ;  msbs: dst=0 src0=1 src1=0 src2=0
	s_delay_alu instid0(VALU_DEP_1) | instskip(NEXT) | instid1(VALU_DEP_1)
	v_dot4_i32_iu8 v21, v15 /*v271*/, v253, v21 neg_lo:[1,1,0]
	v_dot4_i32_iu8 v21, v16 /*v272*/, v254, v21 neg_lo:[1,1,0]
	s_delay_alu instid0(VALU_DEP_1) | instskip(SKIP_1) | instid1(VALU_DEP_1)
	v_dot4_i32_iu8 v21, v17 /*v273*/, v255, v21 neg_lo:[1,1,0]
	s_set_vgpr_msb 5                        ;  msbs: dst=0 src0=1 src1=1 src2=0
	v_dot4_i32_iu8 v21, v18 /*v274*/, v0 /*v256*/, v21 neg_lo:[1,1,0]
	s_delay_alu instid0(VALU_DEP_1) | instskip(SKIP_1) | instid1(VALU_DEP_1)
	v_dot4_i32_iu8 v21, v26 /*v282*/, v25 /*v281*/, v21 neg_lo:[1,1,0]
	s_set_vgpr_msb 0                        ;  msbs: dst=0 src0=0 src1=0 src2=0
	v_mad_i32_i24 v21, v157, v18, v21
	s_set_vgpr_msb 5                        ;  msbs: dst=0 src0=1 src1=1 src2=0
	s_delay_alu instid0(VALU_DEP_1) | instskip(SKIP_1) | instid1(VALU_DEP_1)
	v_dot4_i32_iu8 v21, v1 /*v257*/, v19 /*v275*/, v21 neg_lo:[1,1,0]
	s_set_vgpr_msb 0x45                     ;  msbs: dst=1 src0=1 src1=1 src2=0
	v_dot4_i32_iu8 v25 /*v281*/, v2 /*v258*/, v20 /*v276*/, v21 neg_lo:[1,1,0]
	s_set_vgpr_msb 0                        ;  msbs: dst=0 src0=0 src1=0 src2=0
	v_mul_i32_i24_e32 v21, v19, v204
	s_delay_alu instid0(VALU_DEP_1) | instskip(NEXT) | instid1(VALU_DEP_1)
	v_dot4_i32_iu8 v21, v12, v205, v21 neg_lo:[1,1,0]
	v_dot4_i32_iu8 v21, v13, v236, v21 neg_lo:[1,1,0]
	s_delay_alu instid0(VALU_DEP_1) | instskip(SKIP_1) | instid1(VALU_DEP_1)
	v_dot4_i32_iu8 v21, v14, v237, v21 neg_lo:[1,1,0]
	s_set_vgpr_msb 1                        ;  msbs: dst=0 src0=1 src1=0 src2=0
	v_dot4_i32_iu8 v21, v21 /*v277*/, v238, v21 neg_lo:[1,1,0]
	s_delay_alu instid0(VALU_DEP_1) | instskip(SKIP_1) | instid1(VALU_DEP_1)
	v_dot4_i32_iu8 v21, v23 /*v279*/, v239, v21 neg_lo:[1,1,0]
	s_set_vgpr_msb 64                       ;  msbs: dst=1 src0=0 src1=0 src2=0
	v_dot4_i32_iu8 v26 /*v282*/, v1, v240, v21 neg_lo:[1,1,0]
	s_set_vgpr_msb 0                        ;  msbs: dst=0 src0=0 src1=0 src2=0
	v_mul_i32_i24_e32 v21, v16, v213
	s_delay_alu instid0(VALU_DEP_1) | instskip(NEXT) | instid1(VALU_DEP_1)
	v_mad_i32_i24 v17, v17, v214, v21
	v_dot4_i32_iu8 v4, v4, v215, v17 neg_lo:[1,1,0]
	s_delay_alu instid0(VALU_DEP_1) | instskip(SKIP_1) | instid1(VALU_DEP_1)
	v_dot4_i32_iu8 v4, v5, v216, v4 neg_lo:[1,1,0]
	v_perm_b32 v5, v7, v6, 0x5040302
	v_dot4_i32_iu8 v4, v5, v217, v4 neg_lo:[1,1,0]
	v_perm_b32 v5, v8, v7, 0x5040302
	s_delay_alu instid0(VALU_DEP_1) | instskip(SKIP_1) | instid1(VALU_DEP_1)
	v_dot4_i32_iu8 v4, v5, v218, v4 neg_lo:[1,1,0]
	v_perm_b32 v5, v9, v8, 0x5040302
	v_dot4_i32_iu8 v4, v5, v219, v4 neg_lo:[1,1,0]
	v_perm_b32 v5, v146, v15, 0x4030201
	s_set_vgpr_msb 0x41                     ;  msbs: dst=1 src0=1 src1=0 src2=0
	s_delay_alu instid0(VALU_DEP_2) | instskip(SKIP_2) | instid1(VALU_DEP_1)
	v_dot4_i32_iu8 v27 /*v283*/, v20 /*v276*/, v221, v4 neg_lo:[1,1,0]
	s_set_vgpr_msb 0                        ;  msbs: dst=0 src0=0 src1=0 src2=0
	v_mul_i32_i24_e32 v4, v19, v222
	v_dot4_i32_iu8 v4, v12, v244, v4 neg_lo:[1,1,0]
	s_delay_alu instid0(VALU_DEP_1) | instskip(NEXT) | instid1(VALU_DEP_1)
	v_dot4_i32_iu8 v4, v13, v245, v4 neg_lo:[1,1,0]
	v_dot4_i32_iu8 v4, v14, v246, v4 neg_lo:[1,1,0]
	s_delay_alu instid0(VALU_DEP_1) | instskip(SKIP_3) | instid1(VALU_DEP_3)
	v_dot4_i32_iu8 v0, v5, v0, v4 neg_lo:[1,1,0]
	v_perm_b32 v4, v8, v141, 0x6050403
	v_perm_b32 v5, v206, v7, 0x6050403
	s_set_vgpr_msb 4                        ;  msbs: dst=0 src0=0 src1=1 src2=0
	v_dot4_i32_iu8 v0, v247, v23 /*v279*/, v0 neg_lo:[1,1,0]
	s_set_vgpr_msb 64                       ;  msbs: dst=1 src0=0 src1=0 src2=0
	s_delay_alu instid0(VALU_DEP_1) | instskip(SKIP_3) | instid1(VALU_DEP_1)
	v_dot4_i32_iu8 v28 /*v284*/, v248, v1, v0 neg_lo:[1,1,0]
	s_set_vgpr_msb 0                        ;  msbs: dst=0 src0=0 src1=0 src2=0
	v_mul_i32_i24_e32 v0, v16, v207
	s_set_vgpr_msb 1                        ;  msbs: dst=0 src0=1 src1=0 src2=0
	v_dot4_i32_iu8 v0, v15 /*v271*/, v223, v0 neg_lo:[1,1,0]
	s_delay_alu instid0(VALU_DEP_1) | instskip(NEXT) | instid1(VALU_DEP_1)
	v_dot4_i32_iu8 v0, v16 /*v272*/, v224, v0 neg_lo:[1,1,0]
	v_dot4_i32_iu8 v0, v17 /*v273*/, v225, v0 neg_lo:[1,1,0]
	s_delay_alu instid0(VALU_DEP_1) | instskip(SKIP_1) | instid1(VALU_DEP_1)
	v_dot4_i32_iu8 v0, v18 /*v274*/, v140, v0 neg_lo:[1,1,0]
	s_set_vgpr_msb 0                        ;  msbs: dst=0 src0=0 src1=0 src2=0
	v_dot4_i32_iu8 v0, v5, v4, v0 neg_lo:[1,1,0]
	s_delay_alu instid0(VALU_DEP_1) | instskip(SKIP_1) | instid1(VALU_DEP_1)
	v_mad_i32_i24 v0, v208, v18, v0
	s_set_vgpr_msb 4                        ;  msbs: dst=0 src0=0 src1=1 src2=0
	v_dot4_i32_iu8 v0, v226, v19 /*v275*/, v0 neg_lo:[1,1,0]
	s_set_vgpr_msb 0x44                     ;  msbs: dst=1 src0=0 src1=1 src2=0
	s_delay_alu instid0(VALU_DEP_1) | instskip(SKIP_2) | instid1(VALU_DEP_1)
	v_dot4_i32_iu8 v15 /*v271*/, v227, v20 /*v276*/, v0 neg_lo:[1,1,0]
	s_set_vgpr_msb 0                        ;  msbs: dst=0 src0=0 src1=0 src2=0
	v_mul_i32_i24_e32 v0, v19, v211
	v_dot4_i32_iu8 v0, v12, v228, v0 neg_lo:[1,1,0]
	s_delay_alu instid0(VALU_DEP_1) | instskip(NEXT) | instid1(VALU_DEP_1)
	v_dot4_i32_iu8 v0, v13, v229, v0 neg_lo:[1,1,0]
	v_dot4_i32_iu8 v0, v14, v230, v0 neg_lo:[1,1,0]
	s_set_vgpr_msb 4                        ;  msbs: dst=0 src0=0 src1=1 src2=0
	s_delay_alu instid0(VALU_DEP_1) | instskip(NEXT) | instid1(VALU_DEP_1)
	v_dot4_i32_iu8 v0, v231, v21 /*v277*/, v0 neg_lo:[1,1,0]
	v_dot4_i32_iu8 v0, v232, v23 /*v279*/, v0 neg_lo:[1,1,0]
	s_set_vgpr_msb 64                       ;  msbs: dst=1 src0=0 src1=0 src2=0
	s_delay_alu instid0(VALU_DEP_1) | instskip(SKIP_2) | instid1(VALU_DEP_1)
	v_dot4_i32_iu8 v23 /*v279*/, v233, v1, v0 neg_lo:[1,1,0]
	s_set_vgpr_msb 0                        ;  msbs: dst=0 src0=0 src1=0 src2=0
	v_or_b32_e32 v0, s12, v162
	v_dual_lshlrev_b32 v1, 2, v0 :: v_dual_lshrrev_b32 v8, 1, v0
	ds_load_b128 v[4:7], v1 offset:33280
	ds_load_b128 v[12:15], v1 offset:33296
	;; [unrolled: 1-line block ×3, first 2 shown]
	s_set_vgpr_msb 64                       ;  msbs: dst=1 src0=0 src1=0 src2=0
	ds_load_b128 v[16:19] /*v[272:275]*/, v1 offset:33328
	s_wait_dscnt 0x3
	v_bfe_i32 v29 /*v285*/, v4, 0, 8
	v_perm_b32 v33 /*v289*/, v4, v4, 0xc0c0201
	v_perm_b32 v34 /*v290*/, v5, v4, 0x6050403
	;; [unrolled: 1-line block ×4, first 2 shown]
	s_set_vgpr_msb 1                        ;  msbs: dst=0 src0=1 src1=0 src2=0
	v_mul_i32_i24_e32 v0, v29 /*v285*/, v150
	s_wait_dscnt 0x2
	s_set_vgpr_msb 0                        ;  msbs: dst=0 src0=0 src1=0 src2=0
	v_perm_b32 v1, v12, v121, 0x6050403
	v_perm_b32 v9, v148, v7, 0x6050403
	s_set_vgpr_msb 64                       ;  msbs: dst=1 src0=0 src1=0 src2=0
	v_ashrrev_i32_e32 v31 /*v287*/, 24, v12
	v_perm_b32 v37 /*v293*/, v13, v13, 0xc0c0100
	s_set_vgpr_msb 5                        ;  msbs: dst=0 src0=1 src1=1 src2=0
	v_dot4_i32_iu8 v0, v33 /*v289*/, v9 /*v265*/, v0 neg_lo:[1,1,0]
	s_wait_dscnt 0x1
	s_set_vgpr_msb 64                       ;  msbs: dst=1 src0=0 src1=0 src2=0
	v_bfe_i32 v32 /*v288*/, v16, 0, 8
	v_perm_b32 v38 /*v294*/, v14, v13, 0x5040302
	v_perm_b32 v40 /*v296*/, v17, v16, 0x4030201
	;; [unrolled: 1-line block ×3, first 2 shown]
	s_set_vgpr_msb 5                        ;  msbs: dst=0 src0=1 src1=1 src2=0
	v_dot4_i32_iu8 v0, v34 /*v290*/, v10 /*v266*/, v0 neg_lo:[1,1,0]
	s_set_vgpr_msb 0                        ;  msbs: dst=0 src0=0 src1=0 src2=0
	v_perm_b32 v18, v19, v18, 0x4030201
	s_wait_dscnt 0x0
	s_set_vgpr_msb 0x41                     ;  msbs: dst=1 src0=1 src1=0 src2=0
	v_perm_b32 v42 /*v298*/, v16 /*v272*/, v19, 0x4030201
	s_set_vgpr_msb 0x45                     ;  msbs: dst=1 src0=1 src1=1 src2=0
	v_perm_b32 v43 /*v299*/, v17 /*v273*/, v16 /*v272*/, 0x4030201
	v_perm_b32 v17 /*v273*/, v18 /*v274*/, v17 /*v273*/, 0x4030201
	s_set_vgpr_msb 5                        ;  msbs: dst=0 src0=1 src1=1 src2=0
	v_dot4_i32_iu8 v0, v35 /*v291*/, v11 /*v267*/, v0 neg_lo:[1,1,0]
	s_set_vgpr_msb 64                       ;  msbs: dst=1 src0=0 src1=0 src2=0
	v_bfe_i32 v30 /*v286*/, v4, 8, 8
	s_set_vgpr_msb 0                        ;  msbs: dst=0 src0=0 src1=0 src2=0
	v_perm_b32 v4, v5, v4, 0x5040302
	v_perm_b32 v5, v6, v5, 0x5040302
	s_set_vgpr_msb 5                        ;  msbs: dst=0 src0=1 src1=1 src2=0
	v_dot4_i32_iu8 v0, v36 /*v292*/, v12 /*v268*/, v0 neg_lo:[1,1,0]
	s_set_vgpr_msb 0                        ;  msbs: dst=0 src0=0 src1=0 src2=0
	s_delay_alu instid0(VALU_DEP_1) | instskip(SKIP_1) | instid1(VALU_DEP_1)
	v_dot4_i32_iu8 v0, v9, v1, v0 neg_lo:[1,1,0]
	s_set_vgpr_msb 4                        ;  msbs: dst=0 src0=0 src1=1 src2=0
	v_mad_i32_i24 v0, v149, v31 /*v287*/, v0
	s_set_vgpr_msb 5                        ;  msbs: dst=0 src0=1 src1=1 src2=0
	s_delay_alu instid0(VALU_DEP_1) | instskip(SKIP_1) | instid1(VALU_DEP_1)
	v_dot4_i32_iu8 v0, v13 /*v269*/, v37 /*v293*/, v0 neg_lo:[1,1,0]
	s_set_vgpr_msb 0x45                     ;  msbs: dst=1 src0=1 src1=1 src2=0
	v_dot4_i32_iu8 v39 /*v295*/, v14 /*v270*/, v38 /*v294*/, v0 neg_lo:[1,1,0]
	s_set_vgpr_msb 4                        ;  msbs: dst=0 src0=0 src1=1 src2=0
	v_mul_i32_i24_e32 v0, v151, v32 /*v288*/
	s_delay_alu instid0(VALU_DEP_1) | instskip(NEXT) | instid1(VALU_DEP_1)
	v_dot4_i32_iu8 v0, v152, v40 /*v296*/, v0 neg_lo:[1,1,0]
	v_dot4_i32_iu8 v0, v153, v41 /*v297*/, v0 neg_lo:[1,1,0]
	s_set_vgpr_msb 1                        ;  msbs: dst=0 src0=1 src1=0 src2=0
	s_delay_alu instid0(VALU_DEP_1) | instskip(SKIP_1) | instid1(VALU_DEP_1)
	v_dot4_i32_iu8 v0, v5 /*v261*/, v18, v0 neg_lo:[1,1,0]
	s_set_vgpr_msb 5                        ;  msbs: dst=0 src0=1 src1=1 src2=0
	v_dot4_i32_iu8 v0, v6 /*v262*/, v42 /*v298*/, v0 neg_lo:[1,1,0]
	s_delay_alu instid0(VALU_DEP_1) | instskip(SKIP_1) | instid1(VALU_DEP_1)
	v_dot4_i32_iu8 v0, v7 /*v263*/, v43 /*v299*/, v0 neg_lo:[1,1,0]
	s_set_vgpr_msb 0x45                     ;  msbs: dst=1 src0=1 src1=1 src2=0
	v_dot4_i32_iu8 v44 /*v300*/, v8 /*v264*/, v17 /*v273*/, v0 neg_lo:[1,1,0]
	s_set_vgpr_msb 0                        ;  msbs: dst=0 src0=0 src1=0 src2=0
	ds_load_b64 v[0:1], v20 offset:43584
	ds_load_b64 v[8:9], v8 offset:43584
	s_wait_dscnt 0x1
	v_cvt_f32_f16_e32 v16, v0
	s_wait_dscnt 0x0
	v_cvt_f32_f16_e32 v17, v8
	v_lshrrev_b32_e32 v8, 16, v8
	v_lshrrev_b32_e32 v0, 16, v0
	s_set_vgpr_msb 64                       ;  msbs: dst=1 src0=0 src1=0 src2=0
	v_cvt_f32_f16_e64 v21 /*v277*/, v9
	v_cvt_f32_f16_e64 v20 /*v276*/, v1
	s_set_vgpr_msb 0                        ;  msbs: dst=0 src0=0 src1=0 src2=0
	v_cvt_f32_f16_e32 v21, v8
	s_set_vgpr_msb 17                       ;  msbs: dst=0 src0=1 src1=0 src2=1
	v_dot4_i32_iu8 v8, v45 /*v301*/, v252, v22 /*v278*/ neg_lo:[1,1,0]
	s_set_vgpr_msb 64                       ;  msbs: dst=1 src0=0 src1=0 src2=0
	v_perm_b32 v22 /*v278*/, v15, v14, 0x5040302
	s_set_vgpr_msb 0                        ;  msbs: dst=0 src0=0 src1=0 src2=0
	v_cvt_f32_f16_e32 v20, v0
	v_lshrrev_b32_e32 v0, 16, v1
	v_lshrrev_b32_e32 v1, 16, v9
	v_perm_b32 v14, v125, v2, 0x4030201
	s_set_vgpr_msb 17                       ;  msbs: dst=0 src0=1 src1=0 src2=1
	v_dot4_i32_iu8 v9, v22 /*v278*/, v252, v39 /*v295*/ neg_lo:[1,1,0]
	s_set_vgpr_msb 64                       ;  msbs: dst=1 src0=0 src1=0 src2=0
	v_perm_b32 v39 /*v295*/, v15, v15, 0xc0c0302
	s_set_vgpr_msb 0                        ;  msbs: dst=0 src0=0 src1=0 src2=0
	v_perm_b32 v15, v3, v124, 0x4030201
	s_set_vgpr_msb 4                        ;  msbs: dst=0 src0=0 src1=1 src2=0
	v_dot4_i32_iu8 v8, v251, v46 /*v302*/, v8 neg_lo:[1,1,0]
	v_cvt_f32_f16_e32 v1, v1
	v_cvt_f32_f16_e32 v0, v0
	v_dot4_i32_iu8 v9, v251, v39 /*v295*/, v9 neg_lo:[1,1,0]
	s_set_vgpr_msb 16                       ;  msbs: dst=0 src0=0 src1=0 src2=1
	v_dot4_i32_iu8 v14, v15, v14, v24 /*v280*/ neg_lo:[1,1,0]
	s_set_vgpr_msb 4                        ;  msbs: dst=0 src0=0 src1=1 src2=0
	v_perm_b32 v15, v125, v18 /*v274*/, 0x4030201
	s_set_vgpr_msb 0x41                     ;  msbs: dst=1 src0=1 src1=0 src2=0
	v_perm_b32 v24 /*v280*/, v19 /*v275*/, v124, 0x4030201
	s_set_vgpr_msb 0                        ;  msbs: dst=0 src0=0 src1=0 src2=0
	v_mul_lo_u32 v8, v8, v154
	v_mul_lo_u32 v9, v9, v154
	v_pk_fma_f32 v[10:11], v[126:127], v[20:21], 0 op_sel_hi:[0,1,0]
	s_set_vgpr_msb 17                       ;  msbs: dst=0 src0=1 src1=0 src2=1
	v_dot4_i32_iu8 v15, v24 /*v280*/, v15, v44 /*v300*/ neg_lo:[1,1,0]
	s_set_vgpr_msb 0x45                     ;  msbs: dst=1 src0=1 src1=1 src2=0
	v_perm_b32 v24 /*v280*/, v19 /*v275*/, v19 /*v275*/, 0xc070601
	s_set_vgpr_msb 64                       ;  msbs: dst=1 src0=0 src1=0 src2=0
	v_perm_b32 v44 /*v300*/, v3, v3, 0xc070601
	s_set_vgpr_msb 0                        ;  msbs: dst=0 src0=0 src1=0 src2=0
	v_pk_fma_f32 v[10:11], v[122:123], v[0:1], v[10:11] op_sel_hi:[0,1,1]
	s_set_vgpr_msb 4                        ;  msbs: dst=0 src0=0 src1=1 src2=0
	v_dot4_i32_iu8 v15, v243, v24 /*v280*/, v15 neg_lo:[1,1,0]
	v_dot4_i32_iu8 v14, v243, v44 /*v300*/, v14 neg_lo:[1,1,0]
	v_cvt_f32_i32_e32 v9, v9
	v_cvt_f32_i32_e32 v8, v8
	s_set_vgpr_msb 0                        ;  msbs: dst=0 src0=0 src1=0 src2=0
	v_pk_mul_f32 v[10:11], v[10:11], v[112:113]
	v_mul_lo_u32 v15, v15, v123
	v_mul_lo_u32 v14, v14, v123
	v_pk_fma_f32 v[8:9], v[16:17], v[8:9], 0 op_sel_hi:[1,1,0]
	s_delay_alu instid0(VALU_DEP_3) | instskip(NEXT) | instid1(VALU_DEP_3)
	v_cvt_f32_i32_e32 v15, v15
	v_cvt_f32_i32_e32 v14, v14
	s_set_vgpr_msb 1                        ;  msbs: dst=0 src0=1 src1=0 src2=0
	s_delay_alu instid0(VALU_DEP_1) | instskip(SKIP_1) | instid1(VALU_DEP_1)
	v_pk_fma_f32 v[8:9], v[20:21] /*v[276:277]*/, v[14:15], v[8:9]
	s_set_vgpr_msb 0                        ;  msbs: dst=0 src0=0 src1=0 src2=0
	v_pk_fma_f32 v[8:9], v[8:9], v[22:23], v[10:11] neg_lo:[0,0,1] neg_hi:[0,0,1]
	v_perm_b32 v10, v155, v7, 0x6050403
	s_delay_alu instid0(VALU_DEP_2)
	v_pk_add_f32 v[50:51], v[50:51], v[8:9]
	s_set_vgpr_msb 1                        ;  msbs: dst=0 src0=1 src1=0 src2=0
	v_mul_i32_i24_e32 v8, v29 /*v285*/, v156
	s_set_vgpr_msb 0                        ;  msbs: dst=0 src0=0 src1=0 src2=0
	v_perm_b32 v9, v12, v135, 0x6050403
	s_set_vgpr_msb 1                        ;  msbs: dst=0 src0=1 src1=0 src2=0
	s_delay_alu instid0(VALU_DEP_2) | instskip(NEXT) | instid1(VALU_DEP_1)
	v_dot4_i32_iu8 v8, v33 /*v289*/, v253, v8 neg_lo:[1,1,0]
	v_dot4_i32_iu8 v8, v34 /*v290*/, v254, v8 neg_lo:[1,1,0]
	s_delay_alu instid0(VALU_DEP_1) | instskip(SKIP_1) | instid1(VALU_DEP_1)
	v_dot4_i32_iu8 v8, v35 /*v291*/, v255, v8 neg_lo:[1,1,0]
	s_set_vgpr_msb 5                        ;  msbs: dst=0 src0=1 src1=1 src2=0
	v_dot4_i32_iu8 v8, v36 /*v292*/, v0 /*v256*/, v8 neg_lo:[1,1,0]
	s_set_vgpr_msb 0                        ;  msbs: dst=0 src0=0 src1=0 src2=0
	s_delay_alu instid0(VALU_DEP_1) | instskip(SKIP_3) | instid1(VALU_DEP_2)
	v_dot4_i32_iu8 v8, v10, v9, v8 neg_lo:[1,1,0]
	s_set_vgpr_msb 1                        ;  msbs: dst=0 src0=1 src1=0 src2=0
	v_mul_i32_i24_e32 v9, v32 /*v288*/, v204
	s_set_vgpr_msb 4                        ;  msbs: dst=0 src0=0 src1=1 src2=0
	v_mad_i32_i24 v8, v157, v31 /*v287*/, v8
	s_set_vgpr_msb 1                        ;  msbs: dst=0 src0=1 src1=0 src2=0
	s_delay_alu instid0(VALU_DEP_2) | instskip(SKIP_1) | instid1(VALU_DEP_2)
	v_dot4_i32_iu8 v9, v40 /*v296*/, v205, v9 neg_lo:[1,1,0]
	s_set_vgpr_msb 5                        ;  msbs: dst=0 src0=1 src1=1 src2=0
	v_dot4_i32_iu8 v8, v1 /*v257*/, v37 /*v293*/, v8 neg_lo:[1,1,0]
	s_set_vgpr_msb 1                        ;  msbs: dst=0 src0=1 src1=0 src2=0
	s_delay_alu instid0(VALU_DEP_2) | instskip(SKIP_1) | instid1(VALU_DEP_2)
	v_dot4_i32_iu8 v9, v41 /*v297*/, v236, v9 neg_lo:[1,1,0]
	s_set_vgpr_msb 5                        ;  msbs: dst=0 src0=1 src1=1 src2=0
	v_dot4_i32_iu8 v8, v2 /*v258*/, v38 /*v294*/, v8 neg_lo:[1,1,0]
	s_set_vgpr_msb 0                        ;  msbs: dst=0 src0=0 src1=0 src2=0
	s_delay_alu instid0(VALU_DEP_2) | instskip(SKIP_1) | instid1(VALU_DEP_2)
	v_dot4_i32_iu8 v9, v18, v237, v9 neg_lo:[1,1,0]
	s_set_vgpr_msb 5                        ;  msbs: dst=0 src0=1 src1=1 src2=0
	v_dot4_i32_iu8 v8, v22 /*v278*/, v3 /*v259*/, v8 neg_lo:[1,1,0]
	s_set_vgpr_msb 1                        ;  msbs: dst=0 src0=1 src1=0 src2=0
	s_delay_alu instid0(VALU_DEP_2) | instskip(SKIP_1) | instid1(VALU_DEP_2)
	v_dot4_i32_iu8 v9, v42 /*v298*/, v238, v9 neg_lo:[1,1,0]
	s_set_vgpr_msb 5                        ;  msbs: dst=0 src0=1 src1=1 src2=0
	v_dot4_i32_iu8 v8, v4 /*v260*/, v39 /*v295*/, v8 neg_lo:[1,1,0]
	s_set_vgpr_msb 1                        ;  msbs: dst=0 src0=1 src1=0 src2=0
	s_delay_alu instid0(VALU_DEP_2) | instskip(SKIP_1) | instid1(VALU_DEP_2)
	v_dot4_i32_iu8 v9, v43 /*v299*/, v239, v9 neg_lo:[1,1,0]
	s_set_vgpr_msb 0                        ;  msbs: dst=0 src0=0 src1=0 src2=0
	v_mul_lo_u32 v8, v8, v203
	s_set_vgpr_msb 1                        ;  msbs: dst=0 src0=1 src1=0 src2=0
	s_delay_alu instid0(VALU_DEP_2)
	v_dot4_i32_iu8 v14, v17 /*v273*/, v240, v9 neg_lo:[1,1,0]
	s_set_vgpr_msb 21                       ;  msbs: dst=0 src0=1 src1=1 src2=1
	v_dot4_i32_iu8 v9, v45 /*v301*/, v3 /*v259*/, v25 /*v281*/ neg_lo:[1,1,0]
	s_set_vgpr_msb 64                       ;  msbs: dst=1 src0=0 src1=0 src2=0
	v_perm_b32 v25 /*v281*/, v3, v2, 0x4030201
	s_set_vgpr_msb 0                        ;  msbs: dst=0 src0=0 src1=0 src2=0
	v_perm_b32 v2, v137, v2, 0x4030201
	v_perm_b32 v3, v3, v136, 0x4030201
	s_set_vgpr_msb 5                        ;  msbs: dst=0 src0=1 src1=1 src2=0
	v_dot4_i32_iu8 v9, v4 /*v260*/, v46 /*v302*/, v9 neg_lo:[1,1,0]
	s_set_vgpr_msb 17                       ;  msbs: dst=0 src0=1 src1=0 src2=1
	v_dot4_i32_iu8 v15, v25 /*v281*/, v241, v26 /*v282*/ neg_lo:[1,1,0]
	s_set_vgpr_msb 0x45                     ;  msbs: dst=1 src0=1 src1=1 src2=0
	v_perm_b32 v26 /*v282*/, v19 /*v275*/, v18 /*v274*/, 0x4030201
	s_set_vgpr_msb 16                       ;  msbs: dst=0 src0=0 src1=0 src2=1
	v_dot4_i32_iu8 v2, v3, v2, v28 /*v284*/ neg_lo:[1,1,0]
	s_set_vgpr_msb 4                        ;  msbs: dst=0 src0=0 src1=1 src2=0
	v_perm_b32 v3, v137, v18 /*v274*/, 0x4030201
	s_set_vgpr_msb 0                        ;  msbs: dst=0 src0=0 src1=0 src2=0
	v_mul_lo_u32 v10, v9, v203
	s_set_vgpr_msb 4                        ;  msbs: dst=0 src0=0 src1=1 src2=0
	v_dot4_i32_iu8 v15, v242, v44 /*v300*/, v15 neg_lo:[1,1,0]
	s_set_vgpr_msb 1                        ;  msbs: dst=0 src0=1 src1=0 src2=0
	v_dot4_i32_iu8 v14, v26 /*v282*/, v241, v14 neg_lo:[1,1,0]
	s_set_vgpr_msb 4                        ;  msbs: dst=0 src0=0 src1=1 src2=0
	v_cvt_f32_i32_e32 v9, v8
	v_dot4_i32_iu8 v2, v147, v44 /*v300*/, v2 neg_lo:[1,1,0]
	s_set_vgpr_msb 64                       ;  msbs: dst=1 src0=0 src1=0 src2=0
	v_mul_lo_u32 v47 /*v303*/, v15, v220
	s_set_vgpr_msb 4                        ;  msbs: dst=0 src0=0 src1=1 src2=0
	v_dot4_i32_iu8 v14, v242, v24 /*v280*/, v14 neg_lo:[1,1,0]
	s_set_vgpr_msb 0                        ;  msbs: dst=0 src0=0 src1=0 src2=0
	v_mul_lo_u32 v2, v2, v209
	v_cvt_f32_i32_e32 v8, v10
	s_delay_alu instid0(VALU_DEP_3) | instskip(SKIP_1) | instid1(VALU_DEP_3)
	v_mul_lo_u32 v14, v14, v220
	v_pk_fma_f32 v[10:11], v[128:129], v[20:21], 0 op_sel_hi:[0,1,0]
	v_pk_fma_f32 v[8:9], v[16:17], v[8:9], 0 op_sel_hi:[1,1,0]
	s_delay_alu instid0(VALU_DEP_2)
	v_pk_fma_f32 v[10:11], v[144:145], v[0:1], v[10:11] op_sel_hi:[0,1,1]
	v_cvt_f32_i32_e32 v2, v2
	v_cvt_f32_i32_e32 v15, v14
	s_set_vgpr_msb 1                        ;  msbs: dst=0 src0=1 src1=0 src2=0
	v_cvt_f32_i32_e32 v14, v47 /*v303*/
	s_set_vgpr_msb 0                        ;  msbs: dst=0 src0=0 src1=0 src2=0
	v_pk_mul_f32 v[10:11], v[10:11], v[114:115]
	s_set_vgpr_msb 1                        ;  msbs: dst=0 src0=1 src1=0 src2=0
	s_delay_alu instid0(VALU_DEP_2) | instskip(SKIP_1) | instid1(VALU_DEP_1)
	v_pk_fma_f32 v[8:9], v[20:21] /*v[276:277]*/, v[14:15], v[8:9]
	s_set_vgpr_msb 0                        ;  msbs: dst=0 src0=0 src1=0 src2=0
	v_pk_fma_f32 v[8:9], v[8:9], v[24:25], v[10:11] neg_lo:[0,0,1] neg_hi:[0,0,1]
	s_set_vgpr_msb 1                        ;  msbs: dst=0 src0=1 src1=0 src2=0
	v_perm_b32 v10, v19 /*v275*/, v136, 0x4030201
	s_set_vgpr_msb 0                        ;  msbs: dst=0 src0=0 src1=0 src2=0
	s_delay_alu instid0(VALU_DEP_2) | instskip(SKIP_2) | instid1(VALU_DEP_1)
	v_pk_add_f32 v[48:49], v[48:49], v[8:9]
	s_set_vgpr_msb 1                        ;  msbs: dst=0 src0=1 src1=0 src2=0
	v_mul_i32_i24_e32 v8, v29 /*v285*/, v213
	v_mad_i32_i24 v8, v30 /*v286*/, v214, v8
	s_set_vgpr_msb 0                        ;  msbs: dst=0 src0=0 src1=0 src2=0
	s_delay_alu instid0(VALU_DEP_1) | instskip(SKIP_1) | instid1(VALU_DEP_2)
	v_dot4_i32_iu8 v4, v4, v215, v8 neg_lo:[1,1,0]
	v_perm_b32 v8, v146, v19, 0x4030201
	v_dot4_i32_iu8 v4, v5, v216, v4 neg_lo:[1,1,0]
	v_perm_b32 v5, v7, v6, 0x5040302
	s_set_vgpr_msb 1                        ;  msbs: dst=0 src0=1 src1=0 src2=0
	v_perm_b32 v6, v16 /*v272*/, v133, 0x4030201
	s_set_vgpr_msb 0                        ;  msbs: dst=0 src0=0 src1=0 src2=0
	s_delay_alu instid0(VALU_DEP_2) | instskip(SKIP_1) | instid1(VALU_DEP_1)
	v_dot4_i32_iu8 v4, v5, v217, v4 neg_lo:[1,1,0]
	v_perm_b32 v5, v12, v7, 0x5040302
	v_dot4_i32_iu8 v4, v5, v218, v4 neg_lo:[1,1,0]
	v_perm_b32 v5, v13, v12, 0x5040302
	s_delay_alu instid0(VALU_DEP_1) | instskip(SKIP_2) | instid1(VALU_DEP_2)
	v_dot4_i32_iu8 v4, v5, v219, v4 neg_lo:[1,1,0]
	s_set_vgpr_msb 1                        ;  msbs: dst=0 src0=1 src1=0 src2=0
	v_mul_i32_i24_e32 v5, v32 /*v288*/, v222
	v_dot4_i32_iu8 v4, v38 /*v294*/, v221, v4 neg_lo:[1,1,0]
	s_delay_alu instid0(VALU_DEP_2) | instskip(NEXT) | instid1(VALU_DEP_2)
	v_dot4_i32_iu8 v5, v40 /*v296*/, v244, v5 neg_lo:[1,1,0]
	v_dot4_i32_iu8 v4, v22 /*v278*/, v249, v4 neg_lo:[1,1,0]
	s_delay_alu instid0(VALU_DEP_2) | instskip(SKIP_1) | instid1(VALU_DEP_2)
	v_dot4_i32_iu8 v5, v41 /*v297*/, v245, v5 neg_lo:[1,1,0]
	s_set_vgpr_msb 4                        ;  msbs: dst=0 src0=0 src1=1 src2=0
	v_dot4_i32_iu8 v4, v250, v39 /*v295*/, v4 neg_lo:[1,1,0]
	s_set_vgpr_msb 0                        ;  msbs: dst=0 src0=0 src1=0 src2=0
	s_delay_alu instid0(VALU_DEP_2) | instskip(NEXT) | instid1(VALU_DEP_2)
	v_dot4_i32_iu8 v5, v18, v246, v5 neg_lo:[1,1,0]
	v_mul_lo_u32 v4, v4, v212
	s_delay_alu instid0(VALU_DEP_2) | instskip(SKIP_1) | instid1(VALU_DEP_1)
	v_dot4_i32_iu8 v5, v8, v6, v5 neg_lo:[1,1,0]
	s_set_vgpr_msb 4                        ;  msbs: dst=0 src0=0 src1=1 src2=0
	v_dot4_i32_iu8 v5, v247, v43 /*v299*/, v5 neg_lo:[1,1,0]
	s_delay_alu instid0(VALU_DEP_1) | instskip(SKIP_3) | instid1(VALU_DEP_2)
	v_dot4_i32_iu8 v6, v248, v17 /*v273*/, v5 neg_lo:[1,1,0]
	s_set_vgpr_msb 17                       ;  msbs: dst=0 src0=1 src1=0 src2=1
	v_dot4_i32_iu8 v5, v45 /*v301*/, v249, v27 /*v283*/ neg_lo:[1,1,0]
	s_set_vgpr_msb 0                        ;  msbs: dst=0 src0=0 src1=0 src2=0
	v_dot4_i32_iu8 v3, v10, v3, v6 neg_lo:[1,1,0]
	s_set_vgpr_msb 4                        ;  msbs: dst=0 src0=0 src1=1 src2=0
	s_delay_alu instid0(VALU_DEP_2) | instskip(NEXT) | instid1(VALU_DEP_2)
	v_dot4_i32_iu8 v5, v250, v46 /*v302*/, v5 neg_lo:[1,1,0]
	v_dot4_i32_iu8 v3, v147, v24 /*v280*/, v3 neg_lo:[1,1,0]
	s_set_vgpr_msb 0                        ;  msbs: dst=0 src0=0 src1=0 src2=0
	s_delay_alu instid0(VALU_DEP_2) | instskip(SKIP_1) | instid1(VALU_DEP_3)
	v_mul_lo_u32 v8, v5, v212
	v_cvt_f32_i32_e32 v5, v4
	v_mul_lo_u32 v3, v3, v209
	s_delay_alu instid0(VALU_DEP_3) | instskip(SKIP_1) | instid1(VALU_DEP_3)
	v_cvt_f32_i32_e32 v4, v8
	v_pk_fma_f32 v[8:9], v[138:139], v[20:21], 0 op_sel_hi:[0,1,0]
	v_cvt_f32_i32_e32 v3, v3
	s_delay_alu instid0(VALU_DEP_3) | instskip(SKIP_1) | instid1(VALU_DEP_1)
	v_pk_fma_f32 v[4:5], v[16:17], v[4:5], 0 op_sel_hi:[1,1,0]
	s_set_vgpr_msb 1                        ;  msbs: dst=0 src0=1 src1=0 src2=0
	v_pk_fma_f32 v[2:3], v[20:21] /*v[276:277]*/, v[2:3], v[4:5]
	s_set_vgpr_msb 0                        ;  msbs: dst=0 src0=0 src1=0 src2=0
	v_pk_fma_f32 v[4:5], v[142:143], v[0:1], v[8:9] op_sel_hi:[0,1,1]
	s_delay_alu instid0(VALU_DEP_1) | instskip(NEXT) | instid1(VALU_DEP_1)
	v_pk_mul_f32 v[4:5], v[4:5], v[116:117]
	v_pk_fma_f32 v[2:3], v[2:3], v[26:27], v[4:5] neg_lo:[0,0,1] neg_hi:[0,0,1]
	v_perm_b32 v4, v206, v7, 0x6050403
	s_set_vgpr_msb 17                       ;  msbs: dst=0 src0=1 src1=0 src2=1
	v_dot4_i32_iu8 v7, v25 /*v281*/, v132, v23 /*v279*/ neg_lo:[1,1,0]
	s_set_vgpr_msb 0                        ;  msbs: dst=0 src0=0 src1=0 src2=0
	v_pk_add_f32 v[46:47], v[46:47], v[2:3]
	s_set_vgpr_msb 1                        ;  msbs: dst=0 src0=1 src1=0 src2=0
	v_mul_i32_i24_e32 v2, v29 /*v285*/, v207
	s_set_vgpr_msb 0                        ;  msbs: dst=0 src0=0 src1=0 src2=0
	v_perm_b32 v3, v12, v141, 0x6050403
	s_set_vgpr_msb 4                        ;  msbs: dst=0 src0=0 src1=1 src2=0
	v_dot4_i32_iu8 v7, v134, v44 /*v300*/, v7 neg_lo:[1,1,0]
	s_set_vgpr_msb 1                        ;  msbs: dst=0 src0=1 src1=0 src2=0
	v_dot4_i32_iu8 v2, v33 /*v289*/, v223, v2 neg_lo:[1,1,0]
	s_set_vgpr_msb 0                        ;  msbs: dst=0 src0=0 src1=0 src2=0
	s_delay_alu instid0(VALU_DEP_2) | instskip(SKIP_1) | instid1(VALU_DEP_2)
	v_mul_lo_u32 v8, v7, v145
	s_set_vgpr_msb 1                        ;  msbs: dst=0 src0=1 src1=0 src2=0
	v_dot4_i32_iu8 v2, v34 /*v290*/, v224, v2 neg_lo:[1,1,0]
	s_delay_alu instid0(VALU_DEP_1) | instskip(NEXT) | instid1(VALU_DEP_1)
	v_dot4_i32_iu8 v2, v35 /*v291*/, v225, v2 neg_lo:[1,1,0]
	v_dot4_i32_iu8 v2, v36 /*v292*/, v140, v2 neg_lo:[1,1,0]
	s_set_vgpr_msb 0                        ;  msbs: dst=0 src0=0 src1=0 src2=0
	s_delay_alu instid0(VALU_DEP_1) | instskip(SKIP_3) | instid1(VALU_DEP_2)
	v_dot4_i32_iu8 v2, v4, v3, v2 neg_lo:[1,1,0]
	s_set_vgpr_msb 1                        ;  msbs: dst=0 src0=1 src1=0 src2=0
	v_mul_i32_i24_e32 v3, v32 /*v288*/, v211
	s_set_vgpr_msb 4                        ;  msbs: dst=0 src0=0 src1=1 src2=0
	v_mad_i32_i24 v2, v208, v31 /*v287*/, v2
	s_set_vgpr_msb 1                        ;  msbs: dst=0 src0=1 src1=0 src2=0
	s_delay_alu instid0(VALU_DEP_2) | instskip(SKIP_1) | instid1(VALU_DEP_2)
	v_dot4_i32_iu8 v3, v40 /*v296*/, v228, v3 neg_lo:[1,1,0]
	s_set_vgpr_msb 4                        ;  msbs: dst=0 src0=0 src1=1 src2=0
	v_dot4_i32_iu8 v2, v226, v37 /*v293*/, v2 neg_lo:[1,1,0]
	s_set_vgpr_msb 1                        ;  msbs: dst=0 src0=1 src1=0 src2=0
	s_delay_alu instid0(VALU_DEP_2) | instskip(SKIP_1) | instid1(VALU_DEP_2)
	v_dot4_i32_iu8 v3, v41 /*v297*/, v229, v3 neg_lo:[1,1,0]
	s_set_vgpr_msb 4                        ;  msbs: dst=0 src0=0 src1=1 src2=0
	v_dot4_i32_iu8 v2, v227, v38 /*v294*/, v2 neg_lo:[1,1,0]
	s_set_vgpr_msb 0                        ;  msbs: dst=0 src0=0 src1=0 src2=0
	s_delay_alu instid0(VALU_DEP_2) | instskip(SKIP_1) | instid1(VALU_DEP_2)
	v_dot4_i32_iu8 v3, v18, v230, v3 neg_lo:[1,1,0]
	s_set_vgpr_msb 1                        ;  msbs: dst=0 src0=1 src1=0 src2=0
	v_dot4_i32_iu8 v2, v22 /*v278*/, v234, v2 neg_lo:[1,1,0]
	s_set_vgpr_msb 4                        ;  msbs: dst=0 src0=0 src1=1 src2=0
	s_delay_alu instid0(VALU_DEP_2) | instskip(NEXT) | instid1(VALU_DEP_2)
	v_dot4_i32_iu8 v3, v231, v42 /*v298*/, v3 neg_lo:[1,1,0]
	v_dot4_i32_iu8 v2, v235, v39 /*v295*/, v2 neg_lo:[1,1,0]
	s_delay_alu instid0(VALU_DEP_2) | instskip(SKIP_1) | instid1(VALU_DEP_2)
	v_dot4_i32_iu8 v3, v232, v43 /*v299*/, v3 neg_lo:[1,1,0]
	s_set_vgpr_msb 0                        ;  msbs: dst=0 src0=0 src1=0 src2=0
	v_mul_lo_u32 v2, v2, v210
	s_set_vgpr_msb 4                        ;  msbs: dst=0 src0=0 src1=1 src2=0
	s_delay_alu instid0(VALU_DEP_2) | instskip(SKIP_3) | instid1(VALU_DEP_2)
	v_dot4_i32_iu8 v6, v233, v17 /*v273*/, v3 neg_lo:[1,1,0]
	s_set_vgpr_msb 17                       ;  msbs: dst=0 src0=1 src1=0 src2=1
	v_dot4_i32_iu8 v3, v45 /*v301*/, v234, v15 /*v271*/ neg_lo:[1,1,0]
	s_set_vgpr_msb 1                        ;  msbs: dst=0 src0=1 src1=0 src2=0
	v_dot4_i32_iu8 v6, v26 /*v282*/, v132, v6 neg_lo:[1,1,0]
	s_set_vgpr_msb 4                        ;  msbs: dst=0 src0=0 src1=1 src2=0
	s_delay_alu instid0(VALU_DEP_2) | instskip(NEXT) | instid1(VALU_DEP_2)
	v_dot4_i32_iu8 v3, v235, v46 /*v302*/, v3 neg_lo:[1,1,0]
	v_dot4_i32_iu8 v6, v134, v24 /*v280*/, v6 neg_lo:[1,1,0]
	s_set_vgpr_msb 0                        ;  msbs: dst=0 src0=0 src1=0 src2=0
	s_delay_alu instid0(VALU_DEP_2) | instskip(SKIP_1) | instid1(VALU_DEP_3)
	v_mul_lo_u32 v4, v3, v210
	v_cvt_f32_i32_e32 v3, v2
	v_mul_lo_u32 v6, v6, v145
	s_delay_alu instid0(VALU_DEP_3) | instskip(SKIP_1) | instid1(VALU_DEP_3)
	v_cvt_f32_i32_e32 v2, v4
	v_pk_fma_f32 v[4:5], v[130:131], v[20:21], 0 op_sel_hi:[0,1,0]
	v_cvt_f32_i32_e32 v7, v6
	s_delay_alu instid0(VALU_DEP_3) | instskip(SKIP_1) | instid1(VALU_DEP_4)
	v_pk_fma_f32 v[2:3], v[16:17], v[2:3], 0 op_sel_hi:[1,1,0]
	v_cvt_f32_i32_e32 v6, v8
	v_pk_fma_f32 v[0:1], v[120:121], v[0:1], v[4:5] op_sel_hi:[0,1,1]
	s_set_vgpr_msb 1                        ;  msbs: dst=0 src0=1 src1=0 src2=0
	s_delay_alu instid0(VALU_DEP_2) | instskip(SKIP_1) | instid1(VALU_DEP_2)
	v_pk_fma_f32 v[2:3], v[20:21] /*v[276:277]*/, v[6:7], v[2:3]
	s_set_vgpr_msb 0                        ;  msbs: dst=0 src0=0 src1=0 src2=0
	v_pk_mul_f32 v[0:1], v[0:1], v[118:119]
	s_delay_alu instid0(VALU_DEP_1) | instskip(NEXT) | instid1(VALU_DEP_1)
	v_pk_fma_f32 v[0:1], v[2:3], v[110:111], v[0:1] neg_lo:[0,0,1] neg_hi:[0,0,1]
	v_pk_add_f32 v[44:45], v[44:45], v[0:1]
	v_or_b32_e32 v0, s12, v163
	s_delay_alu instid0(VALU_DEP_1)
	v_dual_lshlrev_b32 v1, 2, v0 :: v_dual_lshrrev_b32 v20, 1, v0
	ds_load_b128 v[4:7], v1 offset:33280
	ds_load_b128 v[8:11], v1 offset:33296
	;; [unrolled: 1-line block ×4, first 2 shown]
	s_wait_dscnt 0x3
	v_bfe_i32 v16, v4, 0, 8
	s_set_vgpr_msb 64                       ;  msbs: dst=1 src0=0 src1=0 src2=0
	v_perm_b32 v15 /*v271*/, v4, v4, 0xc0c0201
	v_perm_b32 v16 /*v272*/, v5, v4, 0x6050403
	;; [unrolled: 1-line block ×4, first 2 shown]
	s_set_vgpr_msb 0                        ;  msbs: dst=0 src0=0 src1=0 src2=0
	v_mul_i32_i24_e32 v21, v16, v150
	s_wait_dscnt 0x2
	s_set_vgpr_msb 64                       ;  msbs: dst=1 src0=0 src1=0 src2=0
	v_perm_b32 v19 /*v275*/, v8, v121, 0x6050403
	v_perm_b32 v20 /*v276*/, v148, v7, 0x6050403
	s_set_vgpr_msb 0                        ;  msbs: dst=0 src0=0 src1=0 src2=0
	v_ashrrev_i32_e32 v18, 24, v8
	s_wait_dscnt 0x1
	v_bfe_i32 v19, v12, 0, 8
	s_set_vgpr_msb 5                        ;  msbs: dst=0 src0=1 src1=1 src2=0
	v_dot4_i32_iu8 v21, v15 /*v271*/, v9 /*v265*/, v21 neg_lo:[1,1,0]
	s_set_vgpr_msb 0                        ;  msbs: dst=0 src0=0 src1=0 src2=0
	v_perm_b32 v12, v13, v12, 0x4030201
	v_perm_b32 v13, v14, v13, 0x4030201
	;; [unrolled: 1-line block ×3, first 2 shown]
	s_wait_dscnt 0x0
	s_set_vgpr_msb 64                       ;  msbs: dst=1 src0=0 src1=0 src2=0
	v_perm_b32 v21 /*v277*/, v0, v15, 0x4030201
	s_set_vgpr_msb 5                        ;  msbs: dst=0 src0=1 src1=1 src2=0
	v_dot4_i32_iu8 v21, v16 /*v272*/, v10 /*v266*/, v21 neg_lo:[1,1,0]
	s_set_vgpr_msb 64                       ;  msbs: dst=1 src0=0 src1=0 src2=0
	v_perm_b32 v23 /*v279*/, v1, v0, 0x4030201
	s_set_vgpr_msb 0                        ;  msbs: dst=0 src0=0 src1=0 src2=0
	v_perm_b32 v1, v2, v1, 0x4030201
	s_set_vgpr_msb 64                       ;  msbs: dst=1 src0=0 src1=0 src2=0
	v_perm_b32 v25 /*v281*/, v8, v135, 0x6050403
	v_perm_b32 v26 /*v282*/, v155, v7, 0x6050403
	s_set_vgpr_msb 5                        ;  msbs: dst=0 src0=1 src1=1 src2=0
	v_dot4_i32_iu8 v21, v17 /*v273*/, v11 /*v267*/, v21 neg_lo:[1,1,0]
	s_set_vgpr_msb 0                        ;  msbs: dst=0 src0=0 src1=0 src2=0
	v_bfe_i32 v17, v4, 8, 8
	v_perm_b32 v4, v5, v4, 0x5040302
	v_perm_b32 v5, v6, v5, 0x5040302
	;; [unrolled: 1-line block ×3, first 2 shown]
	s_set_vgpr_msb 5                        ;  msbs: dst=0 src0=1 src1=1 src2=0
	v_dot4_i32_iu8 v21, v18 /*v274*/, v12 /*v268*/, v21 neg_lo:[1,1,0]
	s_set_vgpr_msb 64                       ;  msbs: dst=1 src0=0 src1=0 src2=0
	v_perm_b32 v45 /*v301*/, v11, v10, 0x5040302
	v_perm_b32 v46 /*v302*/, v11, v11, 0xc0c0302
	s_set_vgpr_msb 5                        ;  msbs: dst=0 src0=1 src1=1 src2=0
	v_dot4_i32_iu8 v21, v20 /*v276*/, v19 /*v275*/, v21 neg_lo:[1,1,0]
	s_set_vgpr_msb 64                       ;  msbs: dst=1 src0=0 src1=0 src2=0
	v_perm_b32 v19 /*v275*/, v9, v9, 0xc0c0100
	v_perm_b32 v20 /*v276*/, v10, v9, 0x5040302
	s_set_vgpr_msb 0                        ;  msbs: dst=0 src0=0 src1=0 src2=0
	v_mad_i32_i24 v21, v149, v18, v21
	s_set_vgpr_msb 5                        ;  msbs: dst=0 src0=1 src1=1 src2=0
	s_delay_alu instid0(VALU_DEP_1) | instskip(SKIP_1) | instid1(VALU_DEP_1)
	v_dot4_i32_iu8 v21, v13 /*v269*/, v19 /*v275*/, v21 neg_lo:[1,1,0]
	s_set_vgpr_msb 0x45                     ;  msbs: dst=1 src0=1 src1=1 src2=0
	v_dot4_i32_iu8 v22 /*v278*/, v14 /*v270*/, v20 /*v276*/, v21 neg_lo:[1,1,0]
	s_set_vgpr_msb 0                        ;  msbs: dst=0 src0=0 src1=0 src2=0
	v_mul_i32_i24_e32 v21, v151, v19
	s_delay_alu instid0(VALU_DEP_1) | instskip(NEXT) | instid1(VALU_DEP_1)
	v_dot4_i32_iu8 v21, v152, v12, v21 neg_lo:[1,1,0]
	v_dot4_i32_iu8 v21, v153, v13, v21 neg_lo:[1,1,0]
	s_set_vgpr_msb 1                        ;  msbs: dst=0 src0=1 src1=0 src2=0
	s_delay_alu instid0(VALU_DEP_1) | instskip(SKIP_1) | instid1(VALU_DEP_1)
	v_dot4_i32_iu8 v21, v5 /*v261*/, v14, v21 neg_lo:[1,1,0]
	s_set_vgpr_msb 5                        ;  msbs: dst=0 src0=1 src1=1 src2=0
	v_dot4_i32_iu8 v21, v6 /*v262*/, v21 /*v277*/, v21 neg_lo:[1,1,0]
	s_delay_alu instid0(VALU_DEP_1) | instskip(SKIP_1) | instid1(VALU_DEP_1)
	v_dot4_i32_iu8 v21, v7 /*v263*/, v23 /*v279*/, v21 neg_lo:[1,1,0]
	s_set_vgpr_msb 0x41                     ;  msbs: dst=1 src0=1 src1=0 src2=0
	v_dot4_i32_iu8 v24 /*v280*/, v8 /*v264*/, v1, v21 neg_lo:[1,1,0]
	s_set_vgpr_msb 0                        ;  msbs: dst=0 src0=0 src1=0 src2=0
	v_mul_i32_i24_e32 v21, v16, v156
	s_set_vgpr_msb 1                        ;  msbs: dst=0 src0=1 src1=0 src2=0
	s_delay_alu instid0(VALU_DEP_1) | instskip(NEXT) | instid1(VALU_DEP_1)
	v_dot4_i32_iu8 v21, v15 /*v271*/, v253, v21 neg_lo:[1,1,0]
	v_dot4_i32_iu8 v21, v16 /*v272*/, v254, v21 neg_lo:[1,1,0]
	s_delay_alu instid0(VALU_DEP_1) | instskip(SKIP_1) | instid1(VALU_DEP_1)
	v_dot4_i32_iu8 v21, v17 /*v273*/, v255, v21 neg_lo:[1,1,0]
	s_set_vgpr_msb 5                        ;  msbs: dst=0 src0=1 src1=1 src2=0
	v_dot4_i32_iu8 v21, v18 /*v274*/, v0 /*v256*/, v21 neg_lo:[1,1,0]
	s_delay_alu instid0(VALU_DEP_1) | instskip(SKIP_1) | instid1(VALU_DEP_1)
	v_dot4_i32_iu8 v21, v26 /*v282*/, v25 /*v281*/, v21 neg_lo:[1,1,0]
	s_set_vgpr_msb 0                        ;  msbs: dst=0 src0=0 src1=0 src2=0
	v_mad_i32_i24 v21, v157, v18, v21
	s_set_vgpr_msb 5                        ;  msbs: dst=0 src0=1 src1=1 src2=0
	s_delay_alu instid0(VALU_DEP_1) | instskip(SKIP_1) | instid1(VALU_DEP_1)
	v_dot4_i32_iu8 v21, v1 /*v257*/, v19 /*v275*/, v21 neg_lo:[1,1,0]
	s_set_vgpr_msb 0x45                     ;  msbs: dst=1 src0=1 src1=1 src2=0
	v_dot4_i32_iu8 v25 /*v281*/, v2 /*v258*/, v20 /*v276*/, v21 neg_lo:[1,1,0]
	s_set_vgpr_msb 0                        ;  msbs: dst=0 src0=0 src1=0 src2=0
	v_mul_i32_i24_e32 v21, v19, v204
	s_delay_alu instid0(VALU_DEP_1) | instskip(NEXT) | instid1(VALU_DEP_1)
	v_dot4_i32_iu8 v21, v12, v205, v21 neg_lo:[1,1,0]
	v_dot4_i32_iu8 v21, v13, v236, v21 neg_lo:[1,1,0]
	s_delay_alu instid0(VALU_DEP_1) | instskip(SKIP_1) | instid1(VALU_DEP_1)
	v_dot4_i32_iu8 v21, v14, v237, v21 neg_lo:[1,1,0]
	s_set_vgpr_msb 1                        ;  msbs: dst=0 src0=1 src1=0 src2=0
	v_dot4_i32_iu8 v21, v21 /*v277*/, v238, v21 neg_lo:[1,1,0]
	s_delay_alu instid0(VALU_DEP_1) | instskip(SKIP_1) | instid1(VALU_DEP_1)
	v_dot4_i32_iu8 v21, v23 /*v279*/, v239, v21 neg_lo:[1,1,0]
	s_set_vgpr_msb 64                       ;  msbs: dst=1 src0=0 src1=0 src2=0
	v_dot4_i32_iu8 v26 /*v282*/, v1, v240, v21 neg_lo:[1,1,0]
	s_set_vgpr_msb 0                        ;  msbs: dst=0 src0=0 src1=0 src2=0
	v_mul_i32_i24_e32 v21, v16, v213
	s_delay_alu instid0(VALU_DEP_1) | instskip(NEXT) | instid1(VALU_DEP_1)
	v_mad_i32_i24 v17, v17, v214, v21
	v_dot4_i32_iu8 v4, v4, v215, v17 neg_lo:[1,1,0]
	s_delay_alu instid0(VALU_DEP_1) | instskip(SKIP_1) | instid1(VALU_DEP_1)
	v_dot4_i32_iu8 v4, v5, v216, v4 neg_lo:[1,1,0]
	v_perm_b32 v5, v7, v6, 0x5040302
	v_dot4_i32_iu8 v4, v5, v217, v4 neg_lo:[1,1,0]
	v_perm_b32 v5, v8, v7, 0x5040302
	s_delay_alu instid0(VALU_DEP_1) | instskip(SKIP_1) | instid1(VALU_DEP_1)
	v_dot4_i32_iu8 v4, v5, v218, v4 neg_lo:[1,1,0]
	v_perm_b32 v5, v9, v8, 0x5040302
	v_dot4_i32_iu8 v4, v5, v219, v4 neg_lo:[1,1,0]
	v_perm_b32 v5, v146, v15, 0x4030201
	s_set_vgpr_msb 0x41                     ;  msbs: dst=1 src0=1 src1=0 src2=0
	s_delay_alu instid0(VALU_DEP_2) | instskip(SKIP_2) | instid1(VALU_DEP_1)
	v_dot4_i32_iu8 v27 /*v283*/, v20 /*v276*/, v221, v4 neg_lo:[1,1,0]
	s_set_vgpr_msb 0                        ;  msbs: dst=0 src0=0 src1=0 src2=0
	v_mul_i32_i24_e32 v4, v19, v222
	v_dot4_i32_iu8 v4, v12, v244, v4 neg_lo:[1,1,0]
	s_delay_alu instid0(VALU_DEP_1) | instskip(NEXT) | instid1(VALU_DEP_1)
	v_dot4_i32_iu8 v4, v13, v245, v4 neg_lo:[1,1,0]
	v_dot4_i32_iu8 v4, v14, v246, v4 neg_lo:[1,1,0]
	s_delay_alu instid0(VALU_DEP_1) | instskip(SKIP_3) | instid1(VALU_DEP_3)
	v_dot4_i32_iu8 v0, v5, v0, v4 neg_lo:[1,1,0]
	v_perm_b32 v4, v8, v141, 0x6050403
	v_perm_b32 v5, v206, v7, 0x6050403
	s_set_vgpr_msb 4                        ;  msbs: dst=0 src0=0 src1=1 src2=0
	v_dot4_i32_iu8 v0, v247, v23 /*v279*/, v0 neg_lo:[1,1,0]
	s_set_vgpr_msb 64                       ;  msbs: dst=1 src0=0 src1=0 src2=0
	s_delay_alu instid0(VALU_DEP_1) | instskip(SKIP_3) | instid1(VALU_DEP_1)
	v_dot4_i32_iu8 v28 /*v284*/, v248, v1, v0 neg_lo:[1,1,0]
	s_set_vgpr_msb 0                        ;  msbs: dst=0 src0=0 src1=0 src2=0
	v_mul_i32_i24_e32 v0, v16, v207
	s_set_vgpr_msb 1                        ;  msbs: dst=0 src0=1 src1=0 src2=0
	v_dot4_i32_iu8 v0, v15 /*v271*/, v223, v0 neg_lo:[1,1,0]
	s_delay_alu instid0(VALU_DEP_1) | instskip(NEXT) | instid1(VALU_DEP_1)
	v_dot4_i32_iu8 v0, v16 /*v272*/, v224, v0 neg_lo:[1,1,0]
	v_dot4_i32_iu8 v0, v17 /*v273*/, v225, v0 neg_lo:[1,1,0]
	s_delay_alu instid0(VALU_DEP_1) | instskip(SKIP_1) | instid1(VALU_DEP_1)
	v_dot4_i32_iu8 v0, v18 /*v274*/, v140, v0 neg_lo:[1,1,0]
	s_set_vgpr_msb 0                        ;  msbs: dst=0 src0=0 src1=0 src2=0
	v_dot4_i32_iu8 v0, v5, v4, v0 neg_lo:[1,1,0]
	s_delay_alu instid0(VALU_DEP_1) | instskip(SKIP_1) | instid1(VALU_DEP_1)
	v_mad_i32_i24 v0, v208, v18, v0
	s_set_vgpr_msb 4                        ;  msbs: dst=0 src0=0 src1=1 src2=0
	v_dot4_i32_iu8 v0, v226, v19 /*v275*/, v0 neg_lo:[1,1,0]
	s_set_vgpr_msb 0x44                     ;  msbs: dst=1 src0=0 src1=1 src2=0
	s_delay_alu instid0(VALU_DEP_1) | instskip(SKIP_2) | instid1(VALU_DEP_1)
	v_dot4_i32_iu8 v15 /*v271*/, v227, v20 /*v276*/, v0 neg_lo:[1,1,0]
	s_set_vgpr_msb 0                        ;  msbs: dst=0 src0=0 src1=0 src2=0
	v_mul_i32_i24_e32 v0, v19, v211
	v_dot4_i32_iu8 v0, v12, v228, v0 neg_lo:[1,1,0]
	s_delay_alu instid0(VALU_DEP_1) | instskip(NEXT) | instid1(VALU_DEP_1)
	v_dot4_i32_iu8 v0, v13, v229, v0 neg_lo:[1,1,0]
	v_dot4_i32_iu8 v0, v14, v230, v0 neg_lo:[1,1,0]
	s_set_vgpr_msb 4                        ;  msbs: dst=0 src0=0 src1=1 src2=0
	s_delay_alu instid0(VALU_DEP_1) | instskip(NEXT) | instid1(VALU_DEP_1)
	v_dot4_i32_iu8 v0, v231, v21 /*v277*/, v0 neg_lo:[1,1,0]
	v_dot4_i32_iu8 v0, v232, v23 /*v279*/, v0 neg_lo:[1,1,0]
	s_set_vgpr_msb 64                       ;  msbs: dst=1 src0=0 src1=0 src2=0
	s_delay_alu instid0(VALU_DEP_1) | instskip(SKIP_2) | instid1(VALU_DEP_1)
	v_dot4_i32_iu8 v23 /*v279*/, v233, v1, v0 neg_lo:[1,1,0]
	s_set_vgpr_msb 0                        ;  msbs: dst=0 src0=0 src1=0 src2=0
	v_or_b32_e32 v0, s12, v164
	v_dual_lshlrev_b32 v1, 2, v0 :: v_dual_lshrrev_b32 v8, 1, v0
	ds_load_b128 v[4:7], v1 offset:33280
	ds_load_b128 v[12:15], v1 offset:33296
	;; [unrolled: 1-line block ×3, first 2 shown]
	s_set_vgpr_msb 64                       ;  msbs: dst=1 src0=0 src1=0 src2=0
	ds_load_b128 v[16:19] /*v[272:275]*/, v1 offset:33328
	s_wait_dscnt 0x3
	v_bfe_i32 v29 /*v285*/, v4, 0, 8
	v_perm_b32 v33 /*v289*/, v4, v4, 0xc0c0201
	v_perm_b32 v34 /*v290*/, v5, v4, 0x6050403
	;; [unrolled: 1-line block ×4, first 2 shown]
	s_set_vgpr_msb 1                        ;  msbs: dst=0 src0=1 src1=0 src2=0
	v_mul_i32_i24_e32 v0, v29 /*v285*/, v150
	s_wait_dscnt 0x2
	s_set_vgpr_msb 0                        ;  msbs: dst=0 src0=0 src1=0 src2=0
	v_perm_b32 v1, v12, v121, 0x6050403
	v_perm_b32 v9, v148, v7, 0x6050403
	s_set_vgpr_msb 64                       ;  msbs: dst=1 src0=0 src1=0 src2=0
	v_ashrrev_i32_e32 v31 /*v287*/, 24, v12
	v_perm_b32 v37 /*v293*/, v13, v13, 0xc0c0100
	s_set_vgpr_msb 5                        ;  msbs: dst=0 src0=1 src1=1 src2=0
	v_dot4_i32_iu8 v0, v33 /*v289*/, v9 /*v265*/, v0 neg_lo:[1,1,0]
	s_wait_dscnt 0x1
	s_set_vgpr_msb 64                       ;  msbs: dst=1 src0=0 src1=0 src2=0
	v_bfe_i32 v32 /*v288*/, v16, 0, 8
	v_perm_b32 v38 /*v294*/, v14, v13, 0x5040302
	v_perm_b32 v40 /*v296*/, v17, v16, 0x4030201
	;; [unrolled: 1-line block ×3, first 2 shown]
	s_set_vgpr_msb 5                        ;  msbs: dst=0 src0=1 src1=1 src2=0
	v_dot4_i32_iu8 v0, v34 /*v290*/, v10 /*v266*/, v0 neg_lo:[1,1,0]
	s_set_vgpr_msb 0                        ;  msbs: dst=0 src0=0 src1=0 src2=0
	v_perm_b32 v18, v19, v18, 0x4030201
	s_wait_dscnt 0x0
	s_set_vgpr_msb 0x41                     ;  msbs: dst=1 src0=1 src1=0 src2=0
	v_perm_b32 v42 /*v298*/, v16 /*v272*/, v19, 0x4030201
	s_set_vgpr_msb 0x45                     ;  msbs: dst=1 src0=1 src1=1 src2=0
	v_perm_b32 v43 /*v299*/, v17 /*v273*/, v16 /*v272*/, 0x4030201
	v_perm_b32 v17 /*v273*/, v18 /*v274*/, v17 /*v273*/, 0x4030201
	s_set_vgpr_msb 5                        ;  msbs: dst=0 src0=1 src1=1 src2=0
	v_dot4_i32_iu8 v0, v35 /*v291*/, v11 /*v267*/, v0 neg_lo:[1,1,0]
	s_set_vgpr_msb 64                       ;  msbs: dst=1 src0=0 src1=0 src2=0
	v_bfe_i32 v30 /*v286*/, v4, 8, 8
	s_set_vgpr_msb 0                        ;  msbs: dst=0 src0=0 src1=0 src2=0
	v_perm_b32 v4, v5, v4, 0x5040302
	v_perm_b32 v5, v6, v5, 0x5040302
	s_set_vgpr_msb 5                        ;  msbs: dst=0 src0=1 src1=1 src2=0
	v_dot4_i32_iu8 v0, v36 /*v292*/, v12 /*v268*/, v0 neg_lo:[1,1,0]
	s_set_vgpr_msb 0                        ;  msbs: dst=0 src0=0 src1=0 src2=0
	s_delay_alu instid0(VALU_DEP_1) | instskip(SKIP_1) | instid1(VALU_DEP_1)
	v_dot4_i32_iu8 v0, v9, v1, v0 neg_lo:[1,1,0]
	s_set_vgpr_msb 4                        ;  msbs: dst=0 src0=0 src1=1 src2=0
	v_mad_i32_i24 v0, v149, v31 /*v287*/, v0
	s_set_vgpr_msb 5                        ;  msbs: dst=0 src0=1 src1=1 src2=0
	s_delay_alu instid0(VALU_DEP_1) | instskip(SKIP_1) | instid1(VALU_DEP_1)
	v_dot4_i32_iu8 v0, v13 /*v269*/, v37 /*v293*/, v0 neg_lo:[1,1,0]
	s_set_vgpr_msb 0x45                     ;  msbs: dst=1 src0=1 src1=1 src2=0
	v_dot4_i32_iu8 v39 /*v295*/, v14 /*v270*/, v38 /*v294*/, v0 neg_lo:[1,1,0]
	s_set_vgpr_msb 4                        ;  msbs: dst=0 src0=0 src1=1 src2=0
	v_mul_i32_i24_e32 v0, v151, v32 /*v288*/
	s_delay_alu instid0(VALU_DEP_1) | instskip(NEXT) | instid1(VALU_DEP_1)
	v_dot4_i32_iu8 v0, v152, v40 /*v296*/, v0 neg_lo:[1,1,0]
	v_dot4_i32_iu8 v0, v153, v41 /*v297*/, v0 neg_lo:[1,1,0]
	s_set_vgpr_msb 1                        ;  msbs: dst=0 src0=1 src1=0 src2=0
	s_delay_alu instid0(VALU_DEP_1) | instskip(SKIP_1) | instid1(VALU_DEP_1)
	v_dot4_i32_iu8 v0, v5 /*v261*/, v18, v0 neg_lo:[1,1,0]
	s_set_vgpr_msb 5                        ;  msbs: dst=0 src0=1 src1=1 src2=0
	v_dot4_i32_iu8 v0, v6 /*v262*/, v42 /*v298*/, v0 neg_lo:[1,1,0]
	s_delay_alu instid0(VALU_DEP_1) | instskip(SKIP_1) | instid1(VALU_DEP_1)
	v_dot4_i32_iu8 v0, v7 /*v263*/, v43 /*v299*/, v0 neg_lo:[1,1,0]
	s_set_vgpr_msb 0x45                     ;  msbs: dst=1 src0=1 src1=1 src2=0
	v_dot4_i32_iu8 v44 /*v300*/, v8 /*v264*/, v17 /*v273*/, v0 neg_lo:[1,1,0]
	s_set_vgpr_msb 0                        ;  msbs: dst=0 src0=0 src1=0 src2=0
	ds_load_b64 v[0:1], v20 offset:43584
	ds_load_b64 v[8:9], v8 offset:43584
	s_wait_dscnt 0x1
	v_cvt_f32_f16_e32 v16, v0
	s_wait_dscnt 0x0
	v_cvt_f32_f16_e32 v17, v8
	v_lshrrev_b32_e32 v8, 16, v8
	v_lshrrev_b32_e32 v0, 16, v0
	s_set_vgpr_msb 64                       ;  msbs: dst=1 src0=0 src1=0 src2=0
	v_cvt_f32_f16_e64 v21 /*v277*/, v9
	v_cvt_f32_f16_e64 v20 /*v276*/, v1
	s_set_vgpr_msb 0                        ;  msbs: dst=0 src0=0 src1=0 src2=0
	v_cvt_f32_f16_e32 v21, v8
	s_set_vgpr_msb 17                       ;  msbs: dst=0 src0=1 src1=0 src2=1
	v_dot4_i32_iu8 v8, v45 /*v301*/, v252, v22 /*v278*/ neg_lo:[1,1,0]
	s_set_vgpr_msb 64                       ;  msbs: dst=1 src0=0 src1=0 src2=0
	v_perm_b32 v22 /*v278*/, v15, v14, 0x5040302
	s_set_vgpr_msb 0                        ;  msbs: dst=0 src0=0 src1=0 src2=0
	v_cvt_f32_f16_e32 v20, v0
	v_lshrrev_b32_e32 v0, 16, v1
	v_lshrrev_b32_e32 v1, 16, v9
	v_perm_b32 v14, v125, v2, 0x4030201
	s_set_vgpr_msb 17                       ;  msbs: dst=0 src0=1 src1=0 src2=1
	v_dot4_i32_iu8 v9, v22 /*v278*/, v252, v39 /*v295*/ neg_lo:[1,1,0]
	s_set_vgpr_msb 64                       ;  msbs: dst=1 src0=0 src1=0 src2=0
	v_perm_b32 v39 /*v295*/, v15, v15, 0xc0c0302
	s_set_vgpr_msb 0                        ;  msbs: dst=0 src0=0 src1=0 src2=0
	v_perm_b32 v15, v3, v124, 0x4030201
	s_set_vgpr_msb 4                        ;  msbs: dst=0 src0=0 src1=1 src2=0
	v_dot4_i32_iu8 v8, v251, v46 /*v302*/, v8 neg_lo:[1,1,0]
	v_cvt_f32_f16_e32 v1, v1
	v_cvt_f32_f16_e32 v0, v0
	v_dot4_i32_iu8 v9, v251, v39 /*v295*/, v9 neg_lo:[1,1,0]
	s_set_vgpr_msb 16                       ;  msbs: dst=0 src0=0 src1=0 src2=1
	v_dot4_i32_iu8 v14, v15, v14, v24 /*v280*/ neg_lo:[1,1,0]
	s_set_vgpr_msb 4                        ;  msbs: dst=0 src0=0 src1=1 src2=0
	v_perm_b32 v15, v125, v18 /*v274*/, 0x4030201
	s_set_vgpr_msb 0x41                     ;  msbs: dst=1 src0=1 src1=0 src2=0
	v_perm_b32 v24 /*v280*/, v19 /*v275*/, v124, 0x4030201
	s_set_vgpr_msb 0                        ;  msbs: dst=0 src0=0 src1=0 src2=0
	v_mul_lo_u32 v8, v8, v154
	v_mul_lo_u32 v9, v9, v154
	v_pk_fma_f32 v[10:11], v[126:127], v[20:21], 0 op_sel_hi:[0,1,0]
	s_set_vgpr_msb 17                       ;  msbs: dst=0 src0=1 src1=0 src2=1
	v_dot4_i32_iu8 v15, v24 /*v280*/, v15, v44 /*v300*/ neg_lo:[1,1,0]
	s_set_vgpr_msb 0x45                     ;  msbs: dst=1 src0=1 src1=1 src2=0
	v_perm_b32 v24 /*v280*/, v19 /*v275*/, v19 /*v275*/, 0xc070601
	s_set_vgpr_msb 64                       ;  msbs: dst=1 src0=0 src1=0 src2=0
	v_perm_b32 v44 /*v300*/, v3, v3, 0xc070601
	s_set_vgpr_msb 0                        ;  msbs: dst=0 src0=0 src1=0 src2=0
	v_pk_fma_f32 v[10:11], v[122:123], v[0:1], v[10:11] op_sel_hi:[0,1,1]
	s_set_vgpr_msb 4                        ;  msbs: dst=0 src0=0 src1=1 src2=0
	v_dot4_i32_iu8 v15, v243, v24 /*v280*/, v15 neg_lo:[1,1,0]
	v_dot4_i32_iu8 v14, v243, v44 /*v300*/, v14 neg_lo:[1,1,0]
	v_cvt_f32_i32_e32 v9, v9
	v_cvt_f32_i32_e32 v8, v8
	s_set_vgpr_msb 0                        ;  msbs: dst=0 src0=0 src1=0 src2=0
	v_pk_mul_f32 v[10:11], v[10:11], v[112:113]
	v_mul_lo_u32 v15, v15, v123
	v_mul_lo_u32 v14, v14, v123
	v_pk_fma_f32 v[8:9], v[16:17], v[8:9], 0 op_sel_hi:[1,1,0]
	s_delay_alu instid0(VALU_DEP_3) | instskip(NEXT) | instid1(VALU_DEP_3)
	v_cvt_f32_i32_e32 v15, v15
	v_cvt_f32_i32_e32 v14, v14
	s_set_vgpr_msb 1                        ;  msbs: dst=0 src0=1 src1=0 src2=0
	s_delay_alu instid0(VALU_DEP_1) | instskip(SKIP_1) | instid1(VALU_DEP_1)
	v_pk_fma_f32 v[8:9], v[20:21] /*v[276:277]*/, v[14:15], v[8:9]
	s_set_vgpr_msb 0                        ;  msbs: dst=0 src0=0 src1=0 src2=0
	v_pk_fma_f32 v[8:9], v[8:9], v[22:23], v[10:11] neg_lo:[0,0,1] neg_hi:[0,0,1]
	v_perm_b32 v10, v155, v7, 0x6050403
	s_delay_alu instid0(VALU_DEP_2)
	v_pk_add_f32 v[42:43], v[42:43], v[8:9]
	s_set_vgpr_msb 1                        ;  msbs: dst=0 src0=1 src1=0 src2=0
	v_mul_i32_i24_e32 v8, v29 /*v285*/, v156
	s_set_vgpr_msb 0                        ;  msbs: dst=0 src0=0 src1=0 src2=0
	v_perm_b32 v9, v12, v135, 0x6050403
	s_set_vgpr_msb 1                        ;  msbs: dst=0 src0=1 src1=0 src2=0
	s_delay_alu instid0(VALU_DEP_2) | instskip(NEXT) | instid1(VALU_DEP_1)
	v_dot4_i32_iu8 v8, v33 /*v289*/, v253, v8 neg_lo:[1,1,0]
	v_dot4_i32_iu8 v8, v34 /*v290*/, v254, v8 neg_lo:[1,1,0]
	s_delay_alu instid0(VALU_DEP_1) | instskip(SKIP_1) | instid1(VALU_DEP_1)
	v_dot4_i32_iu8 v8, v35 /*v291*/, v255, v8 neg_lo:[1,1,0]
	s_set_vgpr_msb 5                        ;  msbs: dst=0 src0=1 src1=1 src2=0
	v_dot4_i32_iu8 v8, v36 /*v292*/, v0 /*v256*/, v8 neg_lo:[1,1,0]
	s_set_vgpr_msb 0                        ;  msbs: dst=0 src0=0 src1=0 src2=0
	s_delay_alu instid0(VALU_DEP_1) | instskip(SKIP_3) | instid1(VALU_DEP_2)
	v_dot4_i32_iu8 v8, v10, v9, v8 neg_lo:[1,1,0]
	s_set_vgpr_msb 1                        ;  msbs: dst=0 src0=1 src1=0 src2=0
	v_mul_i32_i24_e32 v9, v32 /*v288*/, v204
	s_set_vgpr_msb 4                        ;  msbs: dst=0 src0=0 src1=1 src2=0
	v_mad_i32_i24 v8, v157, v31 /*v287*/, v8
	s_set_vgpr_msb 1                        ;  msbs: dst=0 src0=1 src1=0 src2=0
	s_delay_alu instid0(VALU_DEP_2) | instskip(SKIP_1) | instid1(VALU_DEP_2)
	v_dot4_i32_iu8 v9, v40 /*v296*/, v205, v9 neg_lo:[1,1,0]
	s_set_vgpr_msb 5                        ;  msbs: dst=0 src0=1 src1=1 src2=0
	v_dot4_i32_iu8 v8, v1 /*v257*/, v37 /*v293*/, v8 neg_lo:[1,1,0]
	s_set_vgpr_msb 1                        ;  msbs: dst=0 src0=1 src1=0 src2=0
	s_delay_alu instid0(VALU_DEP_2) | instskip(SKIP_1) | instid1(VALU_DEP_2)
	v_dot4_i32_iu8 v9, v41 /*v297*/, v236, v9 neg_lo:[1,1,0]
	s_set_vgpr_msb 5                        ;  msbs: dst=0 src0=1 src1=1 src2=0
	v_dot4_i32_iu8 v8, v2 /*v258*/, v38 /*v294*/, v8 neg_lo:[1,1,0]
	s_set_vgpr_msb 0                        ;  msbs: dst=0 src0=0 src1=0 src2=0
	s_delay_alu instid0(VALU_DEP_2) | instskip(SKIP_1) | instid1(VALU_DEP_2)
	v_dot4_i32_iu8 v9, v18, v237, v9 neg_lo:[1,1,0]
	s_set_vgpr_msb 5                        ;  msbs: dst=0 src0=1 src1=1 src2=0
	v_dot4_i32_iu8 v8, v22 /*v278*/, v3 /*v259*/, v8 neg_lo:[1,1,0]
	s_set_vgpr_msb 1                        ;  msbs: dst=0 src0=1 src1=0 src2=0
	s_delay_alu instid0(VALU_DEP_2) | instskip(SKIP_1) | instid1(VALU_DEP_2)
	v_dot4_i32_iu8 v9, v42 /*v298*/, v238, v9 neg_lo:[1,1,0]
	s_set_vgpr_msb 5                        ;  msbs: dst=0 src0=1 src1=1 src2=0
	v_dot4_i32_iu8 v8, v4 /*v260*/, v39 /*v295*/, v8 neg_lo:[1,1,0]
	s_set_vgpr_msb 1                        ;  msbs: dst=0 src0=1 src1=0 src2=0
	s_delay_alu instid0(VALU_DEP_2) | instskip(SKIP_1) | instid1(VALU_DEP_2)
	v_dot4_i32_iu8 v9, v43 /*v299*/, v239, v9 neg_lo:[1,1,0]
	s_set_vgpr_msb 0                        ;  msbs: dst=0 src0=0 src1=0 src2=0
	v_mul_lo_u32 v8, v8, v203
	s_set_vgpr_msb 1                        ;  msbs: dst=0 src0=1 src1=0 src2=0
	s_delay_alu instid0(VALU_DEP_2)
	v_dot4_i32_iu8 v14, v17 /*v273*/, v240, v9 neg_lo:[1,1,0]
	s_set_vgpr_msb 21                       ;  msbs: dst=0 src0=1 src1=1 src2=1
	v_dot4_i32_iu8 v9, v45 /*v301*/, v3 /*v259*/, v25 /*v281*/ neg_lo:[1,1,0]
	s_set_vgpr_msb 64                       ;  msbs: dst=1 src0=0 src1=0 src2=0
	v_perm_b32 v25 /*v281*/, v3, v2, 0x4030201
	s_set_vgpr_msb 0                        ;  msbs: dst=0 src0=0 src1=0 src2=0
	v_perm_b32 v2, v137, v2, 0x4030201
	v_perm_b32 v3, v3, v136, 0x4030201
	s_set_vgpr_msb 5                        ;  msbs: dst=0 src0=1 src1=1 src2=0
	v_dot4_i32_iu8 v9, v4 /*v260*/, v46 /*v302*/, v9 neg_lo:[1,1,0]
	s_set_vgpr_msb 17                       ;  msbs: dst=0 src0=1 src1=0 src2=1
	v_dot4_i32_iu8 v15, v25 /*v281*/, v241, v26 /*v282*/ neg_lo:[1,1,0]
	s_set_vgpr_msb 0x45                     ;  msbs: dst=1 src0=1 src1=1 src2=0
	v_perm_b32 v26 /*v282*/, v19 /*v275*/, v18 /*v274*/, 0x4030201
	s_set_vgpr_msb 16                       ;  msbs: dst=0 src0=0 src1=0 src2=1
	v_dot4_i32_iu8 v2, v3, v2, v28 /*v284*/ neg_lo:[1,1,0]
	s_set_vgpr_msb 4                        ;  msbs: dst=0 src0=0 src1=1 src2=0
	v_perm_b32 v3, v137, v18 /*v274*/, 0x4030201
	s_set_vgpr_msb 0                        ;  msbs: dst=0 src0=0 src1=0 src2=0
	v_mul_lo_u32 v10, v9, v203
	s_set_vgpr_msb 4                        ;  msbs: dst=0 src0=0 src1=1 src2=0
	v_dot4_i32_iu8 v15, v242, v44 /*v300*/, v15 neg_lo:[1,1,0]
	s_set_vgpr_msb 1                        ;  msbs: dst=0 src0=1 src1=0 src2=0
	v_dot4_i32_iu8 v14, v26 /*v282*/, v241, v14 neg_lo:[1,1,0]
	s_set_vgpr_msb 4                        ;  msbs: dst=0 src0=0 src1=1 src2=0
	v_cvt_f32_i32_e32 v9, v8
	v_dot4_i32_iu8 v2, v147, v44 /*v300*/, v2 neg_lo:[1,1,0]
	s_set_vgpr_msb 64                       ;  msbs: dst=1 src0=0 src1=0 src2=0
	v_mul_lo_u32 v47 /*v303*/, v15, v220
	s_set_vgpr_msb 4                        ;  msbs: dst=0 src0=0 src1=1 src2=0
	v_dot4_i32_iu8 v14, v242, v24 /*v280*/, v14 neg_lo:[1,1,0]
	s_set_vgpr_msb 0                        ;  msbs: dst=0 src0=0 src1=0 src2=0
	v_mul_lo_u32 v2, v2, v209
	v_cvt_f32_i32_e32 v8, v10
	s_delay_alu instid0(VALU_DEP_3) | instskip(SKIP_1) | instid1(VALU_DEP_3)
	v_mul_lo_u32 v14, v14, v220
	v_pk_fma_f32 v[10:11], v[128:129], v[20:21], 0 op_sel_hi:[0,1,0]
	v_pk_fma_f32 v[8:9], v[16:17], v[8:9], 0 op_sel_hi:[1,1,0]
	s_delay_alu instid0(VALU_DEP_2)
	v_pk_fma_f32 v[10:11], v[144:145], v[0:1], v[10:11] op_sel_hi:[0,1,1]
	v_cvt_f32_i32_e32 v2, v2
	v_cvt_f32_i32_e32 v15, v14
	s_set_vgpr_msb 1                        ;  msbs: dst=0 src0=1 src1=0 src2=0
	v_cvt_f32_i32_e32 v14, v47 /*v303*/
	s_set_vgpr_msb 0                        ;  msbs: dst=0 src0=0 src1=0 src2=0
	v_pk_mul_f32 v[10:11], v[10:11], v[114:115]
	s_set_vgpr_msb 1                        ;  msbs: dst=0 src0=1 src1=0 src2=0
	s_delay_alu instid0(VALU_DEP_2) | instskip(SKIP_1) | instid1(VALU_DEP_1)
	v_pk_fma_f32 v[8:9], v[20:21] /*v[276:277]*/, v[14:15], v[8:9]
	s_set_vgpr_msb 0                        ;  msbs: dst=0 src0=0 src1=0 src2=0
	v_pk_fma_f32 v[8:9], v[8:9], v[24:25], v[10:11] neg_lo:[0,0,1] neg_hi:[0,0,1]
	s_set_vgpr_msb 1                        ;  msbs: dst=0 src0=1 src1=0 src2=0
	v_perm_b32 v10, v19 /*v275*/, v136, 0x4030201
	s_set_vgpr_msb 0                        ;  msbs: dst=0 src0=0 src1=0 src2=0
	s_delay_alu instid0(VALU_DEP_2) | instskip(SKIP_2) | instid1(VALU_DEP_1)
	v_pk_add_f32 v[40:41], v[40:41], v[8:9]
	s_set_vgpr_msb 1                        ;  msbs: dst=0 src0=1 src1=0 src2=0
	v_mul_i32_i24_e32 v8, v29 /*v285*/, v213
	v_mad_i32_i24 v8, v30 /*v286*/, v214, v8
	s_set_vgpr_msb 0                        ;  msbs: dst=0 src0=0 src1=0 src2=0
	s_delay_alu instid0(VALU_DEP_1) | instskip(SKIP_1) | instid1(VALU_DEP_2)
	v_dot4_i32_iu8 v4, v4, v215, v8 neg_lo:[1,1,0]
	v_perm_b32 v8, v146, v19, 0x4030201
	v_dot4_i32_iu8 v4, v5, v216, v4 neg_lo:[1,1,0]
	v_perm_b32 v5, v7, v6, 0x5040302
	s_set_vgpr_msb 1                        ;  msbs: dst=0 src0=1 src1=0 src2=0
	v_perm_b32 v6, v16 /*v272*/, v133, 0x4030201
	s_set_vgpr_msb 0                        ;  msbs: dst=0 src0=0 src1=0 src2=0
	s_delay_alu instid0(VALU_DEP_2) | instskip(SKIP_1) | instid1(VALU_DEP_1)
	v_dot4_i32_iu8 v4, v5, v217, v4 neg_lo:[1,1,0]
	v_perm_b32 v5, v12, v7, 0x5040302
	v_dot4_i32_iu8 v4, v5, v218, v4 neg_lo:[1,1,0]
	v_perm_b32 v5, v13, v12, 0x5040302
	s_delay_alu instid0(VALU_DEP_1) | instskip(SKIP_2) | instid1(VALU_DEP_2)
	v_dot4_i32_iu8 v4, v5, v219, v4 neg_lo:[1,1,0]
	s_set_vgpr_msb 1                        ;  msbs: dst=0 src0=1 src1=0 src2=0
	v_mul_i32_i24_e32 v5, v32 /*v288*/, v222
	v_dot4_i32_iu8 v4, v38 /*v294*/, v221, v4 neg_lo:[1,1,0]
	s_delay_alu instid0(VALU_DEP_2) | instskip(NEXT) | instid1(VALU_DEP_2)
	v_dot4_i32_iu8 v5, v40 /*v296*/, v244, v5 neg_lo:[1,1,0]
	v_dot4_i32_iu8 v4, v22 /*v278*/, v249, v4 neg_lo:[1,1,0]
	s_delay_alu instid0(VALU_DEP_2) | instskip(SKIP_1) | instid1(VALU_DEP_2)
	v_dot4_i32_iu8 v5, v41 /*v297*/, v245, v5 neg_lo:[1,1,0]
	s_set_vgpr_msb 4                        ;  msbs: dst=0 src0=0 src1=1 src2=0
	v_dot4_i32_iu8 v4, v250, v39 /*v295*/, v4 neg_lo:[1,1,0]
	s_set_vgpr_msb 0                        ;  msbs: dst=0 src0=0 src1=0 src2=0
	s_delay_alu instid0(VALU_DEP_2) | instskip(NEXT) | instid1(VALU_DEP_2)
	v_dot4_i32_iu8 v5, v18, v246, v5 neg_lo:[1,1,0]
	v_mul_lo_u32 v4, v4, v212
	s_delay_alu instid0(VALU_DEP_2) | instskip(SKIP_1) | instid1(VALU_DEP_1)
	v_dot4_i32_iu8 v5, v8, v6, v5 neg_lo:[1,1,0]
	s_set_vgpr_msb 4                        ;  msbs: dst=0 src0=0 src1=1 src2=0
	v_dot4_i32_iu8 v5, v247, v43 /*v299*/, v5 neg_lo:[1,1,0]
	s_delay_alu instid0(VALU_DEP_1) | instskip(SKIP_3) | instid1(VALU_DEP_2)
	v_dot4_i32_iu8 v6, v248, v17 /*v273*/, v5 neg_lo:[1,1,0]
	s_set_vgpr_msb 17                       ;  msbs: dst=0 src0=1 src1=0 src2=1
	v_dot4_i32_iu8 v5, v45 /*v301*/, v249, v27 /*v283*/ neg_lo:[1,1,0]
	s_set_vgpr_msb 0                        ;  msbs: dst=0 src0=0 src1=0 src2=0
	v_dot4_i32_iu8 v3, v10, v3, v6 neg_lo:[1,1,0]
	s_set_vgpr_msb 4                        ;  msbs: dst=0 src0=0 src1=1 src2=0
	s_delay_alu instid0(VALU_DEP_2) | instskip(NEXT) | instid1(VALU_DEP_2)
	v_dot4_i32_iu8 v5, v250, v46 /*v302*/, v5 neg_lo:[1,1,0]
	v_dot4_i32_iu8 v3, v147, v24 /*v280*/, v3 neg_lo:[1,1,0]
	s_set_vgpr_msb 0                        ;  msbs: dst=0 src0=0 src1=0 src2=0
	s_delay_alu instid0(VALU_DEP_2) | instskip(SKIP_1) | instid1(VALU_DEP_3)
	v_mul_lo_u32 v8, v5, v212
	v_cvt_f32_i32_e32 v5, v4
	v_mul_lo_u32 v3, v3, v209
	s_delay_alu instid0(VALU_DEP_3) | instskip(SKIP_1) | instid1(VALU_DEP_3)
	v_cvt_f32_i32_e32 v4, v8
	v_pk_fma_f32 v[8:9], v[138:139], v[20:21], 0 op_sel_hi:[0,1,0]
	v_cvt_f32_i32_e32 v3, v3
	s_delay_alu instid0(VALU_DEP_3) | instskip(SKIP_1) | instid1(VALU_DEP_1)
	v_pk_fma_f32 v[4:5], v[16:17], v[4:5], 0 op_sel_hi:[1,1,0]
	s_set_vgpr_msb 1                        ;  msbs: dst=0 src0=1 src1=0 src2=0
	v_pk_fma_f32 v[2:3], v[20:21] /*v[276:277]*/, v[2:3], v[4:5]
	s_set_vgpr_msb 0                        ;  msbs: dst=0 src0=0 src1=0 src2=0
	v_pk_fma_f32 v[4:5], v[142:143], v[0:1], v[8:9] op_sel_hi:[0,1,1]
	s_delay_alu instid0(VALU_DEP_1) | instskip(NEXT) | instid1(VALU_DEP_1)
	v_pk_mul_f32 v[4:5], v[4:5], v[116:117]
	v_pk_fma_f32 v[2:3], v[2:3], v[26:27], v[4:5] neg_lo:[0,0,1] neg_hi:[0,0,1]
	v_perm_b32 v4, v206, v7, 0x6050403
	s_set_vgpr_msb 17                       ;  msbs: dst=0 src0=1 src1=0 src2=1
	v_dot4_i32_iu8 v7, v25 /*v281*/, v132, v23 /*v279*/ neg_lo:[1,1,0]
	s_set_vgpr_msb 0                        ;  msbs: dst=0 src0=0 src1=0 src2=0
	v_pk_add_f32 v[38:39], v[38:39], v[2:3]
	s_set_vgpr_msb 1                        ;  msbs: dst=0 src0=1 src1=0 src2=0
	v_mul_i32_i24_e32 v2, v29 /*v285*/, v207
	s_set_vgpr_msb 0                        ;  msbs: dst=0 src0=0 src1=0 src2=0
	v_perm_b32 v3, v12, v141, 0x6050403
	s_set_vgpr_msb 4                        ;  msbs: dst=0 src0=0 src1=1 src2=0
	v_dot4_i32_iu8 v7, v134, v44 /*v300*/, v7 neg_lo:[1,1,0]
	s_set_vgpr_msb 1                        ;  msbs: dst=0 src0=1 src1=0 src2=0
	v_dot4_i32_iu8 v2, v33 /*v289*/, v223, v2 neg_lo:[1,1,0]
	s_set_vgpr_msb 0                        ;  msbs: dst=0 src0=0 src1=0 src2=0
	s_delay_alu instid0(VALU_DEP_2) | instskip(SKIP_1) | instid1(VALU_DEP_2)
	v_mul_lo_u32 v8, v7, v145
	s_set_vgpr_msb 1                        ;  msbs: dst=0 src0=1 src1=0 src2=0
	v_dot4_i32_iu8 v2, v34 /*v290*/, v224, v2 neg_lo:[1,1,0]
	s_delay_alu instid0(VALU_DEP_1) | instskip(NEXT) | instid1(VALU_DEP_1)
	v_dot4_i32_iu8 v2, v35 /*v291*/, v225, v2 neg_lo:[1,1,0]
	v_dot4_i32_iu8 v2, v36 /*v292*/, v140, v2 neg_lo:[1,1,0]
	s_set_vgpr_msb 0                        ;  msbs: dst=0 src0=0 src1=0 src2=0
	s_delay_alu instid0(VALU_DEP_1) | instskip(SKIP_3) | instid1(VALU_DEP_2)
	v_dot4_i32_iu8 v2, v4, v3, v2 neg_lo:[1,1,0]
	s_set_vgpr_msb 1                        ;  msbs: dst=0 src0=1 src1=0 src2=0
	v_mul_i32_i24_e32 v3, v32 /*v288*/, v211
	s_set_vgpr_msb 4                        ;  msbs: dst=0 src0=0 src1=1 src2=0
	v_mad_i32_i24 v2, v208, v31 /*v287*/, v2
	s_set_vgpr_msb 1                        ;  msbs: dst=0 src0=1 src1=0 src2=0
	s_delay_alu instid0(VALU_DEP_2) | instskip(SKIP_1) | instid1(VALU_DEP_2)
	v_dot4_i32_iu8 v3, v40 /*v296*/, v228, v3 neg_lo:[1,1,0]
	s_set_vgpr_msb 4                        ;  msbs: dst=0 src0=0 src1=1 src2=0
	v_dot4_i32_iu8 v2, v226, v37 /*v293*/, v2 neg_lo:[1,1,0]
	s_set_vgpr_msb 1                        ;  msbs: dst=0 src0=1 src1=0 src2=0
	s_delay_alu instid0(VALU_DEP_2) | instskip(SKIP_1) | instid1(VALU_DEP_2)
	v_dot4_i32_iu8 v3, v41 /*v297*/, v229, v3 neg_lo:[1,1,0]
	s_set_vgpr_msb 4                        ;  msbs: dst=0 src0=0 src1=1 src2=0
	v_dot4_i32_iu8 v2, v227, v38 /*v294*/, v2 neg_lo:[1,1,0]
	s_set_vgpr_msb 0                        ;  msbs: dst=0 src0=0 src1=0 src2=0
	s_delay_alu instid0(VALU_DEP_2) | instskip(SKIP_1) | instid1(VALU_DEP_2)
	v_dot4_i32_iu8 v3, v18, v230, v3 neg_lo:[1,1,0]
	s_set_vgpr_msb 1                        ;  msbs: dst=0 src0=1 src1=0 src2=0
	v_dot4_i32_iu8 v2, v22 /*v278*/, v234, v2 neg_lo:[1,1,0]
	s_set_vgpr_msb 4                        ;  msbs: dst=0 src0=0 src1=1 src2=0
	s_delay_alu instid0(VALU_DEP_2) | instskip(NEXT) | instid1(VALU_DEP_2)
	v_dot4_i32_iu8 v3, v231, v42 /*v298*/, v3 neg_lo:[1,1,0]
	v_dot4_i32_iu8 v2, v235, v39 /*v295*/, v2 neg_lo:[1,1,0]
	s_delay_alu instid0(VALU_DEP_2) | instskip(SKIP_1) | instid1(VALU_DEP_2)
	v_dot4_i32_iu8 v3, v232, v43 /*v299*/, v3 neg_lo:[1,1,0]
	s_set_vgpr_msb 0                        ;  msbs: dst=0 src0=0 src1=0 src2=0
	v_mul_lo_u32 v2, v2, v210
	s_set_vgpr_msb 4                        ;  msbs: dst=0 src0=0 src1=1 src2=0
	s_delay_alu instid0(VALU_DEP_2) | instskip(SKIP_3) | instid1(VALU_DEP_2)
	v_dot4_i32_iu8 v6, v233, v17 /*v273*/, v3 neg_lo:[1,1,0]
	s_set_vgpr_msb 17                       ;  msbs: dst=0 src0=1 src1=0 src2=1
	v_dot4_i32_iu8 v3, v45 /*v301*/, v234, v15 /*v271*/ neg_lo:[1,1,0]
	s_set_vgpr_msb 1                        ;  msbs: dst=0 src0=1 src1=0 src2=0
	v_dot4_i32_iu8 v6, v26 /*v282*/, v132, v6 neg_lo:[1,1,0]
	s_set_vgpr_msb 4                        ;  msbs: dst=0 src0=0 src1=1 src2=0
	s_delay_alu instid0(VALU_DEP_2) | instskip(NEXT) | instid1(VALU_DEP_2)
	v_dot4_i32_iu8 v3, v235, v46 /*v302*/, v3 neg_lo:[1,1,0]
	v_dot4_i32_iu8 v6, v134, v24 /*v280*/, v6 neg_lo:[1,1,0]
	s_set_vgpr_msb 0                        ;  msbs: dst=0 src0=0 src1=0 src2=0
	s_delay_alu instid0(VALU_DEP_2) | instskip(SKIP_1) | instid1(VALU_DEP_3)
	v_mul_lo_u32 v4, v3, v210
	v_cvt_f32_i32_e32 v3, v2
	v_mul_lo_u32 v6, v6, v145
	s_delay_alu instid0(VALU_DEP_3) | instskip(SKIP_1) | instid1(VALU_DEP_3)
	v_cvt_f32_i32_e32 v2, v4
	v_pk_fma_f32 v[4:5], v[130:131], v[20:21], 0 op_sel_hi:[0,1,0]
	v_cvt_f32_i32_e32 v7, v6
	s_delay_alu instid0(VALU_DEP_3) | instskip(SKIP_1) | instid1(VALU_DEP_4)
	v_pk_fma_f32 v[2:3], v[16:17], v[2:3], 0 op_sel_hi:[1,1,0]
	v_cvt_f32_i32_e32 v6, v8
	v_pk_fma_f32 v[0:1], v[120:121], v[0:1], v[4:5] op_sel_hi:[0,1,1]
	s_set_vgpr_msb 1                        ;  msbs: dst=0 src0=1 src1=0 src2=0
	s_delay_alu instid0(VALU_DEP_2) | instskip(SKIP_1) | instid1(VALU_DEP_2)
	v_pk_fma_f32 v[2:3], v[20:21] /*v[276:277]*/, v[6:7], v[2:3]
	s_set_vgpr_msb 0                        ;  msbs: dst=0 src0=0 src1=0 src2=0
	v_pk_mul_f32 v[0:1], v[0:1], v[118:119]
	s_delay_alu instid0(VALU_DEP_1) | instskip(NEXT) | instid1(VALU_DEP_1)
	v_pk_fma_f32 v[0:1], v[2:3], v[110:111], v[0:1] neg_lo:[0,0,1] neg_hi:[0,0,1]
	v_pk_add_f32 v[36:37], v[36:37], v[0:1]
	v_or_b32_e32 v0, s12, v165
	s_delay_alu instid0(VALU_DEP_1)
	v_lshlrev_b32_e32 v1, 2, v0
	s_set_vgpr_msb 64                       ;  msbs: dst=1 src0=0 src1=0 src2=0
	v_lshrrev_b32_e32 v28 /*v284*/, 1, v0
	s_set_vgpr_msb 0                        ;  msbs: dst=0 src0=0 src1=0 src2=0
	ds_load_b128 v[4:7], v1 offset:33280
	ds_load_b128 v[14:17], v1 offset:33296
	;; [unrolled: 1-line block ×4, first 2 shown]
	s_wait_dscnt 0x3
	v_bfe_i32 v12, v4, 0, 8
	v_perm_b32 v21, v4, v4, 0xc0c0201
	s_set_vgpr_msb 64                       ;  msbs: dst=1 src0=0 src1=0 src2=0
	v_perm_b32 v15 /*v271*/, v5, v4, 0x6050403
	v_perm_b32 v16 /*v272*/, v6, v5, 0x6050403
	;; [unrolled: 1-line block ×3, first 2 shown]
	s_set_vgpr_msb 0                        ;  msbs: dst=0 src0=0 src1=0 src2=0
	v_mul_i32_i24_e32 v20, v12, v150
	s_wait_dscnt 0x2
	s_set_vgpr_msb 64                       ;  msbs: dst=1 src0=0 src1=0 src2=0
	v_perm_b32 v17 /*v273*/, v14, v121, 0x6050403
	v_perm_b32 v18 /*v274*/, v148, v7, 0x6050403
	s_set_vgpr_msb 0                        ;  msbs: dst=0 src0=0 src1=0 src2=0
	v_ashrrev_i32_e32 v18, 24, v14
	s_set_vgpr_msb 64                       ;  msbs: dst=1 src0=0 src1=0 src2=0
	v_perm_b32 v23 /*v279*/, v15, v15, 0xc0c0100
	s_set_vgpr_msb 4                        ;  msbs: dst=0 src0=0 src1=1 src2=0
	v_dot4_i32_iu8 v20, v21, v9 /*v265*/, v20 neg_lo:[1,1,0]
	s_wait_dscnt 0x1
	v_bfe_i32 v19, v8, 0, 8
	s_set_vgpr_msb 64                       ;  msbs: dst=1 src0=0 src1=0 src2=0
	v_perm_b32 v24 /*v280*/, v16, v15, 0x5040302
	s_set_vgpr_msb 0                        ;  msbs: dst=0 src0=0 src1=0 src2=0
	v_perm_b32 v8, v9, v8, 0x4030201
	v_perm_b32 v9, v10, v9, 0x4030201
	s_set_vgpr_msb 5                        ;  msbs: dst=0 src0=1 src1=1 src2=0
	v_dot4_i32_iu8 v20, v15 /*v271*/, v10 /*v266*/, v20 neg_lo:[1,1,0]
	s_set_vgpr_msb 0                        ;  msbs: dst=0 src0=0 src1=0 src2=0
	v_perm_b32 v10, v11, v10, 0x4030201
	s_wait_dscnt 0x0
	s_set_vgpr_msb 64                       ;  msbs: dst=1 src0=0 src1=0 src2=0
	v_perm_b32 v25 /*v281*/, v0, v11, 0x4030201
	v_perm_b32 v27 /*v283*/, v1, v0, 0x4030201
	s_set_vgpr_msb 0                        ;  msbs: dst=0 src0=0 src1=0 src2=0
	v_perm_b32 v1, v2, v1, 0x4030201
	s_set_vgpr_msb 5                        ;  msbs: dst=0 src0=1 src1=1 src2=0
	v_dot4_i32_iu8 v20, v16 /*v272*/, v11 /*v267*/, v20 neg_lo:[1,1,0]
	s_set_vgpr_msb 0                        ;  msbs: dst=0 src0=0 src1=0 src2=0
	v_bfe_i32 v13, v4, 8, 8
	v_perm_b32 v4, v5, v4, 0x5040302
	v_perm_b32 v5, v6, v5, 0x5040302
	;; [unrolled: 1-line block ×3, first 2 shown]
	s_set_vgpr_msb 5                        ;  msbs: dst=0 src0=1 src1=1 src2=0
	v_dot4_i32_iu8 v20, v22 /*v278*/, v12 /*v268*/, v20 neg_lo:[1,1,0]
	s_delay_alu instid0(VALU_DEP_1)
	v_dot4_i32_iu8 v20, v18 /*v274*/, v17 /*v273*/, v20 neg_lo:[1,1,0]
	s_set_vgpr_msb 64                       ;  msbs: dst=1 src0=0 src1=0 src2=0
	v_perm_b32 v17 /*v273*/, v14, v135, 0x6050403
	v_perm_b32 v18 /*v274*/, v155, v7, 0x6050403
	s_set_vgpr_msb 0                        ;  msbs: dst=0 src0=0 src1=0 src2=0
	v_mad_i32_i24 v20, v149, v18, v20
	s_set_vgpr_msb 5                        ;  msbs: dst=0 src0=1 src1=1 src2=0
	s_delay_alu instid0(VALU_DEP_1) | instskip(SKIP_1) | instid1(VALU_DEP_1)
	v_dot4_i32_iu8 v20, v13 /*v269*/, v23 /*v279*/, v20 neg_lo:[1,1,0]
	s_set_vgpr_msb 0x45                     ;  msbs: dst=1 src0=1 src1=1 src2=0
	v_dot4_i32_iu8 v26 /*v282*/, v14 /*v270*/, v24 /*v280*/, v20 neg_lo:[1,1,0]
	s_set_vgpr_msb 0                        ;  msbs: dst=0 src0=0 src1=0 src2=0
	v_mul_i32_i24_e32 v20, v151, v19
	s_delay_alu instid0(VALU_DEP_1) | instskip(NEXT) | instid1(VALU_DEP_1)
	v_dot4_i32_iu8 v20, v152, v8, v20 neg_lo:[1,1,0]
	v_dot4_i32_iu8 v20, v153, v9, v20 neg_lo:[1,1,0]
	s_set_vgpr_msb 1                        ;  msbs: dst=0 src0=1 src1=0 src2=0
	s_delay_alu instid0(VALU_DEP_1) | instskip(SKIP_1) | instid1(VALU_DEP_1)
	v_dot4_i32_iu8 v20, v5 /*v261*/, v10, v20 neg_lo:[1,1,0]
	s_set_vgpr_msb 5                        ;  msbs: dst=0 src0=1 src1=1 src2=0
	v_dot4_i32_iu8 v20, v6 /*v262*/, v25 /*v281*/, v20 neg_lo:[1,1,0]
	s_delay_alu instid0(VALU_DEP_1) | instskip(SKIP_1) | instid1(VALU_DEP_1)
	v_dot4_i32_iu8 v20, v7 /*v263*/, v27 /*v283*/, v20 neg_lo:[1,1,0]
	s_set_vgpr_msb 0x41                     ;  msbs: dst=1 src0=1 src1=0 src2=0
	v_dot4_i32_iu8 v21 /*v277*/, v8 /*v264*/, v1, v20 neg_lo:[1,1,0]
	s_set_vgpr_msb 0                        ;  msbs: dst=0 src0=0 src1=0 src2=0
	v_mul_i32_i24_e32 v20, v12, v156
	s_delay_alu instid0(VALU_DEP_1) | instskip(SKIP_1) | instid1(VALU_DEP_1)
	v_dot4_i32_iu8 v20, v21, v253, v20 neg_lo:[1,1,0]
	s_set_vgpr_msb 1                        ;  msbs: dst=0 src0=1 src1=0 src2=0
	v_dot4_i32_iu8 v20, v15 /*v271*/, v254, v20 neg_lo:[1,1,0]
	s_delay_alu instid0(VALU_DEP_1) | instskip(SKIP_1) | instid1(VALU_DEP_1)
	v_dot4_i32_iu8 v20, v16 /*v272*/, v255, v20 neg_lo:[1,1,0]
	s_set_vgpr_msb 5                        ;  msbs: dst=0 src0=1 src1=1 src2=0
	v_dot4_i32_iu8 v20, v22 /*v278*/, v0 /*v256*/, v20 neg_lo:[1,1,0]
	s_delay_alu instid0(VALU_DEP_1) | instskip(SKIP_1) | instid1(VALU_DEP_1)
	v_dot4_i32_iu8 v20, v18 /*v274*/, v17 /*v273*/, v20 neg_lo:[1,1,0]
	s_set_vgpr_msb 0                        ;  msbs: dst=0 src0=0 src1=0 src2=0
	v_mad_i32_i24 v20, v157, v18, v20
	s_set_vgpr_msb 5                        ;  msbs: dst=0 src0=1 src1=1 src2=0
	s_delay_alu instid0(VALU_DEP_1) | instskip(SKIP_1) | instid1(VALU_DEP_1)
	v_dot4_i32_iu8 v20, v1 /*v257*/, v23 /*v279*/, v20 neg_lo:[1,1,0]
	s_set_vgpr_msb 0x45                     ;  msbs: dst=1 src0=1 src1=1 src2=0
	v_dot4_i32_iu8 v20 /*v276*/, v2 /*v258*/, v24 /*v280*/, v20 neg_lo:[1,1,0]
	s_set_vgpr_msb 0                        ;  msbs: dst=0 src0=0 src1=0 src2=0
	v_mul_i32_i24_e32 v20, v19, v204
	s_delay_alu instid0(VALU_DEP_1) | instskip(NEXT) | instid1(VALU_DEP_1)
	v_dot4_i32_iu8 v20, v8, v205, v20 neg_lo:[1,1,0]
	v_dot4_i32_iu8 v20, v9, v236, v20 neg_lo:[1,1,0]
	s_delay_alu instid0(VALU_DEP_1) | instskip(SKIP_1) | instid1(VALU_DEP_1)
	v_dot4_i32_iu8 v20, v10, v237, v20 neg_lo:[1,1,0]
	s_set_vgpr_msb 1                        ;  msbs: dst=0 src0=1 src1=0 src2=0
	v_dot4_i32_iu8 v20, v25 /*v281*/, v238, v20 neg_lo:[1,1,0]
	s_delay_alu instid0(VALU_DEP_1) | instskip(SKIP_1) | instid1(VALU_DEP_1)
	v_dot4_i32_iu8 v20, v27 /*v283*/, v239, v20 neg_lo:[1,1,0]
	s_set_vgpr_msb 64                       ;  msbs: dst=1 src0=0 src1=0 src2=0
	v_dot4_i32_iu8 v19 /*v275*/, v1, v240, v20 neg_lo:[1,1,0]
	s_set_vgpr_msb 0                        ;  msbs: dst=0 src0=0 src1=0 src2=0
	v_mul_i32_i24_e32 v20, v12, v213
	s_delay_alu instid0(VALU_DEP_1) | instskip(NEXT) | instid1(VALU_DEP_1)
	v_mad_i32_i24 v13, v13, v214, v20
	v_dot4_i32_iu8 v4, v4, v215, v13 neg_lo:[1,1,0]
	s_delay_alu instid0(VALU_DEP_1) | instskip(SKIP_1) | instid1(VALU_DEP_1)
	v_dot4_i32_iu8 v4, v5, v216, v4 neg_lo:[1,1,0]
	v_perm_b32 v5, v7, v6, 0x5040302
	v_dot4_i32_iu8 v4, v5, v217, v4 neg_lo:[1,1,0]
	v_perm_b32 v5, v14, v7, 0x5040302
	s_delay_alu instid0(VALU_DEP_1) | instskip(SKIP_1) | instid1(VALU_DEP_1)
	v_dot4_i32_iu8 v4, v5, v218, v4 neg_lo:[1,1,0]
	v_perm_b32 v5, v15, v14, 0x5040302
	v_dot4_i32_iu8 v4, v5, v219, v4 neg_lo:[1,1,0]
	v_perm_b32 v5, v146, v11, 0x4030201
	s_set_vgpr_msb 0x41                     ;  msbs: dst=1 src0=1 src1=0 src2=0
	s_delay_alu instid0(VALU_DEP_2) | instskip(SKIP_2) | instid1(VALU_DEP_1)
	v_dot4_i32_iu8 v18 /*v274*/, v24 /*v280*/, v221, v4 neg_lo:[1,1,0]
	s_set_vgpr_msb 0                        ;  msbs: dst=0 src0=0 src1=0 src2=0
	v_mul_i32_i24_e32 v4, v19, v222
	v_dot4_i32_iu8 v4, v8, v244, v4 neg_lo:[1,1,0]
	s_delay_alu instid0(VALU_DEP_1) | instskip(NEXT) | instid1(VALU_DEP_1)
	v_dot4_i32_iu8 v4, v9, v245, v4 neg_lo:[1,1,0]
	v_dot4_i32_iu8 v4, v10, v246, v4 neg_lo:[1,1,0]
	s_delay_alu instid0(VALU_DEP_1) | instskip(SKIP_3) | instid1(VALU_DEP_3)
	v_dot4_i32_iu8 v0, v5, v0, v4 neg_lo:[1,1,0]
	v_perm_b32 v4, v14, v141, 0x6050403
	v_perm_b32 v5, v206, v7, 0x6050403
	s_set_vgpr_msb 4                        ;  msbs: dst=0 src0=0 src1=1 src2=0
	v_dot4_i32_iu8 v0, v247, v27 /*v283*/, v0 neg_lo:[1,1,0]
	s_set_vgpr_msb 64                       ;  msbs: dst=1 src0=0 src1=0 src2=0
	s_delay_alu instid0(VALU_DEP_1) | instskip(SKIP_2) | instid1(VALU_DEP_1)
	v_dot4_i32_iu8 v17 /*v273*/, v248, v1, v0 neg_lo:[1,1,0]
	s_set_vgpr_msb 0                        ;  msbs: dst=0 src0=0 src1=0 src2=0
	v_mul_i32_i24_e32 v0, v12, v207
	v_dot4_i32_iu8 v0, v21, v223, v0 neg_lo:[1,1,0]
	s_set_vgpr_msb 1                        ;  msbs: dst=0 src0=1 src1=0 src2=0
	s_delay_alu instid0(VALU_DEP_1) | instskip(NEXT) | instid1(VALU_DEP_1)
	v_dot4_i32_iu8 v0, v15 /*v271*/, v224, v0 neg_lo:[1,1,0]
	v_dot4_i32_iu8 v0, v16 /*v272*/, v225, v0 neg_lo:[1,1,0]
	s_delay_alu instid0(VALU_DEP_1) | instskip(SKIP_1) | instid1(VALU_DEP_1)
	v_dot4_i32_iu8 v0, v22 /*v278*/, v140, v0 neg_lo:[1,1,0]
	s_set_vgpr_msb 0                        ;  msbs: dst=0 src0=0 src1=0 src2=0
	v_dot4_i32_iu8 v0, v5, v4, v0 neg_lo:[1,1,0]
	s_delay_alu instid0(VALU_DEP_1) | instskip(SKIP_1) | instid1(VALU_DEP_1)
	v_mad_i32_i24 v0, v208, v18, v0
	s_set_vgpr_msb 4                        ;  msbs: dst=0 src0=0 src1=1 src2=0
	v_dot4_i32_iu8 v0, v226, v23 /*v279*/, v0 neg_lo:[1,1,0]
	s_set_vgpr_msb 0x44                     ;  msbs: dst=1 src0=0 src1=1 src2=0
	s_delay_alu instid0(VALU_DEP_1) | instskip(SKIP_2) | instid1(VALU_DEP_1)
	v_dot4_i32_iu8 v16 /*v272*/, v227, v24 /*v280*/, v0 neg_lo:[1,1,0]
	s_set_vgpr_msb 0                        ;  msbs: dst=0 src0=0 src1=0 src2=0
	v_mul_i32_i24_e32 v0, v19, v211
	v_dot4_i32_iu8 v0, v8, v228, v0 neg_lo:[1,1,0]
	s_delay_alu instid0(VALU_DEP_1) | instskip(NEXT) | instid1(VALU_DEP_1)
	v_dot4_i32_iu8 v0, v9, v229, v0 neg_lo:[1,1,0]
	v_dot4_i32_iu8 v0, v10, v230, v0 neg_lo:[1,1,0]
	s_set_vgpr_msb 4                        ;  msbs: dst=0 src0=0 src1=1 src2=0
	s_delay_alu instid0(VALU_DEP_1) | instskip(NEXT) | instid1(VALU_DEP_1)
	v_dot4_i32_iu8 v0, v231, v25 /*v281*/, v0 neg_lo:[1,1,0]
	v_dot4_i32_iu8 v0, v232, v27 /*v283*/, v0 neg_lo:[1,1,0]
	s_set_vgpr_msb 64                       ;  msbs: dst=1 src0=0 src1=0 src2=0
	s_delay_alu instid0(VALU_DEP_1)
	v_dot4_i32_iu8 v15 /*v271*/, v233, v1, v0 neg_lo:[1,1,0]
	s_set_vgpr_msb 0                        ;  msbs: dst=0 src0=0 src1=0 src2=0
	v_or_b32_e32 v0, s12, v166
	s_add_co_i32 s12, s5, 8
	s_cmp_lt_u32 s5, 24
	s_mov_b32 s5, s12
	s_delay_alu instid0(VALU_DEP_1)
	v_dual_lshlrev_b32 v1, 2, v0 :: v_dual_lshrrev_b32 v0, 1, v0
	ds_load_b128 v[4:7], v1 offset:33280
	ds_load_b128 v[8:11], v1 offset:33296
	;; [unrolled: 1-line block ×4, first 2 shown]
	s_wait_dscnt 0x3
	s_set_vgpr_msb 64                       ;  msbs: dst=1 src0=0 src1=0 src2=0
	v_bfe_i32 v24 /*v280*/, v4, 0, 8
	v_perm_b32 v25 /*v281*/, v4, v4, 0xc0c0201
	s_wait_dscnt 0x2
	s_set_vgpr_msb 0                        ;  msbs: dst=0 src0=0 src1=0 src2=0
	v_perm_b32 v121, v8, v121, 0x6050403
	v_perm_b32 v148, v148, v7, 0x6050403
	s_set_vgpr_msb 64                       ;  msbs: dst=1 src0=0 src1=0 src2=0
	v_ashrrev_i32_e32 v23 /*v279*/, 24, v8
	s_set_vgpr_msb 1                        ;  msbs: dst=0 src0=1 src1=0 src2=0
	v_mul_i32_i24_e32 v1, v24 /*v280*/, v150
	s_wait_dscnt 0x1
	s_set_vgpr_msb 64                       ;  msbs: dst=1 src0=0 src1=0 src2=0
	v_bfe_i32 v22 /*v278*/, v18, 0, 8
	v_bfe_i32 v27 /*v283*/, v4, 8, 8
	s_set_vgpr_msb 5                        ;  msbs: dst=0 src0=1 src1=1 src2=0
	v_dot4_i32_iu8 v1, v25 /*v281*/, v9 /*v265*/, v1 neg_lo:[1,1,0]
	s_set_vgpr_msb 64                       ;  msbs: dst=1 src0=0 src1=0 src2=0
	v_perm_b32 v9 /*v265*/, v5, v4, 0x6050403
	s_set_vgpr_msb 0                        ;  msbs: dst=0 src0=0 src1=0 src2=0
	v_perm_b32 v4, v5, v4, 0x5040302
	s_set_vgpr_msb 5                        ;  msbs: dst=0 src0=1 src1=1 src2=0
	s_delay_alu instid0(VALU_DEP_2)
	v_dot4_i32_iu8 v1, v9 /*v265*/, v10 /*v266*/, v1 neg_lo:[1,1,0]
	s_set_vgpr_msb 64                       ;  msbs: dst=1 src0=0 src1=0 src2=0
	v_perm_b32 v10 /*v266*/, v6, v5, 0x6050403
	s_set_vgpr_msb 0                        ;  msbs: dst=0 src0=0 src1=0 src2=0
	v_perm_b32 v5, v6, v5, 0x5040302
	s_set_vgpr_msb 5                        ;  msbs: dst=0 src0=1 src1=1 src2=0
	s_delay_alu instid0(VALU_DEP_2) | instskip(SKIP_3) | instid1(VALU_DEP_1)
	v_dot4_i32_iu8 v1, v10 /*v266*/, v11 /*v267*/, v1 neg_lo:[1,1,0]
	s_set_vgpr_msb 64                       ;  msbs: dst=1 src0=0 src1=0 src2=0
	v_perm_b32 v11 /*v267*/, v7, v6, 0x6050403
	s_set_vgpr_msb 5                        ;  msbs: dst=0 src0=1 src1=1 src2=0
	v_dot4_i32_iu8 v1, v11 /*v267*/, v12 /*v268*/, v1 neg_lo:[1,1,0]
	s_set_vgpr_msb 64                       ;  msbs: dst=1 src0=0 src1=0 src2=0
	v_perm_b32 v12 /*v268*/, v10, v9, 0x5040302
	s_set_vgpr_msb 0                        ;  msbs: dst=0 src0=0 src1=0 src2=0
	s_delay_alu instid0(VALU_DEP_2) | instskip(SKIP_2) | instid1(VALU_DEP_2)
	v_dot4_i32_iu8 v1, v148, v121, v1 neg_lo:[1,1,0]
	v_perm_b32 v121, v9, v9, 0xc0c0100
	s_set_vgpr_msb 4                        ;  msbs: dst=0 src0=0 src1=1 src2=0
	v_mad_i32_i24 v1, v149, v23 /*v279*/, v1
	s_set_vgpr_msb 1                        ;  msbs: dst=0 src0=1 src1=0 src2=0
	s_delay_alu instid0(VALU_DEP_1) | instskip(SKIP_3) | instid1(VALU_DEP_2)
	v_dot4_i32_iu8 v1, v13 /*v269*/, v121, v1 neg_lo:[1,1,0]
	s_set_vgpr_msb 64                       ;  msbs: dst=1 src0=0 src1=0 src2=0
	v_perm_b32 v13 /*v269*/, v19, v18, 0x4030201
	s_set_vgpr_msb 0x45                     ;  msbs: dst=1 src0=1 src1=1 src2=0
	v_dot4_i32_iu8 v29 /*v285*/, v14 /*v270*/, v12 /*v268*/, v1 neg_lo:[1,1,0]
	s_set_vgpr_msb 4                        ;  msbs: dst=0 src0=0 src1=1 src2=0
	v_mul_i32_i24_e32 v1, v151, v22 /*v278*/
	s_set_vgpr_msb 64                       ;  msbs: dst=1 src0=0 src1=0 src2=0
	v_perm_b32 v14 /*v270*/, v20, v19, 0x4030201
	s_set_vgpr_msb 0                        ;  msbs: dst=0 src0=0 src1=0 src2=0
	v_perm_b32 v20, v21, v20, 0x4030201
	s_set_vgpr_msb 4                        ;  msbs: dst=0 src0=0 src1=1 src2=0
	v_dot4_i32_iu8 v1, v152, v13 /*v269*/, v1 neg_lo:[1,1,0]
	s_delay_alu instid0(VALU_DEP_1)
	v_dot4_i32_iu8 v1, v153, v14 /*v270*/, v1 neg_lo:[1,1,0]
	s_set_vgpr_msb 1                        ;  msbs: dst=0 src0=1 src1=0 src2=0
	ds_load_b64 v[18:19], v28 /*v284*/ offset:43584
	s_set_vgpr_msb 0                        ;  msbs: dst=0 src0=0 src1=0 src2=0
	ds_load_b64 v[152:153], v0 offset:43584
	s_set_vgpr_msb 1                        ;  msbs: dst=0 src0=1 src1=0 src2=0
	v_dot4_i32_iu8 v1, v5 /*v261*/, v20, v1 neg_lo:[1,1,0]
	s_wait_dscnt 0x2
	s_set_vgpr_msb 64                       ;  msbs: dst=1 src0=0 src1=0 src2=0
	v_perm_b32 v5 /*v261*/, v12, v21, 0x4030201
	s_set_vgpr_msb 5                        ;  msbs: dst=0 src0=1 src1=1 src2=0
	s_delay_alu instid0(VALU_DEP_1)
	v_dot4_i32_iu8 v1, v6 /*v262*/, v5 /*v261*/, v1 neg_lo:[1,1,0]
	s_set_vgpr_msb 64                       ;  msbs: dst=1 src0=0 src1=0 src2=0
	v_perm_b32 v6 /*v262*/, v13, v12, 0x4030201
	s_set_vgpr_msb 0                        ;  msbs: dst=0 src0=0 src1=0 src2=0
	v_perm_b32 v13, v14, v13, 0x4030201
	s_set_vgpr_msb 5                        ;  msbs: dst=0 src0=1 src1=1 src2=0
	s_delay_alu instid0(VALU_DEP_2)
	v_dot4_i32_iu8 v1, v7 /*v263*/, v6 /*v262*/, v1 neg_lo:[1,1,0]
	s_wait_dscnt 0x1
	s_set_vgpr_msb 0                        ;  msbs: dst=0 src0=0 src1=0 src2=0
	v_cvt_f32_f16_e32 v0, v18
	s_wait_dscnt 0x0
	v_dual_lshrrev_b32 v18, 16, v18 :: v_dual_lshrrev_b32 v148, 16, v152
	s_set_vgpr_msb 0x41                     ;  msbs: dst=1 src0=1 src1=0 src2=0
	v_dot4_i32_iu8 v7 /*v263*/, v8 /*v264*/, v13, v1 neg_lo:[1,1,0]
	s_set_vgpr_msb 0                        ;  msbs: dst=0 src0=0 src1=0 src2=0
	v_cvt_f32_f16_e64 v1, v152
	v_cvt_f32_f16_e64 v149, v153
	;; [unrolled: 1-line block ×5, first 2 shown]
	v_dual_lshrrev_b32 v18, 16, v19 :: v_dual_lshrrev_b32 v19, 16, v153
	v_perm_b32 v152, v17, v16, 0x5040302
	v_perm_b32 v153, v11, v10, 0x5040302
	s_set_vgpr_msb 64                       ;  msbs: dst=1 src0=0 src1=0 src2=0
	v_perm_b32 v8 /*v264*/, v17, v17, 0xc0c0302
	s_set_vgpr_msb 16                       ;  msbs: dst=0 src0=0 src1=0 src2=1
	v_cvt_f32_f16_e32 v18, v18
	v_cvt_f32_f16_e32 v19, v19
	v_dot4_i32_iu8 v16, v152, v252, v26 /*v282*/ neg_lo:[1,1,0]
	v_dot4_i32_iu8 v10, v153, v252, v29 /*v285*/ neg_lo:[1,1,0]
	v_perm_b32 v252, v11, v11, 0xc0c0302
	s_set_vgpr_msb 4                        ;  msbs: dst=0 src0=0 src1=1 src2=0
	s_delay_alu instid0(VALU_DEP_3) | instskip(SKIP_1) | instid1(VALU_DEP_2)
	v_dot4_i32_iu8 v11, v251, v8 /*v264*/, v16 neg_lo:[1,1,0]
	s_set_vgpr_msb 0                        ;  msbs: dst=0 src0=0 src1=0 src2=0
	v_dot4_i32_iu8 v10, v251, v252, v10 neg_lo:[1,1,0]
	v_perm_b32 v251, v3, v3, 0xc070601
	s_delay_alu instid0(VALU_DEP_3) | instskip(NEXT) | instid1(VALU_DEP_3)
	v_mul_lo_u32 v16, v11, v154
	v_mul_lo_u32 v10, v10, v154
	v_perm_b32 v154, v3, v124, 0x4030201
	v_perm_b32 v124, v15, v124, 0x4030201
	s_delay_alu instid0(VALU_DEP_3) | instskip(SKIP_4) | instid1(VALU_DEP_4)
	v_cvt_f32_i32_e32 v11, v10
	v_cvt_f32_i32_e32 v10, v16
	v_pk_fma_f32 v[16:17], v[126:127], v[150:151], 0 op_sel_hi:[0,1,0]
	v_perm_b32 v126, v125, v2, 0x4030201
	v_perm_b32 v125, v125, v14, 0x4030201
	v_pk_fma_f32 v[10:11], v[0:1], v[10:11], 0 op_sel_hi:[1,1,0]
	s_set_vgpr_msb 16                       ;  msbs: dst=0 src0=0 src1=0 src2=1
	s_delay_alu instid0(VALU_DEP_3) | instskip(NEXT) | instid1(VALU_DEP_3)
	v_dot4_i32_iu8 v126, v154, v126, v21 /*v277*/ neg_lo:[1,1,0]
	v_dot4_i32_iu8 v124, v124, v125, v7 /*v263*/ neg_lo:[1,1,0]
	v_perm_b32 v154, v15, v15, 0xc070601
	s_set_vgpr_msb 0                        ;  msbs: dst=0 src0=0 src1=0 src2=0
	s_delay_alu instid0(VALU_DEP_3) | instskip(NEXT) | instid1(VALU_DEP_2)
	v_dot4_i32_iu8 v125, v243, v251, v126 neg_lo:[1,1,0]
	v_dot4_i32_iu8 v124, v243, v154, v124 neg_lo:[1,1,0]
	s_delay_alu instid0(VALU_DEP_2) | instskip(NEXT) | instid1(VALU_DEP_2)
	v_mul_lo_u32 v126, v125, v123
	v_mul_lo_u32 v123, v124, v123
	s_delay_alu instid0(VALU_DEP_2) | instskip(NEXT) | instid1(VALU_DEP_2)
	v_cvt_f32_i32_e32 v124, v126
	v_cvt_f32_i32_e32 v125, v123
	v_pk_fma_f32 v[16:17], v[122:123], v[18:19], v[16:17] op_sel_hi:[0,1,1]
	s_delay_alu instid0(VALU_DEP_2) | instskip(NEXT) | instid1(VALU_DEP_2)
	v_pk_fma_f32 v[10:11], v[148:149], v[124:125], v[10:11]
	v_pk_mul_f32 v[16:17], v[16:17], v[112:113]
	v_perm_b32 v124, v3, v2, 0x4030201
	v_perm_b32 v125, v15, v14, 0x4030201
	;; [unrolled: 1-line block ×4, first 2 shown]
	v_pk_fma_f32 v[10:11], v[10:11], v[22:23], v[16:17] neg_lo:[0,0,1] neg_hi:[0,0,1]
	v_perm_b32 v16, v155, v7, 0x6050403
	s_set_vgpr_msb 16                       ;  msbs: dst=0 src0=0 src1=0 src2=1
	v_dot4_i32_iu8 v123, v124, v241, v19 /*v275*/ neg_lo:[1,1,0]
	v_dot4_i32_iu8 v2, v3, v2, v17 /*v273*/ neg_lo:[1,1,0]
	v_pk_add_f32 v[34:35], v[34:35], v[10:11]
	s_set_vgpr_msb 1                        ;  msbs: dst=0 src0=1 src1=0 src2=0
	v_mul_i32_i24_e32 v10, v24 /*v280*/, v156
	s_set_vgpr_msb 0                        ;  msbs: dst=0 src0=0 src1=0 src2=0
	v_perm_b32 v11, v8, v135, 0x6050403
	v_dot4_i32_iu8 v123, v242, v251, v123 neg_lo:[1,1,0]
	v_perm_b32 v3, v137, v14, 0x4030201
	v_dot4_i32_iu8 v2, v147, v251, v2 neg_lo:[1,1,0]
	s_set_vgpr_msb 1                        ;  msbs: dst=0 src0=1 src1=0 src2=0
	v_dot4_i32_iu8 v10, v25 /*v281*/, v253, v10 neg_lo:[1,1,0]
	s_set_vgpr_msb 0                        ;  msbs: dst=0 src0=0 src1=0 src2=0
	v_mul_lo_u32 v126, v123, v220
	v_mul_lo_u32 v2, v2, v209
	s_set_vgpr_msb 1                        ;  msbs: dst=0 src0=1 src1=0 src2=0
	v_dot4_i32_iu8 v10, v9 /*v265*/, v254, v10 neg_lo:[1,1,0]
	s_delay_alu instid0(VALU_DEP_1) | instskip(SKIP_1) | instid1(VALU_DEP_1)
	v_dot4_i32_iu8 v10, v10 /*v266*/, v255, v10 neg_lo:[1,1,0]
	s_set_vgpr_msb 5                        ;  msbs: dst=0 src0=1 src1=1 src2=0
	v_dot4_i32_iu8 v10, v11 /*v267*/, v0 /*v256*/, v10 neg_lo:[1,1,0]
	s_set_vgpr_msb 0                        ;  msbs: dst=0 src0=0 src1=0 src2=0
	s_delay_alu instid0(VALU_DEP_4) | instskip(NEXT) | instid1(VALU_DEP_2)
	v_cvt_f32_i32_e32 v2, v2
	v_dot4_i32_iu8 v10, v16, v11, v10 neg_lo:[1,1,0]
	s_set_vgpr_msb 1                        ;  msbs: dst=0 src0=1 src1=0 src2=0
	v_mul_i32_i24_e32 v11, v22 /*v278*/, v204
	s_set_vgpr_msb 4                        ;  msbs: dst=0 src0=0 src1=1 src2=0
	s_delay_alu instid0(VALU_DEP_2) | instskip(SKIP_1) | instid1(VALU_DEP_2)
	v_mad_i32_i24 v10, v157, v23 /*v279*/, v10
	s_set_vgpr_msb 1                        ;  msbs: dst=0 src0=1 src1=0 src2=0
	v_dot4_i32_iu8 v11, v13 /*v269*/, v205, v11 neg_lo:[1,1,0]
	s_delay_alu instid0(VALU_DEP_2) | instskip(NEXT) | instid1(VALU_DEP_2)
	v_dot4_i32_iu8 v10, v1 /*v257*/, v121, v10 neg_lo:[1,1,0]
	v_dot4_i32_iu8 v11, v14 /*v270*/, v236, v11 neg_lo:[1,1,0]
	s_set_vgpr_msb 5                        ;  msbs: dst=0 src0=1 src1=1 src2=0
	s_delay_alu instid0(VALU_DEP_2) | instskip(SKIP_1) | instid1(VALU_DEP_2)
	v_dot4_i32_iu8 v10, v2 /*v258*/, v12 /*v268*/, v10 neg_lo:[1,1,0]
	s_set_vgpr_msb 0                        ;  msbs: dst=0 src0=0 src1=0 src2=0
	v_dot4_i32_iu8 v11, v20, v237, v11 neg_lo:[1,1,0]
	s_set_vgpr_msb 4                        ;  msbs: dst=0 src0=0 src1=1 src2=0
	s_delay_alu instid0(VALU_DEP_2) | instskip(SKIP_1) | instid1(VALU_DEP_2)
	v_dot4_i32_iu8 v10, v153, v3 /*v259*/, v10 neg_lo:[1,1,0]
	s_set_vgpr_msb 1                        ;  msbs: dst=0 src0=1 src1=0 src2=0
	v_dot4_i32_iu8 v11, v5 /*v261*/, v238, v11 neg_lo:[1,1,0]
	s_delay_alu instid0(VALU_DEP_2) | instskip(NEXT) | instid1(VALU_DEP_2)
	v_dot4_i32_iu8 v10, v4 /*v260*/, v252, v10 neg_lo:[1,1,0]
	v_dot4_i32_iu8 v11, v6 /*v262*/, v239, v11 neg_lo:[1,1,0]
	s_set_vgpr_msb 0                        ;  msbs: dst=0 src0=0 src1=0 src2=0
	s_delay_alu instid0(VALU_DEP_2) | instskip(NEXT) | instid1(VALU_DEP_2)
	v_mul_lo_u32 v10, v10, v203
	v_dot4_i32_iu8 v122, v13, v240, v11 neg_lo:[1,1,0]
	s_set_vgpr_msb 20                       ;  msbs: dst=0 src0=0 src1=1 src2=1
	v_dot4_i32_iu8 v11, v152, v3 /*v259*/, v20 /*v276*/ neg_lo:[1,1,0]
	s_set_vgpr_msb 0                        ;  msbs: dst=0 src0=0 src1=0 src2=0
	s_delay_alu instid0(VALU_DEP_2) | instskip(SKIP_1) | instid1(VALU_DEP_2)
	v_dot4_i32_iu8 v122, v125, v241, v122 neg_lo:[1,1,0]
	s_set_vgpr_msb 5                        ;  msbs: dst=0 src0=1 src1=1 src2=0
	v_dot4_i32_iu8 v11, v4 /*v260*/, v8 /*v264*/, v11 neg_lo:[1,1,0]
	s_set_vgpr_msb 0                        ;  msbs: dst=0 src0=0 src1=0 src2=0
	s_delay_alu instid0(VALU_DEP_2) | instskip(NEXT) | instid1(VALU_DEP_2)
	v_dot4_i32_iu8 v122, v242, v154, v122 neg_lo:[1,1,0]
	v_mul_lo_u32 v16, v11, v203
	v_cvt_f32_i32_e32 v11, v10
	s_delay_alu instid0(VALU_DEP_3) | instskip(NEXT) | instid1(VALU_DEP_3)
	v_mul_lo_u32 v122, v122, v220
	v_cvt_f32_i32_e32 v10, v16
	v_pk_fma_f32 v[16:17], v[128:129], v[150:151], 0 op_sel_hi:[0,1,0]
	s_delay_alu instid0(VALU_DEP_3) | instskip(NEXT) | instid1(VALU_DEP_3)
	v_cvt_f32_i32_e32 v123, v122
	v_pk_fma_f32 v[10:11], v[0:1], v[10:11], 0 op_sel_hi:[1,1,0]
	v_cvt_f32_i32_e32 v122, v126
	s_delay_alu instid0(VALU_DEP_4) | instskip(NEXT) | instid1(VALU_DEP_2)
	v_pk_fma_f32 v[16:17], v[144:145], v[18:19], v[16:17] op_sel_hi:[0,1,1]
	v_pk_fma_f32 v[10:11], v[148:149], v[122:123], v[10:11]
	s_delay_alu instid0(VALU_DEP_2) | instskip(NEXT) | instid1(VALU_DEP_1)
	v_pk_mul_f32 v[16:17], v[16:17], v[114:115]
	v_pk_fma_f32 v[10:11], v[10:11], v[24:25], v[16:17] neg_lo:[0,0,1] neg_hi:[0,0,1]
	s_delay_alu instid0(VALU_DEP_1) | instskip(SKIP_2) | instid1(VALU_DEP_1)
	v_pk_add_f32 v[32:33], v[32:33], v[10:11]
	s_set_vgpr_msb 1                        ;  msbs: dst=0 src0=1 src1=0 src2=0
	v_mul_i32_i24_e32 v10, v24 /*v280*/, v213
	v_mad_i32_i24 v10, v27 /*v283*/, v214, v10
	s_set_vgpr_msb 0                        ;  msbs: dst=0 src0=0 src1=0 src2=0
	s_delay_alu instid0(VALU_DEP_1) | instskip(SKIP_1) | instid1(VALU_DEP_2)
	v_dot4_i32_iu8 v4, v4, v215, v10 neg_lo:[1,1,0]
	v_pk_fma_f32 v[10:11], v[138:139], v[150:151], 0 op_sel_hi:[0,1,0]
	v_dot4_i32_iu8 v4, v5, v216, v4 neg_lo:[1,1,0]
	v_perm_b32 v5, v7, v6, 0x5040302
	v_perm_b32 v6, v12, v133, 0x4030201
	s_delay_alu instid0(VALU_DEP_2) | instskip(SKIP_1) | instid1(VALU_DEP_1)
	v_dot4_i32_iu8 v4, v5, v217, v4 neg_lo:[1,1,0]
	v_perm_b32 v5, v8, v7, 0x5040302
	v_dot4_i32_iu8 v4, v5, v218, v4 neg_lo:[1,1,0]
	v_perm_b32 v5, v9, v8, 0x5040302
	v_perm_b32 v9, v146, v21, 0x4030201
	s_delay_alu instid0(VALU_DEP_2) | instskip(SKIP_2) | instid1(VALU_DEP_2)
	v_dot4_i32_iu8 v4, v5, v219, v4 neg_lo:[1,1,0]
	s_set_vgpr_msb 1                        ;  msbs: dst=0 src0=1 src1=0 src2=0
	v_mul_i32_i24_e32 v5, v22 /*v278*/, v222
	v_dot4_i32_iu8 v4, v12 /*v268*/, v221, v4 neg_lo:[1,1,0]
	s_delay_alu instid0(VALU_DEP_2) | instskip(SKIP_1) | instid1(VALU_DEP_2)
	v_dot4_i32_iu8 v5, v13 /*v269*/, v244, v5 neg_lo:[1,1,0]
	s_set_vgpr_msb 0                        ;  msbs: dst=0 src0=0 src1=0 src2=0
	v_dot4_i32_iu8 v4, v153, v249, v4 neg_lo:[1,1,0]
	s_set_vgpr_msb 1                        ;  msbs: dst=0 src0=1 src1=0 src2=0
	s_delay_alu instid0(VALU_DEP_2) | instskip(SKIP_1) | instid1(VALU_DEP_2)
	v_dot4_i32_iu8 v5, v14 /*v270*/, v245, v5 neg_lo:[1,1,0]
	s_set_vgpr_msb 0                        ;  msbs: dst=0 src0=0 src1=0 src2=0
	v_dot4_i32_iu8 v4, v250, v252, v4 neg_lo:[1,1,0]
	s_delay_alu instid0(VALU_DEP_2) | instskip(NEXT) | instid1(VALU_DEP_2)
	v_dot4_i32_iu8 v5, v20, v246, v5 neg_lo:[1,1,0]
	v_mul_lo_u32 v4, v4, v212
	s_delay_alu instid0(VALU_DEP_2) | instskip(SKIP_1) | instid1(VALU_DEP_1)
	v_dot4_i32_iu8 v5, v9, v6, v5 neg_lo:[1,1,0]
	s_set_vgpr_msb 4                        ;  msbs: dst=0 src0=0 src1=1 src2=0
	v_dot4_i32_iu8 v5, v247, v6 /*v262*/, v5 neg_lo:[1,1,0]
	s_set_vgpr_msb 0                        ;  msbs: dst=0 src0=0 src1=0 src2=0
	s_delay_alu instid0(VALU_DEP_1) | instskip(SKIP_3) | instid1(VALU_DEP_1)
	v_dot4_i32_iu8 v6, v248, v13, v5 neg_lo:[1,1,0]
	s_set_vgpr_msb 16                       ;  msbs: dst=0 src0=0 src1=0 src2=1
	v_dot4_i32_iu8 v5, v152, v249, v18 /*v274*/ neg_lo:[1,1,0]
	s_set_vgpr_msb 4                        ;  msbs: dst=0 src0=0 src1=1 src2=0
	v_dot4_i32_iu8 v5, v250, v8 /*v264*/, v5 neg_lo:[1,1,0]
	s_set_vgpr_msb 0                        ;  msbs: dst=0 src0=0 src1=0 src2=0
	s_delay_alu instid0(VALU_DEP_1) | instskip(SKIP_1) | instid1(VALU_DEP_2)
	v_mul_lo_u32 v9, v5, v212
	v_cvt_f32_i32_e32 v5, v4
	v_cvt_f32_i32_e32 v4, v9
	v_perm_b32 v9, v15, v136, 0x4030201
	s_delay_alu instid0(VALU_DEP_2) | instskip(NEXT) | instid1(VALU_DEP_2)
	v_pk_fma_f32 v[4:5], v[0:1], v[4:5], 0 op_sel_hi:[1,1,0]
	v_dot4_i32_iu8 v3, v9, v3, v6 neg_lo:[1,1,0]
	s_delay_alu instid0(VALU_DEP_1) | instskip(NEXT) | instid1(VALU_DEP_1)
	v_dot4_i32_iu8 v3, v147, v154, v3 neg_lo:[1,1,0]
	v_mul_lo_u32 v3, v3, v209
	s_delay_alu instid0(VALU_DEP_1) | instskip(NEXT) | instid1(VALU_DEP_1)
	v_cvt_f32_i32_e32 v3, v3
	v_pk_fma_f32 v[2:3], v[148:149], v[2:3], v[4:5]
	v_pk_fma_f32 v[4:5], v[142:143], v[18:19], v[10:11] op_sel_hi:[0,1,1]
	s_delay_alu instid0(VALU_DEP_1) | instskip(NEXT) | instid1(VALU_DEP_1)
	v_pk_mul_f32 v[4:5], v[4:5], v[116:117]
	v_pk_fma_f32 v[2:3], v[2:3], v[26:27], v[4:5] neg_lo:[0,0,1] neg_hi:[0,0,1]
	v_perm_b32 v4, v206, v7, 0x6050403
	s_delay_alu instid0(VALU_DEP_2)
	v_pk_add_f32 v[30:31], v[30:31], v[2:3]
	s_set_vgpr_msb 1                        ;  msbs: dst=0 src0=1 src1=0 src2=0
	v_mul_i32_i24_e32 v2, v24 /*v280*/, v207
	s_set_vgpr_msb 0                        ;  msbs: dst=0 src0=0 src1=0 src2=0
	v_perm_b32 v3, v8, v141, 0x6050403
	s_set_vgpr_msb 1                        ;  msbs: dst=0 src0=1 src1=0 src2=0
	s_delay_alu instid0(VALU_DEP_2) | instskip(NEXT) | instid1(VALU_DEP_1)
	v_dot4_i32_iu8 v2, v25 /*v281*/, v223, v2 neg_lo:[1,1,0]
	v_dot4_i32_iu8 v2, v9 /*v265*/, v224, v2 neg_lo:[1,1,0]
	s_delay_alu instid0(VALU_DEP_1) | instskip(NEXT) | instid1(VALU_DEP_1)
	v_dot4_i32_iu8 v2, v10 /*v266*/, v225, v2 neg_lo:[1,1,0]
	v_dot4_i32_iu8 v2, v11 /*v267*/, v140, v2 neg_lo:[1,1,0]
	s_set_vgpr_msb 0                        ;  msbs: dst=0 src0=0 src1=0 src2=0
	s_delay_alu instid0(VALU_DEP_1) | instskip(SKIP_3) | instid1(VALU_DEP_2)
	v_dot4_i32_iu8 v2, v4, v3, v2 neg_lo:[1,1,0]
	s_set_vgpr_msb 1                        ;  msbs: dst=0 src0=1 src1=0 src2=0
	v_mul_i32_i24_e32 v3, v22 /*v278*/, v211
	s_set_vgpr_msb 4                        ;  msbs: dst=0 src0=0 src1=1 src2=0
	v_mad_i32_i24 v2, v208, v23 /*v279*/, v2
	s_set_vgpr_msb 1                        ;  msbs: dst=0 src0=1 src1=0 src2=0
	s_delay_alu instid0(VALU_DEP_2) | instskip(SKIP_1) | instid1(VALU_DEP_2)
	v_dot4_i32_iu8 v3, v13 /*v269*/, v228, v3 neg_lo:[1,1,0]
	s_set_vgpr_msb 0                        ;  msbs: dst=0 src0=0 src1=0 src2=0
	v_dot4_i32_iu8 v2, v226, v121, v2 neg_lo:[1,1,0]
	s_set_vgpr_msb 1                        ;  msbs: dst=0 src0=1 src1=0 src2=0
	s_delay_alu instid0(VALU_DEP_2) | instskip(SKIP_1) | instid1(VALU_DEP_2)
	v_dot4_i32_iu8 v3, v14 /*v270*/, v229, v3 neg_lo:[1,1,0]
	s_set_vgpr_msb 4                        ;  msbs: dst=0 src0=0 src1=1 src2=0
	v_dot4_i32_iu8 v2, v227, v12 /*v268*/, v2 neg_lo:[1,1,0]
	s_set_vgpr_msb 0                        ;  msbs: dst=0 src0=0 src1=0 src2=0
	s_delay_alu instid0(VALU_DEP_2) | instskip(NEXT) | instid1(VALU_DEP_2)
	v_dot4_i32_iu8 v3, v20, v230, v3 neg_lo:[1,1,0]
	v_dot4_i32_iu8 v2, v153, v234, v2 neg_lo:[1,1,0]
	s_set_vgpr_msb 4                        ;  msbs: dst=0 src0=0 src1=1 src2=0
	s_delay_alu instid0(VALU_DEP_2) | instskip(SKIP_1) | instid1(VALU_DEP_2)
	v_dot4_i32_iu8 v3, v231, v5 /*v261*/, v3 neg_lo:[1,1,0]
	s_set_vgpr_msb 0                        ;  msbs: dst=0 src0=0 src1=0 src2=0
	v_dot4_i32_iu8 v2, v235, v252, v2 neg_lo:[1,1,0]
	s_set_vgpr_msb 4                        ;  msbs: dst=0 src0=0 src1=1 src2=0
	s_delay_alu instid0(VALU_DEP_2) | instskip(SKIP_1) | instid1(VALU_DEP_2)
	v_dot4_i32_iu8 v3, v232, v6 /*v262*/, v3 neg_lo:[1,1,0]
	s_set_vgpr_msb 0                        ;  msbs: dst=0 src0=0 src1=0 src2=0
	v_mul_lo_u32 v2, v2, v210
	s_delay_alu instid0(VALU_DEP_2) | instskip(SKIP_3) | instid1(VALU_DEP_2)
	v_dot4_i32_iu8 v4, v233, v13, v3 neg_lo:[1,1,0]
	s_set_vgpr_msb 16                       ;  msbs: dst=0 src0=0 src1=0 src2=1
	v_dot4_i32_iu8 v3, v152, v234, v16 /*v272*/ neg_lo:[1,1,0]
	s_set_vgpr_msb 0                        ;  msbs: dst=0 src0=0 src1=0 src2=0
	v_dot4_i32_iu8 v4, v125, v132, v4 neg_lo:[1,1,0]
	s_set_vgpr_msb 4                        ;  msbs: dst=0 src0=0 src1=1 src2=0
	s_delay_alu instid0(VALU_DEP_2) | instskip(SKIP_1) | instid1(VALU_DEP_2)
	v_dot4_i32_iu8 v3, v235, v8 /*v264*/, v3 neg_lo:[1,1,0]
	s_set_vgpr_msb 0                        ;  msbs: dst=0 src0=0 src1=0 src2=0
	v_dot4_i32_iu8 v4, v134, v154, v4 neg_lo:[1,1,0]
	s_delay_alu instid0(VALU_DEP_2) | instskip(SKIP_1) | instid1(VALU_DEP_3)
	v_mul_lo_u32 v5, v3, v210
	v_cvt_f32_i32_e32 v3, v2
	v_mul_lo_u32 v4, v4, v145
	s_delay_alu instid0(VALU_DEP_3) | instskip(SKIP_2) | instid1(VALU_DEP_2)
	v_cvt_f32_i32_e32 v2, v5
	s_set_vgpr_msb 16                       ;  msbs: dst=0 src0=0 src1=0 src2=1
	v_dot4_i32_iu8 v5, v124, v132, v15 /*v271*/ neg_lo:[1,1,0]
	v_pk_fma_f32 v[0:1], v[0:1], v[2:3], 0 op_sel_hi:[1,1,0]
	s_set_vgpr_msb 0                        ;  msbs: dst=0 src0=0 src1=0 src2=0
	s_delay_alu instid0(VALU_DEP_2) | instskip(SKIP_1) | instid1(VALU_DEP_2)
	v_dot4_i32_iu8 v5, v134, v251, v5 neg_lo:[1,1,0]
	v_pk_fma_f32 v[2:3], v[130:131], v[150:151], 0 op_sel_hi:[0,1,0]
	v_mul_lo_u32 v6, v5, v145
	v_cvt_f32_i32_e32 v5, v4
	s_delay_alu instid0(VALU_DEP_3) | instskip(NEXT) | instid1(VALU_DEP_1)
	v_pk_fma_f32 v[2:3], v[120:121], v[18:19], v[2:3] op_sel_hi:[0,1,1]
	v_pk_mul_f32 v[2:3], v[2:3], v[118:119]
	s_delay_alu instid0(VALU_DEP_4) | instskip(NEXT) | instid1(VALU_DEP_1)
	v_cvt_f32_i32_e32 v4, v6
	v_pk_fma_f32 v[0:1], v[148:149], v[4:5], v[0:1]
	s_delay_alu instid0(VALU_DEP_1) | instskip(NEXT) | instid1(VALU_DEP_1)
	v_pk_fma_f32 v[0:1], v[0:1], v[110:111], v[2:3] neg_lo:[0,0,1] neg_hi:[0,0,1]
	v_pk_add_f32 v[28:29], v[28:29], v[0:1]
	s_cbranch_scc1 .LBB133_8
; %bb.9:                                ;   in Loop: Header=BB133_5 Depth=1
	s_add_co_i32 s10, s10, 1
	s_delay_alu instid0(SALU_CYCLE_1)
	s_cmp_eq_u32 s10, s15
	s_barrier_signal -1
	s_barrier_wait -1
	s_cbranch_scc0 .LBB133_5
; %bb.10:
	v_dual_mov_b32 v1, v53 :: v_dual_mov_b32 v2, v67
.LBB133_11:
	s_wait_xcnt 0x0
	s_mov_b32 s0, exec_lo
	v_cmpx_gt_u32_e64 s4, v69
	s_cbranch_execz .LBB133_62
; %bb.12:
	v_mul_lo_u32 v5, v69, s6
	v_add_nc_u32_e32 v0, s14, v2
	s_delay_alu instid0(VALU_DEP_1)
	v_cmp_gt_u32_e32 vcc_lo, s6, v0
	s_and_saveexec_b32 s0, vcc_lo
	s_cbranch_execz .LBB133_14
; %bb.13:
	s_delay_alu instid0(VALU_DEP_3)
	v_add_nc_u32_e32 v2, v0, v5
	s_wait_kmcnt 0x0
	global_store_b32 v2, v64, s[8:9] scale_offset
.LBB133_14:
	s_wait_xcnt 0x0
	s_or_b32 exec_lo, exec_lo, s0
	v_add_nc_u32_e32 v2, 32, v0
	s_delay_alu instid0(VALU_DEP_1)
	v_cmp_gt_u32_e64 s0, s6, v2
	s_and_saveexec_b32 s1, s0
	s_cbranch_execz .LBB133_16
; %bb.15:
	v_add_nc_u32_e32 v3, v2, v5
	s_wait_kmcnt 0x0
	global_store_b32 v3, v62, s[8:9] scale_offset
.LBB133_16:
	s_wait_xcnt 0x0
	s_or_b32 exec_lo, exec_lo, s1
	v_add_nc_u32_e32 v3, 64, v0
	s_delay_alu instid0(VALU_DEP_1)
	v_cmp_gt_u32_e64 s1, s6, v3
	s_and_saveexec_b32 s2, s1
	s_cbranch_execz .LBB133_18
; %bb.17:
	v_add_nc_u32_e32 v4, v3, v5
	s_wait_kmcnt 0x0
	global_store_b32 v4, v60, s[8:9] scale_offset
.LBB133_18:
	s_wait_xcnt 0x0
	s_or_b32 exec_lo, exec_lo, s2
	v_add_nc_u32_e32 v4, 0x60, v0
	s_delay_alu instid0(VALU_DEP_1)
	v_cmp_gt_u32_e64 s2, s6, v4
	s_and_saveexec_b32 s3, s2
	s_cbranch_execz .LBB133_20
; %bb.19:
	v_add_nc_u32_e32 v5, v4, v5
	s_wait_kmcnt 0x0
	global_store_b32 v5, v58, s[8:9] scale_offset
.LBB133_20:
	s_wait_xcnt 0x0
	s_or_b32 exec_lo, exec_lo, s3
	v_add3_u32 v5, v1, s7, 8
	s_delay_alu instid0(VALU_DEP_1)
	v_cmp_gt_u32_e64 s3, s4, v5
	s_and_b32 exec_lo, exec_lo, s3
	s_cbranch_execz .LBB133_62
; %bb.21:
	v_mul_lo_u32 v5, v5, s6
	s_and_saveexec_b32 s3, vcc_lo
	s_cbranch_execnz .LBB133_63
; %bb.22:
	s_or_b32 exec_lo, exec_lo, s3
	s_and_saveexec_b32 s3, s0
	s_cbranch_execnz .LBB133_64
.LBB133_23:
	s_or_b32 exec_lo, exec_lo, s3
	s_and_saveexec_b32 s3, s1
	s_cbranch_execnz .LBB133_65
.LBB133_24:
	s_or_b32 exec_lo, exec_lo, s3
	s_and_saveexec_b32 s3, s2
	s_cbranch_execz .LBB133_26
.LBB133_25:
	v_add_nc_u32_e32 v5, v5, v4
	s_wait_kmcnt 0x0
	global_store_b32 v5, v59, s[8:9] scale_offset
.LBB133_26:
	s_wait_xcnt 0x0
	s_or_b32 exec_lo, exec_lo, s3
	v_add3_u32 v5, v1, s7, 16
	s_delay_alu instid0(VALU_DEP_1)
	v_cmp_gt_u32_e64 s3, s4, v5
	s_and_b32 exec_lo, exec_lo, s3
	s_cbranch_execz .LBB133_62
; %bb.27:
	v_mul_lo_u32 v5, v5, s6
	s_and_saveexec_b32 s3, vcc_lo
	s_cbranch_execnz .LBB133_66
; %bb.28:
	s_or_b32 exec_lo, exec_lo, s3
	s_and_saveexec_b32 s3, s0
	s_cbranch_execnz .LBB133_67
.LBB133_29:
	s_or_b32 exec_lo, exec_lo, s3
	s_and_saveexec_b32 s3, s1
	s_cbranch_execnz .LBB133_68
.LBB133_30:
	s_or_b32 exec_lo, exec_lo, s3
	s_and_saveexec_b32 s3, s2
	s_cbranch_execz .LBB133_32
.LBB133_31:
	v_add_nc_u32_e32 v5, v5, v4
	s_wait_kmcnt 0x0
	global_store_b32 v5, v44, s[8:9] scale_offset
.LBB133_32:
	s_wait_xcnt 0x0
	s_or_b32 exec_lo, exec_lo, s3
	v_add3_u32 v5, v1, s7, 24
	s_delay_alu instid0(VALU_DEP_1)
	v_cmp_gt_u32_e64 s3, s4, v5
	s_and_b32 exec_lo, exec_lo, s3
	s_cbranch_execz .LBB133_62
; %bb.33:
	v_mul_lo_u32 v5, v5, s6
	s_and_saveexec_b32 s3, vcc_lo
	s_cbranch_execnz .LBB133_69
; %bb.34:
	s_or_b32 exec_lo, exec_lo, s3
	s_and_saveexec_b32 s3, s0
	s_cbranch_execnz .LBB133_70
.LBB133_35:
	s_or_b32 exec_lo, exec_lo, s3
	s_and_saveexec_b32 s3, s1
	s_cbranch_execnz .LBB133_71
.LBB133_36:
	s_or_b32 exec_lo, exec_lo, s3
	s_and_saveexec_b32 s3, s2
	s_cbranch_execz .LBB133_38
.LBB133_37:
	v_add_nc_u32_e32 v5, v5, v4
	s_wait_kmcnt 0x0
	global_store_b32 v5, v45, s[8:9] scale_offset
.LBB133_38:
	s_wait_xcnt 0x0
	s_or_b32 exec_lo, exec_lo, s3
	v_add3_u32 v5, v1, s7, 32
	s_delay_alu instid0(VALU_DEP_1)
	v_cmp_gt_u32_e64 s3, s4, v5
	s_and_b32 exec_lo, exec_lo, s3
	s_cbranch_execz .LBB133_62
; %bb.39:
	v_mul_lo_u32 v5, v5, s6
	s_and_saveexec_b32 s3, vcc_lo
	s_cbranch_execnz .LBB133_72
; %bb.40:
	s_or_b32 exec_lo, exec_lo, s3
	s_and_saveexec_b32 s3, s0
	s_cbranch_execnz .LBB133_73
.LBB133_41:
	s_or_b32 exec_lo, exec_lo, s3
	s_and_saveexec_b32 s3, s1
	s_cbranch_execnz .LBB133_74
.LBB133_42:
	s_or_b32 exec_lo, exec_lo, s3
	s_and_saveexec_b32 s3, s2
	s_cbranch_execz .LBB133_44
.LBB133_43:
	v_add_nc_u32_e32 v5, v5, v4
	s_wait_kmcnt 0x0
	global_store_b32 v5, v36, s[8:9] scale_offset
.LBB133_44:
	s_wait_xcnt 0x0
	s_or_b32 exec_lo, exec_lo, s3
	v_add3_u32 v5, v1, s7, 40
	s_delay_alu instid0(VALU_DEP_1)
	v_cmp_gt_u32_e64 s3, s4, v5
	s_and_b32 exec_lo, exec_lo, s3
	s_cbranch_execz .LBB133_62
; %bb.45:
	v_mul_lo_u32 v5, v5, s6
	s_and_saveexec_b32 s3, vcc_lo
	s_cbranch_execnz .LBB133_75
; %bb.46:
	s_or_b32 exec_lo, exec_lo, s3
	s_and_saveexec_b32 s3, s0
	s_cbranch_execnz .LBB133_76
.LBB133_47:
	s_or_b32 exec_lo, exec_lo, s3
	s_and_saveexec_b32 s3, s1
	s_cbranch_execnz .LBB133_77
.LBB133_48:
	s_or_b32 exec_lo, exec_lo, s3
	s_and_saveexec_b32 s3, s2
	s_cbranch_execz .LBB133_50
.LBB133_49:
	v_add_nc_u32_e32 v5, v5, v4
	s_wait_kmcnt 0x0
	global_store_b32 v5, v37, s[8:9] scale_offset
.LBB133_50:
	s_wait_xcnt 0x0
	s_or_b32 exec_lo, exec_lo, s3
	v_add3_u32 v5, v1, s7, 48
	s_delay_alu instid0(VALU_DEP_1)
	v_cmp_gt_u32_e64 s3, s4, v5
	s_and_b32 exec_lo, exec_lo, s3
	s_cbranch_execz .LBB133_62
; %bb.51:
	v_mul_lo_u32 v5, v5, s6
	s_and_saveexec_b32 s3, vcc_lo
	s_cbranch_execnz .LBB133_78
; %bb.52:
	s_or_b32 exec_lo, exec_lo, s3
	s_and_saveexec_b32 s3, s0
	s_cbranch_execnz .LBB133_79
.LBB133_53:
	s_or_b32 exec_lo, exec_lo, s3
	s_and_saveexec_b32 s3, s1
	s_cbranch_execnz .LBB133_80
.LBB133_54:
	s_or_b32 exec_lo, exec_lo, s3
	s_and_saveexec_b32 s3, s2
	s_cbranch_execz .LBB133_56
.LBB133_55:
	v_add_nc_u32_e32 v5, v5, v4
	s_wait_kmcnt 0x0
	global_store_b32 v5, v28, s[8:9] scale_offset
.LBB133_56:
	s_wait_xcnt 0x0
	s_or_b32 exec_lo, exec_lo, s3
	v_add3_u32 v1, v1, s7, 56
	s_delay_alu instid0(VALU_DEP_1)
	v_cmp_gt_u32_e64 s3, s4, v1
	s_and_b32 exec_lo, exec_lo, s3
	s_cbranch_execz .LBB133_62
; %bb.57:
	v_mul_lo_u32 v1, v1, s6
	s_and_saveexec_b32 s3, vcc_lo
	s_cbranch_execnz .LBB133_81
; %bb.58:
	s_or_b32 exec_lo, exec_lo, s3
	s_and_saveexec_b32 s3, s0
	s_cbranch_execnz .LBB133_82
.LBB133_59:
	s_or_b32 exec_lo, exec_lo, s3
	s_and_saveexec_b32 s0, s1
	s_cbranch_execnz .LBB133_83
.LBB133_60:
	s_or_b32 exec_lo, exec_lo, s0
	s_delay_alu instid0(SALU_CYCLE_1)
	s_and_b32 exec_lo, exec_lo, s2
	s_cbranch_execz .LBB133_62
.LBB133_61:
	v_add_nc_u32_e32 v0, v1, v4
	s_wait_kmcnt 0x0
	global_store_b32 v0, v29, s[8:9] scale_offset
.LBB133_62:
	s_sendmsg sendmsg(MSG_DEALLOC_VGPRS)
	s_endpgm
.LBB133_63:
	s_delay_alu instid0(VALU_DEP_1)
	v_add_nc_u32_e32 v6, v5, v0
	s_wait_kmcnt 0x0
	global_store_b32 v6, v65, s[8:9] scale_offset
	s_wait_xcnt 0x0
	s_or_b32 exec_lo, exec_lo, s3
	s_and_saveexec_b32 s3, s0
	s_cbranch_execz .LBB133_23
.LBB133_64:
	s_delay_alu instid0(VALU_DEP_1)
	v_add_nc_u32_e32 v6, v5, v2
	s_wait_kmcnt 0x0
	global_store_b32 v6, v63, s[8:9] scale_offset
	s_wait_xcnt 0x0
	s_or_b32 exec_lo, exec_lo, s3
	s_and_saveexec_b32 s3, s1
	s_cbranch_execz .LBB133_24
.LBB133_65:
	s_delay_alu instid0(VALU_DEP_1)
	v_add_nc_u32_e32 v6, v5, v3
	s_wait_kmcnt 0x0
	global_store_b32 v6, v61, s[8:9] scale_offset
	s_wait_xcnt 0x0
	s_or_b32 exec_lo, exec_lo, s3
	s_and_saveexec_b32 s3, s2
	s_cbranch_execnz .LBB133_25
	s_branch .LBB133_26
.LBB133_66:
	s_delay_alu instid0(VALU_DEP_1)
	v_add_nc_u32_e32 v6, v5, v0
	s_wait_kmcnt 0x0
	global_store_b32 v6, v50, s[8:9] scale_offset
	s_wait_xcnt 0x0
	s_or_b32 exec_lo, exec_lo, s3
	s_and_saveexec_b32 s3, s0
	s_cbranch_execz .LBB133_29
.LBB133_67:
	s_delay_alu instid0(VALU_DEP_1)
	v_add_nc_u32_e32 v6, v5, v2
	s_wait_kmcnt 0x0
	global_store_b32 v6, v48, s[8:9] scale_offset
	s_wait_xcnt 0x0
	s_or_b32 exec_lo, exec_lo, s3
	s_and_saveexec_b32 s3, s1
	s_cbranch_execz .LBB133_30
.LBB133_68:
	s_delay_alu instid0(VALU_DEP_1)
	v_add_nc_u32_e32 v6, v5, v3
	s_wait_kmcnt 0x0
	global_store_b32 v6, v46, s[8:9] scale_offset
	s_wait_xcnt 0x0
	s_or_b32 exec_lo, exec_lo, s3
	s_and_saveexec_b32 s3, s2
	s_cbranch_execnz .LBB133_31
	s_branch .LBB133_32
.LBB133_69:
	s_delay_alu instid0(VALU_DEP_1)
	v_add_nc_u32_e32 v6, v5, v0
	s_wait_kmcnt 0x0
	global_store_b32 v6, v51, s[8:9] scale_offset
	s_wait_xcnt 0x0
	s_or_b32 exec_lo, exec_lo, s3
	s_and_saveexec_b32 s3, s0
	s_cbranch_execz .LBB133_35
.LBB133_70:
	s_delay_alu instid0(VALU_DEP_1)
	v_add_nc_u32_e32 v6, v5, v2
	s_wait_kmcnt 0x0
	global_store_b32 v6, v49, s[8:9] scale_offset
	s_wait_xcnt 0x0
	s_or_b32 exec_lo, exec_lo, s3
	s_and_saveexec_b32 s3, s1
	s_cbranch_execz .LBB133_36
.LBB133_71:
	s_delay_alu instid0(VALU_DEP_1)
	v_add_nc_u32_e32 v6, v5, v3
	s_wait_kmcnt 0x0
	global_store_b32 v6, v47, s[8:9] scale_offset
	s_wait_xcnt 0x0
	s_or_b32 exec_lo, exec_lo, s3
	s_and_saveexec_b32 s3, s2
	s_cbranch_execnz .LBB133_37
	s_branch .LBB133_38
.LBB133_72:
	s_delay_alu instid0(VALU_DEP_1)
	v_add_nc_u32_e32 v6, v5, v0
	s_wait_kmcnt 0x0
	global_store_b32 v6, v42, s[8:9] scale_offset
	s_wait_xcnt 0x0
	s_or_b32 exec_lo, exec_lo, s3
	s_and_saveexec_b32 s3, s0
	s_cbranch_execz .LBB133_41
.LBB133_73:
	s_delay_alu instid0(VALU_DEP_1)
	v_add_nc_u32_e32 v6, v5, v2
	s_wait_kmcnt 0x0
	global_store_b32 v6, v40, s[8:9] scale_offset
	s_wait_xcnt 0x0
	s_or_b32 exec_lo, exec_lo, s3
	s_and_saveexec_b32 s3, s1
	s_cbranch_execz .LBB133_42
.LBB133_74:
	s_delay_alu instid0(VALU_DEP_1)
	v_add_nc_u32_e32 v6, v5, v3
	s_wait_kmcnt 0x0
	global_store_b32 v6, v38, s[8:9] scale_offset
	s_wait_xcnt 0x0
	s_or_b32 exec_lo, exec_lo, s3
	s_and_saveexec_b32 s3, s2
	s_cbranch_execnz .LBB133_43
	s_branch .LBB133_44
.LBB133_75:
	s_delay_alu instid0(VALU_DEP_1)
	v_add_nc_u32_e32 v6, v5, v0
	s_wait_kmcnt 0x0
	global_store_b32 v6, v43, s[8:9] scale_offset
	s_wait_xcnt 0x0
	s_or_b32 exec_lo, exec_lo, s3
	s_and_saveexec_b32 s3, s0
	s_cbranch_execz .LBB133_47
.LBB133_76:
	s_delay_alu instid0(VALU_DEP_1)
	v_add_nc_u32_e32 v6, v5, v2
	s_wait_kmcnt 0x0
	global_store_b32 v6, v41, s[8:9] scale_offset
	s_wait_xcnt 0x0
	s_or_b32 exec_lo, exec_lo, s3
	s_and_saveexec_b32 s3, s1
	s_cbranch_execz .LBB133_48
.LBB133_77:
	s_delay_alu instid0(VALU_DEP_1)
	v_add_nc_u32_e32 v6, v5, v3
	s_wait_kmcnt 0x0
	global_store_b32 v6, v39, s[8:9] scale_offset
	s_wait_xcnt 0x0
	s_or_b32 exec_lo, exec_lo, s3
	s_and_saveexec_b32 s3, s2
	s_cbranch_execnz .LBB133_49
	s_branch .LBB133_50
.LBB133_78:
	s_delay_alu instid0(VALU_DEP_1)
	v_add_nc_u32_e32 v6, v5, v0
	s_wait_kmcnt 0x0
	global_store_b32 v6, v34, s[8:9] scale_offset
	s_wait_xcnt 0x0
	s_or_b32 exec_lo, exec_lo, s3
	s_and_saveexec_b32 s3, s0
	s_cbranch_execz .LBB133_53
.LBB133_79:
	s_delay_alu instid0(VALU_DEP_1)
	v_add_nc_u32_e32 v6, v5, v2
	s_wait_kmcnt 0x0
	global_store_b32 v6, v32, s[8:9] scale_offset
	s_wait_xcnt 0x0
	s_or_b32 exec_lo, exec_lo, s3
	s_and_saveexec_b32 s3, s1
	s_cbranch_execz .LBB133_54
.LBB133_80:
	s_delay_alu instid0(VALU_DEP_1)
	v_add_nc_u32_e32 v6, v5, v3
	s_wait_kmcnt 0x0
	global_store_b32 v6, v30, s[8:9] scale_offset
	s_wait_xcnt 0x0
	s_or_b32 exec_lo, exec_lo, s3
	s_and_saveexec_b32 s3, s2
	s_cbranch_execnz .LBB133_55
	s_branch .LBB133_56
.LBB133_81:
	s_delay_alu instid0(VALU_DEP_1)
	v_add_nc_u32_e32 v0, v1, v0
	s_wait_kmcnt 0x0
	global_store_b32 v0, v35, s[8:9] scale_offset
	s_wait_xcnt 0x0
	s_or_b32 exec_lo, exec_lo, s3
	s_and_saveexec_b32 s3, s0
	s_cbranch_execz .LBB133_59
.LBB133_82:
	s_delay_alu instid0(VALU_DEP_1)
	v_add_nc_u32_e32 v0, v1, v2
	s_wait_kmcnt 0x0
	global_store_b32 v0, v33, s[8:9] scale_offset
	s_wait_xcnt 0x0
	s_or_b32 exec_lo, exec_lo, s3
	s_and_saveexec_b32 s0, s1
	s_cbranch_execz .LBB133_60
.LBB133_83:
	s_delay_alu instid0(VALU_DEP_1) | instskip(SKIP_4) | instid1(SALU_CYCLE_1)
	v_add_nc_u32_e32 v0, v1, v3
	s_wait_kmcnt 0x0
	global_store_b32 v0, v31, s[8:9] scale_offset
	s_wait_xcnt 0x0
	s_or_b32 exec_lo, exec_lo, s0
	s_and_b32 exec_lo, exec_lo, s2
	s_cbranch_execnz .LBB133_61
	s_branch .LBB133_62
	.section	.rodata,"a",@progbits
	.p2align	6, 0x0
	.amdhsa_kernel _ZL12mul_mat_q5_KIfLb0EEvPKvS1_PT_iiiii
		.amdhsa_group_segment_fixed_size 45136
		.amdhsa_private_segment_fixed_size 0
		.amdhsa_kernarg_size 44
		.amdhsa_user_sgpr_count 2
		.amdhsa_user_sgpr_dispatch_ptr 0
		.amdhsa_user_sgpr_queue_ptr 0
		.amdhsa_user_sgpr_kernarg_segment_ptr 1
		.amdhsa_user_sgpr_dispatch_id 0
		.amdhsa_user_sgpr_kernarg_preload_length 0
		.amdhsa_user_sgpr_kernarg_preload_offset 0
		.amdhsa_user_sgpr_private_segment_size 0
		.amdhsa_wavefront_size32 1
		.amdhsa_uses_dynamic_stack 0
		.amdhsa_enable_private_segment 0
		.amdhsa_system_sgpr_workgroup_id_x 1
		.amdhsa_system_sgpr_workgroup_id_y 1
		.amdhsa_system_sgpr_workgroup_id_z 0
		.amdhsa_system_sgpr_workgroup_info 0
		.amdhsa_system_vgpr_workitem_id 1
		.amdhsa_next_free_vgpr 318
		.amdhsa_next_free_sgpr 18
		.amdhsa_named_barrier_count 0
		.amdhsa_reserve_vcc 1
		.amdhsa_float_round_mode_32 0
		.amdhsa_float_round_mode_16_64 0
		.amdhsa_float_denorm_mode_32 3
		.amdhsa_float_denorm_mode_16_64 3
		.amdhsa_fp16_overflow 0
		.amdhsa_memory_ordered 1
		.amdhsa_forward_progress 1
		.amdhsa_inst_pref_size 255
		.amdhsa_round_robin_scheduling 0
		.amdhsa_exception_fp_ieee_invalid_op 0
		.amdhsa_exception_fp_denorm_src 0
		.amdhsa_exception_fp_ieee_div_zero 0
		.amdhsa_exception_fp_ieee_overflow 0
		.amdhsa_exception_fp_ieee_underflow 0
		.amdhsa_exception_fp_ieee_inexact 0
		.amdhsa_exception_int_div_zero 0
	.end_amdhsa_kernel
	.section	.text._ZL12mul_mat_q5_KIfLb0EEvPKvS1_PT_iiiii,"axG",@progbits,_ZL12mul_mat_q5_KIfLb0EEvPKvS1_PT_iiiii,comdat
.Lfunc_end133:
	.size	_ZL12mul_mat_q5_KIfLb0EEvPKvS1_PT_iiiii, .Lfunc_end133-_ZL12mul_mat_q5_KIfLb0EEvPKvS1_PT_iiiii
                                        ; -- End function
	.set _ZL12mul_mat_q5_KIfLb0EEvPKvS1_PT_iiiii.num_vgpr, 318
	.set _ZL12mul_mat_q5_KIfLb0EEvPKvS1_PT_iiiii.num_agpr, 0
	.set _ZL12mul_mat_q5_KIfLb0EEvPKvS1_PT_iiiii.numbered_sgpr, 18
	.set _ZL12mul_mat_q5_KIfLb0EEvPKvS1_PT_iiiii.num_named_barrier, 0
	.set _ZL12mul_mat_q5_KIfLb0EEvPKvS1_PT_iiiii.private_seg_size, 0
	.set _ZL12mul_mat_q5_KIfLb0EEvPKvS1_PT_iiiii.uses_vcc, 1
	.set _ZL12mul_mat_q5_KIfLb0EEvPKvS1_PT_iiiii.uses_flat_scratch, 0
	.set _ZL12mul_mat_q5_KIfLb0EEvPKvS1_PT_iiiii.has_dyn_sized_stack, 0
	.set _ZL12mul_mat_q5_KIfLb0EEvPKvS1_PT_iiiii.has_recursion, 0
	.set _ZL12mul_mat_q5_KIfLb0EEvPKvS1_PT_iiiii.has_indirect_call, 0
	.section	.AMDGPU.csdata,"",@progbits
; Kernel info:
; codeLenInByte = 38708
; TotalNumSgprs: 20
; NumVgprs: 318
; ScratchSize: 0
; MemoryBound: 0
; FloatMode: 240
; IeeeMode: 1
; LDSByteSize: 45136 bytes/workgroup (compile time only)
; SGPRBlocks: 0
; VGPRBlocks: 19
; NumSGPRsForWavesPerEU: 20
; NumVGPRsForWavesPerEU: 318
; NamedBarCnt: 0
; Occupancy: 3
; WaveLimiterHint : 0
; COMPUTE_PGM_RSRC2:SCRATCH_EN: 0
; COMPUTE_PGM_RSRC2:USER_SGPR: 2
; COMPUTE_PGM_RSRC2:TRAP_HANDLER: 0
; COMPUTE_PGM_RSRC2:TGID_X_EN: 1
; COMPUTE_PGM_RSRC2:TGID_Y_EN: 1
; COMPUTE_PGM_RSRC2:TGID_Z_EN: 0
; COMPUTE_PGM_RSRC2:TIDIG_COMP_CNT: 1
	.section	.text._ZL12mul_mat_q5_KIfLb1EEvPKvS1_PT_iiiii,"axG",@progbits,_ZL12mul_mat_q5_KIfLb1EEvPKvS1_PT_iiiii,comdat
	.globl	_ZL12mul_mat_q5_KIfLb1EEvPKvS1_PT_iiiii ; -- Begin function _ZL12mul_mat_q5_KIfLb1EEvPKvS1_PT_iiiii
	.p2align	8
	.type	_ZL12mul_mat_q5_KIfLb1EEvPKvS1_PT_iiiii,@function
_ZL12mul_mat_q5_KIfLb1EEvPKvS1_PT_iiiii: ; @_ZL12mul_mat_q5_KIfLb1EEvPKvS1_PT_iiiii
; %bb.0:
	s_clause 0x1
	s_load_b128 s[4:7], s[0:1], 0x18
	s_load_b32 s14, s[0:1], 0x28
	s_bfe_u32 s2, ttmp6, 0x4000c
	s_bfe_u32 s8, ttmp6, 0x40010
	s_add_co_i32 s2, s2, 1
	s_and_b32 s3, ttmp6, 15
	s_mul_i32 s2, ttmp9, s2
	s_add_co_i32 s8, s8, 1
	s_add_co_i32 s3, s3, s2
	s_mul_i32 s2, ttmp7, s8
	s_bfe_u32 s8, ttmp6, 0x40004
	s_getreg_b32 s9, hwreg(HW_REG_IB_STS2, 6, 4)
	s_add_co_i32 s8, s8, s2
	s_cmp_eq_u32 s9, 0
	v_bfe_u32 v65, v0, 10, 10
	s_cselect_b32 s8, ttmp7, s8
	v_and_b32_e32 v71, 0x3ff, v0
	s_cselect_b32 s2, ttmp9, s3
	s_lshl_b32 s15, s8, 6
	s_mov_b32 s3, 0
	s_wait_kmcnt 0x0
	s_cmp_gt_i32 s4, 0xff
	s_cbranch_scc1 .LBB134_2
; %bb.1:
	v_bfe_u32 v1, v0, 10, 10
	v_and_b32_e32 v2, 0x3ff, v0
	s_delay_alu instid0(VALU_DEP_2)
	v_add_nc_u32_e32 v73, s15, v1
	s_branch .LBB134_3
.LBB134_2:
	s_mov_b32 s3, -1
                                        ; implicit-def: $vgpr1
                                        ; implicit-def: $vgpr2
                                        ; implicit-def: $vgpr73
.LBB134_3:
	s_load_b64 s[12:13], s[0:1], 0x10
	v_dual_mov_b32 v29, 0 :: v_dual_mov_b32 v28, 0
	v_dual_mov_b32 v41, 0 :: v_dual_mov_b32 v40, 0
	;; [unrolled: 1-line block ×16, first 2 shown]
	s_and_not1_b32 vcc_lo, exec_lo, s3
	s_lshl_b32 s16, s2, 7
	s_cbranch_vccnz .LBB134_11
; %bb.4:
	v_dual_mov_b32 v35, 0 :: v_dual_lshlrev_b32 v1, 1, v0
	v_dual_lshlrev_b32 v20, 2, v71 :: v_dual_bitop2_b32 v2, 7, v0 bitop3:0x40
	s_load_b128 s[8:11], s[0:1], 0x0
	s_wait_xcnt 0x0
	s_ashr_i32 s1, s7, 31
	s_not_b32 s2, s16
	s_lshr_b32 s3, s1, 27
	s_add_co_i32 s1, s5, s2
	v_and_or_b32 v1, v1, 48, v2
	v_dual_lshlrev_b32 v75, 5, v65 :: v_dual_min_i32 v22, s1, v65
	v_dual_add_nc_u32 v23, 8, v65 :: v_dual_add_nc_u32 v24, 16, v65
	s_delay_alu instid0(VALU_DEP_3) | instskip(NEXT) | instid1(VALU_DEP_3)
	v_lshlrev_b32_e32 v1, 2, v1
	v_dual_add_nc_u32 v26, 24, v65 :: v_dual_add_nc_u32 v2, v75, v71
	s_delay_alu instid0(VALU_DEP_3)
	v_min_i32_e32 v25, s1, v23
	s_ashr_i32 s0, s4, 31
	v_bfe_u32 v21, v0, 2, 8
	v_dual_add_nc_u32 v28, 32, v65 :: v_dual_min_i32 v27, s1, v24
	v_and_b32_e32 v2, 0x7f, v2
	v_dual_add_nc_u32 v73, s15, v65 :: v_dual_min_i32 v29, s1, v26
	s_lshr_b32 s0, s0, 24
	s_delay_alu instid0(VALU_DEP_3) | instskip(NEXT) | instid1(VALU_DEP_3)
	v_min_i32_e32 v31, s1, v28
	v_dual_add_nc_u32 v32, 40, v65 :: v_dual_min_i32 v30, s1, v2
	s_add_co_i32 s0, s4, s0
	s_add_co_i32 s4, s6, -1
	s_delay_alu instid0(VALU_DEP_1) | instskip(SKIP_4) | instid1(VALU_DEP_4)
	v_dual_ashrrev_i32 v8, 31, v30 :: v_dual_bitop2_b32 v77, 6, v21 bitop3:0x40
	v_add_nc_u32_e32 v6, 8, v73
	v_cvt_f64_i32_e32 v[2:3], s4
	v_cvt_f64_u32_e32 v[4:5], v73
	v_dual_add_nc_u32 v9, 16, v73 :: v_dual_add_nc_u32 v10, 24, v73
	v_cvt_f64_u32_e32 v[6:7], v6
	v_dual_lshrrev_b32 v18, 27, v8 :: v_dual_add_nc_u32 v12, 32, v73
	v_dual_add_nc_u32 v14, 40, v73 :: v_dual_add_nc_u32 v16, 48, v73
	v_dual_add_nc_u32 v19, 56, v73 :: v_dual_min_i32 v33, s1, v32
	v_cvt_f64_u32_e32 v[8:9], v9
	v_cvt_f64_u32_e32 v[10:11], v10
	;; [unrolled: 1-line block ×5, first 2 shown]
	v_dual_add_nc_u32 v36, v30, v18 :: v_dual_add_nc_u32 v37, 48, v65
	v_cvt_f64_u32_e32 v[18:19], v19
	v_lshl_add_u32 v21, v65, 3, v21
	v_dual_lshlrev_b32 v44, 2, v30 :: v_dual_bitop2_b32 v43, 3, v0 bitop3:0x40
	s_delay_alu instid0(VALU_DEP_4) | instskip(NEXT) | instid1(VALU_DEP_3)
	v_dual_ashrrev_i32 v36, 5, v36 :: v_dual_min_i32 v41, s1, v37
	v_and_b32_e32 v40, 0x7f, v21
	v_bitop3_b32 v42, v21, 64, 0x7f bitop3:0x6c
	s_delay_alu instid0(VALU_DEP_3) | instskip(SKIP_1) | instid1(VALU_DEP_4)
	v_dual_add_nc_u32 v46, 56, v65 :: v_dual_lshlrev_b32 v36, 2, v36
	v_and_b32_e32 v21, 63, v21
	v_min_i32_e32 v40, s1, v40
	s_delay_alu instid0(VALU_DEP_4) | instskip(SKIP_2) | instid1(VALU_DEP_4)
	v_min_i32_e32 v42, s1, v42
	v_add_nc_u32_e32 v45, 0xfe, v43
	v_add3_u32 v91, v36, v44, 0xae40
	v_dual_min_num_f64 v[4:5], v[4:5], v[2:3] :: v_dual_ashrrev_i32 v47, 31, v40
	s_delay_alu instid0(VALU_DEP_4) | instskip(NEXT) | instid1(VALU_DEP_4)
	v_ashrrev_i32_e32 v48, 31, v42
	v_and_b32_e32 v45, 0xff, v45
	v_cmp_gt_u32_e32 vcc_lo, 2, v43
	s_ashr_i32 s17, s0, 8
	v_lshrrev_b32_e32 v36, 29, v47
	v_dual_min_num_f64 v[6:7], v[6:7], v[2:3] :: v_dual_lshrrev_b32 v44, 29, v48
	s_add_co_i32 s0, s7, s3
	v_min_num_f64_e32 v[8:9], v[8:9], v[2:3]
	s_delay_alu instid0(VALU_DEP_3) | instskip(NEXT) | instid1(VALU_DEP_3)
	v_dual_min_num_f64 v[10:11], v[10:11], v[2:3] :: v_dual_add_nc_u32 v36, v40, v36
	v_dual_min_num_f64 v[12:13], v[12:13], v[2:3] :: v_dual_add_nc_u32 v44, v42, v44
	v_min_num_f64_e32 v[14:15], v[14:15], v[2:3]
	v_min_num_f64_e32 v[16:17], v[16:17], v[2:3]
	v_dual_min_num_f64 v[2:3], v[18:19], v[2:3] :: v_dual_bitop2_b32 v18, s15, v21 bitop3:0x54
	v_ashrrev_i32_e32 v19, 3, v36
	v_dual_ashrrev_i32 v36, 3, v44 :: v_dual_cndmask_b32 v44, v45, v43, vcc_lo
	v_dual_lshlrev_b32 v45, 2, v43 :: v_dual_bitop2_b32 v47, 4, v20 bitop3:0x40
	s_delay_alu instid0(VALU_DEP_3) | instskip(NEXT) | instid1(VALU_DEP_3)
	v_dual_lshlrev_b32 v19, 2, v19 :: v_dual_min_i32 v18, s4, v18
	v_lshlrev_b32_e32 v36, 2, v36
	s_ashr_i32 s0, s0, 5
	s_delay_alu instid0(VALU_DEP_3) | instskip(NEXT) | instid1(VALU_DEP_3)
	v_lshl_or_b32 v21, v21, 4, v45
	v_mad_u32 v93, v18, s0, v43
	v_min_i32_e32 v18, s1, v46
	v_add3_u32 v19, v19, v45, 0xa200
	v_cvt_i32_f64_e32 v4, v[4:5]
	v_add3_u32 v36, v36, v45, 0xa200
	v_and_b32_e32 v45, 31, v0
	v_lshlrev_b32_e32 v5, 4, v40
	v_mad_u32 v79, 0x104, v22, v1
	v_mad_u32 v81, 0x104, v25, v1
	;; [unrolled: 1-line block ×3, first 2 shown]
	v_cvt_i32_f64_e32 v6, v[6:7]
	v_lshlrev_b32_e32 v7, 4, v42
	v_lshl_or_b32 v45, v45, 2, 0x8200
	v_cvt_i32_f64_e32 v8, v[8:9]
	v_cvt_i32_f64_e32 v10, v[10:11]
	v_dual_lshlrev_b32 v9, 7, v65 :: v_dual_lshlrev_b32 v11, 7, v23
	v_cvt_i32_f64_e32 v12, v[12:13]
	v_cvt_i32_f64_e32 v14, v[14:15]
	;; [unrolled: 1-line block ×4, first 2 shown]
	v_dual_lshlrev_b32 v13, 7, v24 :: v_dual_lshlrev_b32 v15, 7, v26
	v_dual_lshlrev_b32 v17, 7, v28 :: v_dual_add_nc_u32 v95, v19, v5
	v_dual_lshlrev_b32 v3, 7, v32 :: v_dual_lshlrev_b32 v5, 7, v37
	v_dual_add_nc_u32 v97, v36, v7 :: v_dual_lshlrev_b32 v7, 7, v46
	v_dual_add_nc_u32 v99, v45, v9 :: v_dual_add_nc_u32 v101, v45, v11
	v_dual_add_nc_u32 v103, v45, v13 :: v_dual_add_nc_u32 v105, v45, v15
	s_delay_alu instid0(VALU_DEP_4) | instskip(NEXT) | instid1(VALU_DEP_4)
	v_dual_add_nc_u32 v107, v45, v17 :: v_dual_add_nc_u32 v127, v45, v3
	v_dual_add_nc_u32 v129, v45, v5 :: v_dual_add_nc_u32 v131, v45, v7
	v_add_min_i32_e64 v3, v65, 64, s1
	v_add_min_i32_e64 v5, 0x48, v65, s1
	;; [unrolled: 1-line block ×8, first 2 shown]
	v_mad_u32 v85, 0x104, v29, v1
	v_mad_u32 v87, 0x104, v31, v1
	v_mad_u32 v89, 0x104, v33, v1
	v_mad_u32 v139, 0x104, v41, v1
	v_mad_u32 v143, 0x104, v18, v1
	v_mad_u32 v158, 0x104, v3, v1
	v_mad_u32 v159, 0x104, v5, v1
	v_mad_u32 v160, 0x104, v7, v1
	v_mad_u32 v161, 0x104, v9, v1
	v_mad_u32 v162, 0x104, v11, v1
	v_mad_u32 v163, 0x104, v13, v1
	v_mad_u32 v164, 0x104, v15, v1
	v_mad_u32 v165, 0x104, v17, v1
	v_mul_lo_u32 v168, s0, v4
	v_mul_lo_u32 v169, s0, v6
	v_dual_add_nc_u32 v1, 32, v71 :: v_dual_add_nc_u32 v4, 64, v71
	v_dual_mov_b32 v67, v35 :: v_dual_add_nc_u32 v6, 0x60, v71
	v_bfe_u32 v64, v0, 5, 5
	v_cmp_lt_u32_e32 vcc_lo, 1, v43
	v_mul_lo_u32 v170, s0, v8
	v_mul_lo_u32 v171, s0, v10
	;; [unrolled: 1-line block ×5, first 2 shown]
	v_dual_lshrrev_b32 v175, 3, v1 :: v_dual_lshrrev_b32 v8, 3, v4
	v_lshrrev_b32_e32 v10, 3, v6
	v_mul_lo_u32 v176, s0, v2
	v_lshlrev_b32_e32 v2, 2, v64
	v_cmp_ne_u32_e64 s0, 0, v43
	v_dual_mov_b32 v39, v35 :: v_dual_bitop2_b32 v38, 28, v20 bitop3:0x40
	v_mul_lo_u32 v70, v22, s17
	v_mul_lo_u32 v72, v25, s17
	;; [unrolled: 1-line block ×19, first 2 shown]
	v_dual_lshlrev_b32 v183, 5, v24 :: v_dual_bitop2_b32 v12, 60, v175 bitop3:0x40
	v_dual_lshlrev_b32 v182, 5, v23 :: v_dual_bitop2_b32 v14, 60, v8 bitop3:0x40
	v_dual_lshlrev_b32 v185, 5, v28 :: v_dual_bitop2_b32 v16, 60, v10 bitop3:0x40
	v_bfe_u32 v177, v0, 3, 7
	v_add3_u32 v178, v2, v20, 0xae40
	v_add_co_ci_u32_e64 v0, null, 0, v44, s0
	v_cndmask_b32_e64 v2, 0, 1, vcc_lo
	s_mul_i32 s2, s17, s16
	v_dual_cndmask_b32 v166, 0, v47 :: v_dual_add_nc_u32 v167, 0xaa40, v21
	v_dual_lshlrev_b32 v184, 5, v26 :: v_dual_lshlrev_b32 v186, 5, v32
	v_dual_lshlrev_b32 v187, 5, v37 :: v_dual_lshlrev_b32 v188, 5, v46
	s_movk_i32 s1, 0x2080
	s_movk_i32 s4, 0x4100
	v_dual_lshlrev_b32 v191, 4, v6 :: v_dual_lshlrev_b32 v192, 1, v44
	s_movk_i32 s0, 0x6180
	s_wait_kmcnt 0x0
	v_add_nc_u64_e32 v[108:109], s[10:11], v[38:39]
	v_mov_b64_e32 v[62:63], 0
	v_mov_b64_e32 v[54:55], 0
	;; [unrolled: 1-line block ×16, first 2 shown]
	s_ashr_i32 s3, s2, 31
	v_and_b32_e32 v34, 0x7c, v20
	v_add3_u32 v179, v20, v12, 0xae40
	v_add3_u32 v180, v20, v14, 0xae40
	;; [unrolled: 1-line block ×3, first 2 shown]
	v_dual_lshlrev_b32 v189, 4, v1 :: v_dual_lshlrev_b32 v190, 4, v4
	v_dual_lshlrev_b32 v66, 2, v0 :: v_dual_lshlrev_b32 v68, 2, v2
	v_dual_mov_b32 v69, v35 :: v_dual_lshlrev_b32 v193, 2, v20
	v_dual_lshlrev_b32 v194, 2, v8 :: v_dual_lshlrev_b32 v195, 2, v10
	v_dual_lshlrev_b32 v202, 2, v175 :: v_dual_bitop2_b32 v196, 1, v77 bitop3:0x54
	v_mul_u32_u24_e32 v197, 0x104, v71
	v_mad_u32_u24 v198, 0x104, v71, s1
	v_mad_u32_u24 v199, 0x104, v71, s4
	;; [unrolled: 1-line block ×3, first 2 shown]
	v_lshlrev_b32_e32 v201, 2, v177
	s_mul_u64 s[2:3], s[2:3], 0xb0
	s_mov_b32 s1, 0
	s_add_nc_u64 s[2:3], s[8:9], s[2:3]
	s_mov_b32 s0, s1
.LBB134_5:                              ; =>This Loop Header: Depth=1
                                        ;     Child Loop BB134_6 Depth 2
                                        ;     Child Loop BB134_8 Depth 2
	s_delay_alu instid0(SALU_CYCLE_1) | instskip(SKIP_2) | instid1(SALU_CYCLE_1)
	s_mul_u64 s[4:5], s[0:1], 0xb0
	s_mov_b32 s8, 0
	s_add_nc_u64 s[4:5], s[2:3], s[4:5]
	v_mad_nc_u64_u32 v[0:1], 0xb0, v64, s[4:5]
	v_mad_nc_i64_i32 v[2:3], 0xb0, v104, s[4:5]
	v_mad_nc_i64_i32 v[4:5], 0xb0, v106, s[4:5]
	s_delay_alu instid0(VALU_DEP_3) | instskip(SKIP_1) | instid1(VALU_DEP_4)
	v_mad_nc_i64_i32 v[6:7], 0xb0, v70, v[0:1]
	v_mad_nc_i64_i32 v[8:9], 0xb0, v72, v[0:1]
	v_add_nc_u64_e32 v[24:25], v[2:3], v[66:67]
	v_add_nc_u64_e32 v[2:3], v[2:3], v[68:69]
	;; [unrolled: 1-line block ×4, first 2 shown]
	v_mad_nc_i64_i32 v[10:11], 0xb0, v74, v[0:1]
	v_mad_nc_i64_i32 v[12:13], 0xb0, v76, v[0:1]
	s_clause 0x3
	global_load_b32 v118, v[24:25], off offset:4
	global_load_b32 v119, v[26:27], off offset:4
	;; [unrolled: 1-line block ×4, first 2 shown]
	s_wait_xcnt 0x1
	v_add_nc_u64_e32 v[2:3], v[6:7], v[34:35]
	v_add_nc_u64_e32 v[6:7], v[6:7], v[38:39]
	;; [unrolled: 1-line block ×4, first 2 shown]
	v_mad_nc_i64_i32 v[14:15], 0xb0, v78, v[0:1]
	v_mad_nc_i64_i32 v[16:17], 0xb0, v80, v[0:1]
	;; [unrolled: 1-line block ×3, first 2 shown]
	s_clause 0x3
	global_load_b32 v122, v[2:3], off offset:48
	global_load_b32 v123, v[6:7], off offset:16
	;; [unrolled: 1-line block ×4, first 2 shown]
	v_add_nc_u64_e32 v[2:3], v[10:11], v[34:35]
	v_add_nc_u64_e32 v[6:7], v[10:11], v[38:39]
	s_wait_xcnt 0x0
	v_add_nc_u64_e32 v[8:9], v[12:13], v[38:39]
	v_add_nc_u64_e32 v[10:11], v[12:13], v[34:35]
	v_mad_nc_i64_i32 v[20:21], 0xb0, v84, v[0:1]
	v_mad_nc_i64_i32 v[22:23], 0xb0, v86, v[0:1]
	;; [unrolled: 1-line block ×3, first 2 shown]
	s_clause 0x2
	global_load_b32 v124, v[2:3], off offset:48
	global_load_b32 v125, v[6:7], off offset:16
	;; [unrolled: 1-line block ×3, first 2 shown]
	s_wait_xcnt 0x2
	v_add_nc_u64_e32 v[2:3], v[14:15], v[34:35]
	s_wait_xcnt 0x1
	v_add_nc_u64_e32 v[6:7], v[14:15], v[38:39]
	global_load_b32 v126, v[10:11], off offset:48
	s_wait_xcnt 0x1
	v_add_nc_u64_e32 v[8:9], v[16:17], v[38:39]
	v_mad_nc_i64_i32 v[112:113], 0xb0, v90, v[0:1]
	v_mad_nc_i64_i32 v[114:115], 0xb0, v92, v[0:1]
	;; [unrolled: 1-line block ×3, first 2 shown]
	s_clause 0x1
	global_load_b32 v130, v[2:3], off offset:48
	global_load_b32 v132, v[6:7], off offset:16
	s_wait_xcnt 0x2
	v_add_nc_u64_e32 v[10:11], v[16:17], v[34:35]
	s_wait_xcnt 0x1
	v_add_nc_u64_e32 v[2:3], v[18:19], v[34:35]
	;; [unrolled: 2-line block ×3, first 2 shown]
	global_load_b32 v19, v[8:9], off offset:16
	s_wait_xcnt 0x0
	v_add_nc_u64_e32 v[8:9], v[20:21], v[38:39]
	v_mad_nc_i64_i32 v[4:5], 0xb0, v96, v[0:1]
	v_mad_nc_i64_i32 v[26:27], 0xb0, v98, v[0:1]
	global_load_b32 v18, v[10:11], off offset:48
	s_wait_xcnt 0x0
	v_add_nc_u64_e32 v[10:11], v[20:21], v[34:35]
	s_clause 0x1
	global_load_b32 v20, v[2:3], off offset:48
	global_load_b32 v21, v[6:7], off offset:16
	s_wait_xcnt 0x1
	v_add_nc_u64_e32 v[2:3], v[22:23], v[34:35]
	s_wait_xcnt 0x0
	v_add_nc_u64_e32 v[6:7], v[22:23], v[38:39]
	global_load_b32 v23, v[8:9], off offset:16
	s_wait_xcnt 0x0
	v_add_nc_u64_e32 v[8:9], v[110:111], v[38:39]
	global_load_b32 v22, v[10:11], off offset:48
	s_wait_xcnt 0x0
	v_add_nc_u64_e32 v[10:11], v[110:111], v[34:35]
	v_mad_nc_i64_i32 v[0:1], 0xb0, v100, v[0:1]
	s_clause 0x1
	global_load_b32 v110, v[2:3], off offset:48
	global_load_b32 v111, v[6:7], off offset:16
	s_wait_xcnt 0x1
	v_add_nc_u64_e32 v[2:3], v[112:113], v[34:35]
	s_wait_xcnt 0x0
	v_add_nc_u64_e32 v[6:7], v[112:113], v[38:39]
	s_clause 0x1
	global_load_b32 v113, v[8:9], off offset:16
	global_load_b32 v112, v[10:11], off offset:48
	s_wait_xcnt 0x0
	v_add_nc_u64_e32 v[10:11], v[114:115], v[34:35]
	v_add_nc_u64_e32 v[8:9], v[114:115], v[38:39]
	s_clause 0x1
	global_load_b32 v114, v[2:3], off offset:48
	global_load_b32 v115, v[6:7], off offset:16
	s_wait_xcnt 0x1
	v_add_nc_u64_e32 v[2:3], v[24:25], v[34:35]
	s_wait_xcnt 0x0
	v_add_nc_u64_e32 v[6:7], v[24:25], v[38:39]
	s_clause 0x3
	global_load_b32 v24, v[10:11], off offset:48
	global_load_b32 v25, v[8:9], off offset:16
	;; [unrolled: 1-line block ×4, first 2 shown]
	s_wait_xcnt 0x3
	v_add_nc_u64_e32 v[10:11], v[4:5], v[34:35]
	v_add_nc_u64_e32 v[4:5], v[4:5], v[38:39]
	s_wait_xcnt 0x1
	v_add_nc_u64_e32 v[2:3], v[26:27], v[34:35]
	s_wait_xcnt 0x0
	v_add_nc_u64_e32 v[6:7], v[26:27], v[38:39]
	s_clause 0x1
	global_load_b32 v26, v[10:11], off offset:48
	global_load_b32 v27, v[4:5], off offset:16
	v_add_nc_u64_e32 v[8:9], v[0:1], v[34:35]
	v_add_nc_u64_e32 v[0:1], v[0:1], v[38:39]
	s_clause 0x3
	global_load_b32 v135, v[2:3], off offset:48
	global_load_b32 v136, v[6:7], off offset:16
	;; [unrolled: 1-line block ×4, first 2 shown]
	s_wait_xcnt 0x0
	v_mad_nc_i64_i32 v[0:1], 0xb0, v102, s[4:5]
	s_lshl_b32 s4, s0, 3
	s_mov_b32 s5, -1
	v_add_nc_u32_e32 v2, s4, v177
	s_delay_alu instid0(VALU_DEP_1)
	v_dual_add_nc_u32 v137, s4, v93 :: v_dual_add_nc_u32 v8, v2, v168
	v_dual_add_nc_u32 v3, v2, v171 :: v_dual_add_nc_u32 v12, v2, v172
	global_load_b32 v141, v[0:1], off
	s_wait_xcnt 0x0
	v_dual_add_nc_u32 v0, v2, v169 :: v_dual_add_nc_u32 v10, v2, v170
	v_dual_add_nc_u32 v4, v2, v173 :: v_dual_add_nc_u32 v6, v2, v176
	v_add_nc_u32_e32 v14, v2, v174
	s_delay_alu instid0(VALU_DEP_3) | instskip(SKIP_1) | instid1(VALU_DEP_4)
	v_mad_nc_i64_i32 v[0:1], v0, 36, v[108:109]
	v_mad_nc_i64_i32 v[2:3], v3, 36, v[108:109]
	;; [unrolled: 1-line block ×8, first 2 shown]
	v_mad_nc_u64_u32 v[16:17], v137, 36, s[10:11]
	s_clause 0x8
	global_load_b32 v142, v[0:1], off offset:4
	global_load_b32 v144, v[2:3], off offset:4
	;; [unrolled: 1-line block ×8, first 2 shown]
	global_load_b32 v151, v[16:17], off
	s_wait_loadcnt 0x2c
	s_wait_xcnt 0x8
	v_dual_ashrrev_i32 v0, v166, v118 :: v_dual_ashrrev_i32 v1, v166, v119
	s_wait_loadcnt 0x2a
	s_wait_xcnt 0x7
	v_dual_ashrrev_i32 v3, v192, v121 :: v_dual_ashrrev_i32 v2, v192, v120
	s_delay_alu instid0(VALU_DEP_2) | instskip(SKIP_1) | instid1(VALU_DEP_2)
	v_and_b32_e32 v0, 0xf0f0f0f, v0
	v_and_b32_e32 v1, 0xf0f0f0f, v1
	v_and_or_b32 v0, 0x30303030, v2, v0
	s_delay_alu instid0(VALU_DEP_2)
	v_and_or_b32 v1, 0x30303030, v3, v1
	s_wait_loadcnt 0x28
	s_wait_xcnt 0x6
	v_dual_lshrrev_b32 v3, 4, v122 :: v_dual_ashrrev_i32 v4, v77, v123
	s_wait_loadcnt 0x27
	s_wait_xcnt 0x5
	v_dual_ashrrev_i32 v5, v196, v123 :: v_dual_lshrrev_b32 v7, 4, v116
	s_wait_loadcnt 0x26
	s_wait_xcnt 0x4
	v_dual_ashrrev_i32 v8, v77, v117 :: v_dual_ashrrev_i32 v9, v196, v117
	v_and_b32_e32 v2, 0xf0f0f0f, v122
	v_and_b32_e32 v6, 0xf0f0f0f, v116
	;; [unrolled: 1-line block ×3, first 2 shown]
	s_wait_loadcnt 0x24
	s_wait_xcnt 0x2
	v_dual_lshrrev_b32 v11, 4, v124 :: v_dual_ashrrev_i32 v12, v77, v125
	s_wait_loadcnt 0x23
	s_wait_xcnt 0x0
	v_dual_ashrrev_i32 v13, v196, v125 :: v_dual_ashrrev_i32 v16, v77, v128
	s_wait_loadcnt 0x22
	v_dual_ashrrev_i32 v17, v196, v128 :: v_dual_lshrrev_b32 v15, 4, v126
	v_and_b32_e32 v10, 0xf0f0f0f, v124
	v_and_b32_e32 v14, 0xf0f0f0f, v126
	v_dual_lshlrev_b32 v4, 4, v4 :: v_dual_lshlrev_b32 v5, 4, v5
	s_wait_loadcnt 0x20
	v_dual_lshrrev_b32 v117, 4, v130 :: v_dual_ashrrev_i32 v118, v77, v132
	v_ashrrev_i32_e32 v119, v196, v132
	v_and_b32_e32 v116, 0xf0f0f0f, v130
	v_and_b32_e32 v7, 0xf0f0f0f, v7
	s_wait_loadcnt 0x1f
	v_dual_ashrrev_i32 v121, v77, v19 :: v_dual_ashrrev_i32 v19, v196, v19
	v_dual_lshlrev_b32 v8, 4, v8 :: v_dual_lshlrev_b32 v9, 4, v9
	s_wait_loadcnt 0x1e
	v_and_b32_e32 v120, 0xf0f0f0f, v18
	v_lshrrev_b32_e32 v18, 4, v18
	s_wait_loadcnt 0x1d
	v_and_b32_e32 v122, 0xf0f0f0f, v20
	s_wait_loadcnt 0x1c
	v_dual_lshrrev_b32 v20, 4, v20 :: v_dual_ashrrev_i32 v123, v77, v21
	s_wait_loadcnt 0x1b
	v_dual_ashrrev_i32 v21, v196, v21 :: v_dual_ashrrev_i32 v125, v77, v23
	v_ashrrev_i32_e32 v23, v196, v23
	s_wait_loadcnt 0x1a
	v_and_b32_e32 v124, 0xf0f0f0f, v22
	v_lshrrev_b32_e32 v22, 4, v22
	v_and_b32_e32 v11, 0xf0f0f0f, v11
	s_wait_loadcnt 0x19
	v_and_b32_e32 v126, 0xf0f0f0f, v110
	s_wait_loadcnt 0x18
	v_dual_lshrrev_b32 v110, 4, v110 :: v_dual_ashrrev_i32 v128, v77, v111
	s_wait_loadcnt 0x17
	v_dual_ashrrev_i32 v111, v196, v111 :: v_dual_ashrrev_i32 v132, v77, v113
	v_ashrrev_i32_e32 v113, v196, v113
	s_wait_loadcnt 0x16
	v_and_b32_e32 v130, 0xf0f0f0f, v112
	v_lshrrev_b32_e32 v112, 4, v112
	v_dual_lshlrev_b32 v12, 4, v12 :: v_dual_lshlrev_b32 v13, 4, v13
	s_wait_loadcnt 0x15
	v_and_b32_e32 v152, 0xf0f0f0f, v114
	s_wait_loadcnt 0x14
	v_dual_lshrrev_b32 v114, 4, v114 :: v_dual_ashrrev_i32 v153, v77, v115
	v_ashrrev_i32_e32 v115, v196, v115
	s_wait_loadcnt 0x13
	v_and_b32_e32 v154, 0xf0f0f0f, v24
	s_wait_loadcnt 0x12
	v_dual_lshrrev_b32 v24, 4, v24 :: v_dual_ashrrev_i32 v155, v77, v25
	v_ashrrev_i32_e32 v25, v196, v25
	;; [unrolled: 5-line block ×3, first 2 shown]
	v_and_b32_e32 v15, 0xf0f0f0f, v15
	v_dual_lshlrev_b32 v16, 4, v16 :: v_dual_lshlrev_b32 v17, 4, v17
	v_and_b32_e32 v117, 0xf0f0f0f, v117
	v_dual_lshlrev_b32 v118, 4, v118 :: v_dual_lshlrev_b32 v119, 4, v119
	s_wait_loadcnt 0xf
	v_and_b32_e32 v203, 0xf0f0f0f, v26
	s_wait_loadcnt 0xe
	v_dual_lshrrev_b32 v26, 4, v26 :: v_dual_ashrrev_i32 v204, v77, v27
	v_ashrrev_i32_e32 v27, v196, v27
	s_wait_loadcnt 0xd
	v_and_b32_e32 v205, 0xf0f0f0f, v135
	s_wait_loadcnt 0xc
	v_dual_lshrrev_b32 v135, 4, v135 :: v_dual_ashrrev_i32 v206, v77, v136
	v_ashrrev_i32_e32 v136, v196, v136
	;; [unrolled: 5-line block ×3, first 2 shown]
	v_and_b32_e32 v18, 0xf0f0f0f, v18
	v_dual_lshlrev_b32 v121, 4, v121 :: v_dual_lshlrev_b32 v19, 4, v19
	v_and_b32_e32 v20, 0xf0f0f0f, v20
	v_dual_lshlrev_b32 v123, 4, v123 :: v_dual_lshlrev_b32 v21, 4, v21
	;; [unrolled: 2-line block ×10, first 2 shown]
	v_and_b32_e32 v138, 0xf0f0f0f, v138
	v_lshlrev_b32_e32 v208, 4, v208
	v_lshlrev_b32_e32 v140, 4, v140
	v_and_or_b32 v2, 0x10101010, v4, v2
	v_and_or_b32 v3, 0x10101010, v5, v3
	;; [unrolled: 1-line block ×32, first 2 shown]
	ds_store_2addr_b32 v79, v2, v3 offset1:8
	ds_store_2addr_b32 v81, v4, v5 offset1:8
	;; [unrolled: 1-line block ×16, first 2 shown]
	s_wait_loadcnt 0x9
	ds_store_b32 v91, v141
	ds_store_b32 v95, v0
	;; [unrolled: 1-line block ×3, first 2 shown]
	s_wait_loadcnt 0x8
	ds_store_b32 v101, v142
	s_wait_loadcnt 0x7
	ds_store_b32 v105, v144
	s_wait_loadcnt 0x6
	ds_store_b32 v127, v145
	s_wait_loadcnt 0x5
	ds_store_b32 v131, v146
	s_wait_loadcnt 0x4
	ds_store_b32 v99, v147
	s_wait_loadcnt 0x3
	ds_store_b32 v103, v148
	s_wait_loadcnt 0x2
	ds_store_b32 v107, v149
	s_wait_loadcnt 0x1
	ds_store_b32 v129, v150
	s_wait_loadcnt 0x0
	ds_store_b32 v167, v151
	s_wait_dscnt 0x0
	s_barrier_signal -1
	s_barrier_wait -1
	ds_load_b32 v0, v178
	ds_load_b32 v1, v179 offset:128
	ds_load_b32 v2, v180 offset:256
	;; [unrolled: 1-line block ×3, first 2 shown]
	s_wait_dscnt 0x3
	v_cvt_f32_f16_e32 v110, v0
	v_lshrrev_b32_e32 v0, 16, v0
	s_wait_dscnt 0x2
	v_cvt_f32_f16_e32 v112, v1
	v_lshrrev_b32_e32 v1, 16, v1
	s_wait_dscnt 0x1
	v_cvt_f32_f16_e32 v114, v2
	s_wait_dscnt 0x0
	v_dual_lshrrev_b32 v2, 16, v2 :: v_dual_lshrrev_b32 v4, 16, v3
	v_cvt_f32_f16_e32 v116, v3
	v_cvt_f32_f16_e32 v118, v0
	v_cvt_f32_f16_e32 v120, v1
	s_delay_alu instid0(VALU_DEP_4) | instskip(SKIP_4) | instid1(VALU_DEP_4)
	v_cvt_f32_f16_e32 v122, v2
	v_cvt_f32_f16_e32 v124, v4
	v_dual_mov_b32 v111, v110 :: v_dual_mov_b32 v113, v112
	v_dual_mov_b32 v115, v114 :: v_dual_mov_b32 v117, v116
	;; [unrolled: 1-line block ×4, first 2 shown]
.LBB134_6:                              ;   Parent Loop BB134_5 Depth=1
                                        ; =>  This Inner Loop Header: Depth=2
	s_lshl_b32 s7, s8, 1
	s_lshr_b32 s9, s8, 2
	s_lshl_b32 s8, s8, 3
	s_delay_alu instid0(SALU_CYCLE_1) | instskip(SKIP_2) | instid1(VALU_DEP_2)
	v_dual_add_nc_u32 v138, s8, v197 :: v_dual_bitop2_b32 v0, s7, v75 bitop3:0x54
	s_add_co_i32 s9, s9, 0xa200
	v_dual_add_nc_u32 v133, s8, v198 :: v_dual_add_nc_u32 v228, s8, v199
	v_dual_lshlrev_b32 v1, 2, v0 :: v_dual_lshrrev_b32 v126, 1, v0
	v_add3_u32 v20, s9, v201, v193
	v_add3_u32 v132, s9, v202, v189
	ds_load_b128 v[14:17], v1 offset:33280
	ds_load_b128 v[6:9], v1 offset:33296
	;; [unrolled: 1-line block ×4, first 2 shown]
	ds_load_2addr_b32 v[0:1], v138 offset1:1
	s_set_vgpr_msb 64                       ;  msbs: dst=1 src0=0 src1=0 src2=0
	v_add_nc_u32_e32 v32 /*v288*/, s8, v200
	v_add3_u32 v31 /*v287*/, s9, v195, v191
	s_mov_b32 s8, 8
	s_and_b32 vcc_lo, exec_lo, s5
	s_mov_b32 s5, 0
	s_wait_dscnt 0x4
	s_set_vgpr_msb 0                        ;  msbs: dst=0 src0=0 src1=0 src2=0
	v_bfe_i32 v128, v14, 0, 8
	v_perm_b32 v216, v14, v14, 0xc0c0201
	v_perm_b32 v217, v15, v14, 0x6050403
	;; [unrolled: 1-line block ×3, first 2 shown]
	s_wait_dscnt 0x0
	v_bfe_i32 v250, v0, 0, 8
	v_perm_b32 v251, v0, v0, 0xc0c0201
	v_perm_b32 v252, v1, v0, 0x6050403
	;; [unrolled: 1-line block ×4, first 2 shown]
	v_mul_i32_i24_e32 v18, v250, v128
	v_perm_b32 v233, v7, v6, 0xc0c0403
	s_set_vgpr_msb 64                       ;  msbs: dst=1 src0=0 src1=0 src2=0
	v_perm_b32 v1 /*v257*/, v7, v7, 0xc0c0201
	v_perm_b32 v4 /*v260*/, v8, v7, 0xc0c0403
	;; [unrolled: 1-line block ×3, first 2 shown]
	s_set_vgpr_msb 0                        ;  msbs: dst=0 src0=0 src1=0 src2=0
	v_dot4_i32_iu8 v21, v251, v216, v18 neg_lo:[1,1,0]
	ds_load_2addr_b32 v[18:19], v138 offset0:2 offset1:3
	ds_load_b32 v22, v138 offset:16
	ds_load_b96 v[208:210], v138 offset:19
	ds_load_i8 v142, v138 offset:31
	s_set_vgpr_msb 64                       ;  msbs: dst=1 src0=0 src1=0 src2=0
	v_perm_b32 v28 /*v284*/, v9, v8, 0xc0c0403
	v_perm_b32 v44 /*v300*/, v9, v9, 0xc030201
	s_set_vgpr_msb 0                        ;  msbs: dst=0 src0=0 src1=0 src2=0
	v_bfe_i32 v141, v10, 0, 8
	v_dot4_i32_iu8 v0, v252, v217, v21 neg_lo:[1,1,0]
	s_set_vgpr_msb 64                       ;  msbs: dst=1 src0=0 src1=0 src2=0
	v_perm_b32 v46 /*v302*/, v11, v10, 0x6050403
	v_perm_b32 v47 /*v303*/, v2, v13, 0x6050403
	v_perm_b32 v48 /*v304*/, v3, v2, 0xc0c0403
	v_perm_b32 v49 /*v305*/, v3, v3, 0xc0c0201
	v_perm_b32 v50 /*v306*/, v4, v3, 0xc0c0403
	v_perm_b32 v51 /*v307*/, v4, v4, 0xc0c0201
	s_wait_dscnt 0x3
	s_set_vgpr_msb 0                        ;  msbs: dst=0 src0=0 src1=0 src2=0
	v_perm_b32 v253, v18, v1, 0x6050403
	v_perm_b32 v254, v19, v18, 0x6050403
	s_wait_dscnt 0x2
	v_perm_b32 v255, v22, v19, 0x6050403
	s_wait_dscnt 0x1
	v_perm_b32 v1, v208, v208, 0xc0c0100
	v_bfe_i32 v249, v208, 0, 8
	v_dot4_i32_iu8 v0, v253, v218, v0 neg_lo:[1,1,0]
	s_set_vgpr_msb 64                       ;  msbs: dst=1 src0=0 src1=0 src2=0
	v_perm_b32 v5 /*v261*/, v209, v208, 0x4030201
	v_perm_b32 v6 /*v262*/, v210, v209, 0x4030201
	s_wait_dscnt 0x0
	v_perm_b32 v0 /*v256*/, v142, v210, 0x4030201
	s_set_vgpr_msb 0                        ;  msbs: dst=0 src0=0 src1=0 src2=0
	v_dot4_i32_iu8 v0, v254, v219, v0 neg_lo:[1,1,0]
	s_delay_alu instid0(VALU_DEP_1) | instskip(NEXT) | instid1(VALU_DEP_1)
	v_dot4_i32_iu8 v0, v255, v231, v0 neg_lo:[1,1,0]
	v_dot4_i32_iu8 v0, v233, v1, v0 neg_lo:[1,1,0]
	v_perm_b32 v1, v208, v208, 0xc0c0302
	s_set_vgpr_msb 1                        ;  msbs: dst=0 src0=1 src1=0 src2=0
	s_delay_alu instid0(VALU_DEP_1) | instskip(SKIP_3) | instid1(VALU_DEP_1)
	v_dot4_i32_iu8 v0, v1 /*v257*/, v1, v0 neg_lo:[1,1,0]
	s_set_vgpr_msb 0                        ;  msbs: dst=0 src0=0 src1=0 src2=0
	v_perm_b32 v1, v209, v209, 0xc0c0100
	s_set_vgpr_msb 1                        ;  msbs: dst=0 src0=1 src1=0 src2=0
	v_dot4_i32_iu8 v0, v4 /*v260*/, v1, v0 neg_lo:[1,1,0]
	s_set_vgpr_msb 0                        ;  msbs: dst=0 src0=0 src1=0 src2=0
	v_perm_b32 v1, v209, v209, 0xc0c0302
	s_set_vgpr_msb 1                        ;  msbs: dst=0 src0=1 src1=0 src2=0
	s_delay_alu instid0(VALU_DEP_1) | instskip(SKIP_3) | instid1(VALU_DEP_1)
	v_dot4_i32_iu8 v0, v7 /*v263*/, v1, v0 neg_lo:[1,1,0]
	s_set_vgpr_msb 0                        ;  msbs: dst=0 src0=0 src1=0 src2=0
	v_perm_b32 v1, v210, v210, 0xc0c0100
	s_set_vgpr_msb 1                        ;  msbs: dst=0 src0=1 src1=0 src2=0
	v_dot4_i32_iu8 v150, v28 /*v284*/, v1, v0 neg_lo:[1,1,0]
	s_set_vgpr_msb 0                        ;  msbs: dst=0 src0=0 src1=0 src2=0
	ds_load_u16 v0, v20
	ds_load_u16 v1, v20 offset:8
	ds_load_2addr_b32 v[134:135], v138 offset0:14 offset1:15
	s_wait_dscnt 0x2
	v_lshrrev_b16 v18, 8, v0
	v_and_b32_e32 v203, 0xff, v0
	s_wait_dscnt 0x1
	v_cvt_f32_ubyte0_e32 v136, v1
	v_cvt_f32_ubyte1_e32 v130, v1
	ds_load_2addr_b32 v[0:1], v133 offset1:1
	v_and_b32_e32 v151, 0xffff, v18
	s_wait_dscnt 0x0
	v_bfe_i32 v220, v0, 0, 8
	v_perm_b32 v221, v0, v0, 0xc0c0201
	v_perm_b32 v224, v1, v0, 0x6050403
	s_delay_alu instid0(VALU_DEP_3) | instskip(NEXT) | instid1(VALU_DEP_1)
	v_mul_i32_i24_e32 v18, v220, v128
	v_dot4_i32_iu8 v140, v221, v216, v18 neg_lo:[1,1,0]
	ds_load_2addr_b32 v[26:27], v133 offset0:2 offset1:3
	ds_load_b32 v144, v133 offset:16
	ds_load_b128 v[18:21], v133 offset:19
	ds_load_b128 v[22:25], v133 offset:35
	ds_load_b96 v[246:248], v133 offset:51
	s_set_vgpr_msb 64                       ;  msbs: dst=1 src0=0 src1=0 src2=0
	ds_load_i8 v29 /*v285*/, v133 offset:63
	s_set_vgpr_msb 0                        ;  msbs: dst=0 src0=0 src1=0 src2=0
	v_dot4_i32_iu8 v0, v224, v217, v140 neg_lo:[1,1,0]
	s_wait_dscnt 0x5
	v_perm_b32 v225, v26, v1, 0x6050403
	v_perm_b32 v226, v27, v26, 0x6050403
	s_wait_dscnt 0x4
	v_perm_b32 v227, v144, v27, 0x6050403
	s_wait_dscnt 0x3
	;; [unrolled: 2-line block ×3, first 2 shown]
	v_perm_b32 v205, v22, v21, 0x4030201
	v_dot4_i32_iu8 v0, v225, v218, v0 neg_lo:[1,1,0]
	v_perm_b32 v206, v23, v22, 0x4030201
	v_add3_u32 v26, s9, v194, v190
	v_perm_b32 v242, v24, v23, 0x4030201
	v_perm_b32 v243, v25, v24, 0x4030201
	v_dot4_i32_iu8 v0, v226, v219, v0 neg_lo:[1,1,0]
	s_wait_dscnt 0x1
	v_perm_b32 v244, v246, v25, 0x4030201
	v_perm_b32 v245, v247, v246, 0x4030201
	;; [unrolled: 1-line block ×3, first 2 shown]
	v_bfe_i32 v222, v18, 0, 8
	v_dot4_i32_iu8 v0, v227, v231, v0 neg_lo:[1,1,0]
	s_delay_alu instid0(VALU_DEP_1) | instskip(SKIP_2) | instid1(VALU_DEP_1)
	v_dot4_i32_iu8 v0, v233, v1, v0 neg_lo:[1,1,0]
	v_perm_b32 v1, v18, v18, 0xc0c0302
	s_set_vgpr_msb 1                        ;  msbs: dst=0 src0=1 src1=0 src2=0
	v_dot4_i32_iu8 v0, v1 /*v257*/, v1, v0 neg_lo:[1,1,0]
	s_set_vgpr_msb 0                        ;  msbs: dst=0 src0=0 src1=0 src2=0
	v_perm_b32 v1, v19, v19, 0xc0c0100
	s_set_vgpr_msb 1                        ;  msbs: dst=0 src0=1 src1=0 src2=0
	s_delay_alu instid0(VALU_DEP_1) | instskip(SKIP_3) | instid1(VALU_DEP_1)
	v_dot4_i32_iu8 v0, v4 /*v260*/, v1, v0 neg_lo:[1,1,0]
	s_set_vgpr_msb 0                        ;  msbs: dst=0 src0=0 src1=0 src2=0
	v_perm_b32 v1, v19, v19, 0xc0c0302
	s_set_vgpr_msb 1                        ;  msbs: dst=0 src0=1 src1=0 src2=0
	v_dot4_i32_iu8 v0, v7 /*v263*/, v1, v0 neg_lo:[1,1,0]
	s_set_vgpr_msb 0                        ;  msbs: dst=0 src0=0 src1=0 src2=0
	v_perm_b32 v1, v20, v20, 0xc0c0100
	s_set_vgpr_msb 0x41                     ;  msbs: dst=1 src0=1 src1=0 src2=0
	s_delay_alu instid0(VALU_DEP_1)
	v_dot4_i32_iu8 v30 /*v286*/, v28 /*v284*/, v1, v0 neg_lo:[1,1,0]
	s_set_vgpr_msb 0                        ;  msbs: dst=0 src0=0 src1=0 src2=0
	ds_load_u16 v0, v132
	ds_load_u16 v207, v132 offset:8
	s_wait_dscnt 0x1
	v_lshrrev_b16 v223, 8, v0
	v_and_b32_e32 v204, 0xff, v0
	v_dot4_i32_iu8 v0, v205, v10, 0 neg_lo:[1,1,0]
	s_wait_dscnt 0x0
	v_cvt_f32_ubyte0_e32 v140, v207
	s_delay_alu instid0(VALU_DEP_2) | instskip(SKIP_1) | instid1(VALU_DEP_1)
	v_dot4_i32_iu8 v22, v206, v11, v0 neg_lo:[1,1,0]
	v_or_b32_e32 v0, s7, v182
	v_dual_lshlrev_b32 v156, 2, v0 :: v_dual_lshrrev_b32 v211, 1, v0
	ds_load_b64 v[0:1], v126 offset:43584
	ds_load_2addr_b32 v[148:149], v228 offset1:1
	ds_load_2addr_b32 v[146:147], v228 offset0:2 offset1:3
	ds_load_2addr_b32 v[144:145], v228 offset0:4 offset1:5
	;; [unrolled: 1-line block ×3, first 2 shown]
	ds_load_u16 v126, v26
	s_set_vgpr_msb 64                       ;  msbs: dst=1 src0=0 src1=0 src2=0
	ds_load_u16 v33 /*v289*/, v26 offset:8
	s_set_vgpr_msb 0                        ;  msbs: dst=0 src0=0 src1=0 src2=0
	ds_load_2addr_b32 v[26:27], v228 offset0:8 offset1:9
	ds_load_2addr_b32 v[212:213], v228 offset0:10 offset1:11
	;; [unrolled: 1-line block ×3, first 2 shown]
	s_wait_dscnt 0x9
	s_set_vgpr_msb 64                       ;  msbs: dst=1 src0=0 src1=0 src2=0
	v_cvt_f32_f16_e64 v20 /*v276*/, v0
	v_cvt_f32_f16_e64 v24 /*v280*/, v1
	s_wait_dscnt 0x4
	v_lshrrev_b16 v34 /*v290*/, 8, v126
	s_wait_dscnt 0x0
	s_set_vgpr_msb 0                        ;  msbs: dst=0 src0=0 src1=0 src2=0
	v_lshrrev_b16 v154, 8, v153
	v_dot4_i32_iu8 v155, v152, v10, 0 neg_lo:[1,1,0]
	v_bfe_i32 v230, v153, 16, 8
	v_ashrrev_i32_e32 v229, 24, v153
	v_bfe_i32 v234, v153, 0, 8
	v_bfe_i32 v232, v154, 0, 8
	v_dot4_i32_iu8 v157, v153, v11, v155 neg_lo:[1,1,0]
	ds_load_2addr_b32 v[154:155], v138 offset0:10 offset1:11
	ds_load_b128 v[236:239], v156 offset:33280
	s_set_vgpr_msb 64                       ;  msbs: dst=1 src0=0 src1=0 src2=0
	ds_load_b128 v[8:11] /*v[264:267]*/, v156 offset:33296
	ds_load_b128 v[12:15] /*v[268:271]*/, v156 offset:33312
	;; [unrolled: 1-line block ×3, first 2 shown]
	s_wait_dscnt 0x3
	v_bfe_i32 v35 /*v291*/, v236, 0, 8
	v_perm_b32 v36 /*v292*/, v236, v236, 0xc0c0201
	s_set_vgpr_msb 0                        ;  msbs: dst=0 src0=0 src1=0 src2=0
	v_dot4_i32_iu8 v157, v154, v12, v157 neg_lo:[1,1,0]
	s_set_vgpr_msb 64                       ;  msbs: dst=1 src0=0 src1=0 src2=0
	v_perm_b32 v37 /*v293*/, v237, v236, 0x6050403
	v_perm_b32 v41 /*v297*/, v238, v237, 0x6050403
	s_set_vgpr_msb 1                        ;  msbs: dst=0 src0=1 src1=0 src2=0
	v_mul_i32_i24_e32 v156, v35 /*v291*/, v250
	s_set_vgpr_msb 64                       ;  msbs: dst=1 src0=0 src1=0 src2=0
	v_perm_b32 v42 /*v298*/, v239, v238, 0x6050403
	s_set_vgpr_msb 0                        ;  msbs: dst=0 src0=0 src1=0 src2=0
	v_dot4_i32_iu8 v214, v155, v13, v157 neg_lo:[1,1,0]
	s_wait_dscnt 0x2
	s_set_vgpr_msb 0x41                     ;  msbs: dst=1 src0=1 src1=0 src2=0
	v_perm_b32 v43 /*v299*/, v8 /*v264*/, v239, 0x6050403
	s_set_vgpr_msb 0x44                     ;  msbs: dst=1 src0=0 src1=1 src2=0
	v_ashrrev_i32_e32 v38 /*v294*/, 24, v8 /*v264*/
	s_set_vgpr_msb 1                        ;  msbs: dst=0 src0=1 src1=0 src2=0
	v_dot4_i32_iu8 v215, v36 /*v292*/, v251, v156 neg_lo:[1,1,0]
	s_set_vgpr_msb 0                        ;  msbs: dst=0 src0=0 src1=0 src2=0
	ds_load_2addr_b32 v[156:157], v138 offset0:12 offset1:13
	s_wait_dscnt 0x2
	s_set_vgpr_msb 1                        ;  msbs: dst=0 src0=1 src1=0 src2=0
	v_bfe_i32 v241, v13 /*v269*/, 0, 8
	s_set_vgpr_msb 0x41                     ;  msbs: dst=1 src0=1 src1=0 src2=0
	v_bfe_i32 v39 /*v295*/, v12 /*v268*/, 0, 8
	s_wait_dscnt 0x1
	s_set_vgpr_msb 0x44                     ;  msbs: dst=1 src0=0 src1=1 src2=0
	v_ashrrev_i32_e32 v40 /*v296*/, 24, v16 /*v272*/
	s_set_vgpr_msb 1                        ;  msbs: dst=0 src0=1 src1=0 src2=0
	v_dot4_i32_iu8 v235, v37 /*v293*/, v252, v215 neg_lo:[1,1,0]
	s_wait_dscnt 0x0
	s_set_vgpr_msb 0                        ;  msbs: dst=0 src0=0 src1=0 src2=0
	v_dot4_i32_iu8 v138, v156, v2, v214 neg_lo:[1,1,0]
	ds_load_b64 v[214:215], v211 offset:43584
	v_lshrrev_b32_e32 v0, 16, v0
	v_dot4_i32_iu8 v138, v157, v3, v138 neg_lo:[1,1,0]
	s_delay_alu instid0(VALU_DEP_1) | instskip(NEXT) | instid1(VALU_DEP_1)
	v_dot4_i32_iu8 v138, v134, v4, v138 neg_lo:[1,1,0]
	v_dot4_i32_iu8 v138, v5, v135, v138 neg_lo:[1,1,0]
	s_delay_alu instid0(VALU_DEP_1)
	v_mul_lo_u32 v138, v138, v151
	s_wait_dscnt 0x0
	v_lshrrev_b32_e32 v211, 16, v214
	s_set_vgpr_msb 64                       ;  msbs: dst=1 src0=0 src1=0 src2=0
	v_cvt_f32_f16_e64 v22 /*v278*/, v0
	s_set_vgpr_msb 4                        ;  msbs: dst=0 src0=0 src1=1 src2=0
	v_lshrrev_b16 v0, 8, v13 /*v269*/
	s_set_vgpr_msb 64                       ;  msbs: dst=1 src0=0 src1=0 src2=0
	v_cvt_f32_f16_e64 v21 /*v277*/, v214
	s_set_vgpr_msb 1                        ;  msbs: dst=0 src0=1 src1=0 src2=0
	v_bfe_i32 v214, v13 /*v269*/, 16, 8
	s_set_vgpr_msb 64                       ;  msbs: dst=1 src0=0 src1=0 src2=0
	v_cvt_f32_f16_e64 v23 /*v279*/, v211
	s_set_vgpr_msb 4                        ;  msbs: dst=0 src0=0 src1=1 src2=0
	v_ashrrev_i32_e32 v211, 24, v13 /*v269*/
	v_bfe_i32 v240, v0, 0, 8
	s_set_vgpr_msb 0                        ;  msbs: dst=0 src0=0 src1=0 src2=0
	v_dual_lshrrev_b32 v0, 16, v1 :: v_dual_lshrrev_b32 v1, 16, v215
	s_set_vgpr_msb 64                       ;  msbs: dst=1 src0=0 src1=0 src2=0
	v_cvt_f32_f16_e64 v25 /*v281*/, v215
	s_set_vgpr_msb 5                        ;  msbs: dst=0 src0=1 src1=1 src2=0
	v_perm_b32 v215, v14 /*v270*/, v12 /*v268*/, 0xc0c0501
	s_set_vgpr_msb 0                        ;  msbs: dst=0 src0=0 src1=0 src2=0
	v_mul_i32_i24_e32 v211, v211, v229
	s_set_vgpr_msb 64                       ;  msbs: dst=1 src0=0 src1=0 src2=0
	v_cvt_f32_f16_e64 v26 /*v282*/, v0
	s_set_vgpr_msb 1                        ;  msbs: dst=0 src0=1 src1=0 src2=0
	v_dot4_i32_iu8 v0, v41 /*v297*/, v253, v235 neg_lo:[1,1,0]
	s_set_vgpr_msb 64                       ;  msbs: dst=1 src0=0 src1=0 src2=0
	v_cvt_f32_f16_e64 v27 /*v283*/, v1
	s_set_vgpr_msb 0                        ;  msbs: dst=0 src0=0 src1=0 src2=0
	v_perm_b32 v1, v142, v210, 0xc040302
	v_mul_i32_i24_e32 v210, v214, v230
	v_perm_b32 v214, v154, v152, 0xc0c0501
	s_set_vgpr_msb 1                        ;  msbs: dst=0 src0=1 src1=0 src2=0
	v_dot4_i32_iu8 v0, v42 /*v298*/, v254, v0 neg_lo:[1,1,0]
	s_set_vgpr_msb 5                        ;  msbs: dst=0 src0=1 src1=1 src2=0
	v_perm_b32 v229, v18 /*v274*/, v17 /*v273*/, 0x6020c0c
	s_set_vgpr_msb 4                        ;  msbs: dst=0 src0=0 src1=1 src2=0
	v_dot4_i32_iu8 v1, v1, v44 /*v300*/, v150 neg_lo:[1,1,0]
	s_set_vgpr_msb 0                        ;  msbs: dst=0 src0=0 src1=0 src2=0
	v_mul_i32_i24_e32 v150, v240, v232
	s_set_vgpr_msb 4                        ;  msbs: dst=0 src0=0 src1=1 src2=0
	v_pk_fma_f32 v[208:209], v[136:137], v[22:23] /*v[278:279]*/, 0 op_sel_hi:[0,1,0]
	s_set_vgpr_msb 1                        ;  msbs: dst=0 src0=1 src1=0 src2=0
	v_dot4_i32_iu8 v0, v43 /*v299*/, v255, v0 neg_lo:[1,1,0]
	s_set_vgpr_msb 0                        ;  msbs: dst=0 src0=0 src1=0 src2=0
	v_bfe_i32 v240, v26, 0, 8
	v_mul_lo_u32 v142, v1, v203
	v_dot4_i32_iu8 v150, v215, v214, v150 neg_lo:[1,1,0]
	v_perm_b32 v214, v154, v152, 0xc0c0703
	s_set_vgpr_msb 4                        ;  msbs: dst=0 src0=0 src1=1 src2=0
	v_mad_i32_i24 v0, v249, v38 /*v294*/, v0
	s_set_vgpr_msb 5                        ;  msbs: dst=0 src0=1 src1=1 src2=0
	v_perm_b32 v215, v14 /*v270*/, v12 /*v268*/, 0xc0c0703
	s_set_vgpr_msb 4                        ;  msbs: dst=0 src0=0 src1=1 src2=0
	v_pk_fma_f32 v[208:209], v[130:131], v[26:27] /*v[282:283]*/, v[208:209] op_sel_hi:[0,1,1]
	s_set_vgpr_msb 0                        ;  msbs: dst=0 src0=0 src1=0 src2=0
	v_perm_b32 v232, v26, v26, 0xc0c0201
	v_perm_b32 v235, v212, v27, 0x6050403
	s_set_vgpr_msb 5                        ;  msbs: dst=0 src0=1 src1=1 src2=0
	v_dot4_i32_iu8 v0, v5 /*v261*/, v9 /*v265*/, v0 neg_lo:[1,1,0]
	s_set_vgpr_msb 0                        ;  msbs: dst=0 src0=0 src1=0 src2=0
	v_dot4_i32_iu8 v211, v215, v214, v211 neg_lo:[1,1,0]
	v_perm_b32 v214, v154, v152, 0xc0c0400
	s_set_vgpr_msb 5                        ;  msbs: dst=0 src0=1 src1=1 src2=0
	v_perm_b32 v215, v14 /*v270*/, v12 /*v268*/, 0xc0c0400
	s_set_vgpr_msb 0                        ;  msbs: dst=0 src0=0 src1=0 src2=0
	v_pk_mul_f32 v[208:209], v[208:209], v[118:119]
	s_set_vgpr_msb 5                        ;  msbs: dst=0 src0=1 src1=1 src2=0
	v_dot4_i32_iu8 v0, v6 /*v262*/, v10 /*v266*/, v0 neg_lo:[1,1,0]
	s_set_vgpr_msb 0                        ;  msbs: dst=0 src0=0 src1=0 src2=0
	v_perm_b32 v230, v213, v212, 0x6050403
	s_set_vgpr_msb 5                        ;  msbs: dst=0 src0=1 src1=1 src2=0
	s_delay_alu instid0(VALU_DEP_2) | instskip(SKIP_1) | instid1(VALU_DEP_1)
	v_dot4_i32_iu8 v0, v11 /*v267*/, v0 /*v256*/, v0 neg_lo:[1,1,0]
	s_set_vgpr_msb 0                        ;  msbs: dst=0 src0=0 src1=0 src2=0
	v_mul_lo_u32 v0, v0, v203
	s_delay_alu instid0(VALU_DEP_1)
	v_cvt_f32_i32_e32 v1, v0
	v_cvt_f32_i32_e32 v0, v142
	v_mul_i32_i24_e32 v142, v241, v234
	v_and_b32_e32 v241, 0xffff, v223
	v_and_b32_e32 v223, 0xff, v126
	v_perm_b32 v126, v10, v10, 0xc0c0201
	s_set_vgpr_msb 1                        ;  msbs: dst=0 src0=1 src1=0 src2=0
	v_pk_fma_f32 v[0:1], v[20:21] /*v[276:277]*/, v[0:1], 0 op_sel_hi:[1,1,0]
	s_set_vgpr_msb 0                        ;  msbs: dst=0 src0=0 src1=0 src2=0
	v_dot4_i32_iu8 v142, v215, v214, v142 neg_lo:[1,1,0]
	v_perm_b32 v214, v154, v152, 0xc0c0602
	s_set_vgpr_msb 5                        ;  msbs: dst=0 src0=1 src1=1 src2=0
	v_perm_b32 v215, v14 /*v270*/, v12 /*v268*/, 0xc0c0602
	s_set_vgpr_msb 0                        ;  msbs: dst=0 src0=0 src1=0 src2=0
	v_perm_b32 v234, v27, v26, 0x6050403
	v_perm_b32 v26, v12, v11, 0x6050403
	v_perm_b32 v27, v13, v12, 0x6050403
	v_dot4_i32_iu8 v210, v215, v214, v210 neg_lo:[1,1,0]
	v_perm_b32 v214, v156, v155, 0xc0c0602
	v_perm_b32 v215, v134, v157, 0x6020c0c
	s_delay_alu instid0(VALU_DEP_1) | instskip(SKIP_3) | instid1(VALU_DEP_1)
	v_or_b32_e32 v214, v215, v214
	s_set_vgpr_msb 5                        ;  msbs: dst=0 src0=1 src1=1 src2=0
	v_perm_b32 v215, v16 /*v272*/, v15 /*v271*/, 0xc0c0602
	s_set_vgpr_msb 0                        ;  msbs: dst=0 src0=0 src1=0 src2=0
	v_or_b32_e32 v215, v229, v215
	s_set_vgpr_msb 5                        ;  msbs: dst=0 src0=1 src1=1 src2=0
	v_perm_b32 v229, v18 /*v274*/, v17 /*v273*/, 0x4000c0c
	s_set_vgpr_msb 0                        ;  msbs: dst=0 src0=0 src1=0 src2=0
	s_delay_alu instid0(VALU_DEP_2) | instskip(SKIP_2) | instid1(VALU_DEP_1)
	v_dot4_i32_iu8 v210, v215, v214, v210 neg_lo:[1,1,0]
	v_perm_b32 v214, v156, v155, 0xc0c0400
	v_perm_b32 v215, v134, v157, 0x4000c0c
	v_or_b32_e32 v214, v215, v214
	s_set_vgpr_msb 5                        ;  msbs: dst=0 src0=1 src1=1 src2=0
	v_perm_b32 v215, v16 /*v272*/, v15 /*v271*/, 0xc0c0400
	s_set_vgpr_msb 0                        ;  msbs: dst=0 src0=0 src1=0 src2=0
	s_delay_alu instid0(VALU_DEP_1) | instskip(SKIP_3) | instid1(VALU_DEP_2)
	v_or_b32_e32 v215, v229, v215
	s_set_vgpr_msb 5                        ;  msbs: dst=0 src0=1 src1=1 src2=0
	v_perm_b32 v229, v18 /*v274*/, v17 /*v273*/, 0x7030c0c
	s_set_vgpr_msb 0                        ;  msbs: dst=0 src0=0 src1=0 src2=0
	v_dot4_i32_iu8 v142, v215, v214, v142 neg_lo:[1,1,0]
	v_perm_b32 v214, v156, v155, 0xc0c0703
	v_perm_b32 v215, v134, v157, 0x7030c0c
	s_delay_alu instid0(VALU_DEP_1) | instskip(SKIP_3) | instid1(VALU_DEP_1)
	v_or_b32_e32 v214, v215, v214
	s_set_vgpr_msb 5                        ;  msbs: dst=0 src0=1 src1=1 src2=0
	v_perm_b32 v215, v16 /*v272*/, v15 /*v271*/, 0xc0c0703
	s_set_vgpr_msb 0                        ;  msbs: dst=0 src0=0 src1=0 src2=0
	v_or_b32_e32 v215, v229, v215
	s_set_vgpr_msb 5                        ;  msbs: dst=0 src0=1 src1=1 src2=0
	v_perm_b32 v229, v18 /*v274*/, v17 /*v273*/, 0x5010c0c
	s_set_vgpr_msb 0                        ;  msbs: dst=0 src0=0 src1=0 src2=0
	s_delay_alu instid0(VALU_DEP_2) | instskip(SKIP_2) | instid1(VALU_DEP_1)
	v_dot4_i32_iu8 v211, v215, v214, v211 neg_lo:[1,1,0]
	v_perm_b32 v214, v156, v155, 0xc0c0501
	v_perm_b32 v215, v134, v157, 0x5010c0c
	v_or_b32_e32 v214, v215, v214
	s_set_vgpr_msb 5                        ;  msbs: dst=0 src0=1 src1=1 src2=0
	v_perm_b32 v215, v16 /*v272*/, v15 /*v271*/, 0xc0c0501
	s_set_vgpr_msb 0                        ;  msbs: dst=0 src0=0 src1=0 src2=0
	s_delay_alu instid0(VALU_DEP_1) | instskip(NEXT) | instid1(VALU_DEP_1)
	v_or_b32_e32 v215, v229, v215
	v_dot4_i32_iu8 v150, v215, v214, v150 neg_lo:[1,1,0]
	s_delay_alu instid0(VALU_DEP_1) | instskip(NEXT) | instid1(VALU_DEP_1)
	v_add_nc_u32_e32 v150, v150, v211
	v_add3_u32 v142, v142, v210, v150
	v_cvt_f32_i32_e32 v210, v138
	v_cvt_f32_ubyte1_e32 v150, v207
	s_set_vgpr_msb 1                        ;  msbs: dst=0 src0=1 src1=0 src2=0
	v_cvt_f32_ubyte0_e32 v138, v33 /*v289*/
	v_dot4_i32_iu8 v142, v19 /*v275*/, v135, v142 neg_lo:[1,1,0]
	s_set_vgpr_msb 0                        ;  msbs: dst=0 src0=0 src1=0 src2=0
	s_delay_alu instid0(VALU_DEP_1) | instskip(NEXT) | instid1(VALU_DEP_1)
	v_mul_lo_u32 v142, v142, v151
	v_cvt_f32_i32_e32 v211, v142
	s_set_vgpr_msb 1                        ;  msbs: dst=0 src0=1 src1=0 src2=0
	v_cvt_f32_ubyte1_e32 v142, v33 /*v289*/
	s_delay_alu instid0(VALU_DEP_2) | instskip(SKIP_3) | instid1(VALU_DEP_2)
	v_pk_fma_f32 v[0:1], v[24:25] /*v[280:281]*/, v[210:211], v[0:1]
	s_set_vgpr_msb 4                        ;  msbs: dst=0 src0=0 src1=1 src2=0
	v_and_b32_e32 v210, 0xffff, v34 /*v290*/
	s_set_vgpr_msb 64                       ;  msbs: dst=1 src0=0 src1=0 src2=0
	v_pk_fma_f32 v[2:3] /*v[258:259]*/, v[0:1], v[110:111], v[208:209] neg_lo:[0,0,1] neg_hi:[0,0,1]
	s_set_vgpr_msb 0                        ;  msbs: dst=0 src0=0 src1=0 src2=0
	v_dot4_i32_iu8 v0, v242, v12, v22 neg_lo:[1,1,0]
	s_set_vgpr_msb 4                        ;  msbs: dst=0 src0=0 src1=1 src2=0
	s_delay_alu instid0(VALU_DEP_2) | instskip(SKIP_1) | instid1(VALU_DEP_2)
	v_pk_add_f32 v[62:63], v[62:63], v[2:3] /*v[258:259]*/
	s_set_vgpr_msb 0                        ;  msbs: dst=0 src0=0 src1=0 src2=0
	v_dot4_i32_iu8 v0, v243, v13, v0 neg_lo:[1,1,0]
	s_set_vgpr_msb 64                       ;  msbs: dst=1 src0=0 src1=0 src2=0
	v_perm_b32 v3 /*v259*/, v19, v18, 0x4030201
	s_set_vgpr_msb 1                        ;  msbs: dst=0 src0=1 src1=0 src2=0
	v_dot4_i32_iu8 v18, v12 /*v268*/, v205, 0 neg_lo:[1,1,0]
	s_set_vgpr_msb 0x41                     ;  msbs: dst=1 src0=1 src1=0 src2=0
	v_perm_b32 v2 /*v258*/, v29 /*v285*/, v248, 0x4030201
	s_set_vgpr_msb 0                        ;  msbs: dst=0 src0=0 src1=0 src2=0
	v_dot4_i32_iu8 v0, v244, v2, v0 neg_lo:[1,1,0]
	s_set_vgpr_msb 1                        ;  msbs: dst=0 src0=1 src1=0 src2=0
	v_dot4_i32_iu8 v18, v13 /*v269*/, v206, v18 neg_lo:[1,1,0]
	s_set_vgpr_msb 0                        ;  msbs: dst=0 src0=0 src1=0 src2=0
	s_delay_alu instid0(VALU_DEP_2) | instskip(SKIP_1) | instid1(VALU_DEP_2)
	v_dot4_i32_iu8 v0, v245, v3, v0 neg_lo:[1,1,0]
	s_set_vgpr_msb 1                        ;  msbs: dst=0 src0=1 src1=0 src2=0
	v_dot4_i32_iu8 v18, v14 /*v270*/, v242, v18 neg_lo:[1,1,0]
	s_set_vgpr_msb 0                        ;  msbs: dst=0 src0=0 src1=0 src2=0
	s_delay_alu instid0(VALU_DEP_2)
	v_dot4_i32_iu8 v247, v246, v4, v0 neg_lo:[1,1,0]
	v_dot4_i32_iu8 v0, v148, v14, 0 neg_lo:[1,1,0]
	v_perm_b32 v4, v5, v4, 0xc0c0403
	s_set_vgpr_msb 1                        ;  msbs: dst=0 src0=1 src1=0 src2=0
	v_dot4_i32_iu8 v18, v15 /*v271*/, v243, v18 neg_lo:[1,1,0]
	s_set_vgpr_msb 0                        ;  msbs: dst=0 src0=0 src1=0 src2=0
	v_dot4_i32_iu8 v0, v149, v15, v0 neg_lo:[1,1,0]
	s_set_vgpr_msb 1                        ;  msbs: dst=0 src0=1 src1=0 src2=0
	s_delay_alu instid0(VALU_DEP_2) | instskip(SKIP_1) | instid1(VALU_DEP_2)
	v_dot4_i32_iu8 v18, v16 /*v272*/, v244, v18 neg_lo:[1,1,0]
	s_set_vgpr_msb 0                        ;  msbs: dst=0 src0=0 src1=0 src2=0
	v_dot4_i32_iu8 v0, v146, v16, v0 neg_lo:[1,1,0]
	s_set_vgpr_msb 1                        ;  msbs: dst=0 src0=1 src1=0 src2=0
	s_delay_alu instid0(VALU_DEP_2) | instskip(SKIP_1) | instid1(VALU_DEP_2)
	v_dot4_i32_iu8 v18, v17 /*v273*/, v245, v18 neg_lo:[1,1,0]
	s_set_vgpr_msb 0                        ;  msbs: dst=0 src0=0 src1=0 src2=0
	v_dot4_i32_iu8 v0, v147, v17, v0 neg_lo:[1,1,0]
	s_delay_alu instid0(VALU_DEP_1) | instskip(NEXT) | instid1(VALU_DEP_1)
	v_dot4_i32_iu8 v0, v144, v6, v0 neg_lo:[1,1,0]
	v_dot4_i32_iu8 v0, v145, v7, v0 neg_lo:[1,1,0]
	s_delay_alu instid0(VALU_DEP_1)
	v_dot4_i32_iu8 v17, v132, v8, v0 neg_lo:[1,1,0]
	v_mul_i32_i24_e32 v0, v240, v141
	ds_load_b32 v1, v228 offset:48
	ds_load_b96 v[6:8], v228 offset:51
	s_set_vgpr_msb 64                       ;  msbs: dst=1 src0=0 src1=0 src2=0
	ds_load_i8 v45 /*v301*/, v228 offset:63
	s_set_vgpr_msb 1                        ;  msbs: dst=0 src0=1 src1=0 src2=0
	ds_load_2addr_b32 v[22:23], v32 /*v288*/ offset1:1
	s_set_vgpr_msb 0                        ;  msbs: dst=0 src0=0 src1=0 src2=0
	v_dot4_i32_iu8 v0, v232, v126, v0 neg_lo:[1,1,0]
	s_set_vgpr_msb 4                        ;  msbs: dst=0 src0=0 src1=1 src2=0
	s_delay_alu instid0(VALU_DEP_1) | instskip(SKIP_1) | instid1(VALU_DEP_1)
	v_dot4_i32_iu8 v0, v234, v46 /*v302*/, v0 neg_lo:[1,1,0]
	s_set_vgpr_msb 0                        ;  msbs: dst=0 src0=0 src1=0 src2=0
	v_dot4_i32_iu8 v0, v235, v26, v0 neg_lo:[1,1,0]
	s_wait_dscnt 0x3
	v_perm_b32 v229, v1, v213, 0x6050403
	s_delay_alu instid0(VALU_DEP_2)
	v_dot4_i32_iu8 v0, v230, v27, v0 neg_lo:[1,1,0]
	s_wait_dscnt 0x2
	v_perm_b32 v1, v6, v6, 0xc0c0100
	s_wait_dscnt 0x0
	v_bfe_i32 v207, v22, 0, 8
	v_perm_b32 v208, v22, v22, 0xc0c0201
	v_perm_b32 v211, v23, v22, 0x6050403
	s_set_vgpr_msb 4                        ;  msbs: dst=0 src0=0 src1=1 src2=0
	v_dot4_i32_iu8 v0, v229, v47 /*v303*/, v0 neg_lo:[1,1,0]
	v_bfe_i32 v228, v6, 0, 8
	s_set_vgpr_msb 0                        ;  msbs: dst=0 src0=0 src1=0 src2=0
	v_perm_b32 v248, v8, v7, 0x4030201
	s_set_vgpr_msb 1                        ;  msbs: dst=0 src0=1 src1=0 src2=0
	v_dot4_i32_iu8 v0, v48 /*v304*/, v1, v0 neg_lo:[1,1,0]
	s_set_vgpr_msb 0                        ;  msbs: dst=0 src0=0 src1=0 src2=0
	v_perm_b32 v1, v6, v6, 0xc0c0302
	s_set_vgpr_msb 1                        ;  msbs: dst=0 src0=1 src1=0 src2=0
	s_delay_alu instid0(VALU_DEP_1) | instskip(SKIP_3) | instid1(VALU_DEP_1)
	v_dot4_i32_iu8 v0, v49 /*v305*/, v1, v0 neg_lo:[1,1,0]
	s_set_vgpr_msb 0                        ;  msbs: dst=0 src0=0 src1=0 src2=0
	v_perm_b32 v1, v7, v7, 0xc0c0100
	s_set_vgpr_msb 1                        ;  msbs: dst=0 src0=1 src1=0 src2=0
	v_dot4_i32_iu8 v0, v50 /*v306*/, v1, v0 neg_lo:[1,1,0]
	s_set_vgpr_msb 0                        ;  msbs: dst=0 src0=0 src1=0 src2=0
	v_perm_b32 v1, v7, v7, 0xc0c0302
	s_set_vgpr_msb 1                        ;  msbs: dst=0 src0=1 src1=0 src2=0
	s_delay_alu instid0(VALU_DEP_1) | instskip(SKIP_3) | instid1(VALU_DEP_1)
	v_dot4_i32_iu8 v0, v51 /*v307*/, v1, v0 neg_lo:[1,1,0]
	s_set_vgpr_msb 0                        ;  msbs: dst=0 src0=0 src1=0 src2=0
	v_perm_b32 v1, v8, v8, 0xc0c0100
	s_set_vgpr_msb 64                       ;  msbs: dst=1 src0=0 src1=0 src2=0
	v_dot4_i32_iu8 v52 /*v308*/, v4, v1, v0 neg_lo:[1,1,0]
	s_set_vgpr_msb 0                        ;  msbs: dst=0 src0=0 src1=0 src2=0
	v_mul_i32_i24_e32 v0, v207, v128
	s_delay_alu instid0(VALU_DEP_1)
	v_dot4_i32_iu8 v128, v208, v216, v0 neg_lo:[1,1,0]
	s_set_vgpr_msb 1                        ;  msbs: dst=0 src0=1 src1=0 src2=0
	ds_load_2addr_b32 v[24:25], v32 /*v288*/ offset0:2 offset1:3
	ds_load_b32 v214, v32 /*v288*/ offset:16
	ds_load_b128 v[10:13], v32 /*v288*/ offset:19
	ds_load_b128 v[0:3], v32 /*v288*/ offset:35
	ds_load_b96 v[14:16], v32 /*v288*/ offset:51
	s_set_vgpr_msb 0x41                     ;  msbs: dst=1 src0=1 src1=0 src2=0
	ds_load_i8 v32 /*v288*/, v32 /*v288*/ offset:63
	s_set_vgpr_msb 0                        ;  msbs: dst=0 src0=0 src1=0 src2=0
	v_dot4_i32_iu8 v22, v211, v217, v128 neg_lo:[1,1,0]
	s_wait_dscnt 0x5
	v_perm_b32 v212, v24, v23, 0x6050403
	v_perm_b32 v213, v25, v24, 0x6050403
	s_wait_dscnt 0x4
	v_perm_b32 v215, v214, v25, 0x6050403
	s_wait_dscnt 0x3
	v_perm_b32 v23, v10, v10, 0xc0c0100
	v_bfe_i32 v217, v13, 8, 8
	v_dot4_i32_iu8 v22, v212, v218, v22 neg_lo:[1,1,0]
	v_perm_b32 v218, v13, v13, 0xc0c0302
	v_bfe_i32 v209, v10, 0, 8
	s_wait_dscnt 0x1
	v_bfe_i32 v216, v14, 0, 8
	v_dot4_i32_iu8 v22, v213, v219, v22 neg_lo:[1,1,0]
	s_wait_dscnt 0x0
	s_set_vgpr_msb 1                        ;  msbs: dst=0 src0=1 src1=0 src2=0
	v_perm_b32 v219, v32 /*v288*/, v16, 0x4030201
	s_set_vgpr_msb 0                        ;  msbs: dst=0 src0=0 src1=0 src2=0
	v_dot4_i32_iu8 v22, v215, v231, v22 neg_lo:[1,1,0]
	s_set_vgpr_msb 1                        ;  msbs: dst=0 src0=1 src1=0 src2=0
	v_perm_b32 v231, v45 /*v301*/, v8, 0x4030201
	v_perm_b32 v8, v45 /*v301*/, v8, 0xc040302
	s_set_vgpr_msb 0                        ;  msbs: dst=0 src0=0 src1=0 src2=0
	v_dot4_i32_iu8 v22, v233, v23, v22 neg_lo:[1,1,0]
	v_perm_b32 v23, v10, v10, 0xc0c0302
	v_perm_b32 v233, v11, v10, 0x4030201
	s_set_vgpr_msb 1                        ;  msbs: dst=0 src0=1 src1=0 src2=0
	v_perm_b32 v10, v32 /*v288*/, v16, 0xc040302
	s_delay_alu instid0(VALU_DEP_3)
	v_dot4_i32_iu8 v22, v1 /*v257*/, v23, v22 neg_lo:[1,1,0]
	s_set_vgpr_msb 0                        ;  msbs: dst=0 src0=0 src1=0 src2=0
	v_perm_b32 v23, v11, v11, 0xc0c0100
	s_set_vgpr_msb 64                       ;  msbs: dst=1 src0=0 src1=0 src2=0
	v_perm_b32 v1 /*v257*/, v21, v20, 0x4030201
	s_set_vgpr_msb 1                        ;  msbs: dst=0 src0=1 src1=0 src2=0
	s_delay_alu instid0(VALU_DEP_2)
	v_dot4_i32_iu8 v22, v4 /*v260*/, v23, v22 neg_lo:[1,1,0]
	s_set_vgpr_msb 0                        ;  msbs: dst=0 src0=0 src1=0 src2=0
	v_perm_b32 v23, v11, v11, 0xc0c0302
	s_set_vgpr_msb 64                       ;  msbs: dst=1 src0=0 src1=0 src2=0
	v_perm_b32 v4 /*v260*/, v20, v19, 0x4030201
	s_set_vgpr_msb 1                        ;  msbs: dst=0 src0=1 src1=0 src2=0
	s_delay_alu instid0(VALU_DEP_2) | instskip(SKIP_3) | instid1(VALU_DEP_1)
	v_dot4_i32_iu8 v22, v7 /*v263*/, v23, v22 neg_lo:[1,1,0]
	s_set_vgpr_msb 0                        ;  msbs: dst=0 src0=0 src1=0 src2=0
	v_perm_b32 v23, v12, v12, 0xc0c0100
	s_set_vgpr_msb 1                        ;  msbs: dst=0 src0=1 src1=0 src2=0
	v_dot4_i32_iu8 v24, v28 /*v284*/, v23, v22 neg_lo:[1,1,0]
	ds_load_u16 v22, v31 /*v287*/
	ds_load_u16 v23, v31 /*v287*/ offset:8
	s_wait_dscnt 0x1
	v_lshrrev_b16 v25, 8, v22
	v_and_b32_e32 v214, 0xff, v22
	s_set_vgpr_msb 0                        ;  msbs: dst=0 src0=0 src1=0 src2=0
	v_mul_i32_i24_e32 v22, v217, v141
	s_wait_dscnt 0x0
	v_cvt_f32_ubyte0_e32 v128, v23
	v_and_b32_e32 v141, 0xffff, v25
	s_set_vgpr_msb 5                        ;  msbs: dst=0 src0=1 src1=1 src2=0
	v_perm_b32 v25, v16 /*v272*/, v15 /*v271*/, 0x6050403
	s_set_vgpr_msb 0                        ;  msbs: dst=0 src0=0 src1=0 src2=0
	v_dot4_i32_iu8 v22, v218, v126, v22 neg_lo:[1,1,0]
	v_cvt_f32_ubyte1_e32 v126, v23
	s_set_vgpr_msb 4                        ;  msbs: dst=0 src0=0 src1=1 src2=0
	s_delay_alu instid0(VALU_DEP_2) | instskip(SKIP_1) | instid1(VALU_DEP_1)
	v_dot4_i32_iu8 v22, v0, v46 /*v302*/, v22 neg_lo:[1,1,0]
	s_set_vgpr_msb 0                        ;  msbs: dst=0 src0=0 src1=0 src2=0
	v_dot4_i32_iu8 v22, v1, v26, v22 neg_lo:[1,1,0]
	v_perm_b32 v26, v14, v14, 0xc0c0100
	s_delay_alu instid0(VALU_DEP_2) | instskip(SKIP_1) | instid1(VALU_DEP_1)
	v_dot4_i32_iu8 v22, v2, v27, v22 neg_lo:[1,1,0]
	s_set_vgpr_msb 4                        ;  msbs: dst=0 src0=0 src1=1 src2=0
	v_dot4_i32_iu8 v22, v3, v47 /*v303*/, v22 neg_lo:[1,1,0]
	s_set_vgpr_msb 1                        ;  msbs: dst=0 src0=1 src1=0 src2=0
	s_delay_alu instid0(VALU_DEP_1) | instskip(SKIP_3) | instid1(VALU_DEP_1)
	v_dot4_i32_iu8 v22, v48 /*v304*/, v26, v22 neg_lo:[1,1,0]
	s_set_vgpr_msb 0                        ;  msbs: dst=0 src0=0 src1=0 src2=0
	v_perm_b32 v26, v14, v14, 0xc0c0302
	s_set_vgpr_msb 1                        ;  msbs: dst=0 src0=1 src1=0 src2=0
	v_dot4_i32_iu8 v22, v49 /*v305*/, v26, v22 neg_lo:[1,1,0]
	s_set_vgpr_msb 0                        ;  msbs: dst=0 src0=0 src1=0 src2=0
	v_perm_b32 v26, v15, v15, 0xc0c0100
	s_set_vgpr_msb 1                        ;  msbs: dst=0 src0=1 src1=0 src2=0
	s_delay_alu instid0(VALU_DEP_1) | instskip(SKIP_3) | instid1(VALU_DEP_1)
	v_dot4_i32_iu8 v22, v50 /*v306*/, v26, v22 neg_lo:[1,1,0]
	s_set_vgpr_msb 0                        ;  msbs: dst=0 src0=0 src1=0 src2=0
	v_perm_b32 v26, v15, v15, 0xc0c0302
	s_set_vgpr_msb 1                        ;  msbs: dst=0 src0=1 src1=0 src2=0
	v_dot4_i32_iu8 v22, v51 /*v307*/, v26, v22 neg_lo:[1,1,0]
	s_set_vgpr_msb 0                        ;  msbs: dst=0 src0=0 src1=0 src2=0
	v_perm_b32 v26, v16, v16, 0xc0c0100
	s_delay_alu instid0(VALU_DEP_1)
	v_dot4_i32_iu8 v26, v4, v26, v22 neg_lo:[1,1,0]
	s_set_vgpr_msb 1                        ;  msbs: dst=0 src0=1 src1=0 src2=0
	v_mul_i32_i24_e32 v4, v35 /*v291*/, v220
	v_dot4_i32_iu8 v22, v18 /*v274*/, v246, v18 neg_lo:[1,1,0]
	s_set_vgpr_msb 0                        ;  msbs: dst=0 src0=0 src1=0 src2=0
	v_perm_b32 v18, v21, v20, 0xc040302
	s_set_vgpr_msb 4                        ;  msbs: dst=0 src0=0 src1=1 src2=0
	v_pk_fma_f32 v[20:21], v[140:141], v[22:23] /*v[278:279]*/, 0 op_sel_hi:[0,1,0]
	s_set_vgpr_msb 1                        ;  msbs: dst=0 src0=1 src1=0 src2=0
	v_dot4_i32_iu8 v4, v36 /*v292*/, v221, v4 neg_lo:[1,1,0]
	s_set_vgpr_msb 20                       ;  msbs: dst=0 src0=0 src1=1 src2=1
	v_dot4_i32_iu8 v18, v18, v44 /*v300*/, v30 /*v286*/ neg_lo:[1,1,0]
	s_set_vgpr_msb 4                        ;  msbs: dst=0 src0=0 src1=1 src2=0
	v_pk_fma_f32 v[20:21], v[150:151], v[26:27] /*v[282:283]*/, v[20:21] op_sel_hi:[0,1,1]
	s_set_vgpr_msb 1                        ;  msbs: dst=0 src0=1 src1=0 src2=0
	v_dot4_i32_iu8 v4, v37 /*v293*/, v224, v4 neg_lo:[1,1,0]
	s_set_vgpr_msb 0                        ;  msbs: dst=0 src0=0 src1=0 src2=0
	v_mul_lo_u32 v18, v18, v204
	v_pk_mul_f32 v[20:21], v[20:21], v[120:121]
	s_set_vgpr_msb 1                        ;  msbs: dst=0 src0=1 src1=0 src2=0
	v_dot4_i32_iu8 v4, v41 /*v297*/, v225, v4 neg_lo:[1,1,0]
	s_delay_alu instid0(VALU_DEP_1) | instskip(SKIP_1) | instid1(VALU_DEP_4)
	v_dot4_i32_iu8 v4, v42 /*v298*/, v226, v4 neg_lo:[1,1,0]
	s_set_vgpr_msb 0                        ;  msbs: dst=0 src0=0 src1=0 src2=0
	v_cvt_f32_i32_e32 v18, v18
	s_set_vgpr_msb 1                        ;  msbs: dst=0 src0=1 src1=0 src2=0
	s_delay_alu instid0(VALU_DEP_2) | instskip(SKIP_1) | instid1(VALU_DEP_1)
	v_dot4_i32_iu8 v4, v43 /*v299*/, v227, v4 neg_lo:[1,1,0]
	s_set_vgpr_msb 4                        ;  msbs: dst=0 src0=0 src1=1 src2=0
	v_mad_i32_i24 v4, v222, v38 /*v294*/, v4
	s_set_vgpr_msb 5                        ;  msbs: dst=0 src0=1 src1=1 src2=0
	s_delay_alu instid0(VALU_DEP_1) | instskip(NEXT) | instid1(VALU_DEP_1)
	v_dot4_i32_iu8 v4, v3 /*v259*/, v9 /*v265*/, v4 neg_lo:[1,1,0]
	v_dot4_i32_iu8 v4, v4 /*v260*/, v10 /*v266*/, v4 neg_lo:[1,1,0]
	s_delay_alu instid0(VALU_DEP_1) | instskip(SKIP_1) | instid1(VALU_DEP_1)
	v_dot4_i32_iu8 v4, v11 /*v267*/, v1 /*v257*/, v4 neg_lo:[1,1,0]
	s_set_vgpr_msb 0                        ;  msbs: dst=0 src0=0 src1=0 src2=0
	v_mul_lo_u32 v4, v4, v204
	s_delay_alu instid0(VALU_DEP_1)
	v_cvt_f32_i32_e32 v19, v4
	s_set_vgpr_msb 5                        ;  msbs: dst=0 src0=1 src1=1 src2=0
	v_dot4_i32_iu8 v4, v19 /*v275*/, v2 /*v258*/, v22 neg_lo:[1,1,0]
	s_set_vgpr_msb 4                        ;  msbs: dst=0 src0=0 src1=1 src2=0
	v_dot4_i32_iu8 v22, v5, v2 /*v258*/, v247 neg_lo:[1,1,0]
	s_set_vgpr_msb 0                        ;  msbs: dst=0 src0=0 src1=0 src2=0
	v_perm_b32 v247, v7, v6, 0x4030201
	s_set_vgpr_msb 1                        ;  msbs: dst=0 src0=1 src1=0 src2=0
	v_pk_fma_f32 v[18:19], v[20:21] /*v[276:277]*/, v[18:19], 0 op_sel_hi:[1,1,0]
	s_set_vgpr_msb 0                        ;  msbs: dst=0 src0=0 src1=0 src2=0
	v_mul_lo_u32 v4, v4, v241
	v_mul_lo_u32 v22, v22, v241
	s_delay_alu instid0(VALU_DEP_2) | instskip(NEXT) | instid1(VALU_DEP_2)
	v_cvt_f32_i32_e32 v23, v4
	v_cvt_f32_i32_e32 v22, v22
	v_dot4_i32_iu8 v4, v236, v148, 0 neg_lo:[1,1,0]
	v_perm_b32 v236, v12, v11, 0x4030201
	s_set_vgpr_msb 1                        ;  msbs: dst=0 src0=1 src1=0 src2=0
	s_delay_alu instid0(VALU_DEP_3)
	v_pk_fma_f32 v[18:19], v[24:25] /*v[280:281]*/, v[22:23], v[18:19]
	s_set_vgpr_msb 0                        ;  msbs: dst=0 src0=0 src1=0 src2=0
	v_dot4_i32_iu8 v4, v237, v149, v4 neg_lo:[1,1,0]
	s_set_vgpr_msb 5                        ;  msbs: dst=0 src0=1 src1=1 src2=0
	v_perm_b32 v22, v14 /*v270*/, v13 /*v269*/, 0x6050403
	v_perm_b32 v23, v15 /*v271*/, v14 /*v270*/, 0x6050403
	s_set_vgpr_msb 0                        ;  msbs: dst=0 src0=0 src1=0 src2=0
	v_perm_b32 v237, v15, v14, 0x4030201
	v_pk_fma_f32 v[18:19], v[18:19], v[112:113], v[20:21] neg_lo:[0,0,1] neg_hi:[0,0,1]
	s_set_vgpr_msb 5                        ;  msbs: dst=0 src0=1 src1=1 src2=0
	v_perm_b32 v20, v12 /*v268*/, v12 /*v268*/, 0xc0c0201
	s_set_vgpr_msb 0                        ;  msbs: dst=0 src0=0 src1=0 src2=0
	v_dot4_i32_iu8 v4, v238, v146, v4 neg_lo:[1,1,0]
	s_set_vgpr_msb 5                        ;  msbs: dst=0 src0=1 src1=1 src2=0
	v_perm_b32 v21, v13 /*v269*/, v12 /*v268*/, 0x6050403
	s_set_vgpr_msb 0                        ;  msbs: dst=0 src0=0 src1=0 src2=0
	v_perm_b32 v238, v16, v15, 0x4030201
	v_pk_add_f32 v[60:61], v[60:61], v[18:19]
	s_set_vgpr_msb 1                        ;  msbs: dst=0 src0=1 src1=0 src2=0
	v_mul_i32_i24_e32 v18, v39 /*v295*/, v240
	s_set_vgpr_msb 0                        ;  msbs: dst=0 src0=0 src1=0 src2=0
	v_dot4_i32_iu8 v4, v239, v147, v4 neg_lo:[1,1,0]
	v_perm_b32 v239, v13, v12, 0x4030201
	s_delay_alu instid0(VALU_DEP_3) | instskip(SKIP_1) | instid1(VALU_DEP_3)
	v_dot4_i32_iu8 v18, v20, v232, v18 neg_lo:[1,1,0]
	s_set_vgpr_msb 1                        ;  msbs: dst=0 src0=1 src1=0 src2=0
	v_dot4_i32_iu8 v4, v8 /*v264*/, v144, v4 neg_lo:[1,1,0]
	s_set_vgpr_msb 0                        ;  msbs: dst=0 src0=0 src1=0 src2=0
	s_delay_alu instid0(VALU_DEP_2) | instskip(SKIP_1) | instid1(VALU_DEP_2)
	v_dot4_i32_iu8 v18, v21, v234, v18 neg_lo:[1,1,0]
	s_set_vgpr_msb 1                        ;  msbs: dst=0 src0=1 src1=0 src2=0
	v_dot4_i32_iu8 v4, v9 /*v265*/, v145, v4 neg_lo:[1,1,0]
	s_set_vgpr_msb 0                        ;  msbs: dst=0 src0=0 src1=0 src2=0
	s_delay_alu instid0(VALU_DEP_2) | instskip(SKIP_1) | instid1(VALU_DEP_2)
	;; [unrolled: 5-line block ×3, first 2 shown]
	v_dot4_i32_iu8 v18, v23, v230, v18 neg_lo:[1,1,0]
	s_set_vgpr_msb 1                        ;  msbs: dst=0 src0=1 src1=0 src2=0
	v_dot4_i32_iu8 v4, v11 /*v267*/, v133, v4 neg_lo:[1,1,0]
	s_set_vgpr_msb 0                        ;  msbs: dst=0 src0=0 src1=0 src2=0
	s_delay_alu instid0(VALU_DEP_2) | instskip(NEXT) | instid1(VALU_DEP_2)
	v_dot4_i32_iu8 v18, v25, v229, v18 neg_lo:[1,1,0]
	v_mul_lo_u32 v4, v4, v223
	s_set_vgpr_msb 1                        ;  msbs: dst=0 src0=1 src1=0 src2=0
	s_delay_alu instid0(VALU_DEP_2) | instskip(NEXT) | instid1(VALU_DEP_1)
	v_mad_i32_i24 v18, v40 /*v296*/, v228, v18
	v_dot4_i32_iu8 v6, v17 /*v273*/, v247, v18 neg_lo:[1,1,0]
	s_set_vgpr_msb 4                        ;  msbs: dst=0 src0=0 src1=1 src2=0
	v_pk_fma_f32 v[18:19], v[138:139], v[22:23] /*v[278:279]*/, 0 op_sel_hi:[0,1,0]
	s_delay_alu instid0(VALU_DEP_4)
	v_cvt_f32_i32_e32 v7, v4
	s_set_vgpr_msb 1                        ;  msbs: dst=0 src0=1 src1=0 src2=0
	v_dot4_i32_iu8 v27, v18 /*v274*/, v248, v6 neg_lo:[1,1,0]
	s_set_vgpr_msb 0                        ;  msbs: dst=0 src0=0 src1=0 src2=0
	v_dot4_i32_iu8 v6, v133, v9, v17 neg_lo:[1,1,0]
	v_perm_b32 v9, v5, v5, 0xc030201
	s_set_vgpr_msb 1                        ;  msbs: dst=0 src0=1 src1=0 src2=0
	v_dot4_i32_iu8 v4, v19 /*v275*/, v231, v27 neg_lo:[1,1,0]
	s_set_vgpr_msb 16                       ;  msbs: dst=0 src0=0 src1=0 src2=1
	v_mul_lo_u32 v6, v6, v223
	v_dot4_i32_iu8 v5, v9, v8, v52 /*v308*/ neg_lo:[1,1,0]
	s_set_vgpr_msb 0                        ;  msbs: dst=0 src0=0 src1=0 src2=0
	v_dot4_i32_iu8 v9, v9, v10, v26 neg_lo:[1,1,0]
	v_mul_lo_u32 v4, v4, v210
	s_delay_alu instid0(VALU_DEP_3) | instskip(NEXT) | instid1(VALU_DEP_3)
	v_mul_lo_u32 v8, v5, v210
	v_mul_lo_u32 v10, v9, v141
	v_cvt_f32_i32_e32 v6, v6
	s_delay_alu instid0(VALU_DEP_4) | instskip(SKIP_1) | instid1(VALU_DEP_2)
	v_cvt_f32_i32_e32 v5, v4
	s_set_vgpr_msb 1                        ;  msbs: dst=0 src0=1 src1=0 src2=0
	v_pk_fma_f32 v[6:7], v[20:21] /*v[276:277]*/, v[6:7], 0 op_sel_hi:[1,1,0]
	s_set_vgpr_msb 0                        ;  msbs: dst=0 src0=0 src1=0 src2=0
	v_cvt_f32_i32_e32 v4, v8
	s_set_vgpr_msb 1                        ;  msbs: dst=0 src0=1 src1=0 src2=0
	s_delay_alu instid0(VALU_DEP_1) | instskip(SKIP_3) | instid1(VALU_DEP_1)
	v_pk_fma_f32 v[4:5], v[24:25] /*v[280:281]*/, v[4:5], v[6:7]
	s_set_vgpr_msb 4                        ;  msbs: dst=0 src0=0 src1=1 src2=0
	v_pk_fma_f32 v[6:7], v[142:143], v[26:27] /*v[282:283]*/, v[18:19] op_sel_hi:[0,1,1]
	s_set_vgpr_msb 0                        ;  msbs: dst=0 src0=0 src1=0 src2=0
	v_pk_mul_f32 v[6:7], v[6:7], v[122:123]
	s_delay_alu instid0(VALU_DEP_1) | instskip(NEXT) | instid1(VALU_DEP_1)
	v_pk_fma_f32 v[4:5], v[4:5], v[114:115], v[6:7] neg_lo:[0,0,1] neg_hi:[0,0,1]
	v_pk_add_f32 v[58:59], v[58:59], v[4:5]
	s_set_vgpr_msb 1                        ;  msbs: dst=0 src0=1 src1=0 src2=0
	v_mul_i32_i24_e32 v4, v35 /*v291*/, v207
	v_mul_i32_i24_e32 v5, v39 /*v295*/, v217
	s_delay_alu instid0(VALU_DEP_2) | instskip(SKIP_1) | instid1(VALU_DEP_2)
	v_dot4_i32_iu8 v4, v36 /*v292*/, v208, v4 neg_lo:[1,1,0]
	s_set_vgpr_msb 0                        ;  msbs: dst=0 src0=0 src1=0 src2=0
	v_dot4_i32_iu8 v5, v20, v218, v5 neg_lo:[1,1,0]
	s_set_vgpr_msb 1                        ;  msbs: dst=0 src0=1 src1=0 src2=0
	s_delay_alu instid0(VALU_DEP_2) | instskip(SKIP_1) | instid1(VALU_DEP_2)
	v_dot4_i32_iu8 v4, v37 /*v293*/, v211, v4 neg_lo:[1,1,0]
	s_set_vgpr_msb 0                        ;  msbs: dst=0 src0=0 src1=0 src2=0
	v_dot4_i32_iu8 v5, v21, v0, v5 neg_lo:[1,1,0]
	s_set_vgpr_msb 1                        ;  msbs: dst=0 src0=1 src1=0 src2=0
	;; [unrolled: 5-line block ×5, first 2 shown]
	s_delay_alu instid0(VALU_DEP_2) | instskip(SKIP_1) | instid1(VALU_DEP_2)
	v_mad_i32_i24 v4, v209, v38 /*v294*/, v4
	s_set_vgpr_msb 1                        ;  msbs: dst=0 src0=1 src1=0 src2=0
	v_mad_i32_i24 v5, v40 /*v296*/, v216, v5
	s_set_vgpr_msb 4                        ;  msbs: dst=0 src0=0 src1=1 src2=0
	s_delay_alu instid0(VALU_DEP_2) | instskip(SKIP_1) | instid1(VALU_DEP_2)
	v_dot4_i32_iu8 v4, v233, v9 /*v265*/, v4 neg_lo:[1,1,0]
	s_set_vgpr_msb 1                        ;  msbs: dst=0 src0=1 src1=0 src2=0
	v_dot4_i32_iu8 v5, v17 /*v273*/, v237, v5 neg_lo:[1,1,0]
	s_set_vgpr_msb 4                        ;  msbs: dst=0 src0=0 src1=1 src2=0
	s_delay_alu instid0(VALU_DEP_2) | instskip(SKIP_1) | instid1(VALU_DEP_2)
	v_dot4_i32_iu8 v4, v236, v10 /*v266*/, v4 neg_lo:[1,1,0]
	s_set_vgpr_msb 1                        ;  msbs: dst=0 src0=1 src1=0 src2=0
	v_dot4_i32_iu8 v8, v18 /*v274*/, v238, v5 neg_lo:[1,1,0]
	s_set_vgpr_msb 0                        ;  msbs: dst=0 src0=0 src1=0 src2=0
	v_perm_b32 v5, v13, v12, 0xc040302
	s_set_vgpr_msb 1                        ;  msbs: dst=0 src0=1 src1=0 src2=0
	v_dot4_i32_iu8 v4, v11 /*v267*/, v239, v4 neg_lo:[1,1,0]
	v_dot4_i32_iu8 v8, v19 /*v275*/, v219, v8 neg_lo:[1,1,0]
	s_set_vgpr_msb 4                        ;  msbs: dst=0 src0=0 src1=1 src2=0
	v_dot4_i32_iu8 v5, v5, v44 /*v300*/, v24 neg_lo:[1,1,0]
	s_set_vgpr_msb 0                        ;  msbs: dst=0 src0=0 src1=0 src2=0
	v_mul_lo_u32 v4, v4, v214
	v_mul_lo_u32 v8, v8, v141
	s_delay_alu instid0(VALU_DEP_3) | instskip(NEXT) | instid1(VALU_DEP_3)
	v_mul_lo_u32 v6, v5, v214
	v_cvt_f32_i32_e32 v5, v4
	s_delay_alu instid0(VALU_DEP_3) | instskip(NEXT) | instid1(VALU_DEP_3)
	v_cvt_f32_i32_e32 v9, v8
	v_cvt_f32_i32_e32 v4, v6
	s_set_vgpr_msb 4                        ;  msbs: dst=0 src0=0 src1=1 src2=0
	v_pk_fma_f32 v[6:7], v[128:129], v[22:23] /*v[278:279]*/, 0 op_sel_hi:[0,1,0]
	v_cvt_f32_i32_e32 v8, v10
	s_set_vgpr_msb 1                        ;  msbs: dst=0 src0=1 src1=0 src2=0
	v_pk_fma_f32 v[4:5], v[20:21] /*v[276:277]*/, v[4:5], 0 op_sel_hi:[1,1,0]
	s_set_vgpr_msb 4                        ;  msbs: dst=0 src0=0 src1=1 src2=0
	v_pk_fma_f32 v[6:7], v[126:127], v[26:27] /*v[282:283]*/, v[6:7] op_sel_hi:[0,1,1]
	s_set_vgpr_msb 1                        ;  msbs: dst=0 src0=1 src1=0 src2=0
	s_delay_alu instid0(VALU_DEP_2) | instskip(SKIP_1) | instid1(VALU_DEP_2)
	v_pk_fma_f32 v[4:5], v[24:25] /*v[280:281]*/, v[8:9], v[4:5]
	s_set_vgpr_msb 0                        ;  msbs: dst=0 src0=0 src1=0 src2=0
	v_pk_mul_f32 v[6:7], v[6:7], v[124:125]
	s_delay_alu instid0(VALU_DEP_1) | instskip(NEXT) | instid1(VALU_DEP_1)
	v_pk_fma_f32 v[4:5], v[4:5], v[116:117], v[6:7] neg_lo:[0,0,1] neg_hi:[0,0,1]
	v_pk_add_f32 v[56:57], v[56:57], v[4:5]
	v_or_b32_e32 v4, s7, v183
	s_delay_alu instid0(VALU_DEP_1)
	v_lshlrev_b32_e32 v16, 2, v4
	s_set_vgpr_msb 64                       ;  msbs: dst=1 src0=0 src1=0 src2=0
	v_lshrrev_b32_e32 v7 /*v263*/, 1, v4
	s_set_vgpr_msb 0                        ;  msbs: dst=0 src0=0 src1=0 src2=0
	ds_load_b128 v[4:7], v16 offset:33280
	ds_load_b128 v[8:11], v16 offset:33296
	ds_load_b128 v[12:15], v16 offset:33312
	ds_load_b128 v[16:19], v16 offset:33328
	s_wait_dscnt 0x3
	v_bfe_i32 v20, v4, 0, 8
	v_perm_b32 v25, v4, v4, 0xc0c0201
	v_perm_b32 v26, v5, v4, 0x6050403
	;; [unrolled: 1-line block ×3, first 2 shown]
	s_set_vgpr_msb 64                       ;  msbs: dst=1 src0=0 src1=0 src2=0
	v_perm_b32 v8 /*v264*/, v7, v6, 0x6050403
	s_set_vgpr_msb 0                        ;  msbs: dst=0 src0=0 src1=0 src2=0
	v_mul_i32_i24_e32 v24, v20, v250
	s_wait_dscnt 0x2
	s_set_vgpr_msb 64                       ;  msbs: dst=1 src0=0 src1=0 src2=0
	v_perm_b32 v9 /*v265*/, v8, v7, 0x6050403
	s_set_vgpr_msb 0                        ;  msbs: dst=0 src0=0 src1=0 src2=0
	v_ashrrev_i32_e32 v21, 24, v8
	v_dot4_i32_iu8 v4, v4, v148, 0 neg_lo:[1,1,0]
	s_wait_dscnt 0x1
	v_bfe_i32 v22, v12, 0, 8
	v_dot4_i32_iu8 v24, v25, v251, v24 neg_lo:[1,1,0]
	s_wait_dscnt 0x0
	v_ashrrev_i32_e32 v23, 24, v16
	v_dot4_i32_iu8 v4, v5, v149, v4 neg_lo:[1,1,0]
	v_perm_b32 v5, v12, v12, 0xc0c0201
	v_dot4_i32_iu8 v24, v26, v252, v24 neg_lo:[1,1,0]
	s_delay_alu instid0(VALU_DEP_3) | instskip(SKIP_1) | instid1(VALU_DEP_3)
	v_dot4_i32_iu8 v4, v6, v146, v4 neg_lo:[1,1,0]
	v_perm_b32 v6, v13, v12, 0x6050403
	v_dot4_i32_iu8 v24, v27, v253, v24 neg_lo:[1,1,0]
	s_delay_alu instid0(VALU_DEP_3) | instskip(SKIP_2) | instid1(VALU_DEP_3)
	v_dot4_i32_iu8 v4, v7, v147, v4 neg_lo:[1,1,0]
	v_perm_b32 v7, v14, v13, 0x6050403
	s_set_vgpr_msb 1                        ;  msbs: dst=0 src0=1 src1=0 src2=0
	v_dot4_i32_iu8 v24, v8 /*v264*/, v254, v24 neg_lo:[1,1,0]
	s_set_vgpr_msb 0                        ;  msbs: dst=0 src0=0 src1=0 src2=0
	v_dot4_i32_iu8 v4, v8, v144, v4 neg_lo:[1,1,0]
	v_perm_b32 v8, v15, v14, 0x6050403
	s_set_vgpr_msb 1                        ;  msbs: dst=0 src0=1 src1=0 src2=0
	v_dot4_i32_iu8 v24, v9 /*v265*/, v255, v24 neg_lo:[1,1,0]
	s_set_vgpr_msb 0                        ;  msbs: dst=0 src0=0 src1=0 src2=0
	v_dot4_i32_iu8 v4, v9, v145, v4 neg_lo:[1,1,0]
	s_delay_alu instid0(VALU_DEP_2) | instskip(SKIP_1) | instid1(VALU_DEP_2)
	v_mad_i32_i24 v24, v249, v21, v24
	s_set_vgpr_msb 64                       ;  msbs: dst=1 src0=0 src1=0 src2=0
	v_dot4_i32_iu8 v20 /*v276*/, v10, v132, v4 neg_lo:[1,1,0]
	s_set_vgpr_msb 0                        ;  msbs: dst=0 src0=0 src1=0 src2=0
	v_mul_i32_i24_e32 v4, v22, v240
	s_set_vgpr_msb 1                        ;  msbs: dst=0 src0=1 src1=0 src2=0
	v_dot4_i32_iu8 v24, v5 /*v261*/, v9, v24 neg_lo:[1,1,0]
	s_set_vgpr_msb 0                        ;  msbs: dst=0 src0=0 src1=0 src2=0
	s_delay_alu instid0(VALU_DEP_2) | instskip(SKIP_1) | instid1(VALU_DEP_2)
	v_dot4_i32_iu8 v4, v5, v232, v4 neg_lo:[1,1,0]
	s_set_vgpr_msb 0x41                     ;  msbs: dst=1 src0=1 src1=0 src2=0
	v_dot4_i32_iu8 v14 /*v270*/, v6 /*v262*/, v10, v24 neg_lo:[1,1,0]
	s_set_vgpr_msb 0                        ;  msbs: dst=0 src0=0 src1=0 src2=0
	v_dot4_i32_iu8 v24, v152, v12, 0 neg_lo:[1,1,0]
	v_dot4_i32_iu8 v4, v6, v234, v4 neg_lo:[1,1,0]
	s_delay_alu instid0(VALU_DEP_2) | instskip(NEXT) | instid1(VALU_DEP_2)
	v_dot4_i32_iu8 v24, v153, v13, v24 neg_lo:[1,1,0]
	v_dot4_i32_iu8 v4, v7, v235, v4 neg_lo:[1,1,0]
	s_delay_alu instid0(VALU_DEP_2) | instskip(NEXT) | instid1(VALU_DEP_2)
	v_dot4_i32_iu8 v24, v154, v14, v24 neg_lo:[1,1,0]
	v_dot4_i32_iu8 v4, v8, v230, v4 neg_lo:[1,1,0]
	s_delay_alu instid0(VALU_DEP_2) | instskip(NEXT) | instid1(VALU_DEP_1)
	v_dot4_i32_iu8 v24, v155, v15, v24 neg_lo:[1,1,0]
	v_dot4_i32_iu8 v24, v156, v16, v24 neg_lo:[1,1,0]
	s_delay_alu instid0(VALU_DEP_1) | instskip(SKIP_1) | instid1(VALU_DEP_1)
	v_dot4_i32_iu8 v24, v157, v17, v24 neg_lo:[1,1,0]
	s_set_vgpr_msb 64                       ;  msbs: dst=1 src0=0 src1=0 src2=0
	v_dot4_i32_iu8 v16 /*v272*/, v134, v18, v24 neg_lo:[1,1,0]
	s_set_vgpr_msb 0                        ;  msbs: dst=0 src0=0 src1=0 src2=0
	v_mul_i32_i24_e32 v24, v20, v220
	s_set_vgpr_msb 0x50                     ;  msbs: dst=1 src0=0 src1=0 src2=1
	s_delay_alu instid0(VALU_DEP_2) | instskip(SKIP_1) | instid1(VALU_DEP_2)
	v_dot4_i32_iu8 v16 /*v272*/, v19, v135, v16 /*v272*/ neg_lo:[1,1,0]
	s_set_vgpr_msb 0                        ;  msbs: dst=0 src0=0 src1=0 src2=0
	v_dot4_i32_iu8 v24, v25, v221, v24 neg_lo:[1,1,0]
	s_set_vgpr_msb 0x41                     ;  msbs: dst=1 src0=1 src1=0 src2=0
	s_delay_alu instid0(VALU_DEP_2) | instskip(SKIP_1) | instid1(VALU_DEP_2)
	v_mul_lo_u32 v16 /*v272*/, v16 /*v272*/, v151
	s_set_vgpr_msb 0                        ;  msbs: dst=0 src0=0 src1=0 src2=0
	v_dot4_i32_iu8 v24, v26, v224, v24 neg_lo:[1,1,0]
	s_delay_alu instid0(VALU_DEP_1) | instskip(SKIP_1) | instid1(VALU_DEP_1)
	v_dot4_i32_iu8 v24, v27, v225, v24 neg_lo:[1,1,0]
	s_set_vgpr_msb 1                        ;  msbs: dst=0 src0=1 src1=0 src2=0
	v_dot4_i32_iu8 v24, v8 /*v264*/, v226, v24 neg_lo:[1,1,0]
	s_set_vgpr_msb 0x41                     ;  msbs: dst=1 src0=1 src1=0 src2=0
	s_delay_alu instid0(VALU_DEP_4) | instskip(SKIP_1) | instid1(VALU_DEP_2)
	v_cvt_f32_i32_e32 v16 /*v272*/, v16 /*v272*/
	s_set_vgpr_msb 1                        ;  msbs: dst=0 src0=1 src1=0 src2=0
	v_dot4_i32_iu8 v24, v9 /*v265*/, v227, v24 neg_lo:[1,1,0]
	s_set_vgpr_msb 0                        ;  msbs: dst=0 src0=0 src1=0 src2=0
	s_delay_alu instid0(VALU_DEP_1) | instskip(SKIP_1) | instid1(VALU_DEP_1)
	v_mad_i32_i24 v24, v222, v21, v24
	s_set_vgpr_msb 1                        ;  msbs: dst=0 src0=1 src1=0 src2=0
	v_dot4_i32_iu8 v24, v3 /*v259*/, v9, v24 neg_lo:[1,1,0]
	s_set_vgpr_msb 0x41                     ;  msbs: dst=1 src0=1 src1=0 src2=0
	s_delay_alu instid0(VALU_DEP_1) | instskip(SKIP_3) | instid1(VALU_DEP_2)
	v_dot4_i32_iu8 v18 /*v274*/, v4 /*v260*/, v10, v24 neg_lo:[1,1,0]
	s_set_vgpr_msb 0                        ;  msbs: dst=0 src0=0 src1=0 src2=0
	v_dot4_i32_iu8 v24, v12, v205, 0 neg_lo:[1,1,0]
	v_perm_b32 v12, v16, v15, 0x6050403
	v_dot4_i32_iu8 v24, v13, v206, v24 neg_lo:[1,1,0]
	s_delay_alu instid0(VALU_DEP_2) | instskip(NEXT) | instid1(VALU_DEP_2)
	v_dot4_i32_iu8 v4, v12, v229, v4 neg_lo:[1,1,0]
	v_dot4_i32_iu8 v24, v14, v242, v24 neg_lo:[1,1,0]
	s_delay_alu instid0(VALU_DEP_2) | instskip(NEXT) | instid1(VALU_DEP_2)
	v_mad_i32_i24 v4, v228, v23, v4
	v_dot4_i32_iu8 v24, v15, v243, v24 neg_lo:[1,1,0]
	s_delay_alu instid0(VALU_DEP_2) | instskip(NEXT) | instid1(VALU_DEP_2)
	v_dot4_i32_iu8 v4, v247, v17, v4 neg_lo:[1,1,0]
	v_dot4_i32_iu8 v24, v16, v244, v24 neg_lo:[1,1,0]
	s_set_vgpr_msb 64                       ;  msbs: dst=1 src0=0 src1=0 src2=0
	s_delay_alu instid0(VALU_DEP_2) | instskip(SKIP_3) | instid1(VALU_DEP_2)
	v_dot4_i32_iu8 v21 /*v277*/, v248, v18, v4 neg_lo:[1,1,0]
	s_set_vgpr_msb 0                        ;  msbs: dst=0 src0=0 src1=0 src2=0
	v_mul_i32_i24_e32 v4, v20, v207
	v_dot4_i32_iu8 v24, v17, v245, v24 neg_lo:[1,1,0]
	v_dot4_i32_iu8 v4, v25, v208, v4 neg_lo:[1,1,0]
	s_set_vgpr_msb 64                       ;  msbs: dst=1 src0=0 src1=0 src2=0
	s_delay_alu instid0(VALU_DEP_2) | instskip(SKIP_1) | instid1(VALU_DEP_2)
	v_dot4_i32_iu8 v19 /*v275*/, v18, v246, v24 neg_lo:[1,1,0]
	s_set_vgpr_msb 0                        ;  msbs: dst=0 src0=0 src1=0 src2=0
	v_dot4_i32_iu8 v4, v26, v211, v4 neg_lo:[1,1,0]
	s_delay_alu instid0(VALU_DEP_1) | instskip(SKIP_1) | instid1(VALU_DEP_1)
	v_dot4_i32_iu8 v4, v27, v212, v4 neg_lo:[1,1,0]
	s_set_vgpr_msb 1                        ;  msbs: dst=0 src0=1 src1=0 src2=0
	v_dot4_i32_iu8 v4, v8 /*v264*/, v213, v4 neg_lo:[1,1,0]
	s_delay_alu instid0(VALU_DEP_1) | instskip(SKIP_1) | instid1(VALU_DEP_1)
	v_dot4_i32_iu8 v4, v9 /*v265*/, v215, v4 neg_lo:[1,1,0]
	s_set_vgpr_msb 0                        ;  msbs: dst=0 src0=0 src1=0 src2=0
	v_mad_i32_i24 v4, v209, v21, v4
	s_delay_alu instid0(VALU_DEP_1) | instskip(NEXT) | instid1(VALU_DEP_1)
	v_dot4_i32_iu8 v4, v233, v9, v4 neg_lo:[1,1,0]
	v_dot4_i32_iu8 v10, v236, v10, v4 neg_lo:[1,1,0]
	v_mul_i32_i24_e32 v4, v22, v217
	s_delay_alu instid0(VALU_DEP_1) | instskip(NEXT) | instid1(VALU_DEP_1)
	v_dot4_i32_iu8 v4, v5, v218, v4 neg_lo:[1,1,0]
	v_dot4_i32_iu8 v4, v6, v0, v4 neg_lo:[1,1,0]
	s_delay_alu instid0(VALU_DEP_1) | instskip(NEXT) | instid1(VALU_DEP_1)
	v_dot4_i32_iu8 v4, v7, v1, v4 neg_lo:[1,1,0]
	v_dot4_i32_iu8 v4, v8, v2, v4 neg_lo:[1,1,0]
	s_delay_alu instid0(VALU_DEP_1) | instskip(NEXT) | instid1(VALU_DEP_1)
	v_dot4_i32_iu8 v4, v12, v3, v4 neg_lo:[1,1,0]
	v_mad_i32_i24 v4, v216, v23, v4
	s_delay_alu instid0(VALU_DEP_1) | instskip(NEXT) | instid1(VALU_DEP_1)
	v_dot4_i32_iu8 v4, v237, v17, v4 neg_lo:[1,1,0]
	v_dot4_i32_iu8 v18, v238, v18, v4 neg_lo:[1,1,0]
	v_or_b32_e32 v4, s7, v184
	s_delay_alu instid0(VALU_DEP_1)
	v_dual_lshlrev_b32 v8, 2, v4 :: v_dual_lshrrev_b32 v16, 1, v4
	ds_load_b128 v[4:7], v8 offset:33280
	ds_load_b128 v[12:15], v8 offset:33296
	ds_load_b128 v[20:23], v8 offset:33312
	ds_load_b128 v[24:27], v8 offset:33328
	ds_load_b64 v[16:17], v16 offset:43584
	s_wait_dscnt 0x4
	s_set_vgpr_msb 64                       ;  msbs: dst=1 src0=0 src1=0 src2=0
	v_bfe_i32 v22 /*v278*/, v4, 0, 8
	v_perm_b32 v26 /*v282*/, v4, v4, 0xc0c0201
	v_perm_b32 v27 /*v283*/, v5, v4, 0x6050403
	;; [unrolled: 1-line block ×4, first 2 shown]
	s_set_vgpr_msb 1                        ;  msbs: dst=0 src0=1 src1=0 src2=0
	v_mul_i32_i24_e32 v8, v22 /*v278*/, v250
	s_wait_dscnt 0x3
	s_set_vgpr_msb 64                       ;  msbs: dst=1 src0=0 src1=0 src2=0
	v_perm_b32 v30 /*v286*/, v12, v7, 0x6050403
	v_ashrrev_i32_e32 v23 /*v279*/, 24, v12
	s_wait_dscnt 0x0
	v_cvt_f32_f16_e64 v9 /*v265*/, v16
	v_cvt_f32_f16_e64 v13 /*v269*/, v17
	s_set_vgpr_msb 1                        ;  msbs: dst=0 src0=1 src1=0 src2=0
	v_dot4_i32_iu8 v8, v26 /*v282*/, v251, v8 neg_lo:[1,1,0]
	s_set_vgpr_msb 0                        ;  msbs: dst=0 src0=0 src1=0 src2=0
	v_dot4_i32_iu8 v4, v4, v148, 0 neg_lo:[1,1,0]
	s_set_vgpr_msb 64                       ;  msbs: dst=1 src0=0 src1=0 src2=0
	v_bfe_i32 v24 /*v280*/, v20, 0, 8
	v_ashrrev_i32_e32 v25 /*v281*/, 24, v24
	s_set_vgpr_msb 1                        ;  msbs: dst=0 src0=1 src1=0 src2=0
	v_dot4_i32_iu8 v8, v27 /*v283*/, v252, v8 neg_lo:[1,1,0]
	s_set_vgpr_msb 0                        ;  msbs: dst=0 src0=0 src1=0 src2=0
	v_dot4_i32_iu8 v4, v5, v149, v4 neg_lo:[1,1,0]
	s_set_vgpr_msb 1                        ;  msbs: dst=0 src0=1 src1=0 src2=0
	v_mul_i32_i24_e32 v5, v24 /*v280*/, v240
	v_dot4_i32_iu8 v8, v28 /*v284*/, v253, v8 neg_lo:[1,1,0]
	s_set_vgpr_msb 0                        ;  msbs: dst=0 src0=0 src1=0 src2=0
	v_dot4_i32_iu8 v4, v6, v146, v4 neg_lo:[1,1,0]
	s_set_vgpr_msb 1                        ;  msbs: dst=0 src0=1 src1=0 src2=0
	s_delay_alu instid0(VALU_DEP_2) | instskip(SKIP_1) | instid1(VALU_DEP_2)
	v_dot4_i32_iu8 v8, v29 /*v285*/, v254, v8 neg_lo:[1,1,0]
	s_set_vgpr_msb 0                        ;  msbs: dst=0 src0=0 src1=0 src2=0
	v_dot4_i32_iu8 v4, v7, v147, v4 neg_lo:[1,1,0]
	s_set_vgpr_msb 1                        ;  msbs: dst=0 src0=1 src1=0 src2=0
	s_delay_alu instid0(VALU_DEP_2) | instskip(SKIP_1) | instid1(VALU_DEP_2)
	v_dot4_i32_iu8 v8, v30 /*v286*/, v255, v8 neg_lo:[1,1,0]
	s_set_vgpr_msb 0                        ;  msbs: dst=0 src0=0 src1=0 src2=0
	v_dot4_i32_iu8 v4, v12, v144, v4 neg_lo:[1,1,0]
	v_perm_b32 v12, v20, v20, 0xc0c0201
	s_set_vgpr_msb 4                        ;  msbs: dst=0 src0=0 src1=1 src2=0
	v_mad_i32_i24 v8, v249, v23 /*v279*/, v8
	s_set_vgpr_msb 0                        ;  msbs: dst=0 src0=0 src1=0 src2=0
	v_dot4_i32_iu8 v4, v13, v145, v4 neg_lo:[1,1,0]
	v_dot4_i32_iu8 v5, v12, v232, v5 neg_lo:[1,1,0]
	s_set_vgpr_msb 1                        ;  msbs: dst=0 src0=1 src1=0 src2=0
	v_dot4_i32_iu8 v8, v5 /*v261*/, v13, v8 neg_lo:[1,1,0]
	s_set_vgpr_msb 0                        ;  msbs: dst=0 src0=0 src1=0 src2=0
	v_dot4_i32_iu8 v4, v14, v132, v4 neg_lo:[1,1,0]
	s_set_vgpr_msb 0x41                     ;  msbs: dst=1 src0=1 src1=0 src2=0
	s_delay_alu instid0(VALU_DEP_2) | instskip(SKIP_3) | instid1(VALU_DEP_2)
	v_dot4_i32_iu8 v15 /*v271*/, v6 /*v262*/, v14, v8 neg_lo:[1,1,0]
	s_set_vgpr_msb 0                        ;  msbs: dst=0 src0=0 src1=0 src2=0
	v_dot4_i32_iu8 v8, v152, v20, 0 neg_lo:[1,1,0]
	v_dot4_i32_iu8 v4, v15, v133, v4 neg_lo:[1,1,0]
	;; [unrolled: 1-line block ×3, first 2 shown]
	s_delay_alu instid0(VALU_DEP_2) | instskip(NEXT) | instid1(VALU_DEP_2)
	v_mul_lo_u32 v4, v4, v223
	v_dot4_i32_iu8 v8, v154, v22, v8 neg_lo:[1,1,0]
	s_delay_alu instid0(VALU_DEP_1) | instskip(NEXT) | instid1(VALU_DEP_1)
	v_dot4_i32_iu8 v8, v155, v23, v8 neg_lo:[1,1,0]
	v_dot4_i32_iu8 v8, v156, v24, v8 neg_lo:[1,1,0]
	s_delay_alu instid0(VALU_DEP_1) | instskip(SKIP_1) | instid1(VALU_DEP_1)
	v_dot4_i32_iu8 v8, v157, v25, v8 neg_lo:[1,1,0]
	s_set_vgpr_msb 64                       ;  msbs: dst=1 src0=0 src1=0 src2=0
	v_dot4_i32_iu8 v17 /*v273*/, v134, v26, v8 neg_lo:[1,1,0]
	s_set_vgpr_msb 1                        ;  msbs: dst=0 src0=1 src1=0 src2=0
	ds_load_b64 v[8:9], v7 /*v263*/ offset:43584
	s_wait_dscnt 0x0
	s_set_vgpr_msb 64                       ;  msbs: dst=1 src0=0 src1=0 src2=0
	v_lshrrev_b32_e32 v7 /*v263*/, 16, v8
	v_cvt_f32_f16_e64 v8 /*v264*/, v8
	s_set_vgpr_msb 0                        ;  msbs: dst=0 src0=0 src1=0 src2=0
	v_lshrrev_b32_e32 v8, 16, v16
	s_set_vgpr_msb 64                       ;  msbs: dst=1 src0=0 src1=0 src2=0
	v_cvt_f32_f16_e64 v12 /*v268*/, v9
	s_set_vgpr_msb 20                       ;  msbs: dst=0 src0=0 src1=1 src2=1
	v_dot4_i32_iu8 v16, v15, v0 /*v256*/, v15 /*v271*/ neg_lo:[1,1,0]
	s_set_vgpr_msb 0x41                     ;  msbs: dst=1 src0=1 src1=0 src2=0
	v_cvt_f32_f16_e64 v10 /*v266*/, v7 /*v263*/
	s_set_vgpr_msb 64                       ;  msbs: dst=1 src0=0 src1=0 src2=0
	v_cvt_f32_f16_e64 v11 /*v267*/, v8
	s_set_vgpr_msb 0                        ;  msbs: dst=0 src0=0 src1=0 src2=0
	v_lshrrev_b32_e32 v8, 16, v9
	v_lshrrev_b32_e32 v9, 16, v17
	s_set_vgpr_msb 20                       ;  msbs: dst=0 src0=0 src1=1 src2=1
	v_dot4_i32_iu8 v17, v11, v0 /*v256*/, v14 /*v270*/ neg_lo:[1,1,0]
	s_set_vgpr_msb 0                        ;  msbs: dst=0 src0=0 src1=0 src2=0
	v_mul_lo_u32 v16, v16, v203
	s_set_vgpr_msb 0x44                     ;  msbs: dst=1 src0=0 src1=1 src2=0
	v_pk_fma_f32 v[14:15] /*v[270:271]*/, v[136:137], v[10:11] /*v[266:267]*/, 0 op_sel_hi:[0,1,0]
	s_set_vgpr_msb 0                        ;  msbs: dst=0 src0=0 src1=0 src2=0
	v_cvt_f32_f16_e32 v8, v8
	v_cvt_f32_f16_e32 v9, v9
	s_set_vgpr_msb 0x50                     ;  msbs: dst=1 src0=0 src1=0 src2=1
	v_mul_lo_u32 v7 /*v263*/, v17, v203
	s_delay_alu instid0(VALU_DEP_2) | instskip(SKIP_3) | instid1(VALU_DEP_2)
	v_pk_fma_f32 v[14:15] /*v[270:271]*/, v[130:131], v[8:9], v[14:15] /*v[270:271]*/ op_sel_hi:[0,1,1]
	s_set_vgpr_msb 0                        ;  msbs: dst=0 src0=0 src1=0 src2=0
	v_cvt_f32_i32_e32 v17, v16
	s_set_vgpr_msb 0x41                     ;  msbs: dst=1 src0=1 src1=0 src2=0
	v_pk_mul_f32 v[14:15] /*v[270:271]*/, v[14:15] /*v[270:271]*/, v[118:119]
	s_set_vgpr_msb 1                        ;  msbs: dst=0 src0=1 src1=0 src2=0
	s_delay_alu instid0(VALU_DEP_4) | instskip(SKIP_3) | instid1(VALU_DEP_2)
	v_cvt_f32_i32_e32 v16, v7 /*v263*/
	s_set_vgpr_msb 0x50                     ;  msbs: dst=1 src0=0 src1=0 src2=1
	v_dot4_i32_iu8 v7 /*v263*/, v27, v135, v17 /*v273*/ neg_lo:[1,1,0]
	s_set_vgpr_msb 1                        ;  msbs: dst=0 src0=1 src1=0 src2=0
	v_pk_fma_f32 v[16:17], v[8:9] /*v[264:265]*/, v[16:17], 0 op_sel_hi:[1,1,0]
	s_set_vgpr_msb 0x41                     ;  msbs: dst=1 src0=1 src1=0 src2=0
	s_delay_alu instid0(VALU_DEP_2) | instskip(NEXT) | instid1(VALU_DEP_1)
	v_mul_lo_u32 v7 /*v263*/, v7 /*v263*/, v151
	v_cvt_f32_i32_e32 v17 /*v273*/, v7 /*v263*/
	s_set_vgpr_msb 5                        ;  msbs: dst=0 src0=1 src1=1 src2=0
	s_delay_alu instid0(VALU_DEP_1) | instskip(SKIP_3) | instid1(VALU_DEP_2)
	v_pk_fma_f32 v[16:17], v[12:13] /*v[268:269]*/, v[16:17] /*v[272:273]*/, v[16:17]
	s_set_vgpr_msb 0x54                     ;  msbs: dst=1 src0=0 src1=1 src2=1
	v_dot4_i32_iu8 v16 /*v272*/, v19, v2 /*v258*/, v19 /*v275*/ neg_lo:[1,1,0]
	s_set_vgpr_msb 16                       ;  msbs: dst=0 src0=0 src1=0 src2=1
	v_pk_fma_f32 v[16:17], v[16:17], v[110:111], v[14:15] /*v[270:271]*/ neg_lo:[0,0,1] neg_hi:[0,0,1]
	s_set_vgpr_msb 0x41                     ;  msbs: dst=1 src0=1 src1=0 src2=0
	s_delay_alu instid0(VALU_DEP_2) | instskip(SKIP_1) | instid1(VALU_DEP_2)
	v_mul_lo_u32 v16 /*v272*/, v16 /*v272*/, v241
	s_set_vgpr_msb 0                        ;  msbs: dst=0 src0=0 src1=0 src2=0
	v_pk_add_f32 v[54:55], v[54:55], v[16:17]
	s_set_vgpr_msb 1                        ;  msbs: dst=0 src0=1 src1=0 src2=0
	v_mul_i32_i24_e32 v16, v22 /*v278*/, v220
	s_set_vgpr_msb 0                        ;  msbs: dst=0 src0=0 src1=0 src2=0
	v_dot4_i32_iu8 v17, v20, v205, 0 neg_lo:[1,1,0]
	v_perm_b32 v20, v21, v20, 0x6050403
	s_set_vgpr_msb 1                        ;  msbs: dst=0 src0=1 src1=0 src2=0
	v_dot4_i32_iu8 v16, v26 /*v282*/, v221, v16 neg_lo:[1,1,0]
	s_set_vgpr_msb 0                        ;  msbs: dst=0 src0=0 src1=0 src2=0
	v_dot4_i32_iu8 v17, v21, v206, v17 neg_lo:[1,1,0]
	v_dot4_i32_iu8 v5, v20, v234, v5 neg_lo:[1,1,0]
	v_perm_b32 v21, v22, v21, 0x6050403
	s_set_vgpr_msb 0x41                     ;  msbs: dst=1 src0=1 src1=0 src2=0
	v_cvt_f32_i32_e32 v16 /*v272*/, v16 /*v272*/
	s_set_vgpr_msb 1                        ;  msbs: dst=0 src0=1 src1=0 src2=0
	v_dot4_i32_iu8 v16, v27 /*v283*/, v224, v16 neg_lo:[1,1,0]
	s_set_vgpr_msb 0                        ;  msbs: dst=0 src0=0 src1=0 src2=0
	v_dot4_i32_iu8 v17, v22, v242, v17 neg_lo:[1,1,0]
	v_perm_b32 v22, v23, v22, 0x6050403
	v_dot4_i32_iu8 v5, v21, v235, v5 neg_lo:[1,1,0]
	s_set_vgpr_msb 1                        ;  msbs: dst=0 src0=1 src1=0 src2=0
	v_dot4_i32_iu8 v16, v28 /*v284*/, v225, v16 neg_lo:[1,1,0]
	s_set_vgpr_msb 0                        ;  msbs: dst=0 src0=0 src1=0 src2=0
	v_dot4_i32_iu8 v17, v23, v243, v17 neg_lo:[1,1,0]
	v_perm_b32 v23, v24, v23, 0x6050403
	v_dot4_i32_iu8 v5, v22, v230, v5 neg_lo:[1,1,0]
	s_set_vgpr_msb 1                        ;  msbs: dst=0 src0=1 src1=0 src2=0
	v_dot4_i32_iu8 v16, v29 /*v285*/, v226, v16 neg_lo:[1,1,0]
	s_set_vgpr_msb 0                        ;  msbs: dst=0 src0=0 src1=0 src2=0
	v_dot4_i32_iu8 v17, v24, v244, v17 neg_lo:[1,1,0]
	v_dot4_i32_iu8 v5, v23, v229, v5 neg_lo:[1,1,0]
	s_set_vgpr_msb 1                        ;  msbs: dst=0 src0=1 src1=0 src2=0
	v_dot4_i32_iu8 v16, v30 /*v286*/, v227, v16 neg_lo:[1,1,0]
	s_set_vgpr_msb 0                        ;  msbs: dst=0 src0=0 src1=0 src2=0
	v_dot4_i32_iu8 v17, v25, v245, v17 neg_lo:[1,1,0]
	s_set_vgpr_msb 4                        ;  msbs: dst=0 src0=0 src1=1 src2=0
	v_mad_i32_i24 v5, v228, v25 /*v281*/, v5
	v_mad_i32_i24 v16, v222, v23 /*v279*/, v16
	s_set_vgpr_msb 64                       ;  msbs: dst=1 src0=0 src1=0 src2=0
	v_dot4_i32_iu8 v7 /*v263*/, v26, v246, v17 neg_lo:[1,1,0]
	s_set_vgpr_msb 20                       ;  msbs: dst=0 src0=0 src1=1 src2=1
	v_dot4_i32_iu8 v17, v11, v1 /*v257*/, v18 /*v274*/ neg_lo:[1,1,0]
	s_set_vgpr_msb 0                        ;  msbs: dst=0 src0=0 src1=0 src2=0
	v_dot4_i32_iu8 v5, v247, v25, v5 neg_lo:[1,1,0]
	s_set_vgpr_msb 1                        ;  msbs: dst=0 src0=1 src1=0 src2=0
	v_dot4_i32_iu8 v16, v3 /*v259*/, v13, v16 neg_lo:[1,1,0]
	s_set_vgpr_msb 0x54                     ;  msbs: dst=1 src0=0 src1=1 src2=1
	v_dot4_i32_iu8 v7 /*v263*/, v27, v2 /*v258*/, v7 /*v263*/ neg_lo:[1,1,0]
	s_set_vgpr_msb 64                       ;  msbs: dst=1 src0=0 src1=0 src2=0
	v_mul_lo_u32 v14 /*v270*/, v17, v204
	s_set_vgpr_msb 1                        ;  msbs: dst=0 src0=1 src1=0 src2=0
	v_dot4_i32_iu8 v16, v4 /*v260*/, v14, v16 neg_lo:[1,1,0]
	s_set_vgpr_msb 0x41                     ;  msbs: dst=1 src0=1 src1=0 src2=0
	v_mul_lo_u32 v7 /*v263*/, v7 /*v263*/, v241
	s_set_vgpr_msb 4                        ;  msbs: dst=0 src0=0 src1=1 src2=0
	s_delay_alu instid0(VALU_DEP_2) | instskip(SKIP_1) | instid1(VALU_DEP_1)
	v_dot4_i32_iu8 v16, v15, v1 /*v257*/, v16 neg_lo:[1,1,0]
	s_set_vgpr_msb 0                        ;  msbs: dst=0 src0=0 src1=0 src2=0
	v_mul_lo_u32 v16, v16, v204
	s_set_vgpr_msb 0x41                     ;  msbs: dst=1 src0=1 src1=0 src2=0
	s_delay_alu instid0(VALU_DEP_3) | instskip(SKIP_1) | instid1(VALU_DEP_2)
	v_cvt_f32_i32_e32 v17 /*v273*/, v7 /*v263*/
	s_set_vgpr_msb 0                        ;  msbs: dst=0 src0=0 src1=0 src2=0
	v_cvt_f32_i32_e32 v17, v16
	s_set_vgpr_msb 1                        ;  msbs: dst=0 src0=1 src1=0 src2=0
	v_cvt_f32_i32_e32 v16, v14 /*v270*/
	s_set_vgpr_msb 0x44                     ;  msbs: dst=1 src0=0 src1=1 src2=0
	v_pk_fma_f32 v[14:15] /*v[270:271]*/, v[140:141], v[10:11] /*v[266:267]*/, 0 op_sel_hi:[0,1,0]
	s_set_vgpr_msb 1                        ;  msbs: dst=0 src0=1 src1=0 src2=0
	s_delay_alu instid0(VALU_DEP_2) | instskip(SKIP_1) | instid1(VALU_DEP_2)
	v_pk_fma_f32 v[16:17], v[8:9] /*v[264:265]*/, v[16:17], 0 op_sel_hi:[1,1,0]
	s_set_vgpr_msb 0x50                     ;  msbs: dst=1 src0=0 src1=0 src2=1
	v_pk_fma_f32 v[14:15] /*v[270:271]*/, v[150:151], v[8:9], v[14:15] /*v[270:271]*/ op_sel_hi:[0,1,1]
	s_set_vgpr_msb 5                        ;  msbs: dst=0 src0=1 src1=1 src2=0
	s_delay_alu instid0(VALU_DEP_2) | instskip(SKIP_1) | instid1(VALU_DEP_2)
	v_pk_fma_f32 v[16:17], v[12:13] /*v[268:269]*/, v[16:17] /*v[272:273]*/, v[16:17]
	s_set_vgpr_msb 0x41                     ;  msbs: dst=1 src0=1 src1=0 src2=0
	v_pk_mul_f32 v[14:15] /*v[270:271]*/, v[14:15] /*v[270:271]*/, v[120:121]
	s_set_vgpr_msb 16                       ;  msbs: dst=0 src0=0 src1=0 src2=1
	s_delay_alu instid0(VALU_DEP_1) | instskip(NEXT) | instid1(VALU_DEP_1)
	v_pk_fma_f32 v[16:17], v[16:17], v[112:113], v[14:15] /*v[270:271]*/ neg_lo:[0,0,1] neg_hi:[0,0,1]
	v_pk_add_f32 v[52:53], v[52:53], v[16:17]
	s_set_vgpr_msb 0                        ;  msbs: dst=0 src0=0 src1=0 src2=0
	v_dot4_i32_iu8 v16, v248, v26, v5 neg_lo:[1,1,0]
	s_set_vgpr_msb 16                       ;  msbs: dst=0 src0=0 src1=0 src2=1
	v_dot4_i32_iu8 v5, v11, v133, v20 /*v276*/ neg_lo:[1,1,0]
	v_dot4_i32_iu8 v17, v19, v231, v21 /*v277*/ neg_lo:[1,1,0]
	s_set_vgpr_msb 0                        ;  msbs: dst=0 src0=0 src1=0 src2=0
	v_dot4_i32_iu8 v16, v27, v231, v16 neg_lo:[1,1,0]
	s_delay_alu instid0(VALU_DEP_3) | instskip(NEXT) | instid1(VALU_DEP_3)
	v_mul_lo_u32 v6, v5, v223
	v_mul_lo_u32 v24, v17, v210
	v_cvt_f32_i32_e32 v5, v4
	s_delay_alu instid0(VALU_DEP_4) | instskip(NEXT) | instid1(VALU_DEP_4)
	v_mul_lo_u32 v16, v16, v210
	v_cvt_f32_i32_e32 v4, v6
	s_set_vgpr_msb 4                        ;  msbs: dst=0 src0=0 src1=1 src2=0
	v_pk_fma_f32 v[6:7], v[138:139], v[10:11] /*v[266:267]*/, 0 op_sel_hi:[0,1,0]
	s_delay_alu instid0(VALU_DEP_3)
	v_cvt_f32_i32_e32 v17, v16
	s_set_vgpr_msb 1                        ;  msbs: dst=0 src0=1 src1=0 src2=0
	v_pk_fma_f32 v[4:5], v[8:9] /*v[264:265]*/, v[4:5], 0 op_sel_hi:[1,1,0]
	s_set_vgpr_msb 0                        ;  msbs: dst=0 src0=0 src1=0 src2=0
	v_cvt_f32_i32_e32 v16, v24
	v_pk_fma_f32 v[6:7], v[142:143], v[8:9], v[6:7] op_sel_hi:[0,1,1]
	s_set_vgpr_msb 1                        ;  msbs: dst=0 src0=1 src1=0 src2=0
	s_delay_alu instid0(VALU_DEP_2) | instskip(SKIP_1) | instid1(VALU_DEP_2)
	v_pk_fma_f32 v[4:5], v[12:13] /*v[268:269]*/, v[16:17], v[4:5]
	s_set_vgpr_msb 0                        ;  msbs: dst=0 src0=0 src1=0 src2=0
	v_pk_mul_f32 v[6:7], v[6:7], v[122:123]
	s_delay_alu instid0(VALU_DEP_1) | instskip(NEXT) | instid1(VALU_DEP_1)
	v_pk_fma_f32 v[4:5], v[4:5], v[114:115], v[6:7] neg_lo:[0,0,1] neg_hi:[0,0,1]
	v_pk_add_f32 v[50:51], v[50:51], v[4:5]
	s_set_vgpr_msb 1                        ;  msbs: dst=0 src0=1 src1=0 src2=0
	v_mul_i32_i24_e32 v4, v22 /*v278*/, v207
	v_mul_i32_i24_e32 v5, v24 /*v280*/, v217
	s_delay_alu instid0(VALU_DEP_2) | instskip(SKIP_1) | instid1(VALU_DEP_2)
	v_dot4_i32_iu8 v4, v26 /*v282*/, v208, v4 neg_lo:[1,1,0]
	s_set_vgpr_msb 0                        ;  msbs: dst=0 src0=0 src1=0 src2=0
	v_dot4_i32_iu8 v5, v12, v218, v5 neg_lo:[1,1,0]
	s_set_vgpr_msb 1                        ;  msbs: dst=0 src0=1 src1=0 src2=0
	s_delay_alu instid0(VALU_DEP_2) | instskip(SKIP_1) | instid1(VALU_DEP_2)
	v_dot4_i32_iu8 v4, v27 /*v283*/, v211, v4 neg_lo:[1,1,0]
	s_set_vgpr_msb 0                        ;  msbs: dst=0 src0=0 src1=0 src2=0
	v_dot4_i32_iu8 v5, v20, v0, v5 neg_lo:[1,1,0]
	s_set_vgpr_msb 1                        ;  msbs: dst=0 src0=1 src1=0 src2=0
	;; [unrolled: 5-line block ×5, first 2 shown]
	s_delay_alu instid0(VALU_DEP_2) | instskip(NEXT) | instid1(VALU_DEP_2)
	v_mad_i32_i24 v4, v209, v23 /*v279*/, v4
	v_mad_i32_i24 v5, v216, v25 /*v281*/, v5
	s_set_vgpr_msb 0                        ;  msbs: dst=0 src0=0 src1=0 src2=0
	s_delay_alu instid0(VALU_DEP_2) | instskip(NEXT) | instid1(VALU_DEP_2)
	v_dot4_i32_iu8 v4, v233, v13, v4 neg_lo:[1,1,0]
	v_dot4_i32_iu8 v5, v237, v25, v5 neg_lo:[1,1,0]
	s_delay_alu instid0(VALU_DEP_2) | instskip(NEXT) | instid1(VALU_DEP_2)
	v_dot4_i32_iu8 v4, v236, v14, v4 neg_lo:[1,1,0]
	v_dot4_i32_iu8 v12, v238, v26, v5 neg_lo:[1,1,0]
	;; [unrolled: 1-line block ×4, first 2 shown]
	s_delay_alu instid0(VALU_DEP_4) | instskip(NEXT) | instid1(VALU_DEP_4)
	v_dot4_i32_iu8 v4, v15, v239, v4 neg_lo:[1,1,0]
	v_dot4_i32_iu8 v10, v27, v219, v12 neg_lo:[1,1,0]
	s_delay_alu instid0(VALU_DEP_4) | instskip(NEXT) | instid1(VALU_DEP_4)
	v_mul_lo_u32 v6, v5, v214
	v_mul_lo_u32 v12, v11, v141
	s_delay_alu instid0(VALU_DEP_4) | instskip(NEXT) | instid1(VALU_DEP_4)
	v_mul_lo_u32 v4, v4, v214
	v_mul_lo_u32 v10, v10, v141
	s_delay_alu instid0(VALU_DEP_2) | instskip(SKIP_3) | instid1(VALU_DEP_4)
	v_cvt_f32_i32_e32 v5, v4
	v_cvt_f32_i32_e32 v4, v6
	s_set_vgpr_msb 4                        ;  msbs: dst=0 src0=0 src1=1 src2=0
	v_pk_fma_f32 v[6:7], v[128:129], v[10:11] /*v[266:267]*/, 0 op_sel_hi:[0,1,0]
	v_cvt_f32_i32_e32 v11, v10
	v_cvt_f32_i32_e32 v10, v12
	s_set_vgpr_msb 1                        ;  msbs: dst=0 src0=1 src1=0 src2=0
	v_pk_fma_f32 v[4:5], v[8:9] /*v[264:265]*/, v[4:5], 0 op_sel_hi:[1,1,0]
	s_set_vgpr_msb 0                        ;  msbs: dst=0 src0=0 src1=0 src2=0
	v_pk_fma_f32 v[6:7], v[126:127], v[8:9], v[6:7] op_sel_hi:[0,1,1]
	s_set_vgpr_msb 1                        ;  msbs: dst=0 src0=1 src1=0 src2=0
	s_delay_alu instid0(VALU_DEP_2) | instskip(SKIP_1) | instid1(VALU_DEP_2)
	v_pk_fma_f32 v[4:5], v[12:13] /*v[268:269]*/, v[10:11], v[4:5]
	s_set_vgpr_msb 0                        ;  msbs: dst=0 src0=0 src1=0 src2=0
	v_pk_mul_f32 v[6:7], v[6:7], v[124:125]
	s_delay_alu instid0(VALU_DEP_1) | instskip(NEXT) | instid1(VALU_DEP_1)
	v_pk_fma_f32 v[4:5], v[4:5], v[116:117], v[6:7] neg_lo:[0,0,1] neg_hi:[0,0,1]
	v_pk_add_f32 v[48:49], v[48:49], v[4:5]
	v_or_b32_e32 v4, s7, v185
	s_delay_alu instid0(VALU_DEP_1)
	v_lshlrev_b32_e32 v16, 2, v4
	s_set_vgpr_msb 64                       ;  msbs: dst=1 src0=0 src1=0 src2=0
	v_lshrrev_b32_e32 v7 /*v263*/, 1, v4
	s_set_vgpr_msb 0                        ;  msbs: dst=0 src0=0 src1=0 src2=0
	ds_load_b128 v[4:7], v16 offset:33280
	ds_load_b128 v[8:11], v16 offset:33296
	ds_load_b128 v[12:15], v16 offset:33312
	ds_load_b128 v[16:19], v16 offset:33328
	s_wait_dscnt 0x3
	v_bfe_i32 v20, v4, 0, 8
	v_perm_b32 v25, v4, v4, 0xc0c0201
	v_perm_b32 v26, v5, v4, 0x6050403
	v_perm_b32 v27, v6, v5, 0x6050403
	s_set_vgpr_msb 64                       ;  msbs: dst=1 src0=0 src1=0 src2=0
	v_perm_b32 v8 /*v264*/, v7, v6, 0x6050403
	s_set_vgpr_msb 0                        ;  msbs: dst=0 src0=0 src1=0 src2=0
	v_mul_i32_i24_e32 v24, v20, v250
	s_wait_dscnt 0x2
	s_set_vgpr_msb 64                       ;  msbs: dst=1 src0=0 src1=0 src2=0
	v_perm_b32 v9 /*v265*/, v8, v7, 0x6050403
	s_set_vgpr_msb 0                        ;  msbs: dst=0 src0=0 src1=0 src2=0
	v_ashrrev_i32_e32 v21, 24, v8
	v_dot4_i32_iu8 v4, v4, v148, 0 neg_lo:[1,1,0]
	s_wait_dscnt 0x1
	v_bfe_i32 v22, v12, 0, 8
	v_dot4_i32_iu8 v24, v25, v251, v24 neg_lo:[1,1,0]
	s_wait_dscnt 0x0
	v_ashrrev_i32_e32 v23, 24, v16
	v_dot4_i32_iu8 v4, v5, v149, v4 neg_lo:[1,1,0]
	v_perm_b32 v5, v12, v12, 0xc0c0201
	v_dot4_i32_iu8 v24, v26, v252, v24 neg_lo:[1,1,0]
	s_delay_alu instid0(VALU_DEP_3) | instskip(SKIP_1) | instid1(VALU_DEP_3)
	v_dot4_i32_iu8 v4, v6, v146, v4 neg_lo:[1,1,0]
	v_perm_b32 v6, v13, v12, 0x6050403
	v_dot4_i32_iu8 v24, v27, v253, v24 neg_lo:[1,1,0]
	s_delay_alu instid0(VALU_DEP_3) | instskip(SKIP_2) | instid1(VALU_DEP_3)
	v_dot4_i32_iu8 v4, v7, v147, v4 neg_lo:[1,1,0]
	v_perm_b32 v7, v14, v13, 0x6050403
	s_set_vgpr_msb 1                        ;  msbs: dst=0 src0=1 src1=0 src2=0
	v_dot4_i32_iu8 v24, v8 /*v264*/, v254, v24 neg_lo:[1,1,0]
	s_set_vgpr_msb 0                        ;  msbs: dst=0 src0=0 src1=0 src2=0
	v_dot4_i32_iu8 v4, v8, v144, v4 neg_lo:[1,1,0]
	v_perm_b32 v8, v15, v14, 0x6050403
	s_set_vgpr_msb 1                        ;  msbs: dst=0 src0=1 src1=0 src2=0
	v_dot4_i32_iu8 v24, v9 /*v265*/, v255, v24 neg_lo:[1,1,0]
	s_set_vgpr_msb 0                        ;  msbs: dst=0 src0=0 src1=0 src2=0
	v_dot4_i32_iu8 v4, v9, v145, v4 neg_lo:[1,1,0]
	s_delay_alu instid0(VALU_DEP_2) | instskip(SKIP_1) | instid1(VALU_DEP_2)
	v_mad_i32_i24 v24, v249, v21, v24
	s_set_vgpr_msb 64                       ;  msbs: dst=1 src0=0 src1=0 src2=0
	v_dot4_i32_iu8 v20 /*v276*/, v10, v132, v4 neg_lo:[1,1,0]
	s_set_vgpr_msb 0                        ;  msbs: dst=0 src0=0 src1=0 src2=0
	v_mul_i32_i24_e32 v4, v22, v240
	s_set_vgpr_msb 1                        ;  msbs: dst=0 src0=1 src1=0 src2=0
	v_dot4_i32_iu8 v24, v5 /*v261*/, v9, v24 neg_lo:[1,1,0]
	s_set_vgpr_msb 0                        ;  msbs: dst=0 src0=0 src1=0 src2=0
	s_delay_alu instid0(VALU_DEP_2) | instskip(SKIP_1) | instid1(VALU_DEP_2)
	v_dot4_i32_iu8 v4, v5, v232, v4 neg_lo:[1,1,0]
	s_set_vgpr_msb 0x41                     ;  msbs: dst=1 src0=1 src1=0 src2=0
	v_dot4_i32_iu8 v14 /*v270*/, v6 /*v262*/, v10, v24 neg_lo:[1,1,0]
	s_set_vgpr_msb 0                        ;  msbs: dst=0 src0=0 src1=0 src2=0
	v_dot4_i32_iu8 v24, v152, v12, 0 neg_lo:[1,1,0]
	v_dot4_i32_iu8 v4, v6, v234, v4 neg_lo:[1,1,0]
	s_delay_alu instid0(VALU_DEP_2) | instskip(NEXT) | instid1(VALU_DEP_2)
	v_dot4_i32_iu8 v24, v153, v13, v24 neg_lo:[1,1,0]
	v_dot4_i32_iu8 v4, v7, v235, v4 neg_lo:[1,1,0]
	s_delay_alu instid0(VALU_DEP_2) | instskip(NEXT) | instid1(VALU_DEP_2)
	v_dot4_i32_iu8 v24, v154, v14, v24 neg_lo:[1,1,0]
	v_dot4_i32_iu8 v4, v8, v230, v4 neg_lo:[1,1,0]
	s_delay_alu instid0(VALU_DEP_2) | instskip(NEXT) | instid1(VALU_DEP_1)
	v_dot4_i32_iu8 v24, v155, v15, v24 neg_lo:[1,1,0]
	v_dot4_i32_iu8 v24, v156, v16, v24 neg_lo:[1,1,0]
	s_delay_alu instid0(VALU_DEP_1) | instskip(SKIP_1) | instid1(VALU_DEP_1)
	v_dot4_i32_iu8 v24, v157, v17, v24 neg_lo:[1,1,0]
	s_set_vgpr_msb 64                       ;  msbs: dst=1 src0=0 src1=0 src2=0
	v_dot4_i32_iu8 v16 /*v272*/, v134, v18, v24 neg_lo:[1,1,0]
	s_set_vgpr_msb 0                        ;  msbs: dst=0 src0=0 src1=0 src2=0
	v_mul_i32_i24_e32 v24, v20, v220
	s_set_vgpr_msb 0x50                     ;  msbs: dst=1 src0=0 src1=0 src2=1
	s_delay_alu instid0(VALU_DEP_2) | instskip(SKIP_1) | instid1(VALU_DEP_2)
	v_dot4_i32_iu8 v16 /*v272*/, v19, v135, v16 /*v272*/ neg_lo:[1,1,0]
	s_set_vgpr_msb 0                        ;  msbs: dst=0 src0=0 src1=0 src2=0
	v_dot4_i32_iu8 v24, v25, v221, v24 neg_lo:[1,1,0]
	s_set_vgpr_msb 0x41                     ;  msbs: dst=1 src0=1 src1=0 src2=0
	s_delay_alu instid0(VALU_DEP_2) | instskip(SKIP_1) | instid1(VALU_DEP_2)
	v_mul_lo_u32 v16 /*v272*/, v16 /*v272*/, v151
	s_set_vgpr_msb 0                        ;  msbs: dst=0 src0=0 src1=0 src2=0
	v_dot4_i32_iu8 v24, v26, v224, v24 neg_lo:[1,1,0]
	s_delay_alu instid0(VALU_DEP_1) | instskip(SKIP_1) | instid1(VALU_DEP_1)
	v_dot4_i32_iu8 v24, v27, v225, v24 neg_lo:[1,1,0]
	s_set_vgpr_msb 1                        ;  msbs: dst=0 src0=1 src1=0 src2=0
	v_dot4_i32_iu8 v24, v8 /*v264*/, v226, v24 neg_lo:[1,1,0]
	s_set_vgpr_msb 0x41                     ;  msbs: dst=1 src0=1 src1=0 src2=0
	s_delay_alu instid0(VALU_DEP_4) | instskip(SKIP_1) | instid1(VALU_DEP_2)
	v_cvt_f32_i32_e32 v16 /*v272*/, v16 /*v272*/
	s_set_vgpr_msb 1                        ;  msbs: dst=0 src0=1 src1=0 src2=0
	v_dot4_i32_iu8 v24, v9 /*v265*/, v227, v24 neg_lo:[1,1,0]
	s_set_vgpr_msb 0                        ;  msbs: dst=0 src0=0 src1=0 src2=0
	s_delay_alu instid0(VALU_DEP_1) | instskip(SKIP_1) | instid1(VALU_DEP_1)
	v_mad_i32_i24 v24, v222, v21, v24
	s_set_vgpr_msb 1                        ;  msbs: dst=0 src0=1 src1=0 src2=0
	v_dot4_i32_iu8 v24, v3 /*v259*/, v9, v24 neg_lo:[1,1,0]
	s_set_vgpr_msb 0x41                     ;  msbs: dst=1 src0=1 src1=0 src2=0
	s_delay_alu instid0(VALU_DEP_1) | instskip(SKIP_3) | instid1(VALU_DEP_2)
	v_dot4_i32_iu8 v18 /*v274*/, v4 /*v260*/, v10, v24 neg_lo:[1,1,0]
	s_set_vgpr_msb 0                        ;  msbs: dst=0 src0=0 src1=0 src2=0
	v_dot4_i32_iu8 v24, v12, v205, 0 neg_lo:[1,1,0]
	v_perm_b32 v12, v16, v15, 0x6050403
	v_dot4_i32_iu8 v24, v13, v206, v24 neg_lo:[1,1,0]
	s_delay_alu instid0(VALU_DEP_2) | instskip(NEXT) | instid1(VALU_DEP_2)
	v_dot4_i32_iu8 v4, v12, v229, v4 neg_lo:[1,1,0]
	v_dot4_i32_iu8 v24, v14, v242, v24 neg_lo:[1,1,0]
	s_delay_alu instid0(VALU_DEP_2) | instskip(NEXT) | instid1(VALU_DEP_2)
	v_mad_i32_i24 v4, v228, v23, v4
	v_dot4_i32_iu8 v24, v15, v243, v24 neg_lo:[1,1,0]
	s_delay_alu instid0(VALU_DEP_2) | instskip(NEXT) | instid1(VALU_DEP_2)
	v_dot4_i32_iu8 v4, v247, v17, v4 neg_lo:[1,1,0]
	v_dot4_i32_iu8 v24, v16, v244, v24 neg_lo:[1,1,0]
	s_set_vgpr_msb 64                       ;  msbs: dst=1 src0=0 src1=0 src2=0
	s_delay_alu instid0(VALU_DEP_2) | instskip(SKIP_3) | instid1(VALU_DEP_2)
	v_dot4_i32_iu8 v21 /*v277*/, v248, v18, v4 neg_lo:[1,1,0]
	s_set_vgpr_msb 0                        ;  msbs: dst=0 src0=0 src1=0 src2=0
	v_mul_i32_i24_e32 v4, v20, v207
	v_dot4_i32_iu8 v24, v17, v245, v24 neg_lo:[1,1,0]
	v_dot4_i32_iu8 v4, v25, v208, v4 neg_lo:[1,1,0]
	s_set_vgpr_msb 64                       ;  msbs: dst=1 src0=0 src1=0 src2=0
	s_delay_alu instid0(VALU_DEP_2) | instskip(SKIP_1) | instid1(VALU_DEP_2)
	v_dot4_i32_iu8 v19 /*v275*/, v18, v246, v24 neg_lo:[1,1,0]
	s_set_vgpr_msb 0                        ;  msbs: dst=0 src0=0 src1=0 src2=0
	v_dot4_i32_iu8 v4, v26, v211, v4 neg_lo:[1,1,0]
	s_delay_alu instid0(VALU_DEP_1) | instskip(SKIP_1) | instid1(VALU_DEP_1)
	v_dot4_i32_iu8 v4, v27, v212, v4 neg_lo:[1,1,0]
	s_set_vgpr_msb 1                        ;  msbs: dst=0 src0=1 src1=0 src2=0
	v_dot4_i32_iu8 v4, v8 /*v264*/, v213, v4 neg_lo:[1,1,0]
	s_delay_alu instid0(VALU_DEP_1) | instskip(SKIP_1) | instid1(VALU_DEP_1)
	v_dot4_i32_iu8 v4, v9 /*v265*/, v215, v4 neg_lo:[1,1,0]
	s_set_vgpr_msb 0                        ;  msbs: dst=0 src0=0 src1=0 src2=0
	v_mad_i32_i24 v4, v209, v21, v4
	s_delay_alu instid0(VALU_DEP_1) | instskip(NEXT) | instid1(VALU_DEP_1)
	v_dot4_i32_iu8 v4, v233, v9, v4 neg_lo:[1,1,0]
	v_dot4_i32_iu8 v10, v236, v10, v4 neg_lo:[1,1,0]
	v_mul_i32_i24_e32 v4, v22, v217
	s_delay_alu instid0(VALU_DEP_1) | instskip(NEXT) | instid1(VALU_DEP_1)
	v_dot4_i32_iu8 v4, v5, v218, v4 neg_lo:[1,1,0]
	v_dot4_i32_iu8 v4, v6, v0, v4 neg_lo:[1,1,0]
	s_delay_alu instid0(VALU_DEP_1) | instskip(NEXT) | instid1(VALU_DEP_1)
	v_dot4_i32_iu8 v4, v7, v1, v4 neg_lo:[1,1,0]
	v_dot4_i32_iu8 v4, v8, v2, v4 neg_lo:[1,1,0]
	s_delay_alu instid0(VALU_DEP_1) | instskip(NEXT) | instid1(VALU_DEP_1)
	v_dot4_i32_iu8 v4, v12, v3, v4 neg_lo:[1,1,0]
	v_mad_i32_i24 v4, v216, v23, v4
	s_delay_alu instid0(VALU_DEP_1) | instskip(NEXT) | instid1(VALU_DEP_1)
	v_dot4_i32_iu8 v4, v237, v17, v4 neg_lo:[1,1,0]
	v_dot4_i32_iu8 v18, v238, v18, v4 neg_lo:[1,1,0]
	v_or_b32_e32 v4, s7, v186
	s_delay_alu instid0(VALU_DEP_1)
	v_dual_lshlrev_b32 v8, 2, v4 :: v_dual_lshrrev_b32 v16, 1, v4
	ds_load_b128 v[4:7], v8 offset:33280
	ds_load_b128 v[12:15], v8 offset:33296
	;; [unrolled: 1-line block ×4, first 2 shown]
	ds_load_b64 v[16:17], v16 offset:43584
	s_wait_dscnt 0x4
	s_set_vgpr_msb 64                       ;  msbs: dst=1 src0=0 src1=0 src2=0
	v_bfe_i32 v22 /*v278*/, v4, 0, 8
	v_perm_b32 v26 /*v282*/, v4, v4, 0xc0c0201
	v_perm_b32 v27 /*v283*/, v5, v4, 0x6050403
	;; [unrolled: 1-line block ×4, first 2 shown]
	s_set_vgpr_msb 1                        ;  msbs: dst=0 src0=1 src1=0 src2=0
	v_mul_i32_i24_e32 v8, v22 /*v278*/, v250
	s_wait_dscnt 0x3
	s_set_vgpr_msb 64                       ;  msbs: dst=1 src0=0 src1=0 src2=0
	v_perm_b32 v30 /*v286*/, v12, v7, 0x6050403
	v_ashrrev_i32_e32 v23 /*v279*/, 24, v12
	s_wait_dscnt 0x0
	v_cvt_f32_f16_e64 v9 /*v265*/, v16
	v_cvt_f32_f16_e64 v13 /*v269*/, v17
	s_set_vgpr_msb 1                        ;  msbs: dst=0 src0=1 src1=0 src2=0
	v_dot4_i32_iu8 v8, v26 /*v282*/, v251, v8 neg_lo:[1,1,0]
	s_set_vgpr_msb 0                        ;  msbs: dst=0 src0=0 src1=0 src2=0
	v_dot4_i32_iu8 v4, v4, v148, 0 neg_lo:[1,1,0]
	s_set_vgpr_msb 64                       ;  msbs: dst=1 src0=0 src1=0 src2=0
	v_bfe_i32 v24 /*v280*/, v20, 0, 8
	v_ashrrev_i32_e32 v25 /*v281*/, 24, v24
	s_set_vgpr_msb 1                        ;  msbs: dst=0 src0=1 src1=0 src2=0
	v_dot4_i32_iu8 v8, v27 /*v283*/, v252, v8 neg_lo:[1,1,0]
	s_set_vgpr_msb 0                        ;  msbs: dst=0 src0=0 src1=0 src2=0
	v_dot4_i32_iu8 v4, v5, v149, v4 neg_lo:[1,1,0]
	s_set_vgpr_msb 1                        ;  msbs: dst=0 src0=1 src1=0 src2=0
	v_mul_i32_i24_e32 v5, v24 /*v280*/, v240
	v_dot4_i32_iu8 v8, v28 /*v284*/, v253, v8 neg_lo:[1,1,0]
	s_set_vgpr_msb 0                        ;  msbs: dst=0 src0=0 src1=0 src2=0
	v_dot4_i32_iu8 v4, v6, v146, v4 neg_lo:[1,1,0]
	s_set_vgpr_msb 1                        ;  msbs: dst=0 src0=1 src1=0 src2=0
	s_delay_alu instid0(VALU_DEP_2) | instskip(SKIP_1) | instid1(VALU_DEP_2)
	v_dot4_i32_iu8 v8, v29 /*v285*/, v254, v8 neg_lo:[1,1,0]
	s_set_vgpr_msb 0                        ;  msbs: dst=0 src0=0 src1=0 src2=0
	v_dot4_i32_iu8 v4, v7, v147, v4 neg_lo:[1,1,0]
	s_set_vgpr_msb 1                        ;  msbs: dst=0 src0=1 src1=0 src2=0
	s_delay_alu instid0(VALU_DEP_2) | instskip(SKIP_1) | instid1(VALU_DEP_2)
	v_dot4_i32_iu8 v8, v30 /*v286*/, v255, v8 neg_lo:[1,1,0]
	s_set_vgpr_msb 0                        ;  msbs: dst=0 src0=0 src1=0 src2=0
	v_dot4_i32_iu8 v4, v12, v144, v4 neg_lo:[1,1,0]
	v_perm_b32 v12, v20, v20, 0xc0c0201
	s_set_vgpr_msb 4                        ;  msbs: dst=0 src0=0 src1=1 src2=0
	v_mad_i32_i24 v8, v249, v23 /*v279*/, v8
	s_set_vgpr_msb 0                        ;  msbs: dst=0 src0=0 src1=0 src2=0
	v_dot4_i32_iu8 v4, v13, v145, v4 neg_lo:[1,1,0]
	v_dot4_i32_iu8 v5, v12, v232, v5 neg_lo:[1,1,0]
	s_set_vgpr_msb 1                        ;  msbs: dst=0 src0=1 src1=0 src2=0
	v_dot4_i32_iu8 v8, v5 /*v261*/, v13, v8 neg_lo:[1,1,0]
	s_set_vgpr_msb 0                        ;  msbs: dst=0 src0=0 src1=0 src2=0
	v_dot4_i32_iu8 v4, v14, v132, v4 neg_lo:[1,1,0]
	s_set_vgpr_msb 0x41                     ;  msbs: dst=1 src0=1 src1=0 src2=0
	s_delay_alu instid0(VALU_DEP_2) | instskip(SKIP_3) | instid1(VALU_DEP_2)
	v_dot4_i32_iu8 v15 /*v271*/, v6 /*v262*/, v14, v8 neg_lo:[1,1,0]
	s_set_vgpr_msb 0                        ;  msbs: dst=0 src0=0 src1=0 src2=0
	v_dot4_i32_iu8 v8, v152, v20, 0 neg_lo:[1,1,0]
	v_dot4_i32_iu8 v4, v15, v133, v4 neg_lo:[1,1,0]
	;; [unrolled: 1-line block ×3, first 2 shown]
	s_delay_alu instid0(VALU_DEP_2) | instskip(NEXT) | instid1(VALU_DEP_2)
	v_mul_lo_u32 v4, v4, v223
	v_dot4_i32_iu8 v8, v154, v22, v8 neg_lo:[1,1,0]
	s_delay_alu instid0(VALU_DEP_1) | instskip(NEXT) | instid1(VALU_DEP_1)
	v_dot4_i32_iu8 v8, v155, v23, v8 neg_lo:[1,1,0]
	v_dot4_i32_iu8 v8, v156, v24, v8 neg_lo:[1,1,0]
	s_delay_alu instid0(VALU_DEP_1) | instskip(SKIP_1) | instid1(VALU_DEP_1)
	v_dot4_i32_iu8 v8, v157, v25, v8 neg_lo:[1,1,0]
	s_set_vgpr_msb 64                       ;  msbs: dst=1 src0=0 src1=0 src2=0
	v_dot4_i32_iu8 v17 /*v273*/, v134, v26, v8 neg_lo:[1,1,0]
	s_set_vgpr_msb 1                        ;  msbs: dst=0 src0=1 src1=0 src2=0
	ds_load_b64 v[8:9], v7 /*v263*/ offset:43584
	s_wait_dscnt 0x0
	s_set_vgpr_msb 64                       ;  msbs: dst=1 src0=0 src1=0 src2=0
	v_lshrrev_b32_e32 v7 /*v263*/, 16, v8
	v_cvt_f32_f16_e64 v8 /*v264*/, v8
	s_set_vgpr_msb 0                        ;  msbs: dst=0 src0=0 src1=0 src2=0
	v_lshrrev_b32_e32 v8, 16, v16
	s_set_vgpr_msb 64                       ;  msbs: dst=1 src0=0 src1=0 src2=0
	v_cvt_f32_f16_e64 v12 /*v268*/, v9
	s_set_vgpr_msb 20                       ;  msbs: dst=0 src0=0 src1=1 src2=1
	v_dot4_i32_iu8 v16, v15, v0 /*v256*/, v15 /*v271*/ neg_lo:[1,1,0]
	s_set_vgpr_msb 0x41                     ;  msbs: dst=1 src0=1 src1=0 src2=0
	v_cvt_f32_f16_e64 v10 /*v266*/, v7 /*v263*/
	s_set_vgpr_msb 64                       ;  msbs: dst=1 src0=0 src1=0 src2=0
	v_cvt_f32_f16_e64 v11 /*v267*/, v8
	s_set_vgpr_msb 0                        ;  msbs: dst=0 src0=0 src1=0 src2=0
	v_lshrrev_b32_e32 v8, 16, v9
	v_lshrrev_b32_e32 v9, 16, v17
	s_set_vgpr_msb 20                       ;  msbs: dst=0 src0=0 src1=1 src2=1
	v_dot4_i32_iu8 v17, v11, v0 /*v256*/, v14 /*v270*/ neg_lo:[1,1,0]
	s_set_vgpr_msb 0                        ;  msbs: dst=0 src0=0 src1=0 src2=0
	v_mul_lo_u32 v16, v16, v203
	s_set_vgpr_msb 0x44                     ;  msbs: dst=1 src0=0 src1=1 src2=0
	v_pk_fma_f32 v[14:15] /*v[270:271]*/, v[136:137], v[10:11] /*v[266:267]*/, 0 op_sel_hi:[0,1,0]
	s_set_vgpr_msb 0                        ;  msbs: dst=0 src0=0 src1=0 src2=0
	v_cvt_f32_f16_e32 v8, v8
	v_cvt_f32_f16_e32 v9, v9
	s_set_vgpr_msb 0x50                     ;  msbs: dst=1 src0=0 src1=0 src2=1
	v_mul_lo_u32 v7 /*v263*/, v17, v203
	s_delay_alu instid0(VALU_DEP_2) | instskip(SKIP_3) | instid1(VALU_DEP_2)
	v_pk_fma_f32 v[14:15] /*v[270:271]*/, v[130:131], v[8:9], v[14:15] /*v[270:271]*/ op_sel_hi:[0,1,1]
	s_set_vgpr_msb 0                        ;  msbs: dst=0 src0=0 src1=0 src2=0
	v_cvt_f32_i32_e32 v17, v16
	s_set_vgpr_msb 0x41                     ;  msbs: dst=1 src0=1 src1=0 src2=0
	v_pk_mul_f32 v[14:15] /*v[270:271]*/, v[14:15] /*v[270:271]*/, v[118:119]
	s_set_vgpr_msb 1                        ;  msbs: dst=0 src0=1 src1=0 src2=0
	s_delay_alu instid0(VALU_DEP_4) | instskip(SKIP_3) | instid1(VALU_DEP_2)
	v_cvt_f32_i32_e32 v16, v7 /*v263*/
	s_set_vgpr_msb 0x50                     ;  msbs: dst=1 src0=0 src1=0 src2=1
	v_dot4_i32_iu8 v7 /*v263*/, v27, v135, v17 /*v273*/ neg_lo:[1,1,0]
	s_set_vgpr_msb 1                        ;  msbs: dst=0 src0=1 src1=0 src2=0
	v_pk_fma_f32 v[16:17], v[8:9] /*v[264:265]*/, v[16:17], 0 op_sel_hi:[1,1,0]
	s_set_vgpr_msb 0x41                     ;  msbs: dst=1 src0=1 src1=0 src2=0
	s_delay_alu instid0(VALU_DEP_2) | instskip(NEXT) | instid1(VALU_DEP_1)
	v_mul_lo_u32 v7 /*v263*/, v7 /*v263*/, v151
	v_cvt_f32_i32_e32 v17 /*v273*/, v7 /*v263*/
	s_set_vgpr_msb 5                        ;  msbs: dst=0 src0=1 src1=1 src2=0
	s_delay_alu instid0(VALU_DEP_1) | instskip(SKIP_3) | instid1(VALU_DEP_2)
	v_pk_fma_f32 v[16:17], v[12:13] /*v[268:269]*/, v[16:17] /*v[272:273]*/, v[16:17]
	s_set_vgpr_msb 0x54                     ;  msbs: dst=1 src0=0 src1=1 src2=1
	v_dot4_i32_iu8 v16 /*v272*/, v19, v2 /*v258*/, v19 /*v275*/ neg_lo:[1,1,0]
	s_set_vgpr_msb 16                       ;  msbs: dst=0 src0=0 src1=0 src2=1
	v_pk_fma_f32 v[16:17], v[16:17], v[110:111], v[14:15] /*v[270:271]*/ neg_lo:[0,0,1] neg_hi:[0,0,1]
	s_set_vgpr_msb 0x41                     ;  msbs: dst=1 src0=1 src1=0 src2=0
	s_delay_alu instid0(VALU_DEP_2) | instskip(SKIP_1) | instid1(VALU_DEP_2)
	v_mul_lo_u32 v16 /*v272*/, v16 /*v272*/, v241
	s_set_vgpr_msb 0                        ;  msbs: dst=0 src0=0 src1=0 src2=0
	v_pk_add_f32 v[46:47], v[46:47], v[16:17]
	s_set_vgpr_msb 1                        ;  msbs: dst=0 src0=1 src1=0 src2=0
	v_mul_i32_i24_e32 v16, v22 /*v278*/, v220
	s_set_vgpr_msb 0                        ;  msbs: dst=0 src0=0 src1=0 src2=0
	v_dot4_i32_iu8 v17, v20, v205, 0 neg_lo:[1,1,0]
	v_perm_b32 v20, v21, v20, 0x6050403
	s_set_vgpr_msb 1                        ;  msbs: dst=0 src0=1 src1=0 src2=0
	v_dot4_i32_iu8 v16, v26 /*v282*/, v221, v16 neg_lo:[1,1,0]
	s_set_vgpr_msb 0                        ;  msbs: dst=0 src0=0 src1=0 src2=0
	v_dot4_i32_iu8 v17, v21, v206, v17 neg_lo:[1,1,0]
	v_dot4_i32_iu8 v5, v20, v234, v5 neg_lo:[1,1,0]
	v_perm_b32 v21, v22, v21, 0x6050403
	s_set_vgpr_msb 0x41                     ;  msbs: dst=1 src0=1 src1=0 src2=0
	v_cvt_f32_i32_e32 v16 /*v272*/, v16 /*v272*/
	s_set_vgpr_msb 1                        ;  msbs: dst=0 src0=1 src1=0 src2=0
	v_dot4_i32_iu8 v16, v27 /*v283*/, v224, v16 neg_lo:[1,1,0]
	s_set_vgpr_msb 0                        ;  msbs: dst=0 src0=0 src1=0 src2=0
	v_dot4_i32_iu8 v17, v22, v242, v17 neg_lo:[1,1,0]
	v_perm_b32 v22, v23, v22, 0x6050403
	v_dot4_i32_iu8 v5, v21, v235, v5 neg_lo:[1,1,0]
	s_set_vgpr_msb 1                        ;  msbs: dst=0 src0=1 src1=0 src2=0
	v_dot4_i32_iu8 v16, v28 /*v284*/, v225, v16 neg_lo:[1,1,0]
	s_set_vgpr_msb 0                        ;  msbs: dst=0 src0=0 src1=0 src2=0
	v_dot4_i32_iu8 v17, v23, v243, v17 neg_lo:[1,1,0]
	v_perm_b32 v23, v24, v23, 0x6050403
	v_dot4_i32_iu8 v5, v22, v230, v5 neg_lo:[1,1,0]
	s_set_vgpr_msb 1                        ;  msbs: dst=0 src0=1 src1=0 src2=0
	v_dot4_i32_iu8 v16, v29 /*v285*/, v226, v16 neg_lo:[1,1,0]
	s_set_vgpr_msb 0                        ;  msbs: dst=0 src0=0 src1=0 src2=0
	v_dot4_i32_iu8 v17, v24, v244, v17 neg_lo:[1,1,0]
	v_dot4_i32_iu8 v5, v23, v229, v5 neg_lo:[1,1,0]
	s_set_vgpr_msb 1                        ;  msbs: dst=0 src0=1 src1=0 src2=0
	v_dot4_i32_iu8 v16, v30 /*v286*/, v227, v16 neg_lo:[1,1,0]
	s_set_vgpr_msb 0                        ;  msbs: dst=0 src0=0 src1=0 src2=0
	v_dot4_i32_iu8 v17, v25, v245, v17 neg_lo:[1,1,0]
	s_set_vgpr_msb 4                        ;  msbs: dst=0 src0=0 src1=1 src2=0
	v_mad_i32_i24 v5, v228, v25 /*v281*/, v5
	v_mad_i32_i24 v16, v222, v23 /*v279*/, v16
	s_set_vgpr_msb 64                       ;  msbs: dst=1 src0=0 src1=0 src2=0
	v_dot4_i32_iu8 v7 /*v263*/, v26, v246, v17 neg_lo:[1,1,0]
	s_set_vgpr_msb 20                       ;  msbs: dst=0 src0=0 src1=1 src2=1
	v_dot4_i32_iu8 v17, v11, v1 /*v257*/, v18 /*v274*/ neg_lo:[1,1,0]
	s_set_vgpr_msb 0                        ;  msbs: dst=0 src0=0 src1=0 src2=0
	v_dot4_i32_iu8 v5, v247, v25, v5 neg_lo:[1,1,0]
	s_set_vgpr_msb 1                        ;  msbs: dst=0 src0=1 src1=0 src2=0
	v_dot4_i32_iu8 v16, v3 /*v259*/, v13, v16 neg_lo:[1,1,0]
	s_set_vgpr_msb 0x54                     ;  msbs: dst=1 src0=0 src1=1 src2=1
	v_dot4_i32_iu8 v7 /*v263*/, v27, v2 /*v258*/, v7 /*v263*/ neg_lo:[1,1,0]
	s_set_vgpr_msb 64                       ;  msbs: dst=1 src0=0 src1=0 src2=0
	v_mul_lo_u32 v14 /*v270*/, v17, v204
	s_set_vgpr_msb 1                        ;  msbs: dst=0 src0=1 src1=0 src2=0
	v_dot4_i32_iu8 v16, v4 /*v260*/, v14, v16 neg_lo:[1,1,0]
	s_set_vgpr_msb 0x41                     ;  msbs: dst=1 src0=1 src1=0 src2=0
	v_mul_lo_u32 v7 /*v263*/, v7 /*v263*/, v241
	s_set_vgpr_msb 4                        ;  msbs: dst=0 src0=0 src1=1 src2=0
	s_delay_alu instid0(VALU_DEP_2) | instskip(SKIP_1) | instid1(VALU_DEP_1)
	v_dot4_i32_iu8 v16, v15, v1 /*v257*/, v16 neg_lo:[1,1,0]
	s_set_vgpr_msb 0                        ;  msbs: dst=0 src0=0 src1=0 src2=0
	v_mul_lo_u32 v16, v16, v204
	s_set_vgpr_msb 0x41                     ;  msbs: dst=1 src0=1 src1=0 src2=0
	s_delay_alu instid0(VALU_DEP_3) | instskip(SKIP_1) | instid1(VALU_DEP_2)
	v_cvt_f32_i32_e32 v17 /*v273*/, v7 /*v263*/
	s_set_vgpr_msb 0                        ;  msbs: dst=0 src0=0 src1=0 src2=0
	v_cvt_f32_i32_e32 v17, v16
	s_set_vgpr_msb 1                        ;  msbs: dst=0 src0=1 src1=0 src2=0
	v_cvt_f32_i32_e32 v16, v14 /*v270*/
	s_set_vgpr_msb 0x44                     ;  msbs: dst=1 src0=0 src1=1 src2=0
	v_pk_fma_f32 v[14:15] /*v[270:271]*/, v[140:141], v[10:11] /*v[266:267]*/, 0 op_sel_hi:[0,1,0]
	s_set_vgpr_msb 1                        ;  msbs: dst=0 src0=1 src1=0 src2=0
	s_delay_alu instid0(VALU_DEP_2) | instskip(SKIP_1) | instid1(VALU_DEP_2)
	v_pk_fma_f32 v[16:17], v[8:9] /*v[264:265]*/, v[16:17], 0 op_sel_hi:[1,1,0]
	s_set_vgpr_msb 0x50                     ;  msbs: dst=1 src0=0 src1=0 src2=1
	v_pk_fma_f32 v[14:15] /*v[270:271]*/, v[150:151], v[8:9], v[14:15] /*v[270:271]*/ op_sel_hi:[0,1,1]
	s_set_vgpr_msb 5                        ;  msbs: dst=0 src0=1 src1=1 src2=0
	s_delay_alu instid0(VALU_DEP_2) | instskip(SKIP_1) | instid1(VALU_DEP_2)
	v_pk_fma_f32 v[16:17], v[12:13] /*v[268:269]*/, v[16:17] /*v[272:273]*/, v[16:17]
	s_set_vgpr_msb 0x41                     ;  msbs: dst=1 src0=1 src1=0 src2=0
	v_pk_mul_f32 v[14:15] /*v[270:271]*/, v[14:15] /*v[270:271]*/, v[120:121]
	s_set_vgpr_msb 16                       ;  msbs: dst=0 src0=0 src1=0 src2=1
	s_delay_alu instid0(VALU_DEP_1) | instskip(NEXT) | instid1(VALU_DEP_1)
	v_pk_fma_f32 v[16:17], v[16:17], v[112:113], v[14:15] /*v[270:271]*/ neg_lo:[0,0,1] neg_hi:[0,0,1]
	v_pk_add_f32 v[44:45], v[44:45], v[16:17]
	s_set_vgpr_msb 0                        ;  msbs: dst=0 src0=0 src1=0 src2=0
	v_dot4_i32_iu8 v16, v248, v26, v5 neg_lo:[1,1,0]
	s_set_vgpr_msb 16                       ;  msbs: dst=0 src0=0 src1=0 src2=1
	v_dot4_i32_iu8 v5, v11, v133, v20 /*v276*/ neg_lo:[1,1,0]
	v_dot4_i32_iu8 v17, v19, v231, v21 /*v277*/ neg_lo:[1,1,0]
	s_set_vgpr_msb 0                        ;  msbs: dst=0 src0=0 src1=0 src2=0
	v_dot4_i32_iu8 v16, v27, v231, v16 neg_lo:[1,1,0]
	s_delay_alu instid0(VALU_DEP_3) | instskip(NEXT) | instid1(VALU_DEP_3)
	v_mul_lo_u32 v6, v5, v223
	v_mul_lo_u32 v24, v17, v210
	v_cvt_f32_i32_e32 v5, v4
	s_delay_alu instid0(VALU_DEP_4) | instskip(NEXT) | instid1(VALU_DEP_4)
	v_mul_lo_u32 v16, v16, v210
	v_cvt_f32_i32_e32 v4, v6
	s_set_vgpr_msb 4                        ;  msbs: dst=0 src0=0 src1=1 src2=0
	v_pk_fma_f32 v[6:7], v[138:139], v[10:11] /*v[266:267]*/, 0 op_sel_hi:[0,1,0]
	s_delay_alu instid0(VALU_DEP_3)
	v_cvt_f32_i32_e32 v17, v16
	s_set_vgpr_msb 1                        ;  msbs: dst=0 src0=1 src1=0 src2=0
	v_pk_fma_f32 v[4:5], v[8:9] /*v[264:265]*/, v[4:5], 0 op_sel_hi:[1,1,0]
	s_set_vgpr_msb 0                        ;  msbs: dst=0 src0=0 src1=0 src2=0
	v_cvt_f32_i32_e32 v16, v24
	v_pk_fma_f32 v[6:7], v[142:143], v[8:9], v[6:7] op_sel_hi:[0,1,1]
	s_set_vgpr_msb 1                        ;  msbs: dst=0 src0=1 src1=0 src2=0
	s_delay_alu instid0(VALU_DEP_2) | instskip(SKIP_1) | instid1(VALU_DEP_2)
	v_pk_fma_f32 v[4:5], v[12:13] /*v[268:269]*/, v[16:17], v[4:5]
	s_set_vgpr_msb 0                        ;  msbs: dst=0 src0=0 src1=0 src2=0
	v_pk_mul_f32 v[6:7], v[6:7], v[122:123]
	s_delay_alu instid0(VALU_DEP_1) | instskip(NEXT) | instid1(VALU_DEP_1)
	v_pk_fma_f32 v[4:5], v[4:5], v[114:115], v[6:7] neg_lo:[0,0,1] neg_hi:[0,0,1]
	v_pk_add_f32 v[42:43], v[42:43], v[4:5]
	s_set_vgpr_msb 1                        ;  msbs: dst=0 src0=1 src1=0 src2=0
	v_mul_i32_i24_e32 v4, v22 /*v278*/, v207
	v_mul_i32_i24_e32 v5, v24 /*v280*/, v217
	s_delay_alu instid0(VALU_DEP_2) | instskip(SKIP_1) | instid1(VALU_DEP_2)
	v_dot4_i32_iu8 v4, v26 /*v282*/, v208, v4 neg_lo:[1,1,0]
	s_set_vgpr_msb 0                        ;  msbs: dst=0 src0=0 src1=0 src2=0
	v_dot4_i32_iu8 v5, v12, v218, v5 neg_lo:[1,1,0]
	s_set_vgpr_msb 1                        ;  msbs: dst=0 src0=1 src1=0 src2=0
	s_delay_alu instid0(VALU_DEP_2) | instskip(SKIP_1) | instid1(VALU_DEP_2)
	v_dot4_i32_iu8 v4, v27 /*v283*/, v211, v4 neg_lo:[1,1,0]
	s_set_vgpr_msb 0                        ;  msbs: dst=0 src0=0 src1=0 src2=0
	v_dot4_i32_iu8 v5, v20, v0, v5 neg_lo:[1,1,0]
	s_set_vgpr_msb 1                        ;  msbs: dst=0 src0=1 src1=0 src2=0
	;; [unrolled: 5-line block ×5, first 2 shown]
	s_delay_alu instid0(VALU_DEP_2) | instskip(NEXT) | instid1(VALU_DEP_2)
	v_mad_i32_i24 v4, v209, v23 /*v279*/, v4
	v_mad_i32_i24 v5, v216, v25 /*v281*/, v5
	s_set_vgpr_msb 0                        ;  msbs: dst=0 src0=0 src1=0 src2=0
	s_delay_alu instid0(VALU_DEP_2) | instskip(NEXT) | instid1(VALU_DEP_2)
	v_dot4_i32_iu8 v4, v233, v13, v4 neg_lo:[1,1,0]
	v_dot4_i32_iu8 v5, v237, v25, v5 neg_lo:[1,1,0]
	s_delay_alu instid0(VALU_DEP_2) | instskip(NEXT) | instid1(VALU_DEP_2)
	v_dot4_i32_iu8 v4, v236, v14, v4 neg_lo:[1,1,0]
	v_dot4_i32_iu8 v12, v238, v26, v5 neg_lo:[1,1,0]
	;; [unrolled: 1-line block ×4, first 2 shown]
	s_delay_alu instid0(VALU_DEP_4) | instskip(NEXT) | instid1(VALU_DEP_4)
	v_dot4_i32_iu8 v4, v15, v239, v4 neg_lo:[1,1,0]
	v_dot4_i32_iu8 v10, v27, v219, v12 neg_lo:[1,1,0]
	s_delay_alu instid0(VALU_DEP_4) | instskip(NEXT) | instid1(VALU_DEP_4)
	v_mul_lo_u32 v6, v5, v214
	v_mul_lo_u32 v12, v11, v141
	s_delay_alu instid0(VALU_DEP_4) | instskip(NEXT) | instid1(VALU_DEP_4)
	v_mul_lo_u32 v4, v4, v214
	v_mul_lo_u32 v10, v10, v141
	s_delay_alu instid0(VALU_DEP_2) | instskip(SKIP_3) | instid1(VALU_DEP_4)
	v_cvt_f32_i32_e32 v5, v4
	v_cvt_f32_i32_e32 v4, v6
	s_set_vgpr_msb 4                        ;  msbs: dst=0 src0=0 src1=1 src2=0
	v_pk_fma_f32 v[6:7], v[128:129], v[10:11] /*v[266:267]*/, 0 op_sel_hi:[0,1,0]
	v_cvt_f32_i32_e32 v11, v10
	v_cvt_f32_i32_e32 v10, v12
	s_set_vgpr_msb 1                        ;  msbs: dst=0 src0=1 src1=0 src2=0
	v_pk_fma_f32 v[4:5], v[8:9] /*v[264:265]*/, v[4:5], 0 op_sel_hi:[1,1,0]
	s_set_vgpr_msb 0                        ;  msbs: dst=0 src0=0 src1=0 src2=0
	v_pk_fma_f32 v[6:7], v[126:127], v[8:9], v[6:7] op_sel_hi:[0,1,1]
	s_set_vgpr_msb 1                        ;  msbs: dst=0 src0=1 src1=0 src2=0
	s_delay_alu instid0(VALU_DEP_2) | instskip(SKIP_1) | instid1(VALU_DEP_2)
	v_pk_fma_f32 v[4:5], v[12:13] /*v[268:269]*/, v[10:11], v[4:5]
	s_set_vgpr_msb 0                        ;  msbs: dst=0 src0=0 src1=0 src2=0
	v_pk_mul_f32 v[6:7], v[6:7], v[124:125]
	s_delay_alu instid0(VALU_DEP_1) | instskip(NEXT) | instid1(VALU_DEP_1)
	v_pk_fma_f32 v[4:5], v[4:5], v[116:117], v[6:7] neg_lo:[0,0,1] neg_hi:[0,0,1]
	v_pk_add_f32 v[40:41], v[40:41], v[4:5]
	v_or_b32_e32 v4, s7, v187
	s_delay_alu instid0(VALU_DEP_1)
	v_lshlrev_b32_e32 v5, 2, v4
	s_set_vgpr_msb 64                       ;  msbs: dst=1 src0=0 src1=0 src2=0
	v_lshrrev_b32_e32 v9 /*v265*/, 1, v4
	s_set_vgpr_msb 0                        ;  msbs: dst=0 src0=0 src1=0 src2=0
	ds_load_b128 v[12:15], v5 offset:33280
	ds_load_b128 v[8:11], v5 offset:33296
	;; [unrolled: 1-line block ×4, first 2 shown]
	s_wait_dscnt 0x3
	v_bfe_i32 v20, v12, 0, 8
	v_perm_b32 v25, v12, v12, 0xc0c0201
	v_perm_b32 v26, v13, v12, 0x6050403
	;; [unrolled: 1-line block ×3, first 2 shown]
	s_set_vgpr_msb 64                       ;  msbs: dst=1 src0=0 src1=0 src2=0
	v_perm_b32 v10 /*v266*/, v15, v14, 0x6050403
	s_set_vgpr_msb 0                        ;  msbs: dst=0 src0=0 src1=0 src2=0
	v_mul_i32_i24_e32 v24, v20, v250
	s_wait_dscnt 0x2
	s_set_vgpr_msb 64                       ;  msbs: dst=1 src0=0 src1=0 src2=0
	v_perm_b32 v11 /*v267*/, v8, v15, 0x6050403
	s_set_vgpr_msb 0                        ;  msbs: dst=0 src0=0 src1=0 src2=0
	v_ashrrev_i32_e32 v21, 24, v8
	v_dot4_i32_iu8 v12, v12, v148, 0 neg_lo:[1,1,0]
	s_wait_dscnt 0x1
	v_bfe_i32 v22, v16, 0, 8
	v_dot4_i32_iu8 v24, v25, v251, v24 neg_lo:[1,1,0]
	s_wait_dscnt 0x0
	v_ashrrev_i32_e32 v23, 24, v4
	v_dot4_i32_iu8 v12, v13, v149, v12 neg_lo:[1,1,0]
	v_perm_b32 v13, v17, v16, 0x6050403
	v_dot4_i32_iu8 v24, v26, v252, v24 neg_lo:[1,1,0]
	s_delay_alu instid0(VALU_DEP_3) | instskip(SKIP_1) | instid1(VALU_DEP_3)
	v_dot4_i32_iu8 v12, v14, v146, v12 neg_lo:[1,1,0]
	v_perm_b32 v14, v18, v17, 0x6050403
	v_dot4_i32_iu8 v24, v27, v253, v24 neg_lo:[1,1,0]
	s_delay_alu instid0(VALU_DEP_3) | instskip(SKIP_2) | instid1(VALU_DEP_3)
	v_dot4_i32_iu8 v12, v15, v147, v12 neg_lo:[1,1,0]
	v_perm_b32 v15, v19, v18, 0x6050403
	s_set_vgpr_msb 1                        ;  msbs: dst=0 src0=1 src1=0 src2=0
	v_dot4_i32_iu8 v24, v10 /*v266*/, v254, v24 neg_lo:[1,1,0]
	s_set_vgpr_msb 0                        ;  msbs: dst=0 src0=0 src1=0 src2=0
	v_dot4_i32_iu8 v8, v8, v144, v12 neg_lo:[1,1,0]
	v_perm_b32 v12, v16, v16, 0xc0c0201
	s_set_vgpr_msb 1                        ;  msbs: dst=0 src0=1 src1=0 src2=0
	v_dot4_i32_iu8 v24, v11 /*v267*/, v255, v24 neg_lo:[1,1,0]
	s_set_vgpr_msb 0                        ;  msbs: dst=0 src0=0 src1=0 src2=0
	v_dot4_i32_iu8 v8, v9, v145, v8 neg_lo:[1,1,0]
	s_delay_alu instid0(VALU_DEP_2) | instskip(SKIP_1) | instid1(VALU_DEP_2)
	v_mad_i32_i24 v24, v249, v21, v24
	s_set_vgpr_msb 64                       ;  msbs: dst=1 src0=0 src1=0 src2=0
	v_dot4_i32_iu8 v8 /*v264*/, v10, v132, v8 neg_lo:[1,1,0]
	s_set_vgpr_msb 0                        ;  msbs: dst=0 src0=0 src1=0 src2=0
	v_mul_i32_i24_e32 v8, v22, v240
	s_set_vgpr_msb 1                        ;  msbs: dst=0 src0=1 src1=0 src2=0
	v_dot4_i32_iu8 v24, v5 /*v261*/, v9, v24 neg_lo:[1,1,0]
	s_set_vgpr_msb 0                        ;  msbs: dst=0 src0=0 src1=0 src2=0
	s_delay_alu instid0(VALU_DEP_2) | instskip(SKIP_1) | instid1(VALU_DEP_2)
	v_dot4_i32_iu8 v8, v12, v232, v8 neg_lo:[1,1,0]
	s_set_vgpr_msb 0x41                     ;  msbs: dst=1 src0=1 src1=0 src2=0
	v_dot4_i32_iu8 v12 /*v268*/, v6 /*v262*/, v10, v24 neg_lo:[1,1,0]
	s_set_vgpr_msb 0                        ;  msbs: dst=0 src0=0 src1=0 src2=0
	v_dot4_i32_iu8 v24, v152, v16, 0 neg_lo:[1,1,0]
	v_dot4_i32_iu8 v8, v13, v234, v8 neg_lo:[1,1,0]
	s_delay_alu instid0(VALU_DEP_2) | instskip(NEXT) | instid1(VALU_DEP_2)
	v_dot4_i32_iu8 v24, v153, v17, v24 neg_lo:[1,1,0]
	v_dot4_i32_iu8 v8, v14, v235, v8 neg_lo:[1,1,0]
	s_delay_alu instid0(VALU_DEP_2) | instskip(NEXT) | instid1(VALU_DEP_2)
	v_dot4_i32_iu8 v24, v154, v18, v24 neg_lo:[1,1,0]
	v_dot4_i32_iu8 v8, v15, v230, v8 neg_lo:[1,1,0]
	s_delay_alu instid0(VALU_DEP_2) | instskip(NEXT) | instid1(VALU_DEP_1)
	v_dot4_i32_iu8 v24, v155, v19, v24 neg_lo:[1,1,0]
	v_dot4_i32_iu8 v24, v156, v4, v24 neg_lo:[1,1,0]
	s_delay_alu instid0(VALU_DEP_1) | instskip(SKIP_1) | instid1(VALU_DEP_1)
	v_dot4_i32_iu8 v24, v157, v5, v24 neg_lo:[1,1,0]
	s_set_vgpr_msb 64                       ;  msbs: dst=1 src0=0 src1=0 src2=0
	v_dot4_i32_iu8 v13 /*v269*/, v134, v6, v24 neg_lo:[1,1,0]
	s_set_vgpr_msb 0                        ;  msbs: dst=0 src0=0 src1=0 src2=0
	v_mul_i32_i24_e32 v24, v20, v220
	s_delay_alu instid0(VALU_DEP_1) | instskip(NEXT) | instid1(VALU_DEP_1)
	v_dot4_i32_iu8 v24, v25, v221, v24 neg_lo:[1,1,0]
	v_dot4_i32_iu8 v24, v26, v224, v24 neg_lo:[1,1,0]
	s_delay_alu instid0(VALU_DEP_1) | instskip(SKIP_1) | instid1(VALU_DEP_1)
	v_dot4_i32_iu8 v24, v27, v225, v24 neg_lo:[1,1,0]
	s_set_vgpr_msb 1                        ;  msbs: dst=0 src0=1 src1=0 src2=0
	v_dot4_i32_iu8 v24, v10 /*v266*/, v226, v24 neg_lo:[1,1,0]
	s_delay_alu instid0(VALU_DEP_1) | instskip(SKIP_1) | instid1(VALU_DEP_1)
	v_dot4_i32_iu8 v24, v11 /*v267*/, v227, v24 neg_lo:[1,1,0]
	s_set_vgpr_msb 0                        ;  msbs: dst=0 src0=0 src1=0 src2=0
	v_mad_i32_i24 v24, v222, v21, v24
	s_set_vgpr_msb 1                        ;  msbs: dst=0 src0=1 src1=0 src2=0
	s_delay_alu instid0(VALU_DEP_1) | instskip(SKIP_1) | instid1(VALU_DEP_1)
	v_dot4_i32_iu8 v24, v3 /*v259*/, v9, v24 neg_lo:[1,1,0]
	s_set_vgpr_msb 0x41                     ;  msbs: dst=1 src0=1 src1=0 src2=0
	v_dot4_i32_iu8 v14 /*v270*/, v4 /*v260*/, v10, v24 neg_lo:[1,1,0]
	s_set_vgpr_msb 0                        ;  msbs: dst=0 src0=0 src1=0 src2=0
	v_dot4_i32_iu8 v24, v16, v205, 0 neg_lo:[1,1,0]
	s_delay_alu instid0(VALU_DEP_1) | instskip(NEXT) | instid1(VALU_DEP_1)
	v_dot4_i32_iu8 v24, v17, v206, v24 neg_lo:[1,1,0]
	v_dot4_i32_iu8 v24, v18, v242, v24 neg_lo:[1,1,0]
	s_delay_alu instid0(VALU_DEP_1) | instskip(NEXT) | instid1(VALU_DEP_1)
	v_dot4_i32_iu8 v24, v19, v243, v24 neg_lo:[1,1,0]
	v_dot4_i32_iu8 v24, v4, v244, v24 neg_lo:[1,1,0]
	v_perm_b32 v4, v4, v19, 0x6050403
	s_delay_alu instid0(VALU_DEP_2) | instskip(NEXT) | instid1(VALU_DEP_2)
	v_dot4_i32_iu8 v24, v5, v245, v24 neg_lo:[1,1,0]
	v_dot4_i32_iu8 v8, v4, v229, v8 neg_lo:[1,1,0]
	s_set_vgpr_msb 64                       ;  msbs: dst=1 src0=0 src1=0 src2=0
	s_delay_alu instid0(VALU_DEP_2) | instskip(SKIP_1) | instid1(VALU_DEP_2)
	v_dot4_i32_iu8 v15 /*v271*/, v6, v246, v24 neg_lo:[1,1,0]
	s_set_vgpr_msb 0                        ;  msbs: dst=0 src0=0 src1=0 src2=0
	v_mad_i32_i24 v8, v228, v23, v8
	s_delay_alu instid0(VALU_DEP_1) | instskip(SKIP_1) | instid1(VALU_DEP_1)
	v_dot4_i32_iu8 v8, v247, v5, v8 neg_lo:[1,1,0]
	s_set_vgpr_msb 64                       ;  msbs: dst=1 src0=0 src1=0 src2=0
	v_dot4_i32_iu8 v7 /*v263*/, v248, v6, v8 neg_lo:[1,1,0]
	s_set_vgpr_msb 0                        ;  msbs: dst=0 src0=0 src1=0 src2=0
	v_mul_i32_i24_e32 v8, v20, v207
	s_delay_alu instid0(VALU_DEP_1) | instskip(NEXT) | instid1(VALU_DEP_1)
	v_dot4_i32_iu8 v8, v25, v208, v8 neg_lo:[1,1,0]
	v_dot4_i32_iu8 v8, v26, v211, v8 neg_lo:[1,1,0]
	s_delay_alu instid0(VALU_DEP_1) | instskip(SKIP_1) | instid1(VALU_DEP_1)
	v_dot4_i32_iu8 v8, v27, v212, v8 neg_lo:[1,1,0]
	s_set_vgpr_msb 1                        ;  msbs: dst=0 src0=1 src1=0 src2=0
	v_dot4_i32_iu8 v8, v10 /*v266*/, v213, v8 neg_lo:[1,1,0]
	s_delay_alu instid0(VALU_DEP_1) | instskip(SKIP_1) | instid1(VALU_DEP_1)
	v_dot4_i32_iu8 v8, v11 /*v267*/, v215, v8 neg_lo:[1,1,0]
	s_set_vgpr_msb 0                        ;  msbs: dst=0 src0=0 src1=0 src2=0
	v_mad_i32_i24 v8, v209, v21, v8
	s_delay_alu instid0(VALU_DEP_1) | instskip(NEXT) | instid1(VALU_DEP_1)
	v_dot4_i32_iu8 v8, v233, v9, v8 neg_lo:[1,1,0]
	v_dot4_i32_iu8 v10, v236, v10, v8 neg_lo:[1,1,0]
	v_mul_i32_i24_e32 v8, v22, v217
	s_delay_alu instid0(VALU_DEP_1) | instskip(NEXT) | instid1(VALU_DEP_1)
	v_dot4_i32_iu8 v8, v12, v218, v8 neg_lo:[1,1,0]
	v_dot4_i32_iu8 v8, v13, v0, v8 neg_lo:[1,1,0]
	s_delay_alu instid0(VALU_DEP_1) | instskip(NEXT) | instid1(VALU_DEP_1)
	v_dot4_i32_iu8 v8, v14, v1, v8 neg_lo:[1,1,0]
	v_dot4_i32_iu8 v8, v15, v2, v8 neg_lo:[1,1,0]
	s_delay_alu instid0(VALU_DEP_1) | instskip(NEXT) | instid1(VALU_DEP_1)
	v_dot4_i32_iu8 v4, v4, v3, v8 neg_lo:[1,1,0]
	v_mad_i32_i24 v4, v216, v23, v4
	s_delay_alu instid0(VALU_DEP_1) | instskip(NEXT) | instid1(VALU_DEP_1)
	v_dot4_i32_iu8 v4, v237, v5, v4 neg_lo:[1,1,0]
	v_dot4_i32_iu8 v6, v238, v6, v4 neg_lo:[1,1,0]
	v_or_b32_e32 v4, s7, v188
	s_delay_alu instid0(VALU_DEP_1)
	v_dual_lshlrev_b32 v5, 2, v4 :: v_dual_lshrrev_b32 v4, 1, v4
	ds_load_b128 v[24:27], v5 offset:33280
	ds_load_b128 v[16:19], v5 offset:33296
	;; [unrolled: 1-line block ×4, first 2 shown]
	s_set_vgpr_msb 1                        ;  msbs: dst=0 src0=1 src1=0 src2=0
	ds_load_b64 v[8:9], v9 /*v265*/ offset:43584
	s_wait_dscnt 0x4
	s_set_vgpr_msb 64                       ;  msbs: dst=1 src0=0 src1=0 src2=0
	v_bfe_i32 v10 /*v266*/, v24, 0, 8
	v_perm_b32 v18 /*v274*/, v24, v24, 0xc0c0201
	v_perm_b32 v19 /*v275*/, v25, v24, 0x6050403
	s_wait_dscnt 0x3
	v_ashrrev_i32_e32 v11 /*v267*/, 24, v16
	s_set_vgpr_msb 0                        ;  msbs: dst=0 src0=0 src1=0 src2=0
	v_dot4_i32_iu8 v24, v24, v148, 0 neg_lo:[1,1,0]
	s_set_vgpr_msb 1                        ;  msbs: dst=0 src0=1 src1=0 src2=0
	v_mul_i32_i24_e32 v5, v10 /*v266*/, v250
	s_wait_dscnt 0x2
	s_set_vgpr_msb 64                       ;  msbs: dst=1 src0=0 src1=0 src2=0
	v_bfe_i32 v16 /*v272*/, v20, 0, 8
	s_wait_dscnt 0x1
	v_ashrrev_i32_e32 v17 /*v273*/, 24, v12
	s_set_vgpr_msb 0                        ;  msbs: dst=0 src0=0 src1=0 src2=0
	v_dot4_i32_iu8 v24, v25, v149, v24 neg_lo:[1,1,0]
	s_set_vgpr_msb 1                        ;  msbs: dst=0 src0=1 src1=0 src2=0
	v_dot4_i32_iu8 v5, v18 /*v274*/, v251, v5 neg_lo:[1,1,0]
	s_set_vgpr_msb 0                        ;  msbs: dst=0 src0=0 src1=0 src2=0
	s_delay_alu instid0(VALU_DEP_2) | instskip(SKIP_1) | instid1(VALU_DEP_2)
	v_dot4_i32_iu8 v24, v26, v146, v24 neg_lo:[1,1,0]
	s_set_vgpr_msb 1                        ;  msbs: dst=0 src0=1 src1=0 src2=0
	v_dot4_i32_iu8 v5, v19 /*v275*/, v252, v5 neg_lo:[1,1,0]
	s_set_vgpr_msb 0                        ;  msbs: dst=0 src0=0 src1=0 src2=0
	v_perm_b32 v252, v26, v25, 0x6050403
	v_dot4_i32_iu8 v24, v27, v147, v24 neg_lo:[1,1,0]
	s_delay_alu instid0(VALU_DEP_2) | instskip(SKIP_2) | instid1(VALU_DEP_2)
	v_dot4_i32_iu8 v5, v252, v253, v5 neg_lo:[1,1,0]
	v_perm_b32 v253, v27, v26, 0x6050403
	v_perm_b32 v26, v20, v20, 0xc0c0201
	v_dot4_i32_iu8 v5, v253, v254, v5 neg_lo:[1,1,0]
	v_perm_b32 v254, v16, v27, 0x6050403
	v_dot4_i32_iu8 v16, v16, v144, v24 neg_lo:[1,1,0]
	s_set_vgpr_msb 1                        ;  msbs: dst=0 src0=1 src1=0 src2=0
	v_mul_i32_i24_e32 v24, v16 /*v272*/, v240
	s_set_vgpr_msb 0                        ;  msbs: dst=0 src0=0 src1=0 src2=0
	v_perm_b32 v27, v21, v20, 0x6050403
	v_dot4_i32_iu8 v5, v254, v255, v5 neg_lo:[1,1,0]
	v_dot4_i32_iu8 v16, v17, v145, v16 neg_lo:[1,1,0]
	;; [unrolled: 1-line block ×3, first 2 shown]
	s_set_vgpr_msb 4                        ;  msbs: dst=0 src0=0 src1=1 src2=0
	s_delay_alu instid0(VALU_DEP_3)
	v_mad_i32_i24 v5, v249, v11 /*v267*/, v5
	s_set_vgpr_msb 0                        ;  msbs: dst=0 src0=0 src1=0 src2=0
	v_dot4_i32_iu8 v16, v18, v132, v16 neg_lo:[1,1,0]
	v_perm_b32 v132, v23, v22, 0x6050403
	s_set_vgpr_msb 1                        ;  msbs: dst=0 src0=1 src1=0 src2=0
	v_dot4_i32_iu8 v5, v5 /*v261*/, v17, v5 neg_lo:[1,1,0]
	s_set_vgpr_msb 0                        ;  msbs: dst=0 src0=0 src1=0 src2=0
	v_dot4_i32_iu8 v16, v19, v133, v16 neg_lo:[1,1,0]
	s_set_vgpr_msb 1                        ;  msbs: dst=0 src0=1 src1=0 src2=0
	s_delay_alu instid0(VALU_DEP_2) | instskip(SKIP_3) | instid1(VALU_DEP_2)
	v_dot4_i32_iu8 v249, v6 /*v262*/, v18, v5 neg_lo:[1,1,0]
	s_set_vgpr_msb 0                        ;  msbs: dst=0 src0=0 src1=0 src2=0
	v_dot4_i32_iu8 v5, v152, v20, 0 neg_lo:[1,1,0]
	v_mul_lo_u32 v16, v16, v223
	v_dot4_i32_iu8 v5, v153, v21, v5 neg_lo:[1,1,0]
	s_delay_alu instid0(VALU_DEP_1) | instskip(NEXT) | instid1(VALU_DEP_1)
	v_dot4_i32_iu8 v5, v154, v22, v5 neg_lo:[1,1,0]
	v_dot4_i32_iu8 v5, v155, v23, v5 neg_lo:[1,1,0]
	s_delay_alu instid0(VALU_DEP_1) | instskip(NEXT) | instid1(VALU_DEP_1)
	v_dot4_i32_iu8 v5, v156, v12, v5 neg_lo:[1,1,0]
	v_dot4_i32_iu8 v5, v157, v13, v5 neg_lo:[1,1,0]
	ds_load_b64 v[156:157], v4 offset:43584
	s_wait_dscnt 0x1
	v_lshrrev_b32_e32 v152, 16, v8
	v_cvt_f32_f16_e32 v4, v8
	v_dot4_i32_iu8 v134, v134, v14, v5 neg_lo:[1,1,0]
	s_delay_alu instid0(VALU_DEP_3) | instskip(SKIP_1) | instid1(VALU_DEP_3)
	v_cvt_f32_f16_e64 v154, v152
	v_cvt_f32_f16_e64 v152, v9
	v_dot4_i32_iu8 v134, v15, v135, v134 neg_lo:[1,1,0]
	s_set_vgpr_msb 16                       ;  msbs: dst=0 src0=0 src1=0 src2=1
	v_dot4_i32_iu8 v135, v7, v135, v13 /*v269*/ neg_lo:[1,1,0]
	s_delay_alu instid0(VALU_DEP_2)
	v_mul_lo_u32 v134, v134, v151
	s_wait_dscnt 0x0
	v_lshrrev_b32_e32 v8, 16, v156
	v_cvt_f32_f16_e64 v5, v156
	v_cvt_f32_f16_e64 v153, v157
	s_set_vgpr_msb 4                        ;  msbs: dst=0 src0=0 src1=1 src2=0
	v_dot4_i32_iu8 v156, v19, v0 /*v256*/, v249 neg_lo:[1,1,0]
	v_cvt_f32_f16_e64 v155, v8
	s_set_vgpr_msb 0                        ;  msbs: dst=0 src0=0 src1=0 src2=0
	v_lshrrev_b32_e32 v8, 16, v9
	v_lshrrev_b32_e32 v9, 16, v157
	s_set_vgpr_msb 20                       ;  msbs: dst=0 src0=0 src1=1 src2=1
	v_dot4_i32_iu8 v157, v11, v0 /*v256*/, v12 /*v268*/ neg_lo:[1,1,0]
	s_set_vgpr_msb 0                        ;  msbs: dst=0 src0=0 src1=0 src2=0
	v_mul_lo_u32 v156, v156, v203
	v_pk_fma_f32 v[250:251], v[136:137], v[154:155], 0 op_sel_hi:[0,1,0]
	v_mul_lo_u32 v136, v135, v151
	v_cvt_f32_f16_e32 v9, v9
	v_mul_lo_u32 v249, v157, v203
	v_cvt_f32_f16_e32 v8, v8
	v_cvt_f32_i32_e32 v135, v134
	v_cvt_f32_i32_e32 v157, v156
	;; [unrolled: 1-line block ×4, first 2 shown]
	s_delay_alu instid0(VALU_DEP_1) | instskip(NEXT) | instid1(VALU_DEP_1)
	v_pk_fma_f32 v[156:157], v[4:5], v[156:157], 0 op_sel_hi:[1,1,0]
	v_pk_fma_f32 v[134:135], v[152:153], v[134:135], v[156:157]
	v_pk_fma_f32 v[156:157], v[130:131], v[8:9], v[250:251] op_sel_hi:[0,1,1]
	s_set_vgpr_msb 1                        ;  msbs: dst=0 src0=1 src1=0 src2=0
	v_mul_i32_i24_e32 v130, v10 /*v266*/, v220
	s_set_vgpr_msb 0                        ;  msbs: dst=0 src0=0 src1=0 src2=0
	s_delay_alu instid0(VALU_DEP_2) | instskip(SKIP_1) | instid1(VALU_DEP_2)
	v_pk_mul_f32 v[156:157], v[156:157], v[118:119]
	s_set_vgpr_msb 1                        ;  msbs: dst=0 src0=1 src1=0 src2=0
	v_dot4_i32_iu8 v130, v18 /*v274*/, v221, v130 neg_lo:[1,1,0]
	s_set_vgpr_msb 0                        ;  msbs: dst=0 src0=0 src1=0 src2=0
	s_delay_alu instid0(VALU_DEP_2) | instskip(SKIP_1) | instid1(VALU_DEP_2)
	v_pk_fma_f32 v[134:135], v[134:135], v[110:111], v[156:157] neg_lo:[0,0,1] neg_hi:[0,0,1]
	s_set_vgpr_msb 1                        ;  msbs: dst=0 src0=1 src1=0 src2=0
	v_dot4_i32_iu8 v130, v19 /*v275*/, v224, v130 neg_lo:[1,1,0]
	s_set_vgpr_msb 0                        ;  msbs: dst=0 src0=0 src1=0 src2=0
	v_pk_fma_f32 v[156:157], v[140:141], v[154:155], 0 op_sel_hi:[0,1,0]
	v_pk_add_f32 v[36:37], v[36:37], v[134:135]
	s_delay_alu instid0(VALU_DEP_3) | instskip(SKIP_3) | instid1(VALU_DEP_4)
	v_dot4_i32_iu8 v130, v252, v225, v130 neg_lo:[1,1,0]
	v_dot4_i32_iu8 v134, v20, v205, 0 neg_lo:[1,1,0]
	;; [unrolled: 1-line block ×3, first 2 shown]
	v_pk_fma_f32 v[150:151], v[150:151], v[8:9], v[156:157] op_sel_hi:[0,1,1]
	v_dot4_i32_iu8 v130, v253, v226, v130 neg_lo:[1,1,0]
	s_delay_alu instid0(VALU_DEP_4) | instskip(NEXT) | instid1(VALU_DEP_3)
	v_dot4_i32_iu8 v134, v21, v206, v134 neg_lo:[1,1,0]
	v_pk_mul_f32 v[150:151], v[150:151], v[120:121]
	s_delay_alu instid0(VALU_DEP_3) | instskip(NEXT) | instid1(VALU_DEP_3)
	v_dot4_i32_iu8 v130, v254, v227, v130 neg_lo:[1,1,0]
	v_dot4_i32_iu8 v134, v22, v242, v134 neg_lo:[1,1,0]
	s_set_vgpr_msb 4                        ;  msbs: dst=0 src0=0 src1=1 src2=0
	s_delay_alu instid0(VALU_DEP_2) | instskip(SKIP_1) | instid1(VALU_DEP_2)
	v_mad_i32_i24 v130, v222, v11 /*v267*/, v130
	s_set_vgpr_msb 0                        ;  msbs: dst=0 src0=0 src1=0 src2=0
	v_dot4_i32_iu8 v134, v23, v243, v134 neg_lo:[1,1,0]
	s_set_vgpr_msb 1                        ;  msbs: dst=0 src0=1 src1=0 src2=0
	s_delay_alu instid0(VALU_DEP_2) | instskip(SKIP_1) | instid1(VALU_DEP_2)
	v_dot4_i32_iu8 v130, v3 /*v259*/, v17, v130 neg_lo:[1,1,0]
	s_set_vgpr_msb 0                        ;  msbs: dst=0 src0=0 src1=0 src2=0
	v_dot4_i32_iu8 v134, v12, v244, v134 neg_lo:[1,1,0]
	v_perm_b32 v12, v12, v23, 0x6050403
	s_set_vgpr_msb 1                        ;  msbs: dst=0 src0=1 src1=0 src2=0
	v_dot4_i32_iu8 v130, v4 /*v260*/, v18, v130 neg_lo:[1,1,0]
	s_set_vgpr_msb 0                        ;  msbs: dst=0 src0=0 src1=0 src2=0
	v_dot4_i32_iu8 v134, v13, v245, v134 neg_lo:[1,1,0]
	s_set_vgpr_msb 4                        ;  msbs: dst=0 src0=0 src1=1 src2=0
	s_delay_alu instid0(VALU_DEP_2) | instskip(SKIP_1) | instid1(VALU_DEP_2)
	v_dot4_i32_iu8 v130, v19, v1 /*v257*/, v130 neg_lo:[1,1,0]
	s_set_vgpr_msb 0                        ;  msbs: dst=0 src0=0 src1=0 src2=0
	v_dot4_i32_iu8 v136, v14, v246, v134 neg_lo:[1,1,0]
	s_set_vgpr_msb 20                       ;  msbs: dst=0 src0=0 src1=1 src2=1
	v_dot4_i32_iu8 v134, v11, v1 /*v257*/, v14 /*v270*/ neg_lo:[1,1,0]
	s_set_vgpr_msb 0                        ;  msbs: dst=0 src0=0 src1=0 src2=0
	v_mul_lo_u32 v130, v130, v204
	s_delay_alu instid0(VALU_DEP_2) | instskip(NEXT) | instid1(VALU_DEP_2)
	v_mul_lo_u32 v134, v134, v204
	v_cvt_f32_i32_e32 v135, v130
	s_set_vgpr_msb 4                        ;  msbs: dst=0 src0=0 src1=1 src2=0
	v_dot4_i32_iu8 v130, v15, v2 /*v258*/, v136 neg_lo:[1,1,0]
	s_delay_alu instid0(VALU_DEP_3)
	v_cvt_f32_i32_e32 v134, v134
	s_set_vgpr_msb 20                       ;  msbs: dst=0 src0=0 src1=1 src2=1
	v_dot4_i32_iu8 v136, v7, v2 /*v258*/, v15 /*v271*/ neg_lo:[1,1,0]
	s_set_vgpr_msb 0                        ;  msbs: dst=0 src0=0 src1=0 src2=0
	v_mul_lo_u32 v130, v130, v241
	v_pk_fma_f32 v[134:135], v[4:5], v[134:135], 0 op_sel_hi:[1,1,0]
	s_delay_alu instid0(VALU_DEP_3) | instskip(NEXT) | instid1(VALU_DEP_3)
	v_mul_lo_u32 v136, v136, v241
	v_cvt_f32_i32_e32 v205, v130
	v_perm_b32 v130, v22, v21, 0x6050403
	v_cvt_f32_i32_e32 v21, v16
	v_pk_fma_f32 v[22:23], v[138:139], v[154:155], 0 op_sel_hi:[0,1,0]
	v_cvt_f32_i32_e32 v204, v136
	s_delay_alu instid0(VALU_DEP_4) | instskip(NEXT) | instid1(VALU_DEP_3)
	v_dot4_i32_iu8 v20, v130, v235, v20 neg_lo:[1,1,0]
	v_pk_fma_f32 v[22:23], v[142:143], v[8:9], v[22:23] op_sel_hi:[0,1,1]
	s_delay_alu instid0(VALU_DEP_3) | instskip(NEXT) | instid1(VALU_DEP_3)
	v_pk_fma_f32 v[134:135], v[152:153], v[204:205], v[134:135]
	v_dot4_i32_iu8 v20, v132, v230, v20 neg_lo:[1,1,0]
	s_delay_alu instid0(VALU_DEP_3) | instskip(NEXT) | instid1(VALU_DEP_3)
	v_pk_mul_f32 v[22:23], v[22:23], v[122:123]
	v_pk_fma_f32 v[134:135], v[134:135], v[112:113], v[150:151] neg_lo:[0,0,1] neg_hi:[0,0,1]
	s_delay_alu instid0(VALU_DEP_3) | instskip(NEXT) | instid1(VALU_DEP_2)
	v_dot4_i32_iu8 v20, v12, v229, v20 neg_lo:[1,1,0]
	v_pk_add_f32 v[32:33], v[32:33], v[134:135]
	s_set_vgpr_msb 4                        ;  msbs: dst=0 src0=0 src1=1 src2=0
	s_delay_alu instid0(VALU_DEP_2) | instskip(SKIP_1) | instid1(VALU_DEP_1)
	v_mad_i32_i24 v20, v228, v17 /*v273*/, v20
	s_set_vgpr_msb 0                        ;  msbs: dst=0 src0=0 src1=0 src2=0
	v_dot4_i32_iu8 v20, v247, v13, v20 neg_lo:[1,1,0]
	s_delay_alu instid0(VALU_DEP_1) | instskip(SKIP_3) | instid1(VALU_DEP_2)
	v_dot4_i32_iu8 v24, v248, v14, v20 neg_lo:[1,1,0]
	s_set_vgpr_msb 16                       ;  msbs: dst=0 src0=0 src1=0 src2=1
	v_dot4_i32_iu8 v20, v11, v133, v8 /*v264*/ neg_lo:[1,1,0]
	s_set_vgpr_msb 0                        ;  msbs: dst=0 src0=0 src1=0 src2=0
	v_dot4_i32_iu8 v16, v15, v231, v24 neg_lo:[1,1,0]
	s_delay_alu instid0(VALU_DEP_2) | instskip(SKIP_2) | instid1(VALU_DEP_3)
	v_mul_lo_u32 v20, v20, v223
	s_set_vgpr_msb 16                       ;  msbs: dst=0 src0=0 src1=0 src2=1
	v_dot4_i32_iu8 v24, v7, v231, v7 /*v263*/ neg_lo:[1,1,0]
	v_mul_lo_u32 v16, v16, v210
	s_delay_alu instid0(VALU_DEP_2) | instskip(NEXT) | instid1(VALU_DEP_4)
	v_mul_lo_u32 v24, v24, v210
	v_cvt_f32_i32_e32 v20, v20
	s_delay_alu instid0(VALU_DEP_3)
	v_cvt_f32_i32_e32 v25, v16
	s_set_vgpr_msb 1                        ;  msbs: dst=0 src0=1 src1=0 src2=0
	v_mul_i32_i24_e32 v16, v10 /*v266*/, v207
	s_set_vgpr_msb 0                        ;  msbs: dst=0 src0=0 src1=0 src2=0
	v_pk_fma_f32 v[20:21], v[4:5], v[20:21], 0 op_sel_hi:[1,1,0]
	v_cvt_f32_i32_e32 v24, v24
	s_set_vgpr_msb 1                        ;  msbs: dst=0 src0=1 src1=0 src2=0
	v_dot4_i32_iu8 v16, v18 /*v274*/, v208, v16 neg_lo:[1,1,0]
	s_set_vgpr_msb 0                        ;  msbs: dst=0 src0=0 src1=0 src2=0
	s_delay_alu instid0(VALU_DEP_2) | instskip(SKIP_1) | instid1(VALU_DEP_2)
	v_pk_fma_f32 v[20:21], v[152:153], v[24:25], v[20:21]
	s_set_vgpr_msb 1                        ;  msbs: dst=0 src0=1 src1=0 src2=0
	v_dot4_i32_iu8 v16, v19 /*v275*/, v211, v16 neg_lo:[1,1,0]
	s_set_vgpr_msb 0                        ;  msbs: dst=0 src0=0 src1=0 src2=0
	s_delay_alu instid0(VALU_DEP_2) | instskip(NEXT) | instid1(VALU_DEP_2)
	v_pk_fma_f32 v[20:21], v[20:21], v[114:115], v[22:23] neg_lo:[0,0,1] neg_hi:[0,0,1]
	v_dot4_i32_iu8 v16, v252, v212, v16 neg_lo:[1,1,0]
	s_delay_alu instid0(VALU_DEP_2) | instskip(NEXT) | instid1(VALU_DEP_2)
	v_pk_add_f32 v[30:31], v[30:31], v[20:21]
	v_dot4_i32_iu8 v16, v253, v213, v16 neg_lo:[1,1,0]
	s_delay_alu instid0(VALU_DEP_1) | instskip(SKIP_1) | instid1(VALU_DEP_1)
	v_dot4_i32_iu8 v16, v254, v215, v16 neg_lo:[1,1,0]
	s_set_vgpr_msb 4                        ;  msbs: dst=0 src0=0 src1=1 src2=0
	v_mad_i32_i24 v16, v209, v11 /*v267*/, v16
	s_set_vgpr_msb 0                        ;  msbs: dst=0 src0=0 src1=0 src2=0
	s_delay_alu instid0(VALU_DEP_1) | instskip(SKIP_3) | instid1(VALU_DEP_2)
	v_dot4_i32_iu8 v16, v233, v17, v16 neg_lo:[1,1,0]
	s_set_vgpr_msb 1                        ;  msbs: dst=0 src0=1 src1=0 src2=0
	v_mul_i32_i24_e32 v17, v16 /*v272*/, v217
	s_set_vgpr_msb 0                        ;  msbs: dst=0 src0=0 src1=0 src2=0
	v_dot4_i32_iu8 v16, v236, v18, v16 neg_lo:[1,1,0]
	s_delay_alu instid0(VALU_DEP_2) | instskip(NEXT) | instid1(VALU_DEP_1)
	v_dot4_i32_iu8 v17, v26, v218, v17 neg_lo:[1,1,0]
	v_dot4_i32_iu8 v0, v27, v0, v17 neg_lo:[1,1,0]
	s_delay_alu instid0(VALU_DEP_1) | instskip(SKIP_1) | instid1(VALU_DEP_2)
	v_dot4_i32_iu8 v0, v130, v1, v0 neg_lo:[1,1,0]
	v_dot4_i32_iu8 v1, v11, v239, v10 neg_lo:[1,1,0]
	;; [unrolled: 1-line block ×3, first 2 shown]
	s_delay_alu instid0(VALU_DEP_2) | instskip(NEXT) | instid1(VALU_DEP_2)
	v_mul_lo_u32 v2, v1, v214
	v_dot4_i32_iu8 v0, v12, v3, v0 neg_lo:[1,1,0]
	s_set_vgpr_msb 4                        ;  msbs: dst=0 src0=0 src1=1 src2=0
	s_delay_alu instid0(VALU_DEP_1) | instskip(SKIP_1) | instid1(VALU_DEP_1)
	v_mad_i32_i24 v0, v216, v17 /*v273*/, v0
	s_set_vgpr_msb 0                        ;  msbs: dst=0 src0=0 src1=0 src2=0
	v_dot4_i32_iu8 v0, v237, v13, v0 neg_lo:[1,1,0]
	s_delay_alu instid0(VALU_DEP_1) | instskip(SKIP_1) | instid1(VALU_DEP_1)
	v_dot4_i32_iu8 v12, v238, v14, v0 neg_lo:[1,1,0]
	v_dot4_i32_iu8 v0, v19, v239, v16 neg_lo:[1,1,0]
	v_mul_lo_u32 v0, v0, v214
	s_delay_alu instid0(VALU_DEP_1) | instskip(SKIP_2) | instid1(VALU_DEP_2)
	v_cvt_f32_i32_e32 v1, v0
	v_cvt_f32_i32_e32 v0, v2
	v_pk_fma_f32 v[2:3], v[128:129], v[154:155], 0 op_sel_hi:[0,1,0]
	v_pk_fma_f32 v[0:1], v[4:5], v[0:1], 0 op_sel_hi:[1,1,0]
	v_dot4_i32_iu8 v4, v15, v219, v12 neg_lo:[1,1,0]
	v_dot4_i32_iu8 v5, v7, v219, v6 neg_lo:[1,1,0]
	s_delay_alu instid0(VALU_DEP_4) | instskip(NEXT) | instid1(VALU_DEP_3)
	v_pk_fma_f32 v[2:3], v[126:127], v[8:9], v[2:3] op_sel_hi:[0,1,1]
	v_mul_lo_u32 v4, v4, v141
	s_delay_alu instid0(VALU_DEP_3) | instskip(NEXT) | instid1(VALU_DEP_3)
	v_mul_lo_u32 v6, v5, v141
	v_pk_mul_f32 v[2:3], v[2:3], v[124:125]
	s_delay_alu instid0(VALU_DEP_3) | instskip(NEXT) | instid1(VALU_DEP_3)
	v_cvt_f32_i32_e32 v5, v4
	v_cvt_f32_i32_e32 v4, v6
	s_delay_alu instid0(VALU_DEP_1) | instskip(NEXT) | instid1(VALU_DEP_1)
	v_pk_fma_f32 v[0:1], v[152:153], v[4:5], v[0:1]
	v_pk_fma_f32 v[0:1], v[0:1], v[116:117], v[2:3] neg_lo:[0,0,1] neg_hi:[0,0,1]
	s_delay_alu instid0(VALU_DEP_1)
	v_pk_add_f32 v[28:29], v[28:29], v[0:1]
	s_cbranch_vccnz .LBB134_6
; %bb.7:                                ;   in Loop: Header=BB134_5 Depth=1
	v_dual_add_nc_u32 v8, s4, v175 :: v_dual_add_nc_u32 v16, 4, v137
	s_barrier_signal -1
	s_barrier_wait -1
	s_delay_alu instid0(VALU_DEP_1) | instskip(SKIP_3) | instid1(VALU_DEP_4)
	v_dual_add_nc_u32 v6, v8, v176 :: v_dual_add_nc_u32 v12, v8, v173
	v_dual_add_nc_u32 v0, v8, v168 :: v_dual_add_nc_u32 v2, v8, v169
	;; [unrolled: 1-line block ×4, first 2 shown]
	v_mad_nc_i64_i32 v[6:7], v6, 36, v[108:109]
	s_delay_alu instid0(VALU_DEP_4)
	v_mad_nc_i64_i32 v[0:1], v0, 36, v[108:109]
	v_mad_nc_i64_i32 v[2:3], v2, 36, v[108:109]
	;; [unrolled: 1-line block ×7, first 2 shown]
	v_mad_nc_u64_u32 v[16:17], v16, 36, s[10:11]
	s_clause 0x8
	global_load_b32 v18, v[6:7], off offset:4
	global_load_b32 v19, v[0:1], off offset:4
	;; [unrolled: 1-line block ×8, first 2 shown]
	global_load_b32 v26, v[16:17], off
	s_mov_b32 s4, 16
	s_wait_loadcnt 0x8
	ds_store_b32 v131, v18
	s_wait_loadcnt 0x7
	ds_store_b32 v99, v19
	;; [unrolled: 2-line block ×9, first 2 shown]
	s_wait_dscnt 0x0
	s_barrier_signal -1
	s_barrier_wait -1
	ds_load_b32 v0, v178
	ds_load_b32 v1, v179 offset:128
	ds_load_b32 v2, v180 offset:256
	;; [unrolled: 1-line block ×3, first 2 shown]
	s_wait_dscnt 0x3
	v_cvt_f32_f16_e32 v22, v0
	v_lshrrev_b32_e32 v0, 16, v0
	s_wait_dscnt 0x2
	v_cvt_f32_f16_e32 v24, v1
	v_lshrrev_b32_e32 v1, 16, v1
	s_wait_dscnt 0x1
	v_cvt_f32_f16_e32 v26, v2
	s_wait_dscnt 0x0
	v_dual_lshrrev_b32 v2, 16, v2 :: v_dual_lshrrev_b32 v4, 16, v3
	v_cvt_f32_f16_e32 v110, v3
	v_cvt_f32_f16_e32 v112, v0
	;; [unrolled: 1-line block ×3, first 2 shown]
	s_delay_alu instid0(VALU_DEP_4) | instskip(SKIP_4) | instid1(VALU_DEP_4)
	v_cvt_f32_f16_e32 v116, v2
	v_cvt_f32_f16_e32 v118, v4
	v_dual_mov_b32 v23, v22 :: v_dual_mov_b32 v25, v24
	v_dual_mov_b32 v27, v26 :: v_dual_mov_b32 v111, v110
	;; [unrolled: 1-line block ×4, first 2 shown]
.LBB134_8:                              ;   Parent Loop BB134_5 Depth=1
                                        ; =>  This Inner Loop Header: Depth=2
	s_lshr_b32 s5, s4, 2
	s_lshl_b32 s8, s4, 3
	s_and_b32 s7, s5, 0x3ffffffe
	s_lshl_b32 s5, s4, 1
	s_add_co_i32 s7, s7, 0xa200
	s_and_b32 s5, s5, 16
	s_delay_alu instid0(SALU_CYCLE_1)
	v_dual_add_nc_u32 v216, s8, v197 :: v_dual_bitop2_b32 v0, s5, v75 bitop3:0x54
	v_add3_u32 v16, s7, v201, v193
	v_add_nc_u32_e32 v132, s8, v198
	v_add3_u32 v128, s7, v202, v189
	s_set_vgpr_msb 64                       ;  msbs: dst=1 src0=0 src1=0 src2=0
	v_dual_add_nc_u32 v22 /*v278*/, s8, v199 :: v_dual_add_nc_u32 v38 /*v294*/, s8, v200
	s_set_vgpr_msb 0                        ;  msbs: dst=0 src0=0 src1=0 src2=0
	v_dual_lshlrev_b32 v8, 2, v0 :: v_dual_lshrrev_b32 v19, 1, v0
	s_set_vgpr_msb 64                       ;  msbs: dst=1 src0=0 src1=0 src2=0
	v_add3_u32 v37 /*v293*/, s7, v195, v191
	s_set_vgpr_msb 0                        ;  msbs: dst=0 src0=0 src1=0 src2=0
	ds_load_b128 v[12:15], v8 offset:33280
	ds_load_b128 v[0:3], v8 offset:33296
	;; [unrolled: 1-line block ×4, first 2 shown]
	ds_load_2addr_b32 v[20:21], v216 offset1:1
	ds_load_2addr_b32 v[120:121], v216 offset0:2 offset1:3
	ds_load_b32 v148, v216 offset:16
	ds_load_b96 v[136:138], v216 offset:19
	ds_load_i8 v220, v216 offset:31
	s_wait_dscnt 0x8
	v_bfe_i32 v130, v12, 0, 8
	v_perm_b32 v223, v13, v12, 0x4030201
	v_perm_b32 v241, v14, v13, 0x4030201
	;; [unrolled: 1-line block ×3, first 2 shown]
	s_wait_dscnt 0x4
	v_bfe_i32 v150, v20, 0, 8
	v_perm_b32 v18, v21, v20, 0x4030201
	v_perm_b32 v250, v0, v15, 0x4030201
	;; [unrolled: 1-line block ×4, first 2 shown]
	v_mul_i32_i24_e32 v17, v150, v130
	v_perm_b32 v255, v1, v1, 0xc0c0201
	s_set_vgpr_msb 64                       ;  msbs: dst=1 src0=0 src1=0 src2=0
	v_perm_b32 v0 /*v256*/, v2, v1, 0xc0c0403
	v_perm_b32 v1 /*v257*/, v2, v2, 0xc0c0201
	;; [unrolled: 1-line block ×3, first 2 shown]
	s_set_vgpr_msb 0                        ;  msbs: dst=0 src0=0 src1=0 src2=0
	v_dot4_i32_iu8 v17, v18, v223, v17 neg_lo:[1,1,0]
	s_wait_dscnt 0x3
	v_perm_b32 v18, v120, v21, 0x4030201
	v_bfe_i32 v152, v4, 0, 8
	v_perm_b32 v153, v5, v4, 0x4030201
	s_set_vgpr_msb 64                       ;  msbs: dst=1 src0=0 src1=0 src2=0
	v_perm_b32 v9 /*v265*/, v20, v20, 0xc0c0201
	v_perm_b32 v10 /*v266*/, v21, v20, 0x6050403
	s_set_vgpr_msb 0                        ;  msbs: dst=0 src0=0 src1=0 src2=0
	v_dot4_i32_iu8 v17, v18, v241, v17 neg_lo:[1,1,0]
	v_perm_b32 v18, v121, v120, 0x4030201
	s_set_vgpr_msb 64                       ;  msbs: dst=1 src0=0 src1=0 src2=0
	v_perm_b32 v11 /*v267*/, v120, v21, 0x6050403
	v_perm_b32 v12 /*v268*/, v121, v120, 0x6050403
	;; [unrolled: 1-line block ×4, first 2 shown]
	s_set_vgpr_msb 0                        ;  msbs: dst=0 src0=0 src1=0 src2=0
	v_dot4_i32_iu8 v17, v18, v242, v17 neg_lo:[1,1,0]
	s_wait_dscnt 0x2
	v_perm_b32 v18, v148, v121, 0x4030201
	s_wait_dscnt 0x1
	v_bfe_i32 v149, v136, 0, 8
	s_set_vgpr_msb 64                       ;  msbs: dst=1 src0=0 src1=0 src2=0
	v_perm_b32 v46 /*v302*/, v9, v8, 0x4030201
	v_perm_b32 v13 /*v269*/, v136, v136, 0xc0c0201
	;; [unrolled: 1-line block ×3, first 2 shown]
	s_set_vgpr_msb 0                        ;  msbs: dst=0 src0=0 src1=0 src2=0
	v_dot4_i32_iu8 v17, v18, v250, v17 neg_lo:[1,1,0]
	v_perm_b32 v18, v148, v148, 0xc0c0201
	s_set_vgpr_msb 64                       ;  msbs: dst=1 src0=0 src1=0 src2=0
	v_perm_b32 v14 /*v270*/, v137, v136, 0x6050403
	v_bfe_i32 v15 /*v271*/, v3, 8, 8
	s_set_vgpr_msb 0                        ;  msbs: dst=0 src0=0 src1=0 src2=0
	v_bfe_i32 v221, v138, 16, 8
	v_perm_b32 v252, v138, v137, 0x6050403
	v_dot4_i32_iu8 v17, v253, v18, v17 neg_lo:[1,1,0]
	v_perm_b32 v18, v136, v136, 0xc0c0100
	s_set_vgpr_msb 64                       ;  msbs: dst=1 src0=0 src1=0 src2=0
	v_perm_b32 v61 /*v317*/, v3, v3, 0xc0c0302
	v_bfe_i32 v23 /*v279*/, v11, 0, 8
	s_set_vgpr_msb 0                        ;  msbs: dst=0 src0=0 src1=0 src2=0
	v_bfe_i32 v142, v12, 8, 8
	v_perm_b32 v12, v13, v12, 0x5040302
	v_dot4_i32_iu8 v17, v254, v18, v17 neg_lo:[1,1,0]
	v_perm_b32 v18, v136, v136, 0xc0c0302
	s_delay_alu instid0(VALU_DEP_1) | instskip(SKIP_2) | instid1(VALU_DEP_1)
	v_dot4_i32_iu8 v17, v255, v18, v17 neg_lo:[1,1,0]
	v_perm_b32 v18, v137, v137, 0xc0c0100
	s_set_vgpr_msb 1                        ;  msbs: dst=0 src0=1 src1=0 src2=0
	v_dot4_i32_iu8 v17, v0 /*v256*/, v18, v17 neg_lo:[1,1,0]
	s_set_vgpr_msb 0                        ;  msbs: dst=0 src0=0 src1=0 src2=0
	v_perm_b32 v18, v137, v137, 0xc0c0302
	s_set_vgpr_msb 1                        ;  msbs: dst=0 src0=1 src1=0 src2=0
	s_delay_alu instid0(VALU_DEP_1) | instskip(SKIP_3) | instid1(VALU_DEP_1)
	v_dot4_i32_iu8 v17, v1 /*v257*/, v18, v17 neg_lo:[1,1,0]
	s_set_vgpr_msb 0                        ;  msbs: dst=0 src0=0 src1=0 src2=0
	v_perm_b32 v18, v138, v138, 0xc0c0100
	s_set_vgpr_msb 1                        ;  msbs: dst=0 src0=1 src1=0 src2=0
	v_dot4_i32_iu8 v222, v2 /*v258*/, v18, v17 neg_lo:[1,1,0]
	s_set_vgpr_msb 0                        ;  msbs: dst=0 src0=0 src1=0 src2=0
	ds_load_u16 v17, v16
	ds_load_u16 v16, v16 offset:8
	ds_load_2addr_b32 v[124:125], v216 offset0:14 offset1:15
	ds_load_2addr_b32 v[248:249], v132 offset1:1
	s_wait_dscnt 0x3
	v_lshrrev_b16 v18, 8, v17
	v_and_b32_e32 v154, 0xff, v17
	s_wait_dscnt 0x2
	v_cvt_f32_ubyte0_e32 v126, v16
	v_cvt_f32_ubyte1_e32 v122, v16
	s_wait_dscnt 0x0
	v_bfe_i32 v156, v248, 0, 8
	v_and_b32_e32 v123, 0xffff, v18
	ds_load_2addr_b32 v[134:135], v132 offset0:2 offset1:3
	ds_load_b32 v155, v132 offset:16
	ds_load_b128 v[224:227], v132 offset:19
	ds_load_b128 v[144:147], v132 offset:35
	ds_load_b96 v[16:18], v132 offset:51
	s_set_vgpr_msb 64                       ;  msbs: dst=1 src0=0 src1=0 src2=0
	ds_load_i8 v36 /*v292*/, v132 offset:63
	s_set_vgpr_msb 0                        ;  msbs: dst=0 src0=0 src1=0 src2=0
	v_perm_b32 v132, v249, v248, 0x4030201
	v_bfe_i32 v236, v125, 0, 8
	v_mul_i32_i24_e32 v133, v156, v130
	s_delay_alu instid0(VALU_DEP_1)
	v_dot4_i32_iu8 v132, v132, v223, v133 neg_lo:[1,1,0]
	s_wait_dscnt 0x5
	v_perm_b32 v133, v134, v249, 0x4030201
	s_wait_dscnt 0x3
	v_bfe_i32 v204, v227, 8, 8
	s_wait_dscnt 0x2
	v_perm_b32 v205, v144, v227, 0x5040302
	v_bfe_i32 v157, v224, 0, 8
	v_dot4_i32_iu8 v132, v133, v241, v132 neg_lo:[1,1,0]
	v_perm_b32 v133, v135, v134, 0x4030201
	s_set_vgpr_msb 64                       ;  msbs: dst=1 src0=0 src1=0 src2=0
	v_bfe_i32 v3 /*v259*/, v226, 16, 8
	s_set_vgpr_msb 0                        ;  msbs: dst=0 src0=0 src1=0 src2=0
	s_delay_alu instid0(VALU_DEP_2) | instskip(SKIP_1) | instid1(VALU_DEP_1)
	v_dot4_i32_iu8 v132, v133, v242, v132 neg_lo:[1,1,0]
	v_perm_b32 v133, v155, v135, 0x4030201
	v_dot4_i32_iu8 v132, v133, v250, v132 neg_lo:[1,1,0]
	v_perm_b32 v133, v155, v155, 0xc0c0201
	s_delay_alu instid0(VALU_DEP_1) | instskip(SKIP_1) | instid1(VALU_DEP_1)
	v_dot4_i32_iu8 v132, v253, v133, v132 neg_lo:[1,1,0]
	v_perm_b32 v133, v224, v224, 0xc0c0100
	v_dot4_i32_iu8 v132, v254, v133, v132 neg_lo:[1,1,0]
	v_perm_b32 v133, v224, v224, 0xc0c0302
	s_delay_alu instid0(VALU_DEP_1) | instskip(SKIP_2) | instid1(VALU_DEP_1)
	v_dot4_i32_iu8 v132, v255, v133, v132 neg_lo:[1,1,0]
	v_perm_b32 v133, v225, v225, 0xc0c0100
	s_set_vgpr_msb 1                        ;  msbs: dst=0 src0=1 src1=0 src2=0
	v_dot4_i32_iu8 v132, v0 /*v256*/, v133, v132 neg_lo:[1,1,0]
	s_set_vgpr_msb 0                        ;  msbs: dst=0 src0=0 src1=0 src2=0
	v_perm_b32 v133, v225, v225, 0xc0c0302
	s_set_vgpr_msb 1                        ;  msbs: dst=0 src0=1 src1=0 src2=0
	s_delay_alu instid0(VALU_DEP_1) | instskip(SKIP_3) | instid1(VALU_DEP_1)
	v_dot4_i32_iu8 v132, v1 /*v257*/, v133, v132 neg_lo:[1,1,0]
	s_set_vgpr_msb 0                        ;  msbs: dst=0 src0=0 src1=0 src2=0
	v_perm_b32 v133, v226, v226, 0xc0c0100
	s_set_vgpr_msb 0x41                     ;  msbs: dst=1 src0=1 src1=0 src2=0
	v_dot4_i32_iu8 v4 /*v260*/, v2 /*v258*/, v133, v132 neg_lo:[1,1,0]
	s_set_vgpr_msb 0                        ;  msbs: dst=0 src0=0 src1=0 src2=0
	ds_load_u16 v132, v128
	s_set_vgpr_msb 64                       ;  msbs: dst=1 src0=0 src1=0 src2=0
	ds_load_u16 v20 /*v276*/, v128 offset:8
	s_set_vgpr_msb 0                        ;  msbs: dst=0 src0=0 src1=0 src2=0
	v_or_b32_e32 v133, s5, v182
	s_delay_alu instid0(VALU_DEP_1)
	v_lshlrev_b32_e32 v217, 2, v133
	s_wait_dscnt 0x1
	s_set_vgpr_msb 64                       ;  msbs: dst=1 src0=0 src1=0 src2=0
	v_lshrrev_b16 v21 /*v277*/, 8, v132
	s_set_vgpr_msb 0                        ;  msbs: dst=0 src0=0 src1=0 src2=0
	v_and_b32_e32 v203, 0xff, v132
	v_mul_i32_i24_e32 v132, v204, v152
	s_wait_dscnt 0x0
	s_set_vgpr_msb 1                        ;  msbs: dst=0 src0=1 src1=0 src2=0
	v_cvt_f32_ubyte0_e32 v128, v20 /*v276*/
	s_set_vgpr_msb 0                        ;  msbs: dst=0 src0=0 src1=0 src2=0
	v_dot4_i32_iu8 v237, v205, v153, v132 neg_lo:[1,1,0]
	v_add3_u32 v132, s7, v194, v190
	ds_load_b64 v[140:141], v19 offset:43584
	s_set_vgpr_msb 1                        ;  msbs: dst=0 src0=1 src1=0 src2=0
	ds_load_2addr_b32 v[206:207], v22 /*v278*/ offset1:1
	ds_load_2addr_b32 v[208:209], v22 /*v278*/ offset0:2 offset1:3
	ds_load_2addr_b32 v[210:211], v22 /*v278*/ offset0:4 offset1:5
	s_set_vgpr_msb 0x41                     ;  msbs: dst=1 src0=1 src1=0 src2=0
	ds_load_2addr_b32 v[24:25] /*v[280:281]*/, v22 /*v278*/ offset0:6 offset1:7
	s_set_vgpr_msb 0                        ;  msbs: dst=0 src0=0 src1=0 src2=0
	ds_load_u16 v19, v132
	s_set_vgpr_msb 64                       ;  msbs: dst=1 src0=0 src1=0 src2=0
	ds_load_u16 v39 /*v295*/, v132 offset:8
	s_set_vgpr_msb 0                        ;  msbs: dst=0 src0=0 src1=0 src2=0
	v_lshrrev_b32_e32 v218, 1, v133
	s_set_vgpr_msb 0x41                     ;  msbs: dst=1 src0=1 src1=0 src2=0
	ds_load_2addr_b32 v[26:27] /*v[282:283]*/, v22 /*v278*/ offset0:8 offset1:9
	s_set_vgpr_msb 1                        ;  msbs: dst=0 src0=1 src1=0 src2=0
	ds_load_2addr_b32 v[132:133], v22 /*v278*/ offset0:10 offset1:11
	s_set_vgpr_msb 0                        ;  msbs: dst=0 src0=0 src1=0 src2=0
	ds_load_2addr_b32 v[212:213], v216 offset0:8 offset1:9
	s_wait_dscnt 0x9
	s_set_vgpr_msb 64                       ;  msbs: dst=1 src0=0 src1=0 src2=0
	v_cvt_f32_f16_e64 v28 /*v284*/, v140
	s_set_vgpr_msb 0                        ;  msbs: dst=0 src0=0 src1=0 src2=0
	v_lshrrev_b32_e32 v140, 16, v140
	s_set_vgpr_msb 64                       ;  msbs: dst=1 src0=0 src1=0 src2=0
	v_cvt_f32_f16_e64 v32 /*v288*/, v141
	s_set_vgpr_msb 0                        ;  msbs: dst=0 src0=0 src1=0 src2=0
	v_lshrrev_b32_e32 v141, 16, v141
	s_wait_dscnt 0x4
	s_set_vgpr_msb 64                       ;  msbs: dst=1 src0=0 src1=0 src2=0
	v_lshrrev_b16 v40 /*v296*/, 8, v19
	v_cvt_f32_f16_e64 v30 /*v286*/, v140
	s_wait_dscnt 0x0
	s_set_vgpr_msb 0                        ;  msbs: dst=0 src0=0 src1=0 src2=0
	v_bfe_i32 v151, v212, 0, 8
	v_lshrrev_b16 v214, 8, v213
	v_ashrrev_i32_e32 v238, 24, v213
	v_bfe_i32 v239, v213, 16, 8
	v_bfe_i32 v243, v213, 0, 8
	v_mul_i32_i24_e32 v215, v151, v152
	v_perm_b32 v152, v213, v212, 0x4030201
	v_bfe_i32 v240, v214, 0, 8
	s_set_vgpr_msb 64                       ;  msbs: dst=1 src0=0 src1=0 src2=0
	v_cvt_f32_f16_e64 v34 /*v290*/, v141
	s_set_vgpr_msb 0                        ;  msbs: dst=0 src0=0 src1=0 src2=0
	v_dot4_i32_iu8 v219, v152, v153, v215 neg_lo:[1,1,0]
	ds_load_2addr_b32 v[214:215], v216 offset0:10 offset1:11
	ds_load_b128 v[228:231], v217 offset:33280
	ds_load_b128 v[232:235], v217 offset:33296
	;; [unrolled: 1-line block ×3, first 2 shown]
	s_set_vgpr_msb 64                       ;  msbs: dst=1 src0=0 src1=0 src2=0
	ds_load_b128 v[16:19] /*v[272:275]*/, v217 offset:33328
	s_set_vgpr_msb 0                        ;  msbs: dst=0 src0=0 src1=0 src2=0
	ds_load_2addr_b32 v[216:217], v216 offset0:12 offset1:13
	s_wait_dscnt 0x4
	s_set_vgpr_msb 64                       ;  msbs: dst=1 src0=0 src1=0 src2=0
	v_bfe_i32 v42 /*v298*/, v228, 0, 8
	v_perm_b32 v45 /*v301*/, v228, v228, 0xc0c0201
	v_perm_b32 v47 /*v303*/, v229, v228, 0x6050403
	;; [unrolled: 1-line block ×3, first 2 shown]
	s_set_vgpr_msb 0                        ;  msbs: dst=0 src0=0 src1=0 src2=0
	v_perm_b32 v153, v214, v213, 0x4030201
	s_set_vgpr_msb 1                        ;  msbs: dst=0 src0=1 src1=0 src2=0
	v_mul_i32_i24_e32 v251, v42 /*v298*/, v150
	s_set_vgpr_msb 0                        ;  msbs: dst=0 src0=0 src1=0 src2=0
	v_perm_b32 v213, v6, v5, 0x4030201
	s_set_vgpr_msb 64                       ;  msbs: dst=1 src0=0 src1=0 src2=0
	v_perm_b32 v56 /*v312*/, v231, v230, 0x6050403
	v_perm_b32 v5 /*v261*/, v215, v214, 0x4030201
	s_wait_dscnt 0x3
	s_set_vgpr_msb 0                        ;  msbs: dst=0 src0=0 src1=0 src2=0
	v_perm_b32 v21, v232, v121, 0x6050403
	s_set_vgpr_msb 5                        ;  msbs: dst=0 src0=1 src1=1 src2=0
	v_dot4_i32_iu8 v251, v45 /*v301*/, v9 /*v265*/, v251 neg_lo:[1,1,0]
	s_set_vgpr_msb 0                        ;  msbs: dst=0 src0=0 src1=0 src2=0
	v_dot4_i32_iu8 v219, v153, v213, v219 neg_lo:[1,1,0]
	v_perm_b32 v120, v148, v231, 0x6050403
	s_wait_dscnt 0x0
	s_set_vgpr_msb 64                       ;  msbs: dst=1 src0=0 src1=0 src2=0
	v_perm_b32 v6 /*v262*/, v216, v215, 0x4030201
	v_ashrrev_i32_e32 v50 /*v306*/, 24, v232
	s_set_vgpr_msb 5                        ;  msbs: dst=0 src0=1 src1=1 src2=0
	v_dot4_i32_iu8 v20, v47 /*v303*/, v10 /*v266*/, v251 neg_lo:[1,1,0]
	v_dot4_i32_iu8 v219, v5 /*v261*/, v41 /*v297*/, v219 neg_lo:[1,1,0]
	s_set_vgpr_msb 64                       ;  msbs: dst=1 src0=0 src1=0 src2=0
	v_perm_b32 v7 /*v263*/, v217, v216, 0x4030201
	v_perm_b32 v57 /*v313*/, v233, v233, 0xc0c0100
	;; [unrolled: 1-line block ×3, first 2 shown]
	s_set_vgpr_msb 5                        ;  msbs: dst=0 src0=1 src1=1 src2=0
	v_dot4_i32_iu8 v20, v55 /*v311*/, v11 /*v267*/, v20 neg_lo:[1,1,0]
	v_dot4_i32_iu8 v219, v6 /*v262*/, v44 /*v300*/, v219 neg_lo:[1,1,0]
	s_set_vgpr_msb 64                       ;  msbs: dst=1 src0=0 src1=0 src2=0
	v_perm_b32 v58 /*v314*/, v234, v233, 0x5040302
	v_perm_b32 v59 /*v315*/, v235, v234, 0x5040302
	s_set_vgpr_msb 0                        ;  msbs: dst=0 src0=0 src1=0 src2=0
	v_perm_b32 v251, v220, v138, 0xc0c0403
	s_set_vgpr_msb 5                        ;  msbs: dst=0 src0=1 src1=1 src2=0
	v_dot4_i32_iu8 v20, v56 /*v312*/, v12 /*v268*/, v20 neg_lo:[1,1,0]
	v_dot4_i32_iu8 v219, v7 /*v263*/, v46 /*v302*/, v219 neg_lo:[1,1,0]
	s_set_vgpr_msb 64                       ;  msbs: dst=1 src0=0 src1=0 src2=0
	v_perm_b32 v60 /*v316*/, v235, v235, 0xc0c0302
	s_set_vgpr_msb 0                        ;  msbs: dst=0 src0=0 src1=0 src2=0
	v_lshrrev_b16 v140, 8, v245
	s_set_vgpr_msb 64                       ;  msbs: dst=1 src0=0 src1=0 src2=0
	v_bfe_i32 v53 /*v309*/, v245, 0, 8
	s_set_vgpr_msb 0                        ;  msbs: dst=0 src0=0 src1=0 src2=0
	v_dot4_i32_iu8 v20, v120, v21, v20 neg_lo:[1,1,0]
	s_set_vgpr_msb 0x45                     ;  msbs: dst=1 src0=1 src1=1 src2=0
	v_dot4_i32_iu8 v49 /*v305*/, v8 /*v264*/, v48 /*v304*/, v219 neg_lo:[1,1,0]
	s_set_vgpr_msb 4                        ;  msbs: dst=0 src0=0 src1=1 src2=0
	ds_load_b64 v[218:219], v218 offset:43584
	v_mad_i32_i24 v21, v221, v15 /*v271*/, v222
	s_set_vgpr_msb 64                       ;  msbs: dst=1 src0=0 src1=0 src2=0
	v_bfe_i32 v52 /*v308*/, v245, 16, 8
	s_set_vgpr_msb 4                        ;  msbs: dst=0 src0=0 src1=1 src2=0
	v_mad_i32_i24 v20, v149, v50 /*v306*/, v20
	v_bfe_i32 v140, v140, 0, 8
	s_set_vgpr_msb 0                        ;  msbs: dst=0 src0=0 src1=0 src2=0
	v_perm_b32 v220, v246, v244, 0xc0c0400
	s_set_vgpr_msb 4                        ;  msbs: dst=0 src0=0 src1=1 src2=0
	v_dot4_i32_iu8 v21, v251, v61 /*v317*/, v21 neg_lo:[1,1,0]
	s_set_vgpr_msb 0x41                     ;  msbs: dst=1 src0=1 src1=0 src2=0
	v_bfe_i32 v54 /*v310*/, v19 /*v275*/, 0, 8
	s_set_vgpr_msb 5                        ;  msbs: dst=0 src0=1 src1=1 src2=0
	v_dot4_i32_iu8 v20, v13 /*v269*/, v57 /*v313*/, v20 neg_lo:[1,1,0]
	s_set_vgpr_msb 0                        ;  msbs: dst=0 src0=0 src1=0 src2=0
	v_mul_i32_i24_e32 v138, v140, v240
	s_set_vgpr_msb 1                        ;  msbs: dst=0 src0=1 src1=0 src2=0
	v_mul_i32_i24_e32 v140, v52 /*v308*/, v239
	s_set_vgpr_msb 0                        ;  msbs: dst=0 src0=0 src1=0 src2=0
	v_mul_lo_u32 v120, v21, v154
	v_perm_b32 v234, v11, v10, 0x4030201
	s_set_vgpr_msb 5                        ;  msbs: dst=0 src0=1 src1=1 src2=0
	v_dot4_i32_iu8 v20, v14 /*v270*/, v58 /*v314*/, v20 neg_lo:[1,1,0]
	s_set_vgpr_msb 64                       ;  msbs: dst=1 src0=0 src1=0 src2=0
	v_perm_b32 v52 /*v308*/, v11, v11, 0xc070601
	s_set_vgpr_msb 0                        ;  msbs: dst=0 src0=0 src1=0 src2=0
	v_perm_b32 v239, v16, v147, 0x5040302
	v_perm_b32 v240, v17, v16, 0x5040302
	s_set_vgpr_msb 1                        ;  msbs: dst=0 src0=1 src1=0 src2=0
	v_perm_b32 v221, v24 /*v280*/, v211, 0x5040302
	v_dot4_i32_iu8 v20, v59 /*v315*/, v252, v20 neg_lo:[1,1,0]
	s_set_vgpr_msb 64                       ;  msbs: dst=1 src0=0 src1=0 src2=0
	v_bfe_i32 v51 /*v307*/, v244, 0, 8
	s_wait_dscnt 0x0
	v_cvt_f32_f16_e64 v29 /*v285*/, v218
	s_set_vgpr_msb 0                        ;  msbs: dst=0 src0=0 src1=0 src2=0
	v_lshrrev_b32_e32 v218, 16, v218
	s_set_vgpr_msb 64                       ;  msbs: dst=1 src0=0 src1=0 src2=0
	v_cvt_f32_f16_e64 v33 /*v289*/, v219
	s_set_vgpr_msb 4                        ;  msbs: dst=0 src0=0 src1=1 src2=0
	v_dot4_i32_iu8 v20, v251, v60 /*v316*/, v20 neg_lo:[1,1,0]
	s_set_vgpr_msb 0                        ;  msbs: dst=0 src0=0 src1=0 src2=0
	v_lshrrev_b32_e32 v219, 16, v219
	s_set_vgpr_msb 64                       ;  msbs: dst=1 src0=0 src1=0 src2=0
	v_bfe_i32 v43 /*v299*/, v228, 8, 8
	v_cvt_f32_f16_e64 v31 /*v287*/, v218
	s_set_vgpr_msb 0                        ;  msbs: dst=0 src0=0 src1=0 src2=0
	v_ashrrev_i32_e32 v218, 24, v245
	v_mul_lo_u32 v20, v20, v154
	s_set_vgpr_msb 64                       ;  msbs: dst=1 src0=0 src1=0 src2=0
	v_cvt_f32_f16_e64 v35 /*v291*/, v219
	s_set_vgpr_msb 0                        ;  msbs: dst=0 src0=0 src1=0 src2=0
	v_perm_b32 v219, v214, v212, 0xc0c0400
	s_set_vgpr_msb 4                        ;  msbs: dst=0 src0=0 src1=1 src2=0
	v_pk_fma_f32 v[136:137], v[126:127], v[30:31] /*v[286:287]*/, 0 op_sel_hi:[0,1,0]
	s_set_vgpr_msb 0                        ;  msbs: dst=0 src0=0 src1=0 src2=0
	v_mul_i32_i24_e32 v141, v218, v238
	s_set_vgpr_msb 1                        ;  msbs: dst=0 src0=1 src1=0 src2=0
	v_mul_i32_i24_e32 v218, v54 /*v310*/, v236
	s_set_vgpr_msb 0                        ;  msbs: dst=0 src0=0 src1=0 src2=0
	v_perm_b32 v236, v145, v144, 0x5040302
	v_perm_b32 v238, v147, v146, 0x5040302
	s_set_vgpr_msb 4                        ;  msbs: dst=0 src0=0 src1=1 src2=0
	v_pk_fma_f32 v[136:137], v[122:123], v[34:35] /*v[290:291]*/, v[136:137] op_sel_hi:[0,1,1]
	s_set_vgpr_msb 1                        ;  msbs: dst=0 src0=1 src1=0 src2=0
	v_cvt_f32_ubyte1_e32 v144, v20 /*v276*/
	v_bfe_i32 v222, v26 /*v282*/, 0, 8
	s_set_vgpr_msb 0                        ;  msbs: dst=0 src0=0 src1=0 src2=0
	v_cvt_f32_i32_e32 v21, v20
	v_cvt_f32_i32_e32 v20, v120
	s_set_vgpr_msb 1                        ;  msbs: dst=0 src0=1 src1=0 src2=0
	v_mul_i32_i24_e32 v120, v53 /*v309*/, v243
	s_set_vgpr_msb 0                        ;  msbs: dst=0 src0=0 src1=0 src2=0
	v_perm_b32 v243, v125, v125, 0xc030201
	v_pk_mul_f32 v[136:137], v[136:137], v[112:113]
	s_set_vgpr_msb 1                        ;  msbs: dst=0 src0=1 src1=0 src2=0
	v_pk_fma_f32 v[20:21], v[28:29] /*v[284:285]*/, v[20:21], 0 op_sel_hi:[1,1,0]
	s_set_vgpr_msb 0                        ;  msbs: dst=0 src0=0 src1=0 src2=0
	v_dot4_i32_iu8 v120, v220, v219, v120 neg_lo:[1,1,0]
	v_perm_b32 v219, v214, v212, 0xc0c0602
	v_perm_b32 v220, v246, v244, 0xc0c0602
	s_delay_alu instid0(VALU_DEP_1) | instskip(SKIP_4) | instid1(VALU_DEP_2)
	v_dot4_i32_iu8 v140, v220, v219, v140 neg_lo:[1,1,0]
	v_perm_b32 v219, v214, v212, 0xc0c0501
	v_perm_b32 v212, v214, v212, 0xc0c0703
	;; [unrolled: 1-line block ×4, first 2 shown]
	v_dot4_i32_iu8 v141, v214, v212, v141 neg_lo:[1,1,0]
	v_perm_b32 v212, v216, v215, 0xc0c0703
	v_perm_b32 v214, v124, v217, 0x7030c0c
	s_delay_alu instid0(VALU_DEP_4)
	v_dot4_i32_iu8 v138, v220, v219, v138 neg_lo:[1,1,0]
	s_set_vgpr_msb 5                        ;  msbs: dst=0 src0=1 src1=1 src2=0
	v_perm_b32 v219, v18 /*v274*/, v17 /*v273*/, 0x7030c0c
	v_and_b32_e32 v220, 0xffff, v21 /*v277*/
	s_set_vgpr_msb 0                        ;  msbs: dst=0 src0=0 src1=0 src2=0
	v_or_b32_e32 v212, v214, v212
	s_set_vgpr_msb 1                        ;  msbs: dst=0 src0=1 src1=0 src2=0
	v_perm_b32 v214, v16 /*v272*/, v247, 0xc0c0703
	s_set_vgpr_msb 0                        ;  msbs: dst=0 src0=0 src1=0 src2=0
	s_delay_alu instid0(VALU_DEP_1) | instskip(SKIP_3) | instid1(VALU_DEP_2)
	v_or_b32_e32 v214, v219, v214
	s_set_vgpr_msb 5                        ;  msbs: dst=0 src0=1 src1=1 src2=0
	v_perm_b32 v219, v18 /*v274*/, v17 /*v273*/, 0x5010c0c
	s_set_vgpr_msb 0                        ;  msbs: dst=0 src0=0 src1=0 src2=0
	v_dot4_i32_iu8 v141, v214, v212, v141 neg_lo:[1,1,0]
	v_perm_b32 v212, v216, v215, 0xc0c0501
	v_perm_b32 v214, v124, v217, 0x5010c0c
	s_delay_alu instid0(VALU_DEP_1) | instskip(SKIP_3) | instid1(VALU_DEP_1)
	v_or_b32_e32 v212, v214, v212
	s_set_vgpr_msb 1                        ;  msbs: dst=0 src0=1 src1=0 src2=0
	v_perm_b32 v214, v16 /*v272*/, v247, 0xc0c0501
	s_set_vgpr_msb 0                        ;  msbs: dst=0 src0=0 src1=0 src2=0
	v_or_b32_e32 v214, v219, v214
	s_set_vgpr_msb 5                        ;  msbs: dst=0 src0=1 src1=1 src2=0
	v_perm_b32 v219, v18 /*v274*/, v17 /*v273*/, 0x6020c0c
	s_set_vgpr_msb 0                        ;  msbs: dst=0 src0=0 src1=0 src2=0
	s_delay_alu instid0(VALU_DEP_2) | instskip(SKIP_2) | instid1(VALU_DEP_3)
	v_dot4_i32_iu8 v138, v214, v212, v138 neg_lo:[1,1,0]
	v_perm_b32 v212, v216, v215, 0xc0c0602
	v_perm_b32 v214, v124, v217, 0x6020c0c
	v_add_nc_u32_e32 v138, v138, v141
	s_delay_alu instid0(VALU_DEP_2) | instskip(SKIP_3) | instid1(VALU_DEP_1)
	v_or_b32_e32 v212, v214, v212
	s_set_vgpr_msb 1                        ;  msbs: dst=0 src0=1 src1=0 src2=0
	v_perm_b32 v214, v16 /*v272*/, v247, 0xc0c0602
	s_set_vgpr_msb 0                        ;  msbs: dst=0 src0=0 src1=0 src2=0
	v_or_b32_e32 v214, v219, v214
	v_perm_b32 v219, v211, v210, 0x5040302
	s_delay_alu instid0(VALU_DEP_2)
	v_dot4_i32_iu8 v140, v214, v212, v140 neg_lo:[1,1,0]
	v_perm_b32 v212, v216, v215, 0xc0c0400
	v_perm_b32 v214, v124, v217, 0x4000c0c
	s_set_vgpr_msb 5                        ;  msbs: dst=0 src0=1 src1=1 src2=0
	v_perm_b32 v215, v18 /*v274*/, v17 /*v273*/, 0x4000c0c
	s_set_vgpr_msb 0                        ;  msbs: dst=0 src0=0 src1=0 src2=0
	v_perm_b32 v216, v208, v207, 0x5040302
	v_perm_b32 v217, v209, v208, 0x5040302
	v_or_b32_e32 v212, v214, v212
	s_set_vgpr_msb 1                        ;  msbs: dst=0 src0=1 src1=0 src2=0
	v_perm_b32 v214, v16 /*v272*/, v247, 0xc0c0400
	s_set_vgpr_msb 0                        ;  msbs: dst=0 src0=0 src1=0 src2=0
	s_delay_alu instid0(VALU_DEP_1) | instskip(SKIP_1) | instid1(VALU_DEP_2)
	v_or_b32_e32 v214, v215, v214
	v_perm_b32 v215, v207, v206, 0x5040302
	v_dot4_i32_iu8 v120, v214, v212, v120 neg_lo:[1,1,0]
	v_bfe_i32 v214, v206, 8, 8
	v_and_b32_e32 v212, 0xff, v19
	s_delay_alu instid0(VALU_DEP_3) | instskip(NEXT) | instid1(VALU_DEP_1)
	v_add_nc_u32_e32 v120, v120, v140
	v_add3_u32 v120, v120, v138, v218
	v_perm_b32 v138, v125, v124, 0x4030201
	v_perm_b32 v218, v210, v209, 0x5040302
	s_set_vgpr_msb 4                        ;  msbs: dst=0 src0=0 src1=1 src2=0
	v_and_b32_e32 v209, 0xffff, v40 /*v296*/
	s_set_vgpr_msb 16                       ;  msbs: dst=0 src0=0 src1=0 src2=1
	v_dot4_i32_iu8 v138, v138, v234, v49 /*v305*/ neg_lo:[1,1,0]
	s_set_vgpr_msb 0x45                     ;  msbs: dst=1 src0=1 src1=1 src2=0
	v_perm_b32 v49 /*v305*/, v19 /*v275*/, v19 /*v275*/, 0xc070601
	s_set_vgpr_msb 4                        ;  msbs: dst=0 src0=0 src1=1 src2=0
	s_delay_alu instid0(VALU_DEP_2) | instskip(NEXT) | instid1(VALU_DEP_2)
	v_dot4_i32_iu8 v11, v243, v52 /*v308*/, v138 neg_lo:[1,1,0]
	v_dot4_i32_iu8 v120, v243, v49 /*v305*/, v120 neg_lo:[1,1,0]
	s_set_vgpr_msb 1                        ;  msbs: dst=0 src0=1 src1=0 src2=0
	v_cvt_f32_ubyte0_e32 v138, v39 /*v295*/
	s_set_vgpr_msb 0                        ;  msbs: dst=0 src0=0 src1=0 src2=0
	v_mul_lo_u32 v11, v11, v123
	v_mul_lo_u32 v120, v120, v123
	s_delay_alu instid0(VALU_DEP_2)
	v_cvt_f32_i32_e32 v140, v11
	v_dot4_i32_iu8 v11, v236, v213, v237 neg_lo:[1,1,0]
	v_perm_b32 v237, v146, v145, 0x5040302
	v_bfe_i32 v213, v206, 0, 8
	v_cvt_f32_i32_e32 v141, v120
	v_perm_b32 v120, v8, v8, 0xc0c0100
	v_perm_b32 v145, v8, v8, 0xc0c0302
	s_set_vgpr_msb 4                        ;  msbs: dst=0 src0=0 src1=1 src2=0
	v_dot4_i32_iu8 v11, v237, v41 /*v297*/, v11 neg_lo:[1,1,0]
	s_set_vgpr_msb 64                       ;  msbs: dst=1 src0=0 src1=0 src2=0
	v_perm_b32 v41 /*v297*/, v9, v9, 0xc0c0100
	s_set_vgpr_msb 1                        ;  msbs: dst=0 src0=1 src1=0 src2=0
	v_pk_fma_f32 v[20:21], v[32:33] /*v[288:289]*/, v[140:141], v[20:21]
	s_set_vgpr_msb 4                        ;  msbs: dst=0 src0=0 src1=1 src2=0
	v_dot4_i32_iu8 v11, v238, v44 /*v300*/, v11 neg_lo:[1,1,0]
	s_set_vgpr_msb 64                       ;  msbs: dst=1 src0=0 src1=0 src2=0
	v_perm_b32 v44 /*v300*/, v9, v9, 0xc0c0302
	s_set_vgpr_msb 0                        ;  msbs: dst=0 src0=0 src1=0 src2=0
	v_pk_fma_f32 v[20:21], v[20:21], v[22:23], v[136:137] neg_lo:[0,0,1] neg_hi:[0,0,1]
	s_set_vgpr_msb 1                        ;  msbs: dst=0 src0=1 src1=0 src2=0
	ds_load_2addr_b32 v[146:147], v22 /*v278*/ offset0:12 offset1:13
	ds_load_2addr_b32 v[136:137], v22 /*v278*/ offset0:14 offset1:15
	s_set_vgpr_msb 4                        ;  msbs: dst=0 src0=0 src1=1 src2=0
	v_dot4_i32_iu8 v11, v239, v46 /*v302*/, v11 neg_lo:[1,1,0]
	s_set_vgpr_msb 64                       ;  msbs: dst=1 src0=0 src1=0 src2=0
	v_perm_b32 v46 /*v302*/, v10, v10, 0xc0c0100
	s_set_vgpr_msb 0                        ;  msbs: dst=0 src0=0 src1=0 src2=0
	v_pk_add_f32 v[62:63], v[62:63], v[20:21]
	v_perm_b32 v20, v245, v244, 0x4030201
	v_perm_b32 v21, v246, v245, 0x4030201
	s_set_vgpr_msb 4                        ;  msbs: dst=0 src0=0 src1=1 src2=0
	v_dot4_i32_iu8 v16, v240, v48 /*v304*/, v11 neg_lo:[1,1,0]
	s_set_vgpr_msb 0                        ;  msbs: dst=0 src0=0 src1=0 src2=0
	v_mul_i32_i24_e32 v11, v213, v130
	s_set_vgpr_msb 64                       ;  msbs: dst=1 src0=0 src1=0 src2=0
	v_perm_b32 v48 /*v304*/, v10, v10, 0xc0c0302
	s_set_vgpr_msb 5                        ;  msbs: dst=0 src0=1 src1=1 src2=0
	v_perm_b32 v244, v27 /*v283*/, v26 /*v282*/, 0x4030201
	s_set_vgpr_msb 4                        ;  msbs: dst=0 src0=0 src1=1 src2=0
	v_perm_b32 v245, v132, v27 /*v283*/, 0x4030201
	s_set_vgpr_msb 0                        ;  msbs: dst=0 src0=0 src1=0 src2=0
	v_mad_i32_i24 v11, v214, v142, v11
	s_set_vgpr_msb 1                        ;  msbs: dst=0 src0=1 src1=0 src2=0
	v_cvt_f32_ubyte1_e32 v142, v39 /*v295*/
	s_set_vgpr_msb 0                        ;  msbs: dst=0 src0=0 src1=0 src2=0
	s_delay_alu instid0(VALU_DEP_2) | instskip(SKIP_3) | instid1(VALU_DEP_2)
	v_dot4_i32_iu8 v11, v215, v12, v11 neg_lo:[1,1,0]
	v_perm_b32 v12, v14, v13, 0x5040302
	s_wait_dscnt 0x0
	v_bfe_i32 v19, v137, 0, 8
	v_dot4_i32_iu8 v11, v216, v12, v11 neg_lo:[1,1,0]
	v_perm_b32 v12, v15, v14, 0x5040302
	s_delay_alu instid0(VALU_DEP_1) | instskip(SKIP_4) | instid1(VALU_DEP_4)
	v_dot4_i32_iu8 v11, v217, v12, v11 neg_lo:[1,1,0]
	v_perm_b32 v12, v0, v15, 0x5040302
	v_perm_b32 v0, v1, v0, 0x5040302
	;; [unrolled: 1-line block ×4, first 2 shown]
	v_dot4_i32_iu8 v11, v218, v12, v11 neg_lo:[1,1,0]
	s_delay_alu instid0(VALU_DEP_1) | instskip(NEXT) | instid1(VALU_DEP_1)
	v_dot4_i32_iu8 v0, v219, v0, v11 neg_lo:[1,1,0]
	v_dot4_i32_iu8 v235, v221, v1, v0 neg_lo:[1,1,0]
	s_set_vgpr_msb 1                        ;  msbs: dst=0 src0=1 src1=0 src2=0
	v_dot4_i32_iu8 v0, v26 /*v282*/, v4, 0 neg_lo:[1,1,0]
	s_set_vgpr_msb 0                        ;  msbs: dst=0 src0=0 src1=0 src2=0
	v_perm_b32 v1, v146, v146, 0xc0c0100
	s_set_vgpr_msb 1                        ;  msbs: dst=0 src0=1 src1=0 src2=0
	s_delay_alu instid0(VALU_DEP_2) | instskip(SKIP_1) | instid1(VALU_DEP_1)
	v_dot4_i32_iu8 v0, v27 /*v283*/, v5, v0 neg_lo:[1,1,0]
	s_set_vgpr_msb 0                        ;  msbs: dst=0 src0=0 src1=0 src2=0
	v_dot4_i32_iu8 v0, v132, v6, v0 neg_lo:[1,1,0]
	s_delay_alu instid0(VALU_DEP_1) | instskip(NEXT) | instid1(VALU_DEP_1)
	v_dot4_i32_iu8 v0, v133, v7, v0 neg_lo:[1,1,0]
	v_dot4_i32_iu8 v0, v120, v1, v0 neg_lo:[1,1,0]
	v_perm_b32 v1, v146, v146, 0xc0c0302
	s_delay_alu instid0(VALU_DEP_1) | instskip(SKIP_2) | instid1(VALU_DEP_1)
	v_dot4_i32_iu8 v0, v145, v1, v0 neg_lo:[1,1,0]
	v_perm_b32 v1, v147, v147, 0xc0c0100
	s_set_vgpr_msb 1                        ;  msbs: dst=0 src0=1 src1=0 src2=0
	v_dot4_i32_iu8 v0, v41 /*v297*/, v1, v0 neg_lo:[1,1,0]
	s_set_vgpr_msb 0                        ;  msbs: dst=0 src0=0 src1=0 src2=0
	v_perm_b32 v1, v147, v147, 0xc0c0302
	s_set_vgpr_msb 1                        ;  msbs: dst=0 src0=1 src1=0 src2=0
	s_delay_alu instid0(VALU_DEP_1) | instskip(SKIP_3) | instid1(VALU_DEP_1)
	v_dot4_i32_iu8 v0, v44 /*v300*/, v1, v0 neg_lo:[1,1,0]
	s_set_vgpr_msb 0                        ;  msbs: dst=0 src0=0 src1=0 src2=0
	v_perm_b32 v1, v136, v136, 0xc0c0100
	s_set_vgpr_msb 1                        ;  msbs: dst=0 src0=1 src1=0 src2=0
	v_dot4_i32_iu8 v0, v46 /*v302*/, v1, v0 neg_lo:[1,1,0]
	s_set_vgpr_msb 0                        ;  msbs: dst=0 src0=0 src1=0 src2=0
	v_perm_b32 v1, v136, v136, 0xc0c0302
	s_set_vgpr_msb 0x41                     ;  msbs: dst=1 src0=1 src1=0 src2=0
	s_delay_alu instid0(VALU_DEP_1)
	v_dot4_i32_iu8 v53 /*v309*/, v48 /*v304*/, v1, v0 neg_lo:[1,1,0]
	s_set_vgpr_msb 1                        ;  msbs: dst=0 src0=1 src1=0 src2=0
	ds_load_2addr_b32 v[0:1], v38 /*v294*/ offset1:1
	ds_load_2addr_b32 v[140:141], v38 /*v294*/ offset0:2 offset1:3
	ds_load_b32 v206, v38 /*v294*/ offset:16
	ds_load_b128 v[8:11], v38 /*v294*/ offset:19
	s_set_vgpr_msb 0x41                     ;  msbs: dst=1 src0=1 src1=0 src2=0
	ds_load_b96 v[20:22] /*v[276:278]*/, v38 /*v294*/ offset:35
	s_set_vgpr_msb 1                        ;  msbs: dst=0 src0=1 src1=0 src2=0
	ds_load_b128 v[12:15], v38 /*v294*/ offset:47
	s_set_vgpr_msb 0x41                     ;  msbs: dst=1 src0=1 src1=0 src2=0
	ds_load_i8 v38 /*v294*/, v38 /*v294*/ offset:63
	s_wait_dscnt 0x3
	s_set_vgpr_msb 0                        ;  msbs: dst=0 src0=0 src1=0 src2=0
	v_bfe_i32 v211, v11, 8, 8
	v_bfe_i32 v208, v8, 0, 8
	;; [unrolled: 1-line block ×3, first 2 shown]
	v_perm_b32 v210, v1, v0, 0x4030201
	s_set_vgpr_msb 64                       ;  msbs: dst=1 src0=0 src1=0 src2=0
	v_bfe_i32 v39 /*v295*/, v10, 16, 8
	s_set_vgpr_msb 0                        ;  msbs: dst=0 src0=0 src1=0 src2=0
	v_mul_i32_i24_e32 v130, v207, v130
	s_delay_alu instid0(VALU_DEP_1) | instskip(SKIP_1) | instid1(VALU_DEP_1)
	v_dot4_i32_iu8 v130, v210, v223, v130 neg_lo:[1,1,0]
	v_perm_b32 v210, v140, v1, 0x4030201
	v_dot4_i32_iu8 v130, v210, v241, v130 neg_lo:[1,1,0]
	v_perm_b32 v210, v141, v140, 0x4030201
	s_delay_alu instid0(VALU_DEP_1)
	v_dot4_i32_iu8 v130, v210, v242, v130 neg_lo:[1,1,0]
	s_wait_dscnt 0x2
	s_set_vgpr_msb 1                        ;  msbs: dst=0 src0=1 src1=0 src2=0
	v_perm_b32 v242, v20 /*v276*/, v11, 0x4030201
	s_set_vgpr_msb 0                        ;  msbs: dst=0 src0=0 src1=0 src2=0
	v_perm_b32 v210, v206, v141, 0x4030201
	s_delay_alu instid0(VALU_DEP_2)
	v_dot4_i32_iu8 v4, v242, v4, 0 neg_lo:[1,1,0]
	s_set_vgpr_msb 5                        ;  msbs: dst=0 src0=1 src1=1 src2=0
	v_perm_b32 v242, v21 /*v277*/, v20 /*v276*/, 0x4030201
	s_set_vgpr_msb 0                        ;  msbs: dst=0 src0=0 src1=0 src2=0
	v_dot4_i32_iu8 v130, v210, v250, v130 neg_lo:[1,1,0]
	v_perm_b32 v210, v206, v206, 0xc0c0201
	s_set_vgpr_msb 5                        ;  msbs: dst=0 src0=1 src1=1 src2=0
	v_perm_b32 v250, v25 /*v281*/, v25 /*v281*/, 0xc0c0302
	s_set_vgpr_msb 0                        ;  msbs: dst=0 src0=0 src1=0 src2=0
	v_dot4_i32_iu8 v4, v242, v5, v4 neg_lo:[1,1,0]
	s_set_vgpr_msb 5                        ;  msbs: dst=0 src0=1 src1=1 src2=0
	v_perm_b32 v5, v22 /*v278*/, v21 /*v277*/, 0x4030201
	s_set_vgpr_msb 0                        ;  msbs: dst=0 src0=0 src1=0 src2=0
	v_dot4_i32_iu8 v130, v253, v210, v130 neg_lo:[1,1,0]
	v_perm_b32 v210, v8, v8, 0xc0c0100
	v_perm_b32 v253, v248, v248, 0xc0c0201
	s_set_vgpr_msb 1                        ;  msbs: dst=0 src0=1 src1=0 src2=0
	v_perm_b32 v242, v36 /*v292*/, v18, 0xc040302
	s_set_vgpr_msb 0                        ;  msbs: dst=0 src0=0 src1=0 src2=0
	v_dot4_i32_iu8 v4, v5, v6, v4 neg_lo:[1,1,0]
	s_wait_dscnt 0x1
	s_set_vgpr_msb 4                        ;  msbs: dst=0 src0=0 src1=1 src2=0
	v_perm_b32 v5, v12, v22 /*v278*/, 0x4030201
	s_set_vgpr_msb 0                        ;  msbs: dst=0 src0=0 src1=0 src2=0
	v_dot4_i32_iu8 v130, v254, v210, v130 neg_lo:[1,1,0]
	v_perm_b32 v210, v8, v8, 0xc0c0302
	v_perm_b32 v254, v249, v248, 0x6050403
	v_perm_b32 v6, v155, v231, 0x6050403
	v_dot4_i32_iu8 v4, v5, v7, v4 neg_lo:[1,1,0]
	v_perm_b32 v5, v12, v12, 0xc0c0201
	v_dot4_i32_iu8 v130, v255, v210, v130 neg_lo:[1,1,0]
	v_perm_b32 v210, v9, v9, 0xc0c0100
	v_perm_b32 v255, v134, v249, 0x6050403
	;; [unrolled: 1-line block ×3, first 2 shown]
	v_dot4_i32_iu8 v4, v120, v5, v4 neg_lo:[1,1,0]
	v_perm_b32 v5, v13, v12, 0xc0c0403
	s_set_vgpr_msb 1                        ;  msbs: dst=0 src0=1 src1=0 src2=0
	v_dot4_i32_iu8 v130, v0 /*v256*/, v210, v130 neg_lo:[1,1,0]
	s_set_vgpr_msb 64                       ;  msbs: dst=1 src0=0 src1=0 src2=0
	v_perm_b32 v0 /*v256*/, v135, v134, 0x6050403
	s_set_vgpr_msb 0                        ;  msbs: dst=0 src0=0 src1=0 src2=0
	v_perm_b32 v210, v9, v9, 0xc0c0302
	v_perm_b32 v134, v247, v246, 0x4030201
	v_dot4_i32_iu8 v4, v145, v5, v4 neg_lo:[1,1,0]
	v_perm_b32 v5, v13, v13, 0xc0c0201
	v_perm_b32 v246, v133, v132, 0x4030201
	s_set_vgpr_msb 1                        ;  msbs: dst=0 src0=1 src1=0 src2=0
	v_dot4_i32_iu8 v130, v1 /*v257*/, v210, v130 neg_lo:[1,1,0]
	s_set_vgpr_msb 0                        ;  msbs: dst=0 src0=0 src1=0 src2=0
	v_perm_b32 v210, v10, v10, 0xc0c0100
	s_set_vgpr_msb 64                       ;  msbs: dst=1 src0=0 src1=0 src2=0
	v_perm_b32 v1 /*v257*/, v224, v224, 0xc0c0201
	s_set_vgpr_msb 1                        ;  msbs: dst=0 src0=1 src1=0 src2=0
	v_dot4_i32_iu8 v4, v41 /*v297*/, v5, v4 neg_lo:[1,1,0]
	s_set_vgpr_msb 0                        ;  msbs: dst=0 src0=0 src1=0 src2=0
	v_perm_b32 v5, v14, v13, 0xc0c0403
	s_set_vgpr_msb 5                        ;  msbs: dst=0 src0=1 src1=1 src2=0
	v_perm_b32 v249, v25 /*v281*/, v24 /*v280*/, 0x5040302
	s_set_vgpr_msb 0x41                     ;  msbs: dst=1 src0=1 src1=0 src2=0
	v_dot4_i32_iu8 v40 /*v296*/, v2 /*v258*/, v210, v130 neg_lo:[1,1,0]
	s_set_vgpr_msb 1                        ;  msbs: dst=0 src0=1 src1=0 src2=0
	ds_load_u16 v130, v37 /*v293*/
	ds_load_u16 v223, v37 /*v293*/ offset:8
	s_set_vgpr_msb 64                       ;  msbs: dst=1 src0=0 src1=0 src2=0
	v_perm_b32 v2 /*v258*/, v225, v224, 0x6050403
	s_set_vgpr_msb 1                        ;  msbs: dst=0 src0=1 src1=0 src2=0
	v_dot4_i32_iu8 v4, v44 /*v300*/, v5, v4 neg_lo:[1,1,0]
	s_set_vgpr_msb 0                        ;  msbs: dst=0 src0=0 src1=0 src2=0
	v_perm_b32 v5, v14, v14, 0xc0c0201
	s_set_vgpr_msb 0x41                     ;  msbs: dst=1 src0=1 src1=0 src2=0
	v_perm_b32 v44 /*v300*/, v16 /*v272*/, v247, 0x4030201
	s_set_vgpr_msb 0x45                     ;  msbs: dst=1 src0=1 src1=1 src2=0
	v_perm_b32 v16 /*v272*/, v17 /*v273*/, v16 /*v272*/, 0x4030201
	v_perm_b32 v17 /*v273*/, v18 /*v274*/, v17 /*v273*/, 0x4030201
	;; [unrolled: 1-line block ×3, first 2 shown]
	s_set_vgpr_msb 1                        ;  msbs: dst=0 src0=1 src1=0 src2=0
	v_dot4_i32_iu8 v4, v46 /*v302*/, v5, v4 neg_lo:[1,1,0]
	s_set_vgpr_msb 0                        ;  msbs: dst=0 src0=0 src1=0 src2=0
	v_perm_b32 v5, v15, v14, 0xc0c0403
	v_perm_b32 v247, v147, v146, 0x4030201
	v_dot4_i32_iu8 v2, v249, v2, v235 neg_lo:[1,1,0]
	v_perm_b32 v147, v137, v137, 0xc030201
	v_perm_b32 v224, v1, v0, 0x6050403
	s_set_vgpr_msb 0x41                     ;  msbs: dst=1 src0=1 src1=0 src2=0
	v_dot4_i32_iu8 v41 /*v297*/, v48 /*v304*/, v5, v4 neg_lo:[1,1,0]
	s_set_vgpr_msb 1                        ;  msbs: dst=0 src0=1 src1=0 src2=0
	v_mul_i32_i24_e32 v4, v42 /*v298*/, v156
	s_set_vgpr_msb 0                        ;  msbs: dst=0 src0=0 src1=0 src2=0
	v_perm_b32 v5, v232, v135, 0x6050403
	s_set_vgpr_msb 4                        ;  msbs: dst=0 src0=0 src1=1 src2=0
	v_dot4_i32_iu8 v2, v250, v61 /*v317*/, v2 neg_lo:[1,1,0]
	s_set_vgpr_msb 64                       ;  msbs: dst=1 src0=0 src1=0 src2=0
	v_bfe_i32 v37 /*v293*/, v15, 8, 8
	s_wait_dscnt 0x1
	s_set_vgpr_msb 1                        ;  msbs: dst=0 src0=1 src1=0 src2=0
	v_lshrrev_b16 v241, 8, v130
	v_dot4_i32_iu8 v4, v45 /*v301*/, v253, v4 neg_lo:[1,1,0]
	v_and_b32_e32 v210, 0xff, v130
	s_wait_dscnt 0x0
	s_set_vgpr_msb 0                        ;  msbs: dst=0 src0=0 src1=0 src2=0
	v_cvt_f32_ubyte0_e32 v130, v223
	v_cvt_f32_ubyte1_e32 v120, v223
	v_and_b32_e32 v145, 0xffff, v241
	s_set_vgpr_msb 1                        ;  msbs: dst=0 src0=1 src1=0 src2=0
	v_dot4_i32_iu8 v4, v47 /*v303*/, v254, v4 neg_lo:[1,1,0]
	s_set_vgpr_msb 0                        ;  msbs: dst=0 src0=0 src1=0 src2=0
	v_perm_b32 v241, v18, v17, 0x5040302
	v_mul_lo_u32 v2, v2, v212
	v_perm_b32 v235, v11, v10, 0xc0c0403
	v_perm_b32 v132, v15, v14, 0x5040302
	s_set_vgpr_msb 1                        ;  msbs: dst=0 src0=1 src1=0 src2=0
	v_dot4_i32_iu8 v4, v55 /*v311*/, v255, v4 neg_lo:[1,1,0]
	s_set_vgpr_msb 0                        ;  msbs: dst=0 src0=0 src1=0 src2=0
	v_dot4_i32_iu8 v16, v241, v234, v16 neg_lo:[1,1,0]
	v_perm_b32 v234, v10, v9, 0x6050403
	s_set_vgpr_msb 5                        ;  msbs: dst=0 src0=1 src1=1 src2=0
	v_dot4_i32_iu8 v4, v56 /*v312*/, v0 /*v256*/, v4 neg_lo:[1,1,0]
	s_set_vgpr_msb 4                        ;  msbs: dst=0 src0=0 src1=1 src2=0
	v_dot4_i32_iu8 v16, v242, v52 /*v308*/, v16 neg_lo:[1,1,0]
	v_cvt_f32_i32_e32 v2, v2
	s_set_vgpr_msb 0                        ;  msbs: dst=0 src0=0 src1=0 src2=0
	v_dot4_i32_iu8 v4, v6, v5, v4 neg_lo:[1,1,0]
	s_set_vgpr_msb 1                        ;  msbs: dst=0 src0=1 src1=0 src2=0
	v_mul_i32_i24_e32 v5, v51 /*v307*/, v204
	s_set_vgpr_msb 0                        ;  msbs: dst=0 src0=0 src1=0 src2=0
	v_mul_lo_u32 v16, v16, v220
	s_set_vgpr_msb 4                        ;  msbs: dst=0 src0=0 src1=1 src2=0
	v_mad_i32_i24 v4, v157, v50 /*v306*/, v4
	s_set_vgpr_msb 0                        ;  msbs: dst=0 src0=0 src1=0 src2=0
	v_dot4_i32_iu8 v5, v20, v205, v5 neg_lo:[1,1,0]
	s_set_vgpr_msb 5                        ;  msbs: dst=0 src0=1 src1=1 src2=0
	s_delay_alu instid0(VALU_DEP_2) | instskip(SKIP_1) | instid1(VALU_DEP_2)
	v_dot4_i32_iu8 v4, v1 /*v257*/, v57 /*v313*/, v4 neg_lo:[1,1,0]
	s_set_vgpr_msb 0                        ;  msbs: dst=0 src0=0 src1=0 src2=0
	v_dot4_i32_iu8 v5, v21, v236, v5 neg_lo:[1,1,0]
	v_cvt_f32_i32_e32 v16, v16
	s_set_vgpr_msb 5                        ;  msbs: dst=0 src0=1 src1=1 src2=0
	v_dot4_i32_iu8 v4, v2 /*v258*/, v58 /*v314*/, v4 neg_lo:[1,1,0]
	s_set_vgpr_msb 0                        ;  msbs: dst=0 src0=0 src1=0 src2=0
	v_dot4_i32_iu8 v5, v134, v237, v5 neg_lo:[1,1,0]
	s_set_vgpr_msb 1                        ;  msbs: dst=0 src0=1 src1=0 src2=0
	s_delay_alu instid0(VALU_DEP_1) | instskip(NEXT) | instid1(VALU_DEP_1)
	v_dot4_i32_iu8 v5, v44 /*v300*/, v238, v5 neg_lo:[1,1,0]
	v_dot4_i32_iu8 v5, v16 /*v272*/, v239, v5 neg_lo:[1,1,0]
	s_delay_alu instid0(VALU_DEP_1)
	v_dot4_i32_iu8 v223, v17 /*v273*/, v240, v5 neg_lo:[1,1,0]
	s_set_vgpr_msb 21                       ;  msbs: dst=0 src0=1 src1=1 src2=1
	v_mad_i32_i24 v5, v3 /*v259*/, v15 /*v271*/, v4 /*v260*/
	s_set_vgpr_msb 64                       ;  msbs: dst=1 src0=0 src1=0 src2=0
	v_perm_b32 v3 /*v259*/, v226, v225, 0x6050403
	v_perm_b32 v4 /*v260*/, v227, v226, 0xc0c0403
	s_set_vgpr_msb 0                        ;  msbs: dst=0 src0=0 src1=0 src2=0
	v_perm_b32 v225, v140, v1, 0x6050403
	s_set_vgpr_msb 1                        ;  msbs: dst=0 src0=1 src1=0 src2=0
	v_dot4_i32_iu8 v17, v18 /*v274*/, v241, v223 neg_lo:[1,1,0]
	s_set_vgpr_msb 0                        ;  msbs: dst=0 src0=0 src1=0 src2=0
	v_perm_b32 v223, v0, v0, 0xc0c0201
	s_set_vgpr_msb 5                        ;  msbs: dst=0 src0=1 src1=1 src2=0
	v_dot4_i32_iu8 v4, v59 /*v315*/, v3 /*v259*/, v4 neg_lo:[1,1,0]
	v_dot4_i32_iu8 v5, v4 /*v260*/, v61 /*v317*/, v5 neg_lo:[1,1,0]
	s_set_vgpr_msb 0                        ;  msbs: dst=0 src0=0 src1=0 src2=0
	v_perm_b32 v140, v141, v140, 0x6050403
	s_set_vgpr_msb 4                        ;  msbs: dst=0 src0=0 src1=1 src2=0
	v_dot4_i32_iu8 v17, v242, v49 /*v305*/, v17 neg_lo:[1,1,0]
	s_set_vgpr_msb 0                        ;  msbs: dst=0 src0=0 src1=0 src2=0
	v_perm_b32 v1, v232, v141, 0x6050403
	s_set_vgpr_msb 5                        ;  msbs: dst=0 src0=1 src1=1 src2=0
	v_dot4_i32_iu8 v4, v4 /*v260*/, v60 /*v316*/, v4 neg_lo:[1,1,0]
	s_set_vgpr_msb 0                        ;  msbs: dst=0 src0=0 src1=0 src2=0
	v_mul_lo_u32 v6, v5, v203
	v_perm_b32 v226, v8, v8, 0xc0c0201
	v_mul_lo_u32 v17, v17, v220
	v_perm_b32 v227, v9, v8, 0x6050403
	v_mul_lo_u32 v4, v4, v203
	s_delay_alu instid0(VALU_DEP_3) | instskip(NEXT) | instid1(VALU_DEP_2)
	v_cvt_f32_i32_e32 v17, v17
	v_cvt_f32_i32_e32 v5, v4
	;; [unrolled: 1-line block ×3, first 2 shown]
	s_set_vgpr_msb 4                        ;  msbs: dst=0 src0=0 src1=1 src2=0
	v_pk_fma_f32 v[6:7], v[128:129], v[30:31] /*v[286:287]*/, 0 op_sel_hi:[0,1,0]
	s_set_vgpr_msb 1                        ;  msbs: dst=0 src0=1 src1=0 src2=0
	s_delay_alu instid0(VALU_DEP_2) | instskip(SKIP_1) | instid1(VALU_DEP_2)
	v_pk_fma_f32 v[4:5], v[28:29] /*v[284:285]*/, v[4:5], 0 op_sel_hi:[1,1,0]
	s_set_vgpr_msb 4                        ;  msbs: dst=0 src0=0 src1=1 src2=0
	v_pk_fma_f32 v[6:7], v[144:145], v[34:35] /*v[290:291]*/, v[6:7] op_sel_hi:[0,1,1]
	s_set_vgpr_msb 1                        ;  msbs: dst=0 src0=1 src1=0 src2=0
	s_delay_alu instid0(VALU_DEP_2) | instskip(SKIP_1) | instid1(VALU_DEP_2)
	v_pk_fma_f32 v[4:5], v[32:33] /*v[288:289]*/, v[16:17], v[4:5]
	s_set_vgpr_msb 0                        ;  msbs: dst=0 src0=0 src1=0 src2=0
	v_pk_mul_f32 v[6:7], v[6:7], v[114:115]
	s_delay_alu instid0(VALU_DEP_1) | instskip(SKIP_2) | instid1(VALU_DEP_3)
	v_pk_fma_f32 v[4:5], v[4:5], v[24:25], v[6:7] neg_lo:[0,0,1] neg_hi:[0,0,1]
	v_perm_b32 v6, v146, v133, 0x4030201
	v_perm_b32 v7, v137, v136, 0x4030201
	v_pk_add_f32 v[60:61], v[60:61], v[4:5]
	s_set_vgpr_msb 1                        ;  msbs: dst=0 src0=1 src1=0 src2=0
	v_mul_i32_i24_e32 v4, v42 /*v298*/, v213
	s_set_vgpr_msb 0                        ;  msbs: dst=0 src0=0 src1=0 src2=0
	v_perm_b32 v5, v229, v228, 0x5040302
	s_set_vgpr_msb 1                        ;  msbs: dst=0 src0=1 src1=0 src2=0
	v_perm_b32 v228, v20 /*v276*/, v11, 0x5040302
	v_mad_i32_i24 v4, v43 /*v299*/, v214, v4
	s_set_vgpr_msb 0                        ;  msbs: dst=0 src0=0 src1=0 src2=0
	s_delay_alu instid0(VALU_DEP_1) | instskip(SKIP_4) | instid1(VALU_DEP_2)
	v_dot4_i32_iu8 v4, v5, v215, v4 neg_lo:[1,1,0]
	v_perm_b32 v5, v230, v229, 0x5040302
	s_set_vgpr_msb 5                        ;  msbs: dst=0 src0=1 src1=1 src2=0
	v_perm_b32 v229, v21 /*v277*/, v20 /*v276*/, 0x5040302
	s_set_vgpr_msb 0                        ;  msbs: dst=0 src0=0 src1=0 src2=0
	v_dot4_i32_iu8 v4, v5, v216, v4 neg_lo:[1,1,0]
	v_perm_b32 v5, v231, v230, 0x5040302
	s_set_vgpr_msb 5                        ;  msbs: dst=0 src0=1 src1=1 src2=0
	v_perm_b32 v230, v22 /*v278*/, v21 /*v277*/, 0x5040302
	s_set_vgpr_msb 0                        ;  msbs: dst=0 src0=0 src1=0 src2=0
	s_delay_alu instid0(VALU_DEP_2) | instskip(SKIP_1) | instid1(VALU_DEP_1)
	v_dot4_i32_iu8 v4, v5, v217, v4 neg_lo:[1,1,0]
	v_perm_b32 v5, v232, v231, 0x5040302
	v_dot4_i32_iu8 v4, v5, v218, v4 neg_lo:[1,1,0]
	v_perm_b32 v5, v233, v232, 0x5040302
	v_perm_b32 v232, v13, v12, 0x5040302
	;; [unrolled: 1-line block ×3, first 2 shown]
	s_delay_alu instid0(VALU_DEP_3) | instskip(SKIP_2) | instid1(VALU_DEP_2)
	v_dot4_i32_iu8 v4, v5, v219, v4 neg_lo:[1,1,0]
	s_set_vgpr_msb 1                        ;  msbs: dst=0 src0=1 src1=0 src2=0
	v_mul_i32_i24_e32 v5, v51 /*v307*/, v222
	v_dot4_i32_iu8 v4, v58 /*v314*/, v221, v4 neg_lo:[1,1,0]
	s_set_vgpr_msb 0                        ;  msbs: dst=0 src0=0 src1=0 src2=0
	s_delay_alu instid0(VALU_DEP_2) | instskip(SKIP_1) | instid1(VALU_DEP_2)
	v_dot4_i32_iu8 v5, v20, v244, v5 neg_lo:[1,1,0]
	s_set_vgpr_msb 1                        ;  msbs: dst=0 src0=1 src1=0 src2=0
	v_dot4_i32_iu8 v3, v59 /*v315*/, v249, v4 neg_lo:[1,1,0]
	s_set_vgpr_msb 0                        ;  msbs: dst=0 src0=0 src1=0 src2=0
	s_delay_alu instid0(VALU_DEP_2) | instskip(SKIP_1) | instid1(VALU_DEP_2)
	v_dot4_i32_iu8 v5, v21, v245, v5 neg_lo:[1,1,0]
	s_set_vgpr_msb 4                        ;  msbs: dst=0 src0=0 src1=1 src2=0
	v_dot4_i32_iu8 v3, v250, v60 /*v316*/, v3 neg_lo:[1,1,0]
	s_set_vgpr_msb 0                        ;  msbs: dst=0 src0=0 src1=0 src2=0
	s_delay_alu instid0(VALU_DEP_2) | instskip(NEXT) | instid1(VALU_DEP_2)
	v_dot4_i32_iu8 v5, v134, v246, v5 neg_lo:[1,1,0]
	v_mul_lo_u32 v3, v3, v212
	s_set_vgpr_msb 1                        ;  msbs: dst=0 src0=1 src1=0 src2=0
	s_delay_alu instid0(VALU_DEP_2) | instskip(NEXT) | instid1(VALU_DEP_1)
	v_dot4_i32_iu8 v5, v44 /*v300*/, v6, v5 neg_lo:[1,1,0]
	v_dot4_i32_iu8 v5, v16 /*v272*/, v247, v5 neg_lo:[1,1,0]
	s_delay_alu instid0(VALU_DEP_1) | instskip(SKIP_1) | instid1(VALU_DEP_4)
	v_dot4_i32_iu8 v6, v17 /*v273*/, v248, v5 neg_lo:[1,1,0]
	s_set_vgpr_msb 4                        ;  msbs: dst=0 src0=0 src1=1 src2=0
	v_cvt_f32_i32_e32 v3, v3
	v_pk_fma_f32 v[4:5], v[138:139], v[30:31] /*v[286:287]*/, 0 op_sel_hi:[0,1,0]
	s_set_vgpr_msb 1                        ;  msbs: dst=0 src0=1 src1=0 src2=0
	v_dot4_i32_iu8 v6, v18 /*v274*/, v7, v6 neg_lo:[1,1,0]
	s_set_vgpr_msb 20                       ;  msbs: dst=0 src0=0 src1=1 src2=1
	v_mad_i32_i24 v7, v19, v23 /*v279*/, v53 /*v309*/
	s_set_vgpr_msb 1                        ;  msbs: dst=0 src0=1 src1=0 src2=0
	v_pk_fma_f32 v[2:3], v[28:29] /*v[284:285]*/, v[2:3], 0 op_sel_hi:[1,1,0]
	s_set_vgpr_msb 4                        ;  msbs: dst=0 src0=0 src1=1 src2=0
	v_pk_fma_f32 v[4:5], v[142:143], v[34:35] /*v[290:291]*/, v[4:5] op_sel_hi:[0,1,1]
	v_dot4_i32_iu8 v6, v147, v49 /*v305*/, v6 neg_lo:[1,1,0]
	v_dot4_i32_iu8 v7, v147, v52 /*v308*/, v7 neg_lo:[1,1,0]
	s_set_vgpr_msb 0                        ;  msbs: dst=0 src0=0 src1=0 src2=0
	s_delay_alu instid0(VALU_DEP_3) | instskip(NEXT) | instid1(VALU_DEP_3)
	v_pk_mul_f32 v[4:5], v[4:5], v[116:117]
	v_mul_lo_u32 v6, v6, v209
	s_delay_alu instid0(VALU_DEP_3) | instskip(NEXT) | instid1(VALU_DEP_2)
	v_mul_lo_u32 v16, v7, v209
	v_cvt_f32_i32_e32 v7, v6
	s_delay_alu instid0(VALU_DEP_2) | instskip(SKIP_1) | instid1(VALU_DEP_1)
	v_cvt_f32_i32_e32 v6, v16
	s_set_vgpr_msb 1                        ;  msbs: dst=0 src0=1 src1=0 src2=0
	v_pk_fma_f32 v[2:3], v[32:33] /*v[288:289]*/, v[6:7], v[2:3]
	s_set_vgpr_msb 0                        ;  msbs: dst=0 src0=0 src1=0 src2=0
	s_delay_alu instid0(VALU_DEP_1) | instskip(SKIP_3) | instid1(VALU_DEP_2)
	v_pk_fma_f32 v[2:3], v[2:3], v[26:27], v[4:5] neg_lo:[0,0,1] neg_hi:[0,0,1]
	s_set_vgpr_msb 21                       ;  msbs: dst=0 src0=1 src1=1 src2=1
	v_mad_i32_i24 v5, v37 /*v293*/, v23 /*v279*/, v41 /*v297*/
	s_set_vgpr_msb 0                        ;  msbs: dst=0 src0=0 src1=0 src2=0
	v_pk_add_f32 v[58:59], v[58:59], v[2:3]
	s_set_vgpr_msb 1                        ;  msbs: dst=0 src0=1 src1=0 src2=0
	v_mul_i32_i24_e32 v2, v42 /*v298*/, v207
	s_delay_alu instid0(VALU_DEP_1) | instskip(NEXT) | instid1(VALU_DEP_1)
	v_dot4_i32_iu8 v2, v45 /*v301*/, v223, v2 neg_lo:[1,1,0]
	v_dot4_i32_iu8 v0, v47 /*v303*/, v224, v2 neg_lo:[1,1,0]
	s_set_vgpr_msb 0                        ;  msbs: dst=0 src0=0 src1=0 src2=0
	v_perm_b32 v2, v206, v231, 0x6050403
	s_set_vgpr_msb 4                        ;  msbs: dst=0 src0=0 src1=1 src2=0
	v_perm_b32 v231, v12, v22 /*v278*/, 0x5040302
	s_set_vgpr_msb 1                        ;  msbs: dst=0 src0=1 src1=0 src2=0
	v_dot4_i32_iu8 v0, v55 /*v311*/, v225, v0 neg_lo:[1,1,0]
	s_delay_alu instid0(VALU_DEP_1) | instskip(SKIP_1) | instid1(VALU_DEP_1)
	v_dot4_i32_iu8 v0, v56 /*v312*/, v140, v0 neg_lo:[1,1,0]
	s_set_vgpr_msb 0                        ;  msbs: dst=0 src0=0 src1=0 src2=0
	v_dot4_i32_iu8 v0, v2, v1, v0 neg_lo:[1,1,0]
	s_set_vgpr_msb 1                        ;  msbs: dst=0 src0=1 src1=0 src2=0
	v_mul_i32_i24_e32 v1, v51 /*v307*/, v211
	s_set_vgpr_msb 4                        ;  msbs: dst=0 src0=0 src1=1 src2=0
	s_delay_alu instid0(VALU_DEP_2) | instskip(SKIP_1) | instid1(VALU_DEP_2)
	v_mad_i32_i24 v0, v208, v50 /*v306*/, v0
	s_set_vgpr_msb 0                        ;  msbs: dst=0 src0=0 src1=0 src2=0
	v_dot4_i32_iu8 v1, v20, v228, v1 neg_lo:[1,1,0]
	s_set_vgpr_msb 4                        ;  msbs: dst=0 src0=0 src1=1 src2=0
	s_delay_alu instid0(VALU_DEP_2) | instskip(SKIP_1) | instid1(VALU_DEP_2)
	v_dot4_i32_iu8 v0, v226, v57 /*v313*/, v0 neg_lo:[1,1,0]
	s_set_vgpr_msb 0                        ;  msbs: dst=0 src0=0 src1=0 src2=0
	v_dot4_i32_iu8 v1, v21, v229, v1 neg_lo:[1,1,0]
	s_set_vgpr_msb 4                        ;  msbs: dst=0 src0=0 src1=1 src2=0
	s_delay_alu instid0(VALU_DEP_2) | instskip(SKIP_1) | instid1(VALU_DEP_2)
	v_dot4_i32_iu8 v0, v227, v58 /*v314*/, v0 neg_lo:[1,1,0]
	s_set_vgpr_msb 0                        ;  msbs: dst=0 src0=0 src1=0 src2=0
	v_dot4_i32_iu8 v1, v134, v230, v1 neg_lo:[1,1,0]
	s_set_vgpr_msb 1                        ;  msbs: dst=0 src0=1 src1=0 src2=0
	v_perm_b32 v134, v38 /*v294*/, v15, 0xc040302
	v_dot4_i32_iu8 v0, v59 /*v315*/, v234, v0 neg_lo:[1,1,0]
	s_delay_alu instid0(VALU_DEP_3) | instskip(SKIP_1) | instid1(VALU_DEP_3)
	v_dot4_i32_iu8 v1, v44 /*v300*/, v231, v1 neg_lo:[1,1,0]
	s_set_vgpr_msb 4                        ;  msbs: dst=0 src0=0 src1=1 src2=0
	v_dot4_i32_iu8 v5, v134, v52 /*v308*/, v5 neg_lo:[1,1,0]
	s_delay_alu instid0(VALU_DEP_3)
	v_dot4_i32_iu8 v0, v235, v60 /*v316*/, v0 neg_lo:[1,1,0]
	s_set_vgpr_msb 1                        ;  msbs: dst=0 src0=1 src1=0 src2=0
	v_dot4_i32_iu8 v1, v16 /*v272*/, v232, v1 neg_lo:[1,1,0]
	s_set_vgpr_msb 0                        ;  msbs: dst=0 src0=0 src1=0 src2=0
	v_mul_lo_u32 v6, v5, v145
	v_mul_lo_u32 v0, v0, v210
	s_set_vgpr_msb 1                        ;  msbs: dst=0 src0=1 src1=0 src2=0
	v_dot4_i32_iu8 v4, v17 /*v273*/, v233, v1 neg_lo:[1,1,0]
	s_set_vgpr_msb 21                       ;  msbs: dst=0 src0=1 src1=1 src2=1
	v_mad_i32_i24 v1, v39 /*v295*/, v15 /*v271*/, v40 /*v296*/
	s_set_vgpr_msb 1                        ;  msbs: dst=0 src0=1 src1=0 src2=0
	s_delay_alu instid0(VALU_DEP_2) | instskip(SKIP_1) | instid1(VALU_DEP_2)
	v_dot4_i32_iu8 v4, v18 /*v274*/, v132, v4 neg_lo:[1,1,0]
	s_set_vgpr_msb 4                        ;  msbs: dst=0 src0=0 src1=1 src2=0
	v_dot4_i32_iu8 v1, v235, v61 /*v317*/, v1 neg_lo:[1,1,0]
	s_delay_alu instid0(VALU_DEP_2) | instskip(SKIP_1) | instid1(VALU_DEP_2)
	v_dot4_i32_iu8 v4, v134, v49 /*v305*/, v4 neg_lo:[1,1,0]
	s_set_vgpr_msb 0                        ;  msbs: dst=0 src0=0 src1=0 src2=0
	v_mul_lo_u32 v2, v1, v210
	v_cvt_f32_i32_e32 v1, v0
	s_delay_alu instid0(VALU_DEP_3) | instskip(NEXT) | instid1(VALU_DEP_3)
	v_mul_lo_u32 v4, v4, v145
	v_cvt_f32_i32_e32 v0, v2
	s_set_vgpr_msb 4                        ;  msbs: dst=0 src0=0 src1=1 src2=0
	v_pk_fma_f32 v[2:3], v[130:131], v[30:31] /*v[286:287]*/, 0 op_sel_hi:[0,1,0]
	s_delay_alu instid0(VALU_DEP_3)
	v_cvt_f32_i32_e32 v5, v4
	s_set_vgpr_msb 1                        ;  msbs: dst=0 src0=1 src1=0 src2=0
	v_pk_fma_f32 v[0:1], v[28:29] /*v[284:285]*/, v[0:1], 0 op_sel_hi:[1,1,0]
	s_set_vgpr_msb 4                        ;  msbs: dst=0 src0=0 src1=1 src2=0
	v_cvt_f32_i32_e32 v4, v6
	v_pk_fma_f32 v[2:3], v[120:121], v[34:35] /*v[290:291]*/, v[2:3] op_sel_hi:[0,1,1]
	s_set_vgpr_msb 1                        ;  msbs: dst=0 src0=1 src1=0 src2=0
	s_delay_alu instid0(VALU_DEP_2) | instskip(SKIP_1) | instid1(VALU_DEP_2)
	v_pk_fma_f32 v[0:1], v[32:33] /*v[288:289]*/, v[4:5], v[0:1]
	s_set_vgpr_msb 0                        ;  msbs: dst=0 src0=0 src1=0 src2=0
	v_pk_mul_f32 v[2:3], v[2:3], v[118:119]
	s_delay_alu instid0(VALU_DEP_1) | instskip(NEXT) | instid1(VALU_DEP_1)
	v_pk_fma_f32 v[0:1], v[0:1], v[110:111], v[2:3] neg_lo:[0,0,1] neg_hi:[0,0,1]
	v_pk_add_f32 v[56:57], v[56:57], v[0:1]
	v_or_b32_e32 v0, s5, v183
	s_delay_alu instid0(VALU_DEP_1)
	v_dual_lshlrev_b32 v1, 2, v0 :: v_dual_lshrrev_b32 v20, 1, v0
	ds_load_b128 v[4:7], v1 offset:33280
	ds_load_b128 v[8:11], v1 offset:33296
	;; [unrolled: 1-line block ×4, first 2 shown]
	s_wait_dscnt 0x3
	v_bfe_i32 v16, v4, 0, 8
	s_set_vgpr_msb 64                       ;  msbs: dst=1 src0=0 src1=0 src2=0
	v_perm_b32 v15 /*v271*/, v4, v4, 0xc0c0201
	v_perm_b32 v16 /*v272*/, v5, v4, 0x6050403
	v_perm_b32 v17 /*v273*/, v6, v5, 0x6050403
	v_perm_b32 v18 /*v274*/, v7, v6, 0x6050403
	s_set_vgpr_msb 0                        ;  msbs: dst=0 src0=0 src1=0 src2=0
	v_mul_i32_i24_e32 v21, v16, v150
	s_wait_dscnt 0x2
	s_set_vgpr_msb 64                       ;  msbs: dst=1 src0=0 src1=0 src2=0
	v_perm_b32 v19 /*v275*/, v8, v121, 0x6050403
	v_perm_b32 v20 /*v276*/, v148, v7, 0x6050403
	s_set_vgpr_msb 0                        ;  msbs: dst=0 src0=0 src1=0 src2=0
	v_ashrrev_i32_e32 v18, 24, v8
	s_wait_dscnt 0x1
	v_bfe_i32 v19, v12, 0, 8
	s_set_vgpr_msb 5                        ;  msbs: dst=0 src0=1 src1=1 src2=0
	v_dot4_i32_iu8 v21, v15 /*v271*/, v9 /*v265*/, v21 neg_lo:[1,1,0]
	s_set_vgpr_msb 0                        ;  msbs: dst=0 src0=0 src1=0 src2=0
	v_perm_b32 v12, v13, v12, 0x4030201
	v_perm_b32 v13, v14, v13, 0x4030201
	v_perm_b32 v14, v15, v14, 0x4030201
	s_wait_dscnt 0x0
	s_set_vgpr_msb 64                       ;  msbs: dst=1 src0=0 src1=0 src2=0
	v_perm_b32 v21 /*v277*/, v0, v15, 0x4030201
	s_set_vgpr_msb 5                        ;  msbs: dst=0 src0=1 src1=1 src2=0
	v_dot4_i32_iu8 v21, v16 /*v272*/, v10 /*v266*/, v21 neg_lo:[1,1,0]
	s_set_vgpr_msb 64                       ;  msbs: dst=1 src0=0 src1=0 src2=0
	v_perm_b32 v23 /*v279*/, v1, v0, 0x4030201
	s_set_vgpr_msb 0                        ;  msbs: dst=0 src0=0 src1=0 src2=0
	v_perm_b32 v1, v2, v1, 0x4030201
	s_set_vgpr_msb 64                       ;  msbs: dst=1 src0=0 src1=0 src2=0
	v_perm_b32 v25 /*v281*/, v8, v135, 0x6050403
	v_perm_b32 v26 /*v282*/, v155, v7, 0x6050403
	s_set_vgpr_msb 5                        ;  msbs: dst=0 src0=1 src1=1 src2=0
	v_dot4_i32_iu8 v21, v17 /*v273*/, v11 /*v267*/, v21 neg_lo:[1,1,0]
	s_set_vgpr_msb 0                        ;  msbs: dst=0 src0=0 src1=0 src2=0
	v_bfe_i32 v17, v4, 8, 8
	v_perm_b32 v4, v5, v4, 0x5040302
	v_perm_b32 v5, v6, v5, 0x5040302
	;; [unrolled: 1-line block ×3, first 2 shown]
	s_set_vgpr_msb 5                        ;  msbs: dst=0 src0=1 src1=1 src2=0
	v_dot4_i32_iu8 v21, v18 /*v274*/, v12 /*v268*/, v21 neg_lo:[1,1,0]
	s_set_vgpr_msb 64                       ;  msbs: dst=1 src0=0 src1=0 src2=0
	v_perm_b32 v45 /*v301*/, v11, v10, 0x5040302
	v_perm_b32 v46 /*v302*/, v11, v11, 0xc0c0302
	s_set_vgpr_msb 5                        ;  msbs: dst=0 src0=1 src1=1 src2=0
	v_dot4_i32_iu8 v21, v20 /*v276*/, v19 /*v275*/, v21 neg_lo:[1,1,0]
	s_set_vgpr_msb 64                       ;  msbs: dst=1 src0=0 src1=0 src2=0
	v_perm_b32 v19 /*v275*/, v9, v9, 0xc0c0100
	v_perm_b32 v20 /*v276*/, v10, v9, 0x5040302
	s_set_vgpr_msb 0                        ;  msbs: dst=0 src0=0 src1=0 src2=0
	v_mad_i32_i24 v21, v149, v18, v21
	s_set_vgpr_msb 5                        ;  msbs: dst=0 src0=1 src1=1 src2=0
	s_delay_alu instid0(VALU_DEP_1) | instskip(SKIP_1) | instid1(VALU_DEP_1)
	v_dot4_i32_iu8 v21, v13 /*v269*/, v19 /*v275*/, v21 neg_lo:[1,1,0]
	s_set_vgpr_msb 0x45                     ;  msbs: dst=1 src0=1 src1=1 src2=0
	v_dot4_i32_iu8 v22 /*v278*/, v14 /*v270*/, v20 /*v276*/, v21 neg_lo:[1,1,0]
	s_set_vgpr_msb 0                        ;  msbs: dst=0 src0=0 src1=0 src2=0
	v_mul_i32_i24_e32 v21, v151, v19
	s_delay_alu instid0(VALU_DEP_1) | instskip(NEXT) | instid1(VALU_DEP_1)
	v_dot4_i32_iu8 v21, v152, v12, v21 neg_lo:[1,1,0]
	v_dot4_i32_iu8 v21, v153, v13, v21 neg_lo:[1,1,0]
	s_set_vgpr_msb 1                        ;  msbs: dst=0 src0=1 src1=0 src2=0
	s_delay_alu instid0(VALU_DEP_1) | instskip(SKIP_1) | instid1(VALU_DEP_1)
	v_dot4_i32_iu8 v21, v5 /*v261*/, v14, v21 neg_lo:[1,1,0]
	s_set_vgpr_msb 5                        ;  msbs: dst=0 src0=1 src1=1 src2=0
	v_dot4_i32_iu8 v21, v6 /*v262*/, v21 /*v277*/, v21 neg_lo:[1,1,0]
	s_delay_alu instid0(VALU_DEP_1) | instskip(SKIP_1) | instid1(VALU_DEP_1)
	v_dot4_i32_iu8 v21, v7 /*v263*/, v23 /*v279*/, v21 neg_lo:[1,1,0]
	s_set_vgpr_msb 0x41                     ;  msbs: dst=1 src0=1 src1=0 src2=0
	v_dot4_i32_iu8 v24 /*v280*/, v8 /*v264*/, v1, v21 neg_lo:[1,1,0]
	s_set_vgpr_msb 0                        ;  msbs: dst=0 src0=0 src1=0 src2=0
	v_mul_i32_i24_e32 v21, v16, v156
	s_set_vgpr_msb 1                        ;  msbs: dst=0 src0=1 src1=0 src2=0
	s_delay_alu instid0(VALU_DEP_1) | instskip(NEXT) | instid1(VALU_DEP_1)
	v_dot4_i32_iu8 v21, v15 /*v271*/, v253, v21 neg_lo:[1,1,0]
	v_dot4_i32_iu8 v21, v16 /*v272*/, v254, v21 neg_lo:[1,1,0]
	s_delay_alu instid0(VALU_DEP_1) | instskip(SKIP_1) | instid1(VALU_DEP_1)
	v_dot4_i32_iu8 v21, v17 /*v273*/, v255, v21 neg_lo:[1,1,0]
	s_set_vgpr_msb 5                        ;  msbs: dst=0 src0=1 src1=1 src2=0
	v_dot4_i32_iu8 v21, v18 /*v274*/, v0 /*v256*/, v21 neg_lo:[1,1,0]
	s_delay_alu instid0(VALU_DEP_1) | instskip(SKIP_1) | instid1(VALU_DEP_1)
	v_dot4_i32_iu8 v21, v26 /*v282*/, v25 /*v281*/, v21 neg_lo:[1,1,0]
	s_set_vgpr_msb 0                        ;  msbs: dst=0 src0=0 src1=0 src2=0
	v_mad_i32_i24 v21, v157, v18, v21
	s_set_vgpr_msb 5                        ;  msbs: dst=0 src0=1 src1=1 src2=0
	s_delay_alu instid0(VALU_DEP_1) | instskip(SKIP_1) | instid1(VALU_DEP_1)
	v_dot4_i32_iu8 v21, v1 /*v257*/, v19 /*v275*/, v21 neg_lo:[1,1,0]
	s_set_vgpr_msb 0x45                     ;  msbs: dst=1 src0=1 src1=1 src2=0
	v_dot4_i32_iu8 v25 /*v281*/, v2 /*v258*/, v20 /*v276*/, v21 neg_lo:[1,1,0]
	s_set_vgpr_msb 0                        ;  msbs: dst=0 src0=0 src1=0 src2=0
	v_mul_i32_i24_e32 v21, v19, v204
	s_delay_alu instid0(VALU_DEP_1) | instskip(NEXT) | instid1(VALU_DEP_1)
	v_dot4_i32_iu8 v21, v12, v205, v21 neg_lo:[1,1,0]
	v_dot4_i32_iu8 v21, v13, v236, v21 neg_lo:[1,1,0]
	s_delay_alu instid0(VALU_DEP_1) | instskip(SKIP_1) | instid1(VALU_DEP_1)
	v_dot4_i32_iu8 v21, v14, v237, v21 neg_lo:[1,1,0]
	s_set_vgpr_msb 1                        ;  msbs: dst=0 src0=1 src1=0 src2=0
	v_dot4_i32_iu8 v21, v21 /*v277*/, v238, v21 neg_lo:[1,1,0]
	s_delay_alu instid0(VALU_DEP_1) | instskip(SKIP_1) | instid1(VALU_DEP_1)
	v_dot4_i32_iu8 v21, v23 /*v279*/, v239, v21 neg_lo:[1,1,0]
	s_set_vgpr_msb 64                       ;  msbs: dst=1 src0=0 src1=0 src2=0
	v_dot4_i32_iu8 v26 /*v282*/, v1, v240, v21 neg_lo:[1,1,0]
	s_set_vgpr_msb 0                        ;  msbs: dst=0 src0=0 src1=0 src2=0
	v_mul_i32_i24_e32 v21, v16, v213
	s_delay_alu instid0(VALU_DEP_1) | instskip(NEXT) | instid1(VALU_DEP_1)
	v_mad_i32_i24 v17, v17, v214, v21
	v_dot4_i32_iu8 v4, v4, v215, v17 neg_lo:[1,1,0]
	s_delay_alu instid0(VALU_DEP_1) | instskip(SKIP_1) | instid1(VALU_DEP_1)
	v_dot4_i32_iu8 v4, v5, v216, v4 neg_lo:[1,1,0]
	v_perm_b32 v5, v7, v6, 0x5040302
	v_dot4_i32_iu8 v4, v5, v217, v4 neg_lo:[1,1,0]
	v_perm_b32 v5, v8, v7, 0x5040302
	s_delay_alu instid0(VALU_DEP_1) | instskip(SKIP_1) | instid1(VALU_DEP_1)
	v_dot4_i32_iu8 v4, v5, v218, v4 neg_lo:[1,1,0]
	v_perm_b32 v5, v9, v8, 0x5040302
	v_dot4_i32_iu8 v4, v5, v219, v4 neg_lo:[1,1,0]
	v_perm_b32 v5, v146, v15, 0x4030201
	s_set_vgpr_msb 0x41                     ;  msbs: dst=1 src0=1 src1=0 src2=0
	s_delay_alu instid0(VALU_DEP_2) | instskip(SKIP_2) | instid1(VALU_DEP_1)
	v_dot4_i32_iu8 v27 /*v283*/, v20 /*v276*/, v221, v4 neg_lo:[1,1,0]
	s_set_vgpr_msb 0                        ;  msbs: dst=0 src0=0 src1=0 src2=0
	v_mul_i32_i24_e32 v4, v19, v222
	v_dot4_i32_iu8 v4, v12, v244, v4 neg_lo:[1,1,0]
	s_delay_alu instid0(VALU_DEP_1) | instskip(NEXT) | instid1(VALU_DEP_1)
	v_dot4_i32_iu8 v4, v13, v245, v4 neg_lo:[1,1,0]
	v_dot4_i32_iu8 v4, v14, v246, v4 neg_lo:[1,1,0]
	s_delay_alu instid0(VALU_DEP_1) | instskip(SKIP_3) | instid1(VALU_DEP_3)
	v_dot4_i32_iu8 v0, v5, v0, v4 neg_lo:[1,1,0]
	v_perm_b32 v4, v8, v141, 0x6050403
	v_perm_b32 v5, v206, v7, 0x6050403
	s_set_vgpr_msb 4                        ;  msbs: dst=0 src0=0 src1=1 src2=0
	v_dot4_i32_iu8 v0, v247, v23 /*v279*/, v0 neg_lo:[1,1,0]
	s_set_vgpr_msb 64                       ;  msbs: dst=1 src0=0 src1=0 src2=0
	s_delay_alu instid0(VALU_DEP_1) | instskip(SKIP_3) | instid1(VALU_DEP_1)
	v_dot4_i32_iu8 v28 /*v284*/, v248, v1, v0 neg_lo:[1,1,0]
	s_set_vgpr_msb 0                        ;  msbs: dst=0 src0=0 src1=0 src2=0
	v_mul_i32_i24_e32 v0, v16, v207
	s_set_vgpr_msb 1                        ;  msbs: dst=0 src0=1 src1=0 src2=0
	v_dot4_i32_iu8 v0, v15 /*v271*/, v223, v0 neg_lo:[1,1,0]
	s_delay_alu instid0(VALU_DEP_1) | instskip(NEXT) | instid1(VALU_DEP_1)
	v_dot4_i32_iu8 v0, v16 /*v272*/, v224, v0 neg_lo:[1,1,0]
	v_dot4_i32_iu8 v0, v17 /*v273*/, v225, v0 neg_lo:[1,1,0]
	s_delay_alu instid0(VALU_DEP_1) | instskip(SKIP_1) | instid1(VALU_DEP_1)
	v_dot4_i32_iu8 v0, v18 /*v274*/, v140, v0 neg_lo:[1,1,0]
	s_set_vgpr_msb 0                        ;  msbs: dst=0 src0=0 src1=0 src2=0
	v_dot4_i32_iu8 v0, v5, v4, v0 neg_lo:[1,1,0]
	s_delay_alu instid0(VALU_DEP_1) | instskip(SKIP_1) | instid1(VALU_DEP_1)
	v_mad_i32_i24 v0, v208, v18, v0
	s_set_vgpr_msb 4                        ;  msbs: dst=0 src0=0 src1=1 src2=0
	v_dot4_i32_iu8 v0, v226, v19 /*v275*/, v0 neg_lo:[1,1,0]
	s_set_vgpr_msb 0x44                     ;  msbs: dst=1 src0=0 src1=1 src2=0
	s_delay_alu instid0(VALU_DEP_1) | instskip(SKIP_2) | instid1(VALU_DEP_1)
	v_dot4_i32_iu8 v15 /*v271*/, v227, v20 /*v276*/, v0 neg_lo:[1,1,0]
	s_set_vgpr_msb 0                        ;  msbs: dst=0 src0=0 src1=0 src2=0
	v_mul_i32_i24_e32 v0, v19, v211
	v_dot4_i32_iu8 v0, v12, v228, v0 neg_lo:[1,1,0]
	s_delay_alu instid0(VALU_DEP_1) | instskip(NEXT) | instid1(VALU_DEP_1)
	v_dot4_i32_iu8 v0, v13, v229, v0 neg_lo:[1,1,0]
	v_dot4_i32_iu8 v0, v14, v230, v0 neg_lo:[1,1,0]
	s_set_vgpr_msb 4                        ;  msbs: dst=0 src0=0 src1=1 src2=0
	s_delay_alu instid0(VALU_DEP_1) | instskip(NEXT) | instid1(VALU_DEP_1)
	v_dot4_i32_iu8 v0, v231, v21 /*v277*/, v0 neg_lo:[1,1,0]
	v_dot4_i32_iu8 v0, v232, v23 /*v279*/, v0 neg_lo:[1,1,0]
	s_set_vgpr_msb 64                       ;  msbs: dst=1 src0=0 src1=0 src2=0
	s_delay_alu instid0(VALU_DEP_1) | instskip(SKIP_2) | instid1(VALU_DEP_1)
	v_dot4_i32_iu8 v23 /*v279*/, v233, v1, v0 neg_lo:[1,1,0]
	s_set_vgpr_msb 0                        ;  msbs: dst=0 src0=0 src1=0 src2=0
	v_or_b32_e32 v0, s5, v184
	v_dual_lshlrev_b32 v1, 2, v0 :: v_dual_lshrrev_b32 v8, 1, v0
	ds_load_b128 v[4:7], v1 offset:33280
	ds_load_b128 v[12:15], v1 offset:33296
	;; [unrolled: 1-line block ×3, first 2 shown]
	s_set_vgpr_msb 64                       ;  msbs: dst=1 src0=0 src1=0 src2=0
	ds_load_b128 v[16:19] /*v[272:275]*/, v1 offset:33328
	s_wait_dscnt 0x3
	v_bfe_i32 v29 /*v285*/, v4, 0, 8
	v_perm_b32 v33 /*v289*/, v4, v4, 0xc0c0201
	v_perm_b32 v34 /*v290*/, v5, v4, 0x6050403
	v_perm_b32 v35 /*v291*/, v6, v5, 0x6050403
	v_perm_b32 v36 /*v292*/, v7, v6, 0x6050403
	s_set_vgpr_msb 1                        ;  msbs: dst=0 src0=1 src1=0 src2=0
	v_mul_i32_i24_e32 v0, v29 /*v285*/, v150
	s_wait_dscnt 0x2
	s_set_vgpr_msb 0                        ;  msbs: dst=0 src0=0 src1=0 src2=0
	v_perm_b32 v1, v12, v121, 0x6050403
	v_perm_b32 v9, v148, v7, 0x6050403
	s_set_vgpr_msb 64                       ;  msbs: dst=1 src0=0 src1=0 src2=0
	v_ashrrev_i32_e32 v31 /*v287*/, 24, v12
	v_perm_b32 v37 /*v293*/, v13, v13, 0xc0c0100
	s_set_vgpr_msb 5                        ;  msbs: dst=0 src0=1 src1=1 src2=0
	v_dot4_i32_iu8 v0, v33 /*v289*/, v9 /*v265*/, v0 neg_lo:[1,1,0]
	s_wait_dscnt 0x1
	s_set_vgpr_msb 64                       ;  msbs: dst=1 src0=0 src1=0 src2=0
	v_bfe_i32 v32 /*v288*/, v16, 0, 8
	v_perm_b32 v38 /*v294*/, v14, v13, 0x5040302
	v_perm_b32 v40 /*v296*/, v17, v16, 0x4030201
	;; [unrolled: 1-line block ×3, first 2 shown]
	s_set_vgpr_msb 5                        ;  msbs: dst=0 src0=1 src1=1 src2=0
	v_dot4_i32_iu8 v0, v34 /*v290*/, v10 /*v266*/, v0 neg_lo:[1,1,0]
	s_set_vgpr_msb 0                        ;  msbs: dst=0 src0=0 src1=0 src2=0
	v_perm_b32 v18, v19, v18, 0x4030201
	s_wait_dscnt 0x0
	s_set_vgpr_msb 0x41                     ;  msbs: dst=1 src0=1 src1=0 src2=0
	v_perm_b32 v42 /*v298*/, v16 /*v272*/, v19, 0x4030201
	s_set_vgpr_msb 0x45                     ;  msbs: dst=1 src0=1 src1=1 src2=0
	v_perm_b32 v43 /*v299*/, v17 /*v273*/, v16 /*v272*/, 0x4030201
	v_perm_b32 v17 /*v273*/, v18 /*v274*/, v17 /*v273*/, 0x4030201
	s_set_vgpr_msb 5                        ;  msbs: dst=0 src0=1 src1=1 src2=0
	v_dot4_i32_iu8 v0, v35 /*v291*/, v11 /*v267*/, v0 neg_lo:[1,1,0]
	s_set_vgpr_msb 64                       ;  msbs: dst=1 src0=0 src1=0 src2=0
	v_bfe_i32 v30 /*v286*/, v4, 8, 8
	s_set_vgpr_msb 0                        ;  msbs: dst=0 src0=0 src1=0 src2=0
	v_perm_b32 v4, v5, v4, 0x5040302
	v_perm_b32 v5, v6, v5, 0x5040302
	s_set_vgpr_msb 5                        ;  msbs: dst=0 src0=1 src1=1 src2=0
	v_dot4_i32_iu8 v0, v36 /*v292*/, v12 /*v268*/, v0 neg_lo:[1,1,0]
	s_set_vgpr_msb 0                        ;  msbs: dst=0 src0=0 src1=0 src2=0
	s_delay_alu instid0(VALU_DEP_1) | instskip(SKIP_1) | instid1(VALU_DEP_1)
	v_dot4_i32_iu8 v0, v9, v1, v0 neg_lo:[1,1,0]
	s_set_vgpr_msb 4                        ;  msbs: dst=0 src0=0 src1=1 src2=0
	v_mad_i32_i24 v0, v149, v31 /*v287*/, v0
	s_set_vgpr_msb 5                        ;  msbs: dst=0 src0=1 src1=1 src2=0
	s_delay_alu instid0(VALU_DEP_1) | instskip(SKIP_1) | instid1(VALU_DEP_1)
	v_dot4_i32_iu8 v0, v13 /*v269*/, v37 /*v293*/, v0 neg_lo:[1,1,0]
	s_set_vgpr_msb 0x45                     ;  msbs: dst=1 src0=1 src1=1 src2=0
	v_dot4_i32_iu8 v39 /*v295*/, v14 /*v270*/, v38 /*v294*/, v0 neg_lo:[1,1,0]
	s_set_vgpr_msb 4                        ;  msbs: dst=0 src0=0 src1=1 src2=0
	v_mul_i32_i24_e32 v0, v151, v32 /*v288*/
	s_delay_alu instid0(VALU_DEP_1) | instskip(NEXT) | instid1(VALU_DEP_1)
	v_dot4_i32_iu8 v0, v152, v40 /*v296*/, v0 neg_lo:[1,1,0]
	v_dot4_i32_iu8 v0, v153, v41 /*v297*/, v0 neg_lo:[1,1,0]
	s_set_vgpr_msb 1                        ;  msbs: dst=0 src0=1 src1=0 src2=0
	s_delay_alu instid0(VALU_DEP_1) | instskip(SKIP_1) | instid1(VALU_DEP_1)
	v_dot4_i32_iu8 v0, v5 /*v261*/, v18, v0 neg_lo:[1,1,0]
	s_set_vgpr_msb 5                        ;  msbs: dst=0 src0=1 src1=1 src2=0
	v_dot4_i32_iu8 v0, v6 /*v262*/, v42 /*v298*/, v0 neg_lo:[1,1,0]
	s_delay_alu instid0(VALU_DEP_1) | instskip(SKIP_1) | instid1(VALU_DEP_1)
	v_dot4_i32_iu8 v0, v7 /*v263*/, v43 /*v299*/, v0 neg_lo:[1,1,0]
	s_set_vgpr_msb 0x45                     ;  msbs: dst=1 src0=1 src1=1 src2=0
	v_dot4_i32_iu8 v44 /*v300*/, v8 /*v264*/, v17 /*v273*/, v0 neg_lo:[1,1,0]
	s_set_vgpr_msb 0                        ;  msbs: dst=0 src0=0 src1=0 src2=0
	ds_load_b64 v[0:1], v20 offset:43584
	ds_load_b64 v[8:9], v8 offset:43584
	s_wait_dscnt 0x1
	v_cvt_f32_f16_e32 v16, v0
	s_wait_dscnt 0x0
	v_cvt_f32_f16_e32 v17, v8
	v_lshrrev_b32_e32 v8, 16, v8
	v_lshrrev_b32_e32 v0, 16, v0
	s_set_vgpr_msb 64                       ;  msbs: dst=1 src0=0 src1=0 src2=0
	v_cvt_f32_f16_e64 v21 /*v277*/, v9
	v_cvt_f32_f16_e64 v20 /*v276*/, v1
	s_set_vgpr_msb 0                        ;  msbs: dst=0 src0=0 src1=0 src2=0
	v_cvt_f32_f16_e32 v21, v8
	s_set_vgpr_msb 17                       ;  msbs: dst=0 src0=1 src1=0 src2=1
	v_dot4_i32_iu8 v8, v45 /*v301*/, v252, v22 /*v278*/ neg_lo:[1,1,0]
	s_set_vgpr_msb 64                       ;  msbs: dst=1 src0=0 src1=0 src2=0
	v_perm_b32 v22 /*v278*/, v15, v14, 0x5040302
	s_set_vgpr_msb 0                        ;  msbs: dst=0 src0=0 src1=0 src2=0
	v_cvt_f32_f16_e32 v20, v0
	v_lshrrev_b32_e32 v0, 16, v1
	v_lshrrev_b32_e32 v1, 16, v9
	v_perm_b32 v14, v125, v2, 0x4030201
	s_set_vgpr_msb 17                       ;  msbs: dst=0 src0=1 src1=0 src2=1
	v_dot4_i32_iu8 v9, v22 /*v278*/, v252, v39 /*v295*/ neg_lo:[1,1,0]
	s_set_vgpr_msb 64                       ;  msbs: dst=1 src0=0 src1=0 src2=0
	v_perm_b32 v39 /*v295*/, v15, v15, 0xc0c0302
	s_set_vgpr_msb 0                        ;  msbs: dst=0 src0=0 src1=0 src2=0
	v_perm_b32 v15, v3, v124, 0x4030201
	s_set_vgpr_msb 4                        ;  msbs: dst=0 src0=0 src1=1 src2=0
	v_dot4_i32_iu8 v8, v251, v46 /*v302*/, v8 neg_lo:[1,1,0]
	v_cvt_f32_f16_e32 v1, v1
	v_cvt_f32_f16_e32 v0, v0
	v_dot4_i32_iu8 v9, v251, v39 /*v295*/, v9 neg_lo:[1,1,0]
	s_set_vgpr_msb 16                       ;  msbs: dst=0 src0=0 src1=0 src2=1
	v_dot4_i32_iu8 v14, v15, v14, v24 /*v280*/ neg_lo:[1,1,0]
	s_set_vgpr_msb 4                        ;  msbs: dst=0 src0=0 src1=1 src2=0
	v_perm_b32 v15, v125, v18 /*v274*/, 0x4030201
	s_set_vgpr_msb 0x41                     ;  msbs: dst=1 src0=1 src1=0 src2=0
	v_perm_b32 v24 /*v280*/, v19 /*v275*/, v124, 0x4030201
	s_set_vgpr_msb 0                        ;  msbs: dst=0 src0=0 src1=0 src2=0
	v_mul_lo_u32 v8, v8, v154
	v_mul_lo_u32 v9, v9, v154
	v_pk_fma_f32 v[10:11], v[126:127], v[20:21], 0 op_sel_hi:[0,1,0]
	s_set_vgpr_msb 17                       ;  msbs: dst=0 src0=1 src1=0 src2=1
	v_dot4_i32_iu8 v15, v24 /*v280*/, v15, v44 /*v300*/ neg_lo:[1,1,0]
	s_set_vgpr_msb 0x45                     ;  msbs: dst=1 src0=1 src1=1 src2=0
	v_perm_b32 v24 /*v280*/, v19 /*v275*/, v19 /*v275*/, 0xc070601
	s_set_vgpr_msb 64                       ;  msbs: dst=1 src0=0 src1=0 src2=0
	v_perm_b32 v44 /*v300*/, v3, v3, 0xc070601
	s_set_vgpr_msb 0                        ;  msbs: dst=0 src0=0 src1=0 src2=0
	v_pk_fma_f32 v[10:11], v[122:123], v[0:1], v[10:11] op_sel_hi:[0,1,1]
	s_set_vgpr_msb 4                        ;  msbs: dst=0 src0=0 src1=1 src2=0
	v_dot4_i32_iu8 v15, v243, v24 /*v280*/, v15 neg_lo:[1,1,0]
	v_dot4_i32_iu8 v14, v243, v44 /*v300*/, v14 neg_lo:[1,1,0]
	v_cvt_f32_i32_e32 v9, v9
	v_cvt_f32_i32_e32 v8, v8
	s_set_vgpr_msb 0                        ;  msbs: dst=0 src0=0 src1=0 src2=0
	v_pk_mul_f32 v[10:11], v[10:11], v[112:113]
	v_mul_lo_u32 v15, v15, v123
	v_mul_lo_u32 v14, v14, v123
	v_pk_fma_f32 v[8:9], v[16:17], v[8:9], 0 op_sel_hi:[1,1,0]
	s_delay_alu instid0(VALU_DEP_3) | instskip(NEXT) | instid1(VALU_DEP_3)
	v_cvt_f32_i32_e32 v15, v15
	v_cvt_f32_i32_e32 v14, v14
	s_set_vgpr_msb 1                        ;  msbs: dst=0 src0=1 src1=0 src2=0
	s_delay_alu instid0(VALU_DEP_1) | instskip(SKIP_1) | instid1(VALU_DEP_1)
	v_pk_fma_f32 v[8:9], v[20:21] /*v[276:277]*/, v[14:15], v[8:9]
	s_set_vgpr_msb 0                        ;  msbs: dst=0 src0=0 src1=0 src2=0
	v_pk_fma_f32 v[8:9], v[8:9], v[22:23], v[10:11] neg_lo:[0,0,1] neg_hi:[0,0,1]
	v_perm_b32 v10, v155, v7, 0x6050403
	s_delay_alu instid0(VALU_DEP_2)
	v_pk_add_f32 v[54:55], v[54:55], v[8:9]
	s_set_vgpr_msb 1                        ;  msbs: dst=0 src0=1 src1=0 src2=0
	v_mul_i32_i24_e32 v8, v29 /*v285*/, v156
	s_set_vgpr_msb 0                        ;  msbs: dst=0 src0=0 src1=0 src2=0
	v_perm_b32 v9, v12, v135, 0x6050403
	s_set_vgpr_msb 1                        ;  msbs: dst=0 src0=1 src1=0 src2=0
	s_delay_alu instid0(VALU_DEP_2) | instskip(NEXT) | instid1(VALU_DEP_1)
	v_dot4_i32_iu8 v8, v33 /*v289*/, v253, v8 neg_lo:[1,1,0]
	v_dot4_i32_iu8 v8, v34 /*v290*/, v254, v8 neg_lo:[1,1,0]
	s_delay_alu instid0(VALU_DEP_1) | instskip(SKIP_1) | instid1(VALU_DEP_1)
	v_dot4_i32_iu8 v8, v35 /*v291*/, v255, v8 neg_lo:[1,1,0]
	s_set_vgpr_msb 5                        ;  msbs: dst=0 src0=1 src1=1 src2=0
	v_dot4_i32_iu8 v8, v36 /*v292*/, v0 /*v256*/, v8 neg_lo:[1,1,0]
	s_set_vgpr_msb 0                        ;  msbs: dst=0 src0=0 src1=0 src2=0
	s_delay_alu instid0(VALU_DEP_1) | instskip(SKIP_3) | instid1(VALU_DEP_2)
	v_dot4_i32_iu8 v8, v10, v9, v8 neg_lo:[1,1,0]
	s_set_vgpr_msb 1                        ;  msbs: dst=0 src0=1 src1=0 src2=0
	v_mul_i32_i24_e32 v9, v32 /*v288*/, v204
	s_set_vgpr_msb 4                        ;  msbs: dst=0 src0=0 src1=1 src2=0
	v_mad_i32_i24 v8, v157, v31 /*v287*/, v8
	s_set_vgpr_msb 1                        ;  msbs: dst=0 src0=1 src1=0 src2=0
	s_delay_alu instid0(VALU_DEP_2) | instskip(SKIP_1) | instid1(VALU_DEP_2)
	v_dot4_i32_iu8 v9, v40 /*v296*/, v205, v9 neg_lo:[1,1,0]
	s_set_vgpr_msb 5                        ;  msbs: dst=0 src0=1 src1=1 src2=0
	v_dot4_i32_iu8 v8, v1 /*v257*/, v37 /*v293*/, v8 neg_lo:[1,1,0]
	s_set_vgpr_msb 1                        ;  msbs: dst=0 src0=1 src1=0 src2=0
	s_delay_alu instid0(VALU_DEP_2) | instskip(SKIP_1) | instid1(VALU_DEP_2)
	v_dot4_i32_iu8 v9, v41 /*v297*/, v236, v9 neg_lo:[1,1,0]
	s_set_vgpr_msb 5                        ;  msbs: dst=0 src0=1 src1=1 src2=0
	v_dot4_i32_iu8 v8, v2 /*v258*/, v38 /*v294*/, v8 neg_lo:[1,1,0]
	s_set_vgpr_msb 0                        ;  msbs: dst=0 src0=0 src1=0 src2=0
	s_delay_alu instid0(VALU_DEP_2) | instskip(SKIP_1) | instid1(VALU_DEP_2)
	v_dot4_i32_iu8 v9, v18, v237, v9 neg_lo:[1,1,0]
	s_set_vgpr_msb 5                        ;  msbs: dst=0 src0=1 src1=1 src2=0
	v_dot4_i32_iu8 v8, v22 /*v278*/, v3 /*v259*/, v8 neg_lo:[1,1,0]
	s_set_vgpr_msb 1                        ;  msbs: dst=0 src0=1 src1=0 src2=0
	s_delay_alu instid0(VALU_DEP_2) | instskip(SKIP_1) | instid1(VALU_DEP_2)
	v_dot4_i32_iu8 v9, v42 /*v298*/, v238, v9 neg_lo:[1,1,0]
	s_set_vgpr_msb 5                        ;  msbs: dst=0 src0=1 src1=1 src2=0
	v_dot4_i32_iu8 v8, v4 /*v260*/, v39 /*v295*/, v8 neg_lo:[1,1,0]
	s_set_vgpr_msb 1                        ;  msbs: dst=0 src0=1 src1=0 src2=0
	s_delay_alu instid0(VALU_DEP_2) | instskip(SKIP_1) | instid1(VALU_DEP_2)
	v_dot4_i32_iu8 v9, v43 /*v299*/, v239, v9 neg_lo:[1,1,0]
	s_set_vgpr_msb 0                        ;  msbs: dst=0 src0=0 src1=0 src2=0
	v_mul_lo_u32 v8, v8, v203
	s_set_vgpr_msb 1                        ;  msbs: dst=0 src0=1 src1=0 src2=0
	s_delay_alu instid0(VALU_DEP_2)
	v_dot4_i32_iu8 v14, v17 /*v273*/, v240, v9 neg_lo:[1,1,0]
	s_set_vgpr_msb 21                       ;  msbs: dst=0 src0=1 src1=1 src2=1
	v_dot4_i32_iu8 v9, v45 /*v301*/, v3 /*v259*/, v25 /*v281*/ neg_lo:[1,1,0]
	s_set_vgpr_msb 64                       ;  msbs: dst=1 src0=0 src1=0 src2=0
	v_perm_b32 v25 /*v281*/, v3, v2, 0x4030201
	s_set_vgpr_msb 0                        ;  msbs: dst=0 src0=0 src1=0 src2=0
	v_perm_b32 v2, v137, v2, 0x4030201
	v_perm_b32 v3, v3, v136, 0x4030201
	s_set_vgpr_msb 5                        ;  msbs: dst=0 src0=1 src1=1 src2=0
	v_dot4_i32_iu8 v9, v4 /*v260*/, v46 /*v302*/, v9 neg_lo:[1,1,0]
	s_set_vgpr_msb 17                       ;  msbs: dst=0 src0=1 src1=0 src2=1
	v_dot4_i32_iu8 v15, v25 /*v281*/, v241, v26 /*v282*/ neg_lo:[1,1,0]
	s_set_vgpr_msb 0x45                     ;  msbs: dst=1 src0=1 src1=1 src2=0
	v_perm_b32 v26 /*v282*/, v19 /*v275*/, v18 /*v274*/, 0x4030201
	s_set_vgpr_msb 16                       ;  msbs: dst=0 src0=0 src1=0 src2=1
	v_dot4_i32_iu8 v2, v3, v2, v28 /*v284*/ neg_lo:[1,1,0]
	s_set_vgpr_msb 4                        ;  msbs: dst=0 src0=0 src1=1 src2=0
	v_perm_b32 v3, v137, v18 /*v274*/, 0x4030201
	s_set_vgpr_msb 0                        ;  msbs: dst=0 src0=0 src1=0 src2=0
	v_mul_lo_u32 v10, v9, v203
	s_set_vgpr_msb 4                        ;  msbs: dst=0 src0=0 src1=1 src2=0
	v_dot4_i32_iu8 v15, v242, v44 /*v300*/, v15 neg_lo:[1,1,0]
	s_set_vgpr_msb 1                        ;  msbs: dst=0 src0=1 src1=0 src2=0
	v_dot4_i32_iu8 v14, v26 /*v282*/, v241, v14 neg_lo:[1,1,0]
	s_set_vgpr_msb 4                        ;  msbs: dst=0 src0=0 src1=1 src2=0
	v_cvt_f32_i32_e32 v9, v8
	v_dot4_i32_iu8 v2, v147, v44 /*v300*/, v2 neg_lo:[1,1,0]
	s_set_vgpr_msb 64                       ;  msbs: dst=1 src0=0 src1=0 src2=0
	v_mul_lo_u32 v47 /*v303*/, v15, v220
	s_set_vgpr_msb 4                        ;  msbs: dst=0 src0=0 src1=1 src2=0
	v_dot4_i32_iu8 v14, v242, v24 /*v280*/, v14 neg_lo:[1,1,0]
	s_set_vgpr_msb 0                        ;  msbs: dst=0 src0=0 src1=0 src2=0
	v_mul_lo_u32 v2, v2, v209
	v_cvt_f32_i32_e32 v8, v10
	s_delay_alu instid0(VALU_DEP_3) | instskip(SKIP_1) | instid1(VALU_DEP_3)
	v_mul_lo_u32 v14, v14, v220
	v_pk_fma_f32 v[10:11], v[128:129], v[20:21], 0 op_sel_hi:[0,1,0]
	v_pk_fma_f32 v[8:9], v[16:17], v[8:9], 0 op_sel_hi:[1,1,0]
	s_delay_alu instid0(VALU_DEP_2)
	v_pk_fma_f32 v[10:11], v[144:145], v[0:1], v[10:11] op_sel_hi:[0,1,1]
	v_cvt_f32_i32_e32 v2, v2
	v_cvt_f32_i32_e32 v15, v14
	s_set_vgpr_msb 1                        ;  msbs: dst=0 src0=1 src1=0 src2=0
	v_cvt_f32_i32_e32 v14, v47 /*v303*/
	s_set_vgpr_msb 0                        ;  msbs: dst=0 src0=0 src1=0 src2=0
	v_pk_mul_f32 v[10:11], v[10:11], v[114:115]
	s_set_vgpr_msb 1                        ;  msbs: dst=0 src0=1 src1=0 src2=0
	s_delay_alu instid0(VALU_DEP_2) | instskip(SKIP_1) | instid1(VALU_DEP_1)
	v_pk_fma_f32 v[8:9], v[20:21] /*v[276:277]*/, v[14:15], v[8:9]
	s_set_vgpr_msb 0                        ;  msbs: dst=0 src0=0 src1=0 src2=0
	v_pk_fma_f32 v[8:9], v[8:9], v[24:25], v[10:11] neg_lo:[0,0,1] neg_hi:[0,0,1]
	s_set_vgpr_msb 1                        ;  msbs: dst=0 src0=1 src1=0 src2=0
	v_perm_b32 v10, v19 /*v275*/, v136, 0x4030201
	s_set_vgpr_msb 0                        ;  msbs: dst=0 src0=0 src1=0 src2=0
	s_delay_alu instid0(VALU_DEP_2) | instskip(SKIP_2) | instid1(VALU_DEP_1)
	v_pk_add_f32 v[52:53], v[52:53], v[8:9]
	s_set_vgpr_msb 1                        ;  msbs: dst=0 src0=1 src1=0 src2=0
	v_mul_i32_i24_e32 v8, v29 /*v285*/, v213
	v_mad_i32_i24 v8, v30 /*v286*/, v214, v8
	s_set_vgpr_msb 0                        ;  msbs: dst=0 src0=0 src1=0 src2=0
	s_delay_alu instid0(VALU_DEP_1) | instskip(SKIP_1) | instid1(VALU_DEP_2)
	v_dot4_i32_iu8 v4, v4, v215, v8 neg_lo:[1,1,0]
	v_perm_b32 v8, v146, v19, 0x4030201
	v_dot4_i32_iu8 v4, v5, v216, v4 neg_lo:[1,1,0]
	v_perm_b32 v5, v7, v6, 0x5040302
	s_set_vgpr_msb 1                        ;  msbs: dst=0 src0=1 src1=0 src2=0
	v_perm_b32 v6, v16 /*v272*/, v133, 0x4030201
	s_set_vgpr_msb 0                        ;  msbs: dst=0 src0=0 src1=0 src2=0
	s_delay_alu instid0(VALU_DEP_2) | instskip(SKIP_1) | instid1(VALU_DEP_1)
	v_dot4_i32_iu8 v4, v5, v217, v4 neg_lo:[1,1,0]
	v_perm_b32 v5, v12, v7, 0x5040302
	v_dot4_i32_iu8 v4, v5, v218, v4 neg_lo:[1,1,0]
	v_perm_b32 v5, v13, v12, 0x5040302
	s_delay_alu instid0(VALU_DEP_1) | instskip(SKIP_2) | instid1(VALU_DEP_2)
	v_dot4_i32_iu8 v4, v5, v219, v4 neg_lo:[1,1,0]
	s_set_vgpr_msb 1                        ;  msbs: dst=0 src0=1 src1=0 src2=0
	v_mul_i32_i24_e32 v5, v32 /*v288*/, v222
	v_dot4_i32_iu8 v4, v38 /*v294*/, v221, v4 neg_lo:[1,1,0]
	s_delay_alu instid0(VALU_DEP_2) | instskip(NEXT) | instid1(VALU_DEP_2)
	v_dot4_i32_iu8 v5, v40 /*v296*/, v244, v5 neg_lo:[1,1,0]
	v_dot4_i32_iu8 v4, v22 /*v278*/, v249, v4 neg_lo:[1,1,0]
	s_delay_alu instid0(VALU_DEP_2) | instskip(SKIP_1) | instid1(VALU_DEP_2)
	v_dot4_i32_iu8 v5, v41 /*v297*/, v245, v5 neg_lo:[1,1,0]
	s_set_vgpr_msb 4                        ;  msbs: dst=0 src0=0 src1=1 src2=0
	v_dot4_i32_iu8 v4, v250, v39 /*v295*/, v4 neg_lo:[1,1,0]
	s_set_vgpr_msb 0                        ;  msbs: dst=0 src0=0 src1=0 src2=0
	s_delay_alu instid0(VALU_DEP_2) | instskip(NEXT) | instid1(VALU_DEP_2)
	v_dot4_i32_iu8 v5, v18, v246, v5 neg_lo:[1,1,0]
	v_mul_lo_u32 v4, v4, v212
	s_delay_alu instid0(VALU_DEP_2) | instskip(SKIP_1) | instid1(VALU_DEP_1)
	v_dot4_i32_iu8 v5, v8, v6, v5 neg_lo:[1,1,0]
	s_set_vgpr_msb 4                        ;  msbs: dst=0 src0=0 src1=1 src2=0
	v_dot4_i32_iu8 v5, v247, v43 /*v299*/, v5 neg_lo:[1,1,0]
	s_delay_alu instid0(VALU_DEP_1) | instskip(SKIP_3) | instid1(VALU_DEP_2)
	v_dot4_i32_iu8 v6, v248, v17 /*v273*/, v5 neg_lo:[1,1,0]
	s_set_vgpr_msb 17                       ;  msbs: dst=0 src0=1 src1=0 src2=1
	v_dot4_i32_iu8 v5, v45 /*v301*/, v249, v27 /*v283*/ neg_lo:[1,1,0]
	s_set_vgpr_msb 0                        ;  msbs: dst=0 src0=0 src1=0 src2=0
	v_dot4_i32_iu8 v3, v10, v3, v6 neg_lo:[1,1,0]
	s_set_vgpr_msb 4                        ;  msbs: dst=0 src0=0 src1=1 src2=0
	s_delay_alu instid0(VALU_DEP_2) | instskip(NEXT) | instid1(VALU_DEP_2)
	v_dot4_i32_iu8 v5, v250, v46 /*v302*/, v5 neg_lo:[1,1,0]
	v_dot4_i32_iu8 v3, v147, v24 /*v280*/, v3 neg_lo:[1,1,0]
	s_set_vgpr_msb 0                        ;  msbs: dst=0 src0=0 src1=0 src2=0
	s_delay_alu instid0(VALU_DEP_2) | instskip(SKIP_1) | instid1(VALU_DEP_3)
	v_mul_lo_u32 v8, v5, v212
	v_cvt_f32_i32_e32 v5, v4
	v_mul_lo_u32 v3, v3, v209
	s_delay_alu instid0(VALU_DEP_3) | instskip(SKIP_1) | instid1(VALU_DEP_3)
	v_cvt_f32_i32_e32 v4, v8
	v_pk_fma_f32 v[8:9], v[138:139], v[20:21], 0 op_sel_hi:[0,1,0]
	v_cvt_f32_i32_e32 v3, v3
	s_delay_alu instid0(VALU_DEP_3) | instskip(SKIP_1) | instid1(VALU_DEP_1)
	v_pk_fma_f32 v[4:5], v[16:17], v[4:5], 0 op_sel_hi:[1,1,0]
	s_set_vgpr_msb 1                        ;  msbs: dst=0 src0=1 src1=0 src2=0
	v_pk_fma_f32 v[2:3], v[20:21] /*v[276:277]*/, v[2:3], v[4:5]
	s_set_vgpr_msb 0                        ;  msbs: dst=0 src0=0 src1=0 src2=0
	v_pk_fma_f32 v[4:5], v[142:143], v[0:1], v[8:9] op_sel_hi:[0,1,1]
	s_delay_alu instid0(VALU_DEP_1) | instskip(NEXT) | instid1(VALU_DEP_1)
	v_pk_mul_f32 v[4:5], v[4:5], v[116:117]
	v_pk_fma_f32 v[2:3], v[2:3], v[26:27], v[4:5] neg_lo:[0,0,1] neg_hi:[0,0,1]
	v_perm_b32 v4, v206, v7, 0x6050403
	s_set_vgpr_msb 17                       ;  msbs: dst=0 src0=1 src1=0 src2=1
	v_dot4_i32_iu8 v7, v25 /*v281*/, v132, v23 /*v279*/ neg_lo:[1,1,0]
	s_set_vgpr_msb 0                        ;  msbs: dst=0 src0=0 src1=0 src2=0
	v_pk_add_f32 v[50:51], v[50:51], v[2:3]
	s_set_vgpr_msb 1                        ;  msbs: dst=0 src0=1 src1=0 src2=0
	v_mul_i32_i24_e32 v2, v29 /*v285*/, v207
	s_set_vgpr_msb 0                        ;  msbs: dst=0 src0=0 src1=0 src2=0
	v_perm_b32 v3, v12, v141, 0x6050403
	s_set_vgpr_msb 4                        ;  msbs: dst=0 src0=0 src1=1 src2=0
	v_dot4_i32_iu8 v7, v134, v44 /*v300*/, v7 neg_lo:[1,1,0]
	s_set_vgpr_msb 1                        ;  msbs: dst=0 src0=1 src1=0 src2=0
	v_dot4_i32_iu8 v2, v33 /*v289*/, v223, v2 neg_lo:[1,1,0]
	s_set_vgpr_msb 0                        ;  msbs: dst=0 src0=0 src1=0 src2=0
	s_delay_alu instid0(VALU_DEP_2) | instskip(SKIP_1) | instid1(VALU_DEP_2)
	v_mul_lo_u32 v8, v7, v145
	s_set_vgpr_msb 1                        ;  msbs: dst=0 src0=1 src1=0 src2=0
	v_dot4_i32_iu8 v2, v34 /*v290*/, v224, v2 neg_lo:[1,1,0]
	s_delay_alu instid0(VALU_DEP_1) | instskip(NEXT) | instid1(VALU_DEP_1)
	v_dot4_i32_iu8 v2, v35 /*v291*/, v225, v2 neg_lo:[1,1,0]
	v_dot4_i32_iu8 v2, v36 /*v292*/, v140, v2 neg_lo:[1,1,0]
	s_set_vgpr_msb 0                        ;  msbs: dst=0 src0=0 src1=0 src2=0
	s_delay_alu instid0(VALU_DEP_1) | instskip(SKIP_3) | instid1(VALU_DEP_2)
	v_dot4_i32_iu8 v2, v4, v3, v2 neg_lo:[1,1,0]
	s_set_vgpr_msb 1                        ;  msbs: dst=0 src0=1 src1=0 src2=0
	v_mul_i32_i24_e32 v3, v32 /*v288*/, v211
	s_set_vgpr_msb 4                        ;  msbs: dst=0 src0=0 src1=1 src2=0
	v_mad_i32_i24 v2, v208, v31 /*v287*/, v2
	s_set_vgpr_msb 1                        ;  msbs: dst=0 src0=1 src1=0 src2=0
	s_delay_alu instid0(VALU_DEP_2) | instskip(SKIP_1) | instid1(VALU_DEP_2)
	v_dot4_i32_iu8 v3, v40 /*v296*/, v228, v3 neg_lo:[1,1,0]
	s_set_vgpr_msb 4                        ;  msbs: dst=0 src0=0 src1=1 src2=0
	v_dot4_i32_iu8 v2, v226, v37 /*v293*/, v2 neg_lo:[1,1,0]
	s_set_vgpr_msb 1                        ;  msbs: dst=0 src0=1 src1=0 src2=0
	s_delay_alu instid0(VALU_DEP_2) | instskip(SKIP_1) | instid1(VALU_DEP_2)
	v_dot4_i32_iu8 v3, v41 /*v297*/, v229, v3 neg_lo:[1,1,0]
	s_set_vgpr_msb 4                        ;  msbs: dst=0 src0=0 src1=1 src2=0
	v_dot4_i32_iu8 v2, v227, v38 /*v294*/, v2 neg_lo:[1,1,0]
	s_set_vgpr_msb 0                        ;  msbs: dst=0 src0=0 src1=0 src2=0
	s_delay_alu instid0(VALU_DEP_2) | instskip(SKIP_1) | instid1(VALU_DEP_2)
	v_dot4_i32_iu8 v3, v18, v230, v3 neg_lo:[1,1,0]
	s_set_vgpr_msb 1                        ;  msbs: dst=0 src0=1 src1=0 src2=0
	v_dot4_i32_iu8 v2, v22 /*v278*/, v234, v2 neg_lo:[1,1,0]
	s_set_vgpr_msb 4                        ;  msbs: dst=0 src0=0 src1=1 src2=0
	s_delay_alu instid0(VALU_DEP_2) | instskip(NEXT) | instid1(VALU_DEP_2)
	v_dot4_i32_iu8 v3, v231, v42 /*v298*/, v3 neg_lo:[1,1,0]
	v_dot4_i32_iu8 v2, v235, v39 /*v295*/, v2 neg_lo:[1,1,0]
	s_delay_alu instid0(VALU_DEP_2) | instskip(SKIP_1) | instid1(VALU_DEP_2)
	v_dot4_i32_iu8 v3, v232, v43 /*v299*/, v3 neg_lo:[1,1,0]
	s_set_vgpr_msb 0                        ;  msbs: dst=0 src0=0 src1=0 src2=0
	v_mul_lo_u32 v2, v2, v210
	s_set_vgpr_msb 4                        ;  msbs: dst=0 src0=0 src1=1 src2=0
	s_delay_alu instid0(VALU_DEP_2) | instskip(SKIP_3) | instid1(VALU_DEP_2)
	v_dot4_i32_iu8 v6, v233, v17 /*v273*/, v3 neg_lo:[1,1,0]
	s_set_vgpr_msb 17                       ;  msbs: dst=0 src0=1 src1=0 src2=1
	v_dot4_i32_iu8 v3, v45 /*v301*/, v234, v15 /*v271*/ neg_lo:[1,1,0]
	s_set_vgpr_msb 1                        ;  msbs: dst=0 src0=1 src1=0 src2=0
	v_dot4_i32_iu8 v6, v26 /*v282*/, v132, v6 neg_lo:[1,1,0]
	s_set_vgpr_msb 4                        ;  msbs: dst=0 src0=0 src1=1 src2=0
	s_delay_alu instid0(VALU_DEP_2) | instskip(NEXT) | instid1(VALU_DEP_2)
	v_dot4_i32_iu8 v3, v235, v46 /*v302*/, v3 neg_lo:[1,1,0]
	v_dot4_i32_iu8 v6, v134, v24 /*v280*/, v6 neg_lo:[1,1,0]
	s_set_vgpr_msb 0                        ;  msbs: dst=0 src0=0 src1=0 src2=0
	s_delay_alu instid0(VALU_DEP_2) | instskip(SKIP_1) | instid1(VALU_DEP_3)
	v_mul_lo_u32 v4, v3, v210
	v_cvt_f32_i32_e32 v3, v2
	v_mul_lo_u32 v6, v6, v145
	s_delay_alu instid0(VALU_DEP_3) | instskip(SKIP_1) | instid1(VALU_DEP_3)
	v_cvt_f32_i32_e32 v2, v4
	v_pk_fma_f32 v[4:5], v[130:131], v[20:21], 0 op_sel_hi:[0,1,0]
	v_cvt_f32_i32_e32 v7, v6
	s_delay_alu instid0(VALU_DEP_3) | instskip(SKIP_1) | instid1(VALU_DEP_4)
	v_pk_fma_f32 v[2:3], v[16:17], v[2:3], 0 op_sel_hi:[1,1,0]
	v_cvt_f32_i32_e32 v6, v8
	v_pk_fma_f32 v[0:1], v[120:121], v[0:1], v[4:5] op_sel_hi:[0,1,1]
	s_set_vgpr_msb 1                        ;  msbs: dst=0 src0=1 src1=0 src2=0
	s_delay_alu instid0(VALU_DEP_2) | instskip(SKIP_1) | instid1(VALU_DEP_2)
	v_pk_fma_f32 v[2:3], v[20:21] /*v[276:277]*/, v[6:7], v[2:3]
	s_set_vgpr_msb 0                        ;  msbs: dst=0 src0=0 src1=0 src2=0
	v_pk_mul_f32 v[0:1], v[0:1], v[118:119]
	s_delay_alu instid0(VALU_DEP_1) | instskip(NEXT) | instid1(VALU_DEP_1)
	v_pk_fma_f32 v[0:1], v[2:3], v[110:111], v[0:1] neg_lo:[0,0,1] neg_hi:[0,0,1]
	v_pk_add_f32 v[48:49], v[48:49], v[0:1]
	v_or_b32_e32 v0, s5, v185
	s_delay_alu instid0(VALU_DEP_1)
	v_dual_lshlrev_b32 v1, 2, v0 :: v_dual_lshrrev_b32 v20, 1, v0
	ds_load_b128 v[4:7], v1 offset:33280
	ds_load_b128 v[8:11], v1 offset:33296
	;; [unrolled: 1-line block ×4, first 2 shown]
	s_wait_dscnt 0x3
	v_bfe_i32 v16, v4, 0, 8
	s_set_vgpr_msb 64                       ;  msbs: dst=1 src0=0 src1=0 src2=0
	v_perm_b32 v15 /*v271*/, v4, v4, 0xc0c0201
	v_perm_b32 v16 /*v272*/, v5, v4, 0x6050403
	;; [unrolled: 1-line block ×4, first 2 shown]
	s_set_vgpr_msb 0                        ;  msbs: dst=0 src0=0 src1=0 src2=0
	v_mul_i32_i24_e32 v21, v16, v150
	s_wait_dscnt 0x2
	s_set_vgpr_msb 64                       ;  msbs: dst=1 src0=0 src1=0 src2=0
	v_perm_b32 v19 /*v275*/, v8, v121, 0x6050403
	v_perm_b32 v20 /*v276*/, v148, v7, 0x6050403
	s_set_vgpr_msb 0                        ;  msbs: dst=0 src0=0 src1=0 src2=0
	v_ashrrev_i32_e32 v18, 24, v8
	s_wait_dscnt 0x1
	v_bfe_i32 v19, v12, 0, 8
	s_set_vgpr_msb 5                        ;  msbs: dst=0 src0=1 src1=1 src2=0
	v_dot4_i32_iu8 v21, v15 /*v271*/, v9 /*v265*/, v21 neg_lo:[1,1,0]
	s_set_vgpr_msb 0                        ;  msbs: dst=0 src0=0 src1=0 src2=0
	v_perm_b32 v12, v13, v12, 0x4030201
	v_perm_b32 v13, v14, v13, 0x4030201
	v_perm_b32 v14, v15, v14, 0x4030201
	s_wait_dscnt 0x0
	s_set_vgpr_msb 64                       ;  msbs: dst=1 src0=0 src1=0 src2=0
	v_perm_b32 v21 /*v277*/, v0, v15, 0x4030201
	s_set_vgpr_msb 5                        ;  msbs: dst=0 src0=1 src1=1 src2=0
	v_dot4_i32_iu8 v21, v16 /*v272*/, v10 /*v266*/, v21 neg_lo:[1,1,0]
	s_set_vgpr_msb 64                       ;  msbs: dst=1 src0=0 src1=0 src2=0
	v_perm_b32 v23 /*v279*/, v1, v0, 0x4030201
	s_set_vgpr_msb 0                        ;  msbs: dst=0 src0=0 src1=0 src2=0
	v_perm_b32 v1, v2, v1, 0x4030201
	s_set_vgpr_msb 64                       ;  msbs: dst=1 src0=0 src1=0 src2=0
	v_perm_b32 v25 /*v281*/, v8, v135, 0x6050403
	v_perm_b32 v26 /*v282*/, v155, v7, 0x6050403
	s_set_vgpr_msb 5                        ;  msbs: dst=0 src0=1 src1=1 src2=0
	v_dot4_i32_iu8 v21, v17 /*v273*/, v11 /*v267*/, v21 neg_lo:[1,1,0]
	s_set_vgpr_msb 0                        ;  msbs: dst=0 src0=0 src1=0 src2=0
	v_bfe_i32 v17, v4, 8, 8
	v_perm_b32 v4, v5, v4, 0x5040302
	v_perm_b32 v5, v6, v5, 0x5040302
	;; [unrolled: 1-line block ×3, first 2 shown]
	s_set_vgpr_msb 5                        ;  msbs: dst=0 src0=1 src1=1 src2=0
	v_dot4_i32_iu8 v21, v18 /*v274*/, v12 /*v268*/, v21 neg_lo:[1,1,0]
	s_set_vgpr_msb 64                       ;  msbs: dst=1 src0=0 src1=0 src2=0
	v_perm_b32 v45 /*v301*/, v11, v10, 0x5040302
	v_perm_b32 v46 /*v302*/, v11, v11, 0xc0c0302
	s_set_vgpr_msb 5                        ;  msbs: dst=0 src0=1 src1=1 src2=0
	v_dot4_i32_iu8 v21, v20 /*v276*/, v19 /*v275*/, v21 neg_lo:[1,1,0]
	s_set_vgpr_msb 64                       ;  msbs: dst=1 src0=0 src1=0 src2=0
	v_perm_b32 v19 /*v275*/, v9, v9, 0xc0c0100
	v_perm_b32 v20 /*v276*/, v10, v9, 0x5040302
	s_set_vgpr_msb 0                        ;  msbs: dst=0 src0=0 src1=0 src2=0
	v_mad_i32_i24 v21, v149, v18, v21
	s_set_vgpr_msb 5                        ;  msbs: dst=0 src0=1 src1=1 src2=0
	s_delay_alu instid0(VALU_DEP_1) | instskip(SKIP_1) | instid1(VALU_DEP_1)
	v_dot4_i32_iu8 v21, v13 /*v269*/, v19 /*v275*/, v21 neg_lo:[1,1,0]
	s_set_vgpr_msb 0x45                     ;  msbs: dst=1 src0=1 src1=1 src2=0
	v_dot4_i32_iu8 v22 /*v278*/, v14 /*v270*/, v20 /*v276*/, v21 neg_lo:[1,1,0]
	s_set_vgpr_msb 0                        ;  msbs: dst=0 src0=0 src1=0 src2=0
	v_mul_i32_i24_e32 v21, v151, v19
	s_delay_alu instid0(VALU_DEP_1) | instskip(NEXT) | instid1(VALU_DEP_1)
	v_dot4_i32_iu8 v21, v152, v12, v21 neg_lo:[1,1,0]
	v_dot4_i32_iu8 v21, v153, v13, v21 neg_lo:[1,1,0]
	s_set_vgpr_msb 1                        ;  msbs: dst=0 src0=1 src1=0 src2=0
	s_delay_alu instid0(VALU_DEP_1) | instskip(SKIP_1) | instid1(VALU_DEP_1)
	v_dot4_i32_iu8 v21, v5 /*v261*/, v14, v21 neg_lo:[1,1,0]
	s_set_vgpr_msb 5                        ;  msbs: dst=0 src0=1 src1=1 src2=0
	v_dot4_i32_iu8 v21, v6 /*v262*/, v21 /*v277*/, v21 neg_lo:[1,1,0]
	s_delay_alu instid0(VALU_DEP_1) | instskip(SKIP_1) | instid1(VALU_DEP_1)
	v_dot4_i32_iu8 v21, v7 /*v263*/, v23 /*v279*/, v21 neg_lo:[1,1,0]
	s_set_vgpr_msb 0x41                     ;  msbs: dst=1 src0=1 src1=0 src2=0
	v_dot4_i32_iu8 v24 /*v280*/, v8 /*v264*/, v1, v21 neg_lo:[1,1,0]
	s_set_vgpr_msb 0                        ;  msbs: dst=0 src0=0 src1=0 src2=0
	v_mul_i32_i24_e32 v21, v16, v156
	s_set_vgpr_msb 1                        ;  msbs: dst=0 src0=1 src1=0 src2=0
	s_delay_alu instid0(VALU_DEP_1) | instskip(NEXT) | instid1(VALU_DEP_1)
	v_dot4_i32_iu8 v21, v15 /*v271*/, v253, v21 neg_lo:[1,1,0]
	v_dot4_i32_iu8 v21, v16 /*v272*/, v254, v21 neg_lo:[1,1,0]
	s_delay_alu instid0(VALU_DEP_1) | instskip(SKIP_1) | instid1(VALU_DEP_1)
	v_dot4_i32_iu8 v21, v17 /*v273*/, v255, v21 neg_lo:[1,1,0]
	s_set_vgpr_msb 5                        ;  msbs: dst=0 src0=1 src1=1 src2=0
	v_dot4_i32_iu8 v21, v18 /*v274*/, v0 /*v256*/, v21 neg_lo:[1,1,0]
	s_delay_alu instid0(VALU_DEP_1) | instskip(SKIP_1) | instid1(VALU_DEP_1)
	v_dot4_i32_iu8 v21, v26 /*v282*/, v25 /*v281*/, v21 neg_lo:[1,1,0]
	s_set_vgpr_msb 0                        ;  msbs: dst=0 src0=0 src1=0 src2=0
	v_mad_i32_i24 v21, v157, v18, v21
	s_set_vgpr_msb 5                        ;  msbs: dst=0 src0=1 src1=1 src2=0
	s_delay_alu instid0(VALU_DEP_1) | instskip(SKIP_1) | instid1(VALU_DEP_1)
	v_dot4_i32_iu8 v21, v1 /*v257*/, v19 /*v275*/, v21 neg_lo:[1,1,0]
	s_set_vgpr_msb 0x45                     ;  msbs: dst=1 src0=1 src1=1 src2=0
	v_dot4_i32_iu8 v25 /*v281*/, v2 /*v258*/, v20 /*v276*/, v21 neg_lo:[1,1,0]
	s_set_vgpr_msb 0                        ;  msbs: dst=0 src0=0 src1=0 src2=0
	v_mul_i32_i24_e32 v21, v19, v204
	s_delay_alu instid0(VALU_DEP_1) | instskip(NEXT) | instid1(VALU_DEP_1)
	v_dot4_i32_iu8 v21, v12, v205, v21 neg_lo:[1,1,0]
	v_dot4_i32_iu8 v21, v13, v236, v21 neg_lo:[1,1,0]
	s_delay_alu instid0(VALU_DEP_1) | instskip(SKIP_1) | instid1(VALU_DEP_1)
	v_dot4_i32_iu8 v21, v14, v237, v21 neg_lo:[1,1,0]
	s_set_vgpr_msb 1                        ;  msbs: dst=0 src0=1 src1=0 src2=0
	v_dot4_i32_iu8 v21, v21 /*v277*/, v238, v21 neg_lo:[1,1,0]
	s_delay_alu instid0(VALU_DEP_1) | instskip(SKIP_1) | instid1(VALU_DEP_1)
	v_dot4_i32_iu8 v21, v23 /*v279*/, v239, v21 neg_lo:[1,1,0]
	s_set_vgpr_msb 64                       ;  msbs: dst=1 src0=0 src1=0 src2=0
	v_dot4_i32_iu8 v26 /*v282*/, v1, v240, v21 neg_lo:[1,1,0]
	s_set_vgpr_msb 0                        ;  msbs: dst=0 src0=0 src1=0 src2=0
	v_mul_i32_i24_e32 v21, v16, v213
	s_delay_alu instid0(VALU_DEP_1) | instskip(NEXT) | instid1(VALU_DEP_1)
	v_mad_i32_i24 v17, v17, v214, v21
	v_dot4_i32_iu8 v4, v4, v215, v17 neg_lo:[1,1,0]
	s_delay_alu instid0(VALU_DEP_1) | instskip(SKIP_1) | instid1(VALU_DEP_1)
	v_dot4_i32_iu8 v4, v5, v216, v4 neg_lo:[1,1,0]
	v_perm_b32 v5, v7, v6, 0x5040302
	v_dot4_i32_iu8 v4, v5, v217, v4 neg_lo:[1,1,0]
	v_perm_b32 v5, v8, v7, 0x5040302
	s_delay_alu instid0(VALU_DEP_1) | instskip(SKIP_1) | instid1(VALU_DEP_1)
	v_dot4_i32_iu8 v4, v5, v218, v4 neg_lo:[1,1,0]
	v_perm_b32 v5, v9, v8, 0x5040302
	v_dot4_i32_iu8 v4, v5, v219, v4 neg_lo:[1,1,0]
	v_perm_b32 v5, v146, v15, 0x4030201
	s_set_vgpr_msb 0x41                     ;  msbs: dst=1 src0=1 src1=0 src2=0
	s_delay_alu instid0(VALU_DEP_2) | instskip(SKIP_2) | instid1(VALU_DEP_1)
	v_dot4_i32_iu8 v27 /*v283*/, v20 /*v276*/, v221, v4 neg_lo:[1,1,0]
	s_set_vgpr_msb 0                        ;  msbs: dst=0 src0=0 src1=0 src2=0
	v_mul_i32_i24_e32 v4, v19, v222
	v_dot4_i32_iu8 v4, v12, v244, v4 neg_lo:[1,1,0]
	s_delay_alu instid0(VALU_DEP_1) | instskip(NEXT) | instid1(VALU_DEP_1)
	v_dot4_i32_iu8 v4, v13, v245, v4 neg_lo:[1,1,0]
	v_dot4_i32_iu8 v4, v14, v246, v4 neg_lo:[1,1,0]
	s_delay_alu instid0(VALU_DEP_1) | instskip(SKIP_3) | instid1(VALU_DEP_3)
	v_dot4_i32_iu8 v0, v5, v0, v4 neg_lo:[1,1,0]
	v_perm_b32 v4, v8, v141, 0x6050403
	v_perm_b32 v5, v206, v7, 0x6050403
	s_set_vgpr_msb 4                        ;  msbs: dst=0 src0=0 src1=1 src2=0
	v_dot4_i32_iu8 v0, v247, v23 /*v279*/, v0 neg_lo:[1,1,0]
	s_set_vgpr_msb 64                       ;  msbs: dst=1 src0=0 src1=0 src2=0
	s_delay_alu instid0(VALU_DEP_1) | instskip(SKIP_3) | instid1(VALU_DEP_1)
	v_dot4_i32_iu8 v28 /*v284*/, v248, v1, v0 neg_lo:[1,1,0]
	s_set_vgpr_msb 0                        ;  msbs: dst=0 src0=0 src1=0 src2=0
	v_mul_i32_i24_e32 v0, v16, v207
	s_set_vgpr_msb 1                        ;  msbs: dst=0 src0=1 src1=0 src2=0
	v_dot4_i32_iu8 v0, v15 /*v271*/, v223, v0 neg_lo:[1,1,0]
	s_delay_alu instid0(VALU_DEP_1) | instskip(NEXT) | instid1(VALU_DEP_1)
	v_dot4_i32_iu8 v0, v16 /*v272*/, v224, v0 neg_lo:[1,1,0]
	v_dot4_i32_iu8 v0, v17 /*v273*/, v225, v0 neg_lo:[1,1,0]
	s_delay_alu instid0(VALU_DEP_1) | instskip(SKIP_1) | instid1(VALU_DEP_1)
	v_dot4_i32_iu8 v0, v18 /*v274*/, v140, v0 neg_lo:[1,1,0]
	s_set_vgpr_msb 0                        ;  msbs: dst=0 src0=0 src1=0 src2=0
	v_dot4_i32_iu8 v0, v5, v4, v0 neg_lo:[1,1,0]
	s_delay_alu instid0(VALU_DEP_1) | instskip(SKIP_1) | instid1(VALU_DEP_1)
	v_mad_i32_i24 v0, v208, v18, v0
	s_set_vgpr_msb 4                        ;  msbs: dst=0 src0=0 src1=1 src2=0
	v_dot4_i32_iu8 v0, v226, v19 /*v275*/, v0 neg_lo:[1,1,0]
	s_set_vgpr_msb 0x44                     ;  msbs: dst=1 src0=0 src1=1 src2=0
	s_delay_alu instid0(VALU_DEP_1) | instskip(SKIP_2) | instid1(VALU_DEP_1)
	v_dot4_i32_iu8 v15 /*v271*/, v227, v20 /*v276*/, v0 neg_lo:[1,1,0]
	s_set_vgpr_msb 0                        ;  msbs: dst=0 src0=0 src1=0 src2=0
	v_mul_i32_i24_e32 v0, v19, v211
	v_dot4_i32_iu8 v0, v12, v228, v0 neg_lo:[1,1,0]
	s_delay_alu instid0(VALU_DEP_1) | instskip(NEXT) | instid1(VALU_DEP_1)
	v_dot4_i32_iu8 v0, v13, v229, v0 neg_lo:[1,1,0]
	v_dot4_i32_iu8 v0, v14, v230, v0 neg_lo:[1,1,0]
	s_set_vgpr_msb 4                        ;  msbs: dst=0 src0=0 src1=1 src2=0
	s_delay_alu instid0(VALU_DEP_1) | instskip(NEXT) | instid1(VALU_DEP_1)
	v_dot4_i32_iu8 v0, v231, v21 /*v277*/, v0 neg_lo:[1,1,0]
	v_dot4_i32_iu8 v0, v232, v23 /*v279*/, v0 neg_lo:[1,1,0]
	s_set_vgpr_msb 64                       ;  msbs: dst=1 src0=0 src1=0 src2=0
	s_delay_alu instid0(VALU_DEP_1) | instskip(SKIP_2) | instid1(VALU_DEP_1)
	v_dot4_i32_iu8 v23 /*v279*/, v233, v1, v0 neg_lo:[1,1,0]
	s_set_vgpr_msb 0                        ;  msbs: dst=0 src0=0 src1=0 src2=0
	v_or_b32_e32 v0, s5, v186
	v_dual_lshlrev_b32 v1, 2, v0 :: v_dual_lshrrev_b32 v8, 1, v0
	ds_load_b128 v[4:7], v1 offset:33280
	ds_load_b128 v[12:15], v1 offset:33296
	;; [unrolled: 1-line block ×3, first 2 shown]
	s_set_vgpr_msb 64                       ;  msbs: dst=1 src0=0 src1=0 src2=0
	ds_load_b128 v[16:19] /*v[272:275]*/, v1 offset:33328
	s_wait_dscnt 0x3
	v_bfe_i32 v29 /*v285*/, v4, 0, 8
	v_perm_b32 v33 /*v289*/, v4, v4, 0xc0c0201
	v_perm_b32 v34 /*v290*/, v5, v4, 0x6050403
	;; [unrolled: 1-line block ×4, first 2 shown]
	s_set_vgpr_msb 1                        ;  msbs: dst=0 src0=1 src1=0 src2=0
	v_mul_i32_i24_e32 v0, v29 /*v285*/, v150
	s_wait_dscnt 0x2
	s_set_vgpr_msb 0                        ;  msbs: dst=0 src0=0 src1=0 src2=0
	v_perm_b32 v1, v12, v121, 0x6050403
	v_perm_b32 v9, v148, v7, 0x6050403
	s_set_vgpr_msb 64                       ;  msbs: dst=1 src0=0 src1=0 src2=0
	v_ashrrev_i32_e32 v31 /*v287*/, 24, v12
	v_perm_b32 v37 /*v293*/, v13, v13, 0xc0c0100
	s_set_vgpr_msb 5                        ;  msbs: dst=0 src0=1 src1=1 src2=0
	v_dot4_i32_iu8 v0, v33 /*v289*/, v9 /*v265*/, v0 neg_lo:[1,1,0]
	s_wait_dscnt 0x1
	s_set_vgpr_msb 64                       ;  msbs: dst=1 src0=0 src1=0 src2=0
	v_bfe_i32 v32 /*v288*/, v16, 0, 8
	v_perm_b32 v38 /*v294*/, v14, v13, 0x5040302
	v_perm_b32 v40 /*v296*/, v17, v16, 0x4030201
	v_perm_b32 v41 /*v297*/, v18, v17, 0x4030201
	s_set_vgpr_msb 5                        ;  msbs: dst=0 src0=1 src1=1 src2=0
	v_dot4_i32_iu8 v0, v34 /*v290*/, v10 /*v266*/, v0 neg_lo:[1,1,0]
	s_set_vgpr_msb 0                        ;  msbs: dst=0 src0=0 src1=0 src2=0
	v_perm_b32 v18, v19, v18, 0x4030201
	s_wait_dscnt 0x0
	s_set_vgpr_msb 0x41                     ;  msbs: dst=1 src0=1 src1=0 src2=0
	v_perm_b32 v42 /*v298*/, v16 /*v272*/, v19, 0x4030201
	s_set_vgpr_msb 0x45                     ;  msbs: dst=1 src0=1 src1=1 src2=0
	v_perm_b32 v43 /*v299*/, v17 /*v273*/, v16 /*v272*/, 0x4030201
	v_perm_b32 v17 /*v273*/, v18 /*v274*/, v17 /*v273*/, 0x4030201
	s_set_vgpr_msb 5                        ;  msbs: dst=0 src0=1 src1=1 src2=0
	v_dot4_i32_iu8 v0, v35 /*v291*/, v11 /*v267*/, v0 neg_lo:[1,1,0]
	s_set_vgpr_msb 64                       ;  msbs: dst=1 src0=0 src1=0 src2=0
	v_bfe_i32 v30 /*v286*/, v4, 8, 8
	s_set_vgpr_msb 0                        ;  msbs: dst=0 src0=0 src1=0 src2=0
	v_perm_b32 v4, v5, v4, 0x5040302
	v_perm_b32 v5, v6, v5, 0x5040302
	s_set_vgpr_msb 5                        ;  msbs: dst=0 src0=1 src1=1 src2=0
	v_dot4_i32_iu8 v0, v36 /*v292*/, v12 /*v268*/, v0 neg_lo:[1,1,0]
	s_set_vgpr_msb 0                        ;  msbs: dst=0 src0=0 src1=0 src2=0
	s_delay_alu instid0(VALU_DEP_1) | instskip(SKIP_1) | instid1(VALU_DEP_1)
	v_dot4_i32_iu8 v0, v9, v1, v0 neg_lo:[1,1,0]
	s_set_vgpr_msb 4                        ;  msbs: dst=0 src0=0 src1=1 src2=0
	v_mad_i32_i24 v0, v149, v31 /*v287*/, v0
	s_set_vgpr_msb 5                        ;  msbs: dst=0 src0=1 src1=1 src2=0
	s_delay_alu instid0(VALU_DEP_1) | instskip(SKIP_1) | instid1(VALU_DEP_1)
	v_dot4_i32_iu8 v0, v13 /*v269*/, v37 /*v293*/, v0 neg_lo:[1,1,0]
	s_set_vgpr_msb 0x45                     ;  msbs: dst=1 src0=1 src1=1 src2=0
	v_dot4_i32_iu8 v39 /*v295*/, v14 /*v270*/, v38 /*v294*/, v0 neg_lo:[1,1,0]
	s_set_vgpr_msb 4                        ;  msbs: dst=0 src0=0 src1=1 src2=0
	v_mul_i32_i24_e32 v0, v151, v32 /*v288*/
	s_delay_alu instid0(VALU_DEP_1) | instskip(NEXT) | instid1(VALU_DEP_1)
	v_dot4_i32_iu8 v0, v152, v40 /*v296*/, v0 neg_lo:[1,1,0]
	v_dot4_i32_iu8 v0, v153, v41 /*v297*/, v0 neg_lo:[1,1,0]
	s_set_vgpr_msb 1                        ;  msbs: dst=0 src0=1 src1=0 src2=0
	s_delay_alu instid0(VALU_DEP_1) | instskip(SKIP_1) | instid1(VALU_DEP_1)
	v_dot4_i32_iu8 v0, v5 /*v261*/, v18, v0 neg_lo:[1,1,0]
	s_set_vgpr_msb 5                        ;  msbs: dst=0 src0=1 src1=1 src2=0
	v_dot4_i32_iu8 v0, v6 /*v262*/, v42 /*v298*/, v0 neg_lo:[1,1,0]
	s_delay_alu instid0(VALU_DEP_1) | instskip(SKIP_1) | instid1(VALU_DEP_1)
	v_dot4_i32_iu8 v0, v7 /*v263*/, v43 /*v299*/, v0 neg_lo:[1,1,0]
	s_set_vgpr_msb 0x45                     ;  msbs: dst=1 src0=1 src1=1 src2=0
	v_dot4_i32_iu8 v44 /*v300*/, v8 /*v264*/, v17 /*v273*/, v0 neg_lo:[1,1,0]
	s_set_vgpr_msb 0                        ;  msbs: dst=0 src0=0 src1=0 src2=0
	ds_load_b64 v[0:1], v20 offset:43584
	ds_load_b64 v[8:9], v8 offset:43584
	s_wait_dscnt 0x1
	v_cvt_f32_f16_e32 v16, v0
	s_wait_dscnt 0x0
	v_cvt_f32_f16_e32 v17, v8
	v_lshrrev_b32_e32 v8, 16, v8
	v_lshrrev_b32_e32 v0, 16, v0
	s_set_vgpr_msb 64                       ;  msbs: dst=1 src0=0 src1=0 src2=0
	v_cvt_f32_f16_e64 v21 /*v277*/, v9
	v_cvt_f32_f16_e64 v20 /*v276*/, v1
	s_set_vgpr_msb 0                        ;  msbs: dst=0 src0=0 src1=0 src2=0
	v_cvt_f32_f16_e32 v21, v8
	s_set_vgpr_msb 17                       ;  msbs: dst=0 src0=1 src1=0 src2=1
	v_dot4_i32_iu8 v8, v45 /*v301*/, v252, v22 /*v278*/ neg_lo:[1,1,0]
	s_set_vgpr_msb 64                       ;  msbs: dst=1 src0=0 src1=0 src2=0
	v_perm_b32 v22 /*v278*/, v15, v14, 0x5040302
	s_set_vgpr_msb 0                        ;  msbs: dst=0 src0=0 src1=0 src2=0
	v_cvt_f32_f16_e32 v20, v0
	v_lshrrev_b32_e32 v0, 16, v1
	v_lshrrev_b32_e32 v1, 16, v9
	v_perm_b32 v14, v125, v2, 0x4030201
	s_set_vgpr_msb 17                       ;  msbs: dst=0 src0=1 src1=0 src2=1
	v_dot4_i32_iu8 v9, v22 /*v278*/, v252, v39 /*v295*/ neg_lo:[1,1,0]
	s_set_vgpr_msb 64                       ;  msbs: dst=1 src0=0 src1=0 src2=0
	v_perm_b32 v39 /*v295*/, v15, v15, 0xc0c0302
	s_set_vgpr_msb 0                        ;  msbs: dst=0 src0=0 src1=0 src2=0
	v_perm_b32 v15, v3, v124, 0x4030201
	s_set_vgpr_msb 4                        ;  msbs: dst=0 src0=0 src1=1 src2=0
	v_dot4_i32_iu8 v8, v251, v46 /*v302*/, v8 neg_lo:[1,1,0]
	v_cvt_f32_f16_e32 v1, v1
	v_cvt_f32_f16_e32 v0, v0
	v_dot4_i32_iu8 v9, v251, v39 /*v295*/, v9 neg_lo:[1,1,0]
	s_set_vgpr_msb 16                       ;  msbs: dst=0 src0=0 src1=0 src2=1
	v_dot4_i32_iu8 v14, v15, v14, v24 /*v280*/ neg_lo:[1,1,0]
	s_set_vgpr_msb 4                        ;  msbs: dst=0 src0=0 src1=1 src2=0
	v_perm_b32 v15, v125, v18 /*v274*/, 0x4030201
	s_set_vgpr_msb 0x41                     ;  msbs: dst=1 src0=1 src1=0 src2=0
	v_perm_b32 v24 /*v280*/, v19 /*v275*/, v124, 0x4030201
	s_set_vgpr_msb 0                        ;  msbs: dst=0 src0=0 src1=0 src2=0
	v_mul_lo_u32 v8, v8, v154
	v_mul_lo_u32 v9, v9, v154
	v_pk_fma_f32 v[10:11], v[126:127], v[20:21], 0 op_sel_hi:[0,1,0]
	s_set_vgpr_msb 17                       ;  msbs: dst=0 src0=1 src1=0 src2=1
	v_dot4_i32_iu8 v15, v24 /*v280*/, v15, v44 /*v300*/ neg_lo:[1,1,0]
	s_set_vgpr_msb 0x45                     ;  msbs: dst=1 src0=1 src1=1 src2=0
	v_perm_b32 v24 /*v280*/, v19 /*v275*/, v19 /*v275*/, 0xc070601
	s_set_vgpr_msb 64                       ;  msbs: dst=1 src0=0 src1=0 src2=0
	v_perm_b32 v44 /*v300*/, v3, v3, 0xc070601
	s_set_vgpr_msb 0                        ;  msbs: dst=0 src0=0 src1=0 src2=0
	v_pk_fma_f32 v[10:11], v[122:123], v[0:1], v[10:11] op_sel_hi:[0,1,1]
	s_set_vgpr_msb 4                        ;  msbs: dst=0 src0=0 src1=1 src2=0
	v_dot4_i32_iu8 v15, v243, v24 /*v280*/, v15 neg_lo:[1,1,0]
	v_dot4_i32_iu8 v14, v243, v44 /*v300*/, v14 neg_lo:[1,1,0]
	v_cvt_f32_i32_e32 v9, v9
	v_cvt_f32_i32_e32 v8, v8
	s_set_vgpr_msb 0                        ;  msbs: dst=0 src0=0 src1=0 src2=0
	v_pk_mul_f32 v[10:11], v[10:11], v[112:113]
	v_mul_lo_u32 v15, v15, v123
	v_mul_lo_u32 v14, v14, v123
	v_pk_fma_f32 v[8:9], v[16:17], v[8:9], 0 op_sel_hi:[1,1,0]
	s_delay_alu instid0(VALU_DEP_3) | instskip(NEXT) | instid1(VALU_DEP_3)
	v_cvt_f32_i32_e32 v15, v15
	v_cvt_f32_i32_e32 v14, v14
	s_set_vgpr_msb 1                        ;  msbs: dst=0 src0=1 src1=0 src2=0
	s_delay_alu instid0(VALU_DEP_1) | instskip(SKIP_1) | instid1(VALU_DEP_1)
	v_pk_fma_f32 v[8:9], v[20:21] /*v[276:277]*/, v[14:15], v[8:9]
	s_set_vgpr_msb 0                        ;  msbs: dst=0 src0=0 src1=0 src2=0
	v_pk_fma_f32 v[8:9], v[8:9], v[22:23], v[10:11] neg_lo:[0,0,1] neg_hi:[0,0,1]
	v_perm_b32 v10, v155, v7, 0x6050403
	s_delay_alu instid0(VALU_DEP_2)
	v_pk_add_f32 v[46:47], v[46:47], v[8:9]
	s_set_vgpr_msb 1                        ;  msbs: dst=0 src0=1 src1=0 src2=0
	v_mul_i32_i24_e32 v8, v29 /*v285*/, v156
	s_set_vgpr_msb 0                        ;  msbs: dst=0 src0=0 src1=0 src2=0
	v_perm_b32 v9, v12, v135, 0x6050403
	s_set_vgpr_msb 1                        ;  msbs: dst=0 src0=1 src1=0 src2=0
	s_delay_alu instid0(VALU_DEP_2) | instskip(NEXT) | instid1(VALU_DEP_1)
	v_dot4_i32_iu8 v8, v33 /*v289*/, v253, v8 neg_lo:[1,1,0]
	v_dot4_i32_iu8 v8, v34 /*v290*/, v254, v8 neg_lo:[1,1,0]
	s_delay_alu instid0(VALU_DEP_1) | instskip(SKIP_1) | instid1(VALU_DEP_1)
	v_dot4_i32_iu8 v8, v35 /*v291*/, v255, v8 neg_lo:[1,1,0]
	s_set_vgpr_msb 5                        ;  msbs: dst=0 src0=1 src1=1 src2=0
	v_dot4_i32_iu8 v8, v36 /*v292*/, v0 /*v256*/, v8 neg_lo:[1,1,0]
	s_set_vgpr_msb 0                        ;  msbs: dst=0 src0=0 src1=0 src2=0
	s_delay_alu instid0(VALU_DEP_1) | instskip(SKIP_3) | instid1(VALU_DEP_2)
	v_dot4_i32_iu8 v8, v10, v9, v8 neg_lo:[1,1,0]
	s_set_vgpr_msb 1                        ;  msbs: dst=0 src0=1 src1=0 src2=0
	v_mul_i32_i24_e32 v9, v32 /*v288*/, v204
	s_set_vgpr_msb 4                        ;  msbs: dst=0 src0=0 src1=1 src2=0
	v_mad_i32_i24 v8, v157, v31 /*v287*/, v8
	s_set_vgpr_msb 1                        ;  msbs: dst=0 src0=1 src1=0 src2=0
	s_delay_alu instid0(VALU_DEP_2) | instskip(SKIP_1) | instid1(VALU_DEP_2)
	v_dot4_i32_iu8 v9, v40 /*v296*/, v205, v9 neg_lo:[1,1,0]
	s_set_vgpr_msb 5                        ;  msbs: dst=0 src0=1 src1=1 src2=0
	v_dot4_i32_iu8 v8, v1 /*v257*/, v37 /*v293*/, v8 neg_lo:[1,1,0]
	s_set_vgpr_msb 1                        ;  msbs: dst=0 src0=1 src1=0 src2=0
	s_delay_alu instid0(VALU_DEP_2) | instskip(SKIP_1) | instid1(VALU_DEP_2)
	v_dot4_i32_iu8 v9, v41 /*v297*/, v236, v9 neg_lo:[1,1,0]
	s_set_vgpr_msb 5                        ;  msbs: dst=0 src0=1 src1=1 src2=0
	v_dot4_i32_iu8 v8, v2 /*v258*/, v38 /*v294*/, v8 neg_lo:[1,1,0]
	s_set_vgpr_msb 0                        ;  msbs: dst=0 src0=0 src1=0 src2=0
	s_delay_alu instid0(VALU_DEP_2) | instskip(SKIP_1) | instid1(VALU_DEP_2)
	v_dot4_i32_iu8 v9, v18, v237, v9 neg_lo:[1,1,0]
	s_set_vgpr_msb 5                        ;  msbs: dst=0 src0=1 src1=1 src2=0
	v_dot4_i32_iu8 v8, v22 /*v278*/, v3 /*v259*/, v8 neg_lo:[1,1,0]
	s_set_vgpr_msb 1                        ;  msbs: dst=0 src0=1 src1=0 src2=0
	s_delay_alu instid0(VALU_DEP_2) | instskip(SKIP_1) | instid1(VALU_DEP_2)
	v_dot4_i32_iu8 v9, v42 /*v298*/, v238, v9 neg_lo:[1,1,0]
	s_set_vgpr_msb 5                        ;  msbs: dst=0 src0=1 src1=1 src2=0
	v_dot4_i32_iu8 v8, v4 /*v260*/, v39 /*v295*/, v8 neg_lo:[1,1,0]
	s_set_vgpr_msb 1                        ;  msbs: dst=0 src0=1 src1=0 src2=0
	s_delay_alu instid0(VALU_DEP_2) | instskip(SKIP_1) | instid1(VALU_DEP_2)
	v_dot4_i32_iu8 v9, v43 /*v299*/, v239, v9 neg_lo:[1,1,0]
	s_set_vgpr_msb 0                        ;  msbs: dst=0 src0=0 src1=0 src2=0
	v_mul_lo_u32 v8, v8, v203
	s_set_vgpr_msb 1                        ;  msbs: dst=0 src0=1 src1=0 src2=0
	s_delay_alu instid0(VALU_DEP_2)
	v_dot4_i32_iu8 v14, v17 /*v273*/, v240, v9 neg_lo:[1,1,0]
	s_set_vgpr_msb 21                       ;  msbs: dst=0 src0=1 src1=1 src2=1
	v_dot4_i32_iu8 v9, v45 /*v301*/, v3 /*v259*/, v25 /*v281*/ neg_lo:[1,1,0]
	s_set_vgpr_msb 64                       ;  msbs: dst=1 src0=0 src1=0 src2=0
	v_perm_b32 v25 /*v281*/, v3, v2, 0x4030201
	s_set_vgpr_msb 0                        ;  msbs: dst=0 src0=0 src1=0 src2=0
	v_perm_b32 v2, v137, v2, 0x4030201
	v_perm_b32 v3, v3, v136, 0x4030201
	s_set_vgpr_msb 5                        ;  msbs: dst=0 src0=1 src1=1 src2=0
	v_dot4_i32_iu8 v9, v4 /*v260*/, v46 /*v302*/, v9 neg_lo:[1,1,0]
	s_set_vgpr_msb 17                       ;  msbs: dst=0 src0=1 src1=0 src2=1
	v_dot4_i32_iu8 v15, v25 /*v281*/, v241, v26 /*v282*/ neg_lo:[1,1,0]
	s_set_vgpr_msb 0x45                     ;  msbs: dst=1 src0=1 src1=1 src2=0
	v_perm_b32 v26 /*v282*/, v19 /*v275*/, v18 /*v274*/, 0x4030201
	s_set_vgpr_msb 16                       ;  msbs: dst=0 src0=0 src1=0 src2=1
	v_dot4_i32_iu8 v2, v3, v2, v28 /*v284*/ neg_lo:[1,1,0]
	s_set_vgpr_msb 4                        ;  msbs: dst=0 src0=0 src1=1 src2=0
	v_perm_b32 v3, v137, v18 /*v274*/, 0x4030201
	s_set_vgpr_msb 0                        ;  msbs: dst=0 src0=0 src1=0 src2=0
	v_mul_lo_u32 v10, v9, v203
	s_set_vgpr_msb 4                        ;  msbs: dst=0 src0=0 src1=1 src2=0
	v_dot4_i32_iu8 v15, v242, v44 /*v300*/, v15 neg_lo:[1,1,0]
	s_set_vgpr_msb 1                        ;  msbs: dst=0 src0=1 src1=0 src2=0
	v_dot4_i32_iu8 v14, v26 /*v282*/, v241, v14 neg_lo:[1,1,0]
	s_set_vgpr_msb 4                        ;  msbs: dst=0 src0=0 src1=1 src2=0
	v_cvt_f32_i32_e32 v9, v8
	v_dot4_i32_iu8 v2, v147, v44 /*v300*/, v2 neg_lo:[1,1,0]
	s_set_vgpr_msb 64                       ;  msbs: dst=1 src0=0 src1=0 src2=0
	v_mul_lo_u32 v47 /*v303*/, v15, v220
	s_set_vgpr_msb 4                        ;  msbs: dst=0 src0=0 src1=1 src2=0
	v_dot4_i32_iu8 v14, v242, v24 /*v280*/, v14 neg_lo:[1,1,0]
	s_set_vgpr_msb 0                        ;  msbs: dst=0 src0=0 src1=0 src2=0
	v_mul_lo_u32 v2, v2, v209
	v_cvt_f32_i32_e32 v8, v10
	s_delay_alu instid0(VALU_DEP_3) | instskip(SKIP_1) | instid1(VALU_DEP_3)
	v_mul_lo_u32 v14, v14, v220
	v_pk_fma_f32 v[10:11], v[128:129], v[20:21], 0 op_sel_hi:[0,1,0]
	v_pk_fma_f32 v[8:9], v[16:17], v[8:9], 0 op_sel_hi:[1,1,0]
	s_delay_alu instid0(VALU_DEP_2)
	v_pk_fma_f32 v[10:11], v[144:145], v[0:1], v[10:11] op_sel_hi:[0,1,1]
	v_cvt_f32_i32_e32 v2, v2
	v_cvt_f32_i32_e32 v15, v14
	s_set_vgpr_msb 1                        ;  msbs: dst=0 src0=1 src1=0 src2=0
	v_cvt_f32_i32_e32 v14, v47 /*v303*/
	s_set_vgpr_msb 0                        ;  msbs: dst=0 src0=0 src1=0 src2=0
	v_pk_mul_f32 v[10:11], v[10:11], v[114:115]
	s_set_vgpr_msb 1                        ;  msbs: dst=0 src0=1 src1=0 src2=0
	s_delay_alu instid0(VALU_DEP_2) | instskip(SKIP_1) | instid1(VALU_DEP_1)
	v_pk_fma_f32 v[8:9], v[20:21] /*v[276:277]*/, v[14:15], v[8:9]
	s_set_vgpr_msb 0                        ;  msbs: dst=0 src0=0 src1=0 src2=0
	v_pk_fma_f32 v[8:9], v[8:9], v[24:25], v[10:11] neg_lo:[0,0,1] neg_hi:[0,0,1]
	s_set_vgpr_msb 1                        ;  msbs: dst=0 src0=1 src1=0 src2=0
	v_perm_b32 v10, v19 /*v275*/, v136, 0x4030201
	s_set_vgpr_msb 0                        ;  msbs: dst=0 src0=0 src1=0 src2=0
	s_delay_alu instid0(VALU_DEP_2) | instskip(SKIP_2) | instid1(VALU_DEP_1)
	v_pk_add_f32 v[44:45], v[44:45], v[8:9]
	s_set_vgpr_msb 1                        ;  msbs: dst=0 src0=1 src1=0 src2=0
	v_mul_i32_i24_e32 v8, v29 /*v285*/, v213
	v_mad_i32_i24 v8, v30 /*v286*/, v214, v8
	s_set_vgpr_msb 0                        ;  msbs: dst=0 src0=0 src1=0 src2=0
	s_delay_alu instid0(VALU_DEP_1) | instskip(SKIP_1) | instid1(VALU_DEP_2)
	v_dot4_i32_iu8 v4, v4, v215, v8 neg_lo:[1,1,0]
	v_perm_b32 v8, v146, v19, 0x4030201
	v_dot4_i32_iu8 v4, v5, v216, v4 neg_lo:[1,1,0]
	v_perm_b32 v5, v7, v6, 0x5040302
	s_set_vgpr_msb 1                        ;  msbs: dst=0 src0=1 src1=0 src2=0
	v_perm_b32 v6, v16 /*v272*/, v133, 0x4030201
	s_set_vgpr_msb 0                        ;  msbs: dst=0 src0=0 src1=0 src2=0
	s_delay_alu instid0(VALU_DEP_2) | instskip(SKIP_1) | instid1(VALU_DEP_1)
	v_dot4_i32_iu8 v4, v5, v217, v4 neg_lo:[1,1,0]
	v_perm_b32 v5, v12, v7, 0x5040302
	v_dot4_i32_iu8 v4, v5, v218, v4 neg_lo:[1,1,0]
	v_perm_b32 v5, v13, v12, 0x5040302
	s_delay_alu instid0(VALU_DEP_1) | instskip(SKIP_2) | instid1(VALU_DEP_2)
	v_dot4_i32_iu8 v4, v5, v219, v4 neg_lo:[1,1,0]
	s_set_vgpr_msb 1                        ;  msbs: dst=0 src0=1 src1=0 src2=0
	v_mul_i32_i24_e32 v5, v32 /*v288*/, v222
	v_dot4_i32_iu8 v4, v38 /*v294*/, v221, v4 neg_lo:[1,1,0]
	s_delay_alu instid0(VALU_DEP_2) | instskip(NEXT) | instid1(VALU_DEP_2)
	v_dot4_i32_iu8 v5, v40 /*v296*/, v244, v5 neg_lo:[1,1,0]
	v_dot4_i32_iu8 v4, v22 /*v278*/, v249, v4 neg_lo:[1,1,0]
	s_delay_alu instid0(VALU_DEP_2) | instskip(SKIP_1) | instid1(VALU_DEP_2)
	v_dot4_i32_iu8 v5, v41 /*v297*/, v245, v5 neg_lo:[1,1,0]
	s_set_vgpr_msb 4                        ;  msbs: dst=0 src0=0 src1=1 src2=0
	v_dot4_i32_iu8 v4, v250, v39 /*v295*/, v4 neg_lo:[1,1,0]
	s_set_vgpr_msb 0                        ;  msbs: dst=0 src0=0 src1=0 src2=0
	s_delay_alu instid0(VALU_DEP_2) | instskip(NEXT) | instid1(VALU_DEP_2)
	v_dot4_i32_iu8 v5, v18, v246, v5 neg_lo:[1,1,0]
	v_mul_lo_u32 v4, v4, v212
	s_delay_alu instid0(VALU_DEP_2) | instskip(SKIP_1) | instid1(VALU_DEP_1)
	v_dot4_i32_iu8 v5, v8, v6, v5 neg_lo:[1,1,0]
	s_set_vgpr_msb 4                        ;  msbs: dst=0 src0=0 src1=1 src2=0
	v_dot4_i32_iu8 v5, v247, v43 /*v299*/, v5 neg_lo:[1,1,0]
	s_delay_alu instid0(VALU_DEP_1) | instskip(SKIP_3) | instid1(VALU_DEP_2)
	v_dot4_i32_iu8 v6, v248, v17 /*v273*/, v5 neg_lo:[1,1,0]
	s_set_vgpr_msb 17                       ;  msbs: dst=0 src0=1 src1=0 src2=1
	v_dot4_i32_iu8 v5, v45 /*v301*/, v249, v27 /*v283*/ neg_lo:[1,1,0]
	s_set_vgpr_msb 0                        ;  msbs: dst=0 src0=0 src1=0 src2=0
	v_dot4_i32_iu8 v3, v10, v3, v6 neg_lo:[1,1,0]
	s_set_vgpr_msb 4                        ;  msbs: dst=0 src0=0 src1=1 src2=0
	s_delay_alu instid0(VALU_DEP_2) | instskip(NEXT) | instid1(VALU_DEP_2)
	v_dot4_i32_iu8 v5, v250, v46 /*v302*/, v5 neg_lo:[1,1,0]
	v_dot4_i32_iu8 v3, v147, v24 /*v280*/, v3 neg_lo:[1,1,0]
	s_set_vgpr_msb 0                        ;  msbs: dst=0 src0=0 src1=0 src2=0
	s_delay_alu instid0(VALU_DEP_2) | instskip(SKIP_1) | instid1(VALU_DEP_3)
	v_mul_lo_u32 v8, v5, v212
	v_cvt_f32_i32_e32 v5, v4
	v_mul_lo_u32 v3, v3, v209
	s_delay_alu instid0(VALU_DEP_3) | instskip(SKIP_1) | instid1(VALU_DEP_3)
	v_cvt_f32_i32_e32 v4, v8
	v_pk_fma_f32 v[8:9], v[138:139], v[20:21], 0 op_sel_hi:[0,1,0]
	v_cvt_f32_i32_e32 v3, v3
	s_delay_alu instid0(VALU_DEP_3) | instskip(SKIP_1) | instid1(VALU_DEP_1)
	v_pk_fma_f32 v[4:5], v[16:17], v[4:5], 0 op_sel_hi:[1,1,0]
	s_set_vgpr_msb 1                        ;  msbs: dst=0 src0=1 src1=0 src2=0
	v_pk_fma_f32 v[2:3], v[20:21] /*v[276:277]*/, v[2:3], v[4:5]
	s_set_vgpr_msb 0                        ;  msbs: dst=0 src0=0 src1=0 src2=0
	v_pk_fma_f32 v[4:5], v[142:143], v[0:1], v[8:9] op_sel_hi:[0,1,1]
	s_delay_alu instid0(VALU_DEP_1) | instskip(NEXT) | instid1(VALU_DEP_1)
	v_pk_mul_f32 v[4:5], v[4:5], v[116:117]
	v_pk_fma_f32 v[2:3], v[2:3], v[26:27], v[4:5] neg_lo:[0,0,1] neg_hi:[0,0,1]
	v_perm_b32 v4, v206, v7, 0x6050403
	s_set_vgpr_msb 17                       ;  msbs: dst=0 src0=1 src1=0 src2=1
	v_dot4_i32_iu8 v7, v25 /*v281*/, v132, v23 /*v279*/ neg_lo:[1,1,0]
	s_set_vgpr_msb 0                        ;  msbs: dst=0 src0=0 src1=0 src2=0
	v_pk_add_f32 v[42:43], v[42:43], v[2:3]
	s_set_vgpr_msb 1                        ;  msbs: dst=0 src0=1 src1=0 src2=0
	v_mul_i32_i24_e32 v2, v29 /*v285*/, v207
	s_set_vgpr_msb 0                        ;  msbs: dst=0 src0=0 src1=0 src2=0
	v_perm_b32 v3, v12, v141, 0x6050403
	s_set_vgpr_msb 4                        ;  msbs: dst=0 src0=0 src1=1 src2=0
	v_dot4_i32_iu8 v7, v134, v44 /*v300*/, v7 neg_lo:[1,1,0]
	s_set_vgpr_msb 1                        ;  msbs: dst=0 src0=1 src1=0 src2=0
	v_dot4_i32_iu8 v2, v33 /*v289*/, v223, v2 neg_lo:[1,1,0]
	s_set_vgpr_msb 0                        ;  msbs: dst=0 src0=0 src1=0 src2=0
	s_delay_alu instid0(VALU_DEP_2) | instskip(SKIP_1) | instid1(VALU_DEP_2)
	v_mul_lo_u32 v8, v7, v145
	s_set_vgpr_msb 1                        ;  msbs: dst=0 src0=1 src1=0 src2=0
	v_dot4_i32_iu8 v2, v34 /*v290*/, v224, v2 neg_lo:[1,1,0]
	s_delay_alu instid0(VALU_DEP_1) | instskip(NEXT) | instid1(VALU_DEP_1)
	v_dot4_i32_iu8 v2, v35 /*v291*/, v225, v2 neg_lo:[1,1,0]
	v_dot4_i32_iu8 v2, v36 /*v292*/, v140, v2 neg_lo:[1,1,0]
	s_set_vgpr_msb 0                        ;  msbs: dst=0 src0=0 src1=0 src2=0
	s_delay_alu instid0(VALU_DEP_1) | instskip(SKIP_3) | instid1(VALU_DEP_2)
	v_dot4_i32_iu8 v2, v4, v3, v2 neg_lo:[1,1,0]
	s_set_vgpr_msb 1                        ;  msbs: dst=0 src0=1 src1=0 src2=0
	v_mul_i32_i24_e32 v3, v32 /*v288*/, v211
	s_set_vgpr_msb 4                        ;  msbs: dst=0 src0=0 src1=1 src2=0
	v_mad_i32_i24 v2, v208, v31 /*v287*/, v2
	s_set_vgpr_msb 1                        ;  msbs: dst=0 src0=1 src1=0 src2=0
	s_delay_alu instid0(VALU_DEP_2) | instskip(SKIP_1) | instid1(VALU_DEP_2)
	v_dot4_i32_iu8 v3, v40 /*v296*/, v228, v3 neg_lo:[1,1,0]
	s_set_vgpr_msb 4                        ;  msbs: dst=0 src0=0 src1=1 src2=0
	v_dot4_i32_iu8 v2, v226, v37 /*v293*/, v2 neg_lo:[1,1,0]
	s_set_vgpr_msb 1                        ;  msbs: dst=0 src0=1 src1=0 src2=0
	s_delay_alu instid0(VALU_DEP_2) | instskip(SKIP_1) | instid1(VALU_DEP_2)
	v_dot4_i32_iu8 v3, v41 /*v297*/, v229, v3 neg_lo:[1,1,0]
	s_set_vgpr_msb 4                        ;  msbs: dst=0 src0=0 src1=1 src2=0
	v_dot4_i32_iu8 v2, v227, v38 /*v294*/, v2 neg_lo:[1,1,0]
	s_set_vgpr_msb 0                        ;  msbs: dst=0 src0=0 src1=0 src2=0
	s_delay_alu instid0(VALU_DEP_2) | instskip(SKIP_1) | instid1(VALU_DEP_2)
	v_dot4_i32_iu8 v3, v18, v230, v3 neg_lo:[1,1,0]
	s_set_vgpr_msb 1                        ;  msbs: dst=0 src0=1 src1=0 src2=0
	v_dot4_i32_iu8 v2, v22 /*v278*/, v234, v2 neg_lo:[1,1,0]
	s_set_vgpr_msb 4                        ;  msbs: dst=0 src0=0 src1=1 src2=0
	s_delay_alu instid0(VALU_DEP_2) | instskip(NEXT) | instid1(VALU_DEP_2)
	v_dot4_i32_iu8 v3, v231, v42 /*v298*/, v3 neg_lo:[1,1,0]
	v_dot4_i32_iu8 v2, v235, v39 /*v295*/, v2 neg_lo:[1,1,0]
	s_delay_alu instid0(VALU_DEP_2) | instskip(SKIP_1) | instid1(VALU_DEP_2)
	v_dot4_i32_iu8 v3, v232, v43 /*v299*/, v3 neg_lo:[1,1,0]
	s_set_vgpr_msb 0                        ;  msbs: dst=0 src0=0 src1=0 src2=0
	v_mul_lo_u32 v2, v2, v210
	s_set_vgpr_msb 4                        ;  msbs: dst=0 src0=0 src1=1 src2=0
	s_delay_alu instid0(VALU_DEP_2) | instskip(SKIP_3) | instid1(VALU_DEP_2)
	v_dot4_i32_iu8 v6, v233, v17 /*v273*/, v3 neg_lo:[1,1,0]
	s_set_vgpr_msb 17                       ;  msbs: dst=0 src0=1 src1=0 src2=1
	v_dot4_i32_iu8 v3, v45 /*v301*/, v234, v15 /*v271*/ neg_lo:[1,1,0]
	s_set_vgpr_msb 1                        ;  msbs: dst=0 src0=1 src1=0 src2=0
	v_dot4_i32_iu8 v6, v26 /*v282*/, v132, v6 neg_lo:[1,1,0]
	s_set_vgpr_msb 4                        ;  msbs: dst=0 src0=0 src1=1 src2=0
	s_delay_alu instid0(VALU_DEP_2) | instskip(NEXT) | instid1(VALU_DEP_2)
	v_dot4_i32_iu8 v3, v235, v46 /*v302*/, v3 neg_lo:[1,1,0]
	v_dot4_i32_iu8 v6, v134, v24 /*v280*/, v6 neg_lo:[1,1,0]
	s_set_vgpr_msb 0                        ;  msbs: dst=0 src0=0 src1=0 src2=0
	s_delay_alu instid0(VALU_DEP_2) | instskip(SKIP_1) | instid1(VALU_DEP_3)
	v_mul_lo_u32 v4, v3, v210
	v_cvt_f32_i32_e32 v3, v2
	v_mul_lo_u32 v6, v6, v145
	s_delay_alu instid0(VALU_DEP_3) | instskip(SKIP_1) | instid1(VALU_DEP_3)
	v_cvt_f32_i32_e32 v2, v4
	v_pk_fma_f32 v[4:5], v[130:131], v[20:21], 0 op_sel_hi:[0,1,0]
	v_cvt_f32_i32_e32 v7, v6
	s_delay_alu instid0(VALU_DEP_3) | instskip(SKIP_1) | instid1(VALU_DEP_4)
	v_pk_fma_f32 v[2:3], v[16:17], v[2:3], 0 op_sel_hi:[1,1,0]
	v_cvt_f32_i32_e32 v6, v8
	v_pk_fma_f32 v[0:1], v[120:121], v[0:1], v[4:5] op_sel_hi:[0,1,1]
	s_set_vgpr_msb 1                        ;  msbs: dst=0 src0=1 src1=0 src2=0
	s_delay_alu instid0(VALU_DEP_2) | instskip(SKIP_1) | instid1(VALU_DEP_2)
	v_pk_fma_f32 v[2:3], v[20:21] /*v[276:277]*/, v[6:7], v[2:3]
	s_set_vgpr_msb 0                        ;  msbs: dst=0 src0=0 src1=0 src2=0
	v_pk_mul_f32 v[0:1], v[0:1], v[118:119]
	s_delay_alu instid0(VALU_DEP_1) | instskip(NEXT) | instid1(VALU_DEP_1)
	v_pk_fma_f32 v[0:1], v[2:3], v[110:111], v[0:1] neg_lo:[0,0,1] neg_hi:[0,0,1]
	v_pk_add_f32 v[40:41], v[40:41], v[0:1]
	v_or_b32_e32 v0, s5, v187
	s_delay_alu instid0(VALU_DEP_1)
	v_lshlrev_b32_e32 v1, 2, v0
	s_set_vgpr_msb 64                       ;  msbs: dst=1 src0=0 src1=0 src2=0
	v_lshrrev_b32_e32 v28 /*v284*/, 1, v0
	s_set_vgpr_msb 0                        ;  msbs: dst=0 src0=0 src1=0 src2=0
	ds_load_b128 v[4:7], v1 offset:33280
	ds_load_b128 v[14:17], v1 offset:33296
	;; [unrolled: 1-line block ×4, first 2 shown]
	s_wait_dscnt 0x3
	v_bfe_i32 v12, v4, 0, 8
	v_perm_b32 v21, v4, v4, 0xc0c0201
	s_set_vgpr_msb 64                       ;  msbs: dst=1 src0=0 src1=0 src2=0
	v_perm_b32 v15 /*v271*/, v5, v4, 0x6050403
	v_perm_b32 v16 /*v272*/, v6, v5, 0x6050403
	;; [unrolled: 1-line block ×3, first 2 shown]
	s_set_vgpr_msb 0                        ;  msbs: dst=0 src0=0 src1=0 src2=0
	v_mul_i32_i24_e32 v20, v12, v150
	s_wait_dscnt 0x2
	s_set_vgpr_msb 64                       ;  msbs: dst=1 src0=0 src1=0 src2=0
	v_perm_b32 v17 /*v273*/, v14, v121, 0x6050403
	v_perm_b32 v18 /*v274*/, v148, v7, 0x6050403
	s_set_vgpr_msb 0                        ;  msbs: dst=0 src0=0 src1=0 src2=0
	v_ashrrev_i32_e32 v18, 24, v14
	s_set_vgpr_msb 64                       ;  msbs: dst=1 src0=0 src1=0 src2=0
	v_perm_b32 v23 /*v279*/, v15, v15, 0xc0c0100
	s_set_vgpr_msb 4                        ;  msbs: dst=0 src0=0 src1=1 src2=0
	v_dot4_i32_iu8 v20, v21, v9 /*v265*/, v20 neg_lo:[1,1,0]
	s_wait_dscnt 0x1
	v_bfe_i32 v19, v8, 0, 8
	s_set_vgpr_msb 64                       ;  msbs: dst=1 src0=0 src1=0 src2=0
	v_perm_b32 v24 /*v280*/, v16, v15, 0x5040302
	s_set_vgpr_msb 0                        ;  msbs: dst=0 src0=0 src1=0 src2=0
	v_perm_b32 v8, v9, v8, 0x4030201
	v_perm_b32 v9, v10, v9, 0x4030201
	s_set_vgpr_msb 5                        ;  msbs: dst=0 src0=1 src1=1 src2=0
	v_dot4_i32_iu8 v20, v15 /*v271*/, v10 /*v266*/, v20 neg_lo:[1,1,0]
	s_set_vgpr_msb 0                        ;  msbs: dst=0 src0=0 src1=0 src2=0
	v_perm_b32 v10, v11, v10, 0x4030201
	s_wait_dscnt 0x0
	s_set_vgpr_msb 64                       ;  msbs: dst=1 src0=0 src1=0 src2=0
	v_perm_b32 v25 /*v281*/, v0, v11, 0x4030201
	v_perm_b32 v27 /*v283*/, v1, v0, 0x4030201
	s_set_vgpr_msb 0                        ;  msbs: dst=0 src0=0 src1=0 src2=0
	v_perm_b32 v1, v2, v1, 0x4030201
	s_set_vgpr_msb 5                        ;  msbs: dst=0 src0=1 src1=1 src2=0
	v_dot4_i32_iu8 v20, v16 /*v272*/, v11 /*v267*/, v20 neg_lo:[1,1,0]
	s_set_vgpr_msb 0                        ;  msbs: dst=0 src0=0 src1=0 src2=0
	v_bfe_i32 v13, v4, 8, 8
	v_perm_b32 v4, v5, v4, 0x5040302
	v_perm_b32 v5, v6, v5, 0x5040302
	;; [unrolled: 1-line block ×3, first 2 shown]
	s_set_vgpr_msb 5                        ;  msbs: dst=0 src0=1 src1=1 src2=0
	v_dot4_i32_iu8 v20, v22 /*v278*/, v12 /*v268*/, v20 neg_lo:[1,1,0]
	s_delay_alu instid0(VALU_DEP_1)
	v_dot4_i32_iu8 v20, v18 /*v274*/, v17 /*v273*/, v20 neg_lo:[1,1,0]
	s_set_vgpr_msb 64                       ;  msbs: dst=1 src0=0 src1=0 src2=0
	v_perm_b32 v17 /*v273*/, v14, v135, 0x6050403
	v_perm_b32 v18 /*v274*/, v155, v7, 0x6050403
	s_set_vgpr_msb 0                        ;  msbs: dst=0 src0=0 src1=0 src2=0
	v_mad_i32_i24 v20, v149, v18, v20
	s_set_vgpr_msb 5                        ;  msbs: dst=0 src0=1 src1=1 src2=0
	s_delay_alu instid0(VALU_DEP_1) | instskip(SKIP_1) | instid1(VALU_DEP_1)
	v_dot4_i32_iu8 v20, v13 /*v269*/, v23 /*v279*/, v20 neg_lo:[1,1,0]
	s_set_vgpr_msb 0x45                     ;  msbs: dst=1 src0=1 src1=1 src2=0
	v_dot4_i32_iu8 v26 /*v282*/, v14 /*v270*/, v24 /*v280*/, v20 neg_lo:[1,1,0]
	s_set_vgpr_msb 0                        ;  msbs: dst=0 src0=0 src1=0 src2=0
	v_mul_i32_i24_e32 v20, v151, v19
	s_delay_alu instid0(VALU_DEP_1) | instskip(NEXT) | instid1(VALU_DEP_1)
	v_dot4_i32_iu8 v20, v152, v8, v20 neg_lo:[1,1,0]
	v_dot4_i32_iu8 v20, v153, v9, v20 neg_lo:[1,1,0]
	s_set_vgpr_msb 1                        ;  msbs: dst=0 src0=1 src1=0 src2=0
	s_delay_alu instid0(VALU_DEP_1) | instskip(SKIP_1) | instid1(VALU_DEP_1)
	v_dot4_i32_iu8 v20, v5 /*v261*/, v10, v20 neg_lo:[1,1,0]
	s_set_vgpr_msb 5                        ;  msbs: dst=0 src0=1 src1=1 src2=0
	v_dot4_i32_iu8 v20, v6 /*v262*/, v25 /*v281*/, v20 neg_lo:[1,1,0]
	s_delay_alu instid0(VALU_DEP_1) | instskip(SKIP_1) | instid1(VALU_DEP_1)
	v_dot4_i32_iu8 v20, v7 /*v263*/, v27 /*v283*/, v20 neg_lo:[1,1,0]
	s_set_vgpr_msb 0x41                     ;  msbs: dst=1 src0=1 src1=0 src2=0
	v_dot4_i32_iu8 v21 /*v277*/, v8 /*v264*/, v1, v20 neg_lo:[1,1,0]
	s_set_vgpr_msb 0                        ;  msbs: dst=0 src0=0 src1=0 src2=0
	v_mul_i32_i24_e32 v20, v12, v156
	s_delay_alu instid0(VALU_DEP_1) | instskip(SKIP_1) | instid1(VALU_DEP_1)
	v_dot4_i32_iu8 v20, v21, v253, v20 neg_lo:[1,1,0]
	s_set_vgpr_msb 1                        ;  msbs: dst=0 src0=1 src1=0 src2=0
	v_dot4_i32_iu8 v20, v15 /*v271*/, v254, v20 neg_lo:[1,1,0]
	s_delay_alu instid0(VALU_DEP_1) | instskip(SKIP_1) | instid1(VALU_DEP_1)
	v_dot4_i32_iu8 v20, v16 /*v272*/, v255, v20 neg_lo:[1,1,0]
	s_set_vgpr_msb 5                        ;  msbs: dst=0 src0=1 src1=1 src2=0
	v_dot4_i32_iu8 v20, v22 /*v278*/, v0 /*v256*/, v20 neg_lo:[1,1,0]
	s_delay_alu instid0(VALU_DEP_1) | instskip(SKIP_1) | instid1(VALU_DEP_1)
	v_dot4_i32_iu8 v20, v18 /*v274*/, v17 /*v273*/, v20 neg_lo:[1,1,0]
	s_set_vgpr_msb 0                        ;  msbs: dst=0 src0=0 src1=0 src2=0
	v_mad_i32_i24 v20, v157, v18, v20
	s_set_vgpr_msb 5                        ;  msbs: dst=0 src0=1 src1=1 src2=0
	s_delay_alu instid0(VALU_DEP_1) | instskip(SKIP_1) | instid1(VALU_DEP_1)
	v_dot4_i32_iu8 v20, v1 /*v257*/, v23 /*v279*/, v20 neg_lo:[1,1,0]
	s_set_vgpr_msb 0x45                     ;  msbs: dst=1 src0=1 src1=1 src2=0
	v_dot4_i32_iu8 v20 /*v276*/, v2 /*v258*/, v24 /*v280*/, v20 neg_lo:[1,1,0]
	s_set_vgpr_msb 0                        ;  msbs: dst=0 src0=0 src1=0 src2=0
	v_mul_i32_i24_e32 v20, v19, v204
	s_delay_alu instid0(VALU_DEP_1) | instskip(NEXT) | instid1(VALU_DEP_1)
	v_dot4_i32_iu8 v20, v8, v205, v20 neg_lo:[1,1,0]
	v_dot4_i32_iu8 v20, v9, v236, v20 neg_lo:[1,1,0]
	s_delay_alu instid0(VALU_DEP_1) | instskip(SKIP_1) | instid1(VALU_DEP_1)
	v_dot4_i32_iu8 v20, v10, v237, v20 neg_lo:[1,1,0]
	s_set_vgpr_msb 1                        ;  msbs: dst=0 src0=1 src1=0 src2=0
	v_dot4_i32_iu8 v20, v25 /*v281*/, v238, v20 neg_lo:[1,1,0]
	s_delay_alu instid0(VALU_DEP_1) | instskip(SKIP_1) | instid1(VALU_DEP_1)
	v_dot4_i32_iu8 v20, v27 /*v283*/, v239, v20 neg_lo:[1,1,0]
	s_set_vgpr_msb 64                       ;  msbs: dst=1 src0=0 src1=0 src2=0
	v_dot4_i32_iu8 v19 /*v275*/, v1, v240, v20 neg_lo:[1,1,0]
	s_set_vgpr_msb 0                        ;  msbs: dst=0 src0=0 src1=0 src2=0
	v_mul_i32_i24_e32 v20, v12, v213
	s_delay_alu instid0(VALU_DEP_1) | instskip(NEXT) | instid1(VALU_DEP_1)
	v_mad_i32_i24 v13, v13, v214, v20
	v_dot4_i32_iu8 v4, v4, v215, v13 neg_lo:[1,1,0]
	s_delay_alu instid0(VALU_DEP_1) | instskip(SKIP_1) | instid1(VALU_DEP_1)
	v_dot4_i32_iu8 v4, v5, v216, v4 neg_lo:[1,1,0]
	v_perm_b32 v5, v7, v6, 0x5040302
	v_dot4_i32_iu8 v4, v5, v217, v4 neg_lo:[1,1,0]
	v_perm_b32 v5, v14, v7, 0x5040302
	s_delay_alu instid0(VALU_DEP_1) | instskip(SKIP_1) | instid1(VALU_DEP_1)
	v_dot4_i32_iu8 v4, v5, v218, v4 neg_lo:[1,1,0]
	v_perm_b32 v5, v15, v14, 0x5040302
	v_dot4_i32_iu8 v4, v5, v219, v4 neg_lo:[1,1,0]
	v_perm_b32 v5, v146, v11, 0x4030201
	s_set_vgpr_msb 0x41                     ;  msbs: dst=1 src0=1 src1=0 src2=0
	s_delay_alu instid0(VALU_DEP_2) | instskip(SKIP_2) | instid1(VALU_DEP_1)
	v_dot4_i32_iu8 v18 /*v274*/, v24 /*v280*/, v221, v4 neg_lo:[1,1,0]
	s_set_vgpr_msb 0                        ;  msbs: dst=0 src0=0 src1=0 src2=0
	v_mul_i32_i24_e32 v4, v19, v222
	v_dot4_i32_iu8 v4, v8, v244, v4 neg_lo:[1,1,0]
	s_delay_alu instid0(VALU_DEP_1) | instskip(NEXT) | instid1(VALU_DEP_1)
	v_dot4_i32_iu8 v4, v9, v245, v4 neg_lo:[1,1,0]
	v_dot4_i32_iu8 v4, v10, v246, v4 neg_lo:[1,1,0]
	s_delay_alu instid0(VALU_DEP_1) | instskip(SKIP_3) | instid1(VALU_DEP_3)
	v_dot4_i32_iu8 v0, v5, v0, v4 neg_lo:[1,1,0]
	v_perm_b32 v4, v14, v141, 0x6050403
	v_perm_b32 v5, v206, v7, 0x6050403
	s_set_vgpr_msb 4                        ;  msbs: dst=0 src0=0 src1=1 src2=0
	v_dot4_i32_iu8 v0, v247, v27 /*v283*/, v0 neg_lo:[1,1,0]
	s_set_vgpr_msb 64                       ;  msbs: dst=1 src0=0 src1=0 src2=0
	s_delay_alu instid0(VALU_DEP_1) | instskip(SKIP_2) | instid1(VALU_DEP_1)
	v_dot4_i32_iu8 v17 /*v273*/, v248, v1, v0 neg_lo:[1,1,0]
	s_set_vgpr_msb 0                        ;  msbs: dst=0 src0=0 src1=0 src2=0
	v_mul_i32_i24_e32 v0, v12, v207
	v_dot4_i32_iu8 v0, v21, v223, v0 neg_lo:[1,1,0]
	s_set_vgpr_msb 1                        ;  msbs: dst=0 src0=1 src1=0 src2=0
	s_delay_alu instid0(VALU_DEP_1) | instskip(NEXT) | instid1(VALU_DEP_1)
	v_dot4_i32_iu8 v0, v15 /*v271*/, v224, v0 neg_lo:[1,1,0]
	v_dot4_i32_iu8 v0, v16 /*v272*/, v225, v0 neg_lo:[1,1,0]
	s_delay_alu instid0(VALU_DEP_1) | instskip(SKIP_1) | instid1(VALU_DEP_1)
	v_dot4_i32_iu8 v0, v22 /*v278*/, v140, v0 neg_lo:[1,1,0]
	s_set_vgpr_msb 0                        ;  msbs: dst=0 src0=0 src1=0 src2=0
	v_dot4_i32_iu8 v0, v5, v4, v0 neg_lo:[1,1,0]
	s_delay_alu instid0(VALU_DEP_1) | instskip(SKIP_1) | instid1(VALU_DEP_1)
	v_mad_i32_i24 v0, v208, v18, v0
	s_set_vgpr_msb 4                        ;  msbs: dst=0 src0=0 src1=1 src2=0
	v_dot4_i32_iu8 v0, v226, v23 /*v279*/, v0 neg_lo:[1,1,0]
	s_set_vgpr_msb 0x44                     ;  msbs: dst=1 src0=0 src1=1 src2=0
	s_delay_alu instid0(VALU_DEP_1) | instskip(SKIP_2) | instid1(VALU_DEP_1)
	v_dot4_i32_iu8 v16 /*v272*/, v227, v24 /*v280*/, v0 neg_lo:[1,1,0]
	s_set_vgpr_msb 0                        ;  msbs: dst=0 src0=0 src1=0 src2=0
	v_mul_i32_i24_e32 v0, v19, v211
	v_dot4_i32_iu8 v0, v8, v228, v0 neg_lo:[1,1,0]
	s_delay_alu instid0(VALU_DEP_1) | instskip(NEXT) | instid1(VALU_DEP_1)
	v_dot4_i32_iu8 v0, v9, v229, v0 neg_lo:[1,1,0]
	v_dot4_i32_iu8 v0, v10, v230, v0 neg_lo:[1,1,0]
	s_set_vgpr_msb 4                        ;  msbs: dst=0 src0=0 src1=1 src2=0
	s_delay_alu instid0(VALU_DEP_1) | instskip(NEXT) | instid1(VALU_DEP_1)
	v_dot4_i32_iu8 v0, v231, v25 /*v281*/, v0 neg_lo:[1,1,0]
	v_dot4_i32_iu8 v0, v232, v27 /*v283*/, v0 neg_lo:[1,1,0]
	s_set_vgpr_msb 64                       ;  msbs: dst=1 src0=0 src1=0 src2=0
	s_delay_alu instid0(VALU_DEP_1)
	v_dot4_i32_iu8 v15 /*v271*/, v233, v1, v0 neg_lo:[1,1,0]
	s_set_vgpr_msb 0                        ;  msbs: dst=0 src0=0 src1=0 src2=0
	v_or_b32_e32 v0, s5, v188
	s_add_co_i32 s5, s4, 8
	s_cmp_lt_u32 s4, 24
	s_mov_b32 s4, s5
	s_delay_alu instid0(VALU_DEP_1)
	v_lshlrev_b32_e32 v1, 2, v0
	ds_load_b128 v[4:7], v1 offset:33280
	ds_load_b128 v[8:11], v1 offset:33296
	;; [unrolled: 1-line block ×4, first 2 shown]
	v_lshrrev_b32_e32 v0, 1, v0
	s_wait_dscnt 0x3
	s_set_vgpr_msb 64                       ;  msbs: dst=1 src0=0 src1=0 src2=0
	v_bfe_i32 v24 /*v280*/, v4, 0, 8
	v_perm_b32 v25 /*v281*/, v4, v4, 0xc0c0201
	s_wait_dscnt 0x2
	s_set_vgpr_msb 0                        ;  msbs: dst=0 src0=0 src1=0 src2=0
	v_perm_b32 v121, v8, v121, 0x6050403
	v_perm_b32 v148, v148, v7, 0x6050403
	s_set_vgpr_msb 64                       ;  msbs: dst=1 src0=0 src1=0 src2=0
	v_ashrrev_i32_e32 v23 /*v279*/, 24, v8
	s_set_vgpr_msb 1                        ;  msbs: dst=0 src0=1 src1=0 src2=0
	v_mul_i32_i24_e32 v1, v24 /*v280*/, v150
	s_wait_dscnt 0x1
	s_set_vgpr_msb 64                       ;  msbs: dst=1 src0=0 src1=0 src2=0
	v_bfe_i32 v22 /*v278*/, v18, 0, 8
	v_bfe_i32 v27 /*v283*/, v4, 8, 8
	s_set_vgpr_msb 5                        ;  msbs: dst=0 src0=1 src1=1 src2=0
	v_dot4_i32_iu8 v1, v25 /*v281*/, v9 /*v265*/, v1 neg_lo:[1,1,0]
	s_set_vgpr_msb 64                       ;  msbs: dst=1 src0=0 src1=0 src2=0
	v_perm_b32 v9 /*v265*/, v5, v4, 0x6050403
	s_set_vgpr_msb 0                        ;  msbs: dst=0 src0=0 src1=0 src2=0
	v_perm_b32 v4, v5, v4, 0x5040302
	s_set_vgpr_msb 5                        ;  msbs: dst=0 src0=1 src1=1 src2=0
	s_delay_alu instid0(VALU_DEP_2)
	v_dot4_i32_iu8 v1, v9 /*v265*/, v10 /*v266*/, v1 neg_lo:[1,1,0]
	s_set_vgpr_msb 64                       ;  msbs: dst=1 src0=0 src1=0 src2=0
	v_perm_b32 v10 /*v266*/, v6, v5, 0x6050403
	s_set_vgpr_msb 0                        ;  msbs: dst=0 src0=0 src1=0 src2=0
	v_perm_b32 v5, v6, v5, 0x5040302
	s_set_vgpr_msb 5                        ;  msbs: dst=0 src0=1 src1=1 src2=0
	s_delay_alu instid0(VALU_DEP_2) | instskip(SKIP_3) | instid1(VALU_DEP_1)
	v_dot4_i32_iu8 v1, v10 /*v266*/, v11 /*v267*/, v1 neg_lo:[1,1,0]
	s_set_vgpr_msb 64                       ;  msbs: dst=1 src0=0 src1=0 src2=0
	v_perm_b32 v11 /*v267*/, v7, v6, 0x6050403
	s_set_vgpr_msb 5                        ;  msbs: dst=0 src0=1 src1=1 src2=0
	v_dot4_i32_iu8 v1, v11 /*v267*/, v12 /*v268*/, v1 neg_lo:[1,1,0]
	s_set_vgpr_msb 64                       ;  msbs: dst=1 src0=0 src1=0 src2=0
	v_perm_b32 v12 /*v268*/, v10, v9, 0x5040302
	s_set_vgpr_msb 0                        ;  msbs: dst=0 src0=0 src1=0 src2=0
	s_delay_alu instid0(VALU_DEP_2) | instskip(SKIP_2) | instid1(VALU_DEP_2)
	v_dot4_i32_iu8 v1, v148, v121, v1 neg_lo:[1,1,0]
	v_perm_b32 v121, v9, v9, 0xc0c0100
	s_set_vgpr_msb 4                        ;  msbs: dst=0 src0=0 src1=1 src2=0
	v_mad_i32_i24 v1, v149, v23 /*v279*/, v1
	s_set_vgpr_msb 1                        ;  msbs: dst=0 src0=1 src1=0 src2=0
	s_delay_alu instid0(VALU_DEP_1) | instskip(SKIP_3) | instid1(VALU_DEP_2)
	v_dot4_i32_iu8 v1, v13 /*v269*/, v121, v1 neg_lo:[1,1,0]
	s_set_vgpr_msb 64                       ;  msbs: dst=1 src0=0 src1=0 src2=0
	v_perm_b32 v13 /*v269*/, v19, v18, 0x4030201
	s_set_vgpr_msb 0x45                     ;  msbs: dst=1 src0=1 src1=1 src2=0
	v_dot4_i32_iu8 v29 /*v285*/, v14 /*v270*/, v12 /*v268*/, v1 neg_lo:[1,1,0]
	s_set_vgpr_msb 4                        ;  msbs: dst=0 src0=0 src1=1 src2=0
	v_mul_i32_i24_e32 v1, v151, v22 /*v278*/
	s_set_vgpr_msb 64                       ;  msbs: dst=1 src0=0 src1=0 src2=0
	v_perm_b32 v14 /*v270*/, v20, v19, 0x4030201
	s_set_vgpr_msb 0                        ;  msbs: dst=0 src0=0 src1=0 src2=0
	v_perm_b32 v20, v21, v20, 0x4030201
	s_set_vgpr_msb 4                        ;  msbs: dst=0 src0=0 src1=1 src2=0
	v_dot4_i32_iu8 v1, v152, v13 /*v269*/, v1 neg_lo:[1,1,0]
	s_delay_alu instid0(VALU_DEP_1)
	v_dot4_i32_iu8 v1, v153, v14 /*v270*/, v1 neg_lo:[1,1,0]
	s_set_vgpr_msb 1                        ;  msbs: dst=0 src0=1 src1=0 src2=0
	ds_load_b64 v[18:19], v28 /*v284*/ offset:43584
	s_set_vgpr_msb 0                        ;  msbs: dst=0 src0=0 src1=0 src2=0
	ds_load_b64 v[152:153], v0 offset:43584
	s_set_vgpr_msb 1                        ;  msbs: dst=0 src0=1 src1=0 src2=0
	v_dot4_i32_iu8 v1, v5 /*v261*/, v20, v1 neg_lo:[1,1,0]
	s_wait_dscnt 0x2
	s_set_vgpr_msb 64                       ;  msbs: dst=1 src0=0 src1=0 src2=0
	v_perm_b32 v5 /*v261*/, v12, v21, 0x4030201
	s_set_vgpr_msb 5                        ;  msbs: dst=0 src0=1 src1=1 src2=0
	s_delay_alu instid0(VALU_DEP_1)
	v_dot4_i32_iu8 v1, v6 /*v262*/, v5 /*v261*/, v1 neg_lo:[1,1,0]
	s_set_vgpr_msb 64                       ;  msbs: dst=1 src0=0 src1=0 src2=0
	v_perm_b32 v6 /*v262*/, v13, v12, 0x4030201
	s_set_vgpr_msb 0                        ;  msbs: dst=0 src0=0 src1=0 src2=0
	v_perm_b32 v13, v14, v13, 0x4030201
	s_set_vgpr_msb 5                        ;  msbs: dst=0 src0=1 src1=1 src2=0
	s_delay_alu instid0(VALU_DEP_2)
	v_dot4_i32_iu8 v1, v7 /*v263*/, v6 /*v262*/, v1 neg_lo:[1,1,0]
	s_wait_dscnt 0x1
	s_set_vgpr_msb 0                        ;  msbs: dst=0 src0=0 src1=0 src2=0
	v_cvt_f32_f16_e32 v0, v18
	s_wait_dscnt 0x0
	v_dual_lshrrev_b32 v18, 16, v18 :: v_dual_lshrrev_b32 v148, 16, v152
	s_set_vgpr_msb 0x41                     ;  msbs: dst=1 src0=1 src1=0 src2=0
	v_dot4_i32_iu8 v7 /*v263*/, v8 /*v264*/, v13, v1 neg_lo:[1,1,0]
	s_set_vgpr_msb 0                        ;  msbs: dst=0 src0=0 src1=0 src2=0
	v_cvt_f32_f16_e64 v1, v152
	v_cvt_f32_f16_e64 v149, v153
	;; [unrolled: 1-line block ×5, first 2 shown]
	v_dual_lshrrev_b32 v18, 16, v19 :: v_dual_lshrrev_b32 v19, 16, v153
	v_perm_b32 v152, v17, v16, 0x5040302
	v_perm_b32 v153, v11, v10, 0x5040302
	s_set_vgpr_msb 64                       ;  msbs: dst=1 src0=0 src1=0 src2=0
	v_perm_b32 v8 /*v264*/, v17, v17, 0xc0c0302
	s_set_vgpr_msb 16                       ;  msbs: dst=0 src0=0 src1=0 src2=1
	v_cvt_f32_f16_e32 v18, v18
	v_cvt_f32_f16_e32 v19, v19
	v_dot4_i32_iu8 v16, v152, v252, v26 /*v282*/ neg_lo:[1,1,0]
	v_dot4_i32_iu8 v10, v153, v252, v29 /*v285*/ neg_lo:[1,1,0]
	v_perm_b32 v252, v11, v11, 0xc0c0302
	s_set_vgpr_msb 4                        ;  msbs: dst=0 src0=0 src1=1 src2=0
	s_delay_alu instid0(VALU_DEP_3) | instskip(SKIP_1) | instid1(VALU_DEP_2)
	v_dot4_i32_iu8 v11, v251, v8 /*v264*/, v16 neg_lo:[1,1,0]
	s_set_vgpr_msb 0                        ;  msbs: dst=0 src0=0 src1=0 src2=0
	v_dot4_i32_iu8 v10, v251, v252, v10 neg_lo:[1,1,0]
	v_perm_b32 v251, v3, v3, 0xc070601
	s_delay_alu instid0(VALU_DEP_3) | instskip(NEXT) | instid1(VALU_DEP_3)
	v_mul_lo_u32 v16, v11, v154
	v_mul_lo_u32 v10, v10, v154
	v_perm_b32 v154, v3, v124, 0x4030201
	v_perm_b32 v124, v15, v124, 0x4030201
	s_delay_alu instid0(VALU_DEP_3) | instskip(SKIP_4) | instid1(VALU_DEP_4)
	v_cvt_f32_i32_e32 v11, v10
	v_cvt_f32_i32_e32 v10, v16
	v_pk_fma_f32 v[16:17], v[126:127], v[150:151], 0 op_sel_hi:[0,1,0]
	v_perm_b32 v126, v125, v2, 0x4030201
	v_perm_b32 v125, v125, v14, 0x4030201
	v_pk_fma_f32 v[10:11], v[0:1], v[10:11], 0 op_sel_hi:[1,1,0]
	s_set_vgpr_msb 16                       ;  msbs: dst=0 src0=0 src1=0 src2=1
	s_delay_alu instid0(VALU_DEP_3) | instskip(NEXT) | instid1(VALU_DEP_3)
	v_dot4_i32_iu8 v126, v154, v126, v21 /*v277*/ neg_lo:[1,1,0]
	v_dot4_i32_iu8 v124, v124, v125, v7 /*v263*/ neg_lo:[1,1,0]
	v_perm_b32 v154, v15, v15, 0xc070601
	s_set_vgpr_msb 0                        ;  msbs: dst=0 src0=0 src1=0 src2=0
	s_delay_alu instid0(VALU_DEP_3) | instskip(NEXT) | instid1(VALU_DEP_2)
	v_dot4_i32_iu8 v125, v243, v251, v126 neg_lo:[1,1,0]
	v_dot4_i32_iu8 v124, v243, v154, v124 neg_lo:[1,1,0]
	s_delay_alu instid0(VALU_DEP_2) | instskip(NEXT) | instid1(VALU_DEP_2)
	v_mul_lo_u32 v126, v125, v123
	v_mul_lo_u32 v123, v124, v123
	s_delay_alu instid0(VALU_DEP_2) | instskip(NEXT) | instid1(VALU_DEP_2)
	v_cvt_f32_i32_e32 v124, v126
	v_cvt_f32_i32_e32 v125, v123
	v_pk_fma_f32 v[16:17], v[122:123], v[18:19], v[16:17] op_sel_hi:[0,1,1]
	s_delay_alu instid0(VALU_DEP_2) | instskip(NEXT) | instid1(VALU_DEP_2)
	v_pk_fma_f32 v[10:11], v[148:149], v[124:125], v[10:11]
	v_pk_mul_f32 v[16:17], v[16:17], v[112:113]
	v_perm_b32 v124, v3, v2, 0x4030201
	v_perm_b32 v125, v15, v14, 0x4030201
	;; [unrolled: 1-line block ×4, first 2 shown]
	v_pk_fma_f32 v[10:11], v[10:11], v[22:23], v[16:17] neg_lo:[0,0,1] neg_hi:[0,0,1]
	v_perm_b32 v16, v155, v7, 0x6050403
	s_set_vgpr_msb 16                       ;  msbs: dst=0 src0=0 src1=0 src2=1
	v_dot4_i32_iu8 v123, v124, v241, v19 /*v275*/ neg_lo:[1,1,0]
	v_dot4_i32_iu8 v2, v3, v2, v17 /*v273*/ neg_lo:[1,1,0]
	v_pk_add_f32 v[36:37], v[36:37], v[10:11]
	s_set_vgpr_msb 1                        ;  msbs: dst=0 src0=1 src1=0 src2=0
	v_mul_i32_i24_e32 v10, v24 /*v280*/, v156
	s_set_vgpr_msb 0                        ;  msbs: dst=0 src0=0 src1=0 src2=0
	v_perm_b32 v11, v8, v135, 0x6050403
	v_dot4_i32_iu8 v123, v242, v251, v123 neg_lo:[1,1,0]
	v_perm_b32 v3, v137, v14, 0x4030201
	v_dot4_i32_iu8 v2, v147, v251, v2 neg_lo:[1,1,0]
	s_set_vgpr_msb 1                        ;  msbs: dst=0 src0=1 src1=0 src2=0
	v_dot4_i32_iu8 v10, v25 /*v281*/, v253, v10 neg_lo:[1,1,0]
	s_set_vgpr_msb 0                        ;  msbs: dst=0 src0=0 src1=0 src2=0
	v_mul_lo_u32 v126, v123, v220
	v_mul_lo_u32 v2, v2, v209
	s_set_vgpr_msb 1                        ;  msbs: dst=0 src0=1 src1=0 src2=0
	v_dot4_i32_iu8 v10, v9 /*v265*/, v254, v10 neg_lo:[1,1,0]
	s_delay_alu instid0(VALU_DEP_1) | instskip(SKIP_1) | instid1(VALU_DEP_1)
	v_dot4_i32_iu8 v10, v10 /*v266*/, v255, v10 neg_lo:[1,1,0]
	s_set_vgpr_msb 5                        ;  msbs: dst=0 src0=1 src1=1 src2=0
	v_dot4_i32_iu8 v10, v11 /*v267*/, v0 /*v256*/, v10 neg_lo:[1,1,0]
	s_set_vgpr_msb 0                        ;  msbs: dst=0 src0=0 src1=0 src2=0
	s_delay_alu instid0(VALU_DEP_4) | instskip(NEXT) | instid1(VALU_DEP_2)
	v_cvt_f32_i32_e32 v2, v2
	v_dot4_i32_iu8 v10, v16, v11, v10 neg_lo:[1,1,0]
	s_set_vgpr_msb 1                        ;  msbs: dst=0 src0=1 src1=0 src2=0
	v_mul_i32_i24_e32 v11, v22 /*v278*/, v204
	s_set_vgpr_msb 4                        ;  msbs: dst=0 src0=0 src1=1 src2=0
	s_delay_alu instid0(VALU_DEP_2) | instskip(SKIP_1) | instid1(VALU_DEP_2)
	v_mad_i32_i24 v10, v157, v23 /*v279*/, v10
	s_set_vgpr_msb 1                        ;  msbs: dst=0 src0=1 src1=0 src2=0
	v_dot4_i32_iu8 v11, v13 /*v269*/, v205, v11 neg_lo:[1,1,0]
	s_delay_alu instid0(VALU_DEP_2) | instskip(NEXT) | instid1(VALU_DEP_2)
	v_dot4_i32_iu8 v10, v1 /*v257*/, v121, v10 neg_lo:[1,1,0]
	v_dot4_i32_iu8 v11, v14 /*v270*/, v236, v11 neg_lo:[1,1,0]
	s_set_vgpr_msb 5                        ;  msbs: dst=0 src0=1 src1=1 src2=0
	s_delay_alu instid0(VALU_DEP_2) | instskip(SKIP_1) | instid1(VALU_DEP_2)
	v_dot4_i32_iu8 v10, v2 /*v258*/, v12 /*v268*/, v10 neg_lo:[1,1,0]
	s_set_vgpr_msb 0                        ;  msbs: dst=0 src0=0 src1=0 src2=0
	v_dot4_i32_iu8 v11, v20, v237, v11 neg_lo:[1,1,0]
	s_set_vgpr_msb 4                        ;  msbs: dst=0 src0=0 src1=1 src2=0
	s_delay_alu instid0(VALU_DEP_2) | instskip(SKIP_1) | instid1(VALU_DEP_2)
	v_dot4_i32_iu8 v10, v153, v3 /*v259*/, v10 neg_lo:[1,1,0]
	s_set_vgpr_msb 1                        ;  msbs: dst=0 src0=1 src1=0 src2=0
	v_dot4_i32_iu8 v11, v5 /*v261*/, v238, v11 neg_lo:[1,1,0]
	s_delay_alu instid0(VALU_DEP_2) | instskip(NEXT) | instid1(VALU_DEP_2)
	v_dot4_i32_iu8 v10, v4 /*v260*/, v252, v10 neg_lo:[1,1,0]
	v_dot4_i32_iu8 v11, v6 /*v262*/, v239, v11 neg_lo:[1,1,0]
	s_set_vgpr_msb 0                        ;  msbs: dst=0 src0=0 src1=0 src2=0
	s_delay_alu instid0(VALU_DEP_2) | instskip(NEXT) | instid1(VALU_DEP_2)
	v_mul_lo_u32 v10, v10, v203
	v_dot4_i32_iu8 v122, v13, v240, v11 neg_lo:[1,1,0]
	s_set_vgpr_msb 20                       ;  msbs: dst=0 src0=0 src1=1 src2=1
	v_dot4_i32_iu8 v11, v152, v3 /*v259*/, v20 /*v276*/ neg_lo:[1,1,0]
	s_set_vgpr_msb 0                        ;  msbs: dst=0 src0=0 src1=0 src2=0
	s_delay_alu instid0(VALU_DEP_2) | instskip(SKIP_1) | instid1(VALU_DEP_2)
	v_dot4_i32_iu8 v122, v125, v241, v122 neg_lo:[1,1,0]
	s_set_vgpr_msb 5                        ;  msbs: dst=0 src0=1 src1=1 src2=0
	v_dot4_i32_iu8 v11, v4 /*v260*/, v8 /*v264*/, v11 neg_lo:[1,1,0]
	s_set_vgpr_msb 0                        ;  msbs: dst=0 src0=0 src1=0 src2=0
	s_delay_alu instid0(VALU_DEP_2) | instskip(NEXT) | instid1(VALU_DEP_2)
	v_dot4_i32_iu8 v122, v242, v154, v122 neg_lo:[1,1,0]
	v_mul_lo_u32 v16, v11, v203
	v_cvt_f32_i32_e32 v11, v10
	s_delay_alu instid0(VALU_DEP_3) | instskip(NEXT) | instid1(VALU_DEP_3)
	v_mul_lo_u32 v122, v122, v220
	v_cvt_f32_i32_e32 v10, v16
	v_pk_fma_f32 v[16:17], v[128:129], v[150:151], 0 op_sel_hi:[0,1,0]
	s_delay_alu instid0(VALU_DEP_3) | instskip(NEXT) | instid1(VALU_DEP_3)
	v_cvt_f32_i32_e32 v123, v122
	v_pk_fma_f32 v[10:11], v[0:1], v[10:11], 0 op_sel_hi:[1,1,0]
	v_cvt_f32_i32_e32 v122, v126
	s_delay_alu instid0(VALU_DEP_4) | instskip(NEXT) | instid1(VALU_DEP_2)
	v_pk_fma_f32 v[16:17], v[144:145], v[18:19], v[16:17] op_sel_hi:[0,1,1]
	v_pk_fma_f32 v[10:11], v[148:149], v[122:123], v[10:11]
	s_delay_alu instid0(VALU_DEP_2) | instskip(NEXT) | instid1(VALU_DEP_1)
	v_pk_mul_f32 v[16:17], v[16:17], v[114:115]
	v_pk_fma_f32 v[10:11], v[10:11], v[24:25], v[16:17] neg_lo:[0,0,1] neg_hi:[0,0,1]
	s_delay_alu instid0(VALU_DEP_1) | instskip(SKIP_2) | instid1(VALU_DEP_1)
	v_pk_add_f32 v[32:33], v[32:33], v[10:11]
	s_set_vgpr_msb 1                        ;  msbs: dst=0 src0=1 src1=0 src2=0
	v_mul_i32_i24_e32 v10, v24 /*v280*/, v213
	v_mad_i32_i24 v10, v27 /*v283*/, v214, v10
	s_set_vgpr_msb 0                        ;  msbs: dst=0 src0=0 src1=0 src2=0
	s_delay_alu instid0(VALU_DEP_1) | instskip(SKIP_1) | instid1(VALU_DEP_2)
	v_dot4_i32_iu8 v4, v4, v215, v10 neg_lo:[1,1,0]
	v_pk_fma_f32 v[10:11], v[138:139], v[150:151], 0 op_sel_hi:[0,1,0]
	v_dot4_i32_iu8 v4, v5, v216, v4 neg_lo:[1,1,0]
	v_perm_b32 v5, v7, v6, 0x5040302
	v_perm_b32 v6, v12, v133, 0x4030201
	s_delay_alu instid0(VALU_DEP_2) | instskip(SKIP_1) | instid1(VALU_DEP_1)
	v_dot4_i32_iu8 v4, v5, v217, v4 neg_lo:[1,1,0]
	v_perm_b32 v5, v8, v7, 0x5040302
	v_dot4_i32_iu8 v4, v5, v218, v4 neg_lo:[1,1,0]
	v_perm_b32 v5, v9, v8, 0x5040302
	v_perm_b32 v9, v146, v21, 0x4030201
	s_delay_alu instid0(VALU_DEP_2) | instskip(SKIP_2) | instid1(VALU_DEP_2)
	v_dot4_i32_iu8 v4, v5, v219, v4 neg_lo:[1,1,0]
	s_set_vgpr_msb 1                        ;  msbs: dst=0 src0=1 src1=0 src2=0
	v_mul_i32_i24_e32 v5, v22 /*v278*/, v222
	v_dot4_i32_iu8 v4, v12 /*v268*/, v221, v4 neg_lo:[1,1,0]
	s_delay_alu instid0(VALU_DEP_2) | instskip(SKIP_1) | instid1(VALU_DEP_2)
	v_dot4_i32_iu8 v5, v13 /*v269*/, v244, v5 neg_lo:[1,1,0]
	s_set_vgpr_msb 0                        ;  msbs: dst=0 src0=0 src1=0 src2=0
	v_dot4_i32_iu8 v4, v153, v249, v4 neg_lo:[1,1,0]
	s_set_vgpr_msb 1                        ;  msbs: dst=0 src0=1 src1=0 src2=0
	s_delay_alu instid0(VALU_DEP_2) | instskip(SKIP_1) | instid1(VALU_DEP_2)
	v_dot4_i32_iu8 v5, v14 /*v270*/, v245, v5 neg_lo:[1,1,0]
	s_set_vgpr_msb 0                        ;  msbs: dst=0 src0=0 src1=0 src2=0
	v_dot4_i32_iu8 v4, v250, v252, v4 neg_lo:[1,1,0]
	s_delay_alu instid0(VALU_DEP_2) | instskip(NEXT) | instid1(VALU_DEP_2)
	v_dot4_i32_iu8 v5, v20, v246, v5 neg_lo:[1,1,0]
	v_mul_lo_u32 v4, v4, v212
	s_delay_alu instid0(VALU_DEP_2) | instskip(SKIP_1) | instid1(VALU_DEP_1)
	v_dot4_i32_iu8 v5, v9, v6, v5 neg_lo:[1,1,0]
	s_set_vgpr_msb 4                        ;  msbs: dst=0 src0=0 src1=1 src2=0
	v_dot4_i32_iu8 v5, v247, v6 /*v262*/, v5 neg_lo:[1,1,0]
	s_set_vgpr_msb 0                        ;  msbs: dst=0 src0=0 src1=0 src2=0
	s_delay_alu instid0(VALU_DEP_1) | instskip(SKIP_3) | instid1(VALU_DEP_1)
	v_dot4_i32_iu8 v6, v248, v13, v5 neg_lo:[1,1,0]
	s_set_vgpr_msb 16                       ;  msbs: dst=0 src0=0 src1=0 src2=1
	v_dot4_i32_iu8 v5, v152, v249, v18 /*v274*/ neg_lo:[1,1,0]
	s_set_vgpr_msb 4                        ;  msbs: dst=0 src0=0 src1=1 src2=0
	v_dot4_i32_iu8 v5, v250, v8 /*v264*/, v5 neg_lo:[1,1,0]
	s_set_vgpr_msb 0                        ;  msbs: dst=0 src0=0 src1=0 src2=0
	s_delay_alu instid0(VALU_DEP_1) | instskip(SKIP_1) | instid1(VALU_DEP_2)
	v_mul_lo_u32 v9, v5, v212
	v_cvt_f32_i32_e32 v5, v4
	v_cvt_f32_i32_e32 v4, v9
	v_perm_b32 v9, v15, v136, 0x4030201
	s_delay_alu instid0(VALU_DEP_2) | instskip(NEXT) | instid1(VALU_DEP_2)
	v_pk_fma_f32 v[4:5], v[0:1], v[4:5], 0 op_sel_hi:[1,1,0]
	v_dot4_i32_iu8 v3, v9, v3, v6 neg_lo:[1,1,0]
	s_delay_alu instid0(VALU_DEP_1) | instskip(NEXT) | instid1(VALU_DEP_1)
	v_dot4_i32_iu8 v3, v147, v154, v3 neg_lo:[1,1,0]
	v_mul_lo_u32 v3, v3, v209
	s_delay_alu instid0(VALU_DEP_1) | instskip(NEXT) | instid1(VALU_DEP_1)
	v_cvt_f32_i32_e32 v3, v3
	v_pk_fma_f32 v[2:3], v[148:149], v[2:3], v[4:5]
	v_pk_fma_f32 v[4:5], v[142:143], v[18:19], v[10:11] op_sel_hi:[0,1,1]
	s_delay_alu instid0(VALU_DEP_1) | instskip(NEXT) | instid1(VALU_DEP_1)
	v_pk_mul_f32 v[4:5], v[4:5], v[116:117]
	v_pk_fma_f32 v[2:3], v[2:3], v[26:27], v[4:5] neg_lo:[0,0,1] neg_hi:[0,0,1]
	v_perm_b32 v4, v206, v7, 0x6050403
	s_delay_alu instid0(VALU_DEP_2)
	v_pk_add_f32 v[30:31], v[30:31], v[2:3]
	s_set_vgpr_msb 1                        ;  msbs: dst=0 src0=1 src1=0 src2=0
	v_mul_i32_i24_e32 v2, v24 /*v280*/, v207
	s_set_vgpr_msb 0                        ;  msbs: dst=0 src0=0 src1=0 src2=0
	v_perm_b32 v3, v8, v141, 0x6050403
	s_set_vgpr_msb 1                        ;  msbs: dst=0 src0=1 src1=0 src2=0
	s_delay_alu instid0(VALU_DEP_2) | instskip(NEXT) | instid1(VALU_DEP_1)
	v_dot4_i32_iu8 v2, v25 /*v281*/, v223, v2 neg_lo:[1,1,0]
	v_dot4_i32_iu8 v2, v9 /*v265*/, v224, v2 neg_lo:[1,1,0]
	s_delay_alu instid0(VALU_DEP_1) | instskip(NEXT) | instid1(VALU_DEP_1)
	v_dot4_i32_iu8 v2, v10 /*v266*/, v225, v2 neg_lo:[1,1,0]
	v_dot4_i32_iu8 v2, v11 /*v267*/, v140, v2 neg_lo:[1,1,0]
	s_set_vgpr_msb 0                        ;  msbs: dst=0 src0=0 src1=0 src2=0
	s_delay_alu instid0(VALU_DEP_1) | instskip(SKIP_3) | instid1(VALU_DEP_2)
	v_dot4_i32_iu8 v2, v4, v3, v2 neg_lo:[1,1,0]
	s_set_vgpr_msb 1                        ;  msbs: dst=0 src0=1 src1=0 src2=0
	v_mul_i32_i24_e32 v3, v22 /*v278*/, v211
	s_set_vgpr_msb 4                        ;  msbs: dst=0 src0=0 src1=1 src2=0
	v_mad_i32_i24 v2, v208, v23 /*v279*/, v2
	s_set_vgpr_msb 1                        ;  msbs: dst=0 src0=1 src1=0 src2=0
	s_delay_alu instid0(VALU_DEP_2) | instskip(SKIP_1) | instid1(VALU_DEP_2)
	v_dot4_i32_iu8 v3, v13 /*v269*/, v228, v3 neg_lo:[1,1,0]
	s_set_vgpr_msb 0                        ;  msbs: dst=0 src0=0 src1=0 src2=0
	v_dot4_i32_iu8 v2, v226, v121, v2 neg_lo:[1,1,0]
	s_set_vgpr_msb 1                        ;  msbs: dst=0 src0=1 src1=0 src2=0
	s_delay_alu instid0(VALU_DEP_2) | instskip(SKIP_1) | instid1(VALU_DEP_2)
	v_dot4_i32_iu8 v3, v14 /*v270*/, v229, v3 neg_lo:[1,1,0]
	s_set_vgpr_msb 4                        ;  msbs: dst=0 src0=0 src1=1 src2=0
	v_dot4_i32_iu8 v2, v227, v12 /*v268*/, v2 neg_lo:[1,1,0]
	s_set_vgpr_msb 0                        ;  msbs: dst=0 src0=0 src1=0 src2=0
	s_delay_alu instid0(VALU_DEP_2) | instskip(NEXT) | instid1(VALU_DEP_2)
	v_dot4_i32_iu8 v3, v20, v230, v3 neg_lo:[1,1,0]
	v_dot4_i32_iu8 v2, v153, v234, v2 neg_lo:[1,1,0]
	s_set_vgpr_msb 4                        ;  msbs: dst=0 src0=0 src1=1 src2=0
	s_delay_alu instid0(VALU_DEP_2) | instskip(SKIP_1) | instid1(VALU_DEP_2)
	v_dot4_i32_iu8 v3, v231, v5 /*v261*/, v3 neg_lo:[1,1,0]
	s_set_vgpr_msb 0                        ;  msbs: dst=0 src0=0 src1=0 src2=0
	v_dot4_i32_iu8 v2, v235, v252, v2 neg_lo:[1,1,0]
	s_set_vgpr_msb 4                        ;  msbs: dst=0 src0=0 src1=1 src2=0
	s_delay_alu instid0(VALU_DEP_2) | instskip(SKIP_1) | instid1(VALU_DEP_2)
	v_dot4_i32_iu8 v3, v232, v6 /*v262*/, v3 neg_lo:[1,1,0]
	s_set_vgpr_msb 0                        ;  msbs: dst=0 src0=0 src1=0 src2=0
	v_mul_lo_u32 v2, v2, v210
	s_delay_alu instid0(VALU_DEP_2) | instskip(SKIP_3) | instid1(VALU_DEP_2)
	v_dot4_i32_iu8 v4, v233, v13, v3 neg_lo:[1,1,0]
	s_set_vgpr_msb 16                       ;  msbs: dst=0 src0=0 src1=0 src2=1
	v_dot4_i32_iu8 v3, v152, v234, v16 /*v272*/ neg_lo:[1,1,0]
	s_set_vgpr_msb 0                        ;  msbs: dst=0 src0=0 src1=0 src2=0
	v_dot4_i32_iu8 v4, v125, v132, v4 neg_lo:[1,1,0]
	s_set_vgpr_msb 4                        ;  msbs: dst=0 src0=0 src1=1 src2=0
	s_delay_alu instid0(VALU_DEP_2) | instskip(SKIP_1) | instid1(VALU_DEP_2)
	v_dot4_i32_iu8 v3, v235, v8 /*v264*/, v3 neg_lo:[1,1,0]
	s_set_vgpr_msb 0                        ;  msbs: dst=0 src0=0 src1=0 src2=0
	v_dot4_i32_iu8 v4, v134, v154, v4 neg_lo:[1,1,0]
	s_delay_alu instid0(VALU_DEP_2) | instskip(SKIP_1) | instid1(VALU_DEP_3)
	v_mul_lo_u32 v5, v3, v210
	v_cvt_f32_i32_e32 v3, v2
	v_mul_lo_u32 v4, v4, v145
	s_delay_alu instid0(VALU_DEP_3) | instskip(SKIP_2) | instid1(VALU_DEP_2)
	v_cvt_f32_i32_e32 v2, v5
	s_set_vgpr_msb 16                       ;  msbs: dst=0 src0=0 src1=0 src2=1
	v_dot4_i32_iu8 v5, v124, v132, v15 /*v271*/ neg_lo:[1,1,0]
	v_pk_fma_f32 v[0:1], v[0:1], v[2:3], 0 op_sel_hi:[1,1,0]
	s_set_vgpr_msb 0                        ;  msbs: dst=0 src0=0 src1=0 src2=0
	s_delay_alu instid0(VALU_DEP_2) | instskip(SKIP_1) | instid1(VALU_DEP_2)
	v_dot4_i32_iu8 v5, v134, v251, v5 neg_lo:[1,1,0]
	v_pk_fma_f32 v[2:3], v[130:131], v[150:151], 0 op_sel_hi:[0,1,0]
	v_mul_lo_u32 v6, v5, v145
	v_cvt_f32_i32_e32 v5, v4
	s_delay_alu instid0(VALU_DEP_3) | instskip(NEXT) | instid1(VALU_DEP_1)
	v_pk_fma_f32 v[2:3], v[120:121], v[18:19], v[2:3] op_sel_hi:[0,1,1]
	v_pk_mul_f32 v[2:3], v[2:3], v[118:119]
	s_delay_alu instid0(VALU_DEP_4) | instskip(NEXT) | instid1(VALU_DEP_1)
	v_cvt_f32_i32_e32 v4, v6
	v_pk_fma_f32 v[0:1], v[148:149], v[4:5], v[0:1]
	s_delay_alu instid0(VALU_DEP_1) | instskip(NEXT) | instid1(VALU_DEP_1)
	v_pk_fma_f32 v[0:1], v[0:1], v[110:111], v[2:3] neg_lo:[0,0,1] neg_hi:[0,0,1]
	v_pk_add_f32 v[28:29], v[28:29], v[0:1]
	s_cbranch_scc1 .LBB134_8
; %bb.9:                                ;   in Loop: Header=BB134_5 Depth=1
	s_add_co_i32 s0, s0, 1
	s_delay_alu instid0(SALU_CYCLE_1)
	s_cmp_eq_u32 s0, s17
	s_barrier_signal -1
	s_barrier_wait -1
	s_cbranch_scc0 .LBB134_5
; %bb.10:
	v_dual_mov_b32 v1, v65 :: v_dual_mov_b32 v2, v71
.LBB134_11:
	s_wait_xcnt 0x0
	s_mov_b32 s0, exec_lo
	v_cmpx_gt_u32_e64 s6, v73
	s_cbranch_execz .LBB134_62
; %bb.12:
	v_mul_lo_u32 v5, v73, s14
	v_add_nc_u32_e32 v0, s16, v2
	s_delay_alu instid0(VALU_DEP_1)
	v_cmp_gt_u32_e32 vcc_lo, s14, v0
	s_and_saveexec_b32 s0, vcc_lo
	s_cbranch_execz .LBB134_14
; %bb.13:
	s_delay_alu instid0(VALU_DEP_3)
	v_add_nc_u32_e32 v2, v0, v5
	s_wait_kmcnt 0x0
	global_store_b32 v2, v62, s[12:13] scale_offset
.LBB134_14:
	s_wait_xcnt 0x0
	s_or_b32 exec_lo, exec_lo, s0
	v_add_nc_u32_e32 v2, 32, v0
	s_delay_alu instid0(VALU_DEP_1)
	v_cmp_gt_u32_e64 s0, s14, v2
	s_and_saveexec_b32 s1, s0
	s_cbranch_execz .LBB134_16
; %bb.15:
	v_add_nc_u32_e32 v3, v2, v5
	s_wait_kmcnt 0x0
	global_store_b32 v3, v60, s[12:13] scale_offset
.LBB134_16:
	s_wait_xcnt 0x0
	s_or_b32 exec_lo, exec_lo, s1
	v_add_nc_u32_e32 v3, 64, v0
	s_delay_alu instid0(VALU_DEP_1)
	v_cmp_gt_u32_e64 s1, s14, v3
	s_and_saveexec_b32 s2, s1
	s_cbranch_execz .LBB134_18
; %bb.17:
	v_add_nc_u32_e32 v4, v3, v5
	s_wait_kmcnt 0x0
	global_store_b32 v4, v58, s[12:13] scale_offset
.LBB134_18:
	;; [unrolled: 12-line block ×3, first 2 shown]
	s_wait_xcnt 0x0
	s_or_b32 exec_lo, exec_lo, s3
	v_add3_u32 v5, v1, s15, 8
	s_delay_alu instid0(VALU_DEP_1)
	v_cmp_gt_u32_e64 s3, s6, v5
	s_and_b32 exec_lo, exec_lo, s3
	s_cbranch_execz .LBB134_62
; %bb.21:
	v_mul_lo_u32 v5, v5, s14
	s_and_saveexec_b32 s3, vcc_lo
	s_cbranch_execnz .LBB134_63
; %bb.22:
	s_or_b32 exec_lo, exec_lo, s3
	s_and_saveexec_b32 s3, s0
	s_cbranch_execnz .LBB134_64
.LBB134_23:
	s_or_b32 exec_lo, exec_lo, s3
	s_and_saveexec_b32 s3, s1
	s_cbranch_execnz .LBB134_65
.LBB134_24:
	s_or_b32 exec_lo, exec_lo, s3
	s_and_saveexec_b32 s3, s2
	s_cbranch_execz .LBB134_26
.LBB134_25:
	v_add_nc_u32_e32 v5, v5, v4
	s_wait_kmcnt 0x0
	global_store_b32 v5, v57, s[12:13] scale_offset
.LBB134_26:
	s_wait_xcnt 0x0
	s_or_b32 exec_lo, exec_lo, s3
	v_add3_u32 v5, v1, s15, 16
	s_delay_alu instid0(VALU_DEP_1)
	v_cmp_gt_u32_e64 s3, s6, v5
	s_and_b32 exec_lo, exec_lo, s3
	s_cbranch_execz .LBB134_62
; %bb.27:
	v_mul_lo_u32 v5, v5, s14
	s_and_saveexec_b32 s3, vcc_lo
	s_cbranch_execnz .LBB134_66
; %bb.28:
	s_or_b32 exec_lo, exec_lo, s3
	s_and_saveexec_b32 s3, s0
	s_cbranch_execnz .LBB134_67
.LBB134_29:
	s_or_b32 exec_lo, exec_lo, s3
	s_and_saveexec_b32 s3, s1
	s_cbranch_execnz .LBB134_68
.LBB134_30:
	s_or_b32 exec_lo, exec_lo, s3
	s_and_saveexec_b32 s3, s2
	s_cbranch_execz .LBB134_32
.LBB134_31:
	v_add_nc_u32_e32 v5, v5, v4
	s_wait_kmcnt 0x0
	global_store_b32 v5, v48, s[12:13] scale_offset
.LBB134_32:
	s_wait_xcnt 0x0
	s_or_b32 exec_lo, exec_lo, s3
	v_add3_u32 v5, v1, s15, 24
	s_delay_alu instid0(VALU_DEP_1)
	v_cmp_gt_u32_e64 s3, s6, v5
	s_and_b32 exec_lo, exec_lo, s3
	s_cbranch_execz .LBB134_62
; %bb.33:
	v_mul_lo_u32 v5, v5, s14
	s_and_saveexec_b32 s3, vcc_lo
	s_cbranch_execnz .LBB134_69
; %bb.34:
	s_or_b32 exec_lo, exec_lo, s3
	s_and_saveexec_b32 s3, s0
	s_cbranch_execnz .LBB134_70
.LBB134_35:
	s_or_b32 exec_lo, exec_lo, s3
	s_and_saveexec_b32 s3, s1
	s_cbranch_execnz .LBB134_71
.LBB134_36:
	s_or_b32 exec_lo, exec_lo, s3
	s_and_saveexec_b32 s3, s2
	s_cbranch_execz .LBB134_38
.LBB134_37:
	v_add_nc_u32_e32 v5, v5, v4
	s_wait_kmcnt 0x0
	global_store_b32 v5, v49, s[12:13] scale_offset
.LBB134_38:
	s_wait_xcnt 0x0
	s_or_b32 exec_lo, exec_lo, s3
	v_add3_u32 v5, v1, s15, 32
	s_delay_alu instid0(VALU_DEP_1)
	v_cmp_gt_u32_e64 s3, s6, v5
	s_and_b32 exec_lo, exec_lo, s3
	s_cbranch_execz .LBB134_62
; %bb.39:
	v_mul_lo_u32 v5, v5, s14
	s_and_saveexec_b32 s3, vcc_lo
	s_cbranch_execnz .LBB134_72
; %bb.40:
	s_or_b32 exec_lo, exec_lo, s3
	s_and_saveexec_b32 s3, s0
	s_cbranch_execnz .LBB134_73
.LBB134_41:
	s_or_b32 exec_lo, exec_lo, s3
	s_and_saveexec_b32 s3, s1
	s_cbranch_execnz .LBB134_74
.LBB134_42:
	s_or_b32 exec_lo, exec_lo, s3
	s_and_saveexec_b32 s3, s2
	s_cbranch_execz .LBB134_44
.LBB134_43:
	v_add_nc_u32_e32 v5, v5, v4
	s_wait_kmcnt 0x0
	global_store_b32 v5, v40, s[12:13] scale_offset
.LBB134_44:
	s_wait_xcnt 0x0
	s_or_b32 exec_lo, exec_lo, s3
	v_add3_u32 v5, v1, s15, 40
	s_delay_alu instid0(VALU_DEP_1)
	v_cmp_gt_u32_e64 s3, s6, v5
	s_and_b32 exec_lo, exec_lo, s3
	s_cbranch_execz .LBB134_62
; %bb.45:
	v_mul_lo_u32 v5, v5, s14
	s_and_saveexec_b32 s3, vcc_lo
	s_cbranch_execnz .LBB134_75
; %bb.46:
	s_or_b32 exec_lo, exec_lo, s3
	s_and_saveexec_b32 s3, s0
	s_cbranch_execnz .LBB134_76
.LBB134_47:
	s_or_b32 exec_lo, exec_lo, s3
	s_and_saveexec_b32 s3, s1
	s_cbranch_execnz .LBB134_77
.LBB134_48:
	s_or_b32 exec_lo, exec_lo, s3
	s_and_saveexec_b32 s3, s2
	s_cbranch_execz .LBB134_50
.LBB134_49:
	v_add_nc_u32_e32 v5, v5, v4
	s_wait_kmcnt 0x0
	global_store_b32 v5, v41, s[12:13] scale_offset
.LBB134_50:
	s_wait_xcnt 0x0
	s_or_b32 exec_lo, exec_lo, s3
	v_add3_u32 v5, v1, s15, 48
	s_delay_alu instid0(VALU_DEP_1)
	v_cmp_gt_u32_e64 s3, s6, v5
	s_and_b32 exec_lo, exec_lo, s3
	s_cbranch_execz .LBB134_62
; %bb.51:
	v_mul_lo_u32 v5, v5, s14
	s_and_saveexec_b32 s3, vcc_lo
	s_cbranch_execnz .LBB134_78
; %bb.52:
	s_or_b32 exec_lo, exec_lo, s3
	s_and_saveexec_b32 s3, s0
	s_cbranch_execnz .LBB134_79
.LBB134_53:
	s_or_b32 exec_lo, exec_lo, s3
	s_and_saveexec_b32 s3, s1
	s_cbranch_execnz .LBB134_80
.LBB134_54:
	s_or_b32 exec_lo, exec_lo, s3
	s_and_saveexec_b32 s3, s2
	s_cbranch_execz .LBB134_56
.LBB134_55:
	v_add_nc_u32_e32 v5, v5, v4
	s_wait_kmcnt 0x0
	global_store_b32 v5, v28, s[12:13] scale_offset
.LBB134_56:
	s_wait_xcnt 0x0
	s_or_b32 exec_lo, exec_lo, s3
	v_add3_u32 v1, v1, s15, 56
	s_delay_alu instid0(VALU_DEP_1)
	v_cmp_gt_u32_e64 s3, s6, v1
	s_and_b32 exec_lo, exec_lo, s3
	s_cbranch_execz .LBB134_62
; %bb.57:
	v_mul_lo_u32 v1, v1, s14
	s_and_saveexec_b32 s3, vcc_lo
	s_cbranch_execnz .LBB134_81
; %bb.58:
	s_or_b32 exec_lo, exec_lo, s3
	s_and_saveexec_b32 s3, s0
	s_cbranch_execnz .LBB134_82
.LBB134_59:
	s_or_b32 exec_lo, exec_lo, s3
	s_and_saveexec_b32 s0, s1
	s_cbranch_execnz .LBB134_83
.LBB134_60:
	s_or_b32 exec_lo, exec_lo, s0
	s_delay_alu instid0(SALU_CYCLE_1)
	s_and_b32 exec_lo, exec_lo, s2
	s_cbranch_execz .LBB134_62
.LBB134_61:
	v_add_nc_u32_e32 v0, v1, v4
	s_wait_kmcnt 0x0
	global_store_b32 v0, v29, s[12:13] scale_offset
.LBB134_62:
	s_sendmsg sendmsg(MSG_DEALLOC_VGPRS)
	s_endpgm
.LBB134_63:
	s_delay_alu instid0(VALU_DEP_1)
	v_add_nc_u32_e32 v6, v5, v0
	s_wait_kmcnt 0x0
	global_store_b32 v6, v63, s[12:13] scale_offset
	s_wait_xcnt 0x0
	s_or_b32 exec_lo, exec_lo, s3
	s_and_saveexec_b32 s3, s0
	s_cbranch_execz .LBB134_23
.LBB134_64:
	s_delay_alu instid0(VALU_DEP_1)
	v_add_nc_u32_e32 v6, v5, v2
	s_wait_kmcnt 0x0
	global_store_b32 v6, v61, s[12:13] scale_offset
	s_wait_xcnt 0x0
	s_or_b32 exec_lo, exec_lo, s3
	s_and_saveexec_b32 s3, s1
	s_cbranch_execz .LBB134_24
.LBB134_65:
	s_delay_alu instid0(VALU_DEP_1)
	v_add_nc_u32_e32 v6, v5, v3
	s_wait_kmcnt 0x0
	global_store_b32 v6, v59, s[12:13] scale_offset
	s_wait_xcnt 0x0
	s_or_b32 exec_lo, exec_lo, s3
	s_and_saveexec_b32 s3, s2
	s_cbranch_execnz .LBB134_25
	s_branch .LBB134_26
.LBB134_66:
	s_delay_alu instid0(VALU_DEP_1)
	v_add_nc_u32_e32 v6, v5, v0
	s_wait_kmcnt 0x0
	global_store_b32 v6, v54, s[12:13] scale_offset
	s_wait_xcnt 0x0
	s_or_b32 exec_lo, exec_lo, s3
	s_and_saveexec_b32 s3, s0
	s_cbranch_execz .LBB134_29
.LBB134_67:
	s_delay_alu instid0(VALU_DEP_1)
	v_add_nc_u32_e32 v6, v5, v2
	s_wait_kmcnt 0x0
	global_store_b32 v6, v52, s[12:13] scale_offset
	s_wait_xcnt 0x0
	s_or_b32 exec_lo, exec_lo, s3
	s_and_saveexec_b32 s3, s1
	s_cbranch_execz .LBB134_30
.LBB134_68:
	s_delay_alu instid0(VALU_DEP_1)
	v_add_nc_u32_e32 v6, v5, v3
	s_wait_kmcnt 0x0
	global_store_b32 v6, v50, s[12:13] scale_offset
	s_wait_xcnt 0x0
	s_or_b32 exec_lo, exec_lo, s3
	s_and_saveexec_b32 s3, s2
	s_cbranch_execnz .LBB134_31
	s_branch .LBB134_32
.LBB134_69:
	s_delay_alu instid0(VALU_DEP_1)
	v_add_nc_u32_e32 v6, v5, v0
	s_wait_kmcnt 0x0
	global_store_b32 v6, v55, s[12:13] scale_offset
	s_wait_xcnt 0x0
	s_or_b32 exec_lo, exec_lo, s3
	s_and_saveexec_b32 s3, s0
	s_cbranch_execz .LBB134_35
.LBB134_70:
	s_delay_alu instid0(VALU_DEP_1)
	v_add_nc_u32_e32 v6, v5, v2
	s_wait_kmcnt 0x0
	global_store_b32 v6, v53, s[12:13] scale_offset
	s_wait_xcnt 0x0
	s_or_b32 exec_lo, exec_lo, s3
	s_and_saveexec_b32 s3, s1
	s_cbranch_execz .LBB134_36
.LBB134_71:
	s_delay_alu instid0(VALU_DEP_1)
	v_add_nc_u32_e32 v6, v5, v3
	s_wait_kmcnt 0x0
	global_store_b32 v6, v51, s[12:13] scale_offset
	s_wait_xcnt 0x0
	s_or_b32 exec_lo, exec_lo, s3
	s_and_saveexec_b32 s3, s2
	s_cbranch_execnz .LBB134_37
	s_branch .LBB134_38
.LBB134_72:
	s_delay_alu instid0(VALU_DEP_1)
	v_add_nc_u32_e32 v6, v5, v0
	s_wait_kmcnt 0x0
	global_store_b32 v6, v46, s[12:13] scale_offset
	s_wait_xcnt 0x0
	s_or_b32 exec_lo, exec_lo, s3
	s_and_saveexec_b32 s3, s0
	s_cbranch_execz .LBB134_41
.LBB134_73:
	s_delay_alu instid0(VALU_DEP_1)
	v_add_nc_u32_e32 v6, v5, v2
	s_wait_kmcnt 0x0
	global_store_b32 v6, v44, s[12:13] scale_offset
	s_wait_xcnt 0x0
	s_or_b32 exec_lo, exec_lo, s3
	s_and_saveexec_b32 s3, s1
	s_cbranch_execz .LBB134_42
.LBB134_74:
	s_delay_alu instid0(VALU_DEP_1)
	v_add_nc_u32_e32 v6, v5, v3
	s_wait_kmcnt 0x0
	global_store_b32 v6, v42, s[12:13] scale_offset
	s_wait_xcnt 0x0
	s_or_b32 exec_lo, exec_lo, s3
	s_and_saveexec_b32 s3, s2
	s_cbranch_execnz .LBB134_43
	s_branch .LBB134_44
.LBB134_75:
	s_delay_alu instid0(VALU_DEP_1)
	v_add_nc_u32_e32 v6, v5, v0
	s_wait_kmcnt 0x0
	global_store_b32 v6, v47, s[12:13] scale_offset
	s_wait_xcnt 0x0
	s_or_b32 exec_lo, exec_lo, s3
	s_and_saveexec_b32 s3, s0
	s_cbranch_execz .LBB134_47
.LBB134_76:
	s_delay_alu instid0(VALU_DEP_1)
	v_add_nc_u32_e32 v6, v5, v2
	s_wait_kmcnt 0x0
	global_store_b32 v6, v45, s[12:13] scale_offset
	s_wait_xcnt 0x0
	s_or_b32 exec_lo, exec_lo, s3
	s_and_saveexec_b32 s3, s1
	s_cbranch_execz .LBB134_48
.LBB134_77:
	s_delay_alu instid0(VALU_DEP_1)
	v_add_nc_u32_e32 v6, v5, v3
	s_wait_kmcnt 0x0
	global_store_b32 v6, v43, s[12:13] scale_offset
	s_wait_xcnt 0x0
	s_or_b32 exec_lo, exec_lo, s3
	s_and_saveexec_b32 s3, s2
	s_cbranch_execnz .LBB134_49
	s_branch .LBB134_50
.LBB134_78:
	s_delay_alu instid0(VALU_DEP_1)
	v_add_nc_u32_e32 v6, v5, v0
	s_wait_kmcnt 0x0
	global_store_b32 v6, v36, s[12:13] scale_offset
	s_wait_xcnt 0x0
	s_or_b32 exec_lo, exec_lo, s3
	s_and_saveexec_b32 s3, s0
	s_cbranch_execz .LBB134_53
.LBB134_79:
	s_delay_alu instid0(VALU_DEP_1)
	v_add_nc_u32_e32 v6, v5, v2
	s_wait_kmcnt 0x0
	global_store_b32 v6, v32, s[12:13] scale_offset
	s_wait_xcnt 0x0
	s_or_b32 exec_lo, exec_lo, s3
	s_and_saveexec_b32 s3, s1
	s_cbranch_execz .LBB134_54
.LBB134_80:
	s_delay_alu instid0(VALU_DEP_1)
	v_add_nc_u32_e32 v6, v5, v3
	s_wait_kmcnt 0x0
	global_store_b32 v6, v30, s[12:13] scale_offset
	s_wait_xcnt 0x0
	s_or_b32 exec_lo, exec_lo, s3
	s_and_saveexec_b32 s3, s2
	s_cbranch_execnz .LBB134_55
	s_branch .LBB134_56
.LBB134_81:
	s_delay_alu instid0(VALU_DEP_1)
	v_add_nc_u32_e32 v0, v1, v0
	s_wait_kmcnt 0x0
	global_store_b32 v0, v37, s[12:13] scale_offset
	s_wait_xcnt 0x0
	s_or_b32 exec_lo, exec_lo, s3
	s_and_saveexec_b32 s3, s0
	s_cbranch_execz .LBB134_59
.LBB134_82:
	s_delay_alu instid0(VALU_DEP_1)
	v_add_nc_u32_e32 v0, v1, v2
	s_wait_kmcnt 0x0
	global_store_b32 v0, v33, s[12:13] scale_offset
	s_wait_xcnt 0x0
	s_or_b32 exec_lo, exec_lo, s3
	s_and_saveexec_b32 s0, s1
	s_cbranch_execz .LBB134_60
.LBB134_83:
	s_delay_alu instid0(VALU_DEP_1) | instskip(SKIP_4) | instid1(SALU_CYCLE_1)
	v_add_nc_u32_e32 v0, v1, v3
	s_wait_kmcnt 0x0
	global_store_b32 v0, v31, s[12:13] scale_offset
	s_wait_xcnt 0x0
	s_or_b32 exec_lo, exec_lo, s0
	s_and_b32 exec_lo, exec_lo, s2
	s_cbranch_execnz .LBB134_61
	s_branch .LBB134_62
	.section	.rodata,"a",@progbits
	.p2align	6, 0x0
	.amdhsa_kernel _ZL12mul_mat_q5_KIfLb1EEvPKvS1_PT_iiiii
		.amdhsa_group_segment_fixed_size 45136
		.amdhsa_private_segment_fixed_size 0
		.amdhsa_kernarg_size 44
		.amdhsa_user_sgpr_count 2
		.amdhsa_user_sgpr_dispatch_ptr 0
		.amdhsa_user_sgpr_queue_ptr 0
		.amdhsa_user_sgpr_kernarg_segment_ptr 1
		.amdhsa_user_sgpr_dispatch_id 0
		.amdhsa_user_sgpr_kernarg_preload_length 0
		.amdhsa_user_sgpr_kernarg_preload_offset 0
		.amdhsa_user_sgpr_private_segment_size 0
		.amdhsa_wavefront_size32 1
		.amdhsa_uses_dynamic_stack 0
		.amdhsa_enable_private_segment 0
		.amdhsa_system_sgpr_workgroup_id_x 1
		.amdhsa_system_sgpr_workgroup_id_y 1
		.amdhsa_system_sgpr_workgroup_id_z 0
		.amdhsa_system_sgpr_workgroup_info 0
		.amdhsa_system_vgpr_workitem_id 1
		.amdhsa_next_free_vgpr 318
		.amdhsa_next_free_sgpr 18
		.amdhsa_named_barrier_count 0
		.amdhsa_reserve_vcc 1
		.amdhsa_float_round_mode_32 0
		.amdhsa_float_round_mode_16_64 0
		.amdhsa_float_denorm_mode_32 3
		.amdhsa_float_denorm_mode_16_64 3
		.amdhsa_fp16_overflow 0
		.amdhsa_memory_ordered 1
		.amdhsa_forward_progress 1
		.amdhsa_inst_pref_size 255
		.amdhsa_round_robin_scheduling 0
		.amdhsa_exception_fp_ieee_invalid_op 0
		.amdhsa_exception_fp_denorm_src 0
		.amdhsa_exception_fp_ieee_div_zero 0
		.amdhsa_exception_fp_ieee_overflow 0
		.amdhsa_exception_fp_ieee_underflow 0
		.amdhsa_exception_fp_ieee_inexact 0
		.amdhsa_exception_int_div_zero 0
	.end_amdhsa_kernel
	.section	.text._ZL12mul_mat_q5_KIfLb1EEvPKvS1_PT_iiiii,"axG",@progbits,_ZL12mul_mat_q5_KIfLb1EEvPKvS1_PT_iiiii,comdat
.Lfunc_end134:
	.size	_ZL12mul_mat_q5_KIfLb1EEvPKvS1_PT_iiiii, .Lfunc_end134-_ZL12mul_mat_q5_KIfLb1EEvPKvS1_PT_iiiii
                                        ; -- End function
	.set _ZL12mul_mat_q5_KIfLb1EEvPKvS1_PT_iiiii.num_vgpr, 318
	.set _ZL12mul_mat_q5_KIfLb1EEvPKvS1_PT_iiiii.num_agpr, 0
	.set _ZL12mul_mat_q5_KIfLb1EEvPKvS1_PT_iiiii.numbered_sgpr, 18
	.set _ZL12mul_mat_q5_KIfLb1EEvPKvS1_PT_iiiii.num_named_barrier, 0
	.set _ZL12mul_mat_q5_KIfLb1EEvPKvS1_PT_iiiii.private_seg_size, 0
	.set _ZL12mul_mat_q5_KIfLb1EEvPKvS1_PT_iiiii.uses_vcc, 1
	.set _ZL12mul_mat_q5_KIfLb1EEvPKvS1_PT_iiiii.uses_flat_scratch, 0
	.set _ZL12mul_mat_q5_KIfLb1EEvPKvS1_PT_iiiii.has_dyn_sized_stack, 0
	.set _ZL12mul_mat_q5_KIfLb1EEvPKvS1_PT_iiiii.has_recursion, 0
	.set _ZL12mul_mat_q5_KIfLb1EEvPKvS1_PT_iiiii.has_indirect_call, 0
	.section	.AMDGPU.csdata,"",@progbits
; Kernel info:
; codeLenInByte = 39048
; TotalNumSgprs: 20
; NumVgprs: 318
; ScratchSize: 0
; MemoryBound: 0
; FloatMode: 240
; IeeeMode: 1
; LDSByteSize: 45136 bytes/workgroup (compile time only)
; SGPRBlocks: 0
; VGPRBlocks: 19
; NumSGPRsForWavesPerEU: 20
; NumVGPRsForWavesPerEU: 318
; NamedBarCnt: 0
; Occupancy: 3
; WaveLimiterHint : 0
; COMPUTE_PGM_RSRC2:SCRATCH_EN: 0
; COMPUTE_PGM_RSRC2:USER_SGPR: 2
; COMPUTE_PGM_RSRC2:TRAP_HANDLER: 0
; COMPUTE_PGM_RSRC2:TGID_X_EN: 1
; COMPUTE_PGM_RSRC2:TGID_Y_EN: 1
; COMPUTE_PGM_RSRC2:TGID_Z_EN: 0
; COMPUTE_PGM_RSRC2:TIDIG_COMP_CNT: 1
	.section	.text._ZL12mul_mat_q6_KIfLb0EEvPKvS1_PT_iiiii,"axG",@progbits,_ZL12mul_mat_q6_KIfLb0EEvPKvS1_PT_iiiii,comdat
	.globl	_ZL12mul_mat_q6_KIfLb0EEvPKvS1_PT_iiiii ; -- Begin function _ZL12mul_mat_q6_KIfLb0EEvPKvS1_PT_iiiii
	.p2align	8
	.type	_ZL12mul_mat_q6_KIfLb0EEvPKvS1_PT_iiiii,@function
_ZL12mul_mat_q6_KIfLb0EEvPKvS1_PT_iiiii: ; @_ZL12mul_mat_q6_KIfLb0EEvPKvS1_PT_iiiii
; %bb.0:
	s_clause 0x1
	s_load_b32 s10, s[0:1], 0x18
	s_load_b96 s[4:6], s[0:1], 0x20
	s_bfe_u32 s2, ttmp6, 0x4000c
	s_bfe_u32 s7, ttmp6, 0x40010
	s_add_co_i32 s2, s2, 1
	s_and_b32 s3, ttmp6, 15
	s_mul_i32 s2, ttmp9, s2
	s_add_co_i32 s7, s7, 1
	s_add_co_i32 s3, s3, s2
	s_mul_i32 s2, ttmp7, s7
	s_bfe_u32 s7, ttmp6, 0x40004
	s_getreg_b32 s8, hwreg(HW_REG_IB_STS2, 6, 4)
	s_add_co_i32 s7, s7, s2
	s_cmp_eq_u32 s8, 0
	v_bfe_u32 v63, v0, 10, 10
	s_cselect_b32 s7, ttmp7, s7
	v_and_b32_e32 v77, 0x3ff, v0
	s_cselect_b32 s2, ttmp9, s3
	s_lshl_b32 s7, s7, 6
	s_mov_b32 s3, 0
	s_wait_kmcnt 0x0
	s_cmp_gt_i32 s10, 0xff
	s_cbranch_scc1 .LBB135_2
; %bb.1:
	v_bfe_u32 v1, v0, 10, 10
	v_and_b32_e32 v2, 0x3ff, v0
	s_delay_alu instid0(VALU_DEP_2)
	v_add_nc_u32_e32 v79, s7, v1
	s_branch .LBB135_3
.LBB135_2:
	s_mov_b32 s3, -1
                                        ; implicit-def: $vgpr1
                                        ; implicit-def: $vgpr2
                                        ; implicit-def: $vgpr79
.LBB135_3:
	s_load_b64 s[8:9], s[0:1], 0x10
	v_dual_mov_b32 v37, 0 :: v_dual_mov_b32 v36, 0
	v_dual_mov_b32 v45, 0 :: v_dual_mov_b32 v44, 0
	v_dual_mov_b32 v53, 0 :: v_dual_mov_b32 v52, 0
	v_dual_mov_b32 v67, 0 :: v_dual_mov_b32 v66, 0
	v_dual_mov_b32 v39, 0 :: v_dual_mov_b32 v38, 0
	v_dual_mov_b32 v47, 0 :: v_dual_mov_b32 v46, 0
	v_dual_mov_b32 v55, 0 :: v_dual_mov_b32 v54, 0
	v_dual_mov_b32 v71, 0 :: v_dual_mov_b32 v70, 0
	v_dual_mov_b32 v41, 0 :: v_dual_mov_b32 v40, 0
	v_dual_mov_b32 v49, 0 :: v_dual_mov_b32 v48, 0
	v_dual_mov_b32 v57, 0 :: v_dual_mov_b32 v56, 0
	v_dual_mov_b32 v73, 0 :: v_dual_mov_b32 v72, 0
	v_dual_mov_b32 v43, 0 :: v_dual_mov_b32 v42, 0
	v_dual_mov_b32 v51, 0 :: v_dual_mov_b32 v50, 0
	v_dual_mov_b32 v59, 0 :: v_dual_mov_b32 v58, 0
	v_dual_mov_b32 v75, 0 :: v_dual_mov_b32 v74, 0
	s_and_not1_b32 vcc_lo, exec_lo, s3
	s_lshl_b32 s14, s2, 7
	s_cbranch_vccnz .LBB135_11
; %bb.4:
	v_dual_add_nc_u32 v79, s7, v63 :: v_dual_bitop2_b32 v1, 31, v0 bitop3:0x40
	s_add_co_i32 s16, s4, -1
	v_bfe_u32 v26, v0, 2, 8
	v_cvt_f64_i32_e32 v[2:3], s16
	s_delay_alu instid0(VALU_DEP_3) | instskip(SKIP_3) | instid1(VALU_DEP_4)
	v_dual_lshlrev_b32 v20, 1, v1 :: v_dual_add_nc_u32 v6, 8, v79
	v_dual_add_nc_u32 v8, 16, v79 :: v_dual_add_nc_u32 v10, 24, v79
	v_cvt_f64_u32_e32 v[4:5], v79
	v_dual_add_nc_u32 v12, 32, v79 :: v_dual_add_nc_u32 v14, 40, v79
	v_cvt_f64_u32_e32 v[6:7], v6
	v_add_nc_u16 v16, v1, -16
	v_cvt_f64_u32_e32 v[8:9], v8
	v_cvt_f64_u32_e32 v[10:11], v10
	v_cmp_gt_u32_e32 vcc_lo, 16, v1
	v_cvt_f64_u32_e32 v[12:13], v12
	v_dual_add_nc_u32 v17, 48, v79 :: v_dual_add_nc_u32 v19, 56, v79
	v_cvt_f64_u32_e32 v[14:15], v14
	v_dual_mov_b32 v61, 0 :: v_dual_add_nc_u32 v18, 0xe0, v20
	v_dual_cndmask_b32 v22, v16, v1 :: v_dual_lshrrev_b32 v21, 1, v0
	s_delay_alu instid0(VALU_DEP_4) | instskip(NEXT) | instid1(VALU_DEP_3)
	v_cvt_f64_u32_e32 v[16:17], v17
	v_dual_cndmask_b32 v23, v18, v20 :: v_dual_lshlrev_b32 v60, 2, v1
	v_cvt_f64_u32_e32 v[18:19], v19
	v_lshlrev_b32_e32 v25, 3, v63
	s_ashr_i32 s11, s10, 31
	s_delay_alu instid0(VALU_DEP_3)
	v_and_b32_e32 v23, 0xfe, v23
	v_and_b32_e32 v24, 7, v0
	s_lshr_b32 s11, s11, 24
	s_ashr_i32 s12, s5, 31
	s_add_co_i32 s10, s10, s11
	v_sub_nc_u32_e32 v1, v20, v23
	v_and_or_b32 v21, v21, 8, v24
	v_dual_mov_b32 v65, v61 :: v_dual_bitop2_b32 v20, 15, v0 bitop3:0x40
	s_delay_alu instid0(VALU_DEP_3) | instskip(NEXT) | instid1(VALU_DEP_3)
	v_dual_add_nc_u32 v23, 48, v63 :: v_dual_lshlrev_b32 v1, 2, v1
	v_lshlrev_b32_e32 v64, 2, v21
	v_mul_u32_u24_e32 v21, 0x41, v63
	s_delay_alu instid0(VALU_DEP_4) | instskip(SKIP_2) | instid1(VALU_DEP_4)
	v_dual_min_num_f64 v[4:5], v[4:5], v[2:3] :: v_dual_lshlrev_b32 v20, 2, v20
	v_min_num_f64_e32 v[6:7], v[6:7], v[2:3]
	v_dual_min_num_f64 v[8:9], v[8:9], v[2:3] :: v_dual_bitop2_b32 v28, 3, v0 bitop3:0x40
	v_dual_min_num_f64 v[12:13], v[12:13], v[2:3] :: v_dual_lshlrev_b32 v21, 2, v21
	v_lshlrev_b32_e32 v85, 5, v63
	v_min_num_f64_e32 v[10:11], v[10:11], v[2:3]
	s_delay_alu instid0(VALU_DEP_4) | instskip(NEXT) | instid1(VALU_DEP_4)
	v_dual_min_num_f64 v[14:15], v[14:15], v[2:3] :: v_dual_lshlrev_b32 v68, 2, v28
	v_add3_u32 v83, v1, v20, v21
	v_add_nc_u32_e32 v1, 8, v63
	v_dual_min_num_f64 v[16:17], v[16:17], v[2:3] :: v_dual_add_nc_u32 v29, v26, v25
	s_ashr_i32 s15, s10, 8
	v_dual_min_num_f64 v[2:3], v[18:19], v[2:3] :: v_dual_add_nc_u32 v19, v85, v77
	s_mul_i32 s10, s15, s14
	s_lshr_b32 s12, s12, 27
	s_ashr_i32 s11, s10, 31
	s_add_co_i32 s5, s5, s12
	v_lshrrev_b32_e32 v24, 3, v19
	v_and_b32_e32 v19, 0x7f, v19
	s_mul_u64 s[12:13], s[10:11], 0xd2
	s_ashr_i32 s10, s5, 5
	s_lshl_b32 s5, s15, 3
	v_dual_add_nc_u32 v20, 16, v63 :: v_dual_add_nc_u32 v18, 24, v63
	v_dual_lshlrev_b32 v30, 2, v19 :: v_dual_bitop2_b32 v24, 12, v24 bitop3:0x40
	v_mad_i32_i24 v76, s15, v63, s5
	v_cvt_i32_f64_e32 v4, v[4:5]
	s_wait_xcnt 0x0
	s_load_b128 s[0:3], s[0:1], 0x0
	v_cvt_i32_f64_e32 v5, v[6:7]
	v_cvt_i32_f64_e32 v7, v[8:9]
	v_add_nc_u16 v8, v26, v25
	v_and_b32_e32 v6, 0x7f, v29
	v_add3_u32 v89, v30, v24, 0xae40
	v_bfe_u32 v62, v0, 5, 5
	v_cvt_i32_f64_e32 v9, v[10:11]
	v_cvt_i32_f64_e32 v11, v[12:13]
	;; [unrolled: 1-line block ×3, first 2 shown]
	v_bitop3_b32 v10, v29, 64, 0x7f bitop3:0x6c
	v_lshrrev_b16 v8, 1, v8
	v_cvt_i32_f64_e32 v15, v[16:17]
	v_add_nc_u32_e32 v27, 56, v63
	v_lshl_or_b32 v13, v6, 4, v68
	v_dual_lshrrev_b32 v14, 1, v10 :: v_dual_bitop2_b32 v16, 63, v29 bitop3:0x40
	v_cvt_i32_f64_e32 v17, v[2:3]
	v_dual_mov_b32 v69, v61 :: v_dual_bitop2_b32 v2, 60, v8 bitop3:0x40
	v_lshl_or_b32 v3, v10, 4, v68
	s_delay_alu instid0(VALU_DEP_4) | instskip(SKIP_1) | instid1(VALU_DEP_4)
	v_dual_lshlrev_b32 v24, 2, v77 :: v_dual_bitop2_b32 v8, 60, v14 bitop3:0x40
	v_or_b32_e32 v14, s7, v16
	v_add3_u32 v93, v13, v2, 0xa200
	v_lshl_or_b32 v13, v16, 4, v68
	s_delay_alu instid0(VALU_DEP_4) | instskip(NEXT) | instid1(VALU_DEP_4)
	v_add3_u32 v95, v3, v8, 0xa200
	v_dual_mov_b32 v3, v61 :: v_dual_min_i32 v8, s16, v14
	v_or_b32_e32 v14, 0x8200, v60
	s_delay_alu instid0(VALU_DEP_4)
	v_add_nc_u32_e32 v99, 0xaa40, v13
	v_cmp_lt_u16_e32 vcc_lo, 7, v22
	v_dual_add_nc_u32 v21, 32, v63 :: v_dual_add_nc_u32 v22, 40, v63
	v_add_nc_u32_e32 v13, 64, v77
	v_mul_lo_u32 v101, s10, v4
	v_dual_lshlrev_b32 v4, 7, v63 :: v_dual_bitop2_b32 v2, 28, v24 bitop3:0x40
	v_mad_u32 v97, v8, s10, v28
	s_delay_alu instid0(VALU_DEP_4)
	v_dual_lshrrev_b32 v16, 3, v13 :: v_dual_lshlrev_b32 v25, 7, v27
	v_mul_lo_u32 v111, s10, v12
	v_add_nc_u32_e32 v12, 32, v77
	v_mul_lo_u32 v103, s10, v5
	v_mul_lo_u32 v113, s10, v15
	v_dual_lshlrev_b32 v15, 7, v23 :: v_dual_lshlrev_b32 v194, 5, v1
	s_delay_alu instid0(VALU_DEP_4) | instskip(SKIP_1) | instid1(VALU_DEP_3)
	v_lshrrev_b32_e32 v180, 3, v12
	v_dual_add_nc_u32 v78, s5, v76 :: v_dual_lshlrev_b32 v196, 5, v18
	v_add_nc_u32_e32 v187, v14, v15
	v_mul_lo_u32 v115, s10, v17
	v_add_nc_u32_e32 v17, 0x60, v77
	s_delay_alu instid0(VALU_DEP_4) | instskip(SKIP_2) | instid1(VALU_DEP_3)
	v_dual_add_nc_u32 v80, s5, v78 :: v_dual_lshlrev_b32 v199, 5, v23
	v_and_b32_e32 v29, 60, v16
	v_mul_lo_u32 v105, s10, v7
	v_dual_lshrrev_b32 v30, 3, v17 :: v_dual_add_nc_u32 v82, s5, v80
	v_lshlrev_b32_e32 v202, 4, v13
	v_mul_lo_u32 v107, s10, v9
	v_mul_lo_u32 v109, s10, v11
	v_add_nc_u32_e32 v87, 0x30c0, v83
	v_dual_add_nc_u32 v84, s5, v82 :: v_dual_lshlrev_b32 v5, 7, v1
	v_dual_lshlrev_b32 v7, 7, v20 :: v_dual_lshlrev_b32 v8, 7, v18
	v_dual_lshlrev_b32 v9, 7, v21 :: v_dual_lshlrev_b32 v11, 7, v22
	s_delay_alu instid0(VALU_DEP_3) | instskip(SKIP_3) | instid1(VALU_DEP_4)
	v_add_nc_u32_e32 v86, s5, v84
	v_dual_lshlrev_b32 v201, 4, v12 :: v_dual_lshlrev_b32 v26, 2, v62
	v_and_b32_e32 v28, 60, v180
	v_dual_add_nc_u32 v181, v14, v4 :: v_dual_add_nc_u32 v182, v14, v5
	v_dual_add_nc_u32 v88, s5, v86 :: v_dual_add_nc_u32 v188, v14, v25
	v_and_b32_e32 v4, 60, v30
	v_bfe_u32 v189, v0, 3, 7
	s_movk_i32 s10, 0x104
	s_delay_alu instid0(VALU_DEP_3)
	v_add_nc_u32_e32 v92, s5, v88
	s_movk_i32 s11, 0x2080
	s_movk_i32 s16, 0x4100
	s_wait_kmcnt 0x0
	v_add_nc_u64_e32 v[90:91], s[2:3], v[2:3]
	v_mov_b64_e32 v[74:75], 0
	v_add_nc_u32_e32 v94, s5, v92
	v_mov_b64_e32 v[58:59], 0
	v_mov_b64_e32 v[50:51], 0
	v_mov_b64_e32 v[42:43], 0
	v_mov_b64_e32 v[72:73], 0
	v_add_nc_u32_e32 v98, s5, v94
	v_mov_b64_e32 v[56:57], 0
	v_mov_b64_e32 v[48:49], 0
	v_mov_b64_e32 v[40:41], 0
	;; [unrolled: 5-line block ×4, first 2 shown]
	v_cndmask_b32_e64 v81, 0, 2, vcc_lo
	v_dual_add_nc_u32 v108, s5, v106 :: v_dual_add_nc_u32 v183, v14, v7
	v_dual_add_nc_u32 v184, v14, v8 :: v_dual_add_nc_u32 v185, v14, v9
	s_delay_alu instid0(VALU_DEP_2)
	v_dual_add_nc_u32 v186, v14, v11 :: v_dual_add_nc_u32 v110, s5, v108
	v_add3_u32 v190, v26, v24, 0xae40
	v_add3_u32 v191, v24, v28, 0xae40
	;; [unrolled: 1-line block ×4, first 2 shown]
	v_dual_lshlrev_b32 v195, 5, v20 :: v_dual_lshlrev_b32 v197, 5, v21
	v_dual_lshlrev_b32 v198, 5, v22 :: v_dual_lshlrev_b32 v200, 5, v27
	;; [unrolled: 1-line block ×4, first 2 shown]
	v_add_nc_u32_e32 v207, 0x5140, v83
	v_add_nc_u32_e32 v208, 0x5960, v83
	;; [unrolled: 1-line block ×6, first 2 shown]
	v_mul_i32_i24_e32 v96, s15, v19
	v_mul_i32_i24_e32 v100, s15, v6
	;; [unrolled: 1-line block ×3, first 2 shown]
	v_mul_u32_u24_e32 v213, 0x104, v77
	v_mad_u32_u24 v214, 0x104, v77, s11
	v_mad_u32_u24 v215, 0x104, v77, s16
	;; [unrolled: 1-line block ×3, first 2 shown]
	v_dual_lshlrev_b32 v217, 2, v189 :: v_dual_lshlrev_b32 v218, 2, v180
	v_add_nc_u32_e32 v219, 0x800, v83
	v_add_nc_u32_e32 v220, 0x1000, v83
	;; [unrolled: 1-line block ×8, first 2 shown]
	v_mul_i32_i24_e32 v112, s15, v63
	v_add_nc_u32_e32 v114, s5, v110
	s_mov_b32 s11, 0
	s_add_nc_u64 s[0:1], s[0:1], s[12:13]
	s_mov_b32 s10, s11
.LBB135_5:                              ; =>This Loop Header: Depth=1
                                        ;     Child Loop BB135_6 Depth 2
                                        ;     Child Loop BB135_8 Depth 2
	s_delay_alu instid0(SALU_CYCLE_1) | instskip(SKIP_4) | instid1(VALU_DEP_1)
	s_mul_u64 s[12:13], s[10:11], 0xd2
	s_lshl_b32 s5, s10, 3
	s_add_nc_u64 s[12:13], s[0:1], s[12:13]
	s_mov_b32 s16, 0
	v_mad_nc_u64_u32 v[0:1], 0xd2, v62, s[12:13]
	v_mad_nc_u64_u32 v[2:3], 0xd2, v112, v[0:1]
	;; [unrolled: 1-line block ×12, first 2 shown]
	v_add_nc_u64_e32 v[20:21], v[2:3], v[60:61]
	v_add_nc_u64_e32 v[22:23], v[2:3], v[64:65]
	;; [unrolled: 1-line block ×9, first 2 shown]
	global_load_b32 v2, v[20:21], off
	s_wait_xcnt 0x0
	v_add_nc_u64_e32 v[20:21], v[12:13], v[64:65]
	v_add_nc_u64_e32 v[116:117], v[10:11], v[60:61]
	;; [unrolled: 1-line block ×3, first 2 shown]
	s_clause 0x1
	global_load_b32 v4, v[22:23], off offset:128
	global_load_b32 v3, v[24:25], off
	s_wait_xcnt 0x1
	v_add_nc_u64_e32 v[22:23], v[14:15], v[60:61]
	s_wait_xcnt 0x0
	v_add_nc_u64_e32 v[24:25], v[14:15], v[64:65]
	s_clause 0x1
	global_load_b32 v6, v[26:27], off offset:128
	global_load_b32 v5, v[28:29], off
	s_wait_xcnt 0x1
	v_add_nc_u64_e32 v[26:27], v[16:17], v[60:61]
	s_wait_xcnt 0x0
	v_add_nc_u64_e32 v[28:29], v[16:17], v[64:65]
	s_clause 0x1
	global_load_b32 v8, v[30:31], off offset:128
	global_load_b32 v7, v[32:33], off
	s_wait_xcnt 0x1
	v_add_nc_u64_e32 v[30:31], v[18:19], v[60:61]
	s_clause 0x5
	global_load_b32 v10, v[34:35], off offset:128
	global_load_b32 v9, v[116:117], off
	global_load_b32 v12, v[118:119], off offset:128
	global_load_b32 v11, v[120:121], off
	;; [unrolled: 2-line block ×3, first 2 shown]
	s_wait_xcnt 0x1
	v_add_nc_u64_e32 v[20:21], v[18:19], v[64:65]
	s_clause 0x4
	global_load_b32 v18, v[24:25], off offset:128
	global_load_b32 v16, v[26:27], off
	global_load_b32 v17, v[28:29], off offset:128
	global_load_b32 v15, v[30:31], off
	global_load_b32 v19, v[20:21], off offset:128
	s_wait_xcnt 0x3
	v_add_nc_u32_e32 v26, s5, v189
	v_add_nc_u32_e32 v227, s5, v97
	v_mad_nc_u64_u32 v[22:23], 0xd2, v100, s[12:13]
	v_mad_nc_u64_u32 v[24:25], 0xd2, v102, s[12:13]
	s_wait_xcnt 0x0
	v_mad_nc_u64_u32 v[20:21], 0xd2, v96, s[12:13]
	v_dual_add_nc_u32 v28, v26, v101 :: v_dual_add_nc_u32 v34, v26, v107
	v_dual_add_nc_u32 v30, v26, v103 :: v_dual_add_nc_u32 v32, v26, v105
	;; [unrolled: 1-line block ×4, first 2 shown]
	v_mad_nc_u64_u32 v[26:27], v227, 36, s[2:3]
	v_mad_nc_i64_i32 v[28:29], v28, 36, v[90:91]
	v_mad_nc_i64_i32 v[30:31], v30, 36, v[90:91]
	;; [unrolled: 1-line block ×3, first 2 shown]
	v_add_nc_u64_e32 v[22:23], v[22:23], v[68:69]
	v_mad_nc_i64_i32 v[34:35], v34, 36, v[90:91]
	v_add_nc_u64_e32 v[24:25], v[24:25], v[68:69]
	v_mad_nc_i64_i32 v[116:117], v116, 36, v[90:91]
	v_mad_nc_i64_i32 v[118:119], v118, 36, v[90:91]
	v_mad_nc_i64_i32 v[120:121], v120, 36, v[90:91]
	v_mad_nc_i64_i32 v[122:123], v122, 36, v[90:91]
	global_load_b32 v136, v[26:27], off
	s_clause 0x2
	global_load_u16 v137, v[20:21], off offset:208
	global_load_b32 v138, v[22:23], off offset:192
	global_load_b32 v139, v[24:25], off offset:192
	s_clause 0x7
	global_load_b32 v140, v[28:29], off offset:4
	global_load_b32 v141, v[30:31], off offset:4
	;; [unrolled: 1-line block ×8, first 2 shown]
	s_wait_xcnt 0x9
	v_add_nc_u64_e32 v[22:23], v[124:125], v[64:65]
	v_mad_nc_u64_u32 v[128:129], 0xd2, v104, v[0:1]
	v_mad_nc_u64_u32 v[130:131], 0xd2, v106, v[0:1]
	;; [unrolled: 1-line block ×5, first 2 shown]
	v_add_nc_u64_e32 v[20:21], v[124:125], v[60:61]
	global_load_b32 v22, v[22:23], off offset:128
	s_wait_xcnt 0x9
	v_add_nc_u64_e32 v[24:25], v[126:127], v[60:61]
	v_add_nc_u64_e32 v[26:27], v[126:127], v[64:65]
	s_mov_b32 s12, -1
	s_wait_xcnt 0x8
	v_add_nc_u64_e32 v[28:29], v[128:129], v[60:61]
	s_wait_xcnt 0x7
	v_add_nc_u64_e32 v[30:31], v[128:129], v[64:65]
	;; [unrolled: 2-line block ×8, first 2 shown]
	v_add_nc_u64_e32 v[124:125], v[0:1], v[60:61]
	v_add_nc_u64_e32 v[0:1], v[0:1], v[64:65]
	s_clause 0xc
	global_load_b32 v23, v[20:21], off
	global_load_b32 v126, v[24:25], off
	global_load_b32 v127, v[26:27], off offset:128
	global_load_b32 v128, v[28:29], off
	global_load_b32 v129, v[30:31], off offset:128
	;; [unrolled: 2-line block ×6, first 2 shown]
	s_wait_loadcnt 0x2b
	s_wait_xcnt 0x0
	v_and_b32_e32 v0, 0xf0f0f0f, v2
	s_wait_loadcnt 0x2a
	v_dual_lshrrev_b32 v1, 4, v2 :: v_dual_ashrrev_i32 v2, v81, v4
	s_wait_loadcnt 0x29
	v_and_b32_e32 v4, 0xf0f0f0f, v3
	s_wait_loadcnt 0x28
	v_dual_lshrrev_b32 v3, 4, v3 :: v_dual_ashrrev_i32 v6, v81, v6
	s_wait_loadcnt 0x27
	;; [unrolled: 4-line block ×8, first 2 shown]
	v_and_b32_e32 v28, 0xf0f0f0f, v15
	v_dual_lshrrev_b32 v15, 4, v15 :: v_dual_lshlrev_b32 v29, 4, v2
	v_and_b32_e32 v1, 0xf0f0f0f, v1
	s_wait_loadcnt 0x1a
	v_dual_ashrrev_i32 v19, v81, v19 :: v_dual_lshlrev_b32 v30, 4, v6
	v_and_b32_e32 v3, 0xf0f0f0f, v3
	v_and_b32_e32 v5, 0xf0f0f0f, v5
	v_dual_lshlrev_b32 v31, 4, v8 :: v_dual_lshlrev_b32 v32, 4, v10
	v_and_b32_e32 v7, 0xf0f0f0f, v7
	v_and_b32_e32 v9, 0xf0f0f0f, v9
	v_dual_lshlrev_b32 v33, 4, v12 :: v_dual_lshlrev_b32 v34, 4, v14
	;; [unrolled: 3-line block ×3, first 2 shown]
	v_and_or_b32 v0, 0x30303030, v29, v0
	v_and_or_b32 v1, 0x30303030, v2, v1
	v_and_b32_e32 v16, 0xf0f0f0f, v16
	v_lshlrev_b32_e32 v117, 4, v19
	v_and_or_b32 v2, 0x30303030, v30, v4
	v_and_or_b32 v3, 0x30303030, v6, v3
	;; [unrolled: 1-line block ×13, first 2 shown]
	v_lshrrev_b32_e32 v18, 16, v0
	v_lshlrev_b16 v20, 8, v0
	v_dual_lshrrev_b32 v21, 16, v1 :: v_dual_lshrrev_b32 v25, 16, v2
	v_lshlrev_b16 v24, 8, v1
	v_and_or_b32 v16, 0x30303030, v17, v16
	v_and_or_b32 v17, 0x30303030, v117, v28
	v_lshlrev_b16 v26, 8, v2
	v_dual_lshrrev_b32 v27, 16, v3 :: v_dual_lshrrev_b32 v29, 16, v4
	v_lshlrev_b16 v28, 8, v3
	v_lshlrev_b16 v30, 8, v4
	v_dual_lshrrev_b32 v31, 16, v5 :: v_dual_lshrrev_b32 v33, 16, v6
	v_lshlrev_b16 v32, 8, v5
	;; [unrolled: 3-line block ×6, first 2 shown]
	v_lshlrev_b16 v154, 8, v14
	v_add_nc_u16 v20, 0xe000, v20
	v_lshlrev_b16 v158, 8, v18
	v_add_nc_u16 v24, 0xe000, v24
	;; [unrolled: 2-line block ×15, first 2 shown]
	v_lshlrev_b16 v172, 8, v153
	v_lshrrev_b16 v20, 8, v20
	v_add_nc_u16 v158, 0xe000, v158
	v_lshrrev_b16 v24, 8, v24
	v_add_nc_u16 v159, 0xe000, v159
	;; [unrolled: 2-line block ×10, first 2 shown]
	v_dual_lshrrev_b32 v155, 16, v16 :: v_dual_lshrrev_b32 v157, 16, v17
	v_lshlrev_b16 v156, 8, v16
	v_lshrrev_b16 v122, 8, v122
	v_add_nc_u16 v168, 0xe000, v168
	v_lshrrev_b16 v124, 8, v124
	v_add_nc_u16 v169, 0xe000, v169
	;; [unrolled: 2-line block ×5, first 2 shown]
	v_bitop3_b16 v0, v0, v20, 0x3f00 bitop3:0xec
	v_lshrrev_b16 v20, 8, v158
	v_bitop3_b16 v1, v1, v24, 0x3f00 bitop3:0xec
	v_lshrrev_b16 v24, 8, v159
	;; [unrolled: 2-line block ×10, first 2 shown]
	v_add_nc_u16 v156, 0xe000, v156
	v_lshlrev_b16 v173, 8, v155
	v_bitop3_b16 v10, v10, v122, 0x3f00 bitop3:0xec
	v_lshrrev_b16 v122, 8, v168
	v_bitop3_b16 v11, v11, v124, 0x3f00 bitop3:0xec
	v_lshrrev_b16 v124, 8, v169
	;; [unrolled: 2-line block ×5, first 2 shown]
	v_bitop3_b16 v18, v18, v20, 0x3f00 bitop3:0xec
	v_bitop3_b16 v20, v21, v24, 0x3f00 bitop3:0xec
	;; [unrolled: 1-line block ×10, first 2 shown]
	v_lshrrev_b16 v156, 8, v156
	v_add_nc_u16 v173, 0xe000, v173
	v_add_nc_u16 v0, 0xe000, v0
	;; [unrolled: 1-line block ×3, first 2 shown]
	v_bitop3_b16 v31, v121, v122, 0x3f00 bitop3:0xec
	v_bitop3_b16 v32, v123, v124, 0x3f00 bitop3:0xec
	;; [unrolled: 1-line block ×5, first 2 shown]
	v_add_nc_u16 v18, 0xe000, v18
	v_add_nc_u16 v20, 0xe000, v20
	;; [unrolled: 1-line block ×18, first 2 shown]
	v_bitop3_b16 v16, v16, v156, 0x3f00 bitop3:0xec
	v_lshrrev_b16 v156, 8, v173
	v_add_nc_u16 v10, 0xe000, v10
	v_add_nc_u16 v11, 0xe000, v11
	;; [unrolled: 1-line block ×4, first 2 shown]
	v_and_b32_e32 v0, 0xffff, v0
	v_and_b32_e32 v1, 0xffff, v1
	v_add_nc_u16 v31, 0xe000, v31
	v_add_nc_u16 v32, 0xe000, v32
	;; [unrolled: 1-line block ×5, first 2 shown]
	v_dual_lshlrev_b32 v18, 16, v18 :: v_dual_lshlrev_b32 v20, 16, v20
	v_and_b32_e32 v2, 0xffff, v2
	v_and_b32_e32 v3, 0xffff, v3
	v_dual_lshlrev_b32 v21, 16, v21 :: v_dual_lshlrev_b32 v24, 16, v24
	v_and_b32_e32 v4, 0xffff, v4
	v_and_b32_e32 v5, 0xffff, v5
	;; [unrolled: 3-line block ×4, first 2 shown]
	v_dual_lshlrev_b32 v29, 16, v29 :: v_dual_lshlrev_b32 v30, 16, v30
	v_and_b32_e32 v15, 0xf0f0f0f, v15
	v_bitop3_b16 v116, v155, v156, 0x3f00 bitop3:0xec
	v_and_b32_e32 v10, 0xffff, v10
	v_and_b32_e32 v11, 0xffff, v11
	;; [unrolled: 1-line block ×4, first 2 shown]
	v_dual_lshlrev_b32 v31, 16, v31 :: v_dual_lshlrev_b32 v32, 16, v32
	v_dual_lshlrev_b32 v33, 16, v33 :: v_dual_lshlrev_b32 v34, 16, v34
	v_dual_lshlrev_b32 v35, 16, v35 :: v_dual_bitop2_b32 v0, v0, v18 bitop3:0x54
	v_or_b32_e32 v1, v1, v20
	v_or_b32_e32 v2, v2, v21
	;; [unrolled: 1-line block ×9, first 2 shown]
	v_add_nc_u16 v16, 0xe000, v16
	v_or_b32_e32 v10, v10, v31
	v_or_b32_e32 v11, v11, v32
	;; [unrolled: 1-line block ×4, first 2 shown]
	ds_store_2addr_b32 v83, v0, v1 offset1:16
	ds_store_2addr_b32 v219, v2, v3 offset0:8 offset1:24
	ds_store_2addr_b32 v220, v4, v5 offset0:16 offset1:32
	;; [unrolled: 1-line block ×5, first 2 shown]
	ds_store_2addr_b32 v87, v12, v13 offset1:16
	v_add_nc_u16 v1, 0xe000, v116
	v_and_or_b32 v3, 0x30303030, v19, v15
	v_and_b32_e32 v2, 0xffff, v16
	v_lshlrev_b16 v0, 8, v17
	v_lshlrev_b16 v4, 8, v157
	s_delay_alu instid0(VALU_DEP_4)
	v_dual_lshlrev_b32 v1, 16, v1 :: v_dual_lshrrev_b32 v6, 16, v3
	s_wait_loadcnt 0xd
	v_ashrrev_i32_e32 v8, v81, v22
	v_add_nc_u16 v0, 0xe000, v0
	v_add_nc_u16 v4, 0xe000, v4
	v_or_b32_e32 v1, v2, v1
	v_lshlrev_b16 v2, 8, v3
	v_lshlrev_b16 v7, 8, v6
	v_lshrrev_b16 v0, 8, v0
	v_lshrrev_b16 v4, 8, v4
	s_wait_loadcnt 0xc
	v_and_b32_e32 v9, 0xf0f0f0f, v23
	v_add_nc_u16 v2, 0xe000, v2
	v_add_nc_u16 v7, 0xe000, v7
	v_lshlrev_b32_e32 v10, 4, v8
	v_bitop3_b16 v0, v17, v0, 0x3f00 bitop3:0xec
	v_bitop3_b16 v4, v157, v4, 0x3f00 bitop3:0xec
	v_lshrrev_b16 v2, 8, v2
	v_lshrrev_b16 v7, 8, v7
	v_and_or_b32 v9, 0x30303030, v10, v9
	v_add_nc_u16 v14, 0xe000, v14
	v_add_nc_u16 v0, 0xe000, v0
	v_bitop3_b16 v2, v3, v2, 0x3f00 bitop3:0xec
	v_bitop3_b16 v3, v6, v7, 0x3f00 bitop3:0xec
	v_add_nc_u16 v4, 0xe000, v4
	v_lshlrev_b16 v6, 8, v9
	v_lshrrev_b32_e32 v7, 16, v9
	v_add_nc_u16 v2, 0xe000, v2
	v_add_nc_u16 v3, 0xe000, v3
	v_lshrrev_b32_e32 v10, 4, v23
	v_and_b32_e32 v14, 0xffff, v14
	v_and_b32_e32 v0, 0xffff, v0
	v_lshlrev_b32_e32 v4, 16, v4
	v_add_nc_u16 v6, 0xe000, v6
	v_and_b32_e32 v2, 0xffff, v2
	v_lshlrev_b32_e32 v3, 16, v3
	v_lshlrev_b16 v11, 8, v7
	v_and_b32_e32 v10, 0xf0f0f0f, v10
	v_or_b32_e32 v5, v14, v35
	v_lshrrev_b16 v6, 8, v6
	v_or_b32_e32 v0, v0, v4
	v_or_b32_e32 v2, v2, v3
	v_add_nc_u16 v3, 0xe000, v11
	v_and_or_b32 v4, 0x30303030, v8, v10
	v_bitop3_b16 v6, v9, v6, 0x3f00 bitop3:0xec
	ds_store_2addr_b32 v224, v5, v1 offset0:8 offset1:24
	ds_store_2addr_b32 v225, v0, v2 offset0:16 offset1:32
	v_lshrrev_b16 v0, 8, v3
	v_lshlrev_b16 v1, 8, v4
	s_wait_loadcnt 0xa
	v_dual_ashrrev_i32 v3, v81, v127 :: v_dual_lshrrev_b32 v5, 16, v4
	v_add_nc_u16 v2, 0xe000, v6
	v_bitop3_b16 v0, v7, v0, 0x3f00 bitop3:0xec
	v_add_nc_u16 v1, 0xe000, v1
	v_and_b32_e32 v6, 0xf0f0f0f, v126
	v_lshlrev_b32_e32 v7, 4, v3
	v_lshlrev_b16 v8, 8, v5
	v_add_nc_u16 v0, 0xe000, v0
	v_lshrrev_b16 v1, 8, v1
	v_and_b32_e32 v2, 0xffff, v2
	v_and_or_b32 v6, 0x30303030, v7, v6
	v_add_nc_u16 v7, 0xe000, v8
	v_dual_lshrrev_b32 v8, 4, v126 :: v_dual_lshlrev_b32 v0, 16, v0
	v_bitop3_b16 v1, v4, v1, 0x3f00 bitop3:0xec
	s_delay_alu instid0(VALU_DEP_4) | instskip(NEXT) | instid1(VALU_DEP_4)
	v_lshlrev_b16 v4, 8, v6
	v_lshrrev_b16 v7, 8, v7
	s_delay_alu instid0(VALU_DEP_4)
	v_and_b32_e32 v8, 0xf0f0f0f, v8
	v_or_b32_e32 v0, v2, v0
	v_add_nc_u16 v1, 0xe000, v1
	v_add_nc_u16 v2, 0xe000, v4
	v_bitop3_b16 v4, v5, v7, 0x3f00 bitop3:0xec
	v_and_or_b32 v3, 0x30303030, v3, v8
	v_lshrrev_b32_e32 v5, 16, v6
	v_and_b32_e32 v1, 0xffff, v1
	v_lshrrev_b16 v2, 8, v2
	v_add_nc_u16 v4, 0xe000, v4
	v_lshrrev_b32_e32 v7, 16, v3
	v_lshlrev_b16 v8, 8, v5
	v_lshlrev_b16 v9, 8, v3
	v_bitop3_b16 v2, v6, v2, 0x3f00 bitop3:0xec
	v_lshlrev_b32_e32 v4, 16, v4
	v_lshlrev_b16 v6, 8, v7
	v_add_nc_u16 v8, 0xe000, v8
	v_add_nc_u16 v9, 0xe000, v9
	;; [unrolled: 1-line block ×3, first 2 shown]
	v_or_b32_e32 v1, v1, v4
	v_add_nc_u16 v4, 0xe000, v6
	v_lshrrev_b16 v6, 8, v8
	v_lshrrev_b16 v8, 8, v9
	s_wait_loadcnt 0x8
	v_ashrrev_i32_e32 v9, v81, v129
	v_and_b32_e32 v2, 0xffff, v2
	v_lshrrev_b16 v4, 8, v4
	v_bitop3_b16 v5, v5, v6, 0x3f00 bitop3:0xec
	v_bitop3_b16 v3, v3, v8, 0x3f00 bitop3:0xec
	v_and_b32_e32 v6, 0xf0f0f0f, v128
	v_lshlrev_b32_e32 v8, 4, v9
	v_bitop3_b16 v4, v7, v4, 0x3f00 bitop3:0xec
	v_add_nc_u16 v5, 0xe000, v5
	v_add_nc_u16 v3, 0xe000, v3
	s_delay_alu instid0(VALU_DEP_4) | instskip(NEXT) | instid1(VALU_DEP_4)
	v_and_or_b32 v6, 0x30303030, v8, v6
	v_add_nc_u16 v4, 0xe000, v4
	s_delay_alu instid0(VALU_DEP_4)
	v_dual_lshlrev_b32 v5, 16, v5 :: v_dual_lshrrev_b32 v7, 4, v128
	ds_store_2addr_b32 v226, v0, v1 offset0:24 offset1:40
	v_lshlrev_b16 v8, 8, v6
	v_dual_lshlrev_b32 v4, 16, v4 :: v_dual_bitop2_b32 v2, v2, v5 bitop3:0x54
	v_lshrrev_b32_e32 v5, 16, v6
	v_and_b32_e32 v3, 0xffff, v3
	v_and_b32_e32 v7, 0xf0f0f0f, v7
	v_add_nc_u16 v8, 0xe000, v8
	s_delay_alu instid0(VALU_DEP_4) | instskip(NEXT) | instid1(VALU_DEP_3)
	v_lshlrev_b16 v0, 8, v5
	v_and_or_b32 v7, 0x30303030, v9, v7
	v_or_b32_e32 v3, v3, v4
	s_delay_alu instid0(VALU_DEP_4) | instskip(NEXT) | instid1(VALU_DEP_4)
	v_lshrrev_b16 v4, 8, v8
	v_add_nc_u16 v0, 0xe000, v0
	s_wait_loadcnt 0x7
	v_and_b32_e32 v8, 0xf0f0f0f, v130
	v_lshrrev_b32_e32 v1, 16, v7
	ds_store_2addr_b32 v207, v2, v3 offset1:16
	v_bitop3_b16 v4, v6, v4, 0x3f00 bitop3:0xec
	v_lshrrev_b16 v0, 8, v0
	v_lshlrev_b16 v2, 8, v7
	v_lshlrev_b16 v3, 8, v1
	s_delay_alu instid0(VALU_DEP_4) | instskip(NEXT) | instid1(VALU_DEP_4)
	v_add_nc_u16 v4, 0xe000, v4
	v_bitop3_b16 v0, v5, v0, 0x3f00 bitop3:0xec
	s_delay_alu instid0(VALU_DEP_4) | instskip(NEXT) | instid1(VALU_DEP_4)
	v_add_nc_u16 v2, 0xe000, v2
	v_add_nc_u16 v3, 0xe000, v3
	s_delay_alu instid0(VALU_DEP_4) | instskip(NEXT) | instid1(VALU_DEP_4)
	v_and_b32_e32 v4, 0xffff, v4
	v_add_nc_u16 v0, 0xe000, v0
	s_wait_loadcnt 0x6
	v_ashrrev_i32_e32 v6, v81, v131
	v_lshrrev_b16 v2, 8, v2
	v_lshrrev_b16 v3, 8, v3
	s_delay_alu instid0(VALU_DEP_3) | instskip(NEXT) | instid1(VALU_DEP_3)
	v_dual_lshlrev_b32 v0, 16, v0 :: v_dual_lshlrev_b32 v9, 4, v6
	v_bitop3_b16 v2, v7, v2, 0x3f00 bitop3:0xec
	s_delay_alu instid0(VALU_DEP_3) | instskip(NEXT) | instid1(VALU_DEP_3)
	v_bitop3_b16 v1, v1, v3, 0x3f00 bitop3:0xec
	v_or_b32_e32 v0, v4, v0
	s_delay_alu instid0(VALU_DEP_4) | instskip(NEXT) | instid1(VALU_DEP_4)
	v_and_or_b32 v5, 0x30303030, v9, v8
	v_add_nc_u16 v2, 0xe000, v2
	s_delay_alu instid0(VALU_DEP_4)
	v_add_nc_u16 v1, 0xe000, v1
	v_lshrrev_b32_e32 v7, 4, v130
	s_wait_loadcnt 0x5
	v_and_b32_e32 v9, 0xf0f0f0f, v132
	v_lshrrev_b32_e32 v8, 16, v5
	v_lshlrev_b16 v3, 8, v5
	v_and_b32_e32 v2, 0xffff, v2
	v_lshlrev_b32_e32 v1, 16, v1
	v_and_b32_e32 v7, 0xf0f0f0f, v7
	v_lshlrev_b16 v4, 8, v8
	v_add_nc_u16 v3, 0xe000, v3
	s_delay_alu instid0(VALU_DEP_3) | instskip(NEXT) | instid1(VALU_DEP_3)
	v_and_or_b32 v6, 0x30303030, v6, v7
	v_add_nc_u16 v4, 0xe000, v4
	s_delay_alu instid0(VALU_DEP_3) | instskip(SKIP_1) | instid1(VALU_DEP_4)
	v_lshrrev_b16 v3, 8, v3
	v_or_b32_e32 v1, v2, v1
	v_lshlrev_b16 v7, 8, v6
	s_delay_alu instid0(VALU_DEP_4) | instskip(NEXT) | instid1(VALU_DEP_4)
	v_lshrrev_b16 v4, 8, v4
	v_bitop3_b16 v2, v5, v3, 0x3f00 bitop3:0xec
	s_wait_loadcnt 0x4
	v_dual_ashrrev_i32 v3, v81, v133 :: v_dual_lshrrev_b32 v5, 16, v6
	v_add_nc_u16 v7, 0xe000, v7
	v_bitop3_b16 v4, v8, v4, 0x3f00 bitop3:0xec
	v_add_nc_u16 v2, 0xe000, v2
	s_delay_alu instid0(VALU_DEP_4) | instskip(NEXT) | instid1(VALU_DEP_4)
	v_lshlrev_b16 v11, 8, v5
	v_lshrrev_b16 v7, 8, v7
	s_delay_alu instid0(VALU_DEP_4)
	v_add_nc_u16 v4, 0xe000, v4
	v_lshlrev_b32_e32 v10, 4, v3
	v_and_b32_e32 v2, 0xffff, v2
	v_add_nc_u16 v8, 0xe000, v11
	v_bitop3_b16 v6, v6, v7, 0x3f00 bitop3:0xec
	v_lshlrev_b32_e32 v4, 16, v4
	v_and_or_b32 v9, 0x30303030, v10, v9
	s_delay_alu instid0(VALU_DEP_4) | instskip(NEXT) | instid1(VALU_DEP_4)
	v_lshrrev_b16 v8, 8, v8
	v_add_nc_u16 v6, 0xe000, v6
	s_delay_alu instid0(VALU_DEP_3) | instskip(SKIP_1) | instid1(VALU_DEP_4)
	v_dual_lshrrev_b32 v10, 16, v9 :: v_dual_bitop2_b32 v2, v2, v4 bitop3:0x54
	v_lshlrev_b16 v7, 8, v9
	v_bitop3_b16 v5, v5, v8, 0x3f00 bitop3:0xec
	s_delay_alu instid0(VALU_DEP_4) | instskip(NEXT) | instid1(VALU_DEP_4)
	v_and_b32_e32 v6, 0xffff, v6
	v_lshlrev_b16 v11, 8, v10
	s_delay_alu instid0(VALU_DEP_4) | instskip(NEXT) | instid1(VALU_DEP_4)
	v_add_nc_u16 v7, 0xe000, v7
	v_add_nc_u16 v5, 0xe000, v5
	s_delay_alu instid0(VALU_DEP_3) | instskip(SKIP_1) | instid1(VALU_DEP_4)
	v_add_nc_u16 v8, 0xe000, v11
	v_lshrrev_b32_e32 v11, 4, v132
	v_lshrrev_b16 v7, 8, v7
	s_delay_alu instid0(VALU_DEP_4) | instskip(NEXT) | instid1(VALU_DEP_4)
	v_lshlrev_b32_e32 v5, 16, v5
	v_lshrrev_b16 v8, 8, v8
	s_delay_alu instid0(VALU_DEP_4) | instskip(NEXT) | instid1(VALU_DEP_4)
	v_and_b32_e32 v11, 0xf0f0f0f, v11
	v_bitop3_b16 v4, v9, v7, 0x3f00 bitop3:0xec
	s_wait_loadcnt 0x2
	v_dual_ashrrev_i32 v6, v81, v135 :: v_dual_bitop2_b32 v5, v6, v5 bitop3:0x54
	v_bitop3_b16 v7, v10, v8, 0x3f00 bitop3:0xec
	v_and_or_b32 v3, 0x30303030, v3, v11
	v_add_nc_u16 v4, 0xe000, v4
	v_and_b32_e32 v9, 0xf0f0f0f, v134
	v_lshlrev_b32_e32 v10, 4, v6
	v_add_nc_u16 v7, 0xe000, v7
	v_lshrrev_b32_e32 v8, 16, v3
	v_lshlrev_b16 v11, 8, v3
	v_and_b32_e32 v4, 0xffff, v4
	v_and_or_b32 v9, 0x30303030, v10, v9
	v_lshlrev_b32_e32 v7, 16, v7
	v_lshlrev_b16 v12, 8, v8
	v_add_nc_u16 v10, 0xe000, v11
	s_delay_alu instid0(VALU_DEP_4) | instskip(NEXT) | instid1(VALU_DEP_4)
	v_dual_lshrrev_b32 v11, 4, v134 :: v_dual_lshrrev_b32 v13, 16, v9
	v_or_b32_e32 v4, v4, v7
	s_delay_alu instid0(VALU_DEP_4) | instskip(SKIP_3) | instid1(VALU_DEP_4)
	v_add_nc_u16 v12, 0xe000, v12
	v_lshlrev_b16 v7, 8, v9
	v_lshrrev_b16 v10, 8, v10
	v_and_b32_e32 v11, 0xf0f0f0f, v11
	v_lshrrev_b16 v12, 8, v12
	s_delay_alu instid0(VALU_DEP_4) | instskip(NEXT) | instid1(VALU_DEP_4)
	v_add_nc_u16 v7, 0xe000, v7
	v_bitop3_b16 v3, v3, v10, 0x3f00 bitop3:0xec
	s_delay_alu instid0(VALU_DEP_4)
	v_and_or_b32 v6, 0x30303030, v6, v11
	v_lshlrev_b16 v10, 8, v13
	v_bitop3_b16 v8, v8, v12, 0x3f00 bitop3:0xec
	v_lshrrev_b16 v7, 8, v7
	v_add_nc_u16 v3, 0xe000, v3
	v_lshlrev_b16 v11, 8, v6
	v_add_nc_u16 v10, 0xe000, v10
	v_add_nc_u16 v8, 0xe000, v8
	v_bitop3_b16 v7, v9, v7, 0x3f00 bitop3:0xec
	v_and_b32_e32 v3, 0xffff, v3
	v_add_nc_u16 v9, 0xe000, v11
	v_lshrrev_b16 v10, 8, v10
	s_wait_loadcnt 0x0
	v_dual_lshlrev_b32 v8, 16, v8 :: v_dual_ashrrev_i32 v11, v81, v149
	v_lshrrev_b32_e32 v12, 4, v148
	v_lshrrev_b16 v9, 8, v9
	v_bitop3_b16 v10, v13, v10, 0x3f00 bitop3:0xec
	v_and_b32_e32 v13, 0xf0f0f0f, v148
	v_lshlrev_b32_e32 v14, 4, v11
	v_and_b32_e32 v12, 0xf0f0f0f, v12
	v_bitop3_b16 v9, v6, v9, 0x3f00 bitop3:0xec
	v_add_nc_u16 v10, 0xe000, v10
	v_add_nc_u16 v7, 0xe000, v7
	v_and_or_b32 v13, 0x30303030, v14, v13
	v_and_or_b32 v11, 0x30303030, v11, v12
	v_lshrrev_b32_e32 v6, 16, v6
	v_lshlrev_b32_e32 v10, 16, v10
	v_add_nc_u16 v9, 0xe000, v9
	s_delay_alu instid0(VALU_DEP_4) | instskip(NEXT) | instid1(VALU_DEP_4)
	v_dual_lshrrev_b32 v12, 16, v13 :: v_dual_lshrrev_b32 v14, 16, v11
	v_lshlrev_b16 v15, 8, v6
	v_lshlrev_b16 v16, 8, v13
	;; [unrolled: 1-line block ×3, first 2 shown]
	s_delay_alu instid0(VALU_DEP_4)
	v_lshlrev_b16 v17, 8, v12
	v_lshlrev_b16 v19, 8, v14
	v_add_nc_u16 v15, 0xe000, v15
	v_add_nc_u16 v16, 0xe000, v16
	;; [unrolled: 1-line block ×5, first 2 shown]
	v_lshrrev_b16 v15, 8, v15
	v_lshrrev_b16 v16, 8, v16
	;; [unrolled: 1-line block ×5, first 2 shown]
	v_bitop3_b16 v6, v6, v15, 0x3f00 bitop3:0xec
	v_bitop3_b16 v13, v13, v16, 0x3f00 bitop3:0xec
	;; [unrolled: 1-line block ×5, first 2 shown]
	v_add_nc_u16 v6, 0xe000, v6
	v_add_nc_u16 v13, 0xe000, v13
	v_add_nc_u16 v11, 0xe000, v11
	v_add_nc_u16 v12, 0xe000, v12
	v_add_nc_u16 v14, 0xe000, v14
	v_and_b32_e32 v7, 0xffff, v7
	v_and_b32_e32 v9, 0xffff, v9
	s_delay_alu instid0(VALU_DEP_4)
	v_dual_lshlrev_b32 v6, 16, v6 :: v_dual_lshlrev_b32 v12, 16, v12
	v_and_b32_e32 v13, 0xffff, v13
	v_and_b32_e32 v11, 0xffff, v11
	v_dual_lshlrev_b32 v14, 16, v14 :: v_dual_bitop2_b32 v3, v3, v8 bitop3:0x54
	v_or_b32_e32 v7, v7, v10
	v_or_b32_e32 v6, v9, v6
	;; [unrolled: 1-line block ×3, first 2 shown]
	s_delay_alu instid0(VALU_DEP_4)
	v_or_b32_e32 v9, v11, v14
	ds_store_2addr_b32 v208, v0, v1 offset1:16
	ds_store_2addr_b32 v209, v2, v5 offset1:16
	;; [unrolled: 1-line block ×5, first 2 shown]
	v_cvt_f32_f16_e64 v0, v137
	v_cvt_f32_f16_e64 v1, v136
	ds_store_b32 v93, v138
	ds_store_b32 v95, v139
	;; [unrolled: 1-line block ×12, first 2 shown]
	s_wait_dscnt 0x0
	s_barrier_signal -1
	s_barrier_wait -1
	ds_load_b32 v116, v190
	ds_load_b32 v118, v191 offset:128
	ds_load_b32 v120, v192 offset:256
	;; [unrolled: 1-line block ×3, first 2 shown]
	s_wait_dscnt 0x2
	v_dual_mov_b32 v117, v116 :: v_dual_mov_b32 v119, v118
	s_wait_dscnt 0x0
	v_dual_mov_b32 v121, v120 :: v_dual_mov_b32 v123, v122
.LBB135_6:                              ;   Parent Loop BB135_5 Depth=1
                                        ; =>  This Inner Loop Header: Depth=2
	s_lshl_b32 s13, s16, 1
	s_lshr_b32 s17, s16, 1
	v_or_b32_e32 v0, s13, v85
	s_lshl_b32 s16, s16, 3
	s_add_co_i32 s17, s17, 0xa200
	v_add_nc_u32_e32 v148, s16, v214
	v_add3_u32 v151, s17, v217, v204
	v_dual_lshlrev_b32 v12, 2, v0 :: v_dual_lshrrev_b32 v21, 1, v0
	v_add3_u32 v154, s17, v218, v201
	s_set_vgpr_msb 64                       ;  msbs: dst=1 src0=0 src1=0 src2=0
	v_add3_u32 v17 /*v273*/, s17, v205, v202
	v_add3_u32 v18 /*v274*/, s17, v206, v203
	s_set_vgpr_msb 0                        ;  msbs: dst=0 src0=0 src1=0 src2=0
	ds_load_b128 v[4:7], v12 offset:33280
	ds_load_b128 v[0:3], v12 offset:33296
	ds_load_b128 v[8:11], v12 offset:33312
	ds_load_b128 v[12:15], v12 offset:33328
	s_and_b32 vcc_lo, exec_lo, s12
	s_mov_b32 s12, 0
	v_add_nc_u32_e32 v32, s16, v213
	ds_load_2addr_b32 v[124:125], v32 offset0:6 offset1:7
	ds_load_2addr_b32 v[138:139], v32 offset0:4 offset1:5
	;; [unrolled: 1-line block ×3, first 2 shown]
	ds_load_2addr_b32 v[136:137], v32 offset1:1
	ds_load_2addr_b32 v[16:17], v32 offset0:13 offset1:14
	ds_load_2addr_b32 v[130:131], v32 offset0:11 offset1:12
	;; [unrolled: 1-line block ×7, first 2 shown]
	ds_load_2addr_b32 v[140:141], v148 offset1:1
	s_wait_dscnt 0xf
	v_bfe_i32 v18, v6, 8, 8
	s_wait_dscnt 0xe
	v_ashrrev_i32_e32 v31, 24, v0
	s_wait_dscnt 0xd
	v_bfe_i32 v20, v10, 8, 8
	v_perm_b32 v230, v8, v8, 0xc0c0001
	v_perm_b32 v231, v8, v8, 0xc0c0302
	v_perm_b32 v232, v9, v9, 0xc0c0001
	v_bfe_i32 v19, v9, 16, 8
	v_perm_b32 v233, v10, v9, 0xc0c0403
	v_bfe_i32 v27, v10, 0, 8
	v_perm_b32 v10, v10, v10, 0xc0c0302
	v_perm_b32 v237, v5, v5, 0xc0c0001
	s_set_vgpr_msb 64                       ;  msbs: dst=1 src0=0 src1=0 src2=0
	v_perm_b32 v1 /*v257*/, v5, v5, 0xc0c0302
	v_perm_b32 v14 /*v270*/, v6, v6, 0xc030200
	s_wait_dscnt 0xc
	s_set_vgpr_msb 0                        ;  msbs: dst=0 src0=0 src1=0 src2=0
	v_bfe_i32 v24, v12, 8, 8
	v_dual_ashrrev_i32 v157, 24, v12 :: v_dual_ashrrev_i32 v166, 24, v13
	v_bfe_i32 v158, v12, 16, 8
	v_perm_b32 v172, v14, v13, 0x7060403
	v_bfe_i32 v25, v12, 0, 8
	v_bfe_i32 v156, v13, 8, 8
	;; [unrolled: 1-line block ×5, first 2 shown]
	s_wait_dscnt 0x7
	v_perm_b32 v162, v12, v17, 0x6040501
	s_wait_dscnt 0x6
	v_perm_b32 v159, v131, v14, 0x6040501
	;; [unrolled: 2-line block ×3, first 2 shown]
	s_wait_dscnt 0x4
	v_bfe_i32 v32, v179, 8, 8
	v_bfe_i32 v33, v178, 16, 8
	v_perm_b32 v163, v16, v12, 0x6040503
	v_dot4_i32_iu8 v159, v162, v159, 0 neg_lo:[1,1,0]
	v_perm_b32 v162, v13, v131, 0x6040503
	v_mul_i32_i24_e32 v32, v32, v20
	s_set_vgpr_msb 64                       ;  msbs: dst=1 src0=0 src1=0 src2=0
	v_perm_b32 v2 /*v258*/, v17, v16, 0x7060403
	s_set_vgpr_msb 0                        ;  msbs: dst=0 src0=0 src1=0 src2=0
	v_perm_b32 v9, v9, v9, 0xc0c0302
	v_bfe_i32 v35, v0, 16, 8
	v_dot4_i32_iu8 v159, v163, v162, v159 neg_lo:[1,1,0]
	v_dot4_i32_iu8 v32, v34, v230, v32 neg_lo:[1,1,0]
	v_perm_b32 v34, v134, v134, 0xc0c0302
	v_perm_b32 v235, v0, v2, 0x6050401
	v_bfe_i32 v28, v2, 8, 8
	s_set_vgpr_msb 4                        ;  msbs: dst=0 src0=0 src1=1 src2=0
	v_dot4_i32_iu8 v167, v172, v2 /*v258*/, v159 neg_lo:[1,1,0]
	v_bfe_i32 v144, v2, 0, 8
	s_set_vgpr_msb 0                        ;  msbs: dst=0 src0=0 src1=0 src2=0
	v_dot4_i32_iu8 v8, v231, v34, v32 neg_lo:[1,1,0]
	v_perm_b32 v32, v178, v178, 0xc0c0001
	v_perm_b32 v228, v124, v139, 0x7060403
	v_lshrrev_b16 v22, 8, v1
	v_bfe_i32 v29, v0, 8, 8
	s_wait_dscnt 0x2
	v_lshrrev_b16 v155, 8, v143
	v_dot4_i32_iu8 v8, v232, v32, v8 neg_lo:[1,1,0]
	v_perm_b32 v32, v179, v178, 0xc0c0403
	v_bfe_i32 v30, v0, 0, 8
	v_bfe_i32 v22, v22, 0, 8
	;; [unrolled: 1-line block ×3, first 2 shown]
	v_mad_i32_i24 v8, v33, v19, v8
	v_perm_b32 v33, v137, v137, 0xc0c0001
	v_bfe_i32 v145, v3, 16, 8
	v_ashrrev_i32_e32 v150, 24, v3
	v_mul_i32_i24_e32 v22, v155, v22
	v_dot4_i32_iu8 v8, v233, v32, v8 neg_lo:[1,1,0]
	v_perm_b32 v32, v179, v179, 0xc0c0302
	v_bfe_i32 v155, v128, 0, 8
	s_wait_dscnt 0x1
	v_ashrrev_i32_e32 v251, 24, v133
	s_set_vgpr_msb 64                       ;  msbs: dst=1 src0=0 src1=0 src2=0
	v_perm_b32 v3 /*v259*/, v131, v17, 0x6040501
	v_perm_b32 v4 /*v260*/, v16, v131, 0x6040503
	s_set_vgpr_msb 0                        ;  msbs: dst=0 src0=0 src1=0 src2=0
	v_dot4_i32_iu8 v152, v10, v32, v8 neg_lo:[1,1,0]
	v_bfe_i32 v32, v126, 8, 8
	v_perm_b32 v8, v138, v124, 0x6050401
	s_set_vgpr_msb 64                       ;  msbs: dst=1 src0=0 src1=0 src2=0
	v_perm_b32 v32 /*v288*/, v14, v14, 0xc0c0c01
	s_wait_dscnt 0x0
	s_set_vgpr_msb 0                        ;  msbs: dst=0 src0=0 src1=0 src2=0
	v_bfe_i32 v248, v140, 16, 8
	s_set_vgpr_msb 64                       ;  msbs: dst=1 src0=0 src1=0 src2=0
	v_perm_b32 v33 /*v289*/, v15, v15, 0xc0c0001
	s_set_vgpr_msb 0                        ;  msbs: dst=0 src0=0 src1=0 src2=0
	v_mul_i32_i24_e32 v32, v32, v18
	v_dot4_i32_iu8 v8, v8, v235, 0 neg_lo:[1,1,0]
	v_bfe_i32 v245, v140, 0, 8
	v_bfe_i32 v244, v140, 8, 8
	v_lshrrev_b16 v160, 8, v141
	v_dot4_i32_iu8 v32, v136, v4, v32 neg_lo:[1,1,0]
	v_perm_b32 v241, v128, v143, 0x7060403
	s_set_vgpr_msb 64                       ;  msbs: dst=1 src0=0 src1=0 src2=0
	v_bfe_i32 v40 /*v296*/, v132, 16, 8
	s_set_vgpr_msb 0                        ;  msbs: dst=0 src0=0 src1=0 src2=0
	v_bfe_i32 v250, v133, 16, 8
	v_bfe_i32 v246, v132, 8, 8
	v_dot4_i32_iu8 v32, v237, v33, v32 neg_lo:[1,1,0]
	v_perm_b32 v33, v137, v137, 0xc0c0302
	v_bfe_i32 v249, v132, 0, 8
	v_ashrrev_i32_e32 v247, 24, v140
	s_set_vgpr_msb 64                       ;  msbs: dst=1 src0=0 src1=0 src2=0
	v_ashrrev_i32_e32 v39 /*v295*/, 24, v132
	s_set_vgpr_msb 1                        ;  msbs: dst=0 src0=1 src1=0 src2=0
	v_dot4_i32_iu8 v32, v1 /*v257*/, v33, v32 neg_lo:[1,1,0]
	s_set_vgpr_msb 0                        ;  msbs: dst=0 src0=0 src1=0 src2=0
	v_perm_b32 v33, v126, v126, 0xc030200
	s_set_vgpr_msb 4                        ;  msbs: dst=0 src0=0 src1=1 src2=0
	s_delay_alu instid0(VALU_DEP_1)
	v_dot4_i32_iu8 v153, v33, v14 /*v270*/, v32 neg_lo:[1,1,0]
	ds_load_u16 v161, v148 offset:48
	ds_load_b96 v[32:34], v148 offset:50
	ds_load_u16 v170, v148 offset:62
	s_wait_dscnt 0x2
	s_set_vgpr_msb 0                        ;  msbs: dst=0 src0=0 src1=0 src2=0
	v_lshrrev_b16 v149, 8, v161
	s_wait_dscnt 0x1
	v_lshrrev_b16 v146, 8, v32
	v_bfe_i32 v164, v32, 0, 8
	v_ashrrev_i32_e32 v163, 24, v32
	v_bfe_i32 v159, v34, 8, 8
	v_bfe_i32 v149, v149, 0, 8
	;; [unrolled: 1-line block ×3, first 2 shown]
	v_mul_i32_i24_e32 v158, v164, v158
	v_bfe_i32 v164, v14, 16, 8
	v_bfe_i32 v168, v34, 0, 8
	v_mul_i32_i24_e32 v24, v149, v24
	v_bfe_i32 v149, v161, 0, 8
	v_mul_i32_i24_e32 v146, v146, v157
	v_ashrrev_i32_e32 v157, 24, v14
	v_bfe_i32 v162, v32, 16, 8
	v_bfe_i32 v169, v33, 16, 8
	v_mul_i32_i24_e32 v25, v149, v25
	v_bfe_i32 v149, v13, 0, 8
	v_bfe_i32 v171, v33, 8, 8
	v_mul_i32_i24_e32 v164, v168, v164
	v_mul_i32_i24_e32 v157, v159, v157
	;; [unrolled: 1-line block ×3, first 2 shown]
	v_ashrrev_i32_e32 v147, 24, v33
	v_mul_i32_i24_e32 v166, v171, v166
	v_mad_i32_i24 v149, v162, v149, v164
	v_mad_i32_i24 v156, v163, v156, v157
	v_ashrrev_i32_e32 v159, 24, v34
	v_mad_i32_i24 v23, v147, v23, v25
	v_perm_b32 v25, v34, v33, 0xc0c0600
	v_add3_u32 v149, v158, v166, v149
	v_add3_u32 v146, v146, v165, v156
	v_mul_i32_i24_e32 v26, v159, v26
	v_perm_b32 v156, v1, v138, 0x6040503
	v_ashrrev_i32_e32 v162, 24, v2
	v_bfe_i32 v163, v2, 16, 8
	v_add3_u32 v24, v149, v146, v24
	v_perm_b32 v146, v15, v13, 0xc0c0402
	v_perm_b32 v2, v2, v1, 0x7060403
	v_bfe_i32 v158, v3, 8, 8
	v_perm_b32 v165, v11, v11, 0xc0c0001
	v_bfe_i32 v159, v3, 0, 8
	v_dot4_i32_iu8 v25, v25, v146, v26 neg_lo:[1,1,0]
	ds_load_2addr_b32 v[146:147], v148 offset0:10 offset1:11
	ds_load_2addr_b32 v[148:149], v148 offset0:8 offset1:9
	v_ashrrev_i32_e32 v26, 24, v142
	v_bfe_i32 v157, v143, 16, 8
	v_add3_u32 v171, v24, v23, v25
	v_perm_b32 v252, v32, v161, 0x400010c
	v_perm_b32 v253, v33, v32, 0x4020301
	;; [unrolled: 1-line block ×3, first 2 shown]
	s_wait_dscnt 0x1
	v_bfe_i32 v23, v146, 8, 8
	s_wait_dscnt 0x0
	v_perm_b32 v25, v148, v148, 0xc0c0001
	v_bfe_i32 v24, v146, 0, 8
	v_perm_b32 v164, v146, v146, 0xc0c0302
	v_perm_b32 v255, v149, v148, 0x6040503
	v_mul_i32_i24_e32 v23, v23, v20
	s_set_vgpr_msb 64                       ;  msbs: dst=1 src0=0 src1=0 src2=0
	v_perm_b32 v0 /*v256*/, v146, v149, 0x7060403
	s_set_vgpr_msb 0                        ;  msbs: dst=0 src0=0 src1=0 src2=0
	s_delay_alu instid0(VALU_DEP_2) | instskip(SKIP_1) | instid1(VALU_DEP_1)
	v_dot4_i32_iu8 v23, v25, v230, v23 neg_lo:[1,1,0]
	v_perm_b32 v25, v148, v148, 0xc0c0302
	v_dot4_i32_iu8 v23, v231, v25, v23 neg_lo:[1,1,0]
	v_perm_b32 v25, v149, v149, 0xc0c0001
	s_delay_alu instid0(VALU_DEP_1) | instskip(SKIP_1) | instid1(VALU_DEP_1)
	v_dot4_i32_iu8 v23, v232, v25, v23 neg_lo:[1,1,0]
	v_perm_b32 v25, v149, v149, 0xc0c0302
	v_dot4_i32_iu8 v9, v9, v25, v23 neg_lo:[1,1,0]
	v_bfe_i32 v25, v142, 0, 8
	v_bfe_i32 v23, v128, 8, 8
	s_delay_alu instid0(VALU_DEP_3)
	v_mad_i32_i24 v9, v24, v27, v9
	v_bfe_i32 v27, v142, 16, 8
	v_bfe_i32 v24, v142, 8, 8
	v_mul_i32_i24_e32 v25, v25, v30
	v_bfe_i32 v30, v1, 0, 8
	v_dot4_i32_iu8 v9, v10, v164, v9 neg_lo:[1,1,0]
	v_mul_i32_i24_e32 v27, v27, v35
	v_perm_b32 v35, v139, v0, 0x6040503
	v_perm_b32 v164, v147, v147, 0xc0c0001
	v_mul_i32_i24_e32 v24, v24, v29
	v_ashrrev_i32_e32 v29, 24, v1
	s_delay_alu instid0(VALU_DEP_4)
	v_dot4_i32_iu8 v8, v156, v35, v8 neg_lo:[1,1,0]
	v_ashrrev_i32_e32 v35, 24, v143
	v_dot4_i32_iu8 v173, v165, v164, v9 neg_lo:[1,1,0]
	v_bfe_i32 v9, v129, 0, 8
	v_ashrrev_i32_e32 v164, 24, v128
	v_dot4_i32_iu8 v229, v2, v228, v8 neg_lo:[1,1,0]
	v_bfe_i32 v8, v129, 8, 8
	v_bfe_i32 v165, v128, 16, 8
	v_mul_i32_i24_e32 v26, v26, v31
	v_bfe_i32 v31, v1, 16, 8
	v_bfe_i32 v156, v143, 0, 8
	v_mul_i32_i24_e32 v8, v8, v158
	v_mul_i32_i24_e32 v163, v165, v163
	v_mul_i32_i24_e32 v162, v164, v162
	v_mul_i32_i24_e32 v9, v9, v159
	v_bfe_i32 v158, v129, 16, 8
	v_mad_i32_i24 v8, v35, v29, v8
	v_mad_i32_i24 v30, v156, v30, v163
	s_delay_alu instid0(VALU_DEP_4) | instskip(NEXT) | instid1(VALU_DEP_4)
	v_mad_i32_i24 v9, v157, v31, v9
	v_mul_i32_i24_e32 v145, v158, v145
	s_delay_alu instid0(VALU_DEP_4) | instskip(SKIP_1) | instid1(VALU_DEP_3)
	v_add3_u32 v8, v22, v162, v8
	v_ashrrev_i32_e32 v158, 24, v129
	v_mad_i32_i24 v22, v155, v144, v145
	s_delay_alu instid0(VALU_DEP_3)
	v_add3_u32 v8, v30, v9, v8
	v_mad_i32_i24 v9, v23, v28, v24
	v_add_nc_u32_e32 v144, s16, v215
	s_set_vgpr_msb 64                       ;  msbs: dst=1 src0=0 src1=0 src2=0
	v_mul_i32_i24_e32 v15 /*v271*/, v158, v150
	s_set_vgpr_msb 0                        ;  msbs: dst=0 src0=0 src1=0 src2=0
	v_add3_u32 v155, v27, v26, v22
	v_add3_u32 v35, v8, v25, v9
	v_perm_b32 v8, v140, v132, 0x6050401
	v_perm_b32 v9, v4, v6, 0x6050401
	s_set_vgpr_msb 64                       ;  msbs: dst=1 src0=0 src1=0 src2=0
	s_delay_alu instid0(VALU_DEP_1) | instskip(SKIP_2) | instid1(VALU_DEP_1)
	v_dot4_i32_iu8 v16 /*v272*/, v8, v9, 0 neg_lo:[1,1,0]
	s_set_vgpr_msb 0                        ;  msbs: dst=0 src0=0 src1=0 src2=0
	v_or_b32_e32 v8, s13, v194
	v_dual_lshlrev_b32 v30, 2, v8 :: v_dual_lshrrev_b32 v31, 1, v8
	ds_load_b64 v[8:9], v21 offset:43584
	ds_load_b32 v21, v151
	ds_load_2addr_b32 v[156:157], v144 offset0:6 offset1:7
	ds_load_2addr_b32 v[162:163], v144 offset0:4 offset1:5
	;; [unrolled: 1-line block ×3, first 2 shown]
	ds_load_b128 v[22:25], v30 offset:33280
	ds_load_b128 v[26:29], v30 offset:33296
	s_set_vgpr_msb 64                       ;  msbs: dst=1 src0=0 src1=0 src2=0
	ds_load_b128 v[6:9] /*v[262:265]*/, v30 offset:33312
	ds_load_b128 v[10:13] /*v[266:269]*/, v30 offset:33328
	v_add_nc_u32_e32 v19 /*v275*/, s16, v216
	s_mov_b32 s16, 8
	s_set_vgpr_msb 0                        ;  msbs: dst=0 src0=0 src1=0 src2=0
	ds_load_b64 v[30:31], v31 offset:43584
	s_wait_dscnt 0x4
	s_set_vgpr_msb 64                       ;  msbs: dst=1 src0=0 src1=0 src2=0
	v_bfe_i32 v23 /*v279*/, v22, 16, 8
	s_wait_dscnt 0x3
	s_set_vgpr_msb 0                        ;  msbs: dst=0 src0=0 src1=0 src2=0
	v_perm_b32 v164, v27, v138, 0x6040503
	s_wait_dscnt 0x2
	s_set_vgpr_msb 1                        ;  msbs: dst=0 src0=1 src1=0 src2=0
	v_perm_b32 v151, v7 /*v263*/, v134, 0x6040503
	s_wait_dscnt 0x1
	s_set_vgpr_msb 5                        ;  msbs: dst=0 src0=1 src1=1 src2=0
	v_perm_b32 v145, v10 /*v266*/, v12 /*v268*/, 0x6040501
	v_perm_b32 v240, v11 /*v267*/, v10 /*v266*/, 0x6040503
	;; [unrolled: 1-line block ×3, first 2 shown]
	s_set_vgpr_msb 0x45                     ;  msbs: dst=1 src0=1 src1=1 src2=0
	v_perm_b32 v28 /*v284*/, v8 /*v264*/, v7 /*v263*/, 0x7060403
	s_set_vgpr_msb 64                       ;  msbs: dst=1 src0=0 src1=0 src2=0
	v_perm_b32 v29 /*v285*/, v28, v27, 0x7060403
	s_set_vgpr_msb 4                        ;  msbs: dst=0 src0=0 src1=1 src2=0
	v_dot4_i32_iu8 v17, v145, v3 /*v259*/, 0 neg_lo:[1,1,0]
	v_bfe_i32 v242, v21, 0, 8
	v_bfe_i32 v243, v21, 8, 8
	;; [unrolled: 1-line block ×3, first 2 shown]
	s_set_vgpr_msb 0                        ;  msbs: dst=0 src0=0 src1=0 src2=0
	v_ashrrev_i32_e32 v239, 24, v21
	s_set_vgpr_msb 4                        ;  msbs: dst=0 src0=0 src1=1 src2=0
	v_dot4_i32_iu8 v16, v240, v4 /*v260*/, v17 neg_lo:[1,1,0]
	v_perm_b32 v17, v134, v8 /*v264*/, 0x6040501
	s_set_vgpr_msb 64                       ;  msbs: dst=1 src0=0 src1=0 src2=0
	v_ashrrev_i32_e32 v43 /*v299*/, 24, v24
	s_set_vgpr_msb 0                        ;  msbs: dst=0 src0=0 src1=0 src2=0
	v_dot4_i32_iu8 v145, v11, v130, v152 neg_lo:[1,1,0]
	v_dot4_i32_iu8 v152, v15, v135, v167 neg_lo:[1,1,0]
	s_set_vgpr_msb 4                        ;  msbs: dst=0 src0=0 src1=1 src2=0
	v_dot4_i32_iu8 v16, v131, v2 /*v258*/, v16 neg_lo:[1,1,0]
	v_mul_i32_i24_e32 v161, v248, v23 /*v279*/
	s_set_vgpr_msb 0x45                     ;  msbs: dst=1 src0=1 src1=1 src2=0
	v_perm_b32 v12 /*v268*/, v12 /*v268*/, v12 /*v268*/, 0xc0c0c01
	s_set_vgpr_msb 64                       ;  msbs: dst=1 src0=0 src1=0 src2=0
	v_bfe_i32 v22 /*v278*/, v22, 0, 8
	v_ashrrev_i32_e32 v24 /*v280*/, 24, v22
	s_set_vgpr_msb 1                        ;  msbs: dst=0 src0=1 src1=0 src2=0
	v_dot4_i32_iu8 v150, v13 /*v269*/, v135, v16 neg_lo:[1,1,0]
	v_perm_b32 v16, v6 /*v262*/, v179, 0x6040501
	s_set_vgpr_msb 64                       ;  msbs: dst=1 src0=0 src1=0 src2=0
	v_bfe_i32 v21 /*v277*/, v22, 8, 8
	v_perm_b32 v38 /*v294*/, v27, v26, 0x6040503
	s_set_vgpr_msb 4                        ;  msbs: dst=0 src0=0 src1=1 src2=0
	v_mul_i32_i24_e32 v247, v247, v24 /*v280*/
	s_set_vgpr_msb 64                       ;  msbs: dst=1 src0=0 src1=0 src2=0
	v_perm_b32 v24 /*v280*/, v23, v136, 0x6040503
	s_set_vgpr_msb 0                        ;  msbs: dst=0 src0=0 src1=0 src2=0
	v_dot4_i32_iu8 v16, v17, v16, 0 neg_lo:[1,1,0]
	s_set_vgpr_msb 4                        ;  msbs: dst=0 src0=0 src1=1 src2=0
	v_perm_b32 v17, v178, v6 /*v262*/, 0x6040503
	s_set_vgpr_msb 1                        ;  msbs: dst=0 src0=1 src1=0 src2=0
	v_lshrrev_b16 v21, 8, v23
	v_mul_i32_i24_e32 v149, v21 /*v277*/, v244
	s_set_vgpr_msb 64                       ;  msbs: dst=1 src0=0 src1=0 src2=0
	v_bfe_i32 v21 /*v277*/, v141, 0, 8
	s_set_vgpr_msb 0                        ;  msbs: dst=0 src0=0 src1=0 src2=0
	v_perm_b32 v244, v141, v140, 0x6040503
	v_dot4_i32_iu8 v16, v151, v17, v16 neg_lo:[1,1,0]
	v_perm_b32 v17, v178, v178, 0xc0c0c03
	v_perm_b32 v151, v179, v179, 0x706000c
	v_bfe_i32 v21, v21, 0, 8
	s_set_vgpr_msb 64                       ;  msbs: dst=1 src0=0 src1=0 src2=0
	v_bfe_i32 v41 /*v297*/, v25, 8, 8
	v_ashrrev_i32_e32 v27 /*v283*/, 24, v25
	v_bfe_i32 v42 /*v298*/, v25, 0, 8
	v_or_b32_e32 v5 /*v261*/, v151, v17
	s_set_vgpr_msb 0                        ;  msbs: dst=0 src0=0 src1=0 src2=0
	v_perm_b32 v17, v138, v28, 0x6050401
	s_set_vgpr_msb 64                       ;  msbs: dst=1 src0=0 src1=0 src2=0
	v_bfe_i32 v44 /*v300*/, v24, 16, 8
	v_bfe_i32 v26 /*v282*/, v25, 16, 8
	;; [unrolled: 1-line block ×3, first 2 shown]
	s_set_vgpr_msb 5                        ;  msbs: dst=0 src0=1 src1=1 src2=0
	v_dot4_i32_iu8 v16, v5 /*v261*/, v28 /*v284*/, v16 neg_lo:[1,1,0]
	s_set_vgpr_msb 64                       ;  msbs: dst=1 src0=0 src1=0 src2=0
	v_bfe_i32 v20 /*v276*/, v24, 8, 8
	v_bfe_i32 v25 /*v281*/, v24, 0, 8
	s_set_vgpr_msb 1                        ;  msbs: dst=0 src0=1 src1=0 src2=0
	v_ashrrev_i32_e32 v248, 24, v141
	v_dot4_i32_iu8 v151, v9 /*v265*/, v130, v16 neg_lo:[1,1,0]
	s_set_vgpr_msb 0                        ;  msbs: dst=0 src0=0 src1=0 src2=0
	v_perm_b32 v16, v26, v124, 0x6050401
	s_delay_alu instid0(VALU_DEP_1) | instskip(SKIP_1) | instid1(VALU_DEP_1)
	v_dot4_i32_iu8 v16, v17, v16, 0 neg_lo:[1,1,0]
	v_perm_b32 v17, v139, v26, 0x6040503
	v_dot4_i32_iu8 v16, v164, v17, v16 neg_lo:[1,1,0]
	v_dot4_i32_iu8 v17, v127, v7, v153 neg_lo:[1,1,0]
	ds_load_2addr_b32 v[168:169], v144 offset1:1
	ds_load_2addr_b32 v[174:175], v144 offset0:13 offset1:14
	ds_load_2addr_b32 v[164:165], v144 offset0:11 offset1:12
	ds_load_2addr_b32 v[166:167], v144 offset0:8 offset1:15
	ds_load_2addr_b32 v[176:177], v144 offset0:9 offset1:10
	s_set_vgpr_msb 1                        ;  msbs: dst=0 src0=1 src1=0 src2=0
	v_dot4_i32_iu8 v16, v29 /*v285*/, v228, v16 neg_lo:[1,1,0]
	s_set_vgpr_msb 64                       ;  msbs: dst=1 src0=0 src1=0 src2=0
	v_mul_lo_u32 v30 /*v286*/, v17, v242
	s_set_vgpr_msb 0                        ;  msbs: dst=0 src0=0 src1=0 src2=0
	v_perm_b32 v17, v136, v24, 0x6050401
	v_dot4_i32_iu8 v16, v29, v125, v16 neg_lo:[1,1,0]
	s_delay_alu instid0(VALU_DEP_1) | instskip(SKIP_2) | instid1(VALU_DEP_1)
	v_mul_lo_u32 v153, v16, v243
	v_perm_b32 v16, v22, v126, 0x6050401
	s_set_vgpr_msb 64                       ;  msbs: dst=1 src0=0 src1=0 src2=0
	v_dot4_i32_iu8 v31 /*v287*/, v17, v16, 0 neg_lo:[1,1,0]
	s_wait_dscnt 0x5
	s_set_vgpr_msb 0                        ;  msbs: dst=0 src0=0 src1=0 src2=0
	v_dual_mov_b32 v16, v30 :: v_dual_mov_b32 v17, v8
	v_mul_lo_u32 v8, v150, v239
	v_mul_lo_u32 v30, v145, v238
	s_wait_dscnt 0x2
	v_perm_b32 v234, v165, v165, 0x600010c
	s_set_vgpr_msb 1                        ;  msbs: dst=0 src0=1 src1=0 src2=0
	ds_load_2addr_b32 v[144:145], v19 /*v275*/ offset0:6 offset1:7
	s_set_vgpr_msb 4                        ;  msbs: dst=0 src0=0 src1=1 src2=0
	v_or_b32_e32 v14, v234, v32 /*v288*/
	s_set_vgpr_msb 0                        ;  msbs: dst=0 src0=0 src1=0 src2=0
	v_mad_u32 v8, v151, v238, v8
	v_mad_u32 v30, v152, v239, v30
	s_set_vgpr_msb 1                        ;  msbs: dst=0 src0=1 src1=0 src2=0
	v_mul_i32_i24_e32 v152, v22 /*v278*/, v245
	s_set_vgpr_msb 0                        ;  msbs: dst=0 src0=0 src1=0 src2=0
	v_perm_b32 v245, v137, v22, 0x6040503
	s_set_vgpr_msb 64                       ;  msbs: dst=1 src0=0 src1=0 src2=0
	v_bfe_i32 v22 /*v278*/, v141, 16, 8
	s_set_vgpr_msb 0x51                     ;  msbs: dst=1 src0=1 src1=0 src2=1
	s_delay_alu instid0(VALU_DEP_2)
	v_dot4_i32_iu8 v24 /*v280*/, v24 /*v280*/, v245, v31 /*v287*/ neg_lo:[1,1,0]
	s_set_vgpr_msb 0                        ;  msbs: dst=0 src0=0 src1=0 src2=0
	v_perm_b32 v245, v132, v141, 0x7060403
	v_perm_b32 v141, v24, v23, 0x7060403
	v_cvt_f32_i32_e32 v150, v8
	v_cvt_f32_i32_e32 v151, v30
	v_mov_b32_e32 v8, v31
	v_perm_b32 v30, v12, v175, 0x6040501
	v_perm_b32 v31, v174, v12, 0x6040503
	s_set_vgpr_msb 64                       ;  msbs: dst=1 src0=0 src1=0 src2=0
	v_bfe_i32 v31 /*v287*/, v133, 0, 8
	s_set_vgpr_msb 0                        ;  msbs: dst=0 src0=0 src1=0 src2=0
	v_dot4_i32_iu8 v14, v30, v14, 0 neg_lo:[1,1,0]
	v_perm_b32 v30, v13, v165, 0x6040503
	s_delay_alu instid0(VALU_DEP_1) | instskip(SKIP_2) | instid1(VALU_DEP_1)
	v_dot4_i32_iu8 v14, v31, v30, v14 neg_lo:[1,1,0]
	v_perm_b32 v30, v174, v174, 0xc0c0c03
	v_perm_b32 v31, v175, v175, 0x706000c
	v_or_b32_e32 v236, v31, v30
	s_wait_dscnt 0x2
	v_perm_b32 v30, v167, v167, 0xc0c0001
	v_perm_b32 v31, v166, v166, 0xc0c0001
	s_delay_alu instid0(VALU_DEP_3) | instskip(SKIP_1) | instid1(VALU_DEP_1)
	v_dot4_i32_iu8 v14, v172, v236, v14 neg_lo:[1,1,0]
	s_set_vgpr_msb 0x41                     ;  msbs: dst=1 src0=1 src1=0 src2=0
	v_dot4_i32_iu8 v34 /*v290*/, v33 /*v289*/, v30, v14 neg_lo:[1,1,0]
	s_wait_dscnt 0x1
	s_set_vgpr_msb 0                        ;  msbs: dst=0 src0=0 src1=0 src2=0
	v_bfe_i32 v14, v177, 8, 8
	v_bfe_i32 v30, v176, 16, 8
	s_delay_alu instid0(VALU_DEP_2) | instskip(NEXT) | instid1(VALU_DEP_1)
	v_mul_i32_i24_e32 v14, v14, v20
	v_dot4_i32_iu8 v14, v31, v230, v14 neg_lo:[1,1,0]
	v_perm_b32 v31, v166, v166, 0xc0c0302
	s_delay_alu instid0(VALU_DEP_1) | instskip(SKIP_1) | instid1(VALU_DEP_1)
	v_dot4_i32_iu8 v14, v231, v31, v14 neg_lo:[1,1,0]
	v_perm_b32 v31, v176, v176, 0xc0c0001
	v_dot4_i32_iu8 v14, v232, v31, v14 neg_lo:[1,1,0]
	v_perm_b32 v31, v1, v162, 0x6040503
	s_delay_alu instid0(VALU_DEP_2) | instskip(SKIP_1) | instid1(VALU_DEP_1)
	v_mad_i32_i24 v14, v30, v19, v14
	v_perm_b32 v30, v177, v176, 0xc0c0403
	v_dot4_i32_iu8 v14, v233, v30, v14 neg_lo:[1,1,0]
	v_perm_b32 v30, v177, v177, 0xc0c0302
	s_set_vgpr_msb 64                       ;  msbs: dst=1 src0=0 src1=0 src2=0
	s_delay_alu instid0(VALU_DEP_1) | instskip(SKIP_3) | instid1(VALU_DEP_2)
	v_dot4_i32_iu8 v35 /*v291*/, v10, v30, v14 neg_lo:[1,1,0]
	s_set_vgpr_msb 0                        ;  msbs: dst=0 src0=0 src1=0 src2=0
	v_perm_b32 v14, v162, v156, 0x6050401
	v_perm_b32 v30, v163, v0, 0x6040503
	v_dot4_i32_iu8 v14, v14, v235, 0 neg_lo:[1,1,0]
	s_delay_alu instid0(VALU_DEP_1) | instskip(SKIP_4) | instid1(VALU_DEP_2)
	v_dot4_i32_iu8 v14, v31, v30, v14 neg_lo:[1,1,0]
	v_perm_b32 v30, v156, v163, 0x7060403
	s_set_vgpr_msb 4                        ;  msbs: dst=0 src0=0 src1=1 src2=0
	v_perm_b32 v31, v148, v8 /*v264*/, 0x6040501
	s_set_vgpr_msb 64                       ;  msbs: dst=1 src0=0 src1=0 src2=0
	v_dot4_i32_iu8 v36 /*v292*/, v2, v30, v14 neg_lo:[1,1,0]
	s_set_vgpr_msb 0                        ;  msbs: dst=0 src0=0 src1=0 src2=0
	v_bfe_i32 v14, v158, 8, 8
	v_perm_b32 v30, v169, v169, 0xc0c0001
	s_delay_alu instid0(VALU_DEP_2) | instskip(NEXT) | instid1(VALU_DEP_1)
	v_mul_i32_i24_e32 v14, v14, v18
	v_dot4_i32_iu8 v14, v168, v4, v14 neg_lo:[1,1,0]
	s_delay_alu instid0(VALU_DEP_1) | instskip(SKIP_2) | instid1(VALU_DEP_1)
	v_dot4_i32_iu8 v14, v237, v30, v14 neg_lo:[1,1,0]
	v_perm_b32 v30, v169, v169, 0xc0c0302
	s_set_vgpr_msb 1                        ;  msbs: dst=0 src0=1 src1=0 src2=0
	v_dot4_i32_iu8 v14, v1 /*v257*/, v30, v14 neg_lo:[1,1,0]
	s_set_vgpr_msb 0                        ;  msbs: dst=0 src0=0 src1=0 src2=0
	v_perm_b32 v30, v158, v158, 0xc030200
	s_set_vgpr_msb 0x44                     ;  msbs: dst=1 src0=0 src1=1 src2=0
	s_delay_alu instid0(VALU_DEP_1)
	v_dot4_i32_iu8 v37 /*v293*/, v30, v14 /*v270*/, v14 neg_lo:[1,1,0]
	s_set_vgpr_msb 1                        ;  msbs: dst=0 src0=1 src1=0 src2=0
	v_perm_b32 v14, v10 /*v266*/, v33, 0x6040503
	s_set_vgpr_msb 4                        ;  msbs: dst=0 src0=0 src1=1 src2=0
	v_or_b32_e32 v30, v252, v12 /*v268*/
	s_set_vgpr_msb 0                        ;  msbs: dst=0 src0=0 src1=0 src2=0
	s_delay_alu instid0(VALU_DEP_1) | instskip(SKIP_3) | instid1(VALU_DEP_2)
	v_dot4_i32_iu8 v14, v30, v14, 0 neg_lo:[1,1,0]
	s_set_vgpr_msb 1                        ;  msbs: dst=0 src0=1 src1=0 src2=0
	v_perm_b32 v30, v6 /*v262*/, v146, 0x6040501
	s_set_vgpr_msb 0                        ;  msbs: dst=0 src0=0 src1=0 src2=0
	v_dot4_i32_iu8 v14, v240, v253, v14 neg_lo:[1,1,0]
	s_delay_alu instid0(VALU_DEP_2)
	v_dot4_i32_iu8 v30, v31, v30, 0 neg_lo:[1,1,0]
	s_set_vgpr_msb 5                        ;  msbs: dst=0 src0=1 src1=1 src2=0
	v_perm_b32 v31, v7 /*v263*/, v6 /*v262*/, 0x6040503
	s_set_vgpr_msb 0                        ;  msbs: dst=0 src0=0 src1=0 src2=0
	v_perm_b32 v240, v143, v142, 0x6040503
	v_dot4_i32_iu8 v14, v254, v131, v14 neg_lo:[1,1,0]
	s_delay_alu instid0(VALU_DEP_3) | instskip(SKIP_2) | instid1(VALU_DEP_2)
	v_dot4_i32_iu8 v30, v255, v31, v30 neg_lo:[1,1,0]
	v_perm_b32 v31, v142, v28, 0x6050401
	s_set_vgpr_msb 5                        ;  msbs: dst=0 src0=1 src1=1 src2=0
	v_dot4_i32_iu8 v32, v0 /*v256*/, v28 /*v284*/, v30 neg_lo:[1,1,0]
	s_set_vgpr_msb 0                        ;  msbs: dst=0 src0=0 src1=0 src2=0
	v_perm_b32 v30, v26, v128, 0x6050401
	s_delay_alu instid0(VALU_DEP_1)
	v_dot4_i32_iu8 v30, v31, v30, 0 neg_lo:[1,1,0]
	v_perm_b32 v31, v5, v4, 0x6040503
	v_perm_b32 v5, v6, v5, 0x7060403
	v_perm_b32 v6, v126, v137, 0x7060403
	s_set_vgpr_msb 4                        ;  msbs: dst=0 src0=0 src1=1 src2=0
	v_dot4_i32_iu8 v30, v240, v38 /*v294*/, v30 neg_lo:[1,1,0]
	s_set_vgpr_msb 16                       ;  msbs: dst=0 src0=0 src1=0 src2=1
	v_dot4_i32_iu8 v31, v244, v31, v16 /*v272*/ neg_lo:[1,1,0]
	s_set_vgpr_msb 64                       ;  msbs: dst=1 src0=0 src1=0 src2=0
	v_bfe_i32 v16 /*v272*/, v23, 0, 8
	s_set_vgpr_msb 16                       ;  msbs: dst=0 src0=0 src1=0 src2=1
	v_dot4_i32_iu8 v6, v141, v6, v24 /*v280*/ neg_lo:[1,1,0]
	s_set_vgpr_msb 4                        ;  msbs: dst=0 src0=0 src1=1 src2=0
	v_dot4_i32_iu8 v143, v241, v29 /*v285*/, v30 neg_lo:[1,1,0]
	v_bfe_i32 v30, v160, 0, 8
	s_set_vgpr_msb 0                        ;  msbs: dst=0 src0=0 src1=0 src2=0
	v_dot4_i32_iu8 v5, v245, v5, v31 neg_lo:[1,1,0]
	v_dot4_i32_iu8 v6, v25, v127, v6 neg_lo:[1,1,0]
	s_set_vgpr_msb 64                       ;  msbs: dst=1 src0=0 src1=0 src2=0
	v_bfe_i32 v29 /*v285*/, v133, 8, 8
	s_set_vgpr_msb 0                        ;  msbs: dst=0 src0=0 src1=0 src2=0
	v_ashrrev_i32_e32 v160, 24, v23
	v_mul_i32_i24_e32 v21, v21, v30
	v_dot4_i32_iu8 v30, v125, v3, v229 neg_lo:[1,1,0]
	v_mad_u32 v6, v6, v242, v153
	s_set_vgpr_msb 1                        ;  msbs: dst=0 src0=1 src1=0 src2=0
	v_mul_i32_i24_e32 v153, v27 /*v283*/, v251
	s_set_vgpr_msb 0                        ;  msbs: dst=0 src0=0 src1=0 src2=0
	v_perm_b32 v251, v147, v147, 0x7060001
	v_dot4_i32_iu8 v5, v133, v7, v5 neg_lo:[1,1,0]
	s_set_vgpr_msb 16                       ;  msbs: dst=0 src0=0 src1=0 src2=1
	v_mad_u32 v30, v30, v243, v30 /*v286*/
	s_delay_alu instid0(VALU_DEP_1) | instskip(SKIP_4) | instid1(VALU_DEP_2)
	v_cvt_f32_i32_e32 v31, v30
	v_cvt_f32_i32_e32 v30, v6
	s_set_vgpr_msb 5                        ;  msbs: dst=0 src0=1 src1=1 src2=0
	v_mul_i32_i24_e32 v6, v44 /*v300*/, v40 /*v296*/
	s_set_vgpr_msb 0                        ;  msbs: dst=0 src0=0 src1=0 src2=0
	v_pk_fma_f32 v[30:31], v[16:17], v[30:31], 0 op_sel_hi:[1,1,0]
	s_set_vgpr_msb 5                        ;  msbs: dst=0 src0=1 src1=1 src2=0
	s_delay_alu instid0(VALU_DEP_2)
	v_mad_i32_i24 v6, v16 /*v272*/, v21 /*v277*/, v6
	s_set_vgpr_msb 64                       ;  msbs: dst=1 src0=0 src1=0 src2=0
	v_perm_b32 v16 /*v272*/, v15, v15, 0xc0c0302
	s_set_vgpr_msb 16                       ;  msbs: dst=0 src0=0 src1=0 src2=1
	v_add3_u32 v15, v35, v155, v15 /*v271*/
	s_set_vgpr_msb 0                        ;  msbs: dst=0 src0=0 src1=0 src2=0
	v_pk_fma_f32 v[30:31], v[8:9], v[150:151], v[30:31]
	s_set_vgpr_msb 5                        ;  msbs: dst=0 src0=1 src1=1 src2=0
	v_mul_i32_i24_e32 v150, v41 /*v297*/, v29 /*v285*/
	s_set_vgpr_msb 1                        ;  msbs: dst=0 src0=1 src1=0 src2=0
	v_mul_i32_i24_e32 v151, v26 /*v282*/, v250
	s_set_vgpr_msb 0                        ;  msbs: dst=0 src0=0 src1=0 src2=0
	v_perm_b32 v250, v170, v34, 0x5040203
	v_pk_fma_f32 v[74:75], v[116:117], v[30:31], v[74:75]
	s_set_vgpr_msb 5                        ;  msbs: dst=0 src0=1 src1=1 src2=0
	v_mul_i32_i24_e32 v30, v43 /*v299*/, v39 /*v295*/
	v_mul_i32_i24_e32 v31, v42 /*v298*/, v31 /*v287*/
	s_set_vgpr_msb 0                        ;  msbs: dst=0 src0=0 src1=0 src2=0
	v_mad_i32_i24 v150, v160, v248, v150
	s_set_vgpr_msb 5                        ;  msbs: dst=0 src0=1 src1=1 src2=0
	s_delay_alu instid0(VALU_DEP_2) | instskip(SKIP_1) | instid1(VALU_DEP_2)
	v_mad_i32_i24 v31, v23 /*v279*/, v22 /*v278*/, v31
	s_set_vgpr_msb 0                        ;  msbs: dst=0 src0=0 src1=0 src2=0
	v_add3_u32 v21, v21, v30, v150
	s_set_vgpr_msb 1                        ;  msbs: dst=0 src0=1 src1=0 src2=0
	v_mad_i32_i24 v30, v25 /*v281*/, v249, v151
	s_set_vgpr_msb 0                        ;  msbs: dst=0 src0=0 src1=0 src2=0
	s_delay_alu instid0(VALU_DEP_2) | instskip(SKIP_4) | instid1(VALU_DEP_2)
	v_add3_u32 v6, v6, v31, v21
	s_set_vgpr_msb 1                        ;  msbs: dst=0 src0=1 src1=0 src2=0
	v_mad_i32_i24 v21, v20 /*v276*/, v246, v149
	s_set_vgpr_msb 0                        ;  msbs: dst=0 src0=0 src1=0 src2=0
	v_perm_b32 v31, v11, v11, 0xc0c0302
	v_add3_u32 v6, v6, v152, v21
	v_add3_u32 v21, v161, v247, v30
	ds_load_b32 v30, v154
	v_add3_u32 v6, v6, v21, v153
	s_wait_dscnt 0x0
	v_bfe_i32 v248, v30, 8, 8
	v_bfe_i32 v249, v30, 0, 8
	v_bfe_i32 v246, v30, 16, 8
	v_ashrrev_i32_e32 v247, 24, v30
	s_set_vgpr_msb 5                        ;  msbs: dst=0 src0=1 src1=1 src2=0
	v_perm_b32 v30, v13 /*v269*/, v13 /*v269*/, 0x3020001
	s_set_vgpr_msb 0                        ;  msbs: dst=0 src0=0 src1=0 src2=0
	v_mul_lo_u32 v5, v5, v249
	s_delay_alu instid0(VALU_DEP_2) | instskip(SKIP_1) | instid1(VALU_DEP_1)
	v_dot4_i32_iu8 v30, v30, v250, v14 neg_lo:[1,1,0]
	v_perm_b32 v14, v147, v147, 0xc0c0302
	v_dot4_i32_iu8 v31, v31, v14, v173 neg_lo:[1,1,0]
	v_perm_b32 v14, v170, v170, 0xc0c0100
	v_mad_u32 v5, v15, v248, v5
	s_set_vgpr_msb 1                        ;  msbs: dst=0 src0=1 src1=0 src2=0
	s_delay_alu instid0(VALU_DEP_2) | instskip(SKIP_3) | instid1(VALU_DEP_1)
	v_dot4_i32_iu8 v34, v16 /*v272*/, v14, v171 neg_lo:[1,1,0]
	s_set_vgpr_msb 5                        ;  msbs: dst=0 src0=1 src1=1 src2=0
	v_perm_b32 v14, v9 /*v265*/, v9 /*v265*/, 0x3020001
	s_set_vgpr_msb 0                        ;  msbs: dst=0 src0=0 src1=0 src2=0
	v_dot4_i32_iu8 v32, v14, v251, v32 neg_lo:[1,1,0]
	v_dot4_i32_iu8 v14, v29, v129, v143 neg_lo:[1,1,0]
	v_cvt_f32_i32_e32 v15, v5
	v_mul_lo_u32 v5, v30, v247
	s_delay_alu instid0(VALU_DEP_3) | instskip(NEXT) | instid1(VALU_DEP_2)
	v_mul_lo_u32 v14, v14, v248
	v_mad_u32 v5, v32, v246, v5
	s_delay_alu instid0(VALU_DEP_2) | instskip(NEXT) | instid1(VALU_DEP_2)
	v_mad_u32 v6, v6, v249, v14
	v_cvt_f32_i32_e32 v30, v5
	s_delay_alu instid0(VALU_DEP_2) | instskip(SKIP_1) | instid1(VALU_DEP_2)
	v_cvt_f32_i32_e32 v14, v6
	v_mul_lo_u32 v6, v31, v246
	v_pk_fma_f32 v[14:15], v[16:17], v[14:15], 0 op_sel_hi:[1,1,0]
	s_delay_alu instid0(VALU_DEP_2)
	v_mad_u32 v6, v34, v247, v6
	s_set_vgpr_msb 1                        ;  msbs: dst=0 src0=1 src1=0 src2=0
	ds_load_2addr_b32 v[160:161], v19 /*v275*/ offset0:4 offset1:5
	ds_load_2addr_b32 v[34:35], v19 /*v275*/ offset0:2 offset1:3
	ds_load_2addr_b32 v[154:155], v19 /*v275*/ offset1:1
	ds_load_2addr_b32 v[170:171], v19 /*v275*/ offset0:13 offset1:14
	ds_load_2addr_b32 v[150:151], v19 /*v275*/ offset0:11 offset1:12
	;; [unrolled: 1-line block ×3, first 2 shown]
	s_set_vgpr_msb 0                        ;  msbs: dst=0 src0=0 src1=0 src2=0
	v_cvt_f32_i32_e32 v31, v6
	s_wait_dscnt 0x5
	v_perm_b32 v0, v161, v0, 0x6040503
	v_perm_b32 v1, v1, v160, 0x6040503
	s_delay_alu instid0(VALU_DEP_3)
	v_pk_fma_f32 v[14:15], v[8:9], v[30:31], v[14:15]
	s_wait_dscnt 0x2
	v_perm_b32 v5, v12, v171, 0x6040501
	s_wait_dscnt 0x1
	v_perm_b32 v149, v151, v151, 0x600010c
	v_perm_b32 v12, v170, v12, 0x6040503
	v_perm_b32 v147, v161, v160, 0x6040503
	v_pk_fma_f32 v[72:73], v[118:119], v[14:15], v[72:73]
	v_perm_b32 v14, v23, v168, 0x6040503
	s_set_vgpr_msb 4                        ;  msbs: dst=0 src0=0 src1=1 src2=0
	v_or_b32_e32 v6, v149, v32 /*v288*/
	s_set_vgpr_msb 0                        ;  msbs: dst=0 src0=0 src1=0 src2=0
	s_delay_alu instid0(VALU_DEP_1) | instskip(SKIP_3) | instid1(VALU_DEP_2)
	v_dot4_i32_iu8 v5, v5, v6, 0 neg_lo:[1,1,0]
	v_perm_b32 v6, v13, v151, 0x6040503
	s_wait_dscnt 0x0
	v_perm_b32 v13, v152, v152, 0xc0c0001
	v_dot4_i32_iu8 v5, v12, v6, v5 neg_lo:[1,1,0]
	v_perm_b32 v6, v170, v170, 0xc0c0c03
	v_perm_b32 v12, v171, v171, 0x706000c
	s_delay_alu instid0(VALU_DEP_1) | instskip(SKIP_1) | instid1(VALU_DEP_2)
	v_or_b32_e32 v229, v12, v6
	v_perm_b32 v6, v153, v153, 0xc0c0001
	v_dot4_i32_iu8 v5, v172, v229, v5 neg_lo:[1,1,0]
	s_set_vgpr_msb 1                        ;  msbs: dst=0 src0=1 src1=0 src2=0
	ds_load_2addr_b32 v[172:173], v19 /*v275*/ offset0:9 offset1:10
	v_dot4_i32_iu8 v6, v33 /*v289*/, v6, v5 neg_lo:[1,1,0]
	s_wait_dscnt 0x0
	s_set_vgpr_msb 0                        ;  msbs: dst=0 src0=0 src1=0 src2=0
	v_bfe_i32 v5, v173, 8, 8
	v_bfe_i32 v12, v172, 16, 8
	s_delay_alu instid0(VALU_DEP_2) | instskip(NEXT) | instid1(VALU_DEP_1)
	v_mul_i32_i24_e32 v5, v5, v20
	v_dot4_i32_iu8 v5, v13, v230, v5 neg_lo:[1,1,0]
	v_perm_b32 v13, v152, v152, 0xc0c0302
	s_delay_alu instid0(VALU_DEP_1) | instskip(SKIP_1) | instid1(VALU_DEP_1)
	v_dot4_i32_iu8 v5, v231, v13, v5 neg_lo:[1,1,0]
	v_perm_b32 v13, v172, v172, 0xc0c0001
	v_dot4_i32_iu8 v5, v232, v13, v5 neg_lo:[1,1,0]
	v_perm_b32 v13, v28, v163, 0x7060403
	s_delay_alu instid0(VALU_DEP_2) | instskip(SKIP_1) | instid1(VALU_DEP_1)
	v_mad_i32_i24 v5, v12, v19, v5
	v_perm_b32 v12, v173, v172, 0xc0c0403
	v_dot4_i32_iu8 v5, v233, v12, v5 neg_lo:[1,1,0]
	v_perm_b32 v12, v173, v173, 0xc0c0302
	s_delay_alu instid0(VALU_DEP_1) | instskip(SKIP_1) | instid1(VALU_DEP_2)
	v_dot4_i32_iu8 v10, v10, v12, v5 neg_lo:[1,1,0]
	v_perm_b32 v5, v160, v144, 0x6050401
	v_dot4_i32_iu8 v10, v11, v150, v10 neg_lo:[1,1,0]
	s_delay_alu instid0(VALU_DEP_2) | instskip(SKIP_1) | instid1(VALU_DEP_2)
	v_dot4_i32_iu8 v5, v5, v235, 0 neg_lo:[1,1,0]
	v_perm_b32 v235, v163, v162, 0x6040503
	v_dot4_i32_iu8 v0, v1, v0, v5 neg_lo:[1,1,0]
	v_perm_b32 v1, v144, v161, 0x7060403
	s_set_vgpr_msb 1                        ;  msbs: dst=0 src0=1 src1=0 src2=0
	v_perm_b32 v5, v7 /*v263*/, v166, 0x6040503
	s_set_vgpr_msb 0                        ;  msbs: dst=0 src0=0 src1=0 src2=0
	s_delay_alu instid0(VALU_DEP_2) | instskip(SKIP_2) | instid1(VALU_DEP_3)
	v_dot4_i32_iu8 v2, v2, v1, v0 neg_lo:[1,1,0]
	v_bfe_i32 v0, v34, 8, 8
	v_perm_b32 v1, v155, v155, 0xc0c0001
	v_dot4_i32_iu8 v2, v145, v3, v2 neg_lo:[1,1,0]
	s_delay_alu instid0(VALU_DEP_3) | instskip(NEXT) | instid1(VALU_DEP_1)
	v_mul_i32_i24_e32 v0, v0, v18
	v_dot4_i32_iu8 v0, v154, v4, v0 neg_lo:[1,1,0]
	s_set_vgpr_msb 1                        ;  msbs: dst=0 src0=1 src1=0 src2=0
	v_perm_b32 v4, v11 /*v267*/, v165, 0x6040503
	s_set_vgpr_msb 0                        ;  msbs: dst=0 src0=0 src1=0 src2=0
	s_delay_alu instid0(VALU_DEP_2) | instskip(SKIP_2) | instid1(VALU_DEP_1)
	v_dot4_i32_iu8 v0, v237, v1, v0 neg_lo:[1,1,0]
	v_perm_b32 v1, v155, v155, 0xc0c0302
	s_set_vgpr_msb 1                        ;  msbs: dst=0 src0=1 src1=0 src2=0
	v_dot4_i32_iu8 v0, v1 /*v257*/, v1, v0 neg_lo:[1,1,0]
	s_set_vgpr_msb 0                        ;  msbs: dst=0 src0=0 src1=0 src2=0
	v_perm_b32 v1, v34, v34, 0xc030200
	s_set_vgpr_msb 4                        ;  msbs: dst=0 src0=0 src1=1 src2=0
	s_delay_alu instid0(VALU_DEP_1)
	v_dot4_i32_iu8 v12, v1, v14 /*v270*/, v0 neg_lo:[1,1,0]
	s_set_vgpr_msb 1                        ;  msbs: dst=0 src0=1 src1=0 src2=0
	v_perm_b32 v0, v10 /*v266*/, v175, 0x6040501
	s_set_vgpr_msb 4                        ;  msbs: dst=0 src0=0 src1=1 src2=0
	v_or_b32_e32 v1, v234, v12 /*v268*/
	s_set_vgpr_msb 0                        ;  msbs: dst=0 src0=0 src1=0 src2=0
	s_delay_alu instid0(VALU_DEP_1) | instskip(SKIP_3) | instid1(VALU_DEP_1)
	v_dot4_i32_iu8 v0, v1, v0, 0 neg_lo:[1,1,0]
	s_set_vgpr_msb 4                        ;  msbs: dst=0 src0=0 src1=1 src2=0
	v_perm_b32 v1, v174, v10 /*v266*/, 0x6040503
	s_set_vgpr_msb 0                        ;  msbs: dst=0 src0=0 src1=0 src2=0
	v_dot4_i32_iu8 v0, v4, v1, v0 neg_lo:[1,1,0]
	s_set_vgpr_msb 1                        ;  msbs: dst=0 src0=1 src1=0 src2=0
	v_perm_b32 v1, v6 /*v262*/, v177, 0x6040501
	s_set_vgpr_msb 4                        ;  msbs: dst=0 src0=0 src1=1 src2=0
	v_perm_b32 v4, v166, v8 /*v264*/, 0x6040501
	s_set_vgpr_msb 0                        ;  msbs: dst=0 src0=0 src1=0 src2=0
	v_dot4_i32_iu8 v0, v236, v131, v0 neg_lo:[1,1,0]
	s_delay_alu instid0(VALU_DEP_2) | instskip(SKIP_3) | instid1(VALU_DEP_1)
	v_dot4_i32_iu8 v1, v4, v1, 0 neg_lo:[1,1,0]
	s_set_vgpr_msb 4                        ;  msbs: dst=0 src0=0 src1=1 src2=0
	v_perm_b32 v4, v176, v6 /*v262*/, 0x6040503
	s_set_vgpr_msb 0                        ;  msbs: dst=0 src0=0 src1=0 src2=0
	v_dot4_i32_iu8 v1, v5, v4, v1 neg_lo:[1,1,0]
	v_perm_b32 v4, v176, v176, 0xc0c0c03
	v_perm_b32 v5, v177, v177, 0x706000c
	s_set_vgpr_msb 64                       ;  msbs: dst=1 src0=0 src1=0 src2=0
	s_delay_alu instid0(VALU_DEP_1)
	v_or_b32_e32 v1 /*v257*/, v5, v4
	s_set_vgpr_msb 0                        ;  msbs: dst=0 src0=0 src1=0 src2=0
	v_perm_b32 v4, v26, v156, 0x6050401
	v_perm_b32 v5, v162, v28, 0x6050401
	s_set_vgpr_msb 5                        ;  msbs: dst=0 src0=1 src1=1 src2=0
	v_dot4_i32_iu8 v1, v1 /*v257*/, v28 /*v284*/, v1 neg_lo:[1,1,0]
	s_set_vgpr_msb 0                        ;  msbs: dst=0 src0=0 src1=0 src2=0
	s_delay_alu instid0(VALU_DEP_2)
	v_dot4_i32_iu8 v4, v5, v4, 0 neg_lo:[1,1,0]
	v_perm_b32 v5, v156, v27, 0x7060403
	s_set_vgpr_msb 1                        ;  msbs: dst=0 src0=1 src1=0 src2=0
	v_dot4_i32_iu8 v15, v9 /*v265*/, v164, v1 neg_lo:[1,1,0]
	s_set_vgpr_msb 16                       ;  msbs: dst=0 src0=0 src1=0 src2=1
	v_dot4_i32_iu8 v1, v159, v7, v37 /*v293*/ neg_lo:[1,1,0]
	s_set_vgpr_msb 4                        ;  msbs: dst=0 src0=0 src1=1 src2=0
	v_dot4_i32_iu8 v4, v235, v38 /*v294*/, v4 neg_lo:[1,1,0]
	s_set_vgpr_msb 0                        ;  msbs: dst=0 src0=0 src1=0 src2=0
	s_delay_alu instid0(VALU_DEP_1) | instskip(SKIP_2) | instid1(VALU_DEP_1)
	v_dot4_i32_iu8 v4, v13, v5, v4 neg_lo:[1,1,0]
	v_perm_b32 v5, v22, v158, 0x6050401
	v_perm_b32 v13, v168, v24, 0x6050401
	v_dot4_i32_iu8 v5, v13, v5, 0 neg_lo:[1,1,0]
	v_perm_b32 v13, v169, v22, 0x6040503
	s_delay_alu instid0(VALU_DEP_1)
	v_dot4_i32_iu8 v5, v14, v13, v5 neg_lo:[1,1,0]
	v_perm_b32 v13, v158, v169, 0x7060403
	s_set_vgpr_msb 1                        ;  msbs: dst=0 src0=1 src1=0 src2=0
	v_dot4_i32_iu8 v14, v13 /*v269*/, v167, v0 neg_lo:[1,1,0]
	s_set_vgpr_msb 0                        ;  msbs: dst=0 src0=0 src1=0 src2=0
	v_perm_b32 v0, v167, v167, 0xc0c0302
	v_dot4_i32_iu8 v5, v141, v13, v5 neg_lo:[1,1,0]
	s_set_vgpr_msb 17                       ;  msbs: dst=0 src0=1 src1=0 src2=1
	ds_load_b32 v13, v17 /*v273*/
	v_dot4_i32_iu8 v18, v16 /*v272*/, v0, v34 /*v290*/ neg_lo:[1,1,0]
	s_set_vgpr_msb 0                        ;  msbs: dst=0 src0=0 src1=0 src2=0
	v_dot4_i32_iu8 v0, v29, v157, v4 neg_lo:[1,1,0]
	v_dot4_i32_iu8 v4, v25, v159, v5 neg_lo:[1,1,0]
	s_set_vgpr_msb 16                       ;  msbs: dst=0 src0=0 src1=0 src2=1
	v_dot4_i32_iu8 v5, v157, v3, v36 /*v292*/ neg_lo:[1,1,0]
	s_wait_dscnt 0x0
	v_bfe_i32 v232, v13, 0, 8
	v_bfe_i32 v233, v13, 8, 8
	v_ashrrev_i32_e32 v230, 24, v13
	v_bfe_i32 v231, v13, 16, 8
	v_dot4_i32_iu8 v13, v11, v164, v35 /*v291*/ neg_lo:[1,1,0]
	v_mul_lo_u32 v1, v1, v232
	v_mul_lo_u32 v0, v0, v233
	s_set_vgpr_msb 0                        ;  msbs: dst=0 src0=0 src1=0 src2=0
	s_delay_alu instid0(VALU_DEP_2) | instskip(NEXT) | instid1(VALU_DEP_2)
	v_mad_u32 v1, v5, v233, v1
	v_mad_u32 v0, v4, v232, v0
	v_mul_lo_u32 v4, v13, v231
	v_mul_lo_u32 v5, v14, v230
	v_perm_b32 v14, v23, v154, 0x6040503
	v_cvt_f32_i32_e32 v1, v1
	v_cvt_f32_i32_e32 v0, v0
	v_mad_u32 v13, v18, v230, v4
	v_mad_u32 v4, v15, v231, v5
	s_delay_alu instid0(VALU_DEP_3) | instskip(NEXT) | instid1(VALU_DEP_3)
	v_pk_fma_f32 v[0:1], v[16:17], v[0:1], 0 op_sel_hi:[1,1,0]
	v_cvt_f32_i32_e32 v5, v13
	s_delay_alu instid0(VALU_DEP_3) | instskip(SKIP_1) | instid1(VALU_DEP_2)
	v_cvt_f32_i32_e32 v4, v4
	v_perm_b32 v13, v28, v161, 0x7060403
	v_pk_fma_f32 v[0:1], v[8:9], v[4:5], v[0:1]
	s_set_vgpr_msb 1                        ;  msbs: dst=0 src0=1 src1=0 src2=0
	v_perm_b32 v4, v11 /*v267*/, v151, 0x6040503
	v_perm_b32 v5, v7 /*v263*/, v152, 0x6040503
	s_set_vgpr_msb 64                       ;  msbs: dst=1 src0=0 src1=0 src2=0
	v_perm_b32 v7 /*v263*/, v169, v168, 0x6040503
	s_set_vgpr_msb 0                        ;  msbs: dst=0 src0=0 src1=0 src2=0
	v_pk_fma_f32 v[70:71], v[120:121], v[0:1], v[70:71]
	s_set_vgpr_msb 1                        ;  msbs: dst=0 src0=1 src1=0 src2=0
	v_perm_b32 v0, v10 /*v266*/, v171, 0x6040501
	s_set_vgpr_msb 4                        ;  msbs: dst=0 src0=0 src1=1 src2=0
	v_or_b32_e32 v1, v149, v12 /*v268*/
	s_set_vgpr_msb 0                        ;  msbs: dst=0 src0=0 src1=0 src2=0
	s_delay_alu instid0(VALU_DEP_1) | instskip(SKIP_3) | instid1(VALU_DEP_1)
	v_dot4_i32_iu8 v0, v1, v0, 0 neg_lo:[1,1,0]
	s_set_vgpr_msb 4                        ;  msbs: dst=0 src0=0 src1=1 src2=0
	v_perm_b32 v1, v170, v10 /*v266*/, 0x6040503
	s_set_vgpr_msb 0                        ;  msbs: dst=0 src0=0 src1=0 src2=0
	v_dot4_i32_iu8 v0, v4, v1, v0 neg_lo:[1,1,0]
	s_set_vgpr_msb 1                        ;  msbs: dst=0 src0=1 src1=0 src2=0
	v_perm_b32 v1, v6 /*v262*/, v173, 0x6040501
	s_set_vgpr_msb 4                        ;  msbs: dst=0 src0=0 src1=1 src2=0
	v_perm_b32 v4, v152, v8 /*v264*/, 0x6040501
	s_set_vgpr_msb 64                       ;  msbs: dst=1 src0=0 src1=0 src2=0
	v_perm_b32 v8 /*v264*/, v137, v136, 0x6040503
	s_set_vgpr_msb 0                        ;  msbs: dst=0 src0=0 src1=0 src2=0
	v_dot4_i32_iu8 v0, v229, v131, v0 neg_lo:[1,1,0]
	v_dot4_i32_iu8 v1, v4, v1, 0 neg_lo:[1,1,0]
	s_set_vgpr_msb 4                        ;  msbs: dst=0 src0=0 src1=1 src2=0
	v_perm_b32 v4, v172, v6 /*v262*/, 0x6040503
	s_set_vgpr_msb 64                       ;  msbs: dst=1 src0=0 src1=0 src2=0
	v_perm_b32 v6 /*v262*/, v155, v154, 0x6040503
	s_set_vgpr_msb 1                        ;  msbs: dst=0 src0=1 src1=0 src2=0
	v_dot4_i32_iu8 v11, v13 /*v269*/, v153, v0 neg_lo:[1,1,0]
	s_set_vgpr_msb 0                        ;  msbs: dst=0 src0=0 src1=0 src2=0
	v_perm_b32 v0, v153, v153, 0xc0c0302
	v_dot4_i32_iu8 v1, v5, v4, v1 neg_lo:[1,1,0]
	v_perm_b32 v4, v172, v172, 0xc0c0c03
	v_perm_b32 v5, v173, v173, 0x706000c
	s_set_vgpr_msb 1                        ;  msbs: dst=0 src0=1 src1=0 src2=0
	v_dot4_i32_iu8 v6, v16 /*v272*/, v0, v6 neg_lo:[1,1,0]
	s_set_vgpr_msb 0                        ;  msbs: dst=0 src0=0 src1=0 src2=0
	s_delay_alu instid0(VALU_DEP_2) | instskip(SKIP_2) | instid1(VALU_DEP_1)
	v_or_b32_e32 v237, v5, v4
	v_perm_b32 v4, v26, v144, 0x6050401
	v_perm_b32 v5, v160, v28, 0x6050401
	v_dot4_i32_iu8 v4, v5, v4, 0 neg_lo:[1,1,0]
	v_perm_b32 v5, v144, v27, 0x7060403
	s_set_vgpr_msb 4                        ;  msbs: dst=0 src0=0 src1=1 src2=0
	s_delay_alu instid0(VALU_DEP_2) | instskip(SKIP_1) | instid1(VALU_DEP_1)
	v_dot4_i32_iu8 v4, v147, v38 /*v294*/, v4 neg_lo:[1,1,0]
	s_set_vgpr_msb 0                        ;  msbs: dst=0 src0=0 src1=0 src2=0
	v_dot4_i32_iu8 v4, v13, v5, v4 neg_lo:[1,1,0]
	v_perm_b32 v5, v22, v34, 0x6050401
	v_perm_b32 v13, v154, v24, 0x6050401
	s_delay_alu instid0(VALU_DEP_3) | instskip(NEXT) | instid1(VALU_DEP_2)
	v_dot4_i32_iu8 v0, v29, v145, v4 neg_lo:[1,1,0]
	v_dot4_i32_iu8 v5, v13, v5, 0 neg_lo:[1,1,0]
	v_perm_b32 v13, v155, v22, 0x6040503
	s_delay_alu instid0(VALU_DEP_1) | instskip(SKIP_1) | instid1(VALU_DEP_1)
	v_dot4_i32_iu8 v5, v14, v13, v5 neg_lo:[1,1,0]
	v_perm_b32 v13, v34, v155, 0x7060403
	v_dot4_i32_iu8 v5, v141, v13, v5 neg_lo:[1,1,0]
	s_set_vgpr_msb 1                        ;  msbs: dst=0 src0=1 src1=0 src2=0
	ds_load_b32 v13, v18 /*v274*/
	s_set_vgpr_msb 0                        ;  msbs: dst=0 src0=0 src1=0 src2=0
	v_dot4_i32_iu8 v4, v25, v35, v5 neg_lo:[1,1,0]
	s_wait_dscnt 0x0
	v_ashrrev_i32_e32 v32, 24, v13
	s_set_vgpr_msb 4                        ;  msbs: dst=0 src0=0 src1=1 src2=0
	v_dot4_i32_iu8 v1, v237, v28 /*v284*/, v1 neg_lo:[1,1,0]
	v_bfe_i32 v141, v13, 0, 8
	v_bfe_i32 v143, v13, 8, 8
	;; [unrolled: 1-line block ×3, first 2 shown]
	s_set_vgpr_msb 0                        ;  msbs: dst=0 src0=0 src1=0 src2=0
	v_mul_lo_u32 v3, v11, v32
	s_set_vgpr_msb 1                        ;  msbs: dst=0 src0=1 src1=0 src2=0
	v_dot4_i32_iu8 v13, v9 /*v265*/, v150, v1 neg_lo:[1,1,0]
	s_set_vgpr_msb 0                        ;  msbs: dst=0 src0=0 src1=0 src2=0
	v_dot4_i32_iu8 v1, v35, v7, v12 neg_lo:[1,1,0]
	v_mul_lo_u32 v0, v0, v143
	s_delay_alu instid0(VALU_DEP_2) | instskip(NEXT) | instid1(VALU_DEP_2)
	v_mul_lo_u32 v1, v1, v141
	v_mad_u32 v0, v4, v141, v0
	s_delay_alu instid0(VALU_DEP_2) | instskip(SKIP_1) | instid1(VALU_DEP_3)
	v_mad_u32 v1, v2, v143, v1
	v_mul_lo_u32 v2, v10, v131
	v_cvt_f32_i32_e32 v0, v0
	s_delay_alu instid0(VALU_DEP_3) | instskip(NEXT) | instid1(VALU_DEP_3)
	v_cvt_f32_i32_e32 v1, v1
	v_mad_u32 v4, v6, v32, v2
	v_mad_u32 v2, v13, v131, v3
	s_delay_alu instid0(VALU_DEP_3) | instskip(NEXT) | instid1(VALU_DEP_3)
	v_pk_fma_f32 v[0:1], v[16:17], v[0:1], 0 op_sel_hi:[1,1,0]
	v_cvt_f32_i32_e32 v3, v4
	s_delay_alu instid0(VALU_DEP_3) | instskip(NEXT) | instid1(VALU_DEP_1)
	v_cvt_f32_i32_e32 v2, v2
	v_pk_fma_f32 v[0:1], v[8:9], v[2:3], v[0:1]
	s_delay_alu instid0(VALU_DEP_1) | instskip(SKIP_1) | instid1(VALU_DEP_1)
	v_pk_fma_f32 v[66:67], v[122:123], v[0:1], v[66:67]
	v_or_b32_e32 v0, s13, v195
	v_lshlrev_b32_e32 v12, 2, v0
	s_set_vgpr_msb 64                       ;  msbs: dst=1 src0=0 src1=0 src2=0
	v_lshrrev_b32_e32 v9 /*v265*/, 1, v0
	s_set_vgpr_msb 0                        ;  msbs: dst=0 src0=0 src1=0 src2=0
	ds_load_b128 v[4:7], v12 offset:33280
	ds_load_b128 v[0:3], v12 offset:33296
	;; [unrolled: 1-line block ×4, first 2 shown]
	s_wait_dscnt 0x3
	v_perm_b32 v22, v126, v5, 0x7060403
	s_wait_dscnt 0x2
	v_perm_b32 v21, v1, v138, 0x6040503
	;; [unrolled: 2-line block ×4, first 2 shown]
	v_perm_b32 v17, v13, v12, 0x6040503
	v_perm_b32 v18, v14, v13, 0x7060403
	;; [unrolled: 1-line block ×4, first 2 shown]
	s_set_vgpr_msb 4                        ;  msbs: dst=0 src0=0 src1=1 src2=0
	v_dot4_i32_iu8 v16, v16, v3 /*v259*/, 0 neg_lo:[1,1,0]
	s_set_vgpr_msb 0                        ;  msbs: dst=0 src0=0 src1=0 src2=0
	v_perm_b32 v14, v14, v14, 0xc0c0c01
	s_set_vgpr_msb 4                        ;  msbs: dst=0 src0=0 src1=1 src2=0
	s_delay_alu instid0(VALU_DEP_2) | instskip(SKIP_1) | instid1(VALU_DEP_1)
	v_dot4_i32_iu8 v16, v17, v4 /*v260*/, v16 neg_lo:[1,1,0]
	s_set_vgpr_msb 0x44                     ;  msbs: dst=1 src0=0 src1=1 src2=0
	v_dot4_i32_iu8 v10 /*v266*/, v18, v2 /*v258*/, v16 neg_lo:[1,1,0]
	s_set_vgpr_msb 0                        ;  msbs: dst=0 src0=0 src1=0 src2=0
	v_perm_b32 v16, v8, v179, 0x6040501
	s_set_vgpr_msb 0x50                     ;  msbs: dst=1 src0=0 src1=0 src2=1
	s_delay_alu instid0(VALU_DEP_2) | instskip(SKIP_1) | instid1(VALU_DEP_2)
	v_dot4_i32_iu8 v10 /*v266*/, v15, v135, v10 /*v266*/ neg_lo:[1,1,0]
	s_set_vgpr_msb 0                        ;  msbs: dst=0 src0=0 src1=0 src2=0
	v_dot4_i32_iu8 v16, v19, v16, 0 neg_lo:[1,1,0]
	v_perm_b32 v19, v178, v8, 0x6040503
	s_delay_alu instid0(VALU_DEP_1) | instskip(SKIP_3) | instid1(VALU_DEP_2)
	v_dot4_i32_iu8 v16, v20, v19, v16 neg_lo:[1,1,0]
	v_perm_b32 v19, v10, v9, 0x7060403
	v_perm_b32 v20, v138, v2, 0x6050401
	s_set_vgpr_msb 0x41                     ;  msbs: dst=1 src0=1 src1=0 src2=0
	v_dot4_i32_iu8 v11 /*v267*/, v5 /*v261*/, v19, v16 neg_lo:[1,1,0]
	s_set_vgpr_msb 0                        ;  msbs: dst=0 src0=0 src1=0 src2=0
	v_perm_b32 v16, v0, v124, 0x6050401
	s_set_vgpr_msb 0x50                     ;  msbs: dst=1 src0=0 src1=0 src2=1
	s_delay_alu instid0(VALU_DEP_2) | instskip(SKIP_1) | instid1(VALU_DEP_2)
	v_dot4_i32_iu8 v11 /*v267*/, v11, v130, v11 /*v267*/ neg_lo:[1,1,0]
	s_set_vgpr_msb 0                        ;  msbs: dst=0 src0=0 src1=0 src2=0
	v_dot4_i32_iu8 v16, v20, v16, 0 neg_lo:[1,1,0]
	v_perm_b32 v20, v139, v0, 0x6040503
	s_delay_alu instid0(VALU_DEP_1) | instskip(SKIP_3) | instid1(VALU_DEP_2)
	v_dot4_i32_iu8 v16, v21, v20, v16 neg_lo:[1,1,0]
	v_perm_b32 v20, v2, v1, 0x7060403
	v_perm_b32 v21, v136, v6, 0x6050401
	s_set_vgpr_msb 64                       ;  msbs: dst=1 src0=0 src1=0 src2=0
	v_dot4_i32_iu8 v12 /*v268*/, v20, v228, v16 neg_lo:[1,1,0]
	s_set_vgpr_msb 0                        ;  msbs: dst=0 src0=0 src1=0 src2=0
	v_perm_b32 v16, v4, v126, 0x6050401
	s_delay_alu instid0(VALU_DEP_1) | instskip(SKIP_2) | instid1(VALU_DEP_1)
	v_dot4_i32_iu8 v16, v21, v16, 0 neg_lo:[1,1,0]
	v_perm_b32 v21, v5, v4, 0x6040503
	s_set_vgpr_msb 1                        ;  msbs: dst=0 src0=1 src1=0 src2=0
	v_dot4_i32_iu8 v16, v8 /*v264*/, v21, v16 neg_lo:[1,1,0]
	s_set_vgpr_msb 64                       ;  msbs: dst=1 src0=0 src1=0 src2=0
	s_delay_alu instid0(VALU_DEP_1) | instskip(SKIP_3) | instid1(VALU_DEP_1)
	v_dot4_i32_iu8 v13 /*v269*/, v23, v22, v16 neg_lo:[1,1,0]
	s_set_vgpr_msb 0                        ;  msbs: dst=0 src0=0 src1=0 src2=0
	v_perm_b32 v16, v12, v33, 0x6040503
	v_or_b32_e32 v22, v252, v14
	v_dot4_i32_iu8 v16, v22, v16, 0 neg_lo:[1,1,0]
	v_perm_b32 v22, v13, v165, 0x6040503
	v_perm_b32 v13, v13, v151, 0x6040503
	s_delay_alu instid0(VALU_DEP_3) | instskip(SKIP_2) | instid1(VALU_DEP_2)
	v_dot4_i32_iu8 v16, v17, v253, v16 neg_lo:[1,1,0]
	v_perm_b32 v17, v148, v10, 0x6040501
	s_set_vgpr_msb 64                       ;  msbs: dst=1 src0=0 src1=0 src2=0
	v_dot4_i32_iu8 v14 /*v270*/, v254, v18, v16 neg_lo:[1,1,0]
	s_set_vgpr_msb 0                        ;  msbs: dst=0 src0=0 src1=0 src2=0
	v_perm_b32 v16, v8, v146, 0x6040501
	s_delay_alu instid0(VALU_DEP_1) | instskip(SKIP_1) | instid1(VALU_DEP_1)
	v_dot4_i32_iu8 v16, v17, v16, 0 neg_lo:[1,1,0]
	v_perm_b32 v17, v9, v8, 0x6040503
	v_dot4_i32_iu8 v16, v255, v17, v16 neg_lo:[1,1,0]
	v_perm_b32 v17, v142, v2, 0x6050401
	s_set_vgpr_msb 0x41                     ;  msbs: dst=1 src0=1 src1=0 src2=0
	s_delay_alu instid0(VALU_DEP_2) | instskip(SKIP_2) | instid1(VALU_DEP_1)
	v_dot4_i32_iu8 v15 /*v271*/, v0 /*v256*/, v19, v16 neg_lo:[1,1,0]
	s_set_vgpr_msb 0                        ;  msbs: dst=0 src0=0 src1=0 src2=0
	v_perm_b32 v16, v0, v128, 0x6050401
	v_dot4_i32_iu8 v16, v17, v16, 0 neg_lo:[1,1,0]
	v_perm_b32 v17, v1, v0, 0x6040503
	s_delay_alu instid0(VALU_DEP_1) | instskip(SKIP_1) | instid1(VALU_DEP_1)
	v_dot4_i32_iu8 v16, v240, v17, v16 neg_lo:[1,1,0]
	s_set_vgpr_msb 64                       ;  msbs: dst=1 src0=0 src1=0 src2=0
	v_dot4_i32_iu8 v16 /*v272*/, v241, v20, v16 neg_lo:[1,1,0]
	s_set_vgpr_msb 0                        ;  msbs: dst=0 src0=0 src1=0 src2=0
	v_perm_b32 v16, v4, v132, 0x6050401
	v_perm_b32 v20, v140, v6, 0x6050401
	s_delay_alu instid0(VALU_DEP_1) | instskip(SKIP_1) | instid1(VALU_DEP_2)
	v_dot4_i32_iu8 v16, v20, v16, 0 neg_lo:[1,1,0]
	v_perm_b32 v20, v6, v5, 0x7060403
	v_dot4_i32_iu8 v16, v244, v21, v16 neg_lo:[1,1,0]
	s_set_vgpr_msb 64                       ;  msbs: dst=1 src0=0 src1=0 src2=0
	s_delay_alu instid0(VALU_DEP_1) | instskip(SKIP_4) | instid1(VALU_DEP_2)
	v_dot4_i32_iu8 v17 /*v273*/, v245, v20, v16 neg_lo:[1,1,0]
	s_set_vgpr_msb 0                        ;  msbs: dst=0 src0=0 src1=0 src2=0
	v_perm_b32 v16, v12, v175, 0x6040501
	v_or_b32_e32 v20, v234, v14
	v_or_b32_e32 v14, v149, v14
	v_dot4_i32_iu8 v16, v20, v16, 0 neg_lo:[1,1,0]
	v_perm_b32 v20, v174, v12, 0x6040503
	s_delay_alu instid0(VALU_DEP_1)
	v_dot4_i32_iu8 v16, v22, v20, v16 neg_lo:[1,1,0]
	v_perm_b32 v20, v166, v10, 0x6040501
	v_perm_b32 v22, v9, v166, 0x6040503
	;; [unrolled: 1-line block ×4, first 2 shown]
	s_set_vgpr_msb 64                       ;  msbs: dst=1 src0=0 src1=0 src2=0
	v_dot4_i32_iu8 v18 /*v274*/, v236, v18, v16 neg_lo:[1,1,0]
	s_set_vgpr_msb 0                        ;  msbs: dst=0 src0=0 src1=0 src2=0
	v_perm_b32 v16, v8, v177, 0x6040501
	s_delay_alu instid0(VALU_DEP_1) | instskip(SKIP_1) | instid1(VALU_DEP_1)
	v_dot4_i32_iu8 v16, v20, v16, 0 neg_lo:[1,1,0]
	v_perm_b32 v20, v176, v8, 0x6040503
	v_dot4_i32_iu8 v16, v22, v20, v16 neg_lo:[1,1,0]
	v_perm_b32 v20, v162, v2, 0x6050401
	v_perm_b32 v22, v2, v163, 0x7060403
	s_set_vgpr_msb 0x41                     ;  msbs: dst=1 src0=1 src1=0 src2=0
	s_delay_alu instid0(VALU_DEP_3) | instskip(SKIP_3) | instid1(VALU_DEP_2)
	v_dot4_i32_iu8 v19 /*v275*/, v1 /*v257*/, v19, v16 neg_lo:[1,1,0]
	s_set_vgpr_msb 0                        ;  msbs: dst=0 src0=0 src1=0 src2=0
	v_perm_b32 v16, v0, v156, 0x6050401
	v_perm_b32 v0, v0, v144, 0x6050401
	v_dot4_i32_iu8 v16, v20, v16, 0 neg_lo:[1,1,0]
	v_perm_b32 v20, v156, v1, 0x7060403
	v_perm_b32 v1, v144, v1, 0x7060403
	s_delay_alu instid0(VALU_DEP_3) | instskip(SKIP_1) | instid1(VALU_DEP_1)
	v_dot4_i32_iu8 v16, v235, v17, v16 neg_lo:[1,1,0]
	s_set_vgpr_msb 64                       ;  msbs: dst=1 src0=0 src1=0 src2=0
	v_dot4_i32_iu8 v20 /*v276*/, v22, v20, v16 neg_lo:[1,1,0]
	s_set_vgpr_msb 0                        ;  msbs: dst=0 src0=0 src1=0 src2=0
	v_perm_b32 v16, v4, v158, 0x6050401
	v_perm_b32 v20, v168, v6, 0x6050401
	;; [unrolled: 1-line block ×3, first 2 shown]
	s_delay_alu instid0(VALU_DEP_2) | instskip(SKIP_2) | instid1(VALU_DEP_2)
	v_dot4_i32_iu8 v16, v20, v16, 0 neg_lo:[1,1,0]
	v_perm_b32 v20, v158, v5, 0x7060403
	s_set_vgpr_msb 1                        ;  msbs: dst=0 src0=1 src1=0 src2=0
	v_dot4_i32_iu8 v16, v7 /*v263*/, v21, v16 neg_lo:[1,1,0]
	s_set_vgpr_msb 64                       ;  msbs: dst=1 src0=0 src1=0 src2=0
	s_delay_alu instid0(VALU_DEP_1) | instskip(SKIP_3) | instid1(VALU_DEP_2)
	v_dot4_i32_iu8 v21 /*v277*/, v22, v20, v16 neg_lo:[1,1,0]
	s_set_vgpr_msb 0                        ;  msbs: dst=0 src0=0 src1=0 src2=0
	v_perm_b32 v16, v12, v171, 0x6040501
	v_perm_b32 v12, v170, v12, 0x6040503
	v_dot4_i32_iu8 v14, v14, v16, 0 neg_lo:[1,1,0]
	s_delay_alu instid0(VALU_DEP_1) | instskip(NEXT) | instid1(VALU_DEP_1)
	v_dot4_i32_iu8 v12, v13, v12, v14 neg_lo:[1,1,0]
	v_dot4_i32_iu8 v14, v229, v18, v12 neg_lo:[1,1,0]
	v_perm_b32 v12, v8, v173, 0x6040501
	v_perm_b32 v8, v172, v8, 0x6040503
	s_delay_alu instid0(VALU_DEP_2) | instskip(NEXT) | instid1(VALU_DEP_1)
	v_dot4_i32_iu8 v10, v10, v12, 0 neg_lo:[1,1,0]
	v_dot4_i32_iu8 v8, v9, v8, v10 neg_lo:[1,1,0]
	s_delay_alu instid0(VALU_DEP_1) | instskip(SKIP_2) | instid1(VALU_DEP_3)
	v_dot4_i32_iu8 v10, v237, v19, v8 neg_lo:[1,1,0]
	v_perm_b32 v8, v160, v2, 0x6050401
	v_perm_b32 v2, v2, v161, 0x7060403
	v_dot4_i32_iu8 v10, v11, v150, v10 neg_lo:[1,1,0]
	s_delay_alu instid0(VALU_DEP_3) | instskip(NEXT) | instid1(VALU_DEP_1)
	v_dot4_i32_iu8 v0, v8, v0, 0 neg_lo:[1,1,0]
	v_dot4_i32_iu8 v0, v147, v17, v0 neg_lo:[1,1,0]
	s_delay_alu instid0(VALU_DEP_1) | instskip(SKIP_3) | instid1(VALU_DEP_4)
	v_dot4_i32_iu8 v2, v2, v1, v0 neg_lo:[1,1,0]
	v_perm_b32 v0, v4, v34, 0x6050401
	v_perm_b32 v1, v154, v6, 0x6050401
	;; [unrolled: 1-line block ×3, first 2 shown]
	v_dot4_i32_iu8 v2, v3, v145, v2 neg_lo:[1,1,0]
	s_delay_alu instid0(VALU_DEP_3) | instskip(SKIP_2) | instid1(VALU_DEP_2)
	v_dot4_i32_iu8 v0, v1, v0, 0 neg_lo:[1,1,0]
	v_perm_b32 v1, v34, v5, 0x7060403
	s_set_vgpr_msb 1                        ;  msbs: dst=0 src0=1 src1=0 src2=0
	v_dot4_i32_iu8 v0, v6 /*v262*/, v21, v0 neg_lo:[1,1,0]
	s_set_vgpr_msb 0                        ;  msbs: dst=0 src0=0 src1=0 src2=0
	s_delay_alu instid0(VALU_DEP_1) | instskip(SKIP_1) | instid1(VALU_DEP_2)
	v_dot4_i32_iu8 v6, v4, v1, v0 neg_lo:[1,1,0]
	v_or_b32_e32 v0, s13, v196
	v_dot4_i32_iu8 v6, v7, v35, v6 neg_lo:[1,1,0]
	s_delay_alu instid0(VALU_DEP_2)
	v_lshlrev_b32_e32 v1, 2, v0
	ds_load_b128 v[16:19], v1 offset:33280
	ds_load_b128 v[20:23], v1 offset:33296
	;; [unrolled: 1-line block ×4, first 2 shown]
	v_lshrrev_b32_e32 v4, 1, v0
	v_mul_lo_u32 v6, v6, v141
	s_delay_alu instid0(VALU_DEP_1)
	v_mad_u32 v2, v2, v143, v6
	v_mul_lo_u32 v6, v10, v131
	s_wait_dscnt 0x3
	s_set_vgpr_msb 64                       ;  msbs: dst=1 src0=0 src1=0 src2=0
	v_perm_b32 v26 /*v282*/, v17, v16, 0x6040503
	s_wait_dscnt 0x2
	v_perm_b32 v25 /*v281*/, v22, v21, 0x7060403
	s_wait_dscnt 0x1
	s_set_vgpr_msb 0                        ;  msbs: dst=0 src0=0 src1=0 src2=0
	v_perm_b32 v1, v134, v26, 0x6040501
	s_wait_dscnt 0x0
	v_perm_b32 v0, v28, v30, 0x6040501
	s_set_vgpr_msb 64                       ;  msbs: dst=1 src0=0 src1=0 src2=0
	v_perm_b32 v22 /*v278*/, v29, v28, 0x6040503
	v_perm_b32 v23 /*v279*/, v30, v29, 0x7060403
	s_set_vgpr_msb 0                        ;  msbs: dst=0 src0=0 src1=0 src2=0
	v_perm_b32 v5, v25, v134, 0x6040503
	s_set_vgpr_msb 64                       ;  msbs: dst=1 src0=0 src1=0 src2=0
	v_perm_b32 v24 /*v280*/, v26, v25, 0x7060403
	s_set_vgpr_msb 4                        ;  msbs: dst=0 src0=0 src1=1 src2=0
	v_dot4_i32_iu8 v0, v0, v3 /*v259*/, 0 neg_lo:[1,1,0]
	s_set_vgpr_msb 0                        ;  msbs: dst=0 src0=0 src1=0 src2=0
	v_perm_b32 v30, v30, v30, 0xc0c0c01
	s_set_vgpr_msb 5                        ;  msbs: dst=0 src0=1 src1=1 src2=0
	s_delay_alu instid0(VALU_DEP_2) | instskip(NEXT) | instid1(VALU_DEP_1)
	v_dot4_i32_iu8 v0, v22 /*v278*/, v4 /*v260*/, v0 neg_lo:[1,1,0]
	v_dot4_i32_iu8 v8, v23 /*v279*/, v2 /*v258*/, v0 neg_lo:[1,1,0]
	s_set_vgpr_msb 0                        ;  msbs: dst=0 src0=0 src1=0 src2=0
	v_perm_b32 v0, v24, v179, 0x6040501
	s_delay_alu instid0(VALU_DEP_1) | instskip(SKIP_1) | instid1(VALU_DEP_1)
	v_dot4_i32_iu8 v0, v1, v0, 0 neg_lo:[1,1,0]
	v_perm_b32 v1, v178, v24, 0x6040503
	v_dot4_i32_iu8 v0, v5, v1, v0 neg_lo:[1,1,0]
	v_perm_b32 v1, v138, v22, 0x6050401
	v_perm_b32 v5, v21, v138, 0x6040503
	s_set_vgpr_msb 5                        ;  msbs: dst=0 src0=1 src1=1 src2=0
	s_delay_alu instid0(VALU_DEP_3) | instskip(SKIP_3) | instid1(VALU_DEP_2)
	v_dot4_i32_iu8 v9, v5 /*v261*/, v24 /*v280*/, v0 neg_lo:[1,1,0]
	s_set_vgpr_msb 0                        ;  msbs: dst=0 src0=0 src1=0 src2=0
	v_perm_b32 v0, v20, v124, 0x6050401
	s_set_vgpr_msb 64                       ;  msbs: dst=1 src0=0 src1=0 src2=0
	v_dot4_i32_iu8 v27 /*v283*/, v27, v130, v9 neg_lo:[1,1,0]
	s_set_vgpr_msb 16                       ;  msbs: dst=0 src0=0 src1=0 src2=1
	s_delay_alu instid0(VALU_DEP_2) | instskip(SKIP_3) | instid1(VALU_DEP_2)
	v_dot4_i32_iu8 v0, v1, v0, 0 neg_lo:[1,1,0]
	v_perm_b32 v1, v139, v20, 0x6040503
	v_dot4_i32_iu8 v9, v7, v127, v13 /*v269*/ neg_lo:[1,1,0]
	s_set_vgpr_msb 0                        ;  msbs: dst=0 src0=0 src1=0 src2=0
	v_dot4_i32_iu8 v0, v5, v1, v0 neg_lo:[1,1,0]
	v_perm_b32 v1, v136, v18, 0x6050401
	v_perm_b32 v5, v18, v137, 0x7060403
	v_mul_lo_u32 v9, v9, v242
	s_set_vgpr_msb 1                        ;  msbs: dst=0 src0=1 src1=0 src2=0
	v_dot4_i32_iu8 v12, v25 /*v281*/, v228, v0 neg_lo:[1,1,0]
	s_set_vgpr_msb 0                        ;  msbs: dst=0 src0=0 src1=0 src2=0
	v_perm_b32 v0, v16, v126, 0x6050401
	s_delay_alu instid0(VALU_DEP_1) | instskip(SKIP_2) | instid1(VALU_DEP_2)
	v_dot4_i32_iu8 v0, v1, v0, 0 neg_lo:[1,1,0]
	v_perm_b32 v1, v126, v17, 0x7060403
	s_set_vgpr_msb 5                        ;  msbs: dst=0 src0=1 src1=1 src2=0
	v_dot4_i32_iu8 v0, v8 /*v264*/, v26 /*v282*/, v0 neg_lo:[1,1,0]
	s_set_vgpr_msb 0                        ;  msbs: dst=0 src0=0 src1=0 src2=0
	s_delay_alu instid0(VALU_DEP_1)
	v_dot4_i32_iu8 v13, v5, v1, v0 neg_lo:[1,1,0]
	s_set_vgpr_msb 1                        ;  msbs: dst=0 src0=1 src1=0 src2=0
	ds_load_b64 v[0:1], v9 /*v265*/ offset:43584
	s_set_vgpr_msb 0                        ;  msbs: dst=0 src0=0 src1=0 src2=0
	ds_load_b64 v[4:5], v4 offset:43584
	s_set_vgpr_msb 64                       ;  msbs: dst=1 src0=0 src1=0 src2=0
	v_dot4_i32_iu8 v9 /*v265*/, v31, v135, v8 neg_lo:[1,1,0]
	s_set_vgpr_msb 0                        ;  msbs: dst=0 src0=0 src1=0 src2=0
	v_dot4_i32_iu8 v8, v23, v125, v12 neg_lo:[1,1,0]
	s_set_vgpr_msb 16                       ;  msbs: dst=0 src0=0 src1=0 src2=1
	v_dot4_i32_iu8 v12, v3, v125, v12 /*v268*/ neg_lo:[1,1,0]
	s_set_vgpr_msb 0                        ;  msbs: dst=0 src0=0 src1=0 src2=0
	v_dot4_i32_iu8 v13, v19, v127, v13 neg_lo:[1,1,0]
	v_mul_lo_u32 v8, v8, v243
	s_delay_alu instid0(VALU_DEP_3) | instskip(NEXT) | instid1(VALU_DEP_2)
	v_mad_u32 v9, v12, v243, v9
	v_mad_u32 v8, v13, v242, v8
	s_wait_dscnt 0x0
	v_dual_mov_b32 v13, v0 :: v_dual_mov_b32 v12, v4
	s_set_vgpr_msb 1                        ;  msbs: dst=0 src0=1 src1=0 src2=0
	v_mul_lo_u32 v0, v11 /*v267*/, v238
	v_mul_lo_u32 v4, v9 /*v265*/, v239
	s_set_vgpr_msb 0                        ;  msbs: dst=0 src0=0 src1=0 src2=0
	v_cvt_f32_i32_e32 v9, v9
	s_set_vgpr_msb 64                       ;  msbs: dst=1 src0=0 src1=0 src2=0
	v_perm_b32 v9 /*v265*/, v21, v20, 0x6040503
	s_set_vgpr_msb 0                        ;  msbs: dst=0 src0=0 src1=0 src2=0
	v_cvt_f32_i32_e32 v8, v8
	s_set_vgpr_msb 1                        ;  msbs: dst=0 src0=1 src1=0 src2=0
	v_mad_u32 v0, v10 /*v266*/, v239, v0
	v_mad_u32 v4, v27 /*v283*/, v238, v4
	s_set_vgpr_msb 0                        ;  msbs: dst=0 src0=0 src1=0 src2=0
	v_pk_fma_f32 v[8:9], v[12:13], v[8:9], 0 op_sel_hi:[1,1,0]
	s_set_vgpr_msb 64                       ;  msbs: dst=1 src0=0 src1=0 src2=0
	s_delay_alu instid0(VALU_DEP_3) | instskip(NEXT) | instid1(VALU_DEP_3)
	v_cvt_f32_i32_e32 v11 /*v267*/, v0
	v_cvt_f32_i32_e32 v10 /*v266*/, v4
	s_set_vgpr_msb 4                        ;  msbs: dst=0 src0=0 src1=1 src2=0
	v_mov_b32_e32 v0, v5
	s_delay_alu instid0(VALU_DEP_1)
	v_pk_fma_f32 v[4:5], v[0:1], v[10:11] /*v[266:267]*/, v[8:9]
	s_set_vgpr_msb 0                        ;  msbs: dst=0 src0=0 src1=0 src2=0
	v_perm_b32 v8, v148, v26, 0x6040501
	v_perm_b32 v9, v142, v22, 0x6050401
	s_set_vgpr_msb 64                       ;  msbs: dst=1 src0=0 src1=0 src2=0
	v_perm_b32 v10 /*v266*/, v140, v18, 0x6050401
	s_set_vgpr_msb 0                        ;  msbs: dst=0 src0=0 src1=0 src2=0
	v_pk_fma_f32 v[58:59], v[116:117], v[4:5], v[58:59]
	v_perm_b32 v4, v28, v33, 0x6040503
	v_or_b32_e32 v5, v252, v30
	s_delay_alu instid0(VALU_DEP_1) | instskip(SKIP_2) | instid1(VALU_DEP_2)
	v_dot4_i32_iu8 v4, v5, v4, 0 neg_lo:[1,1,0]
	v_perm_b32 v5, v24, v146, 0x6040501
	s_set_vgpr_msb 1                        ;  msbs: dst=0 src0=1 src1=0 src2=0
	v_dot4_i32_iu8 v4, v22 /*v278*/, v253, v4 neg_lo:[1,1,0]
	s_set_vgpr_msb 0                        ;  msbs: dst=0 src0=0 src1=0 src2=0
	s_delay_alu instid0(VALU_DEP_2) | instskip(SKIP_4) | instid1(VALU_DEP_2)
	v_dot4_i32_iu8 v5, v8, v5, 0 neg_lo:[1,1,0]
	v_perm_b32 v8, v25, v24, 0x6040503
	s_set_vgpr_msb 4                        ;  msbs: dst=0 src0=0 src1=1 src2=0
	v_dot4_i32_iu8 v4, v254, v23 /*v279*/, v4 neg_lo:[1,1,0]
	s_set_vgpr_msb 0                        ;  msbs: dst=0 src0=0 src1=0 src2=0
	v_dot4_i32_iu8 v5, v255, v8, v5 neg_lo:[1,1,0]
	v_perm_b32 v8, v20, v128, 0x6050401
	s_set_vgpr_msb 5                        ;  msbs: dst=0 src0=1 src1=1 src2=0
	s_delay_alu instid0(VALU_DEP_2) | instskip(SKIP_1) | instid1(VALU_DEP_2)
	v_dot4_i32_iu8 v5, v0 /*v256*/, v24 /*v280*/, v5 neg_lo:[1,1,0]
	s_set_vgpr_msb 0                        ;  msbs: dst=0 src0=0 src1=0 src2=0
	v_dot4_i32_iu8 v8, v9, v8, 0 neg_lo:[1,1,0]
	v_perm_b32 v9, v16, v132, 0x6050401
	s_set_vgpr_msb 4                        ;  msbs: dst=0 src0=0 src1=1 src2=0
	s_delay_alu instid0(VALU_DEP_2) | instskip(SKIP_1) | instid1(VALU_DEP_2)
	v_dot4_i32_iu8 v8, v240, v9 /*v265*/, v8 neg_lo:[1,1,0]
	s_set_vgpr_msb 1                        ;  msbs: dst=0 src0=1 src1=0 src2=0
	v_dot4_i32_iu8 v9, v10 /*v266*/, v9, 0 neg_lo:[1,1,0]
	s_set_vgpr_msb 64                       ;  msbs: dst=1 src0=0 src1=0 src2=0
	v_perm_b32 v10 /*v266*/, v18, v17, 0x7060403
	s_set_vgpr_msb 4                        ;  msbs: dst=0 src0=0 src1=1 src2=0
	v_dot4_i32_iu8 v8, v241, v25 /*v281*/, v8 neg_lo:[1,1,0]
	v_dot4_i32_iu8 v9, v244, v26 /*v282*/, v9 neg_lo:[1,1,0]
	s_delay_alu instid0(VALU_DEP_1) | instskip(SKIP_3) | instid1(VALU_DEP_2)
	v_dot4_i32_iu8 v9, v245, v10 /*v266*/, v9 neg_lo:[1,1,0]
	s_set_vgpr_msb 64                       ;  msbs: dst=1 src0=0 src1=0 src2=0
	v_perm_b32 v10 /*v266*/, v31, v31, 0x3020001
	s_set_vgpr_msb 0                        ;  msbs: dst=0 src0=0 src1=0 src2=0
	v_dot4_i32_iu8 v9, v19, v133, v9 neg_lo:[1,1,0]
	s_set_vgpr_msb 0x41                     ;  msbs: dst=1 src0=1 src1=0 src2=0
	s_delay_alu instid0(VALU_DEP_2) | instskip(SKIP_3) | instid1(VALU_DEP_1)
	v_dot4_i32_iu8 v10 /*v266*/, v10 /*v266*/, v250, v4 neg_lo:[1,1,0]
	s_set_vgpr_msb 0                        ;  msbs: dst=0 src0=0 src1=0 src2=0
	v_perm_b32 v4, v11, v11, 0x3020001
	s_set_vgpr_msb 0x50                     ;  msbs: dst=1 src0=0 src1=0 src2=1
	v_dot4_i32_iu8 v11 /*v267*/, v4, v251, v15 /*v271*/ neg_lo:[1,1,0]
	s_set_vgpr_msb 0                        ;  msbs: dst=0 src0=0 src1=0 src2=0
	v_perm_b32 v4, v15, v15, 0x3020001
	s_set_vgpr_msb 0x50                     ;  msbs: dst=1 src0=0 src1=0 src2=1
	s_delay_alu instid0(VALU_DEP_1) | instskip(SKIP_3) | instid1(VALU_DEP_1)
	v_dot4_i32_iu8 v12 /*v268*/, v4, v250, v14 /*v270*/ neg_lo:[1,1,0]
	s_set_vgpr_msb 0                        ;  msbs: dst=0 src0=0 src1=0 src2=0
	v_perm_b32 v4, v27, v27, 0x3020001
	s_set_vgpr_msb 64                       ;  msbs: dst=1 src0=0 src1=0 src2=0
	v_dot4_i32_iu8 v13 /*v269*/, v4, v251, v5 neg_lo:[1,1,0]
	s_set_vgpr_msb 0                        ;  msbs: dst=0 src0=0 src1=0 src2=0
	v_dot4_i32_iu8 v4, v23, v129, v8 neg_lo:[1,1,0]
	s_set_vgpr_msb 16                       ;  msbs: dst=0 src0=0 src1=0 src2=1
	v_dot4_i32_iu8 v5, v7, v133, v17 /*v273*/ neg_lo:[1,1,0]
	v_dot4_i32_iu8 v8, v3, v129, v16 /*v272*/ neg_lo:[1,1,0]
	s_delay_alu instid0(VALU_DEP_3) | instskip(NEXT) | instid1(VALU_DEP_3)
	v_mul_lo_u32 v4, v4, v248
	v_mul_lo_u32 v5, v5, v249
	s_set_vgpr_msb 0                        ;  msbs: dst=0 src0=0 src1=0 src2=0
	s_delay_alu instid0(VALU_DEP_2) | instskip(NEXT) | instid1(VALU_DEP_2)
	v_mad_u32 v4, v9, v249, v4
	v_mad_u32 v5, v8, v248, v5
	s_set_vgpr_msb 1                        ;  msbs: dst=0 src0=1 src1=0 src2=0
	v_mul_lo_u32 v8, v11 /*v267*/, v246
	v_mul_lo_u32 v9, v10 /*v266*/, v247
	s_set_vgpr_msb 64                       ;  msbs: dst=1 src0=0 src1=0 src2=0
	v_perm_b32 v11 /*v267*/, v18, v169, 0x7060403
	s_set_vgpr_msb 0                        ;  msbs: dst=0 src0=0 src1=0 src2=0
	v_cvt_f32_i32_e32 v4, v4
	v_cvt_f32_i32_e32 v5, v5
	s_set_vgpr_msb 1                        ;  msbs: dst=0 src0=1 src1=0 src2=0
	v_mad_u32 v8, v12 /*v268*/, v247, v8
	s_set_vgpr_msb 0x41                     ;  msbs: dst=1 src0=1 src1=0 src2=0
	v_mad_u32 v10 /*v266*/, v13 /*v269*/, v246, v9
	s_set_vgpr_msb 0x50                     ;  msbs: dst=1 src0=0 src1=0 src2=1
	v_dot4_i32_iu8 v12 /*v268*/, v15, v167, v18 /*v274*/ neg_lo:[1,1,0]
	s_set_vgpr_msb 0                        ;  msbs: dst=0 src0=0 src1=0 src2=0
	v_pk_fma_f32 v[4:5], v[12:13], v[4:5], 0 op_sel_hi:[1,1,0]
	s_delay_alu instid0(VALU_DEP_4) | instskip(SKIP_1) | instid1(VALU_DEP_4)
	v_cvt_f32_i32_e32 v9, v8
	s_set_vgpr_msb 1                        ;  msbs: dst=0 src0=1 src1=0 src2=0
	v_cvt_f32_i32_e32 v8, v10 /*v266*/
	s_set_vgpr_msb 64                       ;  msbs: dst=1 src0=0 src1=0 src2=0
	v_perm_b32 v10 /*v266*/, v22, v163, 0x7060403
	s_set_vgpr_msb 0                        ;  msbs: dst=0 src0=0 src1=0 src2=0
	s_delay_alu instid0(VALU_DEP_2) | instskip(SKIP_2) | instid1(VALU_DEP_3)
	v_pk_fma_f32 v[4:5], v[0:1], v[8:9], v[4:5]
	v_perm_b32 v8, v29, v165, 0x6040503
	v_perm_b32 v9, v25, v166, 0x6040503
	v_pk_fma_f32 v[56:57], v[118:119], v[4:5], v[56:57]
	v_perm_b32 v4, v28, v175, 0x6040501
	v_or_b32_e32 v5, v234, v30
	s_delay_alu instid0(VALU_DEP_1) | instskip(SKIP_1) | instid1(VALU_DEP_1)
	v_dot4_i32_iu8 v4, v5, v4, 0 neg_lo:[1,1,0]
	v_perm_b32 v5, v174, v28, 0x6040503
	v_dot4_i32_iu8 v4, v8, v5, v4 neg_lo:[1,1,0]
	v_perm_b32 v5, v24, v177, 0x6040501
	v_perm_b32 v8, v166, v26, 0x6040501
	s_set_vgpr_msb 4                        ;  msbs: dst=0 src0=0 src1=1 src2=0
	s_delay_alu instid0(VALU_DEP_3) | instskip(SKIP_1) | instid1(VALU_DEP_2)
	v_dot4_i32_iu8 v4, v236, v23 /*v279*/, v4 neg_lo:[1,1,0]
	s_set_vgpr_msb 0                        ;  msbs: dst=0 src0=0 src1=0 src2=0
	v_dot4_i32_iu8 v5, v8, v5, 0 neg_lo:[1,1,0]
	v_perm_b32 v8, v176, v24, 0x6040503
	s_delay_alu instid0(VALU_DEP_1) | instskip(SKIP_3) | instid1(VALU_DEP_3)
	v_dot4_i32_iu8 v5, v9, v8, v5 neg_lo:[1,1,0]
	v_perm_b32 v8, v20, v156, 0x6050401
	v_perm_b32 v9, v162, v22, 0x6050401
	s_set_vgpr_msb 5                        ;  msbs: dst=0 src0=1 src1=1 src2=0
	v_dot4_i32_iu8 v5, v1 /*v257*/, v24 /*v280*/, v5 neg_lo:[1,1,0]
	s_set_vgpr_msb 0                        ;  msbs: dst=0 src0=0 src1=0 src2=0
	s_delay_alu instid0(VALU_DEP_2)
	v_dot4_i32_iu8 v8, v9, v8, 0 neg_lo:[1,1,0]
	v_perm_b32 v9, v156, v21, 0x7060403
	s_set_vgpr_msb 64                       ;  msbs: dst=1 src0=0 src1=0 src2=0
	v_dot4_i32_iu8 v13 /*v269*/, v27, v164, v5 neg_lo:[1,1,0]
	s_set_vgpr_msb 16                       ;  msbs: dst=0 src0=0 src1=0 src2=1
	v_dot4_i32_iu8 v5, v7, v159, v21 /*v277*/ neg_lo:[1,1,0]
	s_set_vgpr_msb 4                        ;  msbs: dst=0 src0=0 src1=1 src2=0
	v_dot4_i32_iu8 v8, v235, v9 /*v265*/, v8 neg_lo:[1,1,0]
	s_set_vgpr_msb 0                        ;  msbs: dst=0 src0=0 src1=0 src2=0
	s_delay_alu instid0(VALU_DEP_2) | instskip(SKIP_1) | instid1(VALU_DEP_2)
	v_mul_lo_u32 v5, v5, v232
	s_set_vgpr_msb 1                        ;  msbs: dst=0 src0=1 src1=0 src2=0
	v_dot4_i32_iu8 v8, v10 /*v266*/, v9, v8 neg_lo:[1,1,0]
	s_set_vgpr_msb 0                        ;  msbs: dst=0 src0=0 src1=0 src2=0
	v_perm_b32 v9, v16, v158, 0x6050401
	s_set_vgpr_msb 64                       ;  msbs: dst=1 src0=0 src1=0 src2=0
	v_perm_b32 v10 /*v266*/, v168, v18, 0x6050401
	s_set_vgpr_msb 1                        ;  msbs: dst=0 src0=1 src1=0 src2=0
	s_delay_alu instid0(VALU_DEP_1) | instskip(SKIP_3) | instid1(VALU_DEP_2)
	v_dot4_i32_iu8 v9, v10 /*v266*/, v9, 0 neg_lo:[1,1,0]
	s_set_vgpr_msb 64                       ;  msbs: dst=1 src0=0 src1=0 src2=0
	v_perm_b32 v10 /*v266*/, v158, v17, 0x7060403
	s_set_vgpr_msb 5                        ;  msbs: dst=0 src0=1 src1=1 src2=0
	v_dot4_i32_iu8 v9, v7 /*v263*/, v26 /*v282*/, v9 neg_lo:[1,1,0]
	s_delay_alu instid0(VALU_DEP_1)
	v_dot4_i32_iu8 v9, v11 /*v267*/, v10 /*v266*/, v9 neg_lo:[1,1,0]
	s_set_vgpr_msb 64                       ;  msbs: dst=1 src0=0 src1=0 src2=0
	v_dot4_i32_iu8 v10 /*v266*/, v31, v167, v4 neg_lo:[1,1,0]
	s_set_vgpr_msb 0                        ;  msbs: dst=0 src0=0 src1=0 src2=0
	v_dot4_i32_iu8 v4, v23, v157, v8 neg_lo:[1,1,0]
	s_set_vgpr_msb 0x50                     ;  msbs: dst=1 src0=0 src1=0 src2=1
	v_dot4_i32_iu8 v11 /*v267*/, v11, v164, v19 /*v275*/ neg_lo:[1,1,0]
	s_set_vgpr_msb 16                       ;  msbs: dst=0 src0=0 src1=0 src2=1
	v_dot4_i32_iu8 v8, v3, v157, v20 /*v276*/ neg_lo:[1,1,0]
	s_set_vgpr_msb 0                        ;  msbs: dst=0 src0=0 src1=0 src2=0
	v_dot4_i32_iu8 v9, v19, v159, v9 neg_lo:[1,1,0]
	v_dot4_i32_iu8 v11, v15, v153, v14 neg_lo:[1,1,0]
	v_mul_lo_u32 v4, v4, v233
	v_mad_u32 v5, v8, v233, v5
	s_set_vgpr_msb 1                        ;  msbs: dst=0 src0=1 src1=0 src2=0
	v_mul_lo_u32 v8, v11 /*v267*/, v231
	s_set_vgpr_msb 0                        ;  msbs: dst=0 src0=0 src1=0 src2=0
	s_delay_alu instid0(VALU_DEP_3) | instskip(SKIP_3) | instid1(VALU_DEP_4)
	v_mad_u32 v4, v9, v232, v4
	s_set_vgpr_msb 1                        ;  msbs: dst=0 src0=1 src1=0 src2=0
	v_mul_lo_u32 v9, v10 /*v266*/, v230
	s_set_vgpr_msb 0                        ;  msbs: dst=0 src0=0 src1=0 src2=0
	v_cvt_f32_i32_e32 v5, v5
	s_set_vgpr_msb 1                        ;  msbs: dst=0 src0=1 src1=0 src2=0
	s_delay_alu instid0(VALU_DEP_4) | instskip(SKIP_1) | instid1(VALU_DEP_4)
	v_mad_u32 v8, v12 /*v268*/, v230, v8
	s_set_vgpr_msb 0                        ;  msbs: dst=0 src0=0 src1=0 src2=0
	v_cvt_f32_i32_e32 v4, v4
	s_set_vgpr_msb 0x41                     ;  msbs: dst=1 src0=1 src1=0 src2=0
	s_delay_alu instid0(VALU_DEP_4) | instskip(SKIP_1) | instid1(VALU_DEP_3)
	v_mad_u32 v10 /*v266*/, v13 /*v269*/, v231, v9
	s_set_vgpr_msb 0                        ;  msbs: dst=0 src0=0 src1=0 src2=0
	v_cvt_f32_i32_e32 v9, v8
	v_pk_fma_f32 v[4:5], v[12:13], v[4:5], 0 op_sel_hi:[1,1,0]
	s_set_vgpr_msb 1                        ;  msbs: dst=0 src0=1 src1=0 src2=0
	s_delay_alu instid0(VALU_DEP_3) | instskip(SKIP_1) | instid1(VALU_DEP_1)
	v_cvt_f32_i32_e32 v8, v10 /*v266*/
	s_set_vgpr_msb 0                        ;  msbs: dst=0 src0=0 src1=0 src2=0
	v_pk_fma_f32 v[4:5], v[0:1], v[8:9], v[4:5]
	v_perm_b32 v8, v29, v151, 0x6040503
	v_perm_b32 v9, v25, v152, 0x6040503
	s_delay_alu instid0(VALU_DEP_3) | instskip(SKIP_2) | instid1(VALU_DEP_1)
	v_pk_fma_f32 v[54:55], v[120:121], v[4:5], v[54:55]
	v_perm_b32 v4, v28, v171, 0x6040501
	v_or_b32_e32 v5, v149, v30
	v_dot4_i32_iu8 v4, v5, v4, 0 neg_lo:[1,1,0]
	v_perm_b32 v5, v170, v28, 0x6040503
	s_delay_alu instid0(VALU_DEP_1) | instskip(SKIP_3) | instid1(VALU_DEP_3)
	v_dot4_i32_iu8 v4, v8, v5, v4 neg_lo:[1,1,0]
	v_perm_b32 v5, v24, v173, 0x6040501
	v_perm_b32 v8, v152, v26, 0x6040501
	s_set_vgpr_msb 4                        ;  msbs: dst=0 src0=0 src1=1 src2=0
	v_dot4_i32_iu8 v4, v229, v23 /*v279*/, v4 neg_lo:[1,1,0]
	s_set_vgpr_msb 0                        ;  msbs: dst=0 src0=0 src1=0 src2=0
	s_delay_alu instid0(VALU_DEP_2) | instskip(SKIP_1) | instid1(VALU_DEP_3)
	v_dot4_i32_iu8 v5, v8, v5, 0 neg_lo:[1,1,0]
	v_perm_b32 v8, v172, v24, 0x6040503
	v_dot4_i32_iu8 v4, v31, v153, v4 neg_lo:[1,1,0]
	s_delay_alu instid0(VALU_DEP_2)
	v_dot4_i32_iu8 v5, v9, v8, v5 neg_lo:[1,1,0]
	v_perm_b32 v8, v20, v144, 0x6050401
	v_perm_b32 v9, v160, v22, 0x6050401
	;; [unrolled: 1-line block ×3, first 2 shown]
	v_mul_lo_u32 v4, v4, v32
	s_set_vgpr_msb 4                        ;  msbs: dst=0 src0=0 src1=1 src2=0
	v_dot4_i32_iu8 v5, v237, v24 /*v280*/, v5 neg_lo:[1,1,0]
	s_set_vgpr_msb 0                        ;  msbs: dst=0 src0=0 src1=0 src2=0
	v_dot4_i32_iu8 v8, v9, v8, 0 neg_lo:[1,1,0]
	v_perm_b32 v9, v144, v21, 0x7060403
	s_delay_alu instid0(VALU_DEP_3) | instskip(SKIP_1) | instid1(VALU_DEP_3)
	v_dot4_i32_iu8 v5, v27, v150, v5 neg_lo:[1,1,0]
	s_set_vgpr_msb 4                        ;  msbs: dst=0 src0=0 src1=1 src2=0
	v_dot4_i32_iu8 v8, v147, v9 /*v265*/, v8 neg_lo:[1,1,0]
	s_set_vgpr_msb 0                        ;  msbs: dst=0 src0=0 src1=0 src2=0
	s_delay_alu instid0(VALU_DEP_2) | instskip(SKIP_1) | instid1(VALU_DEP_3)
	v_mad_u32 v4, v5, v131, v4
	v_mad_u32 v5, v11, v32, v6
	v_dot4_i32_iu8 v8, v20, v9, v8 neg_lo:[1,1,0]
	v_perm_b32 v9, v16, v34, 0x6050401
	v_perm_b32 v16, v154, v18, 0x6050401
	s_delay_alu instid0(VALU_DEP_3) | instskip(NEXT) | instid1(VALU_DEP_2)
	v_dot4_i32_iu8 v8, v23, v145, v8 neg_lo:[1,1,0]
	v_dot4_i32_iu8 v9, v16, v9, 0 neg_lo:[1,1,0]
	v_perm_b32 v16, v34, v17, 0x7060403
	v_perm_b32 v17, v18, v155, 0x7060403
	s_delay_alu instid0(VALU_DEP_4)
	v_mul_lo_u32 v7, v8, v143
	v_cvt_f32_i32_e32 v5, v5
	s_set_vgpr_msb 5                        ;  msbs: dst=0 src0=1 src1=1 src2=0
	v_dot4_i32_iu8 v9, v6 /*v262*/, v26 /*v282*/, v9 neg_lo:[1,1,0]
	s_set_vgpr_msb 0                        ;  msbs: dst=0 src0=0 src1=0 src2=0
	v_cvt_f32_i32_e32 v4, v4
	s_delay_alu instid0(VALU_DEP_2) | instskip(NEXT) | instid1(VALU_DEP_1)
	v_dot4_i32_iu8 v9, v17, v16, v9 neg_lo:[1,1,0]
	v_dot4_i32_iu8 v3, v19, v35, v9 neg_lo:[1,1,0]
	s_delay_alu instid0(VALU_DEP_1) | instskip(SKIP_1) | instid1(VALU_DEP_2)
	v_mad_u32 v7, v3, v141, v7
	v_cvt_f32_i32_e32 v3, v2
	v_cvt_f32_i32_e32 v2, v7
	s_delay_alu instid0(VALU_DEP_1) | instskip(NEXT) | instid1(VALU_DEP_1)
	v_pk_fma_f32 v[2:3], v[12:13], v[2:3], 0 op_sel_hi:[1,1,0]
	v_pk_fma_f32 v[0:1], v[0:1], v[4:5], v[2:3]
	s_delay_alu instid0(VALU_DEP_1) | instskip(SKIP_1) | instid1(VALU_DEP_1)
	v_pk_fma_f32 v[52:53], v[122:123], v[0:1], v[52:53]
	v_or_b32_e32 v0, s13, v197
	v_lshlrev_b32_e32 v12, 2, v0
	s_set_vgpr_msb 64                       ;  msbs: dst=1 src0=0 src1=0 src2=0
	v_lshrrev_b32_e32 v9 /*v265*/, 1, v0
	s_set_vgpr_msb 0                        ;  msbs: dst=0 src0=0 src1=0 src2=0
	ds_load_b128 v[4:7], v12 offset:33280
	ds_load_b128 v[0:3], v12 offset:33296
	;; [unrolled: 1-line block ×4, first 2 shown]
	s_wait_dscnt 0x3
	v_perm_b32 v22, v126, v5, 0x7060403
	s_wait_dscnt 0x2
	v_perm_b32 v21, v1, v138, 0x6040503
	;; [unrolled: 2-line block ×4, first 2 shown]
	v_perm_b32 v17, v13, v12, 0x6040503
	v_perm_b32 v18, v14, v13, 0x7060403
	;; [unrolled: 1-line block ×4, first 2 shown]
	s_set_vgpr_msb 4                        ;  msbs: dst=0 src0=0 src1=1 src2=0
	v_dot4_i32_iu8 v16, v16, v3 /*v259*/, 0 neg_lo:[1,1,0]
	s_set_vgpr_msb 0                        ;  msbs: dst=0 src0=0 src1=0 src2=0
	v_perm_b32 v14, v14, v14, 0xc0c0c01
	s_set_vgpr_msb 4                        ;  msbs: dst=0 src0=0 src1=1 src2=0
	s_delay_alu instid0(VALU_DEP_2) | instskip(SKIP_1) | instid1(VALU_DEP_1)
	v_dot4_i32_iu8 v16, v17, v4 /*v260*/, v16 neg_lo:[1,1,0]
	s_set_vgpr_msb 0x44                     ;  msbs: dst=1 src0=0 src1=1 src2=0
	v_dot4_i32_iu8 v10 /*v266*/, v18, v2 /*v258*/, v16 neg_lo:[1,1,0]
	s_set_vgpr_msb 0                        ;  msbs: dst=0 src0=0 src1=0 src2=0
	v_perm_b32 v16, v8, v179, 0x6040501
	s_set_vgpr_msb 0x50                     ;  msbs: dst=1 src0=0 src1=0 src2=1
	s_delay_alu instid0(VALU_DEP_2) | instskip(SKIP_1) | instid1(VALU_DEP_2)
	v_dot4_i32_iu8 v10 /*v266*/, v15, v135, v10 /*v266*/ neg_lo:[1,1,0]
	s_set_vgpr_msb 0                        ;  msbs: dst=0 src0=0 src1=0 src2=0
	v_dot4_i32_iu8 v16, v19, v16, 0 neg_lo:[1,1,0]
	v_perm_b32 v19, v178, v8, 0x6040503
	s_delay_alu instid0(VALU_DEP_1) | instskip(SKIP_3) | instid1(VALU_DEP_2)
	v_dot4_i32_iu8 v16, v20, v19, v16 neg_lo:[1,1,0]
	v_perm_b32 v19, v10, v9, 0x7060403
	v_perm_b32 v20, v138, v2, 0x6050401
	s_set_vgpr_msb 0x41                     ;  msbs: dst=1 src0=1 src1=0 src2=0
	v_dot4_i32_iu8 v11 /*v267*/, v5 /*v261*/, v19, v16 neg_lo:[1,1,0]
	s_set_vgpr_msb 0                        ;  msbs: dst=0 src0=0 src1=0 src2=0
	v_perm_b32 v16, v0, v124, 0x6050401
	s_set_vgpr_msb 0x50                     ;  msbs: dst=1 src0=0 src1=0 src2=1
	s_delay_alu instid0(VALU_DEP_2) | instskip(SKIP_1) | instid1(VALU_DEP_2)
	v_dot4_i32_iu8 v11 /*v267*/, v11, v130, v11 /*v267*/ neg_lo:[1,1,0]
	s_set_vgpr_msb 0                        ;  msbs: dst=0 src0=0 src1=0 src2=0
	v_dot4_i32_iu8 v16, v20, v16, 0 neg_lo:[1,1,0]
	v_perm_b32 v20, v139, v0, 0x6040503
	s_delay_alu instid0(VALU_DEP_1) | instskip(SKIP_3) | instid1(VALU_DEP_2)
	v_dot4_i32_iu8 v16, v21, v20, v16 neg_lo:[1,1,0]
	v_perm_b32 v20, v2, v1, 0x7060403
	v_perm_b32 v21, v136, v6, 0x6050401
	s_set_vgpr_msb 64                       ;  msbs: dst=1 src0=0 src1=0 src2=0
	v_dot4_i32_iu8 v12 /*v268*/, v20, v228, v16 neg_lo:[1,1,0]
	s_set_vgpr_msb 0                        ;  msbs: dst=0 src0=0 src1=0 src2=0
	v_perm_b32 v16, v4, v126, 0x6050401
	s_delay_alu instid0(VALU_DEP_1) | instskip(SKIP_2) | instid1(VALU_DEP_1)
	v_dot4_i32_iu8 v16, v21, v16, 0 neg_lo:[1,1,0]
	v_perm_b32 v21, v5, v4, 0x6040503
	s_set_vgpr_msb 1                        ;  msbs: dst=0 src0=1 src1=0 src2=0
	v_dot4_i32_iu8 v16, v8 /*v264*/, v21, v16 neg_lo:[1,1,0]
	s_set_vgpr_msb 64                       ;  msbs: dst=1 src0=0 src1=0 src2=0
	s_delay_alu instid0(VALU_DEP_1) | instskip(SKIP_3) | instid1(VALU_DEP_1)
	v_dot4_i32_iu8 v13 /*v269*/, v23, v22, v16 neg_lo:[1,1,0]
	s_set_vgpr_msb 0                        ;  msbs: dst=0 src0=0 src1=0 src2=0
	v_perm_b32 v16, v12, v33, 0x6040503
	v_or_b32_e32 v22, v252, v14
	v_dot4_i32_iu8 v16, v22, v16, 0 neg_lo:[1,1,0]
	v_perm_b32 v22, v13, v165, 0x6040503
	v_perm_b32 v13, v13, v151, 0x6040503
	s_delay_alu instid0(VALU_DEP_3) | instskip(SKIP_2) | instid1(VALU_DEP_2)
	v_dot4_i32_iu8 v16, v17, v253, v16 neg_lo:[1,1,0]
	v_perm_b32 v17, v148, v10, 0x6040501
	s_set_vgpr_msb 64                       ;  msbs: dst=1 src0=0 src1=0 src2=0
	v_dot4_i32_iu8 v14 /*v270*/, v254, v18, v16 neg_lo:[1,1,0]
	s_set_vgpr_msb 0                        ;  msbs: dst=0 src0=0 src1=0 src2=0
	v_perm_b32 v16, v8, v146, 0x6040501
	s_delay_alu instid0(VALU_DEP_1) | instskip(SKIP_1) | instid1(VALU_DEP_1)
	v_dot4_i32_iu8 v16, v17, v16, 0 neg_lo:[1,1,0]
	v_perm_b32 v17, v9, v8, 0x6040503
	v_dot4_i32_iu8 v16, v255, v17, v16 neg_lo:[1,1,0]
	v_perm_b32 v17, v142, v2, 0x6050401
	s_set_vgpr_msb 0x41                     ;  msbs: dst=1 src0=1 src1=0 src2=0
	s_delay_alu instid0(VALU_DEP_2) | instskip(SKIP_2) | instid1(VALU_DEP_1)
	v_dot4_i32_iu8 v15 /*v271*/, v0 /*v256*/, v19, v16 neg_lo:[1,1,0]
	s_set_vgpr_msb 0                        ;  msbs: dst=0 src0=0 src1=0 src2=0
	v_perm_b32 v16, v0, v128, 0x6050401
	v_dot4_i32_iu8 v16, v17, v16, 0 neg_lo:[1,1,0]
	v_perm_b32 v17, v1, v0, 0x6040503
	s_delay_alu instid0(VALU_DEP_1) | instskip(SKIP_1) | instid1(VALU_DEP_1)
	v_dot4_i32_iu8 v16, v240, v17, v16 neg_lo:[1,1,0]
	s_set_vgpr_msb 64                       ;  msbs: dst=1 src0=0 src1=0 src2=0
	v_dot4_i32_iu8 v16 /*v272*/, v241, v20, v16 neg_lo:[1,1,0]
	s_set_vgpr_msb 0                        ;  msbs: dst=0 src0=0 src1=0 src2=0
	v_perm_b32 v16, v4, v132, 0x6050401
	v_perm_b32 v20, v140, v6, 0x6050401
	s_delay_alu instid0(VALU_DEP_1) | instskip(SKIP_1) | instid1(VALU_DEP_2)
	v_dot4_i32_iu8 v16, v20, v16, 0 neg_lo:[1,1,0]
	v_perm_b32 v20, v6, v5, 0x7060403
	v_dot4_i32_iu8 v16, v244, v21, v16 neg_lo:[1,1,0]
	s_set_vgpr_msb 64                       ;  msbs: dst=1 src0=0 src1=0 src2=0
	s_delay_alu instid0(VALU_DEP_1) | instskip(SKIP_4) | instid1(VALU_DEP_2)
	v_dot4_i32_iu8 v17 /*v273*/, v245, v20, v16 neg_lo:[1,1,0]
	s_set_vgpr_msb 0                        ;  msbs: dst=0 src0=0 src1=0 src2=0
	v_perm_b32 v16, v12, v175, 0x6040501
	v_or_b32_e32 v20, v234, v14
	v_or_b32_e32 v14, v149, v14
	v_dot4_i32_iu8 v16, v20, v16, 0 neg_lo:[1,1,0]
	v_perm_b32 v20, v174, v12, 0x6040503
	s_delay_alu instid0(VALU_DEP_1)
	v_dot4_i32_iu8 v16, v22, v20, v16 neg_lo:[1,1,0]
	v_perm_b32 v20, v166, v10, 0x6040501
	v_perm_b32 v22, v9, v166, 0x6040503
	;; [unrolled: 1-line block ×4, first 2 shown]
	s_set_vgpr_msb 64                       ;  msbs: dst=1 src0=0 src1=0 src2=0
	v_dot4_i32_iu8 v18 /*v274*/, v236, v18, v16 neg_lo:[1,1,0]
	s_set_vgpr_msb 0                        ;  msbs: dst=0 src0=0 src1=0 src2=0
	v_perm_b32 v16, v8, v177, 0x6040501
	s_delay_alu instid0(VALU_DEP_1) | instskip(SKIP_1) | instid1(VALU_DEP_1)
	v_dot4_i32_iu8 v16, v20, v16, 0 neg_lo:[1,1,0]
	v_perm_b32 v20, v176, v8, 0x6040503
	v_dot4_i32_iu8 v16, v22, v20, v16 neg_lo:[1,1,0]
	v_perm_b32 v20, v162, v2, 0x6050401
	v_perm_b32 v22, v2, v163, 0x7060403
	s_set_vgpr_msb 0x41                     ;  msbs: dst=1 src0=1 src1=0 src2=0
	s_delay_alu instid0(VALU_DEP_3) | instskip(SKIP_3) | instid1(VALU_DEP_2)
	v_dot4_i32_iu8 v19 /*v275*/, v1 /*v257*/, v19, v16 neg_lo:[1,1,0]
	s_set_vgpr_msb 0                        ;  msbs: dst=0 src0=0 src1=0 src2=0
	v_perm_b32 v16, v0, v156, 0x6050401
	v_perm_b32 v0, v0, v144, 0x6050401
	v_dot4_i32_iu8 v16, v20, v16, 0 neg_lo:[1,1,0]
	v_perm_b32 v20, v156, v1, 0x7060403
	v_perm_b32 v1, v144, v1, 0x7060403
	s_delay_alu instid0(VALU_DEP_3) | instskip(SKIP_1) | instid1(VALU_DEP_1)
	v_dot4_i32_iu8 v16, v235, v17, v16 neg_lo:[1,1,0]
	s_set_vgpr_msb 64                       ;  msbs: dst=1 src0=0 src1=0 src2=0
	v_dot4_i32_iu8 v20 /*v276*/, v22, v20, v16 neg_lo:[1,1,0]
	s_set_vgpr_msb 0                        ;  msbs: dst=0 src0=0 src1=0 src2=0
	v_perm_b32 v16, v4, v158, 0x6050401
	v_perm_b32 v20, v168, v6, 0x6050401
	;; [unrolled: 1-line block ×3, first 2 shown]
	s_delay_alu instid0(VALU_DEP_2) | instskip(SKIP_2) | instid1(VALU_DEP_2)
	v_dot4_i32_iu8 v16, v20, v16, 0 neg_lo:[1,1,0]
	v_perm_b32 v20, v158, v5, 0x7060403
	s_set_vgpr_msb 1                        ;  msbs: dst=0 src0=1 src1=0 src2=0
	v_dot4_i32_iu8 v16, v7 /*v263*/, v21, v16 neg_lo:[1,1,0]
	s_set_vgpr_msb 64                       ;  msbs: dst=1 src0=0 src1=0 src2=0
	s_delay_alu instid0(VALU_DEP_1) | instskip(SKIP_3) | instid1(VALU_DEP_2)
	v_dot4_i32_iu8 v21 /*v277*/, v22, v20, v16 neg_lo:[1,1,0]
	s_set_vgpr_msb 0                        ;  msbs: dst=0 src0=0 src1=0 src2=0
	v_perm_b32 v16, v12, v171, 0x6040501
	v_perm_b32 v12, v170, v12, 0x6040503
	v_dot4_i32_iu8 v14, v14, v16, 0 neg_lo:[1,1,0]
	s_delay_alu instid0(VALU_DEP_1) | instskip(NEXT) | instid1(VALU_DEP_1)
	v_dot4_i32_iu8 v12, v13, v12, v14 neg_lo:[1,1,0]
	v_dot4_i32_iu8 v14, v229, v18, v12 neg_lo:[1,1,0]
	v_perm_b32 v12, v8, v173, 0x6040501
	v_perm_b32 v8, v172, v8, 0x6040503
	s_delay_alu instid0(VALU_DEP_2) | instskip(NEXT) | instid1(VALU_DEP_1)
	v_dot4_i32_iu8 v10, v10, v12, 0 neg_lo:[1,1,0]
	v_dot4_i32_iu8 v8, v9, v8, v10 neg_lo:[1,1,0]
	s_delay_alu instid0(VALU_DEP_1) | instskip(SKIP_2) | instid1(VALU_DEP_3)
	v_dot4_i32_iu8 v10, v237, v19, v8 neg_lo:[1,1,0]
	v_perm_b32 v8, v160, v2, 0x6050401
	v_perm_b32 v2, v2, v161, 0x7060403
	v_dot4_i32_iu8 v10, v11, v150, v10 neg_lo:[1,1,0]
	s_delay_alu instid0(VALU_DEP_3) | instskip(NEXT) | instid1(VALU_DEP_1)
	v_dot4_i32_iu8 v0, v8, v0, 0 neg_lo:[1,1,0]
	v_dot4_i32_iu8 v0, v147, v17, v0 neg_lo:[1,1,0]
	s_delay_alu instid0(VALU_DEP_1) | instskip(SKIP_3) | instid1(VALU_DEP_4)
	v_dot4_i32_iu8 v2, v2, v1, v0 neg_lo:[1,1,0]
	v_perm_b32 v0, v4, v34, 0x6050401
	v_perm_b32 v1, v154, v6, 0x6050401
	;; [unrolled: 1-line block ×3, first 2 shown]
	v_dot4_i32_iu8 v2, v3, v145, v2 neg_lo:[1,1,0]
	s_delay_alu instid0(VALU_DEP_3) | instskip(SKIP_2) | instid1(VALU_DEP_2)
	v_dot4_i32_iu8 v0, v1, v0, 0 neg_lo:[1,1,0]
	v_perm_b32 v1, v34, v5, 0x7060403
	s_set_vgpr_msb 1                        ;  msbs: dst=0 src0=1 src1=0 src2=0
	v_dot4_i32_iu8 v0, v6 /*v262*/, v21, v0 neg_lo:[1,1,0]
	s_set_vgpr_msb 0                        ;  msbs: dst=0 src0=0 src1=0 src2=0
	s_delay_alu instid0(VALU_DEP_1) | instskip(SKIP_1) | instid1(VALU_DEP_2)
	v_dot4_i32_iu8 v6, v4, v1, v0 neg_lo:[1,1,0]
	v_or_b32_e32 v0, s13, v198
	v_dot4_i32_iu8 v6, v7, v35, v6 neg_lo:[1,1,0]
	s_delay_alu instid0(VALU_DEP_2)
	v_lshlrev_b32_e32 v1, 2, v0
	ds_load_b128 v[16:19], v1 offset:33280
	ds_load_b128 v[20:23], v1 offset:33296
	;; [unrolled: 1-line block ×4, first 2 shown]
	v_lshrrev_b32_e32 v4, 1, v0
	v_mul_lo_u32 v6, v6, v141
	s_delay_alu instid0(VALU_DEP_1)
	v_mad_u32 v2, v2, v143, v6
	v_mul_lo_u32 v6, v10, v131
	s_wait_dscnt 0x3
	s_set_vgpr_msb 64                       ;  msbs: dst=1 src0=0 src1=0 src2=0
	v_perm_b32 v26 /*v282*/, v17, v16, 0x6040503
	s_wait_dscnt 0x2
	v_perm_b32 v25 /*v281*/, v22, v21, 0x7060403
	s_wait_dscnt 0x1
	s_set_vgpr_msb 0                        ;  msbs: dst=0 src0=0 src1=0 src2=0
	v_perm_b32 v1, v134, v26, 0x6040501
	s_wait_dscnt 0x0
	v_perm_b32 v0, v28, v30, 0x6040501
	s_set_vgpr_msb 64                       ;  msbs: dst=1 src0=0 src1=0 src2=0
	v_perm_b32 v22 /*v278*/, v29, v28, 0x6040503
	v_perm_b32 v23 /*v279*/, v30, v29, 0x7060403
	s_set_vgpr_msb 0                        ;  msbs: dst=0 src0=0 src1=0 src2=0
	v_perm_b32 v5, v25, v134, 0x6040503
	s_set_vgpr_msb 64                       ;  msbs: dst=1 src0=0 src1=0 src2=0
	v_perm_b32 v24 /*v280*/, v26, v25, 0x7060403
	s_set_vgpr_msb 4                        ;  msbs: dst=0 src0=0 src1=1 src2=0
	v_dot4_i32_iu8 v0, v0, v3 /*v259*/, 0 neg_lo:[1,1,0]
	s_set_vgpr_msb 0                        ;  msbs: dst=0 src0=0 src1=0 src2=0
	v_perm_b32 v30, v30, v30, 0xc0c0c01
	s_set_vgpr_msb 5                        ;  msbs: dst=0 src0=1 src1=1 src2=0
	s_delay_alu instid0(VALU_DEP_2) | instskip(NEXT) | instid1(VALU_DEP_1)
	v_dot4_i32_iu8 v0, v22 /*v278*/, v4 /*v260*/, v0 neg_lo:[1,1,0]
	v_dot4_i32_iu8 v8, v23 /*v279*/, v2 /*v258*/, v0 neg_lo:[1,1,0]
	s_set_vgpr_msb 0                        ;  msbs: dst=0 src0=0 src1=0 src2=0
	v_perm_b32 v0, v24, v179, 0x6040501
	s_delay_alu instid0(VALU_DEP_1) | instskip(SKIP_1) | instid1(VALU_DEP_1)
	v_dot4_i32_iu8 v0, v1, v0, 0 neg_lo:[1,1,0]
	v_perm_b32 v1, v178, v24, 0x6040503
	v_dot4_i32_iu8 v0, v5, v1, v0 neg_lo:[1,1,0]
	v_perm_b32 v1, v138, v22, 0x6050401
	v_perm_b32 v5, v21, v138, 0x6040503
	s_set_vgpr_msb 5                        ;  msbs: dst=0 src0=1 src1=1 src2=0
	s_delay_alu instid0(VALU_DEP_3) | instskip(SKIP_3) | instid1(VALU_DEP_2)
	v_dot4_i32_iu8 v9, v5 /*v261*/, v24 /*v280*/, v0 neg_lo:[1,1,0]
	s_set_vgpr_msb 0                        ;  msbs: dst=0 src0=0 src1=0 src2=0
	v_perm_b32 v0, v20, v124, 0x6050401
	s_set_vgpr_msb 64                       ;  msbs: dst=1 src0=0 src1=0 src2=0
	v_dot4_i32_iu8 v27 /*v283*/, v27, v130, v9 neg_lo:[1,1,0]
	s_set_vgpr_msb 16                       ;  msbs: dst=0 src0=0 src1=0 src2=1
	s_delay_alu instid0(VALU_DEP_2) | instskip(SKIP_3) | instid1(VALU_DEP_2)
	v_dot4_i32_iu8 v0, v1, v0, 0 neg_lo:[1,1,0]
	v_perm_b32 v1, v139, v20, 0x6040503
	v_dot4_i32_iu8 v9, v7, v127, v13 /*v269*/ neg_lo:[1,1,0]
	s_set_vgpr_msb 0                        ;  msbs: dst=0 src0=0 src1=0 src2=0
	v_dot4_i32_iu8 v0, v5, v1, v0 neg_lo:[1,1,0]
	v_perm_b32 v1, v136, v18, 0x6050401
	v_perm_b32 v5, v18, v137, 0x7060403
	v_mul_lo_u32 v9, v9, v242
	s_set_vgpr_msb 1                        ;  msbs: dst=0 src0=1 src1=0 src2=0
	v_dot4_i32_iu8 v12, v25 /*v281*/, v228, v0 neg_lo:[1,1,0]
	s_set_vgpr_msb 0                        ;  msbs: dst=0 src0=0 src1=0 src2=0
	v_perm_b32 v0, v16, v126, 0x6050401
	s_delay_alu instid0(VALU_DEP_1) | instskip(SKIP_2) | instid1(VALU_DEP_2)
	v_dot4_i32_iu8 v0, v1, v0, 0 neg_lo:[1,1,0]
	v_perm_b32 v1, v126, v17, 0x7060403
	s_set_vgpr_msb 5                        ;  msbs: dst=0 src0=1 src1=1 src2=0
	v_dot4_i32_iu8 v0, v8 /*v264*/, v26 /*v282*/, v0 neg_lo:[1,1,0]
	s_set_vgpr_msb 0                        ;  msbs: dst=0 src0=0 src1=0 src2=0
	s_delay_alu instid0(VALU_DEP_1)
	v_dot4_i32_iu8 v13, v5, v1, v0 neg_lo:[1,1,0]
	s_set_vgpr_msb 1                        ;  msbs: dst=0 src0=1 src1=0 src2=0
	ds_load_b64 v[0:1], v9 /*v265*/ offset:43584
	s_set_vgpr_msb 0                        ;  msbs: dst=0 src0=0 src1=0 src2=0
	ds_load_b64 v[4:5], v4 offset:43584
	s_set_vgpr_msb 64                       ;  msbs: dst=1 src0=0 src1=0 src2=0
	v_dot4_i32_iu8 v9 /*v265*/, v31, v135, v8 neg_lo:[1,1,0]
	s_set_vgpr_msb 0                        ;  msbs: dst=0 src0=0 src1=0 src2=0
	v_dot4_i32_iu8 v8, v23, v125, v12 neg_lo:[1,1,0]
	s_set_vgpr_msb 16                       ;  msbs: dst=0 src0=0 src1=0 src2=1
	v_dot4_i32_iu8 v12, v3, v125, v12 /*v268*/ neg_lo:[1,1,0]
	s_set_vgpr_msb 0                        ;  msbs: dst=0 src0=0 src1=0 src2=0
	v_dot4_i32_iu8 v13, v19, v127, v13 neg_lo:[1,1,0]
	v_mul_lo_u32 v8, v8, v243
	s_delay_alu instid0(VALU_DEP_3) | instskip(NEXT) | instid1(VALU_DEP_2)
	v_mad_u32 v9, v12, v243, v9
	v_mad_u32 v8, v13, v242, v8
	s_wait_dscnt 0x0
	v_dual_mov_b32 v13, v0 :: v_dual_mov_b32 v12, v4
	s_set_vgpr_msb 1                        ;  msbs: dst=0 src0=1 src1=0 src2=0
	v_mul_lo_u32 v0, v11 /*v267*/, v238
	v_mul_lo_u32 v4, v9 /*v265*/, v239
	s_set_vgpr_msb 0                        ;  msbs: dst=0 src0=0 src1=0 src2=0
	v_cvt_f32_i32_e32 v9, v9
	s_set_vgpr_msb 64                       ;  msbs: dst=1 src0=0 src1=0 src2=0
	v_perm_b32 v9 /*v265*/, v21, v20, 0x6040503
	s_set_vgpr_msb 0                        ;  msbs: dst=0 src0=0 src1=0 src2=0
	v_cvt_f32_i32_e32 v8, v8
	s_set_vgpr_msb 1                        ;  msbs: dst=0 src0=1 src1=0 src2=0
	v_mad_u32 v0, v10 /*v266*/, v239, v0
	v_mad_u32 v4, v27 /*v283*/, v238, v4
	s_set_vgpr_msb 0                        ;  msbs: dst=0 src0=0 src1=0 src2=0
	v_pk_fma_f32 v[8:9], v[12:13], v[8:9], 0 op_sel_hi:[1,1,0]
	s_set_vgpr_msb 64                       ;  msbs: dst=1 src0=0 src1=0 src2=0
	s_delay_alu instid0(VALU_DEP_3) | instskip(NEXT) | instid1(VALU_DEP_3)
	v_cvt_f32_i32_e32 v11 /*v267*/, v0
	v_cvt_f32_i32_e32 v10 /*v266*/, v4
	s_set_vgpr_msb 4                        ;  msbs: dst=0 src0=0 src1=1 src2=0
	v_mov_b32_e32 v0, v5
	s_delay_alu instid0(VALU_DEP_1)
	v_pk_fma_f32 v[4:5], v[0:1], v[10:11] /*v[266:267]*/, v[8:9]
	s_set_vgpr_msb 0                        ;  msbs: dst=0 src0=0 src1=0 src2=0
	v_perm_b32 v8, v148, v26, 0x6040501
	v_perm_b32 v9, v142, v22, 0x6050401
	s_set_vgpr_msb 64                       ;  msbs: dst=1 src0=0 src1=0 src2=0
	v_perm_b32 v10 /*v266*/, v140, v18, 0x6050401
	s_set_vgpr_msb 0                        ;  msbs: dst=0 src0=0 src1=0 src2=0
	v_pk_fma_f32 v[50:51], v[116:117], v[4:5], v[50:51]
	v_perm_b32 v4, v28, v33, 0x6040503
	v_or_b32_e32 v5, v252, v30
	s_delay_alu instid0(VALU_DEP_1) | instskip(SKIP_2) | instid1(VALU_DEP_2)
	v_dot4_i32_iu8 v4, v5, v4, 0 neg_lo:[1,1,0]
	v_perm_b32 v5, v24, v146, 0x6040501
	s_set_vgpr_msb 1                        ;  msbs: dst=0 src0=1 src1=0 src2=0
	v_dot4_i32_iu8 v4, v22 /*v278*/, v253, v4 neg_lo:[1,1,0]
	s_set_vgpr_msb 0                        ;  msbs: dst=0 src0=0 src1=0 src2=0
	s_delay_alu instid0(VALU_DEP_2) | instskip(SKIP_4) | instid1(VALU_DEP_2)
	v_dot4_i32_iu8 v5, v8, v5, 0 neg_lo:[1,1,0]
	v_perm_b32 v8, v25, v24, 0x6040503
	s_set_vgpr_msb 4                        ;  msbs: dst=0 src0=0 src1=1 src2=0
	v_dot4_i32_iu8 v4, v254, v23 /*v279*/, v4 neg_lo:[1,1,0]
	s_set_vgpr_msb 0                        ;  msbs: dst=0 src0=0 src1=0 src2=0
	v_dot4_i32_iu8 v5, v255, v8, v5 neg_lo:[1,1,0]
	v_perm_b32 v8, v20, v128, 0x6050401
	s_set_vgpr_msb 5                        ;  msbs: dst=0 src0=1 src1=1 src2=0
	s_delay_alu instid0(VALU_DEP_2) | instskip(SKIP_1) | instid1(VALU_DEP_2)
	v_dot4_i32_iu8 v5, v0 /*v256*/, v24 /*v280*/, v5 neg_lo:[1,1,0]
	s_set_vgpr_msb 0                        ;  msbs: dst=0 src0=0 src1=0 src2=0
	v_dot4_i32_iu8 v8, v9, v8, 0 neg_lo:[1,1,0]
	v_perm_b32 v9, v16, v132, 0x6050401
	s_set_vgpr_msb 4                        ;  msbs: dst=0 src0=0 src1=1 src2=0
	s_delay_alu instid0(VALU_DEP_2) | instskip(SKIP_1) | instid1(VALU_DEP_2)
	v_dot4_i32_iu8 v8, v240, v9 /*v265*/, v8 neg_lo:[1,1,0]
	s_set_vgpr_msb 1                        ;  msbs: dst=0 src0=1 src1=0 src2=0
	v_dot4_i32_iu8 v9, v10 /*v266*/, v9, 0 neg_lo:[1,1,0]
	s_set_vgpr_msb 64                       ;  msbs: dst=1 src0=0 src1=0 src2=0
	v_perm_b32 v10 /*v266*/, v18, v17, 0x7060403
	s_set_vgpr_msb 4                        ;  msbs: dst=0 src0=0 src1=1 src2=0
	v_dot4_i32_iu8 v8, v241, v25 /*v281*/, v8 neg_lo:[1,1,0]
	v_dot4_i32_iu8 v9, v244, v26 /*v282*/, v9 neg_lo:[1,1,0]
	s_delay_alu instid0(VALU_DEP_1) | instskip(SKIP_3) | instid1(VALU_DEP_2)
	v_dot4_i32_iu8 v9, v245, v10 /*v266*/, v9 neg_lo:[1,1,0]
	s_set_vgpr_msb 64                       ;  msbs: dst=1 src0=0 src1=0 src2=0
	v_perm_b32 v10 /*v266*/, v31, v31, 0x3020001
	s_set_vgpr_msb 0                        ;  msbs: dst=0 src0=0 src1=0 src2=0
	v_dot4_i32_iu8 v9, v19, v133, v9 neg_lo:[1,1,0]
	s_set_vgpr_msb 0x41                     ;  msbs: dst=1 src0=1 src1=0 src2=0
	s_delay_alu instid0(VALU_DEP_2) | instskip(SKIP_3) | instid1(VALU_DEP_1)
	v_dot4_i32_iu8 v10 /*v266*/, v10 /*v266*/, v250, v4 neg_lo:[1,1,0]
	s_set_vgpr_msb 0                        ;  msbs: dst=0 src0=0 src1=0 src2=0
	v_perm_b32 v4, v11, v11, 0x3020001
	s_set_vgpr_msb 0x50                     ;  msbs: dst=1 src0=0 src1=0 src2=1
	v_dot4_i32_iu8 v11 /*v267*/, v4, v251, v15 /*v271*/ neg_lo:[1,1,0]
	s_set_vgpr_msb 0                        ;  msbs: dst=0 src0=0 src1=0 src2=0
	v_perm_b32 v4, v15, v15, 0x3020001
	s_set_vgpr_msb 0x50                     ;  msbs: dst=1 src0=0 src1=0 src2=1
	s_delay_alu instid0(VALU_DEP_1) | instskip(SKIP_3) | instid1(VALU_DEP_1)
	v_dot4_i32_iu8 v12 /*v268*/, v4, v250, v14 /*v270*/ neg_lo:[1,1,0]
	s_set_vgpr_msb 0                        ;  msbs: dst=0 src0=0 src1=0 src2=0
	v_perm_b32 v4, v27, v27, 0x3020001
	s_set_vgpr_msb 64                       ;  msbs: dst=1 src0=0 src1=0 src2=0
	v_dot4_i32_iu8 v13 /*v269*/, v4, v251, v5 neg_lo:[1,1,0]
	s_set_vgpr_msb 0                        ;  msbs: dst=0 src0=0 src1=0 src2=0
	v_dot4_i32_iu8 v4, v23, v129, v8 neg_lo:[1,1,0]
	s_set_vgpr_msb 16                       ;  msbs: dst=0 src0=0 src1=0 src2=1
	v_dot4_i32_iu8 v5, v7, v133, v17 /*v273*/ neg_lo:[1,1,0]
	v_dot4_i32_iu8 v8, v3, v129, v16 /*v272*/ neg_lo:[1,1,0]
	s_delay_alu instid0(VALU_DEP_3) | instskip(NEXT) | instid1(VALU_DEP_3)
	v_mul_lo_u32 v4, v4, v248
	v_mul_lo_u32 v5, v5, v249
	s_set_vgpr_msb 0                        ;  msbs: dst=0 src0=0 src1=0 src2=0
	s_delay_alu instid0(VALU_DEP_2) | instskip(NEXT) | instid1(VALU_DEP_2)
	v_mad_u32 v4, v9, v249, v4
	v_mad_u32 v5, v8, v248, v5
	s_set_vgpr_msb 1                        ;  msbs: dst=0 src0=1 src1=0 src2=0
	v_mul_lo_u32 v8, v11 /*v267*/, v246
	v_mul_lo_u32 v9, v10 /*v266*/, v247
	s_set_vgpr_msb 64                       ;  msbs: dst=1 src0=0 src1=0 src2=0
	v_perm_b32 v11 /*v267*/, v18, v169, 0x7060403
	s_set_vgpr_msb 0                        ;  msbs: dst=0 src0=0 src1=0 src2=0
	v_cvt_f32_i32_e32 v4, v4
	v_cvt_f32_i32_e32 v5, v5
	s_set_vgpr_msb 1                        ;  msbs: dst=0 src0=1 src1=0 src2=0
	v_mad_u32 v8, v12 /*v268*/, v247, v8
	s_set_vgpr_msb 0x41                     ;  msbs: dst=1 src0=1 src1=0 src2=0
	v_mad_u32 v10 /*v266*/, v13 /*v269*/, v246, v9
	s_set_vgpr_msb 0x50                     ;  msbs: dst=1 src0=0 src1=0 src2=1
	v_dot4_i32_iu8 v12 /*v268*/, v15, v167, v18 /*v274*/ neg_lo:[1,1,0]
	s_set_vgpr_msb 0                        ;  msbs: dst=0 src0=0 src1=0 src2=0
	v_pk_fma_f32 v[4:5], v[12:13], v[4:5], 0 op_sel_hi:[1,1,0]
	s_delay_alu instid0(VALU_DEP_4) | instskip(SKIP_1) | instid1(VALU_DEP_4)
	v_cvt_f32_i32_e32 v9, v8
	s_set_vgpr_msb 1                        ;  msbs: dst=0 src0=1 src1=0 src2=0
	v_cvt_f32_i32_e32 v8, v10 /*v266*/
	s_set_vgpr_msb 64                       ;  msbs: dst=1 src0=0 src1=0 src2=0
	v_perm_b32 v10 /*v266*/, v22, v163, 0x7060403
	s_set_vgpr_msb 0                        ;  msbs: dst=0 src0=0 src1=0 src2=0
	s_delay_alu instid0(VALU_DEP_2) | instskip(SKIP_2) | instid1(VALU_DEP_3)
	v_pk_fma_f32 v[4:5], v[0:1], v[8:9], v[4:5]
	v_perm_b32 v8, v29, v165, 0x6040503
	v_perm_b32 v9, v25, v166, 0x6040503
	v_pk_fma_f32 v[48:49], v[118:119], v[4:5], v[48:49]
	v_perm_b32 v4, v28, v175, 0x6040501
	v_or_b32_e32 v5, v234, v30
	s_delay_alu instid0(VALU_DEP_1) | instskip(SKIP_1) | instid1(VALU_DEP_1)
	v_dot4_i32_iu8 v4, v5, v4, 0 neg_lo:[1,1,0]
	v_perm_b32 v5, v174, v28, 0x6040503
	v_dot4_i32_iu8 v4, v8, v5, v4 neg_lo:[1,1,0]
	v_perm_b32 v5, v24, v177, 0x6040501
	v_perm_b32 v8, v166, v26, 0x6040501
	s_set_vgpr_msb 4                        ;  msbs: dst=0 src0=0 src1=1 src2=0
	s_delay_alu instid0(VALU_DEP_3) | instskip(SKIP_1) | instid1(VALU_DEP_2)
	v_dot4_i32_iu8 v4, v236, v23 /*v279*/, v4 neg_lo:[1,1,0]
	s_set_vgpr_msb 0                        ;  msbs: dst=0 src0=0 src1=0 src2=0
	v_dot4_i32_iu8 v5, v8, v5, 0 neg_lo:[1,1,0]
	v_perm_b32 v8, v176, v24, 0x6040503
	s_delay_alu instid0(VALU_DEP_1) | instskip(SKIP_3) | instid1(VALU_DEP_3)
	v_dot4_i32_iu8 v5, v9, v8, v5 neg_lo:[1,1,0]
	v_perm_b32 v8, v20, v156, 0x6050401
	v_perm_b32 v9, v162, v22, 0x6050401
	s_set_vgpr_msb 5                        ;  msbs: dst=0 src0=1 src1=1 src2=0
	v_dot4_i32_iu8 v5, v1 /*v257*/, v24 /*v280*/, v5 neg_lo:[1,1,0]
	s_set_vgpr_msb 0                        ;  msbs: dst=0 src0=0 src1=0 src2=0
	s_delay_alu instid0(VALU_DEP_2)
	v_dot4_i32_iu8 v8, v9, v8, 0 neg_lo:[1,1,0]
	v_perm_b32 v9, v156, v21, 0x7060403
	s_set_vgpr_msb 64                       ;  msbs: dst=1 src0=0 src1=0 src2=0
	v_dot4_i32_iu8 v13 /*v269*/, v27, v164, v5 neg_lo:[1,1,0]
	s_set_vgpr_msb 16                       ;  msbs: dst=0 src0=0 src1=0 src2=1
	v_dot4_i32_iu8 v5, v7, v159, v21 /*v277*/ neg_lo:[1,1,0]
	s_set_vgpr_msb 4                        ;  msbs: dst=0 src0=0 src1=1 src2=0
	v_dot4_i32_iu8 v8, v235, v9 /*v265*/, v8 neg_lo:[1,1,0]
	s_set_vgpr_msb 0                        ;  msbs: dst=0 src0=0 src1=0 src2=0
	s_delay_alu instid0(VALU_DEP_2) | instskip(SKIP_1) | instid1(VALU_DEP_2)
	v_mul_lo_u32 v5, v5, v232
	s_set_vgpr_msb 1                        ;  msbs: dst=0 src0=1 src1=0 src2=0
	v_dot4_i32_iu8 v8, v10 /*v266*/, v9, v8 neg_lo:[1,1,0]
	s_set_vgpr_msb 0                        ;  msbs: dst=0 src0=0 src1=0 src2=0
	v_perm_b32 v9, v16, v158, 0x6050401
	s_set_vgpr_msb 64                       ;  msbs: dst=1 src0=0 src1=0 src2=0
	v_perm_b32 v10 /*v266*/, v168, v18, 0x6050401
	s_set_vgpr_msb 1                        ;  msbs: dst=0 src0=1 src1=0 src2=0
	s_delay_alu instid0(VALU_DEP_1) | instskip(SKIP_3) | instid1(VALU_DEP_2)
	v_dot4_i32_iu8 v9, v10 /*v266*/, v9, 0 neg_lo:[1,1,0]
	s_set_vgpr_msb 64                       ;  msbs: dst=1 src0=0 src1=0 src2=0
	v_perm_b32 v10 /*v266*/, v158, v17, 0x7060403
	s_set_vgpr_msb 5                        ;  msbs: dst=0 src0=1 src1=1 src2=0
	v_dot4_i32_iu8 v9, v7 /*v263*/, v26 /*v282*/, v9 neg_lo:[1,1,0]
	s_delay_alu instid0(VALU_DEP_1)
	v_dot4_i32_iu8 v9, v11 /*v267*/, v10 /*v266*/, v9 neg_lo:[1,1,0]
	s_set_vgpr_msb 64                       ;  msbs: dst=1 src0=0 src1=0 src2=0
	v_dot4_i32_iu8 v10 /*v266*/, v31, v167, v4 neg_lo:[1,1,0]
	s_set_vgpr_msb 0                        ;  msbs: dst=0 src0=0 src1=0 src2=0
	v_dot4_i32_iu8 v4, v23, v157, v8 neg_lo:[1,1,0]
	s_set_vgpr_msb 0x50                     ;  msbs: dst=1 src0=0 src1=0 src2=1
	v_dot4_i32_iu8 v11 /*v267*/, v11, v164, v19 /*v275*/ neg_lo:[1,1,0]
	s_set_vgpr_msb 16                       ;  msbs: dst=0 src0=0 src1=0 src2=1
	v_dot4_i32_iu8 v8, v3, v157, v20 /*v276*/ neg_lo:[1,1,0]
	s_set_vgpr_msb 0                        ;  msbs: dst=0 src0=0 src1=0 src2=0
	v_dot4_i32_iu8 v9, v19, v159, v9 neg_lo:[1,1,0]
	v_dot4_i32_iu8 v11, v15, v153, v14 neg_lo:[1,1,0]
	v_mul_lo_u32 v4, v4, v233
	v_mad_u32 v5, v8, v233, v5
	s_set_vgpr_msb 1                        ;  msbs: dst=0 src0=1 src1=0 src2=0
	v_mul_lo_u32 v8, v11 /*v267*/, v231
	s_set_vgpr_msb 0                        ;  msbs: dst=0 src0=0 src1=0 src2=0
	s_delay_alu instid0(VALU_DEP_3) | instskip(SKIP_3) | instid1(VALU_DEP_4)
	v_mad_u32 v4, v9, v232, v4
	s_set_vgpr_msb 1                        ;  msbs: dst=0 src0=1 src1=0 src2=0
	v_mul_lo_u32 v9, v10 /*v266*/, v230
	s_set_vgpr_msb 0                        ;  msbs: dst=0 src0=0 src1=0 src2=0
	v_cvt_f32_i32_e32 v5, v5
	s_set_vgpr_msb 1                        ;  msbs: dst=0 src0=1 src1=0 src2=0
	s_delay_alu instid0(VALU_DEP_4) | instskip(SKIP_1) | instid1(VALU_DEP_4)
	v_mad_u32 v8, v12 /*v268*/, v230, v8
	s_set_vgpr_msb 0                        ;  msbs: dst=0 src0=0 src1=0 src2=0
	v_cvt_f32_i32_e32 v4, v4
	s_set_vgpr_msb 0x41                     ;  msbs: dst=1 src0=1 src1=0 src2=0
	s_delay_alu instid0(VALU_DEP_4) | instskip(SKIP_1) | instid1(VALU_DEP_3)
	v_mad_u32 v10 /*v266*/, v13 /*v269*/, v231, v9
	s_set_vgpr_msb 0                        ;  msbs: dst=0 src0=0 src1=0 src2=0
	v_cvt_f32_i32_e32 v9, v8
	v_pk_fma_f32 v[4:5], v[12:13], v[4:5], 0 op_sel_hi:[1,1,0]
	s_set_vgpr_msb 1                        ;  msbs: dst=0 src0=1 src1=0 src2=0
	s_delay_alu instid0(VALU_DEP_3) | instskip(SKIP_1) | instid1(VALU_DEP_1)
	v_cvt_f32_i32_e32 v8, v10 /*v266*/
	s_set_vgpr_msb 0                        ;  msbs: dst=0 src0=0 src1=0 src2=0
	v_pk_fma_f32 v[4:5], v[0:1], v[8:9], v[4:5]
	v_perm_b32 v8, v29, v151, 0x6040503
	v_perm_b32 v9, v25, v152, 0x6040503
	s_delay_alu instid0(VALU_DEP_3) | instskip(SKIP_2) | instid1(VALU_DEP_1)
	v_pk_fma_f32 v[46:47], v[120:121], v[4:5], v[46:47]
	v_perm_b32 v4, v28, v171, 0x6040501
	v_or_b32_e32 v5, v149, v30
	v_dot4_i32_iu8 v4, v5, v4, 0 neg_lo:[1,1,0]
	v_perm_b32 v5, v170, v28, 0x6040503
	s_delay_alu instid0(VALU_DEP_1) | instskip(SKIP_3) | instid1(VALU_DEP_3)
	v_dot4_i32_iu8 v4, v8, v5, v4 neg_lo:[1,1,0]
	v_perm_b32 v5, v24, v173, 0x6040501
	v_perm_b32 v8, v152, v26, 0x6040501
	s_set_vgpr_msb 4                        ;  msbs: dst=0 src0=0 src1=1 src2=0
	v_dot4_i32_iu8 v4, v229, v23 /*v279*/, v4 neg_lo:[1,1,0]
	s_set_vgpr_msb 0                        ;  msbs: dst=0 src0=0 src1=0 src2=0
	s_delay_alu instid0(VALU_DEP_2) | instskip(SKIP_1) | instid1(VALU_DEP_3)
	v_dot4_i32_iu8 v5, v8, v5, 0 neg_lo:[1,1,0]
	v_perm_b32 v8, v172, v24, 0x6040503
	v_dot4_i32_iu8 v4, v31, v153, v4 neg_lo:[1,1,0]
	s_delay_alu instid0(VALU_DEP_2)
	v_dot4_i32_iu8 v5, v9, v8, v5 neg_lo:[1,1,0]
	v_perm_b32 v8, v20, v144, 0x6050401
	v_perm_b32 v9, v160, v22, 0x6050401
	;; [unrolled: 1-line block ×3, first 2 shown]
	v_mul_lo_u32 v4, v4, v32
	s_set_vgpr_msb 4                        ;  msbs: dst=0 src0=0 src1=1 src2=0
	v_dot4_i32_iu8 v5, v237, v24 /*v280*/, v5 neg_lo:[1,1,0]
	s_set_vgpr_msb 0                        ;  msbs: dst=0 src0=0 src1=0 src2=0
	v_dot4_i32_iu8 v8, v9, v8, 0 neg_lo:[1,1,0]
	v_perm_b32 v9, v144, v21, 0x7060403
	s_delay_alu instid0(VALU_DEP_3) | instskip(SKIP_1) | instid1(VALU_DEP_3)
	v_dot4_i32_iu8 v5, v27, v150, v5 neg_lo:[1,1,0]
	s_set_vgpr_msb 4                        ;  msbs: dst=0 src0=0 src1=1 src2=0
	v_dot4_i32_iu8 v8, v147, v9 /*v265*/, v8 neg_lo:[1,1,0]
	s_set_vgpr_msb 0                        ;  msbs: dst=0 src0=0 src1=0 src2=0
	s_delay_alu instid0(VALU_DEP_2) | instskip(SKIP_1) | instid1(VALU_DEP_3)
	v_mad_u32 v4, v5, v131, v4
	v_mad_u32 v5, v11, v32, v6
	v_dot4_i32_iu8 v8, v20, v9, v8 neg_lo:[1,1,0]
	v_perm_b32 v9, v16, v34, 0x6050401
	v_perm_b32 v16, v154, v18, 0x6050401
	s_delay_alu instid0(VALU_DEP_3) | instskip(NEXT) | instid1(VALU_DEP_2)
	v_dot4_i32_iu8 v8, v23, v145, v8 neg_lo:[1,1,0]
	v_dot4_i32_iu8 v9, v16, v9, 0 neg_lo:[1,1,0]
	v_perm_b32 v16, v34, v17, 0x7060403
	v_perm_b32 v17, v18, v155, 0x7060403
	s_delay_alu instid0(VALU_DEP_4)
	v_mul_lo_u32 v7, v8, v143
	v_cvt_f32_i32_e32 v5, v5
	s_set_vgpr_msb 5                        ;  msbs: dst=0 src0=1 src1=1 src2=0
	v_dot4_i32_iu8 v9, v6 /*v262*/, v26 /*v282*/, v9 neg_lo:[1,1,0]
	s_set_vgpr_msb 0                        ;  msbs: dst=0 src0=0 src1=0 src2=0
	v_cvt_f32_i32_e32 v4, v4
	s_delay_alu instid0(VALU_DEP_2) | instskip(NEXT) | instid1(VALU_DEP_1)
	v_dot4_i32_iu8 v9, v17, v16, v9 neg_lo:[1,1,0]
	v_dot4_i32_iu8 v3, v19, v35, v9 neg_lo:[1,1,0]
	s_delay_alu instid0(VALU_DEP_1) | instskip(SKIP_1) | instid1(VALU_DEP_2)
	v_mad_u32 v7, v3, v141, v7
	v_cvt_f32_i32_e32 v3, v2
	v_cvt_f32_i32_e32 v2, v7
	s_delay_alu instid0(VALU_DEP_1) | instskip(NEXT) | instid1(VALU_DEP_1)
	v_pk_fma_f32 v[2:3], v[12:13], v[2:3], 0 op_sel_hi:[1,1,0]
	v_pk_fma_f32 v[0:1], v[0:1], v[4:5], v[2:3]
	s_delay_alu instid0(VALU_DEP_1) | instskip(SKIP_1) | instid1(VALU_DEP_1)
	v_pk_fma_f32 v[44:45], v[122:123], v[0:1], v[44:45]
	v_or_b32_e32 v0, s13, v199
	v_lshlrev_b32_e32 v12, 2, v0
	s_set_vgpr_msb 64                       ;  msbs: dst=1 src0=0 src1=0 src2=0
	v_lshrrev_b32_e32 v16 /*v272*/, 1, v0
	s_set_vgpr_msb 0                        ;  msbs: dst=0 src0=0 src1=0 src2=0
	ds_load_b128 v[4:7], v12 offset:33280
	ds_load_b128 v[0:3], v12 offset:33296
	;; [unrolled: 1-line block ×4, first 2 shown]
	s_wait_dscnt 0x3
	v_perm_b32 v22, v126, v5, 0x7060403
	s_wait_dscnt 0x2
	v_perm_b32 v21, v1, v138, 0x6040503
	;; [unrolled: 2-line block ×4, first 2 shown]
	v_perm_b32 v17, v13, v12, 0x6040503
	v_perm_b32 v18, v14, v13, 0x7060403
	;; [unrolled: 1-line block ×4, first 2 shown]
	s_set_vgpr_msb 4                        ;  msbs: dst=0 src0=0 src1=1 src2=0
	v_dot4_i32_iu8 v16, v16, v3 /*v259*/, 0 neg_lo:[1,1,0]
	s_delay_alu instid0(VALU_DEP_1) | instskip(SKIP_1) | instid1(VALU_DEP_1)
	v_dot4_i32_iu8 v16, v17, v4 /*v260*/, v16 neg_lo:[1,1,0]
	s_set_vgpr_msb 0x44                     ;  msbs: dst=1 src0=0 src1=1 src2=0
	v_dot4_i32_iu8 v17 /*v273*/, v18, v2 /*v258*/, v16 neg_lo:[1,1,0]
	s_set_vgpr_msb 0                        ;  msbs: dst=0 src0=0 src1=0 src2=0
	v_perm_b32 v16, v8, v179, 0x6040501
	s_delay_alu instid0(VALU_DEP_1) | instskip(SKIP_1) | instid1(VALU_DEP_1)
	v_dot4_i32_iu8 v16, v19, v16, 0 neg_lo:[1,1,0]
	v_perm_b32 v19, v178, v8, 0x6040503
	v_dot4_i32_iu8 v16, v20, v19, v16 neg_lo:[1,1,0]
	v_perm_b32 v19, v10, v9, 0x7060403
	v_perm_b32 v20, v138, v2, 0x6050401
	s_set_vgpr_msb 0x41                     ;  msbs: dst=1 src0=1 src1=0 src2=0
	s_delay_alu instid0(VALU_DEP_2) | instskip(SKIP_2) | instid1(VALU_DEP_1)
	v_dot4_i32_iu8 v18 /*v274*/, v5 /*v261*/, v19, v16 neg_lo:[1,1,0]
	s_set_vgpr_msb 0                        ;  msbs: dst=0 src0=0 src1=0 src2=0
	v_perm_b32 v16, v0, v124, 0x6050401
	v_dot4_i32_iu8 v16, v20, v16, 0 neg_lo:[1,1,0]
	v_perm_b32 v20, v139, v0, 0x6040503
	s_delay_alu instid0(VALU_DEP_1) | instskip(SKIP_3) | instid1(VALU_DEP_2)
	v_dot4_i32_iu8 v16, v21, v20, v16 neg_lo:[1,1,0]
	v_perm_b32 v20, v2, v1, 0x7060403
	v_perm_b32 v21, v136, v6, 0x6050401
	s_set_vgpr_msb 64                       ;  msbs: dst=1 src0=0 src1=0 src2=0
	v_dot4_i32_iu8 v19 /*v275*/, v20, v228, v16 neg_lo:[1,1,0]
	s_set_vgpr_msb 0                        ;  msbs: dst=0 src0=0 src1=0 src2=0
	v_perm_b32 v16, v4, v126, 0x6050401
	s_delay_alu instid0(VALU_DEP_1) | instskip(SKIP_2) | instid1(VALU_DEP_1)
	v_dot4_i32_iu8 v16, v21, v16, 0 neg_lo:[1,1,0]
	v_perm_b32 v21, v5, v4, 0x6040503
	s_set_vgpr_msb 1                        ;  msbs: dst=0 src0=1 src1=0 src2=0
	v_dot4_i32_iu8 v16, v8 /*v264*/, v21, v16 neg_lo:[1,1,0]
	s_set_vgpr_msb 64                       ;  msbs: dst=1 src0=0 src1=0 src2=0
	s_delay_alu instid0(VALU_DEP_1) | instskip(SKIP_4) | instid1(VALU_DEP_3)
	v_dot4_i32_iu8 v20 /*v276*/, v23, v22, v16 neg_lo:[1,1,0]
	s_set_vgpr_msb 0                        ;  msbs: dst=0 src0=0 src1=0 src2=0
	v_perm_b32 v22, v14, v14, 0xc0c0c01
	v_perm_b32 v16, v12, v33, 0x6040503
	;; [unrolled: 1-line block ×3, first 2 shown]
	v_or_b32_e32 v14, v252, v22
	s_delay_alu instid0(VALU_DEP_1) | instskip(SKIP_1) | instid1(VALU_DEP_2)
	v_dot4_i32_iu8 v14, v14, v16, 0 neg_lo:[1,1,0]
	v_perm_b32 v16, v148, v10, 0x6040501
	v_dot4_i32_iu8 v14, v17, v253, v14 neg_lo:[1,1,0]
	v_perm_b32 v17, v140, v6, 0x6050401
	s_set_vgpr_msb 64                       ;  msbs: dst=1 src0=0 src1=0 src2=0
	s_delay_alu instid0(VALU_DEP_2) | instskip(SKIP_2) | instid1(VALU_DEP_1)
	v_dot4_i32_iu8 v12 /*v268*/, v254, v18, v14 neg_lo:[1,1,0]
	s_set_vgpr_msb 0                        ;  msbs: dst=0 src0=0 src1=0 src2=0
	v_perm_b32 v14, v8, v146, 0x6040501
	v_dot4_i32_iu8 v14, v16, v14, 0 neg_lo:[1,1,0]
	v_perm_b32 v16, v9, v8, 0x6040503
	v_perm_b32 v9, v9, v152, 0x6040503
	s_delay_alu instid0(VALU_DEP_2) | instskip(SKIP_2) | instid1(VALU_DEP_2)
	v_dot4_i32_iu8 v14, v255, v16, v14 neg_lo:[1,1,0]
	v_perm_b32 v16, v142, v2, 0x6050401
	s_set_vgpr_msb 0x41                     ;  msbs: dst=1 src0=1 src1=0 src2=0
	v_dot4_i32_iu8 v14 /*v270*/, v0 /*v256*/, v19, v14 neg_lo:[1,1,0]
	s_set_vgpr_msb 0                        ;  msbs: dst=0 src0=0 src1=0 src2=0
	v_perm_b32 v14, v0, v128, 0x6050401
	s_delay_alu instid0(VALU_DEP_1) | instskip(SKIP_1) | instid1(VALU_DEP_1)
	v_dot4_i32_iu8 v14, v16, v14, 0 neg_lo:[1,1,0]
	v_perm_b32 v16, v1, v0, 0x6040503
	v_dot4_i32_iu8 v14, v240, v16, v14 neg_lo:[1,1,0]
	s_set_vgpr_msb 64                       ;  msbs: dst=1 src0=0 src1=0 src2=0
	s_delay_alu instid0(VALU_DEP_1) | instskip(SKIP_4) | instid1(VALU_DEP_3)
	v_dot4_i32_iu8 v13 /*v269*/, v241, v20, v14 neg_lo:[1,1,0]
	s_set_vgpr_msb 0                        ;  msbs: dst=0 src0=0 src1=0 src2=0
	v_perm_b32 v14, v4, v132, 0x6050401
	v_perm_b32 v20, v13, v165, 0x6040503
	;; [unrolled: 1-line block ×3, first 2 shown]
	v_dot4_i32_iu8 v14, v17, v14, 0 neg_lo:[1,1,0]
	v_perm_b32 v17, v6, v5, 0x7060403
	s_delay_alu instid0(VALU_DEP_2) | instskip(SKIP_1) | instid1(VALU_DEP_1)
	v_dot4_i32_iu8 v14, v244, v21, v14 neg_lo:[1,1,0]
	s_set_vgpr_msb 64                       ;  msbs: dst=1 src0=0 src1=0 src2=0
	v_dot4_i32_iu8 v15 /*v271*/, v245, v17, v14 neg_lo:[1,1,0]
	s_set_vgpr_msb 0                        ;  msbs: dst=0 src0=0 src1=0 src2=0
	v_perm_b32 v14, v12, v175, 0x6040501
	v_or_b32_e32 v17, v234, v22
	s_delay_alu instid0(VALU_DEP_1) | instskip(SKIP_1) | instid1(VALU_DEP_1)
	v_dot4_i32_iu8 v14, v17, v14, 0 neg_lo:[1,1,0]
	v_perm_b32 v17, v174, v12, 0x6040503
	v_dot4_i32_iu8 v14, v20, v17, v14 neg_lo:[1,1,0]
	v_perm_b32 v17, v8, v177, 0x6040501
	v_perm_b32 v20, v166, v10, 0x6040501
	;; [unrolled: 1-line block ×3, first 2 shown]
	s_delay_alu instid0(VALU_DEP_4) | instskip(NEXT) | instid1(VALU_DEP_3)
	v_dot4_i32_iu8 v14, v236, v18, v14 neg_lo:[1,1,0]
	v_dot4_i32_iu8 v17, v20, v17, 0 neg_lo:[1,1,0]
	v_perm_b32 v20, v176, v8, 0x6040503
	s_delay_alu instid0(VALU_DEP_3) | instskip(NEXT) | instid1(VALU_DEP_2)
	v_dot4_i32_iu8 v14, v15, v167, v14 neg_lo:[1,1,0]
	v_dot4_i32_iu8 v17, v23, v20, v17 neg_lo:[1,1,0]
	v_perm_b32 v20, v162, v2, 0x6050401
	v_perm_b32 v23, v2, v163, 0x7060403
	s_set_vgpr_msb 0x41                     ;  msbs: dst=1 src0=1 src1=0 src2=0
	s_delay_alu instid0(VALU_DEP_3) | instskip(SKIP_3) | instid1(VALU_DEP_2)
	v_dot4_i32_iu8 v9 /*v265*/, v1 /*v257*/, v19, v17 neg_lo:[1,1,0]
	s_set_vgpr_msb 0                        ;  msbs: dst=0 src0=0 src1=0 src2=0
	v_perm_b32 v17, v0, v156, 0x6050401
	v_perm_b32 v0, v0, v144, 0x6050401
	v_dot4_i32_iu8 v17, v20, v17, 0 neg_lo:[1,1,0]
	v_perm_b32 v20, v156, v1, 0x7060403
	v_perm_b32 v1, v144, v1, 0x7060403
	s_delay_alu instid0(VALU_DEP_3) | instskip(SKIP_1) | instid1(VALU_DEP_1)
	v_dot4_i32_iu8 v17, v235, v16, v17 neg_lo:[1,1,0]
	s_set_vgpr_msb 64                       ;  msbs: dst=1 src0=0 src1=0 src2=0
	v_dot4_i32_iu8 v10 /*v266*/, v23, v20, v17 neg_lo:[1,1,0]
	s_set_vgpr_msb 0                        ;  msbs: dst=0 src0=0 src1=0 src2=0
	v_perm_b32 v17, v4, v158, 0x6050401
	v_perm_b32 v20, v168, v6, 0x6050401
	;; [unrolled: 1-line block ×3, first 2 shown]
	s_delay_alu instid0(VALU_DEP_2) | instskip(SKIP_2) | instid1(VALU_DEP_2)
	v_dot4_i32_iu8 v17, v20, v17, 0 neg_lo:[1,1,0]
	v_perm_b32 v20, v158, v5, 0x7060403
	s_set_vgpr_msb 1                        ;  msbs: dst=0 src0=1 src1=0 src2=0
	v_dot4_i32_iu8 v17, v7 /*v263*/, v21, v17 neg_lo:[1,1,0]
	s_set_vgpr_msb 64                       ;  msbs: dst=1 src0=0 src1=0 src2=0
	s_delay_alu instid0(VALU_DEP_1) | instskip(SKIP_4) | instid1(VALU_DEP_2)
	v_dot4_i32_iu8 v11 /*v267*/, v23, v20, v17 neg_lo:[1,1,0]
	s_set_vgpr_msb 0                        ;  msbs: dst=0 src0=0 src1=0 src2=0
	v_perm_b32 v17, v12, v171, 0x6040501
	v_or_b32_e32 v20, v149, v22
	v_perm_b32 v12, v170, v12, 0x6040503
	v_dot4_i32_iu8 v17, v20, v17, 0 neg_lo:[1,1,0]
	s_delay_alu instid0(VALU_DEP_1) | instskip(SKIP_2) | instid1(VALU_DEP_3)
	v_dot4_i32_iu8 v12, v13, v12, v17 neg_lo:[1,1,0]
	v_perm_b32 v13, v8, v173, 0x6040501
	v_perm_b32 v8, v172, v8, 0x6040503
	v_dot4_i32_iu8 v12, v229, v18, v12 neg_lo:[1,1,0]
	s_delay_alu instid0(VALU_DEP_3) | instskip(NEXT) | instid1(VALU_DEP_1)
	v_dot4_i32_iu8 v10, v10, v13, 0 neg_lo:[1,1,0]
	v_dot4_i32_iu8 v8, v9, v8, v10 neg_lo:[1,1,0]
	v_perm_b32 v9, v160, v2, 0x6050401
	v_perm_b32 v2, v2, v161, 0x7060403
	s_delay_alu instid0(VALU_DEP_3) | instskip(NEXT) | instid1(VALU_DEP_3)
	v_dot4_i32_iu8 v8, v237, v19, v8 neg_lo:[1,1,0]
	v_dot4_i32_iu8 v0, v9, v0, 0 neg_lo:[1,1,0]
	s_delay_alu instid0(VALU_DEP_2) | instskip(NEXT) | instid1(VALU_DEP_2)
	v_dot4_i32_iu8 v8, v11, v150, v8 neg_lo:[1,1,0]
	v_dot4_i32_iu8 v0, v147, v16, v0 neg_lo:[1,1,0]
	s_delay_alu instid0(VALU_DEP_1) | instskip(SKIP_3) | instid1(VALU_DEP_4)
	v_dot4_i32_iu8 v2, v2, v1, v0 neg_lo:[1,1,0]
	v_perm_b32 v0, v4, v34, 0x6050401
	v_perm_b32 v1, v154, v6, 0x6050401
	;; [unrolled: 1-line block ×3, first 2 shown]
	v_dot4_i32_iu8 v2, v3, v145, v2 neg_lo:[1,1,0]
	s_delay_alu instid0(VALU_DEP_3) | instskip(SKIP_2) | instid1(VALU_DEP_2)
	v_dot4_i32_iu8 v0, v1, v0, 0 neg_lo:[1,1,0]
	v_perm_b32 v1, v34, v5, 0x7060403
	s_set_vgpr_msb 1                        ;  msbs: dst=0 src0=1 src1=0 src2=0
	v_dot4_i32_iu8 v0, v6 /*v262*/, v21, v0 neg_lo:[1,1,0]
	s_set_vgpr_msb 0                        ;  msbs: dst=0 src0=0 src1=0 src2=0
	s_delay_alu instid0(VALU_DEP_1) | instskip(SKIP_1) | instid1(VALU_DEP_2)
	v_dot4_i32_iu8 v6, v4, v1, v0 neg_lo:[1,1,0]
	v_or_b32_e32 v0, s13, v200
	v_dot4_i32_iu8 v6, v7, v35, v6 neg_lo:[1,1,0]
	s_delay_alu instid0(VALU_DEP_2)
	v_lshlrev_b32_e32 v1, 2, v0
	ds_load_b128 v[16:19], v1 offset:33280
	ds_load_b128 v[20:23], v1 offset:33296
	;; [unrolled: 1-line block ×4, first 2 shown]
	v_lshrrev_b32_e32 v4, 1, v0
	v_mul_lo_u32 v6, v6, v141
	s_delay_alu instid0(VALU_DEP_1)
	v_mad_u32 v2, v2, v143, v6
	s_wait_dscnt 0x1
	v_perm_b32 v1, v134, v26, 0x6040501
	s_wait_dscnt 0x0
	v_perm_b32 v0, v28, v30, 0x6040501
	v_perm_b32 v13, v29, v28, 0x6040503
	;; [unrolled: 1-line block ×5, first 2 shown]
	s_set_vgpr_msb 4                        ;  msbs: dst=0 src0=0 src1=1 src2=0
	v_dot4_i32_iu8 v0, v0, v3 /*v259*/, 0 neg_lo:[1,1,0]
	s_set_vgpr_msb 0                        ;  msbs: dst=0 src0=0 src1=0 src2=0
	v_perm_b32 v33, v28, v33, 0x6040503
	s_set_vgpr_msb 4                        ;  msbs: dst=0 src0=0 src1=1 src2=0
	s_delay_alu instid0(VALU_DEP_2) | instskip(NEXT) | instid1(VALU_DEP_1)
	v_dot4_i32_iu8 v0, v13, v4 /*v260*/, v0 neg_lo:[1,1,0]
	v_dot4_i32_iu8 v5, v9, v2 /*v258*/, v0 neg_lo:[1,1,0]
	s_set_vgpr_msb 16                       ;  msbs: dst=0 src0=0 src1=0 src2=1
	v_perm_b32 v0, v24, v179, 0x6040501
	v_dot4_i32_iu8 v179, v11, v130, v18 /*v274*/ neg_lo:[1,1,0]
	s_delay_alu instid0(VALU_DEP_2)
	v_dot4_i32_iu8 v0, v1, v0, 0 neg_lo:[1,1,0]
	v_perm_b32 v1, v178, v24, 0x6040503
	s_set_vgpr_msb 0                        ;  msbs: dst=0 src0=0 src1=0 src2=0
	v_dot4_i32_iu8 v178, v31, v135, v5 neg_lo:[1,1,0]
	s_set_vgpr_msb 16                       ;  msbs: dst=0 src0=0 src1=0 src2=1
	v_dot4_i32_iu8 v5, v7, v127, v20 /*v276*/ neg_lo:[1,1,0]
	v_dot4_i32_iu8 v135, v15, v135, v17 /*v273*/ neg_lo:[1,1,0]
	s_set_vgpr_msb 0                        ;  msbs: dst=0 src0=0 src1=0 src2=0
	v_dot4_i32_iu8 v0, v10, v1, v0 neg_lo:[1,1,0]
	v_perm_b32 v10, v26, v25, 0x7060403
	v_perm_b32 v1, v138, v22, 0x6050401
	v_mul_lo_u32 v5, v5, v242
	s_set_vgpr_msb 1                        ;  msbs: dst=0 src0=1 src1=0 src2=0
	s_delay_alu instid0(VALU_DEP_3)
	v_dot4_i32_iu8 v134, v5 /*v261*/, v10, v0 neg_lo:[1,1,0]
	s_set_vgpr_msb 0                        ;  msbs: dst=0 src0=0 src1=0 src2=0
	v_perm_b32 v0, v20, v124, 0x6050401
	v_perm_b32 v124, v21, v138, 0x6040503
	;; [unrolled: 1-line block ×3, first 2 shown]
	v_dot4_i32_iu8 v130, v27, v130, v134 neg_lo:[1,1,0]
	s_delay_alu instid0(VALU_DEP_4) | instskip(SKIP_2) | instid1(VALU_DEP_2)
	v_dot4_i32_iu8 v0, v1, v0, 0 neg_lo:[1,1,0]
	v_perm_b32 v1, v139, v20, 0x6040503
	v_perm_b32 v139, v17, v16, 0x6040503
	v_dot4_i32_iu8 v0, v124, v1, v0 neg_lo:[1,1,0]
	v_perm_b32 v1, v136, v18, 0x6050401
	s_delay_alu instid0(VALU_DEP_2) | instskip(SKIP_1) | instid1(VALU_DEP_1)
	v_dot4_i32_iu8 v124, v138, v228, v0 neg_lo:[1,1,0]
	v_perm_b32 v0, v16, v126, 0x6050401
	v_dot4_i32_iu8 v0, v1, v0, 0 neg_lo:[1,1,0]
	v_perm_b32 v1, v126, v17, 0x7060403
	v_perm_b32 v126, v18, v137, 0x7060403
	s_set_vgpr_msb 1                        ;  msbs: dst=0 src0=1 src1=0 src2=0
	s_delay_alu instid0(VALU_DEP_3) | instskip(SKIP_1) | instid1(VALU_DEP_1)
	v_dot4_i32_iu8 v0, v8 /*v264*/, v139, v0 neg_lo:[1,1,0]
	s_set_vgpr_msb 0                        ;  msbs: dst=0 src0=0 src1=0 src2=0
	v_dot4_i32_iu8 v126, v126, v1, v0 neg_lo:[1,1,0]
	s_set_vgpr_msb 1                        ;  msbs: dst=0 src0=1 src1=0 src2=0
	ds_load_b64 v[0:1], v16 /*v272*/ offset:43584
	s_set_vgpr_msb 0                        ;  msbs: dst=0 src0=0 src1=0 src2=0
	ds_load_b64 v[136:137], v4 offset:43584
	v_dot4_i32_iu8 v4, v23, v125, v124 neg_lo:[1,1,0]
	s_set_vgpr_msb 16                       ;  msbs: dst=0 src0=0 src1=0 src2=1
	v_dot4_i32_iu8 v124, v3, v125, v19 /*v275*/ neg_lo:[1,1,0]
	s_set_vgpr_msb 0                        ;  msbs: dst=0 src0=0 src1=0 src2=0
	v_dot4_i32_iu8 v125, v19, v127, v126 neg_lo:[1,1,0]
	v_mul_lo_u32 v126, v178, v239
	v_mul_lo_u32 v4, v4, v243
	v_mad_u32 v5, v124, v243, v5
	s_delay_alu instid0(VALU_DEP_3) | instskip(NEXT) | instid1(VALU_DEP_3)
	v_mad_u32 v126, v130, v238, v126
	v_mad_u32 v4, v125, v242, v4
	s_delay_alu instid0(VALU_DEP_3)
	v_cvt_f32_i32_e32 v125, v5
	s_wait_dscnt 0x1
	v_mov_b32_e32 v5, v0
	v_mul_lo_u32 v0, v179, v238
	v_perm_b32 v130, v27, v27, 0x3020001
	v_cvt_f32_i32_e32 v126, v126
	v_cvt_f32_i32_e32 v124, v4
	s_wait_dscnt 0x0
	v_mov_b32_e32 v4, v136
	v_mad_u32 v0, v135, v239, v0
	s_delay_alu instid0(VALU_DEP_2) | instskip(NEXT) | instid1(VALU_DEP_2)
	v_pk_fma_f32 v[124:125], v[4:5], v[124:125], 0 op_sel_hi:[1,1,0]
	v_cvt_f32_i32_e32 v127, v0
	v_mov_b32_e32 v0, v137
	s_delay_alu instid0(VALU_DEP_1) | instskip(SKIP_2) | instid1(VALU_DEP_3)
	v_pk_fma_f32 v[124:125], v[0:1], v[126:127], v[124:125]
	v_perm_b32 v126, v140, v18, 0x6050401
	v_perm_b32 v127, v15, v15, 0x3020001
	v_pk_fma_f32 v[42:43], v[116:117], v[124:125], v[42:43]
	v_or_b32_e32 v124, v252, v30
	v_perm_b32 v125, v142, v22, 0x6050401
	s_set_vgpr_msb 16                       ;  msbs: dst=0 src0=0 src1=0 src2=1
	v_dot4_i32_iu8 v127, v127, v250, v12 /*v268*/ neg_lo:[1,1,0]
	s_delay_alu instid0(VALU_DEP_3) | instskip(SKIP_2) | instid1(VALU_DEP_2)
	v_dot4_i32_iu8 v33, v124, v33, 0 neg_lo:[1,1,0]
	v_perm_b32 v124, v148, v26, 0x6040501
	s_set_vgpr_msb 0                        ;  msbs: dst=0 src0=0 src1=0 src2=0
	v_dot4_i32_iu8 v13, v13, v253, v33 neg_lo:[1,1,0]
	v_perm_b32 v33, v24, v146, 0x6040501
	s_delay_alu instid0(VALU_DEP_2) | instskip(NEXT) | instid1(VALU_DEP_2)
	v_dot4_i32_iu8 v13, v254, v9, v13 neg_lo:[1,1,0]
	v_dot4_i32_iu8 v33, v124, v33, 0 neg_lo:[1,1,0]
	v_perm_b32 v124, v25, v24, 0x6040503
	s_delay_alu instid0(VALU_DEP_1) | instskip(SKIP_3) | instid1(VALU_DEP_3)
	v_dot4_i32_iu8 v33, v255, v124, v33 neg_lo:[1,1,0]
	v_perm_b32 v124, v20, v128, 0x6050401
	v_perm_b32 v128, v21, v20, 0x6040503
	s_set_vgpr_msb 1                        ;  msbs: dst=0 src0=1 src1=0 src2=0
	v_dot4_i32_iu8 v33, v0 /*v256*/, v10, v33 neg_lo:[1,1,0]
	s_set_vgpr_msb 0                        ;  msbs: dst=0 src0=0 src1=0 src2=0
	v_dot4_i32_iu8 v124, v125, v124, 0 neg_lo:[1,1,0]
	v_perm_b32 v125, v16, v132, 0x6050401
	s_delay_alu instid0(VALU_DEP_3) | instskip(NEXT) | instid1(VALU_DEP_3)
	v_dot4_i32_iu8 v33, v130, v251, v33 neg_lo:[1,1,0]
	v_dot4_i32_iu8 v124, v240, v128, v124 neg_lo:[1,1,0]
	s_delay_alu instid0(VALU_DEP_3)
	v_dot4_i32_iu8 v125, v126, v125, 0 neg_lo:[1,1,0]
	v_perm_b32 v126, v18, v17, 0x7060403
	s_set_vgpr_msb 16                       ;  msbs: dst=0 src0=0 src1=0 src2=1
	v_dot4_i32_iu8 v130, v7, v133, v15 /*v271*/ neg_lo:[1,1,0]
	s_set_vgpr_msb 0                        ;  msbs: dst=0 src0=0 src1=0 src2=0
	v_dot4_i32_iu8 v124, v241, v138, v124 neg_lo:[1,1,0]
	v_dot4_i32_iu8 v125, v244, v139, v125 neg_lo:[1,1,0]
	s_delay_alu instid0(VALU_DEP_3) | instskip(NEXT) | instid1(VALU_DEP_3)
	v_mul_lo_u32 v130, v130, v249
	v_dot4_i32_iu8 v124, v23, v129, v124 neg_lo:[1,1,0]
	s_delay_alu instid0(VALU_DEP_3)
	v_dot4_i32_iu8 v125, v245, v126, v125 neg_lo:[1,1,0]
	v_perm_b32 v126, v31, v31, 0x3020001
	s_set_vgpr_msb 16                       ;  msbs: dst=0 src0=0 src1=0 src2=1
	v_dot4_i32_iu8 v129, v3, v129, v13 /*v269*/ neg_lo:[1,1,0]
	v_mul_lo_u32 v124, v124, v248
	s_set_vgpr_msb 0                        ;  msbs: dst=0 src0=0 src1=0 src2=0
	v_dot4_i32_iu8 v125, v19, v133, v125 neg_lo:[1,1,0]
	v_dot4_i32_iu8 v13, v126, v250, v13 neg_lo:[1,1,0]
	v_perm_b32 v126, v11, v11, 0x3020001
	s_delay_alu instid0(VALU_DEP_2) | instskip(SKIP_1) | instid1(VALU_DEP_2)
	v_mul_lo_u32 v13, v13, v247
	s_set_vgpr_msb 16                       ;  msbs: dst=0 src0=0 src1=0 src2=1
	v_dot4_i32_iu8 v126, v126, v251, v14 /*v270*/ neg_lo:[1,1,0]
	s_set_vgpr_msb 0                        ;  msbs: dst=0 src0=0 src1=0 src2=0
	v_mad_u32 v124, v125, v249, v124
	v_mad_u32 v125, v129, v248, v130
	s_delay_alu instid0(VALU_DEP_3)
	v_mul_lo_u32 v126, v126, v246
	s_set_vgpr_msb 16                       ;  msbs: dst=0 src0=0 src1=0 src2=1
	v_dot4_i32_iu8 v129, v3, v157, v10 /*v266*/ neg_lo:[1,1,0]
	s_set_vgpr_msb 0                        ;  msbs: dst=0 src0=0 src1=0 src2=0
	v_mad_u32 v13, v33, v246, v13
	v_cvt_f32_i32_e32 v124, v124
	v_cvt_f32_i32_e32 v125, v125
	v_mad_u32 v33, v127, v247, v126
	s_delay_alu instid0(VALU_DEP_2) | instskip(SKIP_2) | instid1(VALU_DEP_4)
	v_pk_fma_f32 v[124:125], v[4:5], v[124:125], 0 op_sel_hi:[1,1,0]
	v_cvt_f32_i32_e32 v126, v13
	v_perm_b32 v13, v28, v175, 0x6040501
	v_cvt_f32_i32_e32 v127, v33
	v_or_b32_e32 v33, v234, v30
	s_delay_alu instid0(VALU_DEP_2) | instskip(NEXT) | instid1(VALU_DEP_2)
	v_pk_fma_f32 v[124:125], v[0:1], v[126:127], v[124:125]
	v_dot4_i32_iu8 v13, v33, v13, 0 neg_lo:[1,1,0]
	v_perm_b32 v33, v174, v28, 0x6040503
	v_perm_b32 v126, v22, v163, 0x7060403
	;; [unrolled: 1-line block ×3, first 2 shown]
	v_pk_fma_f32 v[40:41], v[118:119], v[124:125], v[40:41]
	v_perm_b32 v124, v29, v165, 0x6040503
	v_perm_b32 v125, v25, v166, 0x6040503
	s_delay_alu instid0(VALU_DEP_2) | instskip(SKIP_2) | instid1(VALU_DEP_3)
	v_dot4_i32_iu8 v13, v124, v33, v13 neg_lo:[1,1,0]
	v_perm_b32 v33, v24, v177, 0x6040501
	v_perm_b32 v124, v166, v26, 0x6040501
	v_dot4_i32_iu8 v13, v236, v9, v13 neg_lo:[1,1,0]
	s_delay_alu instid0(VALU_DEP_2) | instskip(SKIP_1) | instid1(VALU_DEP_3)
	v_dot4_i32_iu8 v33, v124, v33, 0 neg_lo:[1,1,0]
	v_perm_b32 v124, v176, v24, 0x6040503
	v_dot4_i32_iu8 v13, v31, v167, v13 neg_lo:[1,1,0]
	s_delay_alu instid0(VALU_DEP_2) | instskip(SKIP_2) | instid1(VALU_DEP_4)
	v_dot4_i32_iu8 v33, v125, v124, v33 neg_lo:[1,1,0]
	v_perm_b32 v124, v20, v156, 0x6050401
	v_perm_b32 v125, v162, v22, 0x6050401
	v_mul_lo_u32 v13, v13, v230
	s_set_vgpr_msb 1                        ;  msbs: dst=0 src0=1 src1=0 src2=0
	v_dot4_i32_iu8 v33, v1 /*v257*/, v10, v33 neg_lo:[1,1,0]
	s_set_vgpr_msb 0                        ;  msbs: dst=0 src0=0 src1=0 src2=0
	v_dot4_i32_iu8 v124, v125, v124, 0 neg_lo:[1,1,0]
	v_perm_b32 v125, v156, v21, 0x7060403
	s_delay_alu instid0(VALU_DEP_3) | instskip(NEXT) | instid1(VALU_DEP_3)
	v_dot4_i32_iu8 v33, v27, v164, v33 neg_lo:[1,1,0]
	v_dot4_i32_iu8 v124, v235, v128, v124 neg_lo:[1,1,0]
	s_delay_alu instid0(VALU_DEP_2) | instskip(NEXT) | instid1(VALU_DEP_2)
	v_mad_u32 v13, v33, v231, v13
	v_dot4_i32_iu8 v124, v126, v125, v124 neg_lo:[1,1,0]
	v_perm_b32 v125, v16, v158, 0x6050401
	v_perm_b32 v126, v168, v18, 0x6050401
	s_delay_alu instid0(VALU_DEP_3) | instskip(NEXT) | instid1(VALU_DEP_2)
	v_dot4_i32_iu8 v124, v23, v157, v124 neg_lo:[1,1,0]
	v_dot4_i32_iu8 v125, v126, v125, 0 neg_lo:[1,1,0]
	v_perm_b32 v126, v158, v17, 0x7060403
	s_delay_alu instid0(VALU_DEP_3) | instskip(SKIP_1) | instid1(VALU_DEP_3)
	v_mul_lo_u32 v124, v124, v233
	s_set_vgpr_msb 1                        ;  msbs: dst=0 src0=1 src1=0 src2=0
	v_dot4_i32_iu8 v125, v7 /*v263*/, v139, v125 neg_lo:[1,1,0]
	s_set_vgpr_msb 0                        ;  msbs: dst=0 src0=0 src1=0 src2=0
	s_delay_alu instid0(VALU_DEP_1)
	v_dot4_i32_iu8 v125, v127, v126, v125 neg_lo:[1,1,0]
	s_set_vgpr_msb 16                       ;  msbs: dst=0 src0=0 src1=0 src2=1
	v_dot4_i32_iu8 v126, v11, v164, v9 /*v265*/ neg_lo:[1,1,0]
	v_dot4_i32_iu8 v127, v7, v159, v11 /*v267*/ neg_lo:[1,1,0]
	s_set_vgpr_msb 0                        ;  msbs: dst=0 src0=0 src1=0 src2=0
	v_dot4_i32_iu8 v11, v15, v153, v12 neg_lo:[1,1,0]
	v_dot4_i32_iu8 v125, v19, v159, v125 neg_lo:[1,1,0]
	v_mul_lo_u32 v126, v126, v231
	v_mul_lo_u32 v127, v127, v232
	s_delay_alu instid0(VALU_DEP_3) | instskip(NEXT) | instid1(VALU_DEP_3)
	v_mad_u32 v124, v125, v232, v124
	v_mad_u32 v14, v14, v230, v126
	s_delay_alu instid0(VALU_DEP_3)
	v_mad_u32 v125, v129, v233, v127
	v_cvt_f32_i32_e32 v126, v13
	v_perm_b32 v13, v28, v171, 0x6040501
	v_cvt_f32_i32_e32 v124, v124
	v_cvt_f32_i32_e32 v127, v14
	v_or_b32_e32 v14, v149, v30
	v_cvt_f32_i32_e32 v125, v125
	s_delay_alu instid0(VALU_DEP_2) | instskip(SKIP_2) | instid1(VALU_DEP_4)
	v_dot4_i32_iu8 v13, v14, v13, 0 neg_lo:[1,1,0]
	v_perm_b32 v14, v170, v28, 0x6040503
	v_perm_b32 v28, v29, v151, 0x6040503
	v_pk_fma_f32 v[124:125], v[4:5], v[124:125], 0 op_sel_hi:[1,1,0]
	s_delay_alu instid0(VALU_DEP_2) | instskip(SKIP_1) | instid1(VALU_DEP_3)
	v_dot4_i32_iu8 v13, v28, v14, v13 neg_lo:[1,1,0]
	v_perm_b32 v14, v152, v26, 0x6040501
	v_pk_fma_f32 v[124:125], v[0:1], v[126:127], v[124:125]
	s_delay_alu instid0(VALU_DEP_3) | instskip(SKIP_1) | instid1(VALU_DEP_3)
	v_dot4_i32_iu8 v9, v229, v9, v13 neg_lo:[1,1,0]
	v_perm_b32 v13, v24, v173, 0x6040501
	v_pk_fma_f32 v[38:39], v[120:121], v[124:125], v[38:39]
	s_delay_alu instid0(VALU_DEP_3) | instskip(NEXT) | instid1(VALU_DEP_3)
	v_dot4_i32_iu8 v9, v31, v153, v9 neg_lo:[1,1,0]
	v_dot4_i32_iu8 v13, v14, v13, 0 neg_lo:[1,1,0]
	v_perm_b32 v14, v172, v24, 0x6040503
	v_perm_b32 v24, v25, v152, 0x6040503
	s_delay_alu instid0(VALU_DEP_1) | instskip(SKIP_1) | instid1(VALU_DEP_2)
	v_dot4_i32_iu8 v13, v24, v14, v13 neg_lo:[1,1,0]
	v_perm_b32 v14, v160, v22, 0x6050401
	v_dot4_i32_iu8 v10, v237, v10, v13 neg_lo:[1,1,0]
	v_perm_b32 v13, v20, v144, 0x6050401
	v_perm_b32 v20, v22, v161, 0x7060403
	s_delay_alu instid0(VALU_DEP_3) | instskip(NEXT) | instid1(VALU_DEP_3)
	v_dot4_i32_iu8 v10, v27, v150, v10 neg_lo:[1,1,0]
	v_dot4_i32_iu8 v13, v14, v13, 0 neg_lo:[1,1,0]
	v_perm_b32 v14, v144, v21, 0x7060403
	s_delay_alu instid0(VALU_DEP_2) | instskip(NEXT) | instid1(VALU_DEP_1)
	v_dot4_i32_iu8 v13, v147, v128, v13 neg_lo:[1,1,0]
	v_dot4_i32_iu8 v13, v20, v14, v13 neg_lo:[1,1,0]
	v_perm_b32 v14, v16, v34, 0x6050401
	v_perm_b32 v16, v154, v18, 0x6050401
	s_delay_alu instid0(VALU_DEP_3) | instskip(NEXT) | instid1(VALU_DEP_2)
	v_dot4_i32_iu8 v12, v23, v145, v13 neg_lo:[1,1,0]
	v_dot4_i32_iu8 v14, v16, v14, 0 neg_lo:[1,1,0]
	v_perm_b32 v16, v34, v17, 0x7060403
	v_perm_b32 v17, v18, v155, 0x7060403
	s_delay_alu instid0(VALU_DEP_4) | instskip(SKIP_3) | instid1(VALU_DEP_1)
	v_mul_lo_u32 v7, v12, v143
	s_set_vgpr_msb 1                        ;  msbs: dst=0 src0=1 src1=0 src2=0
	v_dot4_i32_iu8 v14, v6 /*v262*/, v139, v14 neg_lo:[1,1,0]
	s_set_vgpr_msb 0                        ;  msbs: dst=0 src0=0 src1=0 src2=0
	v_dot4_i32_iu8 v14, v17, v16, v14 neg_lo:[1,1,0]
	s_delay_alu instid0(VALU_DEP_1) | instskip(NEXT) | instid1(VALU_DEP_1)
	v_dot4_i32_iu8 v3, v19, v35, v14 neg_lo:[1,1,0]
	v_mad_u32 v7, v3, v141, v7
	v_cvt_f32_i32_e32 v3, v2
	s_delay_alu instid0(VALU_DEP_2) | instskip(NEXT) | instid1(VALU_DEP_1)
	v_cvt_f32_i32_e32 v2, v7
	v_pk_fma_f32 v[2:3], v[4:5], v[2:3], 0 op_sel_hi:[1,1,0]
	v_mul_lo_u32 v4, v8, v131
	v_mul_lo_u32 v5, v9, v32
	s_delay_alu instid0(VALU_DEP_2) | instskip(NEXT) | instid1(VALU_DEP_2)
	v_mad_u32 v4, v11, v32, v4
	v_mad_u32 v6, v10, v131, v5
	s_delay_alu instid0(VALU_DEP_2) | instskip(NEXT) | instid1(VALU_DEP_2)
	v_cvt_f32_i32_e32 v5, v4
	v_cvt_f32_i32_e32 v4, v6
	s_delay_alu instid0(VALU_DEP_1) | instskip(NEXT) | instid1(VALU_DEP_1)
	v_pk_fma_f32 v[0:1], v[0:1], v[4:5], v[2:3]
	v_pk_fma_f32 v[36:37], v[122:123], v[0:1], v[36:37]
	s_cbranch_vccnz .LBB135_6
; %bb.7:                                ;   in Loop: Header=BB135_5 Depth=1
	v_dual_add_nc_u32 v8, s5, v180 :: v_dual_add_nc_u32 v4, 4, v227
	s_barrier_signal -1
	s_barrier_wait -1
	s_delay_alu instid0(VALU_DEP_1) | instskip(SKIP_3) | instid1(VALU_DEP_4)
	v_dual_add_nc_u32 v6, v8, v115 :: v_dual_add_nc_u32 v12, v8, v109
	v_dual_add_nc_u32 v0, v8, v101 :: v_dual_add_nc_u32 v2, v8, v103
	;; [unrolled: 1-line block ×3, first 2 shown]
	v_mad_nc_u64_u32 v[4:5], v4, 36, s[2:3]
	v_mad_nc_i64_i32 v[6:7], v6, 36, v[90:91]
	s_delay_alu instid0(VALU_DEP_4)
	v_mad_nc_i64_i32 v[0:1], v0, 36, v[90:91]
	v_dual_add_nc_u32 v14, v8, v111 :: v_dual_add_nc_u32 v16, v8, v113
	v_mad_nc_i64_i32 v[2:3], v2, 36, v[90:91]
	v_mad_nc_i64_i32 v[8:9], v9, 36, v[90:91]
	;; [unrolled: 1-line block ×6, first 2 shown]
	s_clause 0x8
	global_load_b32 v18, v[4:5], off
	global_load_b32 v19, v[6:7], off offset:4
	global_load_b32 v20, v[0:1], off offset:4
	;; [unrolled: 1-line block ×8, first 2 shown]
	s_mov_b32 s5, 16
	s_wait_loadcnt 0x8
	s_wait_xcnt 0x6
	v_cvt_f32_f16_e32 v0, v18
	s_wait_loadcnt 0x7
	ds_store_b32 v188, v19
	s_wait_loadcnt 0x6
	ds_store_b32 v181, v20
	;; [unrolled: 2-line block ×8, first 2 shown]
	ds_store_b32 v99, v0
	s_wait_dscnt 0x0
	s_barrier_signal -1
	s_barrier_wait -1
	ds_load_b32 v116, v190
	ds_load_b32 v118, v191 offset:128
	ds_load_b32 v120, v192 offset:256
	;; [unrolled: 1-line block ×3, first 2 shown]
	s_wait_dscnt 0x2
	v_dual_mov_b32 v117, v116 :: v_dual_mov_b32 v119, v118
	s_wait_dscnt 0x0
	v_dual_mov_b32 v121, v120 :: v_dual_mov_b32 v123, v122
.LBB135_8:                              ;   Parent Loop BB135_5 Depth=1
                                        ; =>  This Inner Loop Header: Depth=2
	s_lshl_b32 s12, s5, 1
	s_lshl_b32 s16, s5, 3
	s_and_b32 s12, s12, 16
	s_lshr_b32 s13, s5, 1
	v_or_b32_e32 v0, s12, v85
	s_add_co_i32 s13, s13, 0xa200
	v_add_nc_u32_e32 v152, s16, v214
	v_add3_u32 v150, s13, v217, v204
	v_add3_u32 v162, s13, v218, v201
	v_lshlrev_b32_e32 v1, 2, v0
	ds_load_b128 v[8:11], v1 offset:33280
	ds_load_b128 v[4:7], v1 offset:33296
	;; [unrolled: 1-line block ×4, first 2 shown]
	s_set_vgpr_msb 64                       ;  msbs: dst=1 src0=0 src1=0 src2=0
	v_add3_u32 v23 /*v279*/, s13, v205, v202
	v_add3_u32 v24 /*v280*/, s13, v206, v203
	v_add_nc_u32_e32 v25 /*v281*/, s16, v216
	s_wait_dscnt 0x3
	s_set_vgpr_msb 0                        ;  msbs: dst=0 src0=0 src1=0 src2=0
	v_bfe_i32 v24, v10, 8, 8
	s_wait_dscnt 0x2
	v_bfe_i32 v25, v6, 8, 8
	s_wait_dscnt 0x1
	v_dual_ashrrev_i32 v157, 24, v18 :: v_dual_lshrrev_b32 v30, 1, v0
	v_add_nc_u32_e32 v0, s16, v213
	ds_load_2addr_b32 v[134:135], v0 offset0:6 offset1:7
	ds_load_2addr_b32 v[140:141], v0 offset0:4 offset1:5
	;; [unrolled: 1-line block ×3, first 2 shown]
	ds_load_2addr_b32 v[138:139], v0 offset1:1
	ds_load_2addr_b32 v[22:23], v0 offset0:13 offset1:14
	ds_load_2addr_b32 v[20:21], v0 offset0:11 offset1:12
	ds_load_2addr_b32 v[170:171], v0 offset0:8 offset1:15
	ds_load_2addr_b32 v[172:173], v0 offset0:9 offset1:10
	v_bfe_i32 v28, v18, 8, 8
	v_perm_b32 v179, v16, v16, 0xc0c0001
	v_perm_b32 v227, v16, v16, 0xc0c0302
	v_perm_b32 v228, v17, v17, 0xc0c0001
	v_bfe_i32 v27, v17, 16, 8
	v_perm_b32 v229, v18, v17, 0xc0c0403
	v_perm_b32 v230, v18, v18, 0xc0c0302
	v_perm_b32 v231, v4, v4, 0xc0c0100
	;; [unrolled: 4-line block ×3, first 2 shown]
	ds_load_2addr_b32 v[124:125], v152 offset0:6 offset1:7
	ds_load_2addr_b32 v[130:131], v152 offset0:4 offset1:5
	;; [unrolled: 1-line block ×3, first 2 shown]
	ds_load_2addr_b32 v[128:129], v152 offset1:1
	s_wait_dscnt 0xc
	v_dual_ashrrev_i32 v161, 24, v12 :: v_dual_ashrrev_i32 v178, 24, v13
	s_wait_dscnt 0x7
	v_perm_b32 v167, v12, v23, 0x6040501
	s_wait_dscnt 0x6
	v_perm_b32 v166, v21, v14, 0x6040501
	;; [unrolled: 2-line block ×3, first 2 shown]
	s_wait_dscnt 0x4
	v_bfe_i32 v0, v173, 8, 8
	v_bfe_i32 v1, v172, 16, 8
	;; [unrolled: 1-line block ×3, first 2 shown]
	v_dot4_i32_iu8 v166, v167, v166, 0 neg_lo:[1,1,0]
	v_perm_b32 v167, v13, v21, 0x6040503
	v_mul_i32_i24_e32 v0, v0, v28
	v_perm_b32 v169, v22, v12, 0x6040503
	v_bfe_i32 v29, v14, 8, 8
	v_bfe_i32 v176, v14, 16, 8
	;; [unrolled: 1-line block ×3, first 2 shown]
	v_dot4_i32_iu8 v0, v179, v2, v0 neg_lo:[1,1,0]
	v_perm_b32 v2, v170, v170, 0xc0c0302
	v_dot4_i32_iu8 v166, v169, v167, v166 neg_lo:[1,1,0]
	v_perm_b32 v234, v13, v13, 0xc0c0c03
	v_bfe_i32 v35, v12, 8, 8
	v_perm_b32 v255, v23, v22, 0x7060403
	v_dot4_i32_iu8 v0, v227, v2, v0 neg_lo:[1,1,0]
	v_perm_b32 v2, v172, v172, 0xc0c0001
	v_bfe_i32 v132, v12, 0, 8
	v_bfe_i32 v160, v13, 0, 8
	;; [unrolled: 1-line block ×4, first 2 shown]
	v_dot4_i32_iu8 v0, v228, v2, v0 neg_lo:[1,1,0]
	v_perm_b32 v2, v140, v140, 0xc0c0100
	v_dual_ashrrev_i32 v145, 24, v4 :: v_dual_ashrrev_i32 v148, 24, v6
	s_wait_dscnt 0x2
	v_lshrrev_b16 v153, 8, v131
	v_mad_i32_i24 v0, v1, v27, v0
	v_perm_b32 v1, v173, v172, 0xc0c0403
	v_lshrrev_b16 v31, 8, v5
	v_bfe_i32 v142, v16, 8, 8
	v_bfe_i32 v144, v4, 0, 8
	;; [unrolled: 1-line block ×3, first 2 shown]
	v_dot4_i32_iu8 v0, v229, v1, v0 neg_lo:[1,1,0]
	v_perm_b32 v1, v173, v173, 0xc0c0302
	v_bfe_i32 v31, v31, 0, 8
	v_bfe_i32 v146, v6, 0, 8
	;; [unrolled: 1-line block ×3, first 2 shown]
	s_wait_dscnt 0x0
	v_ashrrev_i32_e32 v239, 24, v128
	v_dot4_i32_iu8 v154, v230, v1, v0 neg_lo:[1,1,0]
	v_bfe_i32 v0, v134, 8, 8
	v_bfe_i32 v1, v140, 16, 8
	s_set_vgpr_msb 64                       ;  msbs: dst=1 src0=0 src1=0 src2=0
	v_perm_b32 v1 /*v257*/, v21, v23, 0x6040501
	v_perm_b32 v2 /*v258*/, v22, v21, 0x6040503
	s_set_vgpr_msb 0                        ;  msbs: dst=0 src0=0 src1=0 src2=0
	v_perm_b32 v245, v171, v171, 0x3020001
	v_mul_i32_i24_e32 v0, v0, v25
	v_perm_b32 v244, v20, v20, 0x3020001
	s_set_vgpr_msb 64                       ;  msbs: dst=1 src0=0 src1=0 src2=0
	v_perm_b32 v37 /*v293*/, v19, v19, 0x7060001
	s_set_vgpr_msb 0                        ;  msbs: dst=0 src0=0 src1=0 src2=0
	v_perm_b32 v247, v134, v141, 0x7060403
	s_set_vgpr_msb 64                       ;  msbs: dst=1 src0=0 src1=0 src2=0
	v_perm_b32 v42 /*v298*/, v12, v12, 0xc0c0001
	s_set_vgpr_msb 0                        ;  msbs: dst=0 src0=0 src1=0 src2=0
	v_dot4_i32_iu8 v0, v231, v2, v0 neg_lo:[1,1,0]
	s_set_vgpr_msb 64                       ;  msbs: dst=1 src0=0 src1=0 src2=0
	v_perm_b32 v48 /*v304*/, v170, v173, 0x6040501
	s_set_vgpr_msb 0                        ;  msbs: dst=0 src0=0 src1=0 src2=0
	v_perm_b32 v16, v17, v16, 0x5030200
	s_set_vgpr_msb 64                       ;  msbs: dst=1 src0=0 src1=0 src2=0
	v_perm_b32 v50 /*v306*/, v172, v170, 0x6040503
	s_set_vgpr_msb 0                        ;  msbs: dst=0 src0=0 src1=0 src2=0
	v_bfe_i32 v156, v18, 16, 8
	v_mad_i32_i24 v151, v1, v26, v0
	v_bfe_i32 v0, v136, 8, 8
	v_perm_b32 v1, v139, v139, 0xc0c0001
	s_set_vgpr_msb 64                       ;  msbs: dst=1 src0=0 src1=0 src2=0
	v_perm_b32 v59 /*v315*/, v15, v15, 0x7060001
	v_bfe_i32 v5 /*v261*/, v128, 16, 8
	s_set_vgpr_msb 0                        ;  msbs: dst=0 src0=0 src1=0 src2=0
	v_lshrrev_b16 v163, 8, v129
	v_mul_i32_i24_e32 v0, v0, v24
	v_bfe_i32 v238, v128, 8, 8
	s_set_vgpr_msb 64                       ;  msbs: dst=1 src0=0 src1=0 src2=0
	v_bfe_i32 v19 /*v275*/, v126, 16, 8
	s_set_vgpr_msb 0                        ;  msbs: dst=0 src0=0 src1=0 src2=0
	v_bfe_i32 v237, v126, 8, 8
	s_set_vgpr_msb 64                       ;  msbs: dst=1 src0=0 src1=0 src2=0
	v_bfe_i32 v18 /*v274*/, v126, 0, 8
	s_set_vgpr_msb 0                        ;  msbs: dst=0 src0=0 src1=0 src2=0
	v_dot4_i32_iu8 v0, v138, v8, v0 neg_lo:[1,1,0]
	s_set_vgpr_msb 64                       ;  msbs: dst=1 src0=0 src1=0 src2=0
	v_bfe_i32 v21 /*v277*/, v127, 8, 8
	s_set_vgpr_msb 0                        ;  msbs: dst=0 src0=0 src1=0 src2=0
	s_delay_alu instid0(VALU_DEP_2) | instskip(SKIP_1) | instid1(VALU_DEP_1)
	v_dot4_i32_iu8 v0, v232, v1, v0 neg_lo:[1,1,0]
	v_perm_b32 v1, v139, v139, 0xc0c0302
	v_dot4_i32_iu8 v0, v233, v1, v0 neg_lo:[1,1,0]
	v_perm_b32 v1, v136, v136, 0xc030200
	s_delay_alu instid0(VALU_DEP_1)
	v_dot4_i32_iu8 v155, v1, v246, v0 neg_lo:[1,1,0]
	ds_load_u16 v164, v152 offset:32
	ds_load_b128 v[0:3], v152 offset:34
	ds_load_b96 v[32:34], v152 offset:50
	ds_load_u16 v174, v152 offset:62
	s_wait_dscnt 0x1
	v_dual_ashrrev_i32 v159, 24, v3 :: v_dual_ashrrev_i32 v158, 24, v33
	v_lshrrev_b16 v152, 8, v32
	v_ashrrev_i32_e32 v167, 24, v32
	v_bfe_i32 v169, v32, 16, 8
	s_delay_alu instid0(VALU_DEP_4)
	v_mul_i32_i24_e32 v35, v159, v35
	v_bfe_i32 v159, v3, 16, 8
	v_bfe_i32 v152, v152, 0, 8
	v_bfe_i32 v175, v32, 0, 8
	v_bfe_i32 v235, v33, 16, 8
	v_bfe_i32 v236, v33, 8, 8
	v_mul_i32_i24_e32 v132, v159, v132
	v_mul_i32_i24_e32 v152, v152, v161
	v_bfe_i32 v161, v33, 0, 8
	v_bfe_i32 v159, v13, 8, 8
	v_mul_i32_i24_e32 v175, v175, v168
	v_mul_i32_i24_e32 v178, v236, v178
	;; [unrolled: 1-line block ×4, first 2 shown]
	v_ashrrev_i32_e32 v161, 24, v14
	v_perm_b32 v14, v14, v14, 0x706000c
	v_mad_i32_i24 v132, v158, v29, v132
	v_bfe_i32 v158, v5, 0, 8
	v_lshrrev_b16 v165, 8, v0
	s_set_vgpr_msb 64                       ;  msbs: dst=1 src0=0 src1=0 src2=0
	v_bfe_i32 v47 /*v303*/, v0, 16, 8
	v_or_b32_e32 v0 /*v256*/, v14, v234
	s_set_vgpr_msb 0                        ;  msbs: dst=0 src0=0 src1=0 src2=0
	v_bfe_i32 v234, v34, 0, 8
	s_set_vgpr_msb 64                       ;  msbs: dst=1 src0=0 src1=0 src2=0
	v_bfe_i32 v52 /*v308*/, v1, 8, 8
	s_set_vgpr_msb 0                        ;  msbs: dst=0 src0=0 src1=0 src2=0
	v_bfe_i32 v165, v165, 0, 8
	v_bfe_i32 v235, v128, 0, 8
	s_set_vgpr_msb 1                        ;  msbs: dst=0 src0=1 src1=0 src2=0
	v_dot4_i32_iu8 v14, v0 /*v256*/, v255, v166 neg_lo:[1,1,0]
	s_set_vgpr_msb 0                        ;  msbs: dst=0 src0=0 src1=0 src2=0
	v_bfe_i32 v166, v34, 8, 8
	v_mul_i32_i24_e32 v176, v234, v176
	v_perm_b32 v250, v34, v33, 0x5040201
	s_delay_alu instid0(VALU_DEP_3) | instskip(NEXT) | instid1(VALU_DEP_3)
	v_mul_i32_i24_e32 v161, v166, v161
	v_mad_i32_i24 v160, v169, v160, v176
	v_bfe_i32 v169, v164, 0, 8
	v_add_nc_u32_e32 v166, s16, v215
	s_delay_alu instid0(VALU_DEP_4) | instskip(NEXT) | instid1(VALU_DEP_1)
	v_mad_i32_i24 v159, v167, v159, v161
	v_add3_u32 v152, v152, v177, v159
	v_add3_u32 v159, v175, v178, v160
	v_perm_b32 v160, v5, v140, 0x6040503
	v_ashrrev_i32_e32 v175, 24, v1
	v_bfe_i32 v178, v1, 0, 8
	s_delay_alu instid0(VALU_DEP_4) | instskip(SKIP_2) | instid1(VALU_DEP_3)
	v_add3_u32 v35, v159, v152, v35
	v_perm_b32 v159, v141, v4, 0x6040503
	v_bfe_i32 v152, v5, 16, 8
	v_add3_u32 v35, v35, v132, v133
	v_lshrrev_b16 v133, 8, v164
	s_delay_alu instid0(VALU_DEP_4) | instskip(SKIP_2) | instid1(VALU_DEP_4)
	v_dot4_i32_iu8 v151, v160, v159, v151 neg_lo:[1,1,0]
	v_perm_b32 v159, v6, v141, 0x7060403
	v_perm_b32 v160, v134, v5, 0x7060403
	v_bfe_i32 v176, v133, 0, 8
	v_bfe_i32 v133, v130, 8, 8
	s_delay_alu instid0(VALU_DEP_3) | instskip(SKIP_2) | instid1(VALU_DEP_4)
	v_dot4_i32_iu8 v236, v160, v159, v151 neg_lo:[1,1,0]
	v_bfe_i32 v151, v153, 0, 8
	v_ashrrev_i32_e32 v153, 24, v131
	v_mul_i32_i24_e32 v133, v133, v143
	v_ashrrev_i32_e32 v143, 24, v130
	v_mul_i32_i24_e32 v132, v175, v28
	v_bfe_i32 v159, v131, 16, 8
	v_bfe_i32 v160, v131, 0, 8
	s_delay_alu instid0(VALU_DEP_4)
	v_mul_i32_i24_e32 v143, v143, v145
	v_ashrrev_i32_e32 v145, 24, v5
	v_mad_i32_i24 v234, v176, v142, v132
	v_bfe_i32 v142, v130, 0, 8
	v_mul_i32_i24_e32 v152, v159, v152
	v_bfe_i32 v159, v124, 16, 8
	v_mul_i32_i24_e32 v145, v153, v145
	;; [unrolled: 2-line block ×5, first 2 shown]
	v_bfe_i32 v160, v125, 8, 8
	v_mad_i32_i24 v31, v151, v31, v145
	v_mul_i32_i24_e32 v144, v144, v26
	v_ashrrev_i32_e32 v159, 24, v124
	v_mad_i32_i24 v132, v132, v25, v133
	v_mul_i32_i24_e32 v149, v160, v149
	v_add3_u32 v31, v158, v152, v31
	v_mad_i32_i24 v133, v153, v146, v147
	s_delay_alu instid0(VALU_DEP_3) | instskip(NEXT) | instid1(VALU_DEP_3)
	v_mad_i32_i24 v145, v159, v148, v149
	v_add3_u32 v31, v31, v142, v132
	s_delay_alu instid0(VALU_DEP_3) | instskip(SKIP_3) | instid1(VALU_DEP_2)
	v_add3_u32 v132, v144, v143, v133
	s_set_vgpr_msb 4                        ;  msbs: dst=0 src0=0 src1=1 src2=0
	v_dot4_i32_iu8 v148, v244, v37 /*v293*/, v154 neg_lo:[1,1,0]
	s_set_vgpr_msb 64                       ;  msbs: dst=1 src0=0 src1=0 src2=0
	v_add3_u32 v3 /*v259*/, v31, v132, v145
	s_set_vgpr_msb 0                        ;  msbs: dst=0 src0=0 src1=0 src2=0
	v_perm_b32 v31, v128, v126, 0x6050401
	v_perm_b32 v132, v8, v10, 0x6050401
	s_set_vgpr_msb 64                       ;  msbs: dst=1 src0=0 src1=0 src2=0
	s_delay_alu instid0(VALU_DEP_1) | instskip(SKIP_2) | instid1(VALU_DEP_1)
	v_dot4_i32_iu8 v22 /*v278*/, v31, v132, 0 neg_lo:[1,1,0]
	s_set_vgpr_msb 0                        ;  msbs: dst=0 src0=0 src1=0 src2=0
	v_or_b32_e32 v31, s12, v194
	v_dual_lshlrev_b32 v132, 2, v31 :: v_dual_lshrrev_b32 v133, 1, v31
	ds_load_b64 v[30:31], v30 offset:43584
	ds_load_b32 v142, v150
	s_wait_dscnt 0x0
	v_bfe_i32 v242, v142, 0, 8
	v_bfe_i32 v243, v142, 8, 8
	;; [unrolled: 1-line block ×3, first 2 shown]
	v_ashrrev_i32_e32 v241, 24, v142
	ds_load_2addr_b32 v[142:143], v166 offset0:6 offset1:7
	ds_load_2addr_b32 v[146:147], v166 offset0:4 offset1:5
	;; [unrolled: 1-line block ×3, first 2 shown]
	s_set_vgpr_msb 64                       ;  msbs: dst=1 src0=0 src1=0 src2=0
	ds_load_b128 v[6:9] /*v[262:265]*/, v132 offset:33280
	ds_load_b128 v[10:13] /*v[266:269]*/, v132 offset:33296
	s_set_vgpr_msb 0                        ;  msbs: dst=0 src0=0 src1=0 src2=0
	ds_load_b128 v[150:153], v132 offset:33312
	s_set_vgpr_msb 64                       ;  msbs: dst=1 src0=0 src1=0 src2=0
	ds_load_b128 v[14:17] /*v[270:273]*/, v132 offset:33328
	s_set_vgpr_msb 0                        ;  msbs: dst=0 src0=0 src1=0 src2=0
	ds_load_b64 v[132:133], v133 offset:43584
	s_set_vgpr_msb 64                       ;  msbs: dst=1 src0=0 src1=0 src2=0
	v_ashrrev_i32_e32 v20 /*v276*/, 24, v126
	v_mul_lo_u32 v41 /*v297*/, v148, v240
	s_wait_dscnt 0x4
	s_set_vgpr_msb 0x41                     ;  msbs: dst=1 src0=1 src1=0 src2=0
	v_bfe_i32 v30 /*v286*/, v6 /*v262*/, 0, 8
	s_wait_dscnt 0x3
	s_set_vgpr_msb 1                        ;  msbs: dst=0 src0=1 src1=0 src2=0
	v_perm_b32 v20, v10 /*v266*/, v134, 0x6050401
	v_perm_b32 v154, v11 /*v267*/, v140, 0x6040503
	s_wait_dscnt 0x1
	s_set_vgpr_msb 5                        ;  msbs: dst=0 src0=1 src1=1 src2=0
	v_perm_b32 v23, v14 /*v270*/, v16 /*v272*/, 0x6040501
	v_perm_b32 v22, v15 /*v271*/, v14 /*v270*/, 0x6040503
	s_set_vgpr_msb 0x45                     ;  msbs: dst=1 src0=1 src1=1 src2=0
	v_perm_b32 v38 /*v294*/, v17 /*v273*/, v17 /*v273*/, 0x7060001
	s_set_vgpr_msb 4                        ;  msbs: dst=0 src0=0 src1=1 src2=0
	v_bfe_i32 v251, v150, 8, 8
	v_bfe_i32 v252, v150, 0, 8
	v_dot4_i32_iu8 v23, v23, v1 /*v257*/, 0 neg_lo:[1,1,0]
	s_set_vgpr_msb 64                       ;  msbs: dst=1 src0=0 src1=0 src2=0
	v_perm_b32 v49 /*v305*/, v150, v152, 0x6040501
	s_set_vgpr_msb 0                        ;  msbs: dst=0 src0=0 src1=0 src2=0
	v_bfe_i32 v253, v151, 16, 8
	s_set_vgpr_msb 64                       ;  msbs: dst=1 src0=0 src1=0 src2=0
	v_bfe_i32 v4 /*v260*/, v150, 16, 8
	v_perm_b32 v51 /*v307*/, v151, v150, 0x6040503
	s_set_vgpr_msb 4                        ;  msbs: dst=0 src0=0 src1=1 src2=0
	v_dot4_i32_iu8 v21, v22, v2 /*v258*/, v23 neg_lo:[1,1,0]
	s_set_vgpr_msb 5                        ;  msbs: dst=0 src0=1 src1=1 src2=0
	v_perm_b32 v23, v16 /*v272*/, v15 /*v271*/, 0x7060403
	s_set_vgpr_msb 0x45                     ;  msbs: dst=1 src0=1 src1=1 src2=0
	v_dot4_i32_iu8 v48 /*v304*/, v49 /*v305*/, v48 /*v304*/, 0 neg_lo:[1,1,0]
	s_set_vgpr_msb 0                        ;  msbs: dst=0 src0=0 src1=0 src2=0
	v_mul_i32_i24_e32 v178, v253, v178
	v_bfe_i32 v253, v2, 0, 8
	s_set_vgpr_msb 64                       ;  msbs: dst=1 src0=0 src1=0 src2=0
	v_perm_b32 v58 /*v314*/, v153, v153, 0x7060001
	s_set_vgpr_msb 0                        ;  msbs: dst=0 src0=0 src1=0 src2=0
	v_dot4_i32_iu8 v21, v23, v255, v21 neg_lo:[1,1,0]
	s_set_vgpr_msb 64                       ;  msbs: dst=1 src0=0 src1=0 src2=0
	v_ashrrev_i32_e32 v53 /*v309*/, 24, v152
	v_bfe_i32 v54 /*v310*/, v152, 16, 8
	s_set_vgpr_msb 0                        ;  msbs: dst=0 src0=0 src1=0 src2=0
	v_mul_i32_i24_e32 v156, v253, v156
	s_set_vgpr_msb 64                       ;  msbs: dst=1 src0=0 src1=0 src2=0
	v_bfe_i32 v55 /*v311*/, v152, 0, 8
	s_set_vgpr_msb 4                        ;  msbs: dst=0 src0=0 src1=1 src2=0
	v_dot4_i32_iu8 v149, v245, v38 /*v294*/, v21 neg_lo:[1,1,0]
	v_perm_b32 v21, v140, v12 /*v268*/, 0x6050401
	s_set_vgpr_msb 64                       ;  msbs: dst=1 src0=0 src1=0 src2=0
	v_bfe_i32 v27 /*v283*/, v152, 8, 8
	s_set_vgpr_msb 0x41                     ;  msbs: dst=1 src0=1 src1=0 src2=0
	v_bfe_i32 v31 /*v287*/, v6 /*v262*/, 16, 8
	s_set_vgpr_msb 0x44                     ;  msbs: dst=1 src0=0 src1=1 src2=0
	v_lshrrev_b16 v26 /*v282*/, 8, v7 /*v263*/
	s_set_vgpr_msb 0x41                     ;  msbs: dst=1 src0=1 src1=0 src2=0
	v_bfe_i32 v29 /*v285*/, v6 /*v262*/, 8, 8
	s_set_vgpr_msb 0                        ;  msbs: dst=0 src0=0 src1=0 src2=0
	v_dot4_i32_iu8 v20, v21, v20, 0 neg_lo:[1,1,0]
	s_set_vgpr_msb 4                        ;  msbs: dst=0 src0=0 src1=1 src2=0
	v_perm_b32 v21, v141, v10 /*v266*/, 0x6040503
	s_set_vgpr_msb 0x41                     ;  msbs: dst=1 src0=1 src1=0 src2=0
	v_bfe_i32 v34 /*v290*/, v8 /*v264*/, 16, 8
	v_bfe_i32 v28 /*v284*/, v8 /*v264*/, 8, 8
	s_set_vgpr_msb 0x44                     ;  msbs: dst=1 src0=0 src1=1 src2=0
	v_dual_ashrrev_i32 v32 /*v288*/, 24, v6 /*v262*/ :: v_dual_ashrrev_i32 v35 /*v291*/, 24, v8 /*v264*/
	s_set_vgpr_msb 0                        ;  msbs: dst=0 src0=0 src1=0 src2=0
	v_dot4_i32_iu8 v20, v154, v21, v20 neg_lo:[1,1,0]
	s_set_vgpr_msb 5                        ;  msbs: dst=0 src0=1 src1=1 src2=0
	v_perm_b32 v21, v12 /*v268*/, v11 /*v267*/, 0x7060403
	s_set_vgpr_msb 0x41                     ;  msbs: dst=1 src0=1 src1=0 src2=0
	v_bfe_i32 v33 /*v289*/, v8 /*v264*/, 0, 8
	v_bfe_i32 v36 /*v292*/, v9 /*v265*/, 8, 8
	s_set_vgpr_msb 0                        ;  msbs: dst=0 src0=0 src1=0 src2=0
	v_ashrrev_i32_e32 v254, 24, v150
	s_set_vgpr_msb 21                       ;  msbs: dst=0 src0=1 src1=1 src2=1
	v_dot4_i32_iu8 v150, v51 /*v307*/, v50 /*v306*/, v48 /*v304*/ neg_lo:[1,1,0]
	s_set_vgpr_msb 0                        ;  msbs: dst=0 src0=0 src1=0 src2=0
	v_dot4_i32_iu8 v20, v21, v247, v20 neg_lo:[1,1,0]
	v_dot4_i32_iu8 v21, v137, v11, v155 neg_lo:[1,1,0]
	s_set_vgpr_msb 64                       ;  msbs: dst=1 src0=0 src1=0 src2=0
	v_bfe_i32 v50 /*v306*/, v1, 16, 8
	s_set_vgpr_msb 0                        ;  msbs: dst=0 src0=0 src1=0 src2=0
	v_mul_i32_i24_e32 v165, v254, v165
	v_perm_b32 v254, v1, v0, 0x6050402
	s_set_vgpr_msb 4                        ;  msbs: dst=0 src0=0 src1=1 src2=0
	v_dot4_i32_iu8 v20, v135, v13 /*v269*/, v20 neg_lo:[1,1,0]
	s_set_vgpr_msb 64                       ;  msbs: dst=1 src0=0 src1=0 src2=0
	v_mul_lo_u32 v39 /*v295*/, v21, v242
	s_set_vgpr_msb 4                        ;  msbs: dst=0 src0=0 src1=1 src2=0
	v_perm_b32 v21, v138, v8 /*v264*/, 0x6050401
	s_set_vgpr_msb 0                        ;  msbs: dst=0 src0=0 src1=0 src2=0
	v_perm_b32 v1, v173, v173, 0x706000c
	v_mul_lo_u32 v171, v20, v243
	s_set_vgpr_msb 1                        ;  msbs: dst=0 src0=1 src1=0 src2=0
	v_perm_b32 v20, v6 /*v262*/, v136, 0x6050401
	s_set_vgpr_msb 64                       ;  msbs: dst=1 src0=0 src1=0 src2=0
	s_delay_alu instid0(VALU_DEP_1)
	v_dot4_i32_iu8 v40 /*v296*/, v21, v20, 0 neg_lo:[1,1,0]
	s_wait_dscnt 0x0
	s_set_vgpr_msb 0                        ;  msbs: dst=0 src0=0 src1=0 src2=0
	v_mov_b32_e32 v20, v132
	v_mul_lo_u32 v132, v149, v241
	ds_load_2addr_b32 v[148:149], v166 offset1:1
	ds_load_2addr_b32 v[158:159], v166 offset0:13 offset1:14
	ds_load_2addr_b32 v[160:161], v166 offset0:11 offset1:12
	v_dual_mov_b32 v21, v30 :: v_dual_mov_b32 v30, v133
	ds_load_2addr_b32 v[154:155], v166 offset0:8 offset1:15
	s_wait_dscnt 0x2
	v_bfe_i32 v133, v159, 8, 8
	s_wait_dscnt 0x1
	v_perm_b32 v177, v161, v161, 0xc0c0001
	v_bfe_i32 v167, v161, 16, 8
	s_wait_dscnt 0x0
	v_perm_b32 v249, v154, v154, 0xc0c0001
	v_mul_i32_i24_e32 v133, v133, v29
	s_set_vgpr_msb 1                        ;  msbs: dst=0 src0=1 src1=0 src2=0
	s_delay_alu instid0(VALU_DEP_1) | instskip(SKIP_2) | instid1(VALU_DEP_2)
	v_dot4_i32_iu8 v133, v42 /*v298*/, v177, v133 neg_lo:[1,1,0]
	s_set_vgpr_msb 0                        ;  msbs: dst=0 src0=0 src1=0 src2=0
	v_perm_b32 v177, v158, v12, 0x6040503
	v_mad_i32_i24 v133, v168, v167, v133
	v_perm_b32 v167, v13, v161, 0x6040503
	s_delay_alu instid0(VALU_DEP_1) | instskip(SKIP_2) | instid1(VALU_DEP_1)
	v_dot4_i32_iu8 v133, v177, v167, v133 neg_lo:[1,1,0]
	v_perm_b32 v167, v158, v158, 0xc0c0c03
	v_perm_b32 v177, v159, v159, 0x706000c
	v_or_b32_e32 v177, v177, v167
	ds_load_2addr_b32 v[166:167], v166 offset0:9 offset1:10
	s_set_vgpr_msb 0x41                     ;  msbs: dst=1 src0=1 src1=0 src2=0
	v_dot4_i32_iu8 v43 /*v299*/, v0 /*v256*/, v177, v133 neg_lo:[1,1,0]
	s_wait_dscnt 0x0
	s_set_vgpr_msb 0                        ;  msbs: dst=0 src0=0 src1=0 src2=0
	v_bfe_i32 v133, v167, 8, 8
	v_bfe_i32 v248, v166, 16, 8
	s_delay_alu instid0(VALU_DEP_2) | instskip(NEXT) | instid1(VALU_DEP_1)
	v_mul_i32_i24_e32 v133, v133, v28
	v_dot4_i32_iu8 v133, v179, v249, v133 neg_lo:[1,1,0]
	v_perm_b32 v249, v154, v154, 0xc0c0302
	s_delay_alu instid0(VALU_DEP_1) | instskip(SKIP_1) | instid1(VALU_DEP_1)
	v_dot4_i32_iu8 v133, v227, v249, v133 neg_lo:[1,1,0]
	v_perm_b32 v249, v166, v166, 0xc0c0001
	v_dot4_i32_iu8 v133, v228, v249, v133 neg_lo:[1,1,0]
	v_perm_b32 v249, v146, v146, 0xc0c0100
	s_delay_alu instid0(VALU_DEP_2) | instskip(SKIP_1) | instid1(VALU_DEP_1)
	v_mad_i32_i24 v133, v248, v27, v133
	v_perm_b32 v248, v167, v166, 0xc0c0403
	v_dot4_i32_iu8 v133, v229, v248, v133 neg_lo:[1,1,0]
	v_perm_b32 v248, v167, v167, 0xc0c0302
	s_set_vgpr_msb 64                       ;  msbs: dst=1 src0=0 src1=0 src2=0
	s_delay_alu instid0(VALU_DEP_1) | instskip(SKIP_3) | instid1(VALU_DEP_2)
	v_dot4_i32_iu8 v44 /*v300*/, v230, v248, v133 neg_lo:[1,1,0]
	s_set_vgpr_msb 0                        ;  msbs: dst=0 src0=0 src1=0 src2=0
	v_bfe_i32 v133, v142, 8, 8
	v_bfe_i32 v248, v146, 16, 8
	v_mul_i32_i24_e32 v133, v133, v25
	s_delay_alu instid0(VALU_DEP_1) | instskip(SKIP_1) | instid1(VALU_DEP_2)
	v_dot4_i32_iu8 v133, v231, v249, v133 neg_lo:[1,1,0]
	v_perm_b32 v249, v5, v146, 0x6040503
	v_mad_i32_i24 v133, v248, v26, v133
	v_perm_b32 v248, v147, v4, 0x6040503
	s_delay_alu instid0(VALU_DEP_1) | instskip(SKIP_3) | instid1(VALU_DEP_1)
	v_dot4_i32_iu8 v133, v249, v248, v133 neg_lo:[1,1,0]
	v_perm_b32 v248, v6, v147, 0x7060403
	v_perm_b32 v249, v142, v5, 0x7060403
	s_set_vgpr_msb 64                       ;  msbs: dst=1 src0=0 src1=0 src2=0
	v_dot4_i32_iu8 v45 /*v301*/, v249, v248, v133 neg_lo:[1,1,0]
	s_set_vgpr_msb 0                        ;  msbs: dst=0 src0=0 src1=0 src2=0
	v_bfe_i32 v133, v144, 8, 8
	v_perm_b32 v248, v149, v149, 0xc0c0001
	s_set_vgpr_msb 5                        ;  msbs: dst=0 src0=1 src1=1 src2=0
	v_perm_b32 v249, v16 /*v272*/, v16 /*v272*/, 0xc0c0c01
	s_set_vgpr_msb 0                        ;  msbs: dst=0 src0=0 src1=0 src2=0
	v_mul_i32_i24_e32 v133, v133, v24
	s_delay_alu instid0(VALU_DEP_1) | instskip(NEXT) | instid1(VALU_DEP_1)
	v_dot4_i32_iu8 v133, v148, v8, v133 neg_lo:[1,1,0]
	v_dot4_i32_iu8 v133, v232, v248, v133 neg_lo:[1,1,0]
	v_perm_b32 v248, v149, v149, 0xc0c0302
	s_delay_alu instid0(VALU_DEP_1) | instskip(SKIP_2) | instid1(VALU_DEP_1)
	v_dot4_i32_iu8 v133, v233, v248, v133 neg_lo:[1,1,0]
	v_perm_b32 v248, v144, v144, 0xc030200
	s_set_vgpr_msb 64                       ;  msbs: dst=1 src0=0 src1=0 src2=0
	v_dot4_i32_iu8 v46 /*v302*/, v248, v246, v133 neg_lo:[1,1,0]
	s_set_vgpr_msb 0                        ;  msbs: dst=0 src0=0 src1=0 src2=0
	v_perm_b32 v248, v32, v3, 0x402030c
	s_set_vgpr_msb 1                        ;  msbs: dst=0 src0=1 src1=0 src2=0
	v_perm_b32 v133, v14 /*v270*/, v33, 0x6040503
	s_set_vgpr_msb 0                        ;  msbs: dst=0 src0=0 src1=0 src2=0
	s_delay_alu instid0(VALU_DEP_2) | instskip(NEXT) | instid1(VALU_DEP_1)
	v_or_b32_e32 v249, v248, v249
	v_dot4_i32_iu8 v133, v249, v133, 0 neg_lo:[1,1,0]
	v_perm_b32 v249, v33, v32, 0x4020301
	v_mul_i32_i24_e32 v32, v251, v176
	v_perm_b32 v251, v0, v164, 0x7050400
	v_bfe_i32 v164, v151, 8, 8
	s_delay_alu instid0(VALU_DEP_4)
	v_dot4_i32_iu8 v22, v22, v249, v133 neg_lo:[1,1,0]
	v_mul_i32_i24_e32 v133, v252, v169
	v_bfe_i32 v252, v0, 0, 8
	v_ashrrev_i32_e32 v169, 24, v0
	v_dot4_i32_iu8 v16, v251, v16, v234 neg_lo:[1,1,0]
	v_perm_b32 v0, v18, v17, 0x4030200
	v_bfe_i32 v234, v151, 0, 8
	s_set_vgpr_msb 0x41                     ;  msbs: dst=1 src0=1 src1=0 src2=0
	v_mul_i32_i24_e32 v48 /*v304*/, v4 /*v260*/, v252
	s_set_vgpr_msb 0                        ;  msbs: dst=0 src0=0 src1=0 src2=0
	v_bfe_i32 v252, v2, 8, 8
	s_set_vgpr_msb 1                        ;  msbs: dst=0 src0=1 src1=0 src2=0
	v_mul_i32_i24_e32 v17, v54 /*v310*/, v253
	s_set_vgpr_msb 0                        ;  msbs: dst=0 src0=0 src1=0 src2=0
	v_dot4_i32_iu8 v0, v254, v0, v16 neg_lo:[1,1,0]
	s_set_vgpr_msb 5                        ;  msbs: dst=0 src0=1 src1=1 src2=0
	v_mul_i32_i24_e32 v16, v55 /*v311*/, v50 /*v306*/
	s_set_vgpr_msb 0                        ;  msbs: dst=0 src0=0 src1=0 src2=0
	v_dot4_i32_iu8 v22, v250, v23, v22 neg_lo:[1,1,0]
	v_mul_i32_i24_e32 v157, v252, v157
	s_set_vgpr_msb 4                        ;  msbs: dst=0 src0=0 src1=1 src2=0
	v_mad_i32_i24 v17, v234, v47 /*v303*/, v17
	s_set_vgpr_msb 0                        ;  msbs: dst=0 src0=0 src1=0 src2=0
	v_perm_b32 v234, v131, v130, 0x6040503
	v_add3_u32 v18, v0, v156, v157
	v_perm_b32 v0, v172, v172, 0xc0c0c03
	s_set_vgpr_msb 64                       ;  msbs: dst=1 src0=0 src1=0 src2=0
	v_ashrrev_i32_e32 v56 /*v312*/, 24, v151
	s_set_vgpr_msb 0                        ;  msbs: dst=0 src0=0 src1=0 src2=0
	v_ashrrev_i32_e32 v157, 24, v129
	v_bfe_i32 v156, v163, 0, 8
	v_bfe_i32 v163, v129, 16, 8
	s_set_vgpr_msb 64                       ;  msbs: dst=1 src0=0 src1=0 src2=0
	v_or_b32_e32 v4 /*v260*/, v1, v0
	s_set_vgpr_msb 0                        ;  msbs: dst=0 src0=0 src1=0 src2=0
	v_perm_b32 v0, v151, v151, 0xc0c0c03
	v_perm_b32 v1, v152, v152, 0x706000c
	s_set_vgpr_msb 5                        ;  msbs: dst=0 src0=1 src1=1 src2=0
	v_mul_i32_i24_e32 v151, v5 /*v261*/, v31 /*v287*/
	s_set_vgpr_msb 0x45                     ;  msbs: dst=1 src0=1 src1=1 src2=0
	v_perm_b32 v5 /*v261*/, v8 /*v264*/, v7 /*v263*/, 0x7060403
	s_set_vgpr_msb 4                        ;  msbs: dst=0 src0=0 src1=1 src2=0
	v_mul_i32_i24_e32 v152, v239, v32 /*v288*/
	s_set_vgpr_msb 64                       ;  msbs: dst=1 src0=0 src1=0 src2=0
	v_or_b32_e32 v57 /*v313*/, v1, v0
	s_set_vgpr_msb 1                        ;  msbs: dst=0 src0=1 src1=0 src2=0
	v_dot4_i32_iu8 v1, v59 /*v315*/, v245, v14 neg_lo:[1,1,0]
	s_set_vgpr_msb 5                        ;  msbs: dst=0 src0=1 src1=1 src2=0
	v_mul_i32_i24_e32 v14, v56 /*v312*/, v52 /*v308*/
	v_dot4_i32_iu8 v0, v57 /*v313*/, v4 /*v260*/, v150 neg_lo:[1,1,0]
	s_set_vgpr_msb 4                        ;  msbs: dst=0 src0=0 src1=1 src2=0
	v_mul_i32_i24_e32 v150, v235, v30 /*v286*/
	s_set_vgpr_msb 1                        ;  msbs: dst=0 src0=1 src1=0 src2=0
	v_add3_u32 v14, v48 /*v304*/, v14, v17
	s_set_vgpr_msb 4                        ;  msbs: dst=0 src0=0 src1=1 src2=0
	v_perm_b32 v17, v130, v12 /*v268*/, 0x6050401
	s_set_vgpr_msb 0                        ;  msbs: dst=0 src0=0 src1=0 src2=0
	v_perm_b32 v235, v129, v128, 0x6040503
	s_set_vgpr_msb 1                        ;  msbs: dst=0 src0=1 src1=0 src2=0
	v_dot4_i32_iu8 v0, v58 /*v314*/, v244, v0 neg_lo:[1,1,0]
	s_set_vgpr_msb 16                       ;  msbs: dst=0 src0=0 src1=0 src2=1
	v_mad_u32 v1, v1, v241, v41 /*v297*/
	s_set_vgpr_msb 0                        ;  msbs: dst=0 src0=0 src1=0 src2=0
	s_delay_alu instid0(VALU_DEP_2) | instskip(SKIP_3) | instid1(VALU_DEP_1)
	v_mad_u32 v0, v0, v240, v132
	s_set_vgpr_msb 1                        ;  msbs: dst=0 src0=1 src1=0 src2=0
	v_mul_i32_i24_e32 v132, v53 /*v309*/, v252
	s_set_vgpr_msb 0                        ;  msbs: dst=0 src0=0 src1=0 src2=0
	v_mad_i32_i24 v132, v164, v169, v132
	s_delay_alu instid0(VALU_DEP_4)
	v_cvt_f32_i32_e32 v1, v1
	v_bfe_i32 v164, v129, 0, 8
	s_set_vgpr_msb 1                        ;  msbs: dst=0 src0=1 src1=0 src2=0
	v_bfe_i32 v169, v7 /*v263*/, 16, 8
	s_set_vgpr_msb 0                        ;  msbs: dst=0 src0=0 src1=0 src2=0
	v_add3_u32 v16, v165, v16, v132
	s_set_vgpr_msb 1                        ;  msbs: dst=0 src0=1 src1=0 src2=0
	v_perm_b32 v132, v12 /*v268*/, v131, 0x7060403
	s_set_vgpr_msb 4                        ;  msbs: dst=0 src0=0 src1=1 src2=0
	v_cvt_f32_i32_e32 v0, v0
	v_ashrrev_i32_e32 v165, 24, v7 /*v263*/
	s_set_vgpr_msb 0                        ;  msbs: dst=0 src0=0 src1=0 src2=0
	v_add3_u32 v14, v14, v16, v32
	s_set_vgpr_msb 1                        ;  msbs: dst=0 src0=1 src1=0 src2=0
	v_mad_i32_i24 v16, v27 /*v283*/, v175, v133
	s_set_vgpr_msb 5                        ;  msbs: dst=0 src0=1 src1=1 src2=0
	v_perm_b32 v32, v11 /*v267*/, v10 /*v266*/, 0x6040503
	s_set_vgpr_msb 4                        ;  msbs: dst=0 src0=0 src1=1 src2=0
	v_mul_i32_i24_e32 v133, v238, v29 /*v285*/
	s_set_vgpr_msb 0                        ;  msbs: dst=0 src0=0 src1=0 src2=0
	v_add3_u32 v14, v14, v16, v178
	s_set_vgpr_msb 1                        ;  msbs: dst=0 src0=1 src1=0 src2=0
	v_perm_b32 v16, v10 /*v266*/, v124, 0x6050401
	v_bfe_i32 v178, v7 /*v263*/, 0, 8
	s_set_vgpr_msb 0                        ;  msbs: dst=0 src0=0 src1=0 src2=0
	s_delay_alu instid0(VALU_DEP_2) | instskip(SKIP_3) | instid1(VALU_DEP_2)
	v_dot4_i32_iu8 v16, v17, v16, 0 neg_lo:[1,1,0]
	s_set_vgpr_msb 4                        ;  msbs: dst=0 src0=0 src1=1 src2=0
	v_perm_b32 v17, v124, v11 /*v267*/, 0x7060403
	s_set_vgpr_msb 0                        ;  msbs: dst=0 src0=0 src1=0 src2=0
	v_dot4_i32_iu8 v16, v234, v32, v16 neg_lo:[1,1,0]
	s_delay_alu instid0(VALU_DEP_1)
	v_dot4_i32_iu8 v132, v132, v17, v16 neg_lo:[1,1,0]
	v_perm_b32 v16, v9, v8, 0x6040503
	v_perm_b32 v17, v126, v129, 0x7060403
	;; [unrolled: 1-line block ×3, first 2 shown]
	s_set_vgpr_msb 1                        ;  msbs: dst=0 src0=1 src1=0 src2=0
	v_bfe_i32 v10, v26 /*v282*/, 0, 8
	s_set_vgpr_msb 16                       ;  msbs: dst=0 src0=0 src1=0 src2=1
	v_dot4_i32_iu8 v16, v235, v16, v22 /*v278*/ neg_lo:[1,1,0]
	s_set_vgpr_msb 0                        ;  msbs: dst=0 src0=0 src1=0 src2=0
	s_delay_alu instid0(VALU_DEP_1)
	v_dot4_i32_iu8 v9, v17, v9, v16 neg_lo:[1,1,0]
	s_set_vgpr_msb 4                        ;  msbs: dst=0 src0=0 src1=1 src2=0
	v_perm_b32 v16, v139, v6 /*v262*/, 0x6040503
	s_set_vgpr_msb 1                        ;  msbs: dst=0 src0=1 src1=0 src2=0
	v_perm_b32 v17, v7 /*v263*/, v138, 0x6040503
	s_set_vgpr_msb 0                        ;  msbs: dst=0 src0=0 src1=0 src2=0
	v_dot4_i32_iu8 v9, v127, v11, v9 neg_lo:[1,1,0]
	s_set_vgpr_msb 16                       ;  msbs: dst=0 src0=0 src1=0 src2=1
	s_delay_alu instid0(VALU_DEP_2) | instskip(SKIP_2) | instid1(VALU_DEP_1)
	v_dot4_i32_iu8 v16, v17, v16, v40 /*v296*/ neg_lo:[1,1,0]
	v_perm_b32 v17, v136, v139, 0x7060403
	s_set_vgpr_msb 1                        ;  msbs: dst=0 src0=1 src1=0 src2=0
	v_dot4_i32_iu8 v16, v5 /*v261*/, v17, v16 neg_lo:[1,1,0]
	s_set_vgpr_msb 0                        ;  msbs: dst=0 src0=0 src1=0 src2=0
	v_dot4_i32_iu8 v17, v7, v135, v236 neg_lo:[1,1,0]
	s_set_vgpr_msb 1                        ;  msbs: dst=0 src0=1 src1=0 src2=0
	s_delay_alu instid0(VALU_DEP_2) | instskip(SKIP_1) | instid1(VALU_DEP_2)
	v_dot4_i32_iu8 v16, v9 /*v265*/, v137, v16 neg_lo:[1,1,0]
	s_set_vgpr_msb 16                       ;  msbs: dst=0 src0=0 src1=0 src2=1
	v_mad_u32 v17, v17, v243, v39 /*v295*/
	s_set_vgpr_msb 0                        ;  msbs: dst=0 src0=0 src1=0 src2=0
	s_delay_alu instid0(VALU_DEP_2) | instskip(NEXT) | instid1(VALU_DEP_2)
	v_mad_u32 v16, v16, v242, v171
	v_cvt_f32_i32_e32 v17, v17
	s_delay_alu instid0(VALU_DEP_2) | instskip(NEXT) | instid1(VALU_DEP_1)
	v_cvt_f32_i32_e32 v16, v16
	v_pk_fma_f32 v[16:17], v[20:21], v[16:17], 0 op_sel_hi:[1,1,0]
	s_delay_alu instid0(VALU_DEP_1)
	v_pk_fma_f32 v[0:1], v[30:31], v[0:1], v[16:17]
	v_mul_i32_i24_e32 v16, v165, v157
	s_set_vgpr_msb 5                        ;  msbs: dst=0 src0=1 src1=1 src2=0
	v_mul_i32_i24_e32 v17, v34 /*v290*/, v19 /*v275*/
	v_mul_i32_i24_e32 v157, v36 /*v292*/, v21 /*v277*/
	s_set_vgpr_msb 0                        ;  msbs: dst=0 src0=0 src1=0 src2=0
	v_pk_fma_f32 v[74:75], v[116:117], v[0:1], v[74:75]
	v_mul_i32_i24_e32 v0, v178, v164
	v_mul_i32_i24_e32 v1, v169, v163
	v_mad_i32_i24 v10, v10, v156, v16
	s_set_vgpr_msb 5                        ;  msbs: dst=0 src0=1 src1=1 src2=0
	v_mad_i32_i24 v16, v35 /*v291*/, v20 /*v276*/, v157
	s_set_vgpr_msb 0                        ;  msbs: dst=0 src0=0 src1=0 src2=0
	s_delay_alu instid0(VALU_DEP_2)
	v_add3_u32 v0, v0, v1, v10
	s_set_vgpr_msb 1                        ;  msbs: dst=0 src0=1 src1=0 src2=0
	v_mad_i32_i24 v1, v28 /*v284*/, v237, v133
	s_set_vgpr_msb 5                        ;  msbs: dst=0 src0=1 src1=1 src2=0
	v_mad_i32_i24 v10, v33 /*v289*/, v18 /*v274*/, v17
	s_set_vgpr_msb 0                        ;  msbs: dst=0 src0=0 src1=0 src2=0
	v_perm_b32 v17, v3, v153, 0x5040001
	v_add3_u32 v0, v0, v150, v1
	s_delay_alu instid0(VALU_DEP_3) | instskip(SKIP_1) | instid1(VALU_DEP_2)
	v_add3_u32 v1, v151, v152, v10
	v_perm_b32 v10, v3, v19, 0x5040001
	v_add3_u32 v0, v0, v1, v16
	ds_load_b32 v1, v162
	s_set_vgpr_msb 4                        ;  msbs: dst=0 src0=0 src1=1 src2=0
	v_perm_b32 v16, v174, v17 /*v273*/, 0x5040001
	s_wait_dscnt 0x0
	v_bfe_i32 v238, v1, 8, 8
	v_bfe_i32 v239, v1, 0, 8
	s_set_vgpr_msb 0                        ;  msbs: dst=0 src0=0 src1=0 src2=0
	v_ashrrev_i32_e32 v236, 24, v1
	v_bfe_i32 v237, v1, 16, 8
	v_perm_b32 v1, v19, v2, 0x7060203
	s_set_vgpr_msb 5                        ;  msbs: dst=0 src0=1 src1=1 src2=0
	v_perm_b32 v19, v9 /*v265*/, v9 /*v265*/, 0xc030200
	s_set_vgpr_msb 0                        ;  msbs: dst=0 src0=0 src1=0 src2=0
	v_mul_lo_u32 v9, v9, v239
	v_dot4_i32_iu8 v10, v10, v1, v18 neg_lo:[1,1,0]
	s_set_vgpr_msb 1                        ;  msbs: dst=0 src0=1 src1=0 src2=0
	v_perm_b32 v1, v17 /*v273*/, v34, 0x7060203
	s_set_vgpr_msb 0                        ;  msbs: dst=0 src0=0 src1=0 src2=0
	v_perm_b32 v18, v7, v7, 0xc030200
	s_delay_alu instid0(VALU_DEP_2) | instskip(SKIP_1) | instid1(VALU_DEP_1)
	v_dot4_i32_iu8 v16, v16, v1, v22 neg_lo:[1,1,0]
	v_perm_b32 v1, v153, v2, 0x7060203
	v_dot4_i32_iu8 v14, v17, v1, v14 neg_lo:[1,1,0]
	v_perm_b32 v1, v15, v34, 0x7060203
	v_perm_b32 v15, v174, v15, 0x5040001
	;; [unrolled: 1-line block ×3, first 2 shown]
	s_delay_alu instid0(VALU_DEP_2)
	v_dot4_i32_iu8 v15, v15, v1, v35 neg_lo:[1,1,0]
	s_set_vgpr_msb 4                        ;  msbs: dst=0 src0=0 src1=1 src2=0
	v_dot4_i32_iu8 v1, v125, v13 /*v269*/, v132 neg_lo:[1,1,0]
	s_set_vgpr_msb 16                       ;  msbs: dst=0 src0=0 src1=0 src2=1
	v_dot4_i32_iu8 v17, v18, v17, v3 /*v259*/ neg_lo:[1,1,0]
	v_perm_b32 v18, v127, v127, 0xc030200
	s_set_vgpr_msb 64                       ;  msbs: dst=1 src0=0 src1=0 src2=0
	v_perm_b32 v3 /*v259*/, v149, v148, 0x6040503
	s_set_vgpr_msb 0                        ;  msbs: dst=0 src0=0 src1=0 src2=0
	v_mul_lo_u32 v1, v1, v238
	v_dot4_i32_iu8 v0, v19, v18, v0 neg_lo:[1,1,0]
	s_delay_alu instid0(VALU_DEP_1) | instskip(SKIP_3) | instid1(VALU_DEP_4)
	v_mad_u32 v0, v0, v239, v1
	v_mad_u32 v1, v17, v238, v9
	v_mul_lo_u32 v9, v10, v237
	v_mul_lo_u32 v10, v16, v236
	v_cvt_f32_i32_e32 v0, v0
	s_delay_alu instid0(VALU_DEP_4) | instskip(NEXT) | instid1(VALU_DEP_4)
	v_cvt_f32_i32_e32 v1, v1
	v_mad_u32 v9, v15, v236, v9
	s_delay_alu instid0(VALU_DEP_4) | instskip(NEXT) | instid1(VALU_DEP_3)
	v_mad_u32 v10, v14, v237, v10
	v_pk_fma_f32 v[0:1], v[20:21], v[0:1], 0 op_sel_hi:[1,1,0]
	s_delay_alu instid0(VALU_DEP_3) | instskip(NEXT) | instid1(VALU_DEP_3)
	v_cvt_f32_i32_e32 v15, v9
	v_cvt_f32_i32_e32 v14, v10
	s_delay_alu instid0(VALU_DEP_1)
	v_pk_fma_f32 v[14:15], v[30:31], v[14:15], v[0:1]
	s_set_vgpr_msb 1                        ;  msbs: dst=0 src0=1 src1=0 src2=0
	ds_load_2addr_b32 v[132:133], v25 /*v281*/ offset0:6 offset1:7
	ds_load_2addr_b32 v[152:153], v25 /*v281*/ offset0:4 offset1:5
	;; [unrolled: 1-line block ×3, first 2 shown]
	ds_load_2addr_b32 v[150:151], v25 /*v281*/ offset1:1
	ds_load_2addr_b32 v[162:163], v25 /*v281*/ offset0:13 offset1:14
	ds_load_2addr_b32 v[164:165], v25 /*v281*/ offset0:11 offset1:12
	;; [unrolled: 1-line block ×3, first 2 shown]
	s_set_vgpr_msb 0                        ;  msbs: dst=0 src0=0 src1=0 src2=0
	v_pk_fma_f32 v[72:73], v[118:119], v[14:15], v[72:73]
	s_set_vgpr_msb 1                        ;  msbs: dst=0 src0=1 src1=0 src2=0
	v_perm_b32 v14, v12 /*v268*/, v147, 0x7060403
	v_perm_b32 v15, v7 /*v263*/, v148, 0x6040503
	s_wait_dscnt 0x5
	s_set_vgpr_msb 0                        ;  msbs: dst=0 src0=0 src1=0 src2=0
	v_perm_b32 v4, v153, v4, 0x6040503
	v_perm_b32 v6, v6, v153, 0x7060403
	;; [unrolled: 1-line block ×3, first 2 shown]
	s_wait_dscnt 0x2
	v_bfe_i32 v9, v163, 8, 8
	s_wait_dscnt 0x1
	v_perm_b32 v16, v165, v165, 0xc0c0001
	v_bfe_i32 v10, v165, 16, 8
	v_perm_b32 v12, v162, v12, 0x6040503
	v_perm_b32 v164, v164, v164, 0x3020001
	v_mul_i32_i24_e32 v9, v9, v29
	s_wait_dscnt 0x0
	v_perm_b32 v157, v157, v157, 0x3020001
	s_set_vgpr_msb 1                        ;  msbs: dst=0 src0=1 src1=0 src2=0
	s_delay_alu instid0(VALU_DEP_2) | instskip(SKIP_2) | instid1(VALU_DEP_2)
	v_dot4_i32_iu8 v9, v42 /*v298*/, v16, v9 neg_lo:[1,1,0]
	s_set_vgpr_msb 0                        ;  msbs: dst=0 src0=0 src1=0 src2=0
	v_perm_b32 v16, v152, v152, 0xc0c0100
	v_mad_i32_i24 v9, v168, v10, v9
	s_set_vgpr_msb 1                        ;  msbs: dst=0 src0=1 src1=0 src2=0
	ds_load_2addr_b32 v[168:169], v25 /*v281*/ offset0:9 offset1:10
	s_set_vgpr_msb 0                        ;  msbs: dst=0 src0=0 src1=0 src2=0
	v_perm_b32 v10, v13, v165, 0x6040503
	v_perm_b32 v13, v156, v156, 0xc0c0001
	s_delay_alu instid0(VALU_DEP_2) | instskip(SKIP_2) | instid1(VALU_DEP_1)
	v_dot4_i32_iu8 v9, v12, v10, v9 neg_lo:[1,1,0]
	v_perm_b32 v10, v162, v162, 0xc0c0c03
	v_perm_b32 v12, v163, v163, 0x706000c
	v_or_b32_e32 v178, v12, v10
	s_set_vgpr_msb 1                        ;  msbs: dst=0 src0=1 src1=0 src2=0
	s_delay_alu instid0(VALU_DEP_1)
	v_dot4_i32_iu8 v10, v0 /*v256*/, v178, v9 neg_lo:[1,1,0]
	s_set_vgpr_msb 64                       ;  msbs: dst=1 src0=0 src1=0 src2=0
	v_perm_b32 v0 /*v256*/, v151, v150, 0x6040503
	s_wait_dscnt 0x0
	s_set_vgpr_msb 4                        ;  msbs: dst=0 src0=0 src1=1 src2=0
	v_bfe_i32 v9, v169, 8, 8
	v_bfe_i32 v12, v168, 16, 8
	v_dot4_i32_iu8 v10, v157, v59 /*v315*/, v10 neg_lo:[1,1,0]
	s_set_vgpr_msb 0                        ;  msbs: dst=0 src0=0 src1=0 src2=0
	s_delay_alu instid0(VALU_DEP_3) | instskip(NEXT) | instid1(VALU_DEP_1)
	v_mul_i32_i24_e32 v9, v9, v28
	v_dot4_i32_iu8 v9, v179, v13, v9 neg_lo:[1,1,0]
	v_perm_b32 v13, v156, v156, 0xc0c0302
	s_delay_alu instid0(VALU_DEP_1) | instskip(SKIP_1) | instid1(VALU_DEP_1)
	v_dot4_i32_iu8 v9, v227, v13, v9 neg_lo:[1,1,0]
	v_perm_b32 v13, v168, v168, 0xc0c0001
	v_dot4_i32_iu8 v9, v228, v13, v9 neg_lo:[1,1,0]
	v_bfe_i32 v13, v152, 16, 8
	s_delay_alu instid0(VALU_DEP_2) | instskip(SKIP_1) | instid1(VALU_DEP_1)
	v_mad_i32_i24 v9, v12, v27, v9
	v_perm_b32 v12, v169, v168, 0xc0c0403
	v_dot4_i32_iu8 v9, v229, v12, v9 neg_lo:[1,1,0]
	v_perm_b32 v12, v169, v169, 0xc0c0302
	s_delay_alu instid0(VALU_DEP_1) | instskip(SKIP_3) | instid1(VALU_DEP_3)
	v_dot4_i32_iu8 v12, v230, v12, v9 neg_lo:[1,1,0]
	v_bfe_i32 v9, v132, 8, 8
	v_perm_b32 v230, v160, v160, 0x3020001
	s_set_vgpr_msb 4                        ;  msbs: dst=0 src0=0 src1=1 src2=0
	v_dot4_i32_iu8 v12, v164, v37 /*v293*/, v12 neg_lo:[1,1,0]
	s_set_vgpr_msb 0                        ;  msbs: dst=0 src0=0 src1=0 src2=0
	v_mul_i32_i24_e32 v9, v9, v25
	s_delay_alu instid0(VALU_DEP_1) | instskip(SKIP_1) | instid1(VALU_DEP_2)
	v_dot4_i32_iu8 v9, v231, v16, v9 neg_lo:[1,1,0]
	v_perm_b32 v231, v155, v155, 0x3020001
	v_mad_i32_i24 v9, v13, v26, v9
	v_perm_b32 v13, v5, v152, 0x6040503
	v_perm_b32 v5, v132, v5, 0x7060403
	s_set_vgpr_msb 20                       ;  msbs: dst=0 src0=0 src1=1 src2=1
	v_dot4_i32_iu8 v16, v231, v59 /*v315*/, v43 /*v299*/ neg_lo:[1,1,0]
	s_set_vgpr_msb 0                        ;  msbs: dst=0 src0=0 src1=0 src2=0
	v_dot4_i32_iu8 v4, v13, v4, v9 neg_lo:[1,1,0]
	v_perm_b32 v9, v167, v167, 0x706000c
	s_delay_alu instid0(VALU_DEP_2) | instskip(SKIP_2) | instid1(VALU_DEP_3)
	v_dot4_i32_iu8 v6, v5, v6, v4 neg_lo:[1,1,0]
	v_bfe_i32 v4, v0, 8, 8
	v_perm_b32 v5, v151, v151, 0xc0c0001
	v_dot4_i32_iu8 v6, v7, v133, v6 neg_lo:[1,1,0]
	s_delay_alu instid0(VALU_DEP_3) | instskip(NEXT) | instid1(VALU_DEP_1)
	v_mul_i32_i24_e32 v4, v4, v24
	v_dot4_i32_iu8 v4, v150, v8, v4 neg_lo:[1,1,0]
	s_set_vgpr_msb 1                        ;  msbs: dst=0 src0=1 src1=0 src2=0
	v_perm_b32 v8, v15 /*v271*/, v161, 0x6040503
	s_set_vgpr_msb 0                        ;  msbs: dst=0 src0=0 src1=0 src2=0
	s_delay_alu instid0(VALU_DEP_2) | instskip(SKIP_1) | instid1(VALU_DEP_1)
	v_dot4_i32_iu8 v4, v232, v5, v4 neg_lo:[1,1,0]
	v_perm_b32 v5, v151, v151, 0xc0c0302
	v_dot4_i32_iu8 v4, v233, v5, v4 neg_lo:[1,1,0]
	v_perm_b32 v5, v0, v0, 0xc030200
	v_perm_b32 v233, v147, v146, 0x6040503
	s_delay_alu instid0(VALU_DEP_2)
	v_dot4_i32_iu8 v13, v5, v246, v4 neg_lo:[1,1,0]
	s_set_vgpr_msb 1                        ;  msbs: dst=0 src0=1 src1=0 src2=0
	v_perm_b32 v4, v14 /*v270*/, v159, 0x6040501
	s_set_vgpr_msb 4                        ;  msbs: dst=0 src0=0 src1=1 src2=0
	v_perm_b32 v5, v161, v16 /*v272*/, 0x6040501
	s_set_vgpr_msb 0                        ;  msbs: dst=0 src0=0 src1=0 src2=0
	s_delay_alu instid0(VALU_DEP_1) | instskip(SKIP_3) | instid1(VALU_DEP_1)
	v_dot4_i32_iu8 v4, v5, v4, 0 neg_lo:[1,1,0]
	s_set_vgpr_msb 4                        ;  msbs: dst=0 src0=0 src1=1 src2=0
	v_perm_b32 v5, v158, v14 /*v270*/, 0x6040503
	s_set_vgpr_msb 0                        ;  msbs: dst=0 src0=0 src1=0 src2=0
	v_dot4_i32_iu8 v4, v8, v5, v4 neg_lo:[1,1,0]
	v_perm_b32 v5, v154, v167, 0x6040501
	v_perm_b32 v8, v166, v154, 0x6040503
	s_delay_alu instid0(VALU_DEP_3) | instskip(SKIP_1) | instid1(VALU_DEP_3)
	v_dot4_i32_iu8 v4, v177, v23, v4 neg_lo:[1,1,0]
	s_set_vgpr_msb 1                        ;  msbs: dst=0 src0=1 src1=0 src2=0
	v_dot4_i32_iu8 v5, v49 /*v305*/, v5, 0 neg_lo:[1,1,0]
	s_delay_alu instid0(VALU_DEP_1) | instskip(SKIP_2) | instid1(VALU_DEP_1)
	v_dot4_i32_iu8 v5, v51 /*v307*/, v8, v5 neg_lo:[1,1,0]
	s_set_vgpr_msb 0                        ;  msbs: dst=0 src0=0 src1=0 src2=0
	v_perm_b32 v8, v166, v166, 0xc0c0c03
	v_or_b32_e32 v246, v9, v8
	s_set_vgpr_msb 1                        ;  msbs: dst=0 src0=1 src1=0 src2=0
	v_perm_b32 v8, v10 /*v266*/, v142, 0x6050401
	s_set_vgpr_msb 4                        ;  msbs: dst=0 src0=0 src1=1 src2=0
	v_perm_b32 v9, v146, v12 /*v268*/, 0x6050401
	s_set_vgpr_msb 1                        ;  msbs: dst=0 src0=1 src1=0 src2=0
	v_dot4_i32_iu8 v5, v57 /*v313*/, v246, v5 neg_lo:[1,1,0]
	s_set_vgpr_msb 0                        ;  msbs: dst=0 src0=0 src1=0 src2=0
	s_delay_alu instid0(VALU_DEP_2)
	v_dot4_i32_iu8 v8, v9, v8, 0 neg_lo:[1,1,0]
	s_set_vgpr_msb 4                        ;  msbs: dst=0 src0=0 src1=1 src2=0
	v_perm_b32 v9, v142, v11 /*v267*/, 0x7060403
	v_dot4_i32_iu8 v17, v230, v58 /*v314*/, v5 neg_lo:[1,1,0]
	s_set_vgpr_msb 16                       ;  msbs: dst=0 src0=0 src1=0 src2=1
	v_dot4_i32_iu8 v5, v145, v11, v46 /*v302*/ neg_lo:[1,1,0]
	s_set_vgpr_msb 0                        ;  msbs: dst=0 src0=0 src1=0 src2=0
	v_dot4_i32_iu8 v8, v233, v32, v8 neg_lo:[1,1,0]
	s_delay_alu instid0(VALU_DEP_1)
	v_dot4_i32_iu8 v8, v14, v9, v8 neg_lo:[1,1,0]
	s_set_vgpr_msb 1                        ;  msbs: dst=0 src0=1 src1=0 src2=0
	v_perm_b32 v9, v6 /*v262*/, v144, 0x6050401
	s_set_vgpr_msb 4                        ;  msbs: dst=0 src0=0 src1=1 src2=0
	v_perm_b32 v14, v148, v8 /*v264*/, 0x6050401
	s_set_vgpr_msb 0                        ;  msbs: dst=0 src0=0 src1=0 src2=0
	s_delay_alu instid0(VALU_DEP_1) | instskip(SKIP_3) | instid1(VALU_DEP_1)
	v_dot4_i32_iu8 v9, v14, v9, 0 neg_lo:[1,1,0]
	s_set_vgpr_msb 4                        ;  msbs: dst=0 src0=0 src1=1 src2=0
	v_perm_b32 v14, v149, v6 /*v262*/, 0x6040503
	s_set_vgpr_msb 0                        ;  msbs: dst=0 src0=0 src1=0 src2=0
	v_dot4_i32_iu8 v9, v15, v14, v9 neg_lo:[1,1,0]
	v_perm_b32 v14, v144, v149, 0x7060403
	s_set_vgpr_msb 4                        ;  msbs: dst=0 src0=0 src1=1 src2=0
	v_dot4_i32_iu8 v15, v231, v38 /*v294*/, v4 neg_lo:[1,1,0]
	v_dot4_i32_iu8 v4, v143, v13 /*v269*/, v8 neg_lo:[1,1,0]
	s_set_vgpr_msb 16                       ;  msbs: dst=0 src0=0 src1=0 src2=1
	v_dot4_i32_iu8 v8, v7, v143, v45 /*v301*/ neg_lo:[1,1,0]
	s_set_vgpr_msb 1                        ;  msbs: dst=0 src0=1 src1=0 src2=0
	v_dot4_i32_iu8 v9, v5 /*v261*/, v14, v9 neg_lo:[1,1,0]
	ds_load_b32 v14, v23 /*v279*/
	v_dot4_i32_iu8 v9, v9 /*v265*/, v145, v9 neg_lo:[1,1,0]
	s_wait_dscnt 0x0
	s_set_vgpr_msb 0                        ;  msbs: dst=0 src0=0 src1=0 src2=0
	v_bfe_i32 v228, v14, 0, 8
	v_bfe_i32 v229, v14, 8, 8
	v_ashrrev_i32_e32 v179, 24, v14
	v_bfe_i32 v227, v14, 16, 8
	s_set_vgpr_msb 20                       ;  msbs: dst=0 src0=0 src1=1 src2=1
	v_dot4_i32_iu8 v14, v230, v37 /*v293*/, v44 /*v300*/ neg_lo:[1,1,0]
	s_set_vgpr_msb 0                        ;  msbs: dst=0 src0=0 src1=0 src2=0
	v_mul_lo_u32 v5, v5, v228
	v_mul_lo_u32 v4, v4, v229
	s_delay_alu instid0(VALU_DEP_2) | instskip(NEXT) | instid1(VALU_DEP_2)
	v_mad_u32 v5, v8, v229, v5
	v_mad_u32 v4, v9, v228, v4
	v_mul_lo_u32 v8, v14, v227
	v_mul_lo_u32 v9, v15, v179
	s_set_vgpr_msb 1                        ;  msbs: dst=0 src0=1 src1=0 src2=0
	v_perm_b32 v15, v7 /*v263*/, v150, 0x6040503
	s_set_vgpr_msb 0                        ;  msbs: dst=0 src0=0 src1=0 src2=0
	v_cvt_f32_i32_e32 v5, v5
	v_cvt_f32_i32_e32 v4, v4
	v_mad_u32 v8, v16, v179, v8
	v_mad_u32 v14, v17, v227, v9
	s_delay_alu instid0(VALU_DEP_3) | instskip(NEXT) | instid1(VALU_DEP_3)
	v_pk_fma_f32 v[4:5], v[20:21], v[4:5], 0 op_sel_hi:[1,1,0]
	v_cvt_f32_i32_e32 v9, v8
	s_delay_alu instid0(VALU_DEP_3) | instskip(SKIP_3) | instid1(VALU_DEP_2)
	v_cvt_f32_i32_e32 v8, v14
	s_set_vgpr_msb 1                        ;  msbs: dst=0 src0=1 src1=0 src2=0
	v_perm_b32 v14, v12 /*v268*/, v153, 0x7060403
	s_set_vgpr_msb 0                        ;  msbs: dst=0 src0=0 src1=0 src2=0
	v_pk_fma_f32 v[4:5], v[30:31], v[8:9], v[4:5]
	s_set_vgpr_msb 1                        ;  msbs: dst=0 src0=1 src1=0 src2=0
	v_perm_b32 v8, v15 /*v271*/, v165, 0x6040503
	s_set_vgpr_msb 0                        ;  msbs: dst=0 src0=0 src1=0 src2=0
	v_perm_b32 v9, v169, v169, 0x706000c
	v_pk_fma_f32 v[70:71], v[120:121], v[4:5], v[70:71]
	s_set_vgpr_msb 1                        ;  msbs: dst=0 src0=1 src1=0 src2=0
	v_perm_b32 v4, v14 /*v270*/, v163, 0x6040501
	s_set_vgpr_msb 4                        ;  msbs: dst=0 src0=0 src1=1 src2=0
	v_perm_b32 v5, v165, v16 /*v272*/, 0x6040501
	s_set_vgpr_msb 0                        ;  msbs: dst=0 src0=0 src1=0 src2=0
	s_delay_alu instid0(VALU_DEP_1) | instskip(SKIP_3) | instid1(VALU_DEP_1)
	v_dot4_i32_iu8 v4, v5, v4, 0 neg_lo:[1,1,0]
	s_set_vgpr_msb 4                        ;  msbs: dst=0 src0=0 src1=1 src2=0
	v_perm_b32 v5, v162, v14 /*v270*/, 0x6040503
	s_set_vgpr_msb 0                        ;  msbs: dst=0 src0=0 src1=0 src2=0
	v_dot4_i32_iu8 v4, v8, v5, v4 neg_lo:[1,1,0]
	v_perm_b32 v5, v156, v169, 0x6040501
	v_perm_b32 v8, v168, v156, 0x6040503
	s_delay_alu instid0(VALU_DEP_3) | instskip(SKIP_1) | instid1(VALU_DEP_3)
	v_dot4_i32_iu8 v4, v178, v23, v4 neg_lo:[1,1,0]
	s_set_vgpr_msb 1                        ;  msbs: dst=0 src0=1 src1=0 src2=0
	v_dot4_i32_iu8 v5, v49 /*v305*/, v5, 0 neg_lo:[1,1,0]
	s_delay_alu instid0(VALU_DEP_1) | instskip(SKIP_2) | instid1(VALU_DEP_1)
	v_dot4_i32_iu8 v5, v51 /*v307*/, v8, v5 neg_lo:[1,1,0]
	s_set_vgpr_msb 0                        ;  msbs: dst=0 src0=0 src1=0 src2=0
	v_perm_b32 v8, v168, v168, 0xc0c0c03
	v_or_b32_e32 v232, v9, v8
	s_set_vgpr_msb 1                        ;  msbs: dst=0 src0=1 src1=0 src2=0
	v_perm_b32 v8, v10 /*v266*/, v132, 0x6050401
	s_set_vgpr_msb 4                        ;  msbs: dst=0 src0=0 src1=1 src2=0
	v_perm_b32 v9, v152, v12 /*v268*/, 0x6050401
	s_set_vgpr_msb 1                        ;  msbs: dst=0 src0=1 src1=0 src2=0
	v_dot4_i32_iu8 v5, v57 /*v313*/, v232, v5 neg_lo:[1,1,0]
	s_set_vgpr_msb 0                        ;  msbs: dst=0 src0=0 src1=0 src2=0
	s_delay_alu instid0(VALU_DEP_2) | instskip(SKIP_3) | instid1(VALU_DEP_2)
	v_dot4_i32_iu8 v8, v9, v8, 0 neg_lo:[1,1,0]
	s_set_vgpr_msb 4                        ;  msbs: dst=0 src0=0 src1=1 src2=0
	v_perm_b32 v9, v132, v11 /*v267*/, 0x7060403
	s_set_vgpr_msb 0                        ;  msbs: dst=0 src0=0 src1=0 src2=0
	v_dot4_i32_iu8 v8, v171, v32, v8 neg_lo:[1,1,0]
	s_delay_alu instid0(VALU_DEP_1)
	v_dot4_i32_iu8 v8, v14, v9, v8 neg_lo:[1,1,0]
	s_set_vgpr_msb 1                        ;  msbs: dst=0 src0=1 src1=0 src2=0
	v_perm_b32 v9, v6 /*v262*/, v0, 0x6050401
	s_set_vgpr_msb 4                        ;  msbs: dst=0 src0=0 src1=1 src2=0
	v_perm_b32 v14, v150, v8 /*v264*/, 0x6050401
	s_set_vgpr_msb 0                        ;  msbs: dst=0 src0=0 src1=0 src2=0
	s_delay_alu instid0(VALU_DEP_1) | instskip(SKIP_3) | instid1(VALU_DEP_1)
	v_dot4_i32_iu8 v9, v14, v9, 0 neg_lo:[1,1,0]
	s_set_vgpr_msb 4                        ;  msbs: dst=0 src0=0 src1=1 src2=0
	v_perm_b32 v14, v151, v6 /*v262*/, 0x6040503
	s_set_vgpr_msb 0                        ;  msbs: dst=0 src0=0 src1=0 src2=0
	v_dot4_i32_iu8 v9, v15, v14, v9 neg_lo:[1,1,0]
	v_perm_b32 v14, v0, v151, 0x7060403
	s_set_vgpr_msb 4                        ;  msbs: dst=0 src0=0 src1=1 src2=0
	v_dot4_i32_iu8 v15, v164, v58 /*v314*/, v5 neg_lo:[1,1,0]
	s_set_vgpr_msb 0                        ;  msbs: dst=0 src0=0 src1=0 src2=0
	v_dot4_i32_iu8 v5, v1, v11, v13 neg_lo:[1,1,0]
	s_set_vgpr_msb 1                        ;  msbs: dst=0 src0=1 src1=0 src2=0
	v_dot4_i32_iu8 v9, v5 /*v261*/, v14, v9 neg_lo:[1,1,0]
	ds_load_b32 v14, v24 /*v280*/
	s_set_vgpr_msb 64                       ;  msbs: dst=1 src0=0 src1=0 src2=0
	v_perm_b32 v5 /*v261*/, v139, v138, 0x6040503
	s_set_vgpr_msb 1                        ;  msbs: dst=0 src0=1 src1=0 src2=0
	v_dot4_i32_iu8 v7, v9 /*v265*/, v1, v9 neg_lo:[1,1,0]
	s_wait_dscnt 0x0
	s_set_vgpr_msb 0                        ;  msbs: dst=0 src0=0 src1=0 src2=0
	v_bfe_i32 v155, v14, 0, 8
	v_bfe_i32 v160, v14, 8, 8
	v_ashrrev_i32_e32 v32, 24, v14
	v_bfe_i32 v35, v14, 16, 8
	s_set_vgpr_msb 4                        ;  msbs: dst=0 src0=0 src1=1 src2=0
	v_dot4_i32_iu8 v14, v157, v38 /*v294*/, v4 neg_lo:[1,1,0]
	v_dot4_i32_iu8 v4, v133, v13 /*v269*/, v8 neg_lo:[1,1,0]
	s_set_vgpr_msb 0                        ;  msbs: dst=0 src0=0 src1=0 src2=0
	v_mul_lo_u32 v5, v5, v155
	s_delay_alu instid0(VALU_DEP_2) | instskip(NEXT) | instid1(VALU_DEP_2)
	v_mul_lo_u32 v4, v4, v160
	v_mad_u32 v5, v6, v160, v5
	v_mul_lo_u32 v6, v12, v35
	s_delay_alu instid0(VALU_DEP_3) | instskip(SKIP_1) | instid1(VALU_DEP_4)
	v_mad_u32 v4, v7, v155, v4
	v_mul_lo_u32 v7, v14, v32
	v_cvt_f32_i32_e32 v5, v5
	s_delay_alu instid0(VALU_DEP_4) | instskip(NEXT) | instid1(VALU_DEP_4)
	v_mad_u32 v6, v10, v32, v6
	v_cvt_f32_i32_e32 v4, v4
	s_delay_alu instid0(VALU_DEP_4) | instskip(NEXT) | instid1(VALU_DEP_2)
	v_mad_u32 v8, v15, v35, v7
	v_pk_fma_f32 v[4:5], v[20:21], v[4:5], 0 op_sel_hi:[1,1,0]
	s_delay_alu instid0(VALU_DEP_4) | instskip(NEXT) | instid1(VALU_DEP_3)
	v_cvt_f32_i32_e32 v7, v6
	v_cvt_f32_i32_e32 v6, v8
	s_delay_alu instid0(VALU_DEP_1) | instskip(NEXT) | instid1(VALU_DEP_1)
	v_pk_fma_f32 v[4:5], v[30:31], v[6:7], v[4:5]
	v_pk_fma_f32 v[66:67], v[122:123], v[4:5], v[66:67]
	v_or_b32_e32 v4, s12, v195
	s_delay_alu instid0(VALU_DEP_1)
	v_lshlrev_b32_e32 v16, 2, v4
	s_set_vgpr_msb 64                       ;  msbs: dst=1 src0=0 src1=0 src2=0
	v_lshrrev_b32_e32 v6 /*v262*/, 1, v4
	s_set_vgpr_msb 0                        ;  msbs: dst=0 src0=0 src1=0 src2=0
	ds_load_b128 v[8:11], v16 offset:33280
	ds_load_b128 v[4:7], v16 offset:33296
	;; [unrolled: 1-line block ×4, first 2 shown]
	s_wait_dscnt 0x3
	v_perm_b32 v30, v10, v139, 0x7060403
	s_wait_dscnt 0x2
	v_perm_b32 v29, v5, v140, 0x6040503
	s_wait_dscnt 0x1
	v_bfe_i32 v20, v14, 8, 8
	s_wait_dscnt 0x0
	v_perm_b32 v24, v16, v18, 0x6040501
	v_perm_b32 v25, v17, v16, 0x6040503
	v_bfe_i32 v21, v12, 8, 8
	v_perm_b32 v26, v18, v17, 0x7060403
	v_mul_i32_i24_e32 v20, v20, v175
	s_set_vgpr_msb 4                        ;  msbs: dst=0 src0=0 src1=1 src2=0
	v_dot4_i32_iu8 v24, v24, v1 /*v257*/, 0 neg_lo:[1,1,0]
	s_set_vgpr_msb 0                        ;  msbs: dst=0 src0=0 src1=0 src2=0
	v_perm_b32 v27, v170, v14, 0x6040501
	v_bfe_i32 v22, v14, 16, 8
	v_ashrrev_i32_e32 v23, 24, v14
	v_mad_i32_i24 v20, v21, v176, v20
	s_set_vgpr_msb 4                        ;  msbs: dst=0 src0=0 src1=1 src2=0
	v_dot4_i32_iu8 v24, v25, v2 /*v258*/, v24 neg_lo:[1,1,0]
	s_set_vgpr_msb 0                        ;  msbs: dst=0 src0=0 src1=0 src2=0
	v_perm_b32 v21, v13, v12, 0x5030200
	v_perm_b32 v28, v13, v170, 0x6040503
	v_mul_i32_i24_e32 v22, v253, v22
	v_mul_i32_i24_e32 v23, v252, v23
	s_set_vgpr_msb 64                       ;  msbs: dst=1 src0=0 src1=0 src2=0
	v_dot4_i32_iu8 v7 /*v263*/, v26, v255, v24 neg_lo:[1,1,0]
	s_set_vgpr_msb 0                        ;  msbs: dst=0 src0=0 src1=0 src2=0
	v_perm_b32 v24, v12, v173, 0x6040501
	v_dot4_i32_iu8 v20, v251, v21, v20 neg_lo:[1,1,0]
	v_perm_b32 v21, v14, v13, 0x4030200
	s_set_vgpr_msb 64                       ;  msbs: dst=1 src0=0 src1=0 src2=0
	v_perm_b32 v33 /*v289*/, v15, v15, 0x7060001
	s_set_vgpr_msb 0                        ;  msbs: dst=0 src0=0 src1=0 src2=0
	v_dot4_i32_iu8 v24, v27, v24, 0 neg_lo:[1,1,0]
	v_perm_b32 v27, v172, v12, 0x6040503
	v_dot4_i32_iu8 v20, v254, v21, v20 neg_lo:[1,1,0]
	v_perm_b32 v21, v130, v6, 0x6050401
	s_delay_alu instid0(VALU_DEP_3)
	v_dot4_i32_iu8 v24, v28, v27, v24 neg_lo:[1,1,0]
	v_perm_b32 v27, v14, v13, 0x7060403
	v_perm_b32 v28, v140, v6, 0x6050401
	s_set_vgpr_msb 64                       ;  msbs: dst=1 src0=0 src1=0 src2=0
	v_add3_u32 v16 /*v272*/, v20, v22, v23
	s_set_vgpr_msb 0                        ;  msbs: dst=0 src0=0 src1=0 src2=0
	v_perm_b32 v20, v4, v124, 0x6050401
	v_perm_b32 v22, v124, v5, 0x7060403
	s_set_vgpr_msb 0x41                     ;  msbs: dst=1 src0=1 src1=0 src2=0
	v_dot4_i32_iu8 v12 /*v268*/, v4 /*v260*/, v27, v24 neg_lo:[1,1,0]
	s_set_vgpr_msb 0                        ;  msbs: dst=0 src0=0 src1=0 src2=0
	v_perm_b32 v24, v4, v134, 0x6050401
	v_perm_b32 v23, v6, v131, 0x7060403
	v_dot4_i32_iu8 v20, v21, v20, 0 neg_lo:[1,1,0]
	v_perm_b32 v21, v5, v4, 0x6040503
	s_delay_alu instid0(VALU_DEP_4) | instskip(SKIP_1) | instid1(VALU_DEP_3)
	v_dot4_i32_iu8 v24, v28, v24, 0 neg_lo:[1,1,0]
	v_perm_b32 v28, v141, v4, 0x6040503
	v_dot4_i32_iu8 v20, v234, v21, v20 neg_lo:[1,1,0]
	s_delay_alu instid0(VALU_DEP_2) | instskip(SKIP_2) | instid1(VALU_DEP_3)
	v_dot4_i32_iu8 v24, v29, v28, v24 neg_lo:[1,1,0]
	v_perm_b32 v28, v6, v5, 0x7060403
	s_set_vgpr_msb 64                       ;  msbs: dst=1 src0=0 src1=0 src2=0
	v_dot4_i32_iu8 v17 /*v273*/, v23, v22, v20 neg_lo:[1,1,0]
	s_set_vgpr_msb 0                        ;  msbs: dst=0 src0=0 src1=0 src2=0
	v_perm_b32 v20, v8, v126, 0x6050401
	v_perm_b32 v22, v128, v10, 0x6050401
	;; [unrolled: 1-line block ×3, first 2 shown]
	s_set_vgpr_msb 64                       ;  msbs: dst=1 src0=0 src1=0 src2=0
	v_dot4_i32_iu8 v13 /*v269*/, v28, v247, v24 neg_lo:[1,1,0]
	s_set_vgpr_msb 0                        ;  msbs: dst=0 src0=0 src1=0 src2=0
	v_perm_b32 v24, v8, v136, 0x6050401
	v_perm_b32 v28, v138, v10, 0x6050401
	v_dot4_i32_iu8 v20, v22, v20, 0 neg_lo:[1,1,0]
	v_perm_b32 v22, v126, v9, 0x7060403
	v_perm_b32 v29, v136, v9, 0x7060403
	s_delay_alu instid0(VALU_DEP_4) | instskip(SKIP_1) | instid1(VALU_DEP_1)
	v_dot4_i32_iu8 v24, v28, v24, 0 neg_lo:[1,1,0]
	v_perm_b32 v28, v9, v8, 0x6040503
	v_dot4_i32_iu8 v20, v235, v28, v20 neg_lo:[1,1,0]
	s_set_vgpr_msb 1                        ;  msbs: dst=0 src0=1 src1=0 src2=0
	s_delay_alu instid0(VALU_DEP_3) | instskip(SKIP_1) | instid1(VALU_DEP_2)
	v_dot4_i32_iu8 v24, v5 /*v261*/, v28, v24 neg_lo:[1,1,0]
	s_set_vgpr_msb 64                       ;  msbs: dst=1 src0=0 src1=0 src2=0
	v_dot4_i32_iu8 v18 /*v274*/, v23, v22, v20 neg_lo:[1,1,0]
	s_set_vgpr_msb 0                        ;  msbs: dst=0 src0=0 src1=0 src2=0
	v_perm_b32 v20, v16, v159, 0x6040501
	v_perm_b32 v22, v161, v18, 0x6040501
	;; [unrolled: 1-line block ×3, first 2 shown]
	s_set_vgpr_msb 64                       ;  msbs: dst=1 src0=0 src1=0 src2=0
	v_dot4_i32_iu8 v14 /*v270*/, v30, v29, v24 neg_lo:[1,1,0]
	s_set_vgpr_msb 0                        ;  msbs: dst=0 src0=0 src1=0 src2=0
	v_perm_b32 v29, v18, v18, 0xc0c0c01
	v_perm_b32 v18, v165, v18, 0x6040501
	v_dot4_i32_iu8 v20, v22, v20, 0 neg_lo:[1,1,0]
	v_perm_b32 v22, v158, v16, 0x6040503
	v_perm_b32 v24, v16, v33, 0x6040503
	;; [unrolled: 1-line block ×3, first 2 shown]
	s_delay_alu instid0(VALU_DEP_3)
	v_dot4_i32_iu8 v20, v23, v22, v20 neg_lo:[1,1,0]
	v_perm_b32 v22, v154, v14, 0x6040501
	v_perm_b32 v23, v13, v154, 0x6040503
	;; [unrolled: 1-line block ×4, first 2 shown]
	s_set_vgpr_msb 64                       ;  msbs: dst=1 src0=0 src1=0 src2=0
	v_dot4_i32_iu8 v19 /*v275*/, v177, v26, v20 neg_lo:[1,1,0]
	s_set_vgpr_msb 0                        ;  msbs: dst=0 src0=0 src1=0 src2=0
	v_perm_b32 v20, v12, v167, 0x6040501
	s_delay_alu instid0(VALU_DEP_1) | instskip(SKIP_1) | instid1(VALU_DEP_1)
	v_dot4_i32_iu8 v20, v22, v20, 0 neg_lo:[1,1,0]
	v_perm_b32 v22, v166, v12, 0x6040503
	v_dot4_i32_iu8 v20, v23, v22, v20 neg_lo:[1,1,0]
	v_perm_b32 v22, v146, v6, 0x6050401
	v_perm_b32 v23, v6, v147, 0x7060403
	s_set_vgpr_msb 64                       ;  msbs: dst=1 src0=0 src1=0 src2=0
	s_delay_alu instid0(VALU_DEP_3) | instskip(SKIP_3) | instid1(VALU_DEP_2)
	v_dot4_i32_iu8 v20 /*v276*/, v246, v27, v20 neg_lo:[1,1,0]
	s_set_vgpr_msb 0                        ;  msbs: dst=0 src0=0 src1=0 src2=0
	v_perm_b32 v20, v4, v142, 0x6050401
	v_perm_b32 v4, v4, v132, 0x6050401
	v_dot4_i32_iu8 v20, v22, v20, 0 neg_lo:[1,1,0]
	v_perm_b32 v22, v142, v5, 0x7060403
	v_perm_b32 v5, v132, v5, 0x7060403
	s_delay_alu instid0(VALU_DEP_3) | instskip(SKIP_1) | instid1(VALU_DEP_1)
	v_dot4_i32_iu8 v20, v233, v21, v20 neg_lo:[1,1,0]
	s_set_vgpr_msb 64                       ;  msbs: dst=1 src0=0 src1=0 src2=0
	v_dot4_i32_iu8 v21 /*v277*/, v23, v22, v20 neg_lo:[1,1,0]
	s_set_vgpr_msb 0                        ;  msbs: dst=0 src0=0 src1=0 src2=0
	v_perm_b32 v20, v8, v144, 0x6050401
	v_perm_b32 v22, v148, v10, 0x6050401
	;; [unrolled: 1-line block ×3, first 2 shown]
	s_delay_alu instid0(VALU_DEP_2) | instskip(SKIP_2) | instid1(VALU_DEP_2)
	v_dot4_i32_iu8 v20, v22, v20, 0 neg_lo:[1,1,0]
	v_perm_b32 v22, v144, v9, 0x7060403
	s_set_vgpr_msb 1                        ;  msbs: dst=0 src0=1 src1=0 src2=0
	v_dot4_i32_iu8 v20, v3 /*v259*/, v28, v20 neg_lo:[1,1,0]
	s_set_vgpr_msb 64                       ;  msbs: dst=1 src0=0 src1=0 src2=0
	s_delay_alu instid0(VALU_DEP_1) | instskip(SKIP_3) | instid1(VALU_DEP_2)
	v_dot4_i32_iu8 v22 /*v278*/, v23, v22, v20 neg_lo:[1,1,0]
	s_set_vgpr_msb 0                        ;  msbs: dst=0 src0=0 src1=0 src2=0
	v_perm_b32 v20, v16, v163, 0x6040501
	v_perm_b32 v16, v162, v16, 0x6040503
	v_dot4_i32_iu8 v18, v18, v20, 0 neg_lo:[1,1,0]
	s_delay_alu instid0(VALU_DEP_1) | instskip(SKIP_1) | instid1(VALU_DEP_1)
	v_dot4_i32_iu8 v16, v17, v16, v18 neg_lo:[1,1,0]
	s_set_vgpr_msb 64                       ;  msbs: dst=1 src0=0 src1=0 src2=0
	v_dot4_i32_iu8 v23 /*v279*/, v178, v26, v16 neg_lo:[1,1,0]
	s_set_vgpr_msb 0                        ;  msbs: dst=0 src0=0 src1=0 src2=0
	v_perm_b32 v16, v12, v169, 0x6040501
	v_perm_b32 v12, v168, v12, 0x6040503
	s_delay_alu instid0(VALU_DEP_2) | instskip(NEXT) | instid1(VALU_DEP_1)
	v_dot4_i32_iu8 v14, v14, v16, 0 neg_lo:[1,1,0]
	v_dot4_i32_iu8 v12, v13, v12, v14 neg_lo:[1,1,0]
	s_delay_alu instid0(VALU_DEP_1) | instskip(SKIP_3) | instid1(VALU_DEP_3)
	v_dot4_i32_iu8 v14, v232, v27, v12 neg_lo:[1,1,0]
	v_perm_b32 v12, v152, v6, 0x6050401
	v_perm_b32 v6, v6, v153, 0x7060403
	s_set_vgpr_msb 4                        ;  msbs: dst=0 src0=0 src1=1 src2=0
	v_dot4_i32_iu8 v14, v164, v33 /*v289*/, v14 neg_lo:[1,1,0]
	s_set_vgpr_msb 0                        ;  msbs: dst=0 src0=0 src1=0 src2=0
	v_dot4_i32_iu8 v4, v12, v4, 0 neg_lo:[1,1,0]
	s_delay_alu instid0(VALU_DEP_1) | instskip(NEXT) | instid1(VALU_DEP_1)
	v_dot4_i32_iu8 v4, v171, v21, v4 neg_lo:[1,1,0]
	v_dot4_i32_iu8 v6, v6, v5, v4 neg_lo:[1,1,0]
	v_perm_b32 v4, v8, v0, 0x6050401
	v_perm_b32 v5, v150, v10, 0x6050401
	;; [unrolled: 1-line block ×3, first 2 shown]
	s_delay_alu instid0(VALU_DEP_4) | instskip(NEXT) | instid1(VALU_DEP_3)
	v_dot4_i32_iu8 v6, v7, v133, v6 neg_lo:[1,1,0]
	v_dot4_i32_iu8 v4, v5, v4, 0 neg_lo:[1,1,0]
	v_perm_b32 v5, v0, v9, 0x7060403
	s_set_vgpr_msb 1                        ;  msbs: dst=0 src0=1 src1=0 src2=0
	s_delay_alu instid0(VALU_DEP_2) | instskip(SKIP_1) | instid1(VALU_DEP_1)
	v_dot4_i32_iu8 v4, v0 /*v256*/, v28, v4 neg_lo:[1,1,0]
	s_set_vgpr_msb 0                        ;  msbs: dst=0 src0=0 src1=0 src2=0
	v_dot4_i32_iu8 v10, v8, v5, v4 neg_lo:[1,1,0]
	v_or_b32_e32 v4, s12, v196
	v_or_b32_e32 v29, v248, v29
	s_delay_alu instid0(VALU_DEP_3) | instskip(NEXT) | instid1(VALU_DEP_3)
	v_dot4_i32_iu8 v10, v1, v11, v10 neg_lo:[1,1,0]
	v_lshlrev_b32_e32 v5, 2, v4
	s_delay_alu instid0(VALU_DEP_3) | instskip(SKIP_1) | instid1(VALU_DEP_4)
	v_dot4_i32_iu8 v24, v29, v24, 0 neg_lo:[1,1,0]
	v_lshrrev_b32_e32 v8, 1, v4
	v_mul_lo_u32 v10, v10, v155
	s_delay_alu instid0(VALU_DEP_3) | instskip(SKIP_1) | instid1(VALU_DEP_1)
	v_dot4_i32_iu8 v24, v25, v249, v24 neg_lo:[1,1,0]
	s_set_vgpr_msb 64                       ;  msbs: dst=1 src0=0 src1=0 src2=0
	v_dot4_i32_iu8 v15 /*v271*/, v250, v26, v24 neg_lo:[1,1,0]
	s_set_vgpr_msb 0                        ;  msbs: dst=0 src0=0 src1=0 src2=0
	ds_load_b128 v[20:23], v5 offset:33280
	ds_load_b128 v[24:27], v5 offset:33296
	;; [unrolled: 1-line block ×3, first 2 shown]
	s_set_vgpr_msb 64                       ;  msbs: dst=1 src0=0 src1=0 src2=0
	ds_load_b128 v[8:11] /*v[264:267]*/, v5 offset:33328
	s_set_vgpr_msb 0                        ;  msbs: dst=0 src0=0 src1=0 src2=0
	v_mad_u32 v6, v6, v160, v10
	v_mul_lo_u32 v10, v14, v35
	s_wait_dscnt 0x3
	s_set_vgpr_msb 64                       ;  msbs: dst=1 src0=0 src1=0 src2=0
	v_perm_b32 v31 /*v287*/, v21, v20, 0x6040503
	s_wait_dscnt 0x1
	s_set_vgpr_msb 0                        ;  msbs: dst=0 src0=0 src1=0 src2=0
	v_perm_b32 v5, v170, v30, 0x6040501
	s_wait_dscnt 0x0
	s_set_vgpr_msb 5                        ;  msbs: dst=0 src0=1 src1=1 src2=0
	v_perm_b32 v4, v8 /*v264*/, v10 /*v266*/, 0x6040501
	s_set_vgpr_msb 0x45                     ;  msbs: dst=1 src0=1 src1=1 src2=0
	v_perm_b32 v28 /*v284*/, v9 /*v265*/, v8 /*v264*/, 0x6040503
	v_perm_b32 v29 /*v285*/, v10 /*v266*/, v9 /*v265*/, 0x7060403
	s_set_vgpr_msb 0                        ;  msbs: dst=0 src0=0 src1=0 src2=0
	v_perm_b32 v9, v29, v170, 0x6040503
	s_set_vgpr_msb 64                       ;  msbs: dst=1 src0=0 src1=0 src2=0
	v_perm_b32 v30 /*v286*/, v30, v29, 0x7060403
	s_set_vgpr_msb 4                        ;  msbs: dst=0 src0=0 src1=1 src2=0
	v_dot4_i32_iu8 v4, v4, v1 /*v257*/, 0 neg_lo:[1,1,0]
	s_set_vgpr_msb 0x45                     ;  msbs: dst=1 src0=1 src1=1 src2=0
	v_perm_b32 v32 /*v288*/, v11 /*v267*/, v11 /*v267*/, 0x7060001
	s_set_vgpr_msb 0                        ;  msbs: dst=0 src0=0 src1=0 src2=0
	v_perm_b32 v31, v31, v31, 0x7060001
	s_set_vgpr_msb 64                       ;  msbs: dst=1 src0=0 src1=0 src2=0
	v_bfe_i32 v24 /*v280*/, v30, 8, 8
	v_bfe_i32 v25 /*v281*/, v28, 8, 8
	s_set_vgpr_msb 5                        ;  msbs: dst=0 src0=1 src1=1 src2=0
	v_dot4_i32_iu8 v4, v28 /*v284*/, v2 /*v258*/, v4 neg_lo:[1,1,0]
	s_set_vgpr_msb 64                       ;  msbs: dst=1 src0=0 src1=0 src2=0
	v_bfe_i32 v26 /*v282*/, v30, 16, 8
	v_ashrrev_i32_e32 v27 /*v283*/, 24, v30
	s_set_vgpr_msb 1                        ;  msbs: dst=0 src0=1 src1=0 src2=0
	v_dot4_i32_iu8 v12, v29 /*v285*/, v255, v4 neg_lo:[1,1,0]
	s_set_vgpr_msb 0                        ;  msbs: dst=0 src0=0 src1=0 src2=0
	v_perm_b32 v4, v28, v173, 0x6040501
	s_set_vgpr_msb 4                        ;  msbs: dst=0 src0=0 src1=1 src2=0
	s_delay_alu instid0(VALU_DEP_2) | instskip(SKIP_1) | instid1(VALU_DEP_2)
	v_dot4_i32_iu8 v18, v245, v32 /*v288*/, v12 neg_lo:[1,1,0]
	s_set_vgpr_msb 0                        ;  msbs: dst=0 src0=0 src1=0 src2=0
	v_dot4_i32_iu8 v4, v5, v4, 0 neg_lo:[1,1,0]
	v_perm_b32 v5, v172, v28, 0x6040503
	s_delay_alu instid0(VALU_DEP_1) | instskip(SKIP_3) | instid1(VALU_DEP_3)
	v_dot4_i32_iu8 v4, v9, v5, v4 neg_lo:[1,1,0]
	v_perm_b32 v5, v140, v26, 0x6050401
	v_perm_b32 v9, v25, v140, 0x6040503
	s_set_vgpr_msb 5                        ;  msbs: dst=0 src0=1 src1=1 src2=0
	v_dot4_i32_iu8 v13, v4 /*v260*/, v30 /*v286*/, v4 neg_lo:[1,1,0]
	s_set_vgpr_msb 0                        ;  msbs: dst=0 src0=0 src1=0 src2=0
	v_perm_b32 v4, v24, v134, 0x6050401
	s_delay_alu instid0(VALU_DEP_1) | instskip(SKIP_1) | instid1(VALU_DEP_1)
	v_dot4_i32_iu8 v4, v5, v4, 0 neg_lo:[1,1,0]
	v_perm_b32 v5, v141, v24, 0x6040503
	v_dot4_i32_iu8 v4, v9, v5, v4 neg_lo:[1,1,0]
	v_perm_b32 v5, v26, v25, 0x7060403
	v_perm_b32 v9, v22, v139, 0x7060403
	s_delay_alu instid0(VALU_DEP_2) | instskip(SKIP_2) | instid1(VALU_DEP_3)
	v_dot4_i32_iu8 v16, v5, v247, v4 neg_lo:[1,1,0]
	v_perm_b32 v4, v20, v136, 0x6050401
	v_perm_b32 v5, v138, v22, 0x6050401
	v_dot4_i32_iu8 v12, v135, v27, v16 neg_lo:[1,1,0]
	s_set_vgpr_msb 16                       ;  msbs: dst=0 src0=0 src1=0 src2=1
	v_dot4_i32_iu8 v16, v7, v135, v13 /*v269*/ neg_lo:[1,1,0]
	s_delay_alu instid0(VALU_DEP_3) | instskip(SKIP_3) | instid1(VALU_DEP_3)
	v_dot4_i32_iu8 v4, v5, v4, 0 neg_lo:[1,1,0]
	v_perm_b32 v5, v136, v21, 0x7060403
	v_mul_lo_u32 v12, v12, v243
	s_set_vgpr_msb 5                        ;  msbs: dst=0 src0=1 src1=1 src2=0
	v_dot4_i32_iu8 v4, v5 /*v261*/, v31 /*v287*/, v4 neg_lo:[1,1,0]
	s_set_vgpr_msb 0                        ;  msbs: dst=0 src0=0 src1=0 src2=0
	s_delay_alu instid0(VALU_DEP_1)
	v_dot4_i32_iu8 v17, v9, v5, v4 neg_lo:[1,1,0]
	s_set_vgpr_msb 1                        ;  msbs: dst=0 src0=1 src1=0 src2=0
	ds_load_b64 v[4:5], v6 /*v262*/ offset:43584
	s_set_vgpr_msb 0                        ;  msbs: dst=0 src0=0 src1=0 src2=0
	ds_load_b64 v[8:9], v8 offset:43584
	s_set_vgpr_msb 0x54                     ;  msbs: dst=1 src0=0 src1=1 src2=1
	v_dot4_i32_iu8 v6 /*v262*/, v244, v33 /*v289*/, v12 /*v268*/ neg_lo:[1,1,0]
	s_set_vgpr_msb 64                       ;  msbs: dst=1 src0=0 src1=0 src2=0
	v_perm_b32 v12 /*v268*/, v19, v19, 0x7060001
	s_set_vgpr_msb 0                        ;  msbs: dst=0 src0=0 src1=0 src2=0
	v_dot4_i32_iu8 v17, v23, v137, v17 neg_lo:[1,1,0]
	s_set_vgpr_msb 17                       ;  msbs: dst=0 src0=1 src1=0 src2=1
	s_delay_alu instid0(VALU_DEP_2)
	v_dot4_i32_iu8 v19, v12 /*v268*/, v245, v7 /*v263*/ neg_lo:[1,1,0]
	s_set_vgpr_msb 64                       ;  msbs: dst=1 src0=0 src1=0 src2=0
	v_dot4_i32_iu8 v7 /*v263*/, v31, v244, v13 neg_lo:[1,1,0]
	s_set_vgpr_msb 16                       ;  msbs: dst=0 src0=0 src1=0 src2=1
	v_dot4_i32_iu8 v13, v137, v11, v14 /*v270*/ neg_lo:[1,1,0]
	s_set_vgpr_msb 0                        ;  msbs: dst=0 src0=0 src1=0 src2=0
	v_mad_u32 v12, v17, v242, v12
	s_delay_alu instid0(VALU_DEP_2)
	v_mul_lo_u32 v13, v13, v242
	s_wait_dscnt 0x1
	v_mov_b32_e32 v17, v4
	s_set_vgpr_msb 1                        ;  msbs: dst=0 src0=1 src1=0 src2=0
	v_mul_lo_u32 v4, v6 /*v262*/, v240
	s_set_vgpr_msb 0                        ;  msbs: dst=0 src0=0 src1=0 src2=0
	s_delay_alu instid0(VALU_DEP_4)
	v_cvt_f32_i32_e32 v12, v12
	s_set_vgpr_msb 64                       ;  msbs: dst=1 src0=0 src1=0 src2=0
	v_perm_b32 v6 /*v262*/, v22, v129, 0x7060403
	s_set_vgpr_msb 0                        ;  msbs: dst=0 src0=0 src1=0 src2=0
	v_mad_u32 v13, v16, v243, v13
	s_wait_dscnt 0x0
	v_mov_b32_e32 v16, v8
	v_mul_lo_u32 v8, v18, v241
	v_mad_u32 v4, v19, v241, v4
	s_delay_alu instid0(VALU_DEP_4) | instskip(SKIP_1) | instid1(VALU_DEP_3)
	v_cvt_f32_i32_e32 v13, v13
	s_set_vgpr_msb 1                        ;  msbs: dst=0 src0=1 src1=0 src2=0
	v_mad_u32 v8, v7 /*v263*/, v240, v8
	s_set_vgpr_msb 64                       ;  msbs: dst=1 src0=0 src1=0 src2=0
	v_perm_b32 v7 /*v263*/, v174, v34, 0x5040203
	s_set_vgpr_msb 0                        ;  msbs: dst=0 src0=0 src1=0 src2=0
	v_pk_fma_f32 v[12:13], v[16:17], v[12:13], 0 op_sel_hi:[1,1,0]
	v_cvt_f32_i32_e32 v19, v4
	v_mov_b32_e32 v4, v9
	s_set_vgpr_msb 0x55                     ;  msbs: dst=1 src0=1 src1=1 src2=1
	v_dot4_i32_iu8 v13 /*v269*/, v12 /*v268*/, v7 /*v263*/, v15 /*v271*/ neg_lo:[1,1,0]
	s_set_vgpr_msb 0                        ;  msbs: dst=0 src0=0 src1=0 src2=0
	v_cvt_f32_i32_e32 v18, v8
	s_delay_alu instid0(VALU_DEP_1)
	v_pk_fma_f32 v[8:9], v[4:5], v[18:19], v[12:13]
	v_perm_b32 v18, v29, v28, 0x5030200
	s_set_vgpr_msb 4                        ;  msbs: dst=0 src0=0 src1=1 src2=0
	v_mul_i32_i24_e32 v12, v253, v26 /*v282*/
	v_mul_i32_i24_e32 v13, v252, v27 /*v283*/
	s_set_vgpr_msb 0                        ;  msbs: dst=0 src0=0 src1=0 src2=0
	v_perm_b32 v19, v26, v131, 0x7060403
	v_pk_fma_f32 v[58:59], v[116:117], v[8:9], v[58:59]
	s_set_vgpr_msb 5                        ;  msbs: dst=0 src0=1 src1=1 src2=0
	v_perm_b32 v9, v10 /*v266*/, v10 /*v266*/, 0xc0c0c01
	s_set_vgpr_msb 1                        ;  msbs: dst=0 src0=1 src1=0 src2=0
	v_perm_b32 v8, v8 /*v264*/, v33, 0x6040503
	s_set_vgpr_msb 0                        ;  msbs: dst=0 src0=0 src1=0 src2=0
	s_delay_alu instid0(VALU_DEP_2) | instskip(NEXT) | instid1(VALU_DEP_1)
	v_or_b32_e32 v9, v248, v9
	v_dot4_i32_iu8 v8, v9, v8, 0 neg_lo:[1,1,0]
	s_set_vgpr_msb 1                        ;  msbs: dst=0 src0=1 src1=0 src2=0
	v_mul_i32_i24_e32 v9, v24 /*v280*/, v175
	s_delay_alu instid0(VALU_DEP_2) | instskip(NEXT) | instid1(VALU_DEP_2)
	v_dot4_i32_iu8 v8, v28 /*v284*/, v249, v8 neg_lo:[1,1,0]
	v_mad_i32_i24 v9, v25 /*v281*/, v176, v9
	s_set_vgpr_msb 4                        ;  msbs: dst=0 src0=0 src1=1 src2=0
	s_delay_alu instid0(VALU_DEP_2) | instskip(SKIP_1) | instid1(VALU_DEP_2)
	v_dot4_i32_iu8 v8, v250, v29 /*v285*/, v8 neg_lo:[1,1,0]
	s_set_vgpr_msb 0                        ;  msbs: dst=0 src0=0 src1=0 src2=0
	v_dot4_i32_iu8 v9, v251, v18, v9 neg_lo:[1,1,0]
	v_perm_b32 v18, v30, v29, 0x4030200
	s_delay_alu instid0(VALU_DEP_1) | instskip(SKIP_1) | instid1(VALU_DEP_2)
	v_dot4_i32_iu8 v9, v254, v18, v9 neg_lo:[1,1,0]
	v_perm_b32 v18, v25, v24, 0x6040503
	v_add3_u32 v9, v9, v12, v13
	v_perm_b32 v12, v24, v124, 0x6050401
	v_perm_b32 v13, v130, v26, 0x6050401
	s_delay_alu instid0(VALU_DEP_1) | instskip(SKIP_1) | instid1(VALU_DEP_2)
	v_dot4_i32_iu8 v12, v13, v12, 0 neg_lo:[1,1,0]
	v_perm_b32 v13, v124, v25, 0x7060403
	v_dot4_i32_iu8 v12, v234, v18, v12 neg_lo:[1,1,0]
	s_delay_alu instid0(VALU_DEP_1) | instskip(SKIP_2) | instid1(VALU_DEP_1)
	v_dot4_i32_iu8 v12, v19, v13, v12 neg_lo:[1,1,0]
	v_perm_b32 v13, v20, v126, 0x6050401
	v_perm_b32 v19, v128, v22, 0x6050401
	v_dot4_i32_iu8 v13, v19, v13, 0 neg_lo:[1,1,0]
	v_perm_b32 v19, v126, v21, 0x7060403
	s_set_vgpr_msb 4                        ;  msbs: dst=0 src0=0 src1=1 src2=0
	s_delay_alu instid0(VALU_DEP_2) | instskip(SKIP_1) | instid1(VALU_DEP_1)
	v_dot4_i32_iu8 v13, v235, v31 /*v287*/, v13 neg_lo:[1,1,0]
	s_set_vgpr_msb 1                        ;  msbs: dst=0 src0=1 src1=0 src2=0
	v_dot4_i32_iu8 v13, v6 /*v262*/, v19, v13 neg_lo:[1,1,0]
	s_set_vgpr_msb 0                        ;  msbs: dst=0 src0=0 src1=0 src2=0
	v_perm_b32 v19, v15, v2, 0x7060203
	v_perm_b32 v15, v3, v15, 0x5040001
	s_set_vgpr_msb 0x44                     ;  msbs: dst=1 src0=0 src1=1 src2=0
	v_perm_b32 v6 /*v262*/, v174, v11 /*v267*/, 0x5040001
	s_set_vgpr_msb 0                        ;  msbs: dst=0 src0=0 src1=0 src2=0
	v_dot4_i32_iu8 v13, v23, v127, v13 neg_lo:[1,1,0]
	s_set_vgpr_msb 16                       ;  msbs: dst=0 src0=0 src1=0 src2=1
	v_dot4_i32_iu8 v15, v15, v19, v16 /*v272*/ neg_lo:[1,1,0]
	s_set_vgpr_msb 1                        ;  msbs: dst=0 src0=1 src1=0 src2=0
	v_perm_b32 v19, v11 /*v267*/, v34, 0x7060203
	s_delay_alu instid0(VALU_DEP_1)
	v_dot4_i32_iu8 v19, v6 /*v262*/, v19, v8 neg_lo:[1,1,0]
	s_set_vgpr_msb 64                       ;  msbs: dst=1 src0=0 src1=0 src2=0
	v_perm_b32 v6 /*v262*/, v3, v2, 0x5040203
	s_set_vgpr_msb 0                        ;  msbs: dst=0 src0=0 src1=0 src2=0
	v_dot4_i32_iu8 v8, v125, v27, v12 neg_lo:[1,1,0]
	s_set_vgpr_msb 16                       ;  msbs: dst=0 src0=0 src1=0 src2=1
	v_dot4_i32_iu8 v12, v7, v125, v17 /*v273*/ neg_lo:[1,1,0]
	s_set_vgpr_msb 0x44                     ;  msbs: dst=1 src0=0 src1=1 src2=0
	v_dot4_i32_iu8 v11 /*v267*/, v31, v6 /*v262*/, v9 neg_lo:[1,1,0]
	s_set_vgpr_msb 16                       ;  msbs: dst=0 src0=0 src1=0 src2=1
	v_dot4_i32_iu8 v9, v127, v11, v18 /*v274*/ neg_lo:[1,1,0]
	v_mul_lo_u32 v8, v8, v238
	s_delay_alu instid0(VALU_DEP_2) | instskip(SKIP_1) | instid1(VALU_DEP_2)
	v_mul_lo_u32 v9, v9, v239
	s_set_vgpr_msb 0                        ;  msbs: dst=0 src0=0 src1=0 src2=0
	v_mad_u32 v8, v13, v239, v8
	v_mul_lo_u32 v13, v19, v236
	v_perm_b32 v19, v22, v149, 0x7060403
	s_delay_alu instid0(VALU_DEP_4) | instskip(SKIP_2) | instid1(VALU_DEP_3)
	v_mad_u32 v9, v12, v238, v9
	v_mul_lo_u32 v12, v15, v237
	v_cvt_f32_i32_e32 v8, v8
	v_cvt_f32_i32_e32 v9, v9
	s_set_vgpr_msb 1                        ;  msbs: dst=0 src0=1 src1=0 src2=0
	s_delay_alu instid0(VALU_DEP_3)
	v_mad_u32 v15, v13 /*v269*/, v236, v12
	v_mad_u32 v12, v11 /*v267*/, v237, v13
	s_set_vgpr_msb 0x51                     ;  msbs: dst=1 src0=1 src1=0 src2=1
	v_dot4_i32_iu8 v11 /*v267*/, v12 /*v268*/, v231, v19 /*v275*/ neg_lo:[1,1,0]
	s_set_vgpr_msb 0                        ;  msbs: dst=0 src0=0 src1=0 src2=0
	v_pk_fma_f32 v[8:9], v[16:17], v[8:9], 0 op_sel_hi:[1,1,0]
	s_delay_alu instid0(VALU_DEP_4) | instskip(NEXT) | instid1(VALU_DEP_4)
	v_cvt_f32_i32_e32 v13, v15
	v_cvt_f32_i32_e32 v12, v12
	v_perm_b32 v15, v26, v147, 0x7060403
	s_delay_alu instid0(VALU_DEP_2)
	v_pk_fma_f32 v[8:9], v[4:5], v[12:13], v[8:9]
	s_set_vgpr_msb 1                        ;  msbs: dst=0 src0=1 src1=0 src2=0
	v_perm_b32 v12, v9 /*v265*/, v161, 0x6040503
	s_set_vgpr_msb 0                        ;  msbs: dst=0 src0=0 src1=0 src2=0
	v_perm_b32 v13, v29, v154, 0x6040503
	v_pk_fma_f32 v[56:57], v[118:119], v[8:9], v[56:57]
	s_set_vgpr_msb 1                        ;  msbs: dst=0 src0=1 src1=0 src2=0
	v_perm_b32 v8, v8 /*v264*/, v159, 0x6040501
	s_set_vgpr_msb 4                        ;  msbs: dst=0 src0=0 src1=1 src2=0
	v_perm_b32 v9, v161, v10 /*v266*/, 0x6040501
	s_set_vgpr_msb 0                        ;  msbs: dst=0 src0=0 src1=0 src2=0
	s_delay_alu instid0(VALU_DEP_1) | instskip(SKIP_3) | instid1(VALU_DEP_1)
	v_dot4_i32_iu8 v8, v9, v8, 0 neg_lo:[1,1,0]
	s_set_vgpr_msb 4                        ;  msbs: dst=0 src0=0 src1=1 src2=0
	v_perm_b32 v9, v158, v8 /*v264*/, 0x6040503
	s_set_vgpr_msb 0                        ;  msbs: dst=0 src0=0 src1=0 src2=0
	v_dot4_i32_iu8 v8, v12, v9, v8 neg_lo:[1,1,0]
	v_perm_b32 v9, v28, v167, 0x6040501
	v_perm_b32 v12, v154, v30, 0x6040501
	s_set_vgpr_msb 4                        ;  msbs: dst=0 src0=0 src1=1 src2=0
	s_delay_alu instid0(VALU_DEP_3) | instskip(SKIP_1) | instid1(VALU_DEP_2)
	v_dot4_i32_iu8 v8, v177, v29 /*v285*/, v8 neg_lo:[1,1,0]
	s_set_vgpr_msb 0                        ;  msbs: dst=0 src0=0 src1=0 src2=0
	v_dot4_i32_iu8 v9, v12, v9, 0 neg_lo:[1,1,0]
	v_perm_b32 v12, v166, v28, 0x6040503
	s_delay_alu instid0(VALU_DEP_1) | instskip(SKIP_3) | instid1(VALU_DEP_3)
	v_dot4_i32_iu8 v9, v13, v12, v9 neg_lo:[1,1,0]
	v_perm_b32 v12, v24, v142, 0x6050401
	v_perm_b32 v13, v146, v26, 0x6050401
	s_set_vgpr_msb 4                        ;  msbs: dst=0 src0=0 src1=1 src2=0
	v_dot4_i32_iu8 v9, v246, v30 /*v286*/, v9 neg_lo:[1,1,0]
	s_set_vgpr_msb 0                        ;  msbs: dst=0 src0=0 src1=0 src2=0
	s_delay_alu instid0(VALU_DEP_2)
	v_dot4_i32_iu8 v12, v13, v12, 0 neg_lo:[1,1,0]
	v_perm_b32 v13, v142, v25, 0x7060403
	s_set_vgpr_msb 64                       ;  msbs: dst=1 src0=0 src1=0 src2=0
	v_dot4_i32_iu8 v13 /*v269*/, v31, v230, v9 neg_lo:[1,1,0]
	s_set_vgpr_msb 16                       ;  msbs: dst=0 src0=0 src1=0 src2=1
	v_dot4_i32_iu8 v9, v145, v11, v22 /*v278*/ neg_lo:[1,1,0]
	s_set_vgpr_msb 0                        ;  msbs: dst=0 src0=0 src1=0 src2=0
	v_dot4_i32_iu8 v12, v233, v18, v12 neg_lo:[1,1,0]
	s_delay_alu instid0(VALU_DEP_2) | instskip(NEXT) | instid1(VALU_DEP_2)
	v_mul_lo_u32 v9, v9, v228
	v_dot4_i32_iu8 v12, v15, v13, v12 neg_lo:[1,1,0]
	v_perm_b32 v13, v20, v144, 0x6050401
	v_perm_b32 v15, v148, v22, 0x6050401
	s_delay_alu instid0(VALU_DEP_1) | instskip(SKIP_2) | instid1(VALU_DEP_2)
	v_dot4_i32_iu8 v13, v15, v13, 0 neg_lo:[1,1,0]
	v_perm_b32 v15, v144, v21, 0x7060403
	s_set_vgpr_msb 5                        ;  msbs: dst=0 src0=1 src1=1 src2=0
	v_dot4_i32_iu8 v13, v3 /*v259*/, v31 /*v287*/, v13 neg_lo:[1,1,0]
	s_set_vgpr_msb 0                        ;  msbs: dst=0 src0=0 src1=0 src2=0
	s_delay_alu instid0(VALU_DEP_1)
	v_dot4_i32_iu8 v13, v19, v15, v13 neg_lo:[1,1,0]
	s_set_vgpr_msb 4                        ;  msbs: dst=0 src0=0 src1=1 src2=0
	v_dot4_i32_iu8 v15, v231, v32 /*v288*/, v8 neg_lo:[1,1,0]
	s_set_vgpr_msb 0                        ;  msbs: dst=0 src0=0 src1=0 src2=0
	v_dot4_i32_iu8 v8, v143, v27, v12 neg_lo:[1,1,0]
	s_set_vgpr_msb 20                       ;  msbs: dst=0 src0=0 src1=1 src2=1
	v_dot4_i32_iu8 v19, v230, v33 /*v289*/, v20 /*v276*/ neg_lo:[1,1,0]
	s_set_vgpr_msb 16                       ;  msbs: dst=0 src0=0 src1=0 src2=1
	v_dot4_i32_iu8 v12, v7, v143, v21 /*v277*/ neg_lo:[1,1,0]
	s_set_vgpr_msb 0                        ;  msbs: dst=0 src0=0 src1=0 src2=0
	v_dot4_i32_iu8 v13, v23, v145, v13 neg_lo:[1,1,0]
	v_mul_lo_u32 v8, v8, v229
	s_delay_alu instid0(VALU_DEP_3) | instskip(SKIP_1) | instid1(VALU_DEP_3)
	v_mad_u32 v9, v12, v229, v9
	v_mul_lo_u32 v12, v19, v227
	v_mad_u32 v8, v13, v228, v8
	v_mul_lo_u32 v13, v15, v179
	s_delay_alu instid0(VALU_DEP_4) | instskip(SKIP_1) | instid1(VALU_DEP_4)
	v_cvt_f32_i32_e32 v9, v9
	s_set_vgpr_msb 1                        ;  msbs: dst=0 src0=1 src1=0 src2=0
	v_mad_u32 v12, v11 /*v267*/, v179, v12
	s_set_vgpr_msb 0                        ;  msbs: dst=0 src0=0 src1=0 src2=0
	s_delay_alu instid0(VALU_DEP_4) | instskip(SKIP_1) | instid1(VALU_DEP_4)
	v_cvt_f32_i32_e32 v8, v8
	s_set_vgpr_msb 1                        ;  msbs: dst=0 src0=1 src1=0 src2=0
	v_mad_u32 v15, v13 /*v269*/, v227, v13
	s_set_vgpr_msb 0                        ;  msbs: dst=0 src0=0 src1=0 src2=0
	s_delay_alu instid0(VALU_DEP_3) | instskip(SKIP_1) | instid1(VALU_DEP_3)
	v_cvt_f32_i32_e32 v13, v12
	v_pk_fma_f32 v[8:9], v[16:17], v[8:9], 0 op_sel_hi:[1,1,0]
	v_cvt_f32_i32_e32 v12, v15
	v_perm_b32 v15, v26, v153, 0x7060403
	s_delay_alu instid0(VALU_DEP_2)
	v_pk_fma_f32 v[8:9], v[4:5], v[12:13], v[8:9]
	s_set_vgpr_msb 1                        ;  msbs: dst=0 src0=1 src1=0 src2=0
	v_perm_b32 v12, v9 /*v265*/, v165, 0x6040503
	s_set_vgpr_msb 0                        ;  msbs: dst=0 src0=0 src1=0 src2=0
	v_perm_b32 v13, v29, v156, 0x6040503
	v_pk_fma_f32 v[54:55], v[120:121], v[8:9], v[54:55]
	s_set_vgpr_msb 1                        ;  msbs: dst=0 src0=1 src1=0 src2=0
	v_perm_b32 v8, v8 /*v264*/, v163, 0x6040501
	s_set_vgpr_msb 4                        ;  msbs: dst=0 src0=0 src1=1 src2=0
	v_perm_b32 v9, v165, v10 /*v266*/, 0x6040501
	s_set_vgpr_msb 0                        ;  msbs: dst=0 src0=0 src1=0 src2=0
	s_delay_alu instid0(VALU_DEP_1) | instskip(SKIP_3) | instid1(VALU_DEP_1)
	v_dot4_i32_iu8 v8, v9, v8, 0 neg_lo:[1,1,0]
	s_set_vgpr_msb 4                        ;  msbs: dst=0 src0=0 src1=1 src2=0
	v_perm_b32 v9, v162, v8 /*v264*/, 0x6040503
	s_set_vgpr_msb 0                        ;  msbs: dst=0 src0=0 src1=0 src2=0
	v_dot4_i32_iu8 v8, v12, v9, v8 neg_lo:[1,1,0]
	v_perm_b32 v9, v28, v169, 0x6040501
	v_perm_b32 v12, v156, v30, 0x6040501
	s_set_vgpr_msb 4                        ;  msbs: dst=0 src0=0 src1=1 src2=0
	s_delay_alu instid0(VALU_DEP_3) | instskip(SKIP_1) | instid1(VALU_DEP_2)
	v_dot4_i32_iu8 v8, v178, v29 /*v285*/, v8 neg_lo:[1,1,0]
	s_set_vgpr_msb 0                        ;  msbs: dst=0 src0=0 src1=0 src2=0
	v_dot4_i32_iu8 v9, v12, v9, 0 neg_lo:[1,1,0]
	v_perm_b32 v12, v168, v28, 0x6040503
	s_set_vgpr_msb 4                        ;  msbs: dst=0 src0=0 src1=1 src2=0
	v_dot4_i32_iu8 v8, v157, v32 /*v288*/, v8 neg_lo:[1,1,0]
	s_set_vgpr_msb 0                        ;  msbs: dst=0 src0=0 src1=0 src2=0
	s_delay_alu instid0(VALU_DEP_2)
	v_dot4_i32_iu8 v9, v13, v12, v9 neg_lo:[1,1,0]
	v_perm_b32 v12, v24, v132, 0x6050401
	v_perm_b32 v13, v152, v26, 0x6050401
	v_mul_lo_u32 v8, v8, v32
	s_set_vgpr_msb 4                        ;  msbs: dst=0 src0=0 src1=1 src2=0
	v_dot4_i32_iu8 v9, v232, v30 /*v286*/, v9 neg_lo:[1,1,0]
	s_set_vgpr_msb 0                        ;  msbs: dst=0 src0=0 src1=0 src2=0
	v_dot4_i32_iu8 v12, v13, v12, 0 neg_lo:[1,1,0]
	v_perm_b32 v13, v132, v25, 0x7060403
	s_delay_alu instid0(VALU_DEP_3) | instskip(NEXT) | instid1(VALU_DEP_3)
	v_dot4_i32_iu8 v9, v31, v164, v9 neg_lo:[1,1,0]
	v_dot4_i32_iu8 v12, v171, v18, v12 neg_lo:[1,1,0]
	v_perm_b32 v18, v22, v151, 0x7060403
	s_delay_alu instid0(VALU_DEP_3) | instskip(NEXT) | instid1(VALU_DEP_3)
	v_mad_u32 v8, v9, v35, v8
	v_dot4_i32_iu8 v12, v15, v13, v12 neg_lo:[1,1,0]
	v_perm_b32 v13, v20, v0, 0x6050401
	v_perm_b32 v15, v150, v22, 0x6050401
	s_delay_alu instid0(VALU_DEP_3) | instskip(NEXT) | instid1(VALU_DEP_2)
	v_dot4_i32_iu8 v12, v133, v27, v12 neg_lo:[1,1,0]
	v_dot4_i32_iu8 v13, v15, v13, 0 neg_lo:[1,1,0]
	v_perm_b32 v15, v0, v21, 0x7060403
	v_cvt_f32_i32_e32 v8, v8
	s_delay_alu instid0(VALU_DEP_4) | instskip(SKIP_3) | instid1(VALU_DEP_1)
	v_mul_lo_u32 v11, v12, v160
	s_set_vgpr_msb 5                        ;  msbs: dst=0 src0=1 src1=1 src2=0
	v_dot4_i32_iu8 v13, v0 /*v256*/, v31 /*v287*/, v13 neg_lo:[1,1,0]
	s_set_vgpr_msb 0                        ;  msbs: dst=0 src0=0 src1=0 src2=0
	v_dot4_i32_iu8 v13, v18, v15, v13 neg_lo:[1,1,0]
	s_set_vgpr_msb 17                       ;  msbs: dst=0 src0=1 src1=0 src2=1
	v_dot4_i32_iu8 v15, v12 /*v268*/, v157, v23 /*v279*/ neg_lo:[1,1,0]
	s_set_vgpr_msb 0                        ;  msbs: dst=0 src0=0 src1=0 src2=0
	s_delay_alu instid0(VALU_DEP_2) | instskip(NEXT) | instid1(VALU_DEP_2)
	v_dot4_i32_iu8 v7, v23, v1, v13 neg_lo:[1,1,0]
	v_mad_u32 v9, v15, v32, v10
	s_delay_alu instid0(VALU_DEP_2) | instskip(SKIP_1) | instid1(VALU_DEP_3)
	v_mad_u32 v11, v7, v155, v11
	v_cvt_f32_i32_e32 v7, v6
	v_cvt_f32_i32_e32 v9, v9
	s_delay_alu instid0(VALU_DEP_3) | instskip(NEXT) | instid1(VALU_DEP_1)
	v_cvt_f32_i32_e32 v6, v11
	v_pk_fma_f32 v[6:7], v[16:17], v[6:7], 0 op_sel_hi:[1,1,0]
	s_delay_alu instid0(VALU_DEP_1) | instskip(NEXT) | instid1(VALU_DEP_1)
	v_pk_fma_f32 v[4:5], v[4:5], v[8:9], v[6:7]
	v_pk_fma_f32 v[52:53], v[122:123], v[4:5], v[52:53]
	v_or_b32_e32 v4, s12, v197
	s_delay_alu instid0(VALU_DEP_1)
	v_lshlrev_b32_e32 v16, 2, v4
	s_set_vgpr_msb 64                       ;  msbs: dst=1 src0=0 src1=0 src2=0
	v_lshrrev_b32_e32 v12 /*v268*/, 1, v4
	s_set_vgpr_msb 0                        ;  msbs: dst=0 src0=0 src1=0 src2=0
	ds_load_b128 v[8:11], v16 offset:33280
	ds_load_b128 v[4:7], v16 offset:33296
	;; [unrolled: 1-line block ×4, first 2 shown]
	s_wait_dscnt 0x3
	v_perm_b32 v30, v10, v139, 0x7060403
	s_wait_dscnt 0x2
	v_perm_b32 v29, v5, v140, 0x6040503
	s_wait_dscnt 0x1
	v_bfe_i32 v20, v14, 8, 8
	s_wait_dscnt 0x0
	v_perm_b32 v24, v16, v18, 0x6040501
	v_perm_b32 v25, v17, v16, 0x6040503
	v_bfe_i32 v21, v12, 8, 8
	v_perm_b32 v26, v18, v17, 0x7060403
	v_mul_i32_i24_e32 v20, v20, v175
	s_set_vgpr_msb 4                        ;  msbs: dst=0 src0=0 src1=1 src2=0
	v_dot4_i32_iu8 v24, v24, v1 /*v257*/, 0 neg_lo:[1,1,0]
	s_set_vgpr_msb 0                        ;  msbs: dst=0 src0=0 src1=0 src2=0
	v_perm_b32 v27, v170, v14, 0x6040501
	v_bfe_i32 v22, v14, 16, 8
	v_ashrrev_i32_e32 v23, 24, v14
	v_mad_i32_i24 v20, v21, v176, v20
	s_set_vgpr_msb 4                        ;  msbs: dst=0 src0=0 src1=1 src2=0
	v_dot4_i32_iu8 v24, v25, v2 /*v258*/, v24 neg_lo:[1,1,0]
	s_set_vgpr_msb 0                        ;  msbs: dst=0 src0=0 src1=0 src2=0
	v_perm_b32 v21, v13, v12, 0x5030200
	v_perm_b32 v28, v13, v170, 0x6040503
	v_mul_i32_i24_e32 v22, v253, v22
	v_mul_i32_i24_e32 v23, v252, v23
	s_set_vgpr_msb 64                       ;  msbs: dst=1 src0=0 src1=0 src2=0
	v_dot4_i32_iu8 v13 /*v269*/, v26, v255, v24 neg_lo:[1,1,0]
	s_set_vgpr_msb 0                        ;  msbs: dst=0 src0=0 src1=0 src2=0
	v_perm_b32 v24, v12, v173, 0x6040501
	v_dot4_i32_iu8 v20, v251, v21, v20 neg_lo:[1,1,0]
	v_perm_b32 v21, v14, v13, 0x4030200
	s_set_vgpr_msb 64                       ;  msbs: dst=1 src0=0 src1=0 src2=0
	v_perm_b32 v35 /*v291*/, v19, v19, 0x7060001
	v_perm_b32 v34 /*v290*/, v15, v15, 0x7060001
	s_set_vgpr_msb 0                        ;  msbs: dst=0 src0=0 src1=0 src2=0
	v_dot4_i32_iu8 v24, v27, v24, 0 neg_lo:[1,1,0]
	v_perm_b32 v27, v172, v12, 0x6040503
	v_dot4_i32_iu8 v20, v254, v21, v20 neg_lo:[1,1,0]
	v_perm_b32 v21, v130, v6, 0x6050401
	s_set_vgpr_msb 17                       ;  msbs: dst=0 src0=1 src1=0 src2=1
	v_dot4_i32_iu8 v19, v35 /*v291*/, v245, v13 /*v269*/ neg_lo:[1,1,0]
	s_set_vgpr_msb 0                        ;  msbs: dst=0 src0=0 src1=0 src2=0
	v_dot4_i32_iu8 v24, v28, v27, v24 neg_lo:[1,1,0]
	v_perm_b32 v27, v14, v13, 0x7060403
	v_perm_b32 v28, v140, v6, 0x6050401
	s_set_vgpr_msb 64                       ;  msbs: dst=1 src0=0 src1=0 src2=0
	v_add3_u32 v18 /*v274*/, v20, v22, v23
	s_set_vgpr_msb 0                        ;  msbs: dst=0 src0=0 src1=0 src2=0
	v_perm_b32 v20, v4, v124, 0x6050401
	v_perm_b32 v22, v124, v5, 0x7060403
	s_set_vgpr_msb 0x41                     ;  msbs: dst=1 src0=1 src1=0 src2=0
	v_dot4_i32_iu8 v14 /*v270*/, v4 /*v260*/, v27, v24 neg_lo:[1,1,0]
	s_set_vgpr_msb 0                        ;  msbs: dst=0 src0=0 src1=0 src2=0
	v_perm_b32 v24, v4, v134, 0x6050401
	v_perm_b32 v23, v6, v131, 0x7060403
	v_dot4_i32_iu8 v20, v21, v20, 0 neg_lo:[1,1,0]
	v_perm_b32 v21, v5, v4, 0x6040503
	s_set_vgpr_msb 0x54                     ;  msbs: dst=1 src0=0 src1=1 src2=1
	v_dot4_i32_iu8 v14 /*v270*/, v244, v34 /*v290*/, v14 /*v270*/ neg_lo:[1,1,0]
	s_set_vgpr_msb 0                        ;  msbs: dst=0 src0=0 src1=0 src2=0
	v_dot4_i32_iu8 v24, v28, v24, 0 neg_lo:[1,1,0]
	v_perm_b32 v28, v141, v4, 0x6040503
	v_dot4_i32_iu8 v20, v234, v21, v20 neg_lo:[1,1,0]
	s_delay_alu instid0(VALU_DEP_2) | instskip(SKIP_2) | instid1(VALU_DEP_3)
	v_dot4_i32_iu8 v24, v29, v28, v24 neg_lo:[1,1,0]
	v_perm_b32 v28, v6, v5, 0x7060403
	s_set_vgpr_msb 64                       ;  msbs: dst=1 src0=0 src1=0 src2=0
	v_dot4_i32_iu8 v19 /*v275*/, v23, v22, v20 neg_lo:[1,1,0]
	s_set_vgpr_msb 0                        ;  msbs: dst=0 src0=0 src1=0 src2=0
	v_perm_b32 v20, v8, v126, 0x6050401
	v_perm_b32 v22, v128, v10, 0x6050401
	;; [unrolled: 1-line block ×3, first 2 shown]
	s_set_vgpr_msb 64                       ;  msbs: dst=1 src0=0 src1=0 src2=0
	v_dot4_i32_iu8 v15 /*v271*/, v28, v247, v24 neg_lo:[1,1,0]
	s_set_vgpr_msb 0                        ;  msbs: dst=0 src0=0 src1=0 src2=0
	v_perm_b32 v24, v8, v136, 0x6050401
	v_perm_b32 v28, v138, v10, 0x6050401
	v_dot4_i32_iu8 v20, v22, v20, 0 neg_lo:[1,1,0]
	v_perm_b32 v22, v126, v9, 0x7060403
	v_perm_b32 v29, v136, v9, 0x7060403
	s_delay_alu instid0(VALU_DEP_4) | instskip(SKIP_1) | instid1(VALU_DEP_1)
	v_dot4_i32_iu8 v24, v28, v24, 0 neg_lo:[1,1,0]
	v_perm_b32 v28, v9, v8, 0x6040503
	v_dot4_i32_iu8 v20, v235, v28, v20 neg_lo:[1,1,0]
	s_set_vgpr_msb 1                        ;  msbs: dst=0 src0=1 src1=0 src2=0
	s_delay_alu instid0(VALU_DEP_3) | instskip(SKIP_1) | instid1(VALU_DEP_2)
	v_dot4_i32_iu8 v24, v5 /*v261*/, v28, v24 neg_lo:[1,1,0]
	s_set_vgpr_msb 64                       ;  msbs: dst=1 src0=0 src1=0 src2=0
	v_dot4_i32_iu8 v20 /*v276*/, v23, v22, v20 neg_lo:[1,1,0]
	s_set_vgpr_msb 0                        ;  msbs: dst=0 src0=0 src1=0 src2=0
	v_perm_b32 v20, v16, v159, 0x6040501
	v_perm_b32 v22, v161, v18, 0x6040501
	;; [unrolled: 1-line block ×3, first 2 shown]
	s_set_vgpr_msb 64                       ;  msbs: dst=1 src0=0 src1=0 src2=0
	v_dot4_i32_iu8 v16 /*v272*/, v30, v29, v24 neg_lo:[1,1,0]
	s_set_vgpr_msb 0                        ;  msbs: dst=0 src0=0 src1=0 src2=0
	v_perm_b32 v29, v18, v18, 0xc0c0c01
	v_perm_b32 v18, v165, v18, 0x6040501
	v_dot4_i32_iu8 v20, v22, v20, 0 neg_lo:[1,1,0]
	v_perm_b32 v22, v158, v16, 0x6040503
	v_perm_b32 v24, v16, v33, 0x6040503
	;; [unrolled: 1-line block ×3, first 2 shown]
	v_or_b32_e32 v29, v248, v29
	s_delay_alu instid0(VALU_DEP_4)
	v_dot4_i32_iu8 v20, v23, v22, v20 neg_lo:[1,1,0]
	v_perm_b32 v22, v154, v14, 0x6040501
	v_perm_b32 v23, v13, v154, 0x6040503
	;; [unrolled: 1-line block ×4, first 2 shown]
	s_set_vgpr_msb 64                       ;  msbs: dst=1 src0=0 src1=0 src2=0
	v_dot4_i32_iu8 v21 /*v277*/, v177, v26, v20 neg_lo:[1,1,0]
	s_set_vgpr_msb 0                        ;  msbs: dst=0 src0=0 src1=0 src2=0
	v_perm_b32 v20, v12, v167, 0x6040501
	v_dot4_i32_iu8 v24, v29, v24, 0 neg_lo:[1,1,0]
	s_delay_alu instid0(VALU_DEP_2) | instskip(SKIP_1) | instid1(VALU_DEP_3)
	v_dot4_i32_iu8 v20, v22, v20, 0 neg_lo:[1,1,0]
	v_perm_b32 v22, v166, v12, 0x6040503
	v_dot4_i32_iu8 v24, v25, v249, v24 neg_lo:[1,1,0]
	s_delay_alu instid0(VALU_DEP_2)
	v_dot4_i32_iu8 v20, v23, v22, v20 neg_lo:[1,1,0]
	v_perm_b32 v22, v146, v6, 0x6050401
	v_perm_b32 v23, v6, v147, 0x7060403
	s_set_vgpr_msb 64                       ;  msbs: dst=1 src0=0 src1=0 src2=0
	v_dot4_i32_iu8 v17 /*v273*/, v250, v26, v24 neg_lo:[1,1,0]
	v_dot4_i32_iu8 v22 /*v278*/, v246, v27, v20 neg_lo:[1,1,0]
	s_set_vgpr_msb 0                        ;  msbs: dst=0 src0=0 src1=0 src2=0
	v_perm_b32 v20, v4, v142, 0x6050401
	v_perm_b32 v4, v4, v132, 0x6050401
	s_delay_alu instid0(VALU_DEP_2) | instskip(SKIP_2) | instid1(VALU_DEP_3)
	v_dot4_i32_iu8 v20, v22, v20, 0 neg_lo:[1,1,0]
	v_perm_b32 v22, v142, v5, 0x7060403
	v_perm_b32 v5, v132, v5, 0x7060403
	v_dot4_i32_iu8 v20, v233, v21, v20 neg_lo:[1,1,0]
	s_set_vgpr_msb 64                       ;  msbs: dst=1 src0=0 src1=0 src2=0
	s_delay_alu instid0(VALU_DEP_1) | instskip(SKIP_4) | instid1(VALU_DEP_2)
	v_dot4_i32_iu8 v23 /*v279*/, v23, v22, v20 neg_lo:[1,1,0]
	s_set_vgpr_msb 0                        ;  msbs: dst=0 src0=0 src1=0 src2=0
	v_perm_b32 v20, v8, v144, 0x6050401
	v_perm_b32 v22, v148, v10, 0x6050401
	;; [unrolled: 1-line block ×3, first 2 shown]
	v_dot4_i32_iu8 v20, v22, v20, 0 neg_lo:[1,1,0]
	v_perm_b32 v22, v144, v9, 0x7060403
	s_set_vgpr_msb 1                        ;  msbs: dst=0 src0=1 src1=0 src2=0
	s_delay_alu instid0(VALU_DEP_2) | instskip(SKIP_1) | instid1(VALU_DEP_1)
	v_dot4_i32_iu8 v20, v3 /*v259*/, v28, v20 neg_lo:[1,1,0]
	s_set_vgpr_msb 64                       ;  msbs: dst=1 src0=0 src1=0 src2=0
	v_dot4_i32_iu8 v24 /*v280*/, v23, v22, v20 neg_lo:[1,1,0]
	s_set_vgpr_msb 0                        ;  msbs: dst=0 src0=0 src1=0 src2=0
	v_perm_b32 v20, v16, v163, 0x6040501
	v_perm_b32 v16, v162, v16, 0x6040503
	s_delay_alu instid0(VALU_DEP_2) | instskip(NEXT) | instid1(VALU_DEP_1)
	v_dot4_i32_iu8 v18, v18, v20, 0 neg_lo:[1,1,0]
	v_dot4_i32_iu8 v16, v17, v16, v18 neg_lo:[1,1,0]
	s_set_vgpr_msb 64                       ;  msbs: dst=1 src0=0 src1=0 src2=0
	s_delay_alu instid0(VALU_DEP_1) | instskip(SKIP_3) | instid1(VALU_DEP_2)
	v_dot4_i32_iu8 v25 /*v281*/, v178, v26, v16 neg_lo:[1,1,0]
	s_set_vgpr_msb 0                        ;  msbs: dst=0 src0=0 src1=0 src2=0
	v_perm_b32 v16, v12, v169, 0x6040501
	v_perm_b32 v12, v168, v12, 0x6040503
	v_dot4_i32_iu8 v14, v14, v16, 0 neg_lo:[1,1,0]
	s_delay_alu instid0(VALU_DEP_1) | instskip(NEXT) | instid1(VALU_DEP_1)
	v_dot4_i32_iu8 v12, v13, v12, v14 neg_lo:[1,1,0]
	v_dot4_i32_iu8 v14, v232, v27, v12 neg_lo:[1,1,0]
	v_perm_b32 v12, v152, v6, 0x6050401
	v_perm_b32 v6, v6, v153, 0x7060403
	s_set_vgpr_msb 4                        ;  msbs: dst=0 src0=0 src1=1 src2=0
	s_delay_alu instid0(VALU_DEP_3) | instskip(SKIP_2) | instid1(VALU_DEP_1)
	v_dot4_i32_iu8 v14, v164, v34 /*v290*/, v14 neg_lo:[1,1,0]
	s_set_vgpr_msb 0                        ;  msbs: dst=0 src0=0 src1=0 src2=0
	v_dot4_i32_iu8 v4, v12, v4, 0 neg_lo:[1,1,0]
	v_dot4_i32_iu8 v4, v171, v21, v4 neg_lo:[1,1,0]
	s_delay_alu instid0(VALU_DEP_1) | instskip(SKIP_3) | instid1(VALU_DEP_4)
	v_dot4_i32_iu8 v6, v6, v5, v4 neg_lo:[1,1,0]
	v_perm_b32 v4, v8, v0, 0x6050401
	v_perm_b32 v5, v150, v10, 0x6050401
	;; [unrolled: 1-line block ×3, first 2 shown]
	v_dot4_i32_iu8 v6, v7, v133, v6 neg_lo:[1,1,0]
	s_delay_alu instid0(VALU_DEP_3) | instskip(SKIP_2) | instid1(VALU_DEP_2)
	v_dot4_i32_iu8 v4, v5, v4, 0 neg_lo:[1,1,0]
	v_perm_b32 v5, v0, v9, 0x7060403
	s_set_vgpr_msb 1                        ;  msbs: dst=0 src0=1 src1=0 src2=0
	v_dot4_i32_iu8 v4, v0 /*v256*/, v28, v4 neg_lo:[1,1,0]
	s_set_vgpr_msb 0                        ;  msbs: dst=0 src0=0 src1=0 src2=0
	s_delay_alu instid0(VALU_DEP_1) | instskip(SKIP_1) | instid1(VALU_DEP_2)
	v_dot4_i32_iu8 v10, v8, v5, v4 neg_lo:[1,1,0]
	v_or_b32_e32 v4, s12, v198
	v_dot4_i32_iu8 v10, v1, v11, v10 neg_lo:[1,1,0]
	s_delay_alu instid0(VALU_DEP_2)
	v_dual_lshlrev_b32 v5, 2, v4 :: v_dual_lshrrev_b32 v8, 1, v4
	ds_load_b128 v[20:23], v5 offset:33280
	ds_load_b128 v[24:27], v5 offset:33296
	;; [unrolled: 1-line block ×3, first 2 shown]
	s_set_vgpr_msb 64                       ;  msbs: dst=1 src0=0 src1=0 src2=0
	ds_load_b128 v[8:11] /*v[264:267]*/, v5 offset:33328
	s_set_vgpr_msb 0                        ;  msbs: dst=0 src0=0 src1=0 src2=0
	v_mul_lo_u32 v10, v10, v155
	s_delay_alu instid0(VALU_DEP_1)
	v_mad_u32 v6, v6, v160, v10
	v_mul_lo_u32 v10, v14, v35
	s_wait_dscnt 0x3
	s_set_vgpr_msb 64                       ;  msbs: dst=1 src0=0 src1=0 src2=0
	v_perm_b32 v33 /*v289*/, v21, v20, 0x6040503
	s_wait_dscnt 0x1
	s_set_vgpr_msb 0                        ;  msbs: dst=0 src0=0 src1=0 src2=0
	v_perm_b32 v5, v170, v30, 0x6040501
	s_wait_dscnt 0x0
	s_set_vgpr_msb 5                        ;  msbs: dst=0 src0=1 src1=1 src2=0
	v_perm_b32 v4, v8 /*v264*/, v10 /*v266*/, 0x6040501
	s_set_vgpr_msb 0x45                     ;  msbs: dst=1 src0=1 src1=1 src2=0
	v_perm_b32 v30 /*v286*/, v9 /*v265*/, v8 /*v264*/, 0x6040503
	v_perm_b32 v31 /*v287*/, v10 /*v266*/, v9 /*v265*/, 0x7060403
	s_set_vgpr_msb 0                        ;  msbs: dst=0 src0=0 src1=0 src2=0
	v_perm_b32 v9, v29, v170, 0x6040503
	s_set_vgpr_msb 64                       ;  msbs: dst=1 src0=0 src1=0 src2=0
	v_perm_b32 v32 /*v288*/, v30, v29, 0x7060403
	s_set_vgpr_msb 4                        ;  msbs: dst=0 src0=0 src1=1 src2=0
	v_dot4_i32_iu8 v4, v4, v1 /*v257*/, 0 neg_lo:[1,1,0]
	s_set_vgpr_msb 0                        ;  msbs: dst=0 src0=0 src1=0 src2=0
	v_perm_b32 v31, v31, v31, 0x7060001
	s_set_vgpr_msb 64                       ;  msbs: dst=1 src0=0 src1=0 src2=0
	v_bfe_i32 v26 /*v282*/, v30, 8, 8
	v_bfe_i32 v27 /*v283*/, v28, 8, 8
	;; [unrolled: 1-line block ×3, first 2 shown]
	s_set_vgpr_msb 5                        ;  msbs: dst=0 src0=1 src1=1 src2=0
	v_dot4_i32_iu8 v4, v30 /*v286*/, v2 /*v258*/, v4 neg_lo:[1,1,0]
	s_set_vgpr_msb 64                       ;  msbs: dst=1 src0=0 src1=0 src2=0
	v_ashrrev_i32_e32 v29 /*v285*/, 24, v30
	s_set_vgpr_msb 1                        ;  msbs: dst=0 src0=1 src1=0 src2=0
	s_delay_alu instid0(VALU_DEP_2) | instskip(SKIP_2) | instid1(VALU_DEP_1)
	v_dot4_i32_iu8 v12, v31 /*v287*/, v255, v4 neg_lo:[1,1,0]
	s_set_vgpr_msb 0                        ;  msbs: dst=0 src0=0 src1=0 src2=0
	v_perm_b32 v4, v28, v173, 0x6040501
	v_dot4_i32_iu8 v4, v5, v4, 0 neg_lo:[1,1,0]
	v_perm_b32 v5, v172, v28, 0x6040503
	s_delay_alu instid0(VALU_DEP_1) | instskip(SKIP_3) | instid1(VALU_DEP_3)
	v_dot4_i32_iu8 v4, v9, v5, v4 neg_lo:[1,1,0]
	v_perm_b32 v5, v140, v26, 0x6050401
	v_perm_b32 v9, v25, v140, 0x6040503
	s_set_vgpr_msb 5                        ;  msbs: dst=0 src0=1 src1=1 src2=0
	v_dot4_i32_iu8 v13, v4 /*v260*/, v32 /*v288*/, v4 neg_lo:[1,1,0]
	s_set_vgpr_msb 0                        ;  msbs: dst=0 src0=0 src1=0 src2=0
	v_perm_b32 v4, v24, v134, 0x6050401
	s_set_vgpr_msb 64                       ;  msbs: dst=1 src0=0 src1=0 src2=0
	s_delay_alu instid0(VALU_DEP_2) | instskip(SKIP_1) | instid1(VALU_DEP_2)
	v_dot4_i32_iu8 v13 /*v269*/, v31, v244, v13 neg_lo:[1,1,0]
	s_set_vgpr_msb 16                       ;  msbs: dst=0 src0=0 src1=0 src2=1
	v_dot4_i32_iu8 v4, v5, v4, 0 neg_lo:[1,1,0]
	v_perm_b32 v5, v141, v24, 0x6040503
	v_dot4_i32_iu8 v13, v137, v11, v16 /*v272*/ neg_lo:[1,1,0]
	s_set_vgpr_msb 0                        ;  msbs: dst=0 src0=0 src1=0 src2=0
	s_delay_alu instid0(VALU_DEP_2) | instskip(SKIP_3) | instid1(VALU_DEP_3)
	v_dot4_i32_iu8 v4, v9, v5, v4 neg_lo:[1,1,0]
	v_perm_b32 v5, v26, v25, 0x7060403
	v_perm_b32 v9, v22, v139, 0x7060403
	v_mul_lo_u32 v13, v13, v242
	v_dot4_i32_iu8 v16, v5, v247, v4 neg_lo:[1,1,0]
	v_perm_b32 v4, v20, v136, 0x6050401
	v_perm_b32 v5, v138, v22, 0x6050401
	s_delay_alu instid0(VALU_DEP_1) | instskip(SKIP_2) | instid1(VALU_DEP_2)
	v_dot4_i32_iu8 v4, v5, v4, 0 neg_lo:[1,1,0]
	v_perm_b32 v5, v136, v21, 0x7060403
	s_set_vgpr_msb 5                        ;  msbs: dst=0 src0=1 src1=1 src2=0
	v_dot4_i32_iu8 v4, v5 /*v261*/, v33 /*v289*/, v4 neg_lo:[1,1,0]
	s_set_vgpr_msb 0                        ;  msbs: dst=0 src0=0 src1=0 src2=0
	s_delay_alu instid0(VALU_DEP_1)
	v_dot4_i32_iu8 v17, v9, v5, v4 neg_lo:[1,1,0]
	s_set_vgpr_msb 1                        ;  msbs: dst=0 src0=1 src1=0 src2=0
	ds_load_b64 v[4:5], v12 /*v268*/ offset:43584
	s_set_vgpr_msb 0                        ;  msbs: dst=0 src0=0 src1=0 src2=0
	ds_load_b64 v[8:9], v8 offset:43584
	s_set_vgpr_msb 0x45                     ;  msbs: dst=1 src0=1 src1=1 src2=0
	v_perm_b32 v12 /*v268*/, v11 /*v267*/, v11 /*v267*/, 0x7060001
	s_set_vgpr_msb 0                        ;  msbs: dst=0 src0=0 src1=0 src2=0
	v_dot4_i32_iu8 v17, v23, v137, v17 neg_lo:[1,1,0]
	s_set_vgpr_msb 4                        ;  msbs: dst=0 src0=0 src1=1 src2=0
	s_delay_alu instid0(VALU_DEP_2) | instskip(SKIP_4) | instid1(VALU_DEP_2)
	v_dot4_i32_iu8 v18, v245, v12 /*v268*/, v12 neg_lo:[1,1,0]
	s_set_vgpr_msb 0                        ;  msbs: dst=0 src0=0 src1=0 src2=0
	v_dot4_i32_iu8 v12, v135, v27, v16 neg_lo:[1,1,0]
	s_set_vgpr_msb 16                       ;  msbs: dst=0 src0=0 src1=0 src2=1
	v_dot4_i32_iu8 v16, v7, v135, v15 /*v271*/ neg_lo:[1,1,0]
	v_mul_lo_u32 v12, v12, v243
	s_set_vgpr_msb 0                        ;  msbs: dst=0 src0=0 src1=0 src2=0
	s_delay_alu instid0(VALU_DEP_2) | instskip(SKIP_3) | instid1(VALU_DEP_4)
	v_mad_u32 v13, v16, v243, v13
	s_wait_dscnt 0x0
	v_mov_b32_e32 v16, v8
	v_mul_lo_u32 v8, v18, v241
	v_mad_u32 v12, v17, v242, v12
	v_mov_b32_e32 v17, v4
	s_set_vgpr_msb 1                        ;  msbs: dst=0 src0=1 src1=0 src2=0
	v_mul_lo_u32 v4, v14 /*v270*/, v240
	s_set_vgpr_msb 0                        ;  msbs: dst=0 src0=0 src1=0 src2=0
	v_cvt_f32_i32_e32 v13, v13
	s_set_vgpr_msb 1                        ;  msbs: dst=0 src0=1 src1=0 src2=0
	v_mad_u32 v8, v13 /*v269*/, v240, v8
	s_set_vgpr_msb 64                       ;  msbs: dst=1 src0=0 src1=0 src2=0
	v_perm_b32 v13 /*v269*/, v22, v129, 0x7060403
	s_set_vgpr_msb 0                        ;  msbs: dst=0 src0=0 src1=0 src2=0
	v_cvt_f32_i32_e32 v12, v12
	v_mad_u32 v4, v19, v241, v4
	s_delay_alu instid0(VALU_DEP_4) | instskip(NEXT) | instid1(VALU_DEP_2)
	v_cvt_f32_i32_e32 v18, v8
	v_cvt_f32_i32_e32 v19, v4
	v_mov_b32_e32 v4, v9
	v_pk_fma_f32 v[12:13], v[16:17], v[12:13], 0 op_sel_hi:[1,1,0]
	s_delay_alu instid0(VALU_DEP_1)
	v_pk_fma_f32 v[8:9], v[4:5], v[18:19], v[12:13]
	v_perm_b32 v18, v29, v28, 0x5030200
	s_set_vgpr_msb 4                        ;  msbs: dst=0 src0=0 src1=1 src2=0
	v_mul_i32_i24_e32 v12, v253, v28 /*v284*/
	v_mul_i32_i24_e32 v13, v252, v29 /*v285*/
	s_set_vgpr_msb 0                        ;  msbs: dst=0 src0=0 src1=0 src2=0
	v_perm_b32 v19, v26, v131, 0x7060403
	v_pk_fma_f32 v[50:51], v[116:117], v[8:9], v[50:51]
	s_set_vgpr_msb 5                        ;  msbs: dst=0 src0=1 src1=1 src2=0
	v_perm_b32 v9, v10 /*v266*/, v10 /*v266*/, 0xc0c0c01
	s_set_vgpr_msb 1                        ;  msbs: dst=0 src0=1 src1=0 src2=0
	v_perm_b32 v8, v8 /*v264*/, v33, 0x6040503
	s_set_vgpr_msb 0                        ;  msbs: dst=0 src0=0 src1=0 src2=0
	s_delay_alu instid0(VALU_DEP_2) | instskip(NEXT) | instid1(VALU_DEP_1)
	v_or_b32_e32 v9, v248, v9
	v_dot4_i32_iu8 v8, v9, v8, 0 neg_lo:[1,1,0]
	s_set_vgpr_msb 1                        ;  msbs: dst=0 src0=1 src1=0 src2=0
	v_mul_i32_i24_e32 v9, v26 /*v282*/, v175
	s_delay_alu instid0(VALU_DEP_2) | instskip(NEXT) | instid1(VALU_DEP_2)
	v_dot4_i32_iu8 v8, v30 /*v286*/, v249, v8 neg_lo:[1,1,0]
	v_mad_i32_i24 v9, v27 /*v283*/, v176, v9
	s_set_vgpr_msb 4                        ;  msbs: dst=0 src0=0 src1=1 src2=0
	s_delay_alu instid0(VALU_DEP_2) | instskip(SKIP_1) | instid1(VALU_DEP_2)
	v_dot4_i32_iu8 v8, v250, v31 /*v287*/, v8 neg_lo:[1,1,0]
	s_set_vgpr_msb 0                        ;  msbs: dst=0 src0=0 src1=0 src2=0
	v_dot4_i32_iu8 v9, v251, v18, v9 neg_lo:[1,1,0]
	v_perm_b32 v18, v30, v29, 0x4030200
	s_delay_alu instid0(VALU_DEP_1) | instskip(SKIP_1) | instid1(VALU_DEP_2)
	v_dot4_i32_iu8 v9, v254, v18, v9 neg_lo:[1,1,0]
	v_perm_b32 v18, v25, v24, 0x6040503
	v_add3_u32 v9, v9, v12, v13
	v_perm_b32 v12, v24, v124, 0x6050401
	v_perm_b32 v13, v130, v26, 0x6050401
	s_delay_alu instid0(VALU_DEP_1) | instskip(SKIP_1) | instid1(VALU_DEP_2)
	v_dot4_i32_iu8 v12, v13, v12, 0 neg_lo:[1,1,0]
	v_perm_b32 v13, v124, v25, 0x7060403
	v_dot4_i32_iu8 v12, v234, v18, v12 neg_lo:[1,1,0]
	s_delay_alu instid0(VALU_DEP_1) | instskip(SKIP_2) | instid1(VALU_DEP_1)
	v_dot4_i32_iu8 v12, v19, v13, v12 neg_lo:[1,1,0]
	v_perm_b32 v13, v20, v126, 0x6050401
	v_perm_b32 v19, v128, v22, 0x6050401
	v_dot4_i32_iu8 v13, v19, v13, 0 neg_lo:[1,1,0]
	v_perm_b32 v19, v126, v21, 0x7060403
	s_set_vgpr_msb 4                        ;  msbs: dst=0 src0=0 src1=1 src2=0
	s_delay_alu instid0(VALU_DEP_2) | instskip(SKIP_1) | instid1(VALU_DEP_1)
	v_dot4_i32_iu8 v13, v235, v33 /*v289*/, v13 neg_lo:[1,1,0]
	s_set_vgpr_msb 1                        ;  msbs: dst=0 src0=1 src1=0 src2=0
	v_dot4_i32_iu8 v13, v13 /*v269*/, v19, v13 neg_lo:[1,1,0]
	s_set_vgpr_msb 0                        ;  msbs: dst=0 src0=0 src1=0 src2=0
	v_perm_b32 v19, v15, v2, 0x7060203
	v_perm_b32 v15, v3, v15, 0x5040001
	s_set_vgpr_msb 0x55                     ;  msbs: dst=1 src0=1 src1=1 src2=1
	v_dot4_i32_iu8 v13 /*v269*/, v35 /*v291*/, v7 /*v263*/, v17 /*v273*/ neg_lo:[1,1,0]
	s_set_vgpr_msb 0                        ;  msbs: dst=0 src0=0 src1=0 src2=0
	v_dot4_i32_iu8 v13, v23, v127, v13 neg_lo:[1,1,0]
	s_set_vgpr_msb 16                       ;  msbs: dst=0 src0=0 src1=0 src2=1
	v_dot4_i32_iu8 v15, v15, v19, v18 /*v274*/ neg_lo:[1,1,0]
	s_set_vgpr_msb 1                        ;  msbs: dst=0 src0=1 src1=0 src2=0
	v_perm_b32 v19, v11 /*v267*/, v34, 0x7060203
	s_set_vgpr_msb 0x44                     ;  msbs: dst=1 src0=0 src1=1 src2=0
	v_perm_b32 v11 /*v267*/, v174, v11 /*v267*/, 0x5040001
	s_set_vgpr_msb 1                        ;  msbs: dst=0 src0=1 src1=0 src2=0
	s_delay_alu instid0(VALU_DEP_1)
	v_dot4_i32_iu8 v19, v11 /*v267*/, v19, v8 neg_lo:[1,1,0]
	s_set_vgpr_msb 0x44                     ;  msbs: dst=1 src0=0 src1=1 src2=0
	v_dot4_i32_iu8 v11 /*v267*/, v31, v6 /*v262*/, v9 neg_lo:[1,1,0]
	s_set_vgpr_msb 0                        ;  msbs: dst=0 src0=0 src1=0 src2=0
	v_dot4_i32_iu8 v8, v125, v27, v12 neg_lo:[1,1,0]
	s_set_vgpr_msb 16                       ;  msbs: dst=0 src0=0 src1=0 src2=1
	v_dot4_i32_iu8 v9, v127, v11, v20 /*v276*/ neg_lo:[1,1,0]
	v_dot4_i32_iu8 v12, v7, v125, v19 /*v275*/ neg_lo:[1,1,0]
	s_delay_alu instid0(VALU_DEP_3) | instskip(NEXT) | instid1(VALU_DEP_3)
	v_mul_lo_u32 v8, v8, v238
	v_mul_lo_u32 v9, v9, v239
	s_set_vgpr_msb 0                        ;  msbs: dst=0 src0=0 src1=0 src2=0
	s_delay_alu instid0(VALU_DEP_2) | instskip(NEXT) | instid1(VALU_DEP_2)
	v_mad_u32 v8, v13, v239, v8
	v_mad_u32 v9, v12, v238, v9
	v_mul_lo_u32 v12, v15, v237
	v_mul_lo_u32 v13, v19, v236
	v_perm_b32 v19, v22, v149, 0x7060403
	v_cvt_f32_i32_e32 v8, v8
	v_cvt_f32_i32_e32 v9, v9
	s_set_vgpr_msb 1                        ;  msbs: dst=0 src0=1 src1=0 src2=0
	v_mad_u32 v15, v13 /*v269*/, v236, v12
	v_mad_u32 v12, v11 /*v267*/, v237, v13
	s_set_vgpr_msb 0x51                     ;  msbs: dst=1 src0=1 src1=0 src2=1
	v_dot4_i32_iu8 v11 /*v267*/, v35 /*v291*/, v231, v21 /*v277*/ neg_lo:[1,1,0]
	s_set_vgpr_msb 0                        ;  msbs: dst=0 src0=0 src1=0 src2=0
	v_pk_fma_f32 v[8:9], v[16:17], v[8:9], 0 op_sel_hi:[1,1,0]
	s_delay_alu instid0(VALU_DEP_4) | instskip(NEXT) | instid1(VALU_DEP_4)
	v_cvt_f32_i32_e32 v13, v15
	v_cvt_f32_i32_e32 v12, v12
	v_perm_b32 v15, v26, v147, 0x7060403
	s_delay_alu instid0(VALU_DEP_2)
	v_pk_fma_f32 v[8:9], v[4:5], v[12:13], v[8:9]
	s_set_vgpr_msb 1                        ;  msbs: dst=0 src0=1 src1=0 src2=0
	v_perm_b32 v12, v9 /*v265*/, v161, 0x6040503
	s_set_vgpr_msb 0                        ;  msbs: dst=0 src0=0 src1=0 src2=0
	v_perm_b32 v13, v29, v154, 0x6040503
	v_pk_fma_f32 v[48:49], v[118:119], v[8:9], v[48:49]
	s_set_vgpr_msb 1                        ;  msbs: dst=0 src0=1 src1=0 src2=0
	v_perm_b32 v8, v8 /*v264*/, v159, 0x6040501
	s_set_vgpr_msb 4                        ;  msbs: dst=0 src0=0 src1=1 src2=0
	v_perm_b32 v9, v161, v10 /*v266*/, 0x6040501
	s_set_vgpr_msb 0                        ;  msbs: dst=0 src0=0 src1=0 src2=0
	s_delay_alu instid0(VALU_DEP_1) | instskip(SKIP_3) | instid1(VALU_DEP_1)
	v_dot4_i32_iu8 v8, v9, v8, 0 neg_lo:[1,1,0]
	s_set_vgpr_msb 4                        ;  msbs: dst=0 src0=0 src1=1 src2=0
	v_perm_b32 v9, v158, v8 /*v264*/, 0x6040503
	s_set_vgpr_msb 0                        ;  msbs: dst=0 src0=0 src1=0 src2=0
	v_dot4_i32_iu8 v8, v12, v9, v8 neg_lo:[1,1,0]
	v_perm_b32 v9, v28, v167, 0x6040501
	v_perm_b32 v12, v154, v30, 0x6040501
	s_set_vgpr_msb 4                        ;  msbs: dst=0 src0=0 src1=1 src2=0
	s_delay_alu instid0(VALU_DEP_3) | instskip(SKIP_1) | instid1(VALU_DEP_2)
	v_dot4_i32_iu8 v8, v177, v31 /*v287*/, v8 neg_lo:[1,1,0]
	s_set_vgpr_msb 0                        ;  msbs: dst=0 src0=0 src1=0 src2=0
	v_dot4_i32_iu8 v9, v12, v9, 0 neg_lo:[1,1,0]
	v_perm_b32 v12, v166, v28, 0x6040503
	s_delay_alu instid0(VALU_DEP_1) | instskip(SKIP_3) | instid1(VALU_DEP_3)
	v_dot4_i32_iu8 v9, v13, v12, v9 neg_lo:[1,1,0]
	v_perm_b32 v12, v24, v142, 0x6050401
	v_perm_b32 v13, v146, v26, 0x6050401
	s_set_vgpr_msb 4                        ;  msbs: dst=0 src0=0 src1=1 src2=0
	v_dot4_i32_iu8 v9, v246, v32 /*v288*/, v9 neg_lo:[1,1,0]
	s_set_vgpr_msb 0                        ;  msbs: dst=0 src0=0 src1=0 src2=0
	s_delay_alu instid0(VALU_DEP_2)
	v_dot4_i32_iu8 v12, v13, v12, 0 neg_lo:[1,1,0]
	v_perm_b32 v13, v142, v25, 0x7060403
	s_set_vgpr_msb 64                       ;  msbs: dst=1 src0=0 src1=0 src2=0
	v_dot4_i32_iu8 v13 /*v269*/, v31, v230, v9 neg_lo:[1,1,0]
	s_set_vgpr_msb 16                       ;  msbs: dst=0 src0=0 src1=0 src2=1
	v_dot4_i32_iu8 v9, v145, v11, v24 /*v280*/ neg_lo:[1,1,0]
	s_set_vgpr_msb 0                        ;  msbs: dst=0 src0=0 src1=0 src2=0
	v_dot4_i32_iu8 v12, v233, v18, v12 neg_lo:[1,1,0]
	s_delay_alu instid0(VALU_DEP_2) | instskip(NEXT) | instid1(VALU_DEP_2)
	v_mul_lo_u32 v9, v9, v228
	v_dot4_i32_iu8 v12, v15, v13, v12 neg_lo:[1,1,0]
	v_perm_b32 v13, v20, v144, 0x6050401
	v_perm_b32 v15, v148, v22, 0x6050401
	s_delay_alu instid0(VALU_DEP_1) | instskip(SKIP_2) | instid1(VALU_DEP_2)
	v_dot4_i32_iu8 v13, v15, v13, 0 neg_lo:[1,1,0]
	v_perm_b32 v15, v144, v21, 0x7060403
	s_set_vgpr_msb 5                        ;  msbs: dst=0 src0=1 src1=1 src2=0
	v_dot4_i32_iu8 v13, v3 /*v259*/, v33 /*v289*/, v13 neg_lo:[1,1,0]
	s_set_vgpr_msb 0                        ;  msbs: dst=0 src0=0 src1=0 src2=0
	s_delay_alu instid0(VALU_DEP_1)
	v_dot4_i32_iu8 v13, v19, v15, v13 neg_lo:[1,1,0]
	s_set_vgpr_msb 4                        ;  msbs: dst=0 src0=0 src1=1 src2=0
	v_dot4_i32_iu8 v15, v231, v12 /*v268*/, v8 neg_lo:[1,1,0]
	s_set_vgpr_msb 0                        ;  msbs: dst=0 src0=0 src1=0 src2=0
	v_dot4_i32_iu8 v8, v143, v27, v12 neg_lo:[1,1,0]
	s_set_vgpr_msb 20                       ;  msbs: dst=0 src0=0 src1=1 src2=1
	v_dot4_i32_iu8 v19, v230, v34 /*v290*/, v22 /*v278*/ neg_lo:[1,1,0]
	s_set_vgpr_msb 16                       ;  msbs: dst=0 src0=0 src1=0 src2=1
	v_dot4_i32_iu8 v12, v7, v143, v23 /*v279*/ neg_lo:[1,1,0]
	s_set_vgpr_msb 0                        ;  msbs: dst=0 src0=0 src1=0 src2=0
	v_dot4_i32_iu8 v13, v23, v145, v13 neg_lo:[1,1,0]
	v_mul_lo_u32 v8, v8, v229
	s_delay_alu instid0(VALU_DEP_3) | instskip(SKIP_1) | instid1(VALU_DEP_3)
	v_mad_u32 v9, v12, v229, v9
	v_mul_lo_u32 v12, v19, v227
	v_mad_u32 v8, v13, v228, v8
	v_mul_lo_u32 v13, v15, v179
	s_delay_alu instid0(VALU_DEP_4) | instskip(SKIP_1) | instid1(VALU_DEP_4)
	v_cvt_f32_i32_e32 v9, v9
	s_set_vgpr_msb 1                        ;  msbs: dst=0 src0=1 src1=0 src2=0
	v_mad_u32 v12, v11 /*v267*/, v179, v12
	s_set_vgpr_msb 0                        ;  msbs: dst=0 src0=0 src1=0 src2=0
	s_delay_alu instid0(VALU_DEP_4) | instskip(SKIP_1) | instid1(VALU_DEP_4)
	v_cvt_f32_i32_e32 v8, v8
	s_set_vgpr_msb 1                        ;  msbs: dst=0 src0=1 src1=0 src2=0
	v_mad_u32 v15, v13 /*v269*/, v227, v13
	s_set_vgpr_msb 0                        ;  msbs: dst=0 src0=0 src1=0 src2=0
	s_delay_alu instid0(VALU_DEP_3) | instskip(SKIP_1) | instid1(VALU_DEP_3)
	v_cvt_f32_i32_e32 v13, v12
	v_pk_fma_f32 v[8:9], v[16:17], v[8:9], 0 op_sel_hi:[1,1,0]
	v_cvt_f32_i32_e32 v12, v15
	v_perm_b32 v15, v26, v153, 0x7060403
	s_delay_alu instid0(VALU_DEP_2)
	v_pk_fma_f32 v[8:9], v[4:5], v[12:13], v[8:9]
	s_set_vgpr_msb 1                        ;  msbs: dst=0 src0=1 src1=0 src2=0
	v_perm_b32 v12, v9 /*v265*/, v165, 0x6040503
	s_set_vgpr_msb 0                        ;  msbs: dst=0 src0=0 src1=0 src2=0
	v_perm_b32 v13, v29, v156, 0x6040503
	v_pk_fma_f32 v[46:47], v[120:121], v[8:9], v[46:47]
	s_set_vgpr_msb 1                        ;  msbs: dst=0 src0=1 src1=0 src2=0
	v_perm_b32 v8, v8 /*v264*/, v163, 0x6040501
	s_set_vgpr_msb 4                        ;  msbs: dst=0 src0=0 src1=1 src2=0
	v_perm_b32 v9, v165, v10 /*v266*/, 0x6040501
	s_set_vgpr_msb 0                        ;  msbs: dst=0 src0=0 src1=0 src2=0
	s_delay_alu instid0(VALU_DEP_1) | instskip(SKIP_3) | instid1(VALU_DEP_1)
	v_dot4_i32_iu8 v8, v9, v8, 0 neg_lo:[1,1,0]
	s_set_vgpr_msb 4                        ;  msbs: dst=0 src0=0 src1=1 src2=0
	v_perm_b32 v9, v162, v8 /*v264*/, 0x6040503
	s_set_vgpr_msb 0                        ;  msbs: dst=0 src0=0 src1=0 src2=0
	v_dot4_i32_iu8 v8, v12, v9, v8 neg_lo:[1,1,0]
	v_perm_b32 v9, v28, v169, 0x6040501
	v_perm_b32 v12, v156, v30, 0x6040501
	s_set_vgpr_msb 4                        ;  msbs: dst=0 src0=0 src1=1 src2=0
	s_delay_alu instid0(VALU_DEP_3) | instskip(SKIP_1) | instid1(VALU_DEP_2)
	v_dot4_i32_iu8 v8, v178, v31 /*v287*/, v8 neg_lo:[1,1,0]
	s_set_vgpr_msb 0                        ;  msbs: dst=0 src0=0 src1=0 src2=0
	v_dot4_i32_iu8 v9, v12, v9, 0 neg_lo:[1,1,0]
	v_perm_b32 v12, v168, v28, 0x6040503
	s_set_vgpr_msb 4                        ;  msbs: dst=0 src0=0 src1=1 src2=0
	v_dot4_i32_iu8 v8, v157, v12 /*v268*/, v8 neg_lo:[1,1,0]
	s_set_vgpr_msb 0                        ;  msbs: dst=0 src0=0 src1=0 src2=0
	s_delay_alu instid0(VALU_DEP_2)
	v_dot4_i32_iu8 v9, v13, v12, v9 neg_lo:[1,1,0]
	v_perm_b32 v12, v24, v132, 0x6050401
	v_perm_b32 v13, v152, v26, 0x6050401
	v_mul_lo_u32 v8, v8, v32
	s_set_vgpr_msb 4                        ;  msbs: dst=0 src0=0 src1=1 src2=0
	v_dot4_i32_iu8 v9, v232, v32 /*v288*/, v9 neg_lo:[1,1,0]
	s_set_vgpr_msb 0                        ;  msbs: dst=0 src0=0 src1=0 src2=0
	v_dot4_i32_iu8 v12, v13, v12, 0 neg_lo:[1,1,0]
	v_perm_b32 v13, v132, v25, 0x7060403
	s_delay_alu instid0(VALU_DEP_3) | instskip(NEXT) | instid1(VALU_DEP_3)
	v_dot4_i32_iu8 v9, v31, v164, v9 neg_lo:[1,1,0]
	v_dot4_i32_iu8 v12, v171, v18, v12 neg_lo:[1,1,0]
	v_perm_b32 v18, v22, v151, 0x7060403
	s_delay_alu instid0(VALU_DEP_3) | instskip(NEXT) | instid1(VALU_DEP_3)
	v_mad_u32 v8, v9, v35, v8
	v_dot4_i32_iu8 v12, v15, v13, v12 neg_lo:[1,1,0]
	v_perm_b32 v13, v20, v0, 0x6050401
	v_perm_b32 v15, v150, v22, 0x6050401
	s_delay_alu instid0(VALU_DEP_3) | instskip(NEXT) | instid1(VALU_DEP_2)
	v_dot4_i32_iu8 v12, v133, v27, v12 neg_lo:[1,1,0]
	v_dot4_i32_iu8 v13, v15, v13, 0 neg_lo:[1,1,0]
	v_perm_b32 v15, v0, v21, 0x7060403
	v_cvt_f32_i32_e32 v8, v8
	s_delay_alu instid0(VALU_DEP_4) | instskip(SKIP_3) | instid1(VALU_DEP_1)
	v_mul_lo_u32 v11, v12, v160
	s_set_vgpr_msb 5                        ;  msbs: dst=0 src0=1 src1=1 src2=0
	v_dot4_i32_iu8 v13, v0 /*v256*/, v33 /*v289*/, v13 neg_lo:[1,1,0]
	s_set_vgpr_msb 0                        ;  msbs: dst=0 src0=0 src1=0 src2=0
	v_dot4_i32_iu8 v13, v18, v15, v13 neg_lo:[1,1,0]
	s_set_vgpr_msb 17                       ;  msbs: dst=0 src0=1 src1=0 src2=1
	v_dot4_i32_iu8 v15, v35 /*v291*/, v157, v25 /*v281*/ neg_lo:[1,1,0]
	s_set_vgpr_msb 0                        ;  msbs: dst=0 src0=0 src1=0 src2=0
	s_delay_alu instid0(VALU_DEP_2) | instskip(NEXT) | instid1(VALU_DEP_2)
	v_dot4_i32_iu8 v7, v23, v1, v13 neg_lo:[1,1,0]
	v_mad_u32 v9, v15, v32, v10
	s_delay_alu instid0(VALU_DEP_2) | instskip(SKIP_1) | instid1(VALU_DEP_3)
	v_mad_u32 v11, v7, v155, v11
	v_cvt_f32_i32_e32 v7, v6
	v_cvt_f32_i32_e32 v9, v9
	s_delay_alu instid0(VALU_DEP_3) | instskip(NEXT) | instid1(VALU_DEP_1)
	v_cvt_f32_i32_e32 v6, v11
	v_pk_fma_f32 v[6:7], v[16:17], v[6:7], 0 op_sel_hi:[1,1,0]
	s_delay_alu instid0(VALU_DEP_1) | instskip(NEXT) | instid1(VALU_DEP_1)
	v_pk_fma_f32 v[4:5], v[4:5], v[8:9], v[6:7]
	v_pk_fma_f32 v[44:45], v[122:123], v[4:5], v[44:45]
	v_or_b32_e32 v4, s12, v199
	s_delay_alu instid0(VALU_DEP_1)
	v_lshlrev_b32_e32 v5, 2, v4
	ds_load_b128 v[10:13], v5 offset:33280
	ds_load_b128 v[6:9], v5 offset:33296
	;; [unrolled: 1-line block ×4, first 2 shown]
	s_set_vgpr_msb 64                       ;  msbs: dst=1 src0=0 src1=0 src2=0
	v_lshrrev_b32_e32 v16 /*v272*/, 1, v4
	s_wait_dscnt 0x3
	s_set_vgpr_msb 0                        ;  msbs: dst=0 src0=0 src1=0 src2=0
	v_perm_b32 v30, v12, v139, 0x7060403
	s_wait_dscnt 0x2
	v_perm_b32 v29, v7, v140, 0x6040503
	s_wait_dscnt 0x1
	v_bfe_i32 v4, v16, 8, 8
	s_wait_dscnt 0x0
	v_perm_b32 v24, v20, v22, 0x6040501
	v_perm_b32 v25, v21, v20, 0x6040503
	v_bfe_i32 v5, v14, 8, 8
	v_perm_b32 v26, v22, v21, 0x7060403
	v_mul_i32_i24_e32 v4, v4, v175
	s_set_vgpr_msb 4                        ;  msbs: dst=0 src0=0 src1=1 src2=0
	v_dot4_i32_iu8 v24, v24, v1 /*v257*/, 0 neg_lo:[1,1,0]
	s_set_vgpr_msb 0                        ;  msbs: dst=0 src0=0 src1=0 src2=0
	v_perm_b32 v27, v170, v16, 0x6040501
	v_bfe_i32 v18, v16, 16, 8
	v_ashrrev_i32_e32 v19, 24, v16
	v_mad_i32_i24 v4, v5, v176, v4
	s_set_vgpr_msb 4                        ;  msbs: dst=0 src0=0 src1=1 src2=0
	v_dot4_i32_iu8 v24, v25, v2 /*v258*/, v24 neg_lo:[1,1,0]
	s_set_vgpr_msb 0                        ;  msbs: dst=0 src0=0 src1=0 src2=0
	v_perm_b32 v5, v15, v14, 0x5030200
	v_perm_b32 v28, v15, v170, 0x6040503
	v_mul_i32_i24_e32 v18, v253, v18
	v_mul_i32_i24_e32 v19, v252, v19
	s_set_vgpr_msb 64                       ;  msbs: dst=1 src0=0 src1=0 src2=0
	v_dot4_i32_iu8 v17 /*v273*/, v26, v255, v24 neg_lo:[1,1,0]
	s_set_vgpr_msb 0                        ;  msbs: dst=0 src0=0 src1=0 src2=0
	v_perm_b32 v24, v14, v173, 0x6040501
	v_dot4_i32_iu8 v4, v251, v5, v4 neg_lo:[1,1,0]
	v_perm_b32 v5, v16, v15, 0x4030200
	v_perm_b32 v23, v23, v23, 0x7060001
	;; [unrolled: 1-line block ×3, first 2 shown]
	v_dot4_i32_iu8 v24, v27, v24, 0 neg_lo:[1,1,0]
	v_perm_b32 v27, v172, v14, 0x6040503
	v_dot4_i32_iu8 v4, v254, v5, v4 neg_lo:[1,1,0]
	v_perm_b32 v5, v130, v8, 0x6050401
	v_perm_b32 v3, v3, v17, 0x5040001
	s_delay_alu instid0(VALU_DEP_4)
	v_dot4_i32_iu8 v24, v28, v27, v24 neg_lo:[1,1,0]
	v_perm_b32 v27, v16, v15, 0x7060403
	v_perm_b32 v28, v140, v8, 0x6050401
	s_set_vgpr_msb 64                       ;  msbs: dst=1 src0=0 src1=0 src2=0
	v_add3_u32 v14 /*v270*/, v4, v18, v19
	s_set_vgpr_msb 0                        ;  msbs: dst=0 src0=0 src1=0 src2=0
	v_perm_b32 v4, v6, v124, 0x6050401
	v_perm_b32 v18, v124, v7, 0x7060403
	s_set_vgpr_msb 0x41                     ;  msbs: dst=1 src0=1 src1=0 src2=0
	v_dot4_i32_iu8 v19 /*v275*/, v4 /*v260*/, v27, v24 neg_lo:[1,1,0]
	s_set_vgpr_msb 0                        ;  msbs: dst=0 src0=0 src1=0 src2=0
	v_perm_b32 v24, v6, v134, 0x6050401
	v_perm_b32 v19, v8, v131, 0x7060403
	v_dot4_i32_iu8 v4, v5, v4, 0 neg_lo:[1,1,0]
	v_perm_b32 v5, v7, v6, 0x6040503
	s_delay_alu instid0(VALU_DEP_4) | instskip(SKIP_1) | instid1(VALU_DEP_3)
	v_dot4_i32_iu8 v24, v28, v24, 0 neg_lo:[1,1,0]
	v_perm_b32 v28, v141, v6, 0x6040503
	v_dot4_i32_iu8 v4, v234, v5, v4 neg_lo:[1,1,0]
	s_delay_alu instid0(VALU_DEP_2) | instskip(SKIP_2) | instid1(VALU_DEP_3)
	v_dot4_i32_iu8 v24, v29, v28, v24 neg_lo:[1,1,0]
	v_perm_b32 v28, v8, v7, 0x7060403
	s_set_vgpr_msb 64                       ;  msbs: dst=1 src0=0 src1=0 src2=0
	v_dot4_i32_iu8 v13 /*v269*/, v19, v18, v4 neg_lo:[1,1,0]
	s_set_vgpr_msb 0                        ;  msbs: dst=0 src0=0 src1=0 src2=0
	v_perm_b32 v4, v10, v126, 0x6050401
	v_perm_b32 v18, v128, v12, 0x6050401
	;; [unrolled: 1-line block ×3, first 2 shown]
	s_set_vgpr_msb 64                       ;  msbs: dst=1 src0=0 src1=0 src2=0
	v_dot4_i32_iu8 v18 /*v274*/, v28, v247, v24 neg_lo:[1,1,0]
	s_set_vgpr_msb 0                        ;  msbs: dst=0 src0=0 src1=0 src2=0
	v_perm_b32 v24, v10, v136, 0x6050401
	v_perm_b32 v28, v138, v12, 0x6050401
	v_dot4_i32_iu8 v4, v18, v4, 0 neg_lo:[1,1,0]
	v_perm_b32 v18, v126, v11, 0x7060403
	v_perm_b32 v29, v136, v11, 0x7060403
	s_delay_alu instid0(VALU_DEP_4) | instskip(SKIP_1) | instid1(VALU_DEP_1)
	v_dot4_i32_iu8 v24, v28, v24, 0 neg_lo:[1,1,0]
	v_perm_b32 v28, v11, v10, 0x6040503
	v_dot4_i32_iu8 v4, v235, v28, v4 neg_lo:[1,1,0]
	s_set_vgpr_msb 1                        ;  msbs: dst=0 src0=1 src1=0 src2=0
	s_delay_alu instid0(VALU_DEP_3) | instskip(SKIP_1) | instid1(VALU_DEP_2)
	v_dot4_i32_iu8 v24, v5 /*v261*/, v28, v24 neg_lo:[1,1,0]
	s_set_vgpr_msb 64                       ;  msbs: dst=1 src0=0 src1=0 src2=0
	v_dot4_i32_iu8 v15 /*v271*/, v19, v18, v4 neg_lo:[1,1,0]
	s_set_vgpr_msb 0                        ;  msbs: dst=0 src0=0 src1=0 src2=0
	v_perm_b32 v4, v20, v159, 0x6040501
	v_perm_b32 v18, v161, v22, 0x6040501
	;; [unrolled: 1-line block ×3, first 2 shown]
	s_set_vgpr_msb 64                       ;  msbs: dst=1 src0=0 src1=0 src2=0
	v_dot4_i32_iu8 v20 /*v276*/, v30, v29, v24 neg_lo:[1,1,0]
	s_set_vgpr_msb 0                        ;  msbs: dst=0 src0=0 src1=0 src2=0
	v_perm_b32 v29, v22, v22, 0xc0c0c01
	v_perm_b32 v24, v20, v33, 0x6040503
	v_dot4_i32_iu8 v4, v18, v4, 0 neg_lo:[1,1,0]
	v_perm_b32 v18, v158, v20, 0x6040503
	s_delay_alu instid0(VALU_DEP_1)
	v_dot4_i32_iu8 v4, v19, v18, v4 neg_lo:[1,1,0]
	v_perm_b32 v18, v154, v16, 0x6040501
	v_perm_b32 v19, v15, v154, 0x6040503
	;; [unrolled: 1-line block ×4, first 2 shown]
	s_set_vgpr_msb 64                       ;  msbs: dst=1 src0=0 src1=0 src2=0
	v_dot4_i32_iu8 v8 /*v264*/, v177, v26, v4 neg_lo:[1,1,0]
	s_set_vgpr_msb 0                        ;  msbs: dst=0 src0=0 src1=0 src2=0
	v_perm_b32 v4, v14, v167, 0x6040501
	s_delay_alu instid0(VALU_DEP_1) | instskip(SKIP_1) | instid1(VALU_DEP_1)
	v_dot4_i32_iu8 v4, v18, v4, 0 neg_lo:[1,1,0]
	v_perm_b32 v18, v166, v14, 0x6040503
	v_dot4_i32_iu8 v4, v19, v18, v4 neg_lo:[1,1,0]
	v_perm_b32 v18, v146, v8, 0x6050401
	v_perm_b32 v19, v8, v147, 0x7060403
	s_set_vgpr_msb 64                       ;  msbs: dst=1 src0=0 src1=0 src2=0
	s_delay_alu instid0(VALU_DEP_3) | instskip(SKIP_2) | instid1(VALU_DEP_1)
	v_dot4_i32_iu8 v9 /*v265*/, v246, v27, v4 neg_lo:[1,1,0]
	s_set_vgpr_msb 0                        ;  msbs: dst=0 src0=0 src1=0 src2=0
	v_perm_b32 v4, v6, v142, 0x6050401
	v_dot4_i32_iu8 v4, v18, v4, 0 neg_lo:[1,1,0]
	v_perm_b32 v18, v142, v7, 0x7060403
	s_delay_alu instid0(VALU_DEP_2) | instskip(SKIP_1) | instid1(VALU_DEP_1)
	v_dot4_i32_iu8 v4, v233, v5, v4 neg_lo:[1,1,0]
	s_set_vgpr_msb 64                       ;  msbs: dst=1 src0=0 src1=0 src2=0
	v_dot4_i32_iu8 v10 /*v266*/, v19, v18, v4 neg_lo:[1,1,0]
	s_set_vgpr_msb 0                        ;  msbs: dst=0 src0=0 src1=0 src2=0
	v_perm_b32 v4, v10, v144, 0x6050401
	v_perm_b32 v18, v148, v12, 0x6050401
	;; [unrolled: 1-line block ×3, first 2 shown]
	s_delay_alu instid0(VALU_DEP_2) | instskip(SKIP_2) | instid1(VALU_DEP_2)
	v_dot4_i32_iu8 v4, v18, v4, 0 neg_lo:[1,1,0]
	v_perm_b32 v18, v144, v11, 0x7060403
	s_set_vgpr_msb 1                        ;  msbs: dst=0 src0=1 src1=0 src2=0
	v_dot4_i32_iu8 v4, v3 /*v259*/, v28, v4 neg_lo:[1,1,0]
	s_set_vgpr_msb 64                       ;  msbs: dst=1 src0=0 src1=0 src2=0
	s_delay_alu instid0(VALU_DEP_1) | instskip(SKIP_4) | instid1(VALU_DEP_2)
	v_dot4_i32_iu8 v11 /*v267*/, v19, v18, v4 neg_lo:[1,1,0]
	s_set_vgpr_msb 0                        ;  msbs: dst=0 src0=0 src1=0 src2=0
	v_perm_b32 v4, v20, v163, 0x6040501
	v_perm_b32 v18, v165, v22, 0x6040501
	;; [unrolled: 1-line block ×3, first 2 shown]
	v_dot4_i32_iu8 v4, v18, v4, 0 neg_lo:[1,1,0]
	v_perm_b32 v18, v162, v20, 0x6040503
	s_delay_alu instid0(VALU_DEP_1) | instskip(NEXT) | instid1(VALU_DEP_1)
	v_dot4_i32_iu8 v4, v19, v18, v4 neg_lo:[1,1,0]
	v_dot4_i32_iu8 v22, v178, v26, v4 neg_lo:[1,1,0]
	v_perm_b32 v4, v14, v169, 0x6040501
	v_perm_b32 v14, v168, v14, 0x6040503
	s_delay_alu instid0(VALU_DEP_2) | instskip(NEXT) | instid1(VALU_DEP_1)
	v_dot4_i32_iu8 v4, v16, v4, 0 neg_lo:[1,1,0]
	v_dot4_i32_iu8 v4, v15, v14, v4 neg_lo:[1,1,0]
	s_delay_alu instid0(VALU_DEP_1) | instskip(SKIP_2) | instid1(VALU_DEP_1)
	v_dot4_i32_iu8 v16, v232, v27, v4 neg_lo:[1,1,0]
	v_perm_b32 v4, v6, v132, 0x6050401
	v_perm_b32 v6, v152, v8, 0x6050401
	v_dot4_i32_iu8 v4, v6, v4, 0 neg_lo:[1,1,0]
	v_perm_b32 v6, v8, v153, 0x7060403
	s_delay_alu instid0(VALU_DEP_2) | instskip(SKIP_1) | instid1(VALU_DEP_1)
	v_dot4_i32_iu8 v4, v171, v5, v4 neg_lo:[1,1,0]
	v_perm_b32 v5, v132, v7, 0x7060403
	v_dot4_i32_iu8 v8, v6, v5, v4 neg_lo:[1,1,0]
	v_perm_b32 v4, v10, v0, 0x6050401
	v_perm_b32 v5, v150, v12, 0x6050401
	;; [unrolled: 1-line block ×3, first 2 shown]
	s_delay_alu instid0(VALU_DEP_4) | instskip(NEXT) | instid1(VALU_DEP_3)
	v_dot4_i32_iu8 v8, v9, v133, v8 neg_lo:[1,1,0]
	v_dot4_i32_iu8 v4, v5, v4, 0 neg_lo:[1,1,0]
	v_perm_b32 v5, v0, v11, 0x7060403
	s_set_vgpr_msb 1                        ;  msbs: dst=0 src0=1 src1=0 src2=0
	s_delay_alu instid0(VALU_DEP_2) | instskip(SKIP_1) | instid1(VALU_DEP_1)
	v_dot4_i32_iu8 v4, v0 /*v256*/, v28, v4 neg_lo:[1,1,0]
	s_set_vgpr_msb 0                        ;  msbs: dst=0 src0=0 src1=0 src2=0
	v_dot4_i32_iu8 v12, v6, v5, v4 neg_lo:[1,1,0]
	v_or_b32_e32 v4, s12, v200
	v_or_b32_e32 v29, v248, v29
	s_add_co_i32 s12, s5, 8
	s_cmp_lt_u32 s5, 24
	s_mov_b32 s5, s12
	v_lshlrev_b32_e32 v10, 2, v4
	v_dot4_i32_iu8 v24, v29, v24, 0 neg_lo:[1,1,0]
	v_lshrrev_b32_e32 v14, 1, v4
	s_delay_alu instid0(VALU_DEP_2) | instskip(SKIP_1) | instid1(VALU_DEP_1)
	v_dot4_i32_iu8 v24, v25, v249, v24 neg_lo:[1,1,0]
	s_set_vgpr_msb 64                       ;  msbs: dst=1 src0=0 src1=0 src2=0
	v_dot4_i32_iu8 v12 /*v268*/, v250, v26, v24 neg_lo:[1,1,0]
	s_set_vgpr_msb 0                        ;  msbs: dst=0 src0=0 src1=0 src2=0
	ds_load_b128 v[4:7], v10 offset:33280
	ds_load_b128 v[18:21], v10 offset:33296
	;; [unrolled: 1-line block ×4, first 2 shown]
	s_wait_dscnt 0x3
	v_perm_b32 v128, v128, v6, 0x6050401
	s_wait_dscnt 0x2
	v_perm_b32 v130, v130, v20, 0x6050401
	;; [unrolled: 2-line block ×4, first 2 shown]
	s_set_vgpr_msb 64                       ;  msbs: dst=1 src0=0 src1=0 src2=0
	v_perm_b32 v25 /*v281*/, v29, v28, 0x6040503
	s_set_vgpr_msb 0                        ;  msbs: dst=0 src0=0 src1=0 src2=0
	v_perm_b32 v170, v25, v170, 0x6040503
	v_perm_b32 v27, v27, v27, 0x7060001
	s_set_vgpr_msb 64                       ;  msbs: dst=1 src0=0 src1=0 src2=0
	v_bfe_i32 v22 /*v278*/, v26, 8, 8
	s_set_vgpr_msb 4                        ;  msbs: dst=0 src0=0 src1=1 src2=0
	v_dot4_i32_iu8 v10, v10, v1 /*v257*/, 0 neg_lo:[1,1,0]
	s_set_vgpr_msb 64                       ;  msbs: dst=1 src0=0 src1=0 src2=0
	v_perm_b32 v1 /*v257*/, v30, v29, 0x7060403
	s_set_vgpr_msb 0                        ;  msbs: dst=0 src0=0 src1=0 src2=0
	v_perm_b32 v33, v28, v33, 0x6040503
	s_set_vgpr_msb 64                       ;  msbs: dst=1 src0=0 src1=0 src2=0
	v_bfe_i32 v21 /*v277*/, v24, 8, 8
	v_bfe_i32 v23 /*v279*/, v26, 16, 8
	s_set_vgpr_msb 5                        ;  msbs: dst=0 src0=1 src1=1 src2=0
	v_dot4_i32_iu8 v10, v25 /*v281*/, v2 /*v258*/, v10 neg_lo:[1,1,0]
	s_set_vgpr_msb 64                       ;  msbs: dst=1 src0=0 src1=0 src2=0
	v_ashrrev_i32_e32 v24 /*v280*/, 24, v26
	s_set_vgpr_msb 0                        ;  msbs: dst=0 src0=0 src1=0 src2=0
	v_perm_b32 v131, v20, v131, 0x7060403
	v_perm_b32 v129, v6, v129, 0x7060403
	s_set_vgpr_msb 1                        ;  msbs: dst=0 src0=1 src1=0 src2=0
	v_dot4_i32_iu8 v15, v1 /*v257*/, v255, v10 neg_lo:[1,1,0]
	s_set_vgpr_msb 0                        ;  msbs: dst=0 src0=0 src1=0 src2=0
	v_perm_b32 v10, v24, v173, 0x6040501
	s_delay_alu instid0(VALU_DEP_1) | instskip(SKIP_1) | instid1(VALU_DEP_1)
	v_dot4_i32_iu8 v10, v11, v10, 0 neg_lo:[1,1,0]
	v_perm_b32 v11, v172, v24, 0x6040503
	v_dot4_i32_iu8 v10, v170, v11, v10 neg_lo:[1,1,0]
	v_perm_b32 v170, v26, v25, 0x7060403
	v_perm_b32 v11, v140, v20, 0x6050401
	s_set_vgpr_msb 1                        ;  msbs: dst=0 src0=1 src1=0 src2=0
	s_delay_alu instid0(VALU_DEP_2)
	v_dot4_i32_iu8 v172, v4 /*v260*/, v170, v10 neg_lo:[1,1,0]
	s_set_vgpr_msb 0                        ;  msbs: dst=0 src0=0 src1=0 src2=0
	v_perm_b32 v10, v18, v134, 0x6050401
	v_perm_b32 v134, v19, v140, 0x6040503
	;; [unrolled: 1-line block ×3, first 2 shown]
	v_dot4_i32_iu8 v172, v27, v244, v172 neg_lo:[1,1,0]
	s_delay_alu instid0(VALU_DEP_4) | instskip(SKIP_2) | instid1(VALU_DEP_2)
	v_dot4_i32_iu8 v10, v11, v10, 0 neg_lo:[1,1,0]
	v_perm_b32 v11, v141, v18, 0x6040503
	v_perm_b32 v141, v31, v31, 0x7060001
	v_dot4_i32_iu8 v10, v134, v11, v10 neg_lo:[1,1,0]
	v_perm_b32 v11, v20, v19, 0x7060403
	s_delay_alu instid0(VALU_DEP_3)
	v_dot4_i32_iu8 v173, v245, v141, v15 neg_lo:[1,1,0]
	s_set_vgpr_msb 16                       ;  msbs: dst=0 src0=0 src1=0 src2=1
	v_dot4_i32_iu8 v15, v137, v13, v20 /*v276*/ neg_lo:[1,1,0]
	v_dot4_i32_iu8 v245, v23, v245, v17 /*v273*/ neg_lo:[1,1,0]
	s_set_vgpr_msb 0                        ;  msbs: dst=0 src0=0 src1=0 src2=0
	v_dot4_i32_iu8 v134, v11, v247, v10 neg_lo:[1,1,0]
	v_perm_b32 v10, v4, v136, 0x6050401
	v_perm_b32 v11, v138, v6, 0x6050401
	v_mul_lo_u32 v15, v15, v242
	v_perm_b32 v247, v17, v17, 0x7060001
	s_set_vgpr_msb 16                       ;  msbs: dst=0 src0=0 src1=0 src2=1
	v_dot4_i32_iu8 v17, v3, v2, v14 /*v270*/ neg_lo:[1,1,0]
	v_perm_b32 v2, v31, v34, 0x7060203
	v_dot4_i32_iu8 v10, v11, v10, 0 neg_lo:[1,1,0]
	v_perm_b32 v11, v136, v5, 0x7060403
	v_perm_b32 v136, v6, v139, 0x7060403
	v_dot4_i32_iu8 v255, v244, v247, v19 /*v275*/ neg_lo:[1,1,0]
	v_perm_b32 v3, v174, v31, 0x5040001
	s_set_vgpr_msb 1                        ;  msbs: dst=0 src0=1 src1=0 src2=0
	v_dot4_i32_iu8 v10, v5 /*v261*/, v140, v10 neg_lo:[1,1,0]
	s_set_vgpr_msb 0                        ;  msbs: dst=0 src0=0 src1=0 src2=0
	v_mul_lo_u32 v17, v17, v237
	s_set_vgpr_msb 20                       ;  msbs: dst=0 src0=0 src1=1 src2=1
	v_dot4_i32_iu8 v34, v23, v7 /*v263*/, v12 /*v268*/ neg_lo:[1,1,0]
	s_set_vgpr_msb 0                        ;  msbs: dst=0 src0=0 src1=0 src2=0
	v_dot4_i32_iu8 v136, v136, v11, v10 neg_lo:[1,1,0]
	s_set_vgpr_msb 1                        ;  msbs: dst=0 src0=1 src1=0 src2=0
	ds_load_b64 v[10:11], v16 /*v272*/ offset:43584
	s_set_vgpr_msb 0                        ;  msbs: dst=0 src0=0 src1=0 src2=0
	ds_load_b64 v[138:139], v14 offset:43584
	v_dot4_i32_iu8 v14, v135, v21, v134 neg_lo:[1,1,0]
	s_set_vgpr_msb 16                       ;  msbs: dst=0 src0=0 src1=0 src2=1
	v_dot4_i32_iu8 v134, v9, v135, v18 /*v274*/ neg_lo:[1,1,0]
	s_set_vgpr_msb 0                        ;  msbs: dst=0 src0=0 src1=0 src2=0
	v_dot4_i32_iu8 v135, v7, v137, v136 neg_lo:[1,1,0]
	v_mul_lo_u32 v136, v173, v241
	v_mul_lo_u32 v14, v14, v243
	v_mad_u32 v15, v134, v243, v15
	v_mad_u32 v17, v34, v236, v17
	v_perm_b32 v34, v6, v149, 0x7060403
	v_mad_u32 v136, v172, v240, v136
	v_mad_u32 v14, v135, v242, v14
	v_cvt_f32_i32_e32 v135, v15
	s_wait_dscnt 0x1
	v_mov_b32_e32 v15, v10
	v_mul_lo_u32 v10, v255, v240
	v_cvt_f32_i32_e32 v136, v136
	v_cvt_f32_i32_e32 v134, v14
	s_wait_dscnt 0x0
	v_mov_b32_e32 v14, v138
	s_delay_alu instid0(VALU_DEP_4) | instskip(NEXT) | instid1(VALU_DEP_2)
	v_mad_u32 v10, v245, v241, v10
	v_pk_fma_f32 v[134:135], v[14:15], v[134:135], 0 op_sel_hi:[1,1,0]
	s_delay_alu instid0(VALU_DEP_2) | instskip(SKIP_1) | instid1(VALU_DEP_1)
	v_cvt_f32_i32_e32 v137, v10
	v_mov_b32_e32 v10, v139
	v_pk_fma_f32 v[134:135], v[10:11], v[136:137], v[134:135]
	v_perm_b32 v137, v25, v24, 0x5030200
	s_set_vgpr_msb 4                        ;  msbs: dst=0 src0=0 src1=1 src2=0
	v_mul_i32_i24_e32 v136, v252, v24 /*v280*/
	s_set_vgpr_msb 0                        ;  msbs: dst=0 src0=0 src1=0 src2=0
	v_pk_fma_f32 v[42:43], v[116:117], v[134:135], v[42:43]
	v_perm_b32 v134, v30, v30, 0xc0c0c01
	s_set_vgpr_msb 4                        ;  msbs: dst=0 src0=0 src1=1 src2=0
	v_mul_i32_i24_e32 v135, v253, v23 /*v279*/
	s_set_vgpr_msb 0                        ;  msbs: dst=0 src0=0 src1=0 src2=0
	s_delay_alu instid0(VALU_DEP_2) | instskip(NEXT) | instid1(VALU_DEP_1)
	v_or_b32_e32 v134, v248, v134
	v_dot4_i32_iu8 v33, v134, v33, 0 neg_lo:[1,1,0]
	s_set_vgpr_msb 1                        ;  msbs: dst=0 src0=1 src1=0 src2=0
	v_mul_i32_i24_e32 v134, v22 /*v278*/, v175
	s_delay_alu instid0(VALU_DEP_2) | instskip(NEXT) | instid1(VALU_DEP_2)
	v_dot4_i32_iu8 v33, v25 /*v281*/, v249, v33 neg_lo:[1,1,0]
	v_mad_i32_i24 v134, v21 /*v277*/, v176, v134
	s_set_vgpr_msb 4                        ;  msbs: dst=0 src0=0 src1=1 src2=0
	s_delay_alu instid0(VALU_DEP_2) | instskip(SKIP_1) | instid1(VALU_DEP_2)
	v_dot4_i32_iu8 v33, v250, v1 /*v257*/, v33 neg_lo:[1,1,0]
	s_set_vgpr_msb 0                        ;  msbs: dst=0 src0=0 src1=0 src2=0
	v_dot4_i32_iu8 v134, v251, v137, v134 neg_lo:[1,1,0]
	v_perm_b32 v137, v26, v25, 0x4030200
	s_delay_alu instid0(VALU_DEP_3)
	v_dot4_i32_iu8 v31, v3, v2, v33 neg_lo:[1,1,0]
	s_set_vgpr_msb 16                       ;  msbs: dst=0 src0=0 src1=0 src2=1
	v_dot4_i32_iu8 v3, v127, v13, v15 /*v271*/ neg_lo:[1,1,0]
	s_set_vgpr_msb 0                        ;  msbs: dst=0 src0=0 src1=0 src2=0
	v_dot4_i32_iu8 v134, v254, v137, v134 neg_lo:[1,1,0]
	v_mul_lo_u32 v31, v31, v236
	s_delay_alu instid0(VALU_DEP_3) | instskip(NEXT) | instid1(VALU_DEP_3)
	v_mul_lo_u32 v3, v3, v239
	v_add3_u32 v134, v134, v135, v136
	v_perm_b32 v135, v18, v124, 0x6050401
	v_perm_b32 v124, v124, v19, 0x7060403
	s_set_vgpr_msb 4                        ;  msbs: dst=0 src0=0 src1=1 src2=0
	s_delay_alu instid0(VALU_DEP_3) | instskip(SKIP_3) | instid1(VALU_DEP_3)
	v_dot4_i32_iu8 v33, v27, v6 /*v262*/, v134 neg_lo:[1,1,0]
	s_set_vgpr_msb 0                        ;  msbs: dst=0 src0=0 src1=0 src2=0
	v_dot4_i32_iu8 v130, v130, v135, 0 neg_lo:[1,1,0]
	v_perm_b32 v135, v19, v18, 0x6040503
	v_mad_u32 v31, v33, v237, v31
	v_perm_b32 v33, v20, v147, 0x7060403
	s_delay_alu instid0(VALU_DEP_3) | instskip(NEXT) | instid1(VALU_DEP_1)
	v_dot4_i32_iu8 v130, v234, v135, v130 neg_lo:[1,1,0]
	v_dot4_i32_iu8 v124, v131, v124, v130 neg_lo:[1,1,0]
	v_perm_b32 v130, v4, v126, 0x6050401
	v_perm_b32 v126, v126, v5, 0x7060403
	s_delay_alu instid0(VALU_DEP_3) | instskip(NEXT) | instid1(VALU_DEP_3)
	v_dot4_i32_iu8 v2, v125, v21, v124 neg_lo:[1,1,0]
	v_dot4_i32_iu8 v128, v128, v130, 0 neg_lo:[1,1,0]
	s_set_vgpr_msb 16                       ;  msbs: dst=0 src0=0 src1=0 src2=1
	v_dot4_i32_iu8 v124, v9, v125, v13 /*v269*/ neg_lo:[1,1,0]
	s_delay_alu instid0(VALU_DEP_3) | instskip(SKIP_2) | instid1(VALU_DEP_3)
	v_mul_lo_u32 v2, v2, v238
	s_set_vgpr_msb 0                        ;  msbs: dst=0 src0=0 src1=0 src2=0
	v_dot4_i32_iu8 v128, v235, v140, v128 neg_lo:[1,1,0]
	v_mad_u32 v3, v124, v238, v3
	v_cvt_f32_i32_e32 v124, v31
	v_perm_b32 v31, v25, v154, 0x6040503
	s_delay_alu instid0(VALU_DEP_4) | instskip(NEXT) | instid1(VALU_DEP_1)
	v_dot4_i32_iu8 v126, v129, v126, v128 neg_lo:[1,1,0]
	v_dot4_i32_iu8 v125, v7, v127, v126 neg_lo:[1,1,0]
	v_cvt_f32_i32_e32 v3, v3
	s_delay_alu instid0(VALU_DEP_2) | instskip(SKIP_2) | instid1(VALU_DEP_3)
	v_mad_u32 v2, v125, v239, v2
	v_cvt_f32_i32_e32 v125, v17
	v_perm_b32 v17, v29, v161, 0x6040503
	v_cvt_f32_i32_e32 v2, v2
	s_delay_alu instid0(VALU_DEP_1) | instskip(NEXT) | instid1(VALU_DEP_1)
	v_pk_fma_f32 v[2:3], v[14:15], v[2:3], 0 op_sel_hi:[1,1,0]
	v_pk_fma_f32 v[2:3], v[10:11], v[124:125], v[2:3]
	s_set_vgpr_msb 16                       ;  msbs: dst=0 src0=0 src1=0 src2=1
	v_dot4_i32_iu8 v124, v23, v231, v8 /*v264*/ neg_lo:[1,1,0]
	s_set_vgpr_msb 0                        ;  msbs: dst=0 src0=0 src1=0 src2=0
	s_delay_alu instid0(VALU_DEP_2) | instskip(SKIP_2) | instid1(VALU_DEP_1)
	v_pk_fma_f32 v[40:41], v[118:119], v[2:3], v[40:41]
	v_perm_b32 v2, v28, v159, 0x6040501
	v_perm_b32 v3, v161, v30, 0x6040501
	v_dot4_i32_iu8 v2, v3, v2, 0 neg_lo:[1,1,0]
	v_perm_b32 v3, v158, v28, 0x6040503
	s_delay_alu instid0(VALU_DEP_1) | instskip(SKIP_3) | instid1(VALU_DEP_3)
	v_dot4_i32_iu8 v2, v17, v3, v2 neg_lo:[1,1,0]
	v_perm_b32 v3, v24, v167, 0x6040501
	v_perm_b32 v17, v154, v26, 0x6040501
	s_set_vgpr_msb 4                        ;  msbs: dst=0 src0=0 src1=1 src2=0
	v_dot4_i32_iu8 v2, v177, v1 /*v257*/, v2 neg_lo:[1,1,0]
	s_set_vgpr_msb 0                        ;  msbs: dst=0 src0=0 src1=0 src2=0
	s_delay_alu instid0(VALU_DEP_2) | instskip(SKIP_1) | instid1(VALU_DEP_1)
	v_dot4_i32_iu8 v3, v17, v3, 0 neg_lo:[1,1,0]
	v_perm_b32 v17, v166, v24, 0x6040503
	v_dot4_i32_iu8 v3, v31, v17, v3 neg_lo:[1,1,0]
	v_perm_b32 v17, v18, v142, 0x6050401
	v_perm_b32 v31, v146, v20, 0x6050401
	s_delay_alu instid0(VALU_DEP_3) | instskip(NEXT) | instid1(VALU_DEP_2)
	v_dot4_i32_iu8 v3, v246, v170, v3 neg_lo:[1,1,0]
	v_dot4_i32_iu8 v17, v31, v17, 0 neg_lo:[1,1,0]
	v_perm_b32 v31, v142, v19, 0x7060403
	s_delay_alu instid0(VALU_DEP_3) | instskip(SKIP_4) | instid1(VALU_DEP_2)
	v_dot4_i32_iu8 v125, v27, v230, v3 neg_lo:[1,1,0]
	s_set_vgpr_msb 16                       ;  msbs: dst=0 src0=0 src1=0 src2=1
	v_dot4_i32_iu8 v3, v145, v13, v11 /*v267*/ neg_lo:[1,1,0]
	s_set_vgpr_msb 0                        ;  msbs: dst=0 src0=0 src1=0 src2=0
	v_dot4_i32_iu8 v17, v233, v135, v17 neg_lo:[1,1,0]
	v_mul_lo_u32 v3, v3, v228
	s_delay_alu instid0(VALU_DEP_2) | instskip(SKIP_4) | instid1(VALU_DEP_3)
	v_dot4_i32_iu8 v17, v33, v31, v17 neg_lo:[1,1,0]
	v_perm_b32 v31, v4, v144, 0x6050401
	v_perm_b32 v33, v148, v6, 0x6050401
	;; [unrolled: 1-line block ×4, first 2 shown]
	v_dot4_i32_iu8 v31, v33, v31, 0 neg_lo:[1,1,0]
	v_perm_b32 v33, v144, v5, 0x7060403
	v_perm_b32 v5, v6, v151, 0x7060403
	s_set_vgpr_msb 1                        ;  msbs: dst=0 src0=1 src1=0 src2=0
	s_delay_alu instid0(VALU_DEP_3) | instskip(SKIP_1) | instid1(VALU_DEP_1)
	v_dot4_i32_iu8 v31, v3 /*v259*/, v140, v31 neg_lo:[1,1,0]
	s_set_vgpr_msb 0                        ;  msbs: dst=0 src0=0 src1=0 src2=0
	v_dot4_i32_iu8 v31, v34, v33, v31 neg_lo:[1,1,0]
	v_dot4_i32_iu8 v33, v231, v141, v2 neg_lo:[1,1,0]
	;; [unrolled: 1-line block ×3, first 2 shown]
	s_set_vgpr_msb 16                       ;  msbs: dst=0 src0=0 src1=0 src2=1
	v_dot4_i32_iu8 v34, v230, v247, v9 /*v265*/ neg_lo:[1,1,0]
	v_dot4_i32_iu8 v17, v9, v143, v10 /*v266*/ neg_lo:[1,1,0]
	s_set_vgpr_msb 0                        ;  msbs: dst=0 src0=0 src1=0 src2=0
	v_dot4_i32_iu8 v31, v7, v145, v31 neg_lo:[1,1,0]
	v_mul_lo_u32 v2, v2, v229
	s_delay_alu instid0(VALU_DEP_3) | instskip(SKIP_1) | instid1(VALU_DEP_3)
	v_mad_u32 v3, v17, v229, v3
	v_mul_lo_u32 v17, v34, v227
	v_mad_u32 v2, v31, v228, v2
	v_mul_lo_u32 v31, v33, v179
	s_delay_alu instid0(VALU_DEP_4) | instskip(NEXT) | instid1(VALU_DEP_4)
	v_cvt_f32_i32_e32 v3, v3
	v_mad_u32 v17, v124, v179, v17
	s_delay_alu instid0(VALU_DEP_4) | instskip(NEXT) | instid1(VALU_DEP_4)
	v_cvt_f32_i32_e32 v2, v2
	v_mad_u32 v31, v125, v227, v31
	s_delay_alu instid0(VALU_DEP_3) | instskip(SKIP_1) | instid1(VALU_DEP_4)
	v_cvt_f32_i32_e32 v125, v17
	v_perm_b32 v17, v29, v165, 0x6040503
	v_pk_fma_f32 v[2:3], v[14:15], v[2:3], 0 op_sel_hi:[1,1,0]
	s_delay_alu instid0(VALU_DEP_4) | instskip(NEXT) | instid1(VALU_DEP_1)
	v_cvt_f32_i32_e32 v124, v31
	v_pk_fma_f32 v[2:3], v[10:11], v[124:125], v[2:3]
	s_delay_alu instid0(VALU_DEP_1) | instskip(SKIP_2) | instid1(VALU_DEP_1)
	v_pk_fma_f32 v[38:39], v[120:121], v[2:3], v[38:39]
	v_perm_b32 v2, v28, v163, 0x6040501
	v_perm_b32 v3, v165, v30, 0x6040501
	v_dot4_i32_iu8 v2, v3, v2, 0 neg_lo:[1,1,0]
	v_perm_b32 v3, v162, v28, 0x6040503
	s_delay_alu instid0(VALU_DEP_1) | instskip(SKIP_3) | instid1(VALU_DEP_3)
	v_dot4_i32_iu8 v2, v17, v3, v2 neg_lo:[1,1,0]
	v_perm_b32 v3, v24, v169, 0x6040501
	v_perm_b32 v17, v156, v26, 0x6040501
	s_set_vgpr_msb 4                        ;  msbs: dst=0 src0=0 src1=1 src2=0
	v_dot4_i32_iu8 v2, v178, v1 /*v257*/, v2 neg_lo:[1,1,0]
	s_set_vgpr_msb 0                        ;  msbs: dst=0 src0=0 src1=0 src2=0
	s_delay_alu instid0(VALU_DEP_2) | instskip(SKIP_2) | instid1(VALU_DEP_1)
	v_dot4_i32_iu8 v3, v17, v3, 0 neg_lo:[1,1,0]
	v_perm_b32 v17, v168, v24, 0x6040503
	v_perm_b32 v24, v25, v156, 0x6040503
	v_dot4_i32_iu8 v3, v24, v17, v3 neg_lo:[1,1,0]
	v_perm_b32 v17, v18, v132, 0x6050401
	v_perm_b32 v18, v152, v20, 0x6050401
	s_delay_alu instid0(VALU_DEP_3) | instskip(NEXT) | instid1(VALU_DEP_2)
	v_dot4_i32_iu8 v3, v232, v170, v3 neg_lo:[1,1,0]
	v_dot4_i32_iu8 v17, v18, v17, 0 neg_lo:[1,1,0]
	v_perm_b32 v18, v132, v19, 0x7060403
	v_perm_b32 v19, v20, v153, 0x7060403
	s_delay_alu instid0(VALU_DEP_4) | instskip(NEXT) | instid1(VALU_DEP_4)
	v_dot4_i32_iu8 v3, v27, v164, v3 neg_lo:[1,1,0]
	v_dot4_i32_iu8 v17, v171, v135, v17 neg_lo:[1,1,0]
	s_delay_alu instid0(VALU_DEP_1) | instskip(SKIP_2) | instid1(VALU_DEP_2)
	v_dot4_i32_iu8 v17, v19, v18, v17 neg_lo:[1,1,0]
	v_perm_b32 v18, v150, v6, 0x6050401
	v_dot4_i32_iu8 v6, v1, v13, v12 neg_lo:[1,1,0]
	v_dot4_i32_iu8 v4, v18, v4, 0 neg_lo:[1,1,0]
	s_delay_alu instid0(VALU_DEP_2) | instskip(SKIP_1) | instid1(VALU_DEP_2)
	v_mul_lo_u32 v6, v6, v155
	s_set_vgpr_msb 1                        ;  msbs: dst=0 src0=1 src1=0 src2=0
	v_dot4_i32_iu8 v4, v0 /*v256*/, v140, v4 neg_lo:[1,1,0]
	s_set_vgpr_msb 0                        ;  msbs: dst=0 src0=0 src1=0 src2=0
	s_delay_alu instid0(VALU_DEP_1)
	v_dot4_i32_iu8 v0, v5, v0, v4 neg_lo:[1,1,0]
	v_dot4_i32_iu8 v5, v164, v247, v16 neg_lo:[1,1,0]
	;; [unrolled: 1-line block ×6, first 2 shown]
	v_mul_lo_u32 v5, v5, v35
	v_mul_lo_u32 v12, v16, v160
	;; [unrolled: 1-line block ×3, first 2 shown]
	v_mad_u32 v1, v8, v160, v6
	s_delay_alu instid0(VALU_DEP_4) | instskip(NEXT) | instid1(VALU_DEP_4)
	v_mad_u32 v2, v2, v32, v5
	v_mad_u32 v0, v0, v155, v12
	s_delay_alu instid0(VALU_DEP_4) | instskip(NEXT) | instid1(VALU_DEP_4)
	v_mad_u32 v4, v3, v35, v4
	v_cvt_f32_i32_e32 v1, v1
	s_delay_alu instid0(VALU_DEP_4) | instskip(NEXT) | instid1(VALU_DEP_4)
	v_cvt_f32_i32_e32 v3, v2
	v_cvt_f32_i32_e32 v0, v0
	s_delay_alu instid0(VALU_DEP_4) | instskip(NEXT) | instid1(VALU_DEP_2)
	v_cvt_f32_i32_e32 v2, v4
	v_pk_fma_f32 v[0:1], v[14:15], v[0:1], 0 op_sel_hi:[1,1,0]
	s_delay_alu instid0(VALU_DEP_1) | instskip(NEXT) | instid1(VALU_DEP_1)
	v_pk_fma_f32 v[0:1], v[10:11], v[2:3], v[0:1]
	v_pk_fma_f32 v[36:37], v[122:123], v[0:1], v[36:37]
	s_cbranch_scc1 .LBB135_8
; %bb.9:                                ;   in Loop: Header=BB135_5 Depth=1
	s_add_co_i32 s10, s10, 1
	s_delay_alu instid0(SALU_CYCLE_1)
	s_cmp_eq_u32 s10, s15
	s_barrier_signal -1
	s_barrier_wait -1
	s_cbranch_scc0 .LBB135_5
; %bb.10:
	v_dual_mov_b32 v1, v63 :: v_dual_mov_b32 v2, v77
.LBB135_11:
	s_wait_xcnt 0x0
	s_mov_b32 s0, exec_lo
	v_cmpx_gt_u32_e64 s4, v79
	s_cbranch_execz .LBB135_62
; %bb.12:
	v_mul_lo_u32 v5, v79, s6
	v_add_nc_u32_e32 v0, s14, v2
	s_delay_alu instid0(VALU_DEP_1)
	v_cmp_gt_u32_e32 vcc_lo, s6, v0
	s_and_saveexec_b32 s0, vcc_lo
	s_cbranch_execz .LBB135_14
; %bb.13:
	s_delay_alu instid0(VALU_DEP_3)
	v_add_nc_u32_e32 v2, v0, v5
	s_wait_kmcnt 0x0
	global_store_b32 v2, v75, s[8:9] scale_offset
.LBB135_14:
	s_wait_xcnt 0x0
	s_or_b32 exec_lo, exec_lo, s0
	v_add_nc_u32_e32 v2, 32, v0
	s_delay_alu instid0(VALU_DEP_1)
	v_cmp_gt_u32_e64 s0, s6, v2
	s_and_saveexec_b32 s1, s0
	s_cbranch_execz .LBB135_16
; %bb.15:
	v_add_nc_u32_e32 v3, v2, v5
	s_wait_kmcnt 0x0
	global_store_b32 v3, v73, s[8:9] scale_offset
.LBB135_16:
	s_wait_xcnt 0x0
	s_or_b32 exec_lo, exec_lo, s1
	v_add_nc_u32_e32 v3, 64, v0
	s_delay_alu instid0(VALU_DEP_1)
	v_cmp_gt_u32_e64 s1, s6, v3
	s_and_saveexec_b32 s2, s1
	s_cbranch_execz .LBB135_18
; %bb.17:
	v_add_nc_u32_e32 v4, v3, v5
	s_wait_kmcnt 0x0
	global_store_b32 v4, v71, s[8:9] scale_offset
.LBB135_18:
	;; [unrolled: 12-line block ×3, first 2 shown]
	s_wait_xcnt 0x0
	s_or_b32 exec_lo, exec_lo, s3
	v_add3_u32 v5, v1, s7, 8
	s_delay_alu instid0(VALU_DEP_1)
	v_cmp_gt_u32_e64 s3, s4, v5
	s_and_b32 exec_lo, exec_lo, s3
	s_cbranch_execz .LBB135_62
; %bb.21:
	v_mul_lo_u32 v5, v5, s6
	s_and_saveexec_b32 s3, vcc_lo
	s_cbranch_execnz .LBB135_63
; %bb.22:
	s_or_b32 exec_lo, exec_lo, s3
	s_and_saveexec_b32 s3, s0
	s_cbranch_execnz .LBB135_64
.LBB135_23:
	s_or_b32 exec_lo, exec_lo, s3
	s_and_saveexec_b32 s3, s1
	s_cbranch_execnz .LBB135_65
.LBB135_24:
	s_or_b32 exec_lo, exec_lo, s3
	s_and_saveexec_b32 s3, s2
	s_cbranch_execz .LBB135_26
.LBB135_25:
	v_add_nc_u32_e32 v5, v5, v4
	s_wait_kmcnt 0x0
	global_store_b32 v5, v66, s[8:9] scale_offset
.LBB135_26:
	s_wait_xcnt 0x0
	s_or_b32 exec_lo, exec_lo, s3
	v_add3_u32 v5, v1, s7, 16
	s_delay_alu instid0(VALU_DEP_1)
	v_cmp_gt_u32_e64 s3, s4, v5
	s_and_b32 exec_lo, exec_lo, s3
	s_cbranch_execz .LBB135_62
; %bb.27:
	v_mul_lo_u32 v5, v5, s6
	s_and_saveexec_b32 s3, vcc_lo
	s_cbranch_execnz .LBB135_66
; %bb.28:
	s_or_b32 exec_lo, exec_lo, s3
	s_and_saveexec_b32 s3, s0
	s_cbranch_execnz .LBB135_67
.LBB135_29:
	s_or_b32 exec_lo, exec_lo, s3
	s_and_saveexec_b32 s3, s1
	s_cbranch_execnz .LBB135_68
.LBB135_30:
	s_or_b32 exec_lo, exec_lo, s3
	s_and_saveexec_b32 s3, s2
	s_cbranch_execz .LBB135_32
.LBB135_31:
	v_add_nc_u32_e32 v5, v5, v4
	s_wait_kmcnt 0x0
	global_store_b32 v5, v53, s[8:9] scale_offset
.LBB135_32:
	s_wait_xcnt 0x0
	s_or_b32 exec_lo, exec_lo, s3
	v_add3_u32 v5, v1, s7, 24
	s_delay_alu instid0(VALU_DEP_1)
	v_cmp_gt_u32_e64 s3, s4, v5
	s_and_b32 exec_lo, exec_lo, s3
	s_cbranch_execz .LBB135_62
; %bb.33:
	v_mul_lo_u32 v5, v5, s6
	s_and_saveexec_b32 s3, vcc_lo
	s_cbranch_execnz .LBB135_69
; %bb.34:
	s_or_b32 exec_lo, exec_lo, s3
	s_and_saveexec_b32 s3, s0
	s_cbranch_execnz .LBB135_70
.LBB135_35:
	s_or_b32 exec_lo, exec_lo, s3
	s_and_saveexec_b32 s3, s1
	s_cbranch_execnz .LBB135_71
.LBB135_36:
	s_or_b32 exec_lo, exec_lo, s3
	s_and_saveexec_b32 s3, s2
	s_cbranch_execz .LBB135_38
.LBB135_37:
	v_add_nc_u32_e32 v5, v5, v4
	s_wait_kmcnt 0x0
	global_store_b32 v5, v52, s[8:9] scale_offset
.LBB135_38:
	s_wait_xcnt 0x0
	s_or_b32 exec_lo, exec_lo, s3
	v_add3_u32 v5, v1, s7, 32
	s_delay_alu instid0(VALU_DEP_1)
	v_cmp_gt_u32_e64 s3, s4, v5
	s_and_b32 exec_lo, exec_lo, s3
	s_cbranch_execz .LBB135_62
; %bb.39:
	v_mul_lo_u32 v5, v5, s6
	s_and_saveexec_b32 s3, vcc_lo
	s_cbranch_execnz .LBB135_72
; %bb.40:
	s_or_b32 exec_lo, exec_lo, s3
	s_and_saveexec_b32 s3, s0
	s_cbranch_execnz .LBB135_73
.LBB135_41:
	s_or_b32 exec_lo, exec_lo, s3
	s_and_saveexec_b32 s3, s1
	s_cbranch_execnz .LBB135_74
.LBB135_42:
	s_or_b32 exec_lo, exec_lo, s3
	s_and_saveexec_b32 s3, s2
	s_cbranch_execz .LBB135_44
.LBB135_43:
	v_add_nc_u32_e32 v5, v5, v4
	s_wait_kmcnt 0x0
	global_store_b32 v5, v45, s[8:9] scale_offset
.LBB135_44:
	s_wait_xcnt 0x0
	s_or_b32 exec_lo, exec_lo, s3
	v_add3_u32 v5, v1, s7, 40
	s_delay_alu instid0(VALU_DEP_1)
	v_cmp_gt_u32_e64 s3, s4, v5
	s_and_b32 exec_lo, exec_lo, s3
	s_cbranch_execz .LBB135_62
; %bb.45:
	v_mul_lo_u32 v5, v5, s6
	s_and_saveexec_b32 s3, vcc_lo
	s_cbranch_execnz .LBB135_75
; %bb.46:
	s_or_b32 exec_lo, exec_lo, s3
	s_and_saveexec_b32 s3, s0
	s_cbranch_execnz .LBB135_76
.LBB135_47:
	s_or_b32 exec_lo, exec_lo, s3
	s_and_saveexec_b32 s3, s1
	s_cbranch_execnz .LBB135_77
.LBB135_48:
	s_or_b32 exec_lo, exec_lo, s3
	s_and_saveexec_b32 s3, s2
	s_cbranch_execz .LBB135_50
.LBB135_49:
	v_add_nc_u32_e32 v5, v5, v4
	s_wait_kmcnt 0x0
	global_store_b32 v5, v44, s[8:9] scale_offset
.LBB135_50:
	s_wait_xcnt 0x0
	s_or_b32 exec_lo, exec_lo, s3
	v_add3_u32 v5, v1, s7, 48
	s_delay_alu instid0(VALU_DEP_1)
	v_cmp_gt_u32_e64 s3, s4, v5
	s_and_b32 exec_lo, exec_lo, s3
	s_cbranch_execz .LBB135_62
; %bb.51:
	v_mul_lo_u32 v5, v5, s6
	s_and_saveexec_b32 s3, vcc_lo
	s_cbranch_execnz .LBB135_78
; %bb.52:
	s_or_b32 exec_lo, exec_lo, s3
	s_and_saveexec_b32 s3, s0
	s_cbranch_execnz .LBB135_79
.LBB135_53:
	s_or_b32 exec_lo, exec_lo, s3
	s_and_saveexec_b32 s3, s1
	s_cbranch_execnz .LBB135_80
.LBB135_54:
	s_or_b32 exec_lo, exec_lo, s3
	s_and_saveexec_b32 s3, s2
	s_cbranch_execz .LBB135_56
.LBB135_55:
	v_add_nc_u32_e32 v5, v5, v4
	s_wait_kmcnt 0x0
	global_store_b32 v5, v37, s[8:9] scale_offset
.LBB135_56:
	s_wait_xcnt 0x0
	s_or_b32 exec_lo, exec_lo, s3
	v_add3_u32 v1, v1, s7, 56
	s_delay_alu instid0(VALU_DEP_1)
	v_cmp_gt_u32_e64 s3, s4, v1
	s_and_b32 exec_lo, exec_lo, s3
	s_cbranch_execz .LBB135_62
; %bb.57:
	v_mul_lo_u32 v1, v1, s6
	s_and_saveexec_b32 s3, vcc_lo
	s_cbranch_execnz .LBB135_81
; %bb.58:
	s_or_b32 exec_lo, exec_lo, s3
	s_and_saveexec_b32 s3, s0
	s_cbranch_execnz .LBB135_82
.LBB135_59:
	s_or_b32 exec_lo, exec_lo, s3
	s_and_saveexec_b32 s0, s1
	s_cbranch_execnz .LBB135_83
.LBB135_60:
	s_or_b32 exec_lo, exec_lo, s0
	s_delay_alu instid0(SALU_CYCLE_1)
	s_and_b32 exec_lo, exec_lo, s2
	s_cbranch_execz .LBB135_62
.LBB135_61:
	v_add_nc_u32_e32 v0, v1, v4
	s_wait_kmcnt 0x0
	global_store_b32 v0, v36, s[8:9] scale_offset
.LBB135_62:
	s_sendmsg sendmsg(MSG_DEALLOC_VGPRS)
	s_endpgm
.LBB135_63:
	s_delay_alu instid0(VALU_DEP_1)
	v_add_nc_u32_e32 v6, v5, v0
	s_wait_kmcnt 0x0
	global_store_b32 v6, v74, s[8:9] scale_offset
	s_wait_xcnt 0x0
	s_or_b32 exec_lo, exec_lo, s3
	s_and_saveexec_b32 s3, s0
	s_cbranch_execz .LBB135_23
.LBB135_64:
	s_delay_alu instid0(VALU_DEP_1)
	v_add_nc_u32_e32 v6, v5, v2
	s_wait_kmcnt 0x0
	global_store_b32 v6, v72, s[8:9] scale_offset
	s_wait_xcnt 0x0
	s_or_b32 exec_lo, exec_lo, s3
	s_and_saveexec_b32 s3, s1
	s_cbranch_execz .LBB135_24
.LBB135_65:
	s_delay_alu instid0(VALU_DEP_1)
	v_add_nc_u32_e32 v6, v5, v3
	s_wait_kmcnt 0x0
	global_store_b32 v6, v70, s[8:9] scale_offset
	s_wait_xcnt 0x0
	s_or_b32 exec_lo, exec_lo, s3
	s_and_saveexec_b32 s3, s2
	s_cbranch_execnz .LBB135_25
	s_branch .LBB135_26
.LBB135_66:
	s_delay_alu instid0(VALU_DEP_1)
	v_add_nc_u32_e32 v6, v5, v0
	s_wait_kmcnt 0x0
	global_store_b32 v6, v59, s[8:9] scale_offset
	s_wait_xcnt 0x0
	s_or_b32 exec_lo, exec_lo, s3
	s_and_saveexec_b32 s3, s0
	s_cbranch_execz .LBB135_29
.LBB135_67:
	s_delay_alu instid0(VALU_DEP_1)
	v_add_nc_u32_e32 v6, v5, v2
	s_wait_kmcnt 0x0
	global_store_b32 v6, v57, s[8:9] scale_offset
	s_wait_xcnt 0x0
	s_or_b32 exec_lo, exec_lo, s3
	s_and_saveexec_b32 s3, s1
	s_cbranch_execz .LBB135_30
.LBB135_68:
	s_delay_alu instid0(VALU_DEP_1)
	v_add_nc_u32_e32 v6, v5, v3
	s_wait_kmcnt 0x0
	global_store_b32 v6, v55, s[8:9] scale_offset
	s_wait_xcnt 0x0
	s_or_b32 exec_lo, exec_lo, s3
	s_and_saveexec_b32 s3, s2
	s_cbranch_execnz .LBB135_31
	s_branch .LBB135_32
.LBB135_69:
	s_delay_alu instid0(VALU_DEP_1)
	v_add_nc_u32_e32 v6, v5, v0
	s_wait_kmcnt 0x0
	global_store_b32 v6, v58, s[8:9] scale_offset
	s_wait_xcnt 0x0
	s_or_b32 exec_lo, exec_lo, s3
	s_and_saveexec_b32 s3, s0
	s_cbranch_execz .LBB135_35
.LBB135_70:
	s_delay_alu instid0(VALU_DEP_1)
	v_add_nc_u32_e32 v6, v5, v2
	s_wait_kmcnt 0x0
	global_store_b32 v6, v56, s[8:9] scale_offset
	s_wait_xcnt 0x0
	s_or_b32 exec_lo, exec_lo, s3
	s_and_saveexec_b32 s3, s1
	s_cbranch_execz .LBB135_36
.LBB135_71:
	s_delay_alu instid0(VALU_DEP_1)
	v_add_nc_u32_e32 v6, v5, v3
	s_wait_kmcnt 0x0
	global_store_b32 v6, v54, s[8:9] scale_offset
	s_wait_xcnt 0x0
	s_or_b32 exec_lo, exec_lo, s3
	s_and_saveexec_b32 s3, s2
	s_cbranch_execnz .LBB135_37
	s_branch .LBB135_38
.LBB135_72:
	s_delay_alu instid0(VALU_DEP_1)
	v_add_nc_u32_e32 v6, v5, v0
	s_wait_kmcnt 0x0
	global_store_b32 v6, v51, s[8:9] scale_offset
	s_wait_xcnt 0x0
	s_or_b32 exec_lo, exec_lo, s3
	s_and_saveexec_b32 s3, s0
	s_cbranch_execz .LBB135_41
.LBB135_73:
	s_delay_alu instid0(VALU_DEP_1)
	v_add_nc_u32_e32 v6, v5, v2
	s_wait_kmcnt 0x0
	global_store_b32 v6, v49, s[8:9] scale_offset
	s_wait_xcnt 0x0
	s_or_b32 exec_lo, exec_lo, s3
	s_and_saveexec_b32 s3, s1
	s_cbranch_execz .LBB135_42
.LBB135_74:
	s_delay_alu instid0(VALU_DEP_1)
	v_add_nc_u32_e32 v6, v5, v3
	s_wait_kmcnt 0x0
	global_store_b32 v6, v47, s[8:9] scale_offset
	s_wait_xcnt 0x0
	s_or_b32 exec_lo, exec_lo, s3
	s_and_saveexec_b32 s3, s2
	s_cbranch_execnz .LBB135_43
	s_branch .LBB135_44
.LBB135_75:
	s_delay_alu instid0(VALU_DEP_1)
	v_add_nc_u32_e32 v6, v5, v0
	s_wait_kmcnt 0x0
	global_store_b32 v6, v50, s[8:9] scale_offset
	s_wait_xcnt 0x0
	s_or_b32 exec_lo, exec_lo, s3
	s_and_saveexec_b32 s3, s0
	s_cbranch_execz .LBB135_47
.LBB135_76:
	s_delay_alu instid0(VALU_DEP_1)
	v_add_nc_u32_e32 v6, v5, v2
	s_wait_kmcnt 0x0
	global_store_b32 v6, v48, s[8:9] scale_offset
	s_wait_xcnt 0x0
	s_or_b32 exec_lo, exec_lo, s3
	s_and_saveexec_b32 s3, s1
	s_cbranch_execz .LBB135_48
.LBB135_77:
	s_delay_alu instid0(VALU_DEP_1)
	v_add_nc_u32_e32 v6, v5, v3
	s_wait_kmcnt 0x0
	global_store_b32 v6, v46, s[8:9] scale_offset
	s_wait_xcnt 0x0
	s_or_b32 exec_lo, exec_lo, s3
	s_and_saveexec_b32 s3, s2
	s_cbranch_execnz .LBB135_49
	s_branch .LBB135_50
.LBB135_78:
	s_delay_alu instid0(VALU_DEP_1)
	v_add_nc_u32_e32 v6, v5, v0
	s_wait_kmcnt 0x0
	global_store_b32 v6, v43, s[8:9] scale_offset
	s_wait_xcnt 0x0
	s_or_b32 exec_lo, exec_lo, s3
	s_and_saveexec_b32 s3, s0
	s_cbranch_execz .LBB135_53
.LBB135_79:
	s_delay_alu instid0(VALU_DEP_1)
	v_add_nc_u32_e32 v6, v5, v2
	s_wait_kmcnt 0x0
	global_store_b32 v6, v41, s[8:9] scale_offset
	s_wait_xcnt 0x0
	s_or_b32 exec_lo, exec_lo, s3
	s_and_saveexec_b32 s3, s1
	s_cbranch_execz .LBB135_54
.LBB135_80:
	s_delay_alu instid0(VALU_DEP_1)
	v_add_nc_u32_e32 v6, v5, v3
	s_wait_kmcnt 0x0
	global_store_b32 v6, v39, s[8:9] scale_offset
	s_wait_xcnt 0x0
	s_or_b32 exec_lo, exec_lo, s3
	s_and_saveexec_b32 s3, s2
	s_cbranch_execnz .LBB135_55
	s_branch .LBB135_56
.LBB135_81:
	s_delay_alu instid0(VALU_DEP_1)
	v_add_nc_u32_e32 v0, v1, v0
	s_wait_kmcnt 0x0
	global_store_b32 v0, v42, s[8:9] scale_offset
	s_wait_xcnt 0x0
	s_or_b32 exec_lo, exec_lo, s3
	s_and_saveexec_b32 s3, s0
	s_cbranch_execz .LBB135_59
.LBB135_82:
	s_delay_alu instid0(VALU_DEP_1)
	v_add_nc_u32_e32 v0, v1, v2
	s_wait_kmcnt 0x0
	global_store_b32 v0, v40, s[8:9] scale_offset
	s_wait_xcnt 0x0
	s_or_b32 exec_lo, exec_lo, s3
	s_and_saveexec_b32 s0, s1
	s_cbranch_execz .LBB135_60
.LBB135_83:
	s_delay_alu instid0(VALU_DEP_1) | instskip(SKIP_4) | instid1(SALU_CYCLE_1)
	v_add_nc_u32_e32 v0, v1, v3
	s_wait_kmcnt 0x0
	global_store_b32 v0, v38, s[8:9] scale_offset
	s_wait_xcnt 0x0
	s_or_b32 exec_lo, exec_lo, s0
	s_and_b32 exec_lo, exec_lo, s2
	s_cbranch_execnz .LBB135_61
	s_branch .LBB135_62
	.section	.rodata,"a",@progbits
	.p2align	6, 0x0
	.amdhsa_kernel _ZL12mul_mat_q6_KIfLb0EEvPKvS1_PT_iiiii
		.amdhsa_group_segment_fixed_size 45136
		.amdhsa_private_segment_fixed_size 0
		.amdhsa_kernarg_size 44
		.amdhsa_user_sgpr_count 2
		.amdhsa_user_sgpr_dispatch_ptr 0
		.amdhsa_user_sgpr_queue_ptr 0
		.amdhsa_user_sgpr_kernarg_segment_ptr 1
		.amdhsa_user_sgpr_dispatch_id 0
		.amdhsa_user_sgpr_kernarg_preload_length 0
		.amdhsa_user_sgpr_kernarg_preload_offset 0
		.amdhsa_user_sgpr_private_segment_size 0
		.amdhsa_wavefront_size32 1
		.amdhsa_uses_dynamic_stack 0
		.amdhsa_enable_private_segment 0
		.amdhsa_system_sgpr_workgroup_id_x 1
		.amdhsa_system_sgpr_workgroup_id_y 1
		.amdhsa_system_sgpr_workgroup_id_z 0
		.amdhsa_system_sgpr_workgroup_info 0
		.amdhsa_system_vgpr_workitem_id 1
		.amdhsa_next_free_vgpr 316
		.amdhsa_next_free_sgpr 18
		.amdhsa_named_barrier_count 0
		.amdhsa_reserve_vcc 1
		.amdhsa_float_round_mode_32 0
		.amdhsa_float_round_mode_16_64 0
		.amdhsa_float_denorm_mode_32 3
		.amdhsa_float_denorm_mode_16_64 3
		.amdhsa_fp16_overflow 0
		.amdhsa_memory_ordered 1
		.amdhsa_forward_progress 1
		.amdhsa_inst_pref_size 255
		.amdhsa_round_robin_scheduling 0
		.amdhsa_exception_fp_ieee_invalid_op 0
		.amdhsa_exception_fp_denorm_src 0
		.amdhsa_exception_fp_ieee_div_zero 0
		.amdhsa_exception_fp_ieee_overflow 0
		.amdhsa_exception_fp_ieee_underflow 0
		.amdhsa_exception_fp_ieee_inexact 0
		.amdhsa_exception_int_div_zero 0
	.end_amdhsa_kernel
	.section	.text._ZL12mul_mat_q6_KIfLb0EEvPKvS1_PT_iiiii,"axG",@progbits,_ZL12mul_mat_q6_KIfLb0EEvPKvS1_PT_iiiii,comdat
.Lfunc_end135:
	.size	_ZL12mul_mat_q6_KIfLb0EEvPKvS1_PT_iiiii, .Lfunc_end135-_ZL12mul_mat_q6_KIfLb0EEvPKvS1_PT_iiiii
                                        ; -- End function
	.set _ZL12mul_mat_q6_KIfLb0EEvPKvS1_PT_iiiii.num_vgpr, 316
	.set _ZL12mul_mat_q6_KIfLb0EEvPKvS1_PT_iiiii.num_agpr, 0
	.set _ZL12mul_mat_q6_KIfLb0EEvPKvS1_PT_iiiii.numbered_sgpr, 18
	.set _ZL12mul_mat_q6_KIfLb0EEvPKvS1_PT_iiiii.num_named_barrier, 0
	.set _ZL12mul_mat_q6_KIfLb0EEvPKvS1_PT_iiiii.private_seg_size, 0
	.set _ZL12mul_mat_q6_KIfLb0EEvPKvS1_PT_iiiii.uses_vcc, 1
	.set _ZL12mul_mat_q6_KIfLb0EEvPKvS1_PT_iiiii.uses_flat_scratch, 0
	.set _ZL12mul_mat_q6_KIfLb0EEvPKvS1_PT_iiiii.has_dyn_sized_stack, 0
	.set _ZL12mul_mat_q6_KIfLb0EEvPKvS1_PT_iiiii.has_recursion, 0
	.set _ZL12mul_mat_q6_KIfLb0EEvPKvS1_PT_iiiii.has_indirect_call, 0
	.section	.AMDGPU.csdata,"",@progbits
; Kernel info:
; codeLenInByte = 48016
; TotalNumSgprs: 20
; NumVgprs: 316
; ScratchSize: 0
; MemoryBound: 0
; FloatMode: 240
; IeeeMode: 1
; LDSByteSize: 45136 bytes/workgroup (compile time only)
; SGPRBlocks: 0
; VGPRBlocks: 19
; NumSGPRsForWavesPerEU: 20
; NumVGPRsForWavesPerEU: 316
; NamedBarCnt: 0
; Occupancy: 3
; WaveLimiterHint : 0
; COMPUTE_PGM_RSRC2:SCRATCH_EN: 0
; COMPUTE_PGM_RSRC2:USER_SGPR: 2
; COMPUTE_PGM_RSRC2:TRAP_HANDLER: 0
; COMPUTE_PGM_RSRC2:TGID_X_EN: 1
; COMPUTE_PGM_RSRC2:TGID_Y_EN: 1
; COMPUTE_PGM_RSRC2:TGID_Z_EN: 0
; COMPUTE_PGM_RSRC2:TIDIG_COMP_CNT: 1
	.section	.text._ZL12mul_mat_q6_KIfLb1EEvPKvS1_PT_iiiii,"axG",@progbits,_ZL12mul_mat_q6_KIfLb1EEvPKvS1_PT_iiiii,comdat
	.globl	_ZL12mul_mat_q6_KIfLb1EEvPKvS1_PT_iiiii ; -- Begin function _ZL12mul_mat_q6_KIfLb1EEvPKvS1_PT_iiiii
	.p2align	8
	.type	_ZL12mul_mat_q6_KIfLb1EEvPKvS1_PT_iiiii,@function
_ZL12mul_mat_q6_KIfLb1EEvPKvS1_PT_iiiii: ; @_ZL12mul_mat_q6_KIfLb1EEvPKvS1_PT_iiiii
; %bb.0:
	s_clause 0x1
	s_load_b128 s[4:7], s[0:1], 0x18
	s_load_b32 s12, s[0:1], 0x28
	s_bfe_u32 s2, ttmp6, 0x4000c
	s_bfe_u32 s8, ttmp6, 0x40010
	s_add_co_i32 s2, s2, 1
	s_and_b32 s3, ttmp6, 15
	s_mul_i32 s2, ttmp9, s2
	s_add_co_i32 s8, s8, 1
	s_add_co_i32 s3, s3, s2
	s_mul_i32 s2, ttmp7, s8
	s_bfe_u32 s8, ttmp6, 0x40004
	s_getreg_b32 s9, hwreg(HW_REG_IB_STS2, 6, 4)
	s_add_co_i32 s8, s8, s2
	s_cmp_eq_u32 s9, 0
	v_bfe_u32 v75, v0, 10, 10
	s_cselect_b32 s8, ttmp7, s8
	v_and_b32_e32 v79, 0x3ff, v0
	s_cselect_b32 s2, ttmp9, s3
	s_lshl_b32 s13, s8, 6
	s_mov_b32 s3, 0
	s_wait_kmcnt 0x0
	s_cmp_gt_i32 s4, 0xff
	s_cbranch_scc1 .LBB136_2
; %bb.1:
	v_bfe_u32 v1, v0, 10, 10
	v_and_b32_e32 v2, 0x3ff, v0
	s_delay_alu instid0(VALU_DEP_2)
	v_add_nc_u32_e32 v81, s13, v1
	s_branch .LBB136_3
.LBB136_2:
	s_mov_b32 s3, -1
                                        ; implicit-def: $vgpr1
                                        ; implicit-def: $vgpr2
                                        ; implicit-def: $vgpr81
.LBB136_3:
	s_load_b64 s[8:9], s[0:1], 0x10
	v_dual_mov_b32 v37, 0 :: v_dual_mov_b32 v36, 0
	v_dual_mov_b32 v45, 0 :: v_dual_mov_b32 v44, 0
	;; [unrolled: 1-line block ×16, first 2 shown]
	s_and_not1_b32 vcc_lo, exec_lo, s3
	s_lshl_b32 s14, s2, 7
	s_cbranch_vccnz .LBB136_11
; %bb.4:
	v_and_b32_e32 v1, 31, v0
	s_ashr_i32 s2, s4, 31
	v_dual_add_nc_u32 v23, 16, v75 :: v_dual_add_nc_u32 v24, 24, v75
	s_lshr_b32 s10, s2, 24
	s_delay_alu instid0(VALU_DEP_2)
	v_add_nc_u16 v3, v1, -16
	v_cmp_gt_u32_e32 vcc_lo, 16, v1
	v_lshlrev_b32_e32 v2, 1, v1
	s_add_co_i32 s4, s4, s10
	s_ashr_i32 s10, s7, 31
	v_dual_mov_b32 v47, 0 :: v_dual_cndmask_b32 v20, v3, v1
	s_delay_alu instid0(VALU_DEP_2) | instskip(SKIP_3) | instid1(VALU_DEP_2)
	v_add_nc_u32_e32 v4, 0xe0, v2
	s_ashr_i32 s15, s4, 8
	s_lshr_b32 s4, s10, 27
	v_dual_lshlrev_b32 v87, 5, v75 :: v_dual_bitop2_b32 v5, 7, v0 bitop3:0x40
	v_dual_add_nc_u32 v81, s13, v75 :: v_dual_cndmask_b32 v3, v4, v2, vcc_lo
	v_lshrrev_b32_e32 v4, 1, v0
	s_add_co_i32 s4, s7, s4
	s_not_b32 s7, s14
	s_delay_alu instid0(VALU_DEP_2) | instskip(SKIP_4) | instid1(VALU_DEP_3)
	v_add_nc_u32_e32 v6, 8, v81
	v_and_b32_e32 v3, 0xfe, v3
	s_add_co_i32 s5, s5, s7
	v_and_or_b32 v4, v4, 8, v5
	v_dual_add_nc_u32 v8, 16, v81 :: v_dual_min_i32 v26, s5, v23
	v_dual_add_nc_u32 v10, 24, v81 :: v_dual_sub_nc_u32 v2, v2, v3
	v_and_b32_e32 v3, 15, v0
	v_dual_add_nc_u32 v28, 32, v75 :: v_dual_min_i32 v27, s5, v24
	s_add_co_i32 s7, s6, -1
	v_dual_lshlrev_b32 v46, 2, v1 :: v_dual_lshlrev_b32 v50, 2, v4
	s_delay_alu instid0(VALU_DEP_3)
	v_add_lshl_u32 v22, v2, v3, 2
	v_cvt_f64_i32_e32 v[2:3], s7
	v_cvt_f64_u32_e32 v[4:5], v81
	v_cvt_f64_u32_e32 v[6:7], v6
	v_dual_add_nc_u32 v12, 32, v81 :: v_dual_add_nc_u32 v14, 40, v81
	v_cvt_f64_u32_e32 v[8:9], v8
	v_dual_add_nc_u32 v18, v87, v79 :: v_dual_min_i32 v29, s5, v28
	v_dual_add_nc_u32 v16, 48, v81 :: v_dual_add_nc_u32 v19, 56, v81
	v_cvt_f64_u32_e32 v[10:11], v10
	v_cvt_f64_u32_e32 v[12:13], v12
	s_delay_alu instid0(VALU_DEP_4)
	v_and_b32_e32 v32, 0x7f, v18
	v_cvt_f64_u32_e32 v[14:15], v14
	v_cvt_f64_u32_e32 v[16:17], v16
	;; [unrolled: 1-line block ×3, first 2 shown]
	v_bfe_u32 v30, v0, 2, 8
	v_dual_add_nc_u32 v31, 40, v75 :: v_dual_min_i32 v32, s5, v32
	v_dual_add_nc_u32 v34, 48, v75 :: v_dual_add_nc_u32 v36, 56, v75
	s_delay_alu instid0(VALU_DEP_3) | instskip(NEXT) | instid1(VALU_DEP_3)
	v_lshl_add_u32 v30, v75, 3, v30
	v_dual_ashrrev_i32 v37, 31, v32 :: v_dual_min_i32 v33, s5, v31
	s_delay_alu instid0(VALU_DEP_3) | instskip(SKIP_1) | instid1(VALU_DEP_4)
	v_dual_add_nc_u32 v1, 8, v75 :: v_dual_min_i32 v38, s5, v34
	v_min_i32_e32 v21, s5, v75
	v_and_b32_e32 v35, 0x7f, v30
	s_delay_alu instid0(VALU_DEP_4) | instskip(SKIP_2) | instid1(VALU_DEP_3)
	v_lshrrev_b32_e32 v37, 27, v37
	v_bitop3_b32 v39, v30, 64, 0x7f bitop3:0x6c
	v_dual_lshlrev_b32 v44, 2, v32 :: v_dual_bitop2_b32 v30, 63, v30 bitop3:0x40
	v_dual_add_nc_u32 v37, v32, v37 :: v_dual_min_i32 v35, s5, v35
	v_dual_min_num_f64 v[4:5], v[4:5], v[2:3] :: v_dual_min_i32 v40, s5, v36
	s_ashr_i32 s4, s4, 5
	s_delay_alu instid0(VALU_DEP_2)
	v_dual_min_num_f64 v[8:9], v[8:9], v[2:3] :: v_dual_ashrrev_i32 v37, 5, v37
	v_min_num_f64_e32 v[6:7], v[6:7], v[2:3]
	v_ashrrev_i32_e32 v42, 31, v35
	v_min_i32_e32 v39, s5, v39
	v_min_num_f64_e32 v[10:11], v[10:11], v[2:3]
	v_min_num_f64_e32 v[12:13], v[12:13], v[2:3]
	s_wait_xcnt 0x0
	s_load_b128 s[0:3], s[0:1], 0x0
	v_min_num_f64_e32 v[14:15], v[14:15], v[2:3]
	v_min_num_f64_e32 v[16:17], v[16:17], v[2:3]
	;; [unrolled: 1-line block ×3, first 2 shown]
	v_dual_lshrrev_b32 v42, 29, v42 :: v_dual_ashrrev_i32 v43, 31, v39
	v_dual_lshlrev_b32 v18, 2, v37 :: v_dual_bitop2_b32 v37, 3, v0 bitop3:0x40
	v_dual_mov_b32 v51, v47 :: v_dual_min_i32 v25, s5, v1
	s_delay_alu instid0(VALU_DEP_3) | instskip(NEXT) | instid1(VALU_DEP_3)
	v_dual_add_nc_u32 v42, v35, v42 :: v_dual_lshrrev_b32 v43, 29, v43
	v_lshlrev_b32_e32 v72, 2, v37
	s_delay_alu instid0(VALU_DEP_4) | instskip(SKIP_1) | instid1(VALU_DEP_4)
	v_add3_u32 v97, v18, v44, 0xae40
	v_add_min_i32_e64 v41, v75, 64, s5
	v_dual_ashrrev_i32 v42, 3, v42 :: v_dual_add_nc_u32 v19, v39, v43
	v_or_b32_e32 v43, s13, v30
	v_bfe_u32 v74, v0, 5, 5
	v_mov_b32_e32 v73, v47
	v_mad_u32 v83, 0x104, v21, v22
	v_ashrrev_i32_e32 v19, 3, v19
	v_cvt_i32_f64_e32 v4, v[4:5]
	v_dual_lshlrev_b32 v42, 2, v42 :: v_dual_min_i32 v43, s7, v43
	v_cvt_i32_f64_e32 v8, v[8:9]
	v_mad_u32 v85, 0x104, v25, v22
	v_cvt_i32_f64_e32 v6, v[6:7]
	s_delay_alu instid0(VALU_DEP_4)
	v_add3_u32 v42, v42, v72, 0xa200
	v_mad_u32 v99, v43, s4, v37
	v_cvt_i32_f64_e32 v10, v[10:11]
	v_cvt_i32_f64_e32 v12, v[12:13]
	v_lshlrev_b32_e32 v11, 7, v1
	v_cvt_i32_f64_e32 v14, v[14:15]
	v_lshlrev_b32_e32 v15, 7, v24
	;; [unrolled: 2-line block ×3, first 2 shown]
	v_cvt_i32_f64_e32 v43, v[2:3]
	v_dual_lshlrev_b32 v37, 4, v35 :: v_dual_lshlrev_b32 v3, 7, v34
	v_lshlrev_b32_e32 v18, 2, v19
	v_or_b32_e32 v7, 0x8200, v46
	s_delay_alu instid0(VALU_DEP_3) | instskip(SKIP_1) | instid1(VALU_DEP_4)
	v_dual_lshlrev_b32 v13, 7, v23 :: v_dual_add_nc_u32 v101, v42, v37
	v_add_min_i32_e64 v19, 0x48, v75, s5
	v_add3_u32 v18, v18, v72, 0xa200
	v_lshlrev_b32_e32 v9, 7, v75
	v_lshlrev_b32_e32 v5, 4, v39
	v_dual_add_nc_u32 v107, v7, v11 :: v_dual_add_nc_u32 v113, v7, v17
	s_delay_alu instid0(VALU_DEP_3) | instskip(NEXT) | instid1(VALU_DEP_3)
	v_dual_lshlrev_b32 v17, 2, v79 :: v_dual_add_nc_u32 v105, v7, v9
	v_dual_add_nc_u32 v103, v18, v5 :: v_dual_lshlrev_b32 v5, 7, v36
	v_dual_lshlrev_b32 v2, 7, v31 :: v_dual_add_nc_u32 v109, v7, v13
	v_mul_lo_u32 v193, s4, v4
	v_mul_lo_u32 v195, s4, v8
	v_add_nc_u32_e32 v4, 32, v79
	v_mul_lo_u32 v194, s4, v6
	v_add_nc_u32_e32 v6, 64, v79
	v_add_nc_u32_e32 v8, 0x60, v79
	v_dual_add_nc_u32 v111, v7, v15 :: v_dual_add_nc_u32 v115, v7, v2
	v_dual_add_nc_u32 v180, v7, v3 :: v_dual_add_nc_u32 v181, v7, v5
	v_add_min_i32_e64 v5, 0x50, v75, s5
	v_add_min_i32_e64 v7, 0x58, v75, s5
	;; [unrolled: 1-line block ×6, first 2 shown]
	v_lshl_or_b32 v18, v30, 4, v72
	v_mul_lo_u32 v196, s4, v10
	v_mul_lo_u32 v197, s4, v12
	v_dual_lshrrev_b32 v200, 3, v4 :: v_dual_lshrrev_b32 v10, 3, v6
	v_dual_lshrrev_b32 v12, 3, v8 :: v_dual_bitop2_b32 v2, 28, v17 bitop3:0x40
	v_mov_b32_e32 v3, v47
	v_mad_u32 v89, 0x104, v26, v22
	v_mad_u32 v91, 0x104, v27, v22
	;; [unrolled: 1-line block ×14, first 2 shown]
	v_mul_lo_u32 v198, s4, v14
	v_mul_lo_u32 v199, s4, v16
	;; [unrolled: 1-line block ×22, first 2 shown]
	v_add_nc_u32_e32 v192, 0xaa40, v18
	v_dual_lshlrev_b32 v14, 2, v74 :: v_dual_bitop2_b32 v16, 60, v200 bitop3:0x40
	v_dual_lshlrev_b32 v207, 5, v1 :: v_dual_bitop2_b32 v18, 60, v10 bitop3:0x40
	;; [unrolled: 1-line block ×3, first 2 shown]
	v_lshlrev_b32_e32 v211, 5, v31
	v_bfe_u32 v202, v0, 3, 7
	v_cmp_lt_u16_e32 vcc_lo, 7, v20
	s_mul_i32 s10, s15, s14
	v_dual_lshlrev_b32 v213, 5, v36 :: v_dual_lshlrev_b32 v217, 2, v17
	s_movk_i32 s4, 0x2080
	s_movk_i32 s5, 0x4100
	;; [unrolled: 1-line block ×3, first 2 shown]
	s_wait_kmcnt 0x0
	v_add_nc_u64_e32 v[76:77], s[2:3], v[2:3]
	v_mov_b64_e32 v[70:71], 0
	v_mov_b64_e32 v[62:63], 0
	;; [unrolled: 1-line block ×16, first 2 shown]
	s_ashr_i32 s11, s10, 31
	v_add3_u32 v203, v14, v17, 0xae40
	v_add3_u32 v204, v17, v16, 0xae40
	;; [unrolled: 1-line block ×4, first 2 shown]
	v_dual_lshlrev_b32 v209, 5, v24 :: v_dual_lshlrev_b32 v212, 5, v34
	v_dual_lshlrev_b32 v210, 5, v28 :: v_dual_lshlrev_b32 v215, 4, v6
	;; [unrolled: 1-line block ×4, first 2 shown]
	v_lshlrev_b32_e32 v219, 2, v12
	v_cndmask_b32_e64 v220, 0, 2, vcc_lo
	v_mul_u32_u24_e32 v221, 0x104, v79
	v_mad_u32_u24 v222, 0x104, v79, s4
	v_mad_u32_u24 v223, 0x104, v79, s5
	;; [unrolled: 1-line block ×3, first 2 shown]
	v_lshlrev_b32_e32 v226, 2, v200
	s_mul_u64 s[10:11], s[10:11], 0xd2
	s_mov_b32 s5, 0
	s_add_nc_u64 s[0:1], s[0:1], s[10:11]
	s_mov_b32 s4, s5
.LBB136_5:                              ; =>This Loop Header: Depth=1
                                        ;     Child Loop BB136_6 Depth 2
                                        ;     Child Loop BB136_8 Depth 2
	s_delay_alu instid0(SALU_CYCLE_1)
	s_mul_u64 s[10:11], s[4:5], 0xd2
	s_lshl_b32 s7, s4, 3
	s_add_nc_u64 s[10:11], s[0:1], s[10:11]
	s_mov_b32 s16, 0
	v_mad_nc_u64_u32 v[0:1], 0xd2, v74, s[10:11]
	v_add_nc_u32_e32 v227, s7, v99
	s_delay_alu instid0(VALU_DEP_2)
	v_mad_nc_i64_i32 v[2:3], 0xd2, v78, v[0:1]
	v_mad_nc_i64_i32 v[4:5], 0xd2, v80, v[0:1]
	;; [unrolled: 1-line block ×11, first 2 shown]
	v_add_nc_u64_e32 v[14:15], v[2:3], v[46:47]
	v_add_nc_u64_e32 v[2:3], v[2:3], v[50:51]
	;; [unrolled: 1-line block ×12, first 2 shown]
	s_clause 0x2
	global_load_b32 v11, v[14:15], off
	global_load_b32 v13, v[2:3], off offset:128
	global_load_b32 v12, v[18:19], off
	s_wait_xcnt 0x1
	v_add_nc_u64_e32 v[2:3], v[16:17], v[46:47]
	s_clause 0x1
	global_load_b32 v15, v[4:5], off offset:128
	global_load_b32 v14, v[22:23], off
	s_wait_xcnt 0x1
	v_add_nc_u64_e32 v[4:5], v[16:17], v[50:51]
	s_clause 0x1
	;; [unrolled: 5-line block ×6, first 2 shown]
	global_load_b32 v28, v[4:5], off offset:128
	global_load_b32 v26, v[6:7], off
	global_load_b32 v27, v[8:9], off offset:128
	global_load_b32 v24, v[30:31], off
	global_load_b32 v25, v[2:3], off offset:128
	s_wait_xcnt 0x3
	v_add_nc_u32_e32 v6, s7, v202
	s_wait_xcnt 0x0
	v_mad_nc_i64_i32 v[2:3], 0xd2, v112, s[10:11]
	v_mad_nc_i64_i32 v[4:5], 0xd2, v114, s[10:11]
	v_mad_nc_u64_u32 v[32:33], v227, 36, s[2:3]
	v_mad_nc_i64_i32 v[30:31], 0xd2, v110, s[10:11]
	v_dual_add_nc_u32 v7, v6, v193 :: v_dual_add_nc_u32 v8, v6, v194
	v_dual_add_nc_u32 v9, v6, v195 :: v_dual_add_nc_u32 v10, v6, v196
	;; [unrolled: 1-line block ×3, first 2 shown]
	s_delay_alu instid0(VALU_DEP_3)
	v_mad_nc_i64_i32 v[34:35], v7, 36, v[76:77]
	v_mad_nc_i64_i32 v[134:135], 0xd2, v100, v[0:1]
	v_dual_add_nc_u32 v126, v6, v199 :: v_dual_add_nc_u32 v6, v6, v201
	v_mad_nc_i64_i32 v[116:117], v8, 36, v[76:77]
	v_mad_nc_i64_i32 v[118:119], v9, 36, v[76:77]
	;; [unrolled: 1-line block ×3, first 2 shown]
	v_add_nc_u64_e32 v[138:139], v[2:3], v[72:73]
	v_mad_nc_i64_i32 v[120:121], v10, 36, v[76:77]
	v_add_nc_u64_e32 v[140:141], v[4:5], v[72:73]
	v_mad_nc_i64_i32 v[142:143], 0xd2, v104, v[0:1]
	v_mad_nc_i64_i32 v[144:145], 0xd2, v106, v[0:1]
	;; [unrolled: 1-line block ×7, first 2 shown]
	global_load_b32 v6, v[32:33], off
	s_clause 0x2
	global_load_u16 v29, v[30:31], off offset:208
	global_load_b32 v4, v[138:139], off offset:192
	global_load_b32 v5, v[140:141], off offset:192
	s_clause 0x7
	global_load_b32 v0, v[34:35], off offset:4
	global_load_b32 v7, v[116:117], off offset:4
	;; [unrolled: 1-line block ×8, first 2 shown]
	s_wait_xcnt 0xa
	v_add_nc_u64_e32 v[30:31], v[130:131], v[46:47]
	v_add_nc_u64_e32 v[32:33], v[130:131], v[50:51]
	s_wait_xcnt 0x7
	v_add_nc_u64_e32 v[34:35], v[132:133], v[46:47]
	s_wait_xcnt 0x6
	;; [unrolled: 2-line block ×8, first 2 shown]
	v_add_nc_u64_e32 v[128:129], v[142:143], v[50:51]
	v_add_nc_u64_e32 v[130:131], v[144:145], v[46:47]
	;; [unrolled: 1-line block ×5, first 2 shown]
	s_clause 0xd
	global_load_b32 v138, v[30:31], off
	global_load_b32 v139, v[32:33], off offset:128
	global_load_b32 v140, v[34:35], off
	global_load_b32 v141, v[116:117], off offset:128
	;; [unrolled: 2-line block ×7, first 2 shown]
	s_mov_b32 s10, -1
	s_wait_loadcnt 0x2b
	s_wait_xcnt 0xd
	v_and_b32_e32 v30, 0xf0f0f0f, v11
	s_wait_loadcnt 0x2a
	v_dual_lshrrev_b32 v11, 4, v11 :: v_dual_ashrrev_i32 v13, v220, v13
	s_wait_loadcnt 0x29
	v_and_b32_e32 v31, 0xf0f0f0f, v12
	s_wait_loadcnt 0x28
	v_dual_lshrrev_b32 v12, 4, v12 :: v_dual_ashrrev_i32 v15, v220, v15
	s_wait_loadcnt 0x27
	s_wait_xcnt 0xc
	v_and_b32_e32 v32, 0xf0f0f0f, v14
	s_wait_loadcnt 0x26
	v_dual_lshrrev_b32 v14, 4, v14 :: v_dual_ashrrev_i32 v17, v220, v17
	s_wait_loadcnt 0x25
	v_and_b32_e32 v33, 0xf0f0f0f, v16
	s_wait_loadcnt 0x24
	v_dual_lshrrev_b32 v16, 4, v16 :: v_dual_ashrrev_i32 v19, v220, v19
	;; [unrolled: 9-line block ×4, first 2 shown]
	v_and_b32_e32 v11, 0xf0f0f0f, v11
	s_wait_xcnt 0x8
	v_dual_lshlrev_b32 v119, 4, v13 :: v_dual_lshlrev_b32 v120, 4, v15
	s_wait_loadcnt 0x1b
	v_and_b32_e32 v118, 0xf0f0f0f, v24
	s_wait_loadcnt 0x1a
	v_dual_lshrrev_b32 v24, 4, v24 :: v_dual_ashrrev_i32 v25, v220, v25
	v_and_b32_e32 v12, 0xf0f0f0f, v12
	v_and_b32_e32 v14, 0xf0f0f0f, v14
	s_wait_xcnt 0x7
	v_dual_lshlrev_b32 v121, 4, v17 :: v_dual_lshlrev_b32 v122, 4, v19
	v_and_b32_e32 v16, 0xf0f0f0f, v16
	v_and_b32_e32 v18, 0xf0f0f0f, v18
	s_wait_xcnt 0x6
	v_dual_lshlrev_b32 v123, 4, v21 :: v_dual_lshlrev_b32 v124, 4, v23
	;; [unrolled: 4-line block ×3, first 2 shown]
	v_and_or_b32 v30, 0x30303030, v119, v30
	v_and_or_b32 v11, 0x30303030, v13, v11
	v_and_b32_e32 v26, 0xf0f0f0f, v26
	v_lshlrev_b32_e32 v127, 4, v25
	v_and_or_b32 v13, 0x30303030, v120, v31
	v_and_or_b32 v12, 0x30303030, v15, v12
	;; [unrolled: 1-line block ×13, first 2 shown]
	v_lshrrev_b32_e32 v31, 16, v30
	v_lshlrev_b16 v32, 8, v30
	v_dual_lshrrev_b32 v33, 16, v11 :: v_dual_lshrrev_b32 v35, 16, v13
	v_lshlrev_b16 v34, 8, v11
	v_and_or_b32 v26, 0x30303030, v27, v26
	v_and_or_b32 v27, 0x30303030, v127, v118
	v_lshlrev_b16 v116, 8, v13
	v_dual_lshrrev_b32 v117, 16, v12 :: v_dual_lshrrev_b32 v119, 16, v15
	v_lshlrev_b16 v118, 8, v12
	v_lshlrev_b16 v120, 8, v15
	v_dual_lshrrev_b32 v121, 16, v14 :: v_dual_lshrrev_b32 v123, 16, v17
	v_lshlrev_b16 v122, 8, v14
	;; [unrolled: 3-line block ×3, first 2 shown]
	s_wait_xcnt 0x4
	v_lshlrev_b16 v128, 8, v19
	s_wait_xcnt 0x3
	v_dual_lshrrev_b32 v129, 16, v18 :: v_dual_lshrrev_b32 v131, 16, v21
	v_lshlrev_b16 v130, 8, v18
	s_wait_xcnt 0x2
	v_lshlrev_b16 v132, 8, v21
	s_wait_xcnt 0x1
	v_dual_lshrrev_b32 v133, 16, v20 :: v_dual_lshrrev_b32 v135, 16, v23
	v_lshlrev_b16 v134, 8, v20
	s_wait_xcnt 0x0
	v_lshlrev_b16 v136, 8, v23
	v_dual_lshrrev_b32 v137, 16, v22 :: v_dual_lshrrev_b32 v153, 16, v28
	v_lshlrev_b16 v152, 8, v22
	v_lshlrev_b16 v154, 8, v28
	v_add_nc_u16 v32, 0xe000, v32
	v_lshlrev_b16 v158, 8, v31
	v_add_nc_u16 v34, 0xe000, v34
	;; [unrolled: 2-line block ×15, first 2 shown]
	v_lshlrev_b16 v172, 8, v153
	v_lshrrev_b16 v32, 8, v32
	v_add_nc_u16 v158, 0xe000, v158
	v_lshrrev_b16 v34, 8, v34
	v_add_nc_u16 v159, 0xe000, v159
	;; [unrolled: 2-line block ×15, first 2 shown]
	v_bitop3_b16 v30, v30, v32, 0x3f00 bitop3:0xec
	v_lshrrev_b16 v32, 8, v158
	v_bitop3_b16 v11, v11, v34, 0x3f00 bitop3:0xec
	v_lshrrev_b16 v34, 8, v159
	;; [unrolled: 2-line block ×10, first 2 shown]
	v_dual_lshrrev_b32 v155, 16, v26 :: v_dual_lshrrev_b32 v157, 16, v27
	v_lshlrev_b16 v156, 8, v26
	v_bitop3_b16 v21, v21, v132, 0x3f00 bitop3:0xec
	v_lshrrev_b16 v132, 8, v168
	v_bitop3_b16 v20, v20, v134, 0x3f00 bitop3:0xec
	v_lshrrev_b16 v134, 8, v169
	;; [unrolled: 2-line block ×5, first 2 shown]
	v_bitop3_b16 v31, v31, v32, 0x3f00 bitop3:0xec
	v_bitop3_b16 v32, v33, v34, 0x3f00 bitop3:0xec
	;; [unrolled: 1-line block ×10, first 2 shown]
	v_add_nc_u16 v156, 0xe000, v156
	v_lshlrev_b16 v173, 8, v155
	v_add_nc_u16 v30, 0xe000, v30
	v_add_nc_u16 v11, 0xe000, v11
	v_bitop3_b16 v121, v131, v132, 0x3f00 bitop3:0xec
	v_bitop3_b16 v122, v133, v134, 0x3f00 bitop3:0xec
	;; [unrolled: 1-line block ×5, first 2 shown]
	v_add_nc_u16 v31, 0xe000, v31
	v_add_nc_u16 v32, 0xe000, v32
	;; [unrolled: 1-line block ×18, first 2 shown]
	v_lshrrev_b16 v156, 8, v156
	v_add_nc_u16 v173, 0xe000, v173
	v_add_nc_u16 v21, 0xe000, v21
	;; [unrolled: 1-line block ×5, first 2 shown]
	v_and_b32_e32 v30, 0xffff, v30
	v_and_b32_e32 v11, 0xffff, v11
	v_add_nc_u16 v121, 0xe000, v121
	v_add_nc_u16 v122, 0xe000, v122
	;; [unrolled: 1-line block ×5, first 2 shown]
	v_dual_lshlrev_b32 v31, 16, v31 :: v_dual_lshlrev_b32 v32, 16, v32
	v_and_b32_e32 v13, 0xffff, v13
	v_and_b32_e32 v12, 0xffff, v12
	v_dual_lshlrev_b32 v33, 16, v33 :: v_dual_lshlrev_b32 v34, 16, v34
	v_and_b32_e32 v15, 0xffff, v15
	v_and_b32_e32 v14, 0xffff, v14
	;; [unrolled: 3-line block ×4, first 2 shown]
	v_dual_lshlrev_b32 v119, 16, v119 :: v_dual_lshlrev_b32 v120, 16, v120
	v_and_b32_e32 v24, 0xf0f0f0f, v24
	v_bitop3_b16 v26, v26, v156, 0x3f00 bitop3:0xec
	v_lshrrev_b16 v156, 8, v173
	v_and_b32_e32 v21, 0xffff, v21
	v_and_b32_e32 v20, 0xffff, v20
	;; [unrolled: 1-line block ×4, first 2 shown]
	v_dual_lshlrev_b32 v121, 16, v121 :: v_dual_lshlrev_b32 v122, 16, v122
	v_dual_lshlrev_b32 v123, 16, v123 :: v_dual_lshlrev_b32 v124, 16, v124
	v_dual_lshlrev_b32 v125, 16, v125 :: v_dual_bitop2_b32 v30, v30, v31 bitop3:0x54
	v_or_b32_e32 v11, v11, v32
	v_or_b32_e32 v13, v13, v33
	v_or_b32_e32 v12, v12, v34
	v_or_b32_e32 v15, v15, v35
	v_or_b32_e32 v14, v14, v116
	v_or_b32_e32 v17, v17, v117
	v_or_b32_e32 v16, v16, v118
	v_or_b32_e32 v19, v19, v119
	v_or_b32_e32 v18, v18, v120
	v_bitop3_b16 v126, v155, v156, 0x3f00 bitop3:0xec
	v_or_b32_e32 v21, v21, v121
	v_or_b32_e32 v20, v20, v122
	;; [unrolled: 1-line block ×4, first 2 shown]
	ds_store_2addr_b32 v83, v30, v11 offset1:16
	ds_store_2addr_b32 v85, v13, v12 offset1:16
	;; [unrolled: 1-line block ×7, first 2 shown]
	v_and_or_b32 v12, 0x30303030, v25, v24
	v_add_nc_u16 v11, 0xe000, v26
	v_add_nc_u16 v14, 0xe000, v126
	v_lshlrev_b16 v15, 8, v157
	v_lshlrev_b16 v13, 8, v27
	v_lshrrev_b32_e32 v16, 16, v12
	v_and_b32_e32 v11, 0xffff, v11
	v_lshlrev_b32_e32 v14, 16, v14
	v_add_nc_u16 v15, 0xe000, v15
	v_lshlrev_b16 v17, 8, v12
	v_lshlrev_b16 v18, 8, v16
	v_add_nc_u16 v13, 0xe000, v13
	v_or_b32_e32 v11, v11, v14
	v_lshrrev_b16 v14, 8, v15
	v_add_nc_u16 v15, 0xe000, v17
	v_add_nc_u16 v17, 0xe000, v18
	s_wait_loadcnt 0xc
	v_ashrrev_i32_e32 v18, v220, v139
	v_lshrrev_b16 v13, 8, v13
	v_and_b32_e32 v19, 0xf0f0f0f, v138
	v_lshrrev_b16 v15, 8, v15
	v_lshrrev_b16 v17, 8, v17
	v_lshlrev_b32_e32 v20, 4, v18
	v_bitop3_b16 v13, v27, v13, 0x3f00 bitop3:0xec
	v_bitop3_b16 v14, v157, v14, 0x3f00 bitop3:0xec
	;; [unrolled: 1-line block ×4, first 2 shown]
	v_and_or_b32 v16, 0x30303030, v20, v19
	v_add_nc_u16 v28, 0xe000, v28
	v_add_nc_u16 v13, 0xe000, v13
	;; [unrolled: 1-line block ×5, first 2 shown]
	v_dual_lshrrev_b32 v17, 16, v16 :: v_dual_lshrrev_b32 v19, 4, v138
	v_and_b32_e32 v28, 0xffff, v28
	v_and_b32_e32 v13, 0xffff, v13
	v_lshlrev_b32_e32 v14, 16, v14
	v_and_b32_e32 v12, 0xffff, v12
	v_lshlrev_b16 v20, 8, v16
	v_lshlrev_b32_e32 v15, 16, v15
	v_lshlrev_b16 v21, 8, v17
	v_and_b32_e32 v19, 0xf0f0f0f, v19
	v_or_b32_e32 v28, v28, v125
	v_or_b32_e32 v13, v13, v14
	v_add_nc_u16 v14, 0xe000, v20
	v_or_b32_e32 v12, v12, v15
	v_add_nc_u16 v15, 0xe000, v21
	v_and_or_b32 v18, 0x30303030, v18, v19
	ds_store_2addr_b32 v183, v28, v11 offset1:16
	v_lshrrev_b16 v11, 8, v14
	ds_store_2addr_b32 v184, v13, v12 offset1:16
	v_lshrrev_b16 v12, 8, v15
	s_wait_loadcnt 0xa
	v_dual_lshrrev_b32 v13, 16, v18 :: v_dual_ashrrev_i32 v15, v220, v141
	v_bitop3_b16 v11, v16, v11, 0x3f00 bitop3:0xec
	v_lshlrev_b16 v14, 8, v18
	v_bitop3_b16 v12, v17, v12, 0x3f00 bitop3:0xec
	s_delay_alu instid0(VALU_DEP_4)
	v_lshlrev_b16 v16, 8, v13
	v_and_b32_e32 v17, 0xf0f0f0f, v140
	v_lshlrev_b32_e32 v19, 4, v15
	v_add_nc_u16 v14, 0xe000, v14
	v_add_nc_u16 v11, 0xe000, v11
	;; [unrolled: 1-line block ×4, first 2 shown]
	v_and_or_b32 v17, 0x30303030, v19, v17
	v_lshrrev_b16 v14, 8, v14
	v_and_b32_e32 v11, 0xffff, v11
	v_lshrrev_b16 v16, 8, v16
	s_delay_alu instid0(VALU_DEP_4) | instskip(NEXT) | instid1(VALU_DEP_4)
	v_dual_lshlrev_b32 v12, 16, v12 :: v_dual_lshrrev_b32 v19, 16, v17
	v_bitop3_b16 v14, v18, v14, 0x3f00 bitop3:0xec
	v_lshlrev_b16 v18, 8, v17
	s_delay_alu instid0(VALU_DEP_4)
	v_bitop3_b16 v13, v13, v16, 0x3f00 bitop3:0xec
	v_lshrrev_b32_e32 v16, 4, v140
	v_lshlrev_b16 v20, 8, v19
	v_add_nc_u16 v14, 0xe000, v14
	v_add_nc_u16 v18, 0xe000, v18
	;; [unrolled: 1-line block ×3, first 2 shown]
	v_and_b32_e32 v16, 0xf0f0f0f, v16
	v_add_nc_u16 v20, 0xe000, v20
	v_and_b32_e32 v14, 0xffff, v14
	v_lshrrev_b16 v18, 8, v18
	v_lshlrev_b32_e32 v13, 16, v13
	v_and_or_b32 v15, 0x30303030, v15, v16
	v_lshrrev_b16 v16, 8, v20
	v_or_b32_e32 v11, v11, v12
	v_bitop3_b16 v12, v17, v18, 0x3f00 bitop3:0xec
	s_wait_loadcnt 0x9
	v_and_b32_e32 v18, 0xf0f0f0f, v142
	v_lshlrev_b16 v17, 8, v15
	v_bitop3_b16 v16, v19, v16, 0x3f00 bitop3:0xec
	v_lshrrev_b32_e32 v19, 4, v142
	v_add_nc_u16 v12, 0xe000, v12
	v_cvt_f32_f16_e32 v6, v6
	s_delay_alu instid0(VALU_DEP_4) | instskip(SKIP_1) | instid1(VALU_DEP_4)
	v_add_nc_u16 v16, 0xe000, v16
	v_dual_lshrrev_b32 v14, 16, v15 :: v_dual_bitop2_b32 v13, v14, v13 bitop3:0x54
	v_and_b32_e32 v12, 0xffff, v12
	s_delay_alu instid0(VALU_DEP_3)
	v_lshlrev_b32_e32 v16, 16, v16
	ds_store_2addr_b32 v185, v11, v13 offset1:16
	v_lshlrev_b16 v11, 8, v14
	v_add_nc_u16 v13, 0xe000, v17
	s_wait_loadcnt 0x8
	v_ashrrev_i32_e32 v17, v220, v143
	v_or_b32_e32 v12, v12, v16
	v_add_nc_u16 v11, 0xe000, v11
	v_lshrrev_b16 v13, 8, v13
	s_delay_alu instid0(VALU_DEP_4) | instskip(NEXT) | instid1(VALU_DEP_3)
	v_lshlrev_b32_e32 v20, 4, v17
	v_lshrrev_b16 v11, 8, v11
	s_delay_alu instid0(VALU_DEP_3) | instskip(SKIP_1) | instid1(VALU_DEP_4)
	v_bitop3_b16 v13, v15, v13, 0x3f00 bitop3:0xec
	v_and_b32_e32 v15, 0xf0f0f0f, v19
	v_and_or_b32 v18, 0x30303030, v20, v18
	s_delay_alu instid0(VALU_DEP_4) | instskip(NEXT) | instid1(VALU_DEP_4)
	v_bitop3_b16 v11, v14, v11, 0x3f00 bitop3:0xec
	v_add_nc_u16 v13, 0xe000, v13
	s_delay_alu instid0(VALU_DEP_4) | instskip(NEXT) | instid1(VALU_DEP_4)
	v_and_or_b32 v14, 0x30303030, v17, v15
	v_lshlrev_b16 v15, 8, v18
	s_delay_alu instid0(VALU_DEP_4) | instskip(SKIP_2) | instid1(VALU_DEP_4)
	v_add_nc_u16 v11, 0xe000, v11
	v_lshrrev_b32_e32 v16, 16, v18
	v_and_b32_e32 v13, 0xffff, v13
	v_add_nc_u16 v15, 0xe000, v15
	v_lshlrev_b16 v20, 8, v14
	v_dual_lshlrev_b32 v11, 16, v11 :: v_dual_lshrrev_b32 v17, 16, v14
	v_lshlrev_b16 v19, 8, v16
	s_delay_alu instid0(VALU_DEP_4) | instskip(NEXT) | instid1(VALU_DEP_3)
	v_lshrrev_b16 v15, 8, v15
	v_or_b32_e32 v11, v13, v11
	s_delay_alu instid0(VALU_DEP_4) | instskip(NEXT) | instid1(VALU_DEP_4)
	v_lshlrev_b16 v21, 8, v17
	v_add_nc_u16 v13, 0xe000, v19
	v_add_nc_u16 v19, 0xe000, v20
	v_bitop3_b16 v15, v18, v15, 0x3f00 bitop3:0xec
	s_wait_loadcnt 0x6
	v_ashrrev_i32_e32 v18, v220, v145
	v_add_nc_u16 v20, 0xe000, v21
	v_lshrrev_b16 v13, 8, v13
	v_lshrrev_b16 v19, 8, v19
	v_and_b32_e32 v21, 0xf0f0f0f, v144
	v_add_nc_u16 v15, 0xe000, v15
	v_lshrrev_b16 v20, 8, v20
	v_bitop3_b16 v13, v16, v13, 0x3f00 bitop3:0xec
	v_bitop3_b16 v14, v14, v19, 0x3f00 bitop3:0xec
	ds_store_2addr_b32 v186, v12, v11 offset1:16
	v_and_b32_e32 v15, 0xffff, v15
	v_bitop3_b16 v16, v17, v20, 0x3f00 bitop3:0xec
	v_add_nc_u16 v13, 0xe000, v13
	v_dual_lshrrev_b32 v20, 4, v144 :: v_dual_lshlrev_b32 v22, 4, v18
	v_add_nc_u16 v14, 0xe000, v14
	s_delay_alu instid0(VALU_DEP_4) | instskip(NEXT) | instid1(VALU_DEP_4)
	v_add_nc_u16 v16, 0xe000, v16
	v_lshlrev_b32_e32 v13, 16, v13
	s_delay_alu instid0(VALU_DEP_4) | instskip(SKIP_2) | instid1(VALU_DEP_4)
	v_and_b32_e32 v20, 0xf0f0f0f, v20
	v_and_or_b32 v17, 0x30303030, v22, v21
	v_and_b32_e32 v14, 0xffff, v14
	v_dual_lshlrev_b32 v16, 16, v16 :: v_dual_bitop2_b32 v13, v15, v13 bitop3:0x54
	s_delay_alu instid0(VALU_DEP_4) | instskip(NEXT) | instid1(VALU_DEP_4)
	v_and_or_b32 v12, 0x30303030, v18, v20
	v_lshlrev_b16 v19, 8, v17
	s_delay_alu instid0(VALU_DEP_3) | instskip(SKIP_2) | instid1(VALU_DEP_3)
	v_dual_lshrrev_b32 v15, 16, v17 :: v_dual_bitop2_b32 v14, v14, v16 bitop3:0x54
	s_wait_loadcnt 0x5
	v_and_b32_e32 v18, 0xf0f0f0f, v146
	v_add_nc_u16 v19, 0xe000, v19
	s_delay_alu instid0(VALU_DEP_3)
	v_lshlrev_b16 v11, 8, v15
	ds_store_2addr_b32 v187, v13, v14 offset1:16
	s_wait_loadcnt 0x4
	v_ashrrev_i32_e32 v14, v220, v147
	v_lshrrev_b16 v16, 8, v19
	v_add_nc_u16 v11, 0xe000, v11
	s_delay_alu instid0(VALU_DEP_2) | instskip(SKIP_1) | instid1(VALU_DEP_3)
	v_bitop3_b16 v13, v17, v16, 0x3f00 bitop3:0xec
	v_lshrrev_b32_e32 v16, 16, v12
	v_lshrrev_b16 v11, 8, v11
	v_lshlrev_b16 v17, 8, v12
	s_delay_alu instid0(VALU_DEP_4) | instskip(NEXT) | instid1(VALU_DEP_4)
	v_add_nc_u16 v13, 0xe000, v13
	v_lshlrev_b16 v20, 8, v16
	s_delay_alu instid0(VALU_DEP_4) | instskip(NEXT) | instid1(VALU_DEP_4)
	v_bitop3_b16 v11, v15, v11, 0x3f00 bitop3:0xec
	v_add_nc_u16 v17, 0xe000, v17
	s_delay_alu instid0(VALU_DEP_4) | instskip(NEXT) | instid1(VALU_DEP_4)
	v_and_b32_e32 v13, 0xffff, v13
	v_add_nc_u16 v15, 0xe000, v20
	s_delay_alu instid0(VALU_DEP_4) | instskip(SKIP_2) | instid1(VALU_DEP_4)
	v_add_nc_u16 v11, 0xe000, v11
	v_lshlrev_b32_e32 v19, 4, v14
	v_lshrrev_b16 v17, 8, v17
	v_lshrrev_b16 v15, 8, v15
	s_delay_alu instid0(VALU_DEP_4) | instskip(NEXT) | instid1(VALU_DEP_4)
	v_lshlrev_b32_e32 v11, 16, v11
	v_and_or_b32 v18, 0x30303030, v19, v18
	s_delay_alu instid0(VALU_DEP_4) | instskip(NEXT) | instid1(VALU_DEP_4)
	v_bitop3_b16 v12, v12, v17, 0x3f00 bitop3:0xec
	v_bitop3_b16 v15, v16, v15, 0x3f00 bitop3:0xec
	s_delay_alu instid0(VALU_DEP_4) | instskip(NEXT) | instid1(VALU_DEP_4)
	v_or_b32_e32 v11, v13, v11
	v_lshlrev_b16 v17, 8, v18
	s_delay_alu instid0(VALU_DEP_4) | instskip(NEXT) | instid1(VALU_DEP_4)
	v_add_nc_u16 v12, 0xe000, v12
	v_add_nc_u16 v15, 0xe000, v15
	v_lshrrev_b32_e32 v19, 16, v18
	s_delay_alu instid0(VALU_DEP_4) | instskip(NEXT) | instid1(VALU_DEP_4)
	v_add_nc_u16 v16, 0xe000, v17
	v_and_b32_e32 v12, 0xffff, v12
	s_delay_alu instid0(VALU_DEP_4) | instskip(NEXT) | instid1(VALU_DEP_4)
	v_lshlrev_b32_e32 v15, 16, v15
	v_lshlrev_b16 v20, 8, v19
	s_delay_alu instid0(VALU_DEP_4) | instskip(NEXT) | instid1(VALU_DEP_2)
	v_lshrrev_b16 v16, 8, v16
	v_add_nc_u16 v17, 0xe000, v20
	v_lshrrev_b32_e32 v20, 4, v146
	s_delay_alu instid0(VALU_DEP_3)
	v_bitop3_b16 v13, v18, v16, 0x3f00 bitop3:0xec
	s_wait_loadcnt 0x3
	v_and_b32_e32 v18, 0xf0f0f0f, v148
	v_lshrrev_b16 v17, 8, v17
	v_and_b32_e32 v20, 0xf0f0f0f, v20
	v_add_nc_u16 v13, 0xe000, v13
	s_delay_alu instid0(VALU_DEP_3) | instskip(NEXT) | instid1(VALU_DEP_3)
	v_bitop3_b16 v16, v19, v17, 0x3f00 bitop3:0xec
	v_and_or_b32 v14, 0x30303030, v14, v20
	v_or_b32_e32 v12, v12, v15
	s_delay_alu instid0(VALU_DEP_4) | instskip(NEXT) | instid1(VALU_DEP_4)
	v_and_b32_e32 v13, 0xffff, v13
	v_add_nc_u16 v16, 0xe000, v16
	s_wait_loadcnt 0x2
	v_dual_ashrrev_i32 v15, v220, v149 :: v_dual_lshrrev_b32 v17, 16, v14
	v_lshlrev_b16 v20, 8, v14
	ds_store_2addr_b32 v188, v11, v12 offset1:16
	v_dual_lshlrev_b32 v16, 16, v16 :: v_dual_lshlrev_b32 v19, 4, v15
	v_lshlrev_b16 v21, 8, v17
	v_cvt_f32_f16_e32 v11, v29
	s_delay_alu instid0(VALU_DEP_3) | instskip(SKIP_3) | instid1(VALU_DEP_4)
	v_and_or_b32 v18, 0x30303030, v19, v18
	v_add_nc_u16 v19, 0xe000, v20
	v_lshrrev_b32_e32 v20, 4, v148
	v_add_nc_u16 v21, 0xe000, v21
	v_dual_lshrrev_b32 v22, 16, v18 :: v_dual_bitop2_b32 v13, v13, v16 bitop3:0x54
	v_lshlrev_b16 v16, 8, v18
	v_lshrrev_b16 v19, 8, v19
	v_and_b32_e32 v20, 0xf0f0f0f, v20
	v_lshrrev_b16 v21, 8, v21
	s_delay_alu instid0(VALU_DEP_4) | instskip(NEXT) | instid1(VALU_DEP_4)
	v_add_nc_u16 v16, 0xe000, v16
	v_bitop3_b16 v14, v14, v19, 0x3f00 bitop3:0xec
	s_delay_alu instid0(VALU_DEP_4) | instskip(NEXT) | instid1(VALU_DEP_4)
	v_and_or_b32 v15, 0x30303030, v15, v20
	v_bitop3_b16 v17, v17, v21, 0x3f00 bitop3:0xec
	v_lshlrev_b16 v19, 8, v22
	v_lshrrev_b16 v16, 8, v16
	v_add_nc_u16 v14, 0xe000, v14
	v_lshlrev_b16 v20, 8, v15
	v_add_nc_u16 v17, 0xe000, v17
	v_add_nc_u16 v19, 0xe000, v19
	v_bitop3_b16 v16, v18, v16, 0x3f00 bitop3:0xec
	v_and_b32_e32 v14, 0xffff, v14
	v_add_nc_u16 v18, 0xe000, v20
	s_wait_loadcnt 0x0
	v_dual_lshlrev_b32 v17, 16, v17 :: v_dual_ashrrev_i32 v20, v220, v151
	v_lshrrev_b16 v19, 8, v19
	v_lshrrev_b32_e32 v21, 4, v150
	v_lshrrev_b16 v18, 8, v18
	v_add_nc_u16 v16, 0xe000, v16
	v_lshlrev_b32_e32 v23, 4, v20
	v_bitop3_b16 v19, v22, v19, 0x3f00 bitop3:0xec
	v_and_b32_e32 v22, 0xf0f0f0f, v150
	v_and_b32_e32 v21, 0xf0f0f0f, v21
	v_bitop3_b16 v18, v15, v18, 0x3f00 bitop3:0xec
	v_and_b32_e32 v16, 0xffff, v16
	v_add_nc_u16 v19, 0xe000, v19
	v_and_or_b32 v22, 0x30303030, v23, v22
	v_and_or_b32 v20, 0x30303030, v20, v21
	v_lshrrev_b32_e32 v15, 16, v15
	v_add_nc_u16 v18, 0xe000, v18
	s_delay_alu instid0(VALU_DEP_4) | instskip(NEXT) | instid1(VALU_DEP_4)
	v_dual_lshlrev_b32 v19, 16, v19 :: v_dual_lshrrev_b32 v21, 16, v22
	v_lshrrev_b32_e32 v23, 16, v20
	s_delay_alu instid0(VALU_DEP_4)
	v_lshlrev_b16 v24, 8, v15
	v_lshlrev_b16 v25, 8, v22
	;; [unrolled: 1-line block ×5, first 2 shown]
	v_add_nc_u16 v24, 0xe000, v24
	v_add_nc_u16 v25, 0xe000, v25
	;; [unrolled: 1-line block ×5, first 2 shown]
	v_lshrrev_b16 v24, 8, v24
	v_lshrrev_b16 v25, 8, v25
	;; [unrolled: 1-line block ×5, first 2 shown]
	v_bitop3_b16 v15, v15, v24, 0x3f00 bitop3:0xec
	v_bitop3_b16 v22, v22, v25, 0x3f00 bitop3:0xec
	;; [unrolled: 1-line block ×5, first 2 shown]
	v_add_nc_u16 v15, 0xe000, v15
	v_add_nc_u16 v22, 0xe000, v22
	;; [unrolled: 1-line block ×5, first 2 shown]
	v_and_b32_e32 v18, 0xffff, v18
	v_lshlrev_b32_e32 v15, 16, v15
	v_and_b32_e32 v22, 0xffff, v22
	v_lshlrev_b32_e32 v21, 16, v21
	v_and_b32_e32 v20, 0xffff, v20
	v_dual_lshlrev_b32 v23, 16, v23 :: v_dual_bitop2_b32 v14, v14, v17 bitop3:0x54
	v_or_b32_e32 v16, v16, v19
	v_or_b32_e32 v15, v18, v15
	;; [unrolled: 1-line block ×3, first 2 shown]
	s_delay_alu instid0(VALU_DEP_4)
	v_or_b32_e32 v18, v20, v23
	ds_store_2addr_b32 v189, v13, v14 offset1:16
	ds_store_2addr_b32 v190, v16, v15 offset1:16
	;; [unrolled: 1-line block ×3, first 2 shown]
	ds_store_b32 v97, v11
	ds_store_b32 v101, v4
	ds_store_b32 v103, v5
	ds_store_b32 v107, v7
	ds_store_b32 v111, v8
	ds_store_b32 v115, v9
	ds_store_b32 v181, v10
	ds_store_b32 v105, v0
	ds_store_b32 v109, v1
	ds_store_b32 v113, v2
	ds_store_b32 v180, v3
	ds_store_b32 v192, v6
	s_wait_dscnt 0x0
	s_barrier_signal -1
	s_barrier_wait -1
	ds_load_b32 v116, v203
	ds_load_b32 v118, v204 offset:128
	ds_load_b32 v120, v205 offset:256
	ds_load_b32 v122, v206 offset:384
	s_wait_dscnt 0x2
	v_dual_mov_b32 v117, v116 :: v_dual_mov_b32 v119, v118
	s_wait_dscnt 0x0
	v_dual_mov_b32 v121, v120 :: v_dual_mov_b32 v123, v122
.LBB136_6:                              ;   Parent Loop BB136_5 Depth=1
                                        ; =>  This Inner Loop Header: Depth=2
	s_lshl_b32 s11, s16, 1
	s_lshr_b32 s17, s16, 1
	s_lshl_b32 s16, s16, 3
	s_delay_alu instid0(SALU_CYCLE_1) | instskip(SKIP_3) | instid1(VALU_DEP_2)
	v_dual_add_nc_u32 v32, s16, v221 :: v_dual_bitop2_b32 v0, s11, v87 bitop3:0x54
	v_add_nc_u32_e32 v148, s16, v222
	s_add_co_i32 s17, s17, 0xa200
	s_and_b32 vcc_lo, exec_lo, s10
	v_dual_lshlrev_b32 v12, 2, v0 :: v_dual_lshrrev_b32 v21, 1, v0
	v_add3_u32 v151, s17, v225, v217
	v_add3_u32 v154, s17, v226, v214
	ds_load_b128 v[4:7], v12 offset:33280
	ds_load_b128 v[0:3], v12 offset:33296
	;; [unrolled: 1-line block ×4, first 2 shown]
	ds_load_2addr_b32 v[124:125], v32 offset0:6 offset1:7
	ds_load_2addr_b32 v[138:139], v32 offset0:4 offset1:5
	;; [unrolled: 1-line block ×3, first 2 shown]
	ds_load_2addr_b32 v[136:137], v32 offset1:1
	ds_load_2addr_b32 v[16:17], v32 offset0:13 offset1:14
	ds_load_2addr_b32 v[130:131], v32 offset0:11 offset1:12
	;; [unrolled: 1-line block ×7, first 2 shown]
	ds_load_2addr_b32 v[140:141], v148 offset1:1
	s_set_vgpr_msb 64                       ;  msbs: dst=1 src0=0 src1=0 src2=0
	v_add3_u32 v17 /*v273*/, s17, v218, v215
	v_add3_u32 v18 /*v274*/, s17, v219, v216
	s_mov_b32 s10, 0
	s_wait_dscnt 0xa
	s_set_vgpr_msb 0                        ;  msbs: dst=0 src0=0 src1=0 src2=0
	v_perm_b32 v228, v124, v139, 0x7060403
	v_bfe_i32 v18, v6, 8, 8
	v_perm_b32 v237, v5, v5, 0xc0c0001
	v_bfe_i32 v20, v10, 8, 8
	s_wait_dscnt 0x5
	v_perm_b32 v34, v134, v134, 0xc0c0001
	s_wait_dscnt 0x4
	v_bfe_i32 v32, v179, 8, 8
	v_perm_b32 v230, v8, v8, 0xc0c0001
	v_perm_b32 v231, v8, v8, 0xc0c0302
	;; [unrolled: 1-line block ×3, first 2 shown]
	v_bfe_i32 v19, v9, 16, 8
	v_mul_i32_i24_e32 v32, v32, v20
	v_bfe_i32 v33, v178, 16, 8
	v_perm_b32 v233, v10, v9, 0xc0c0403
	v_bfe_i32 v27, v10, 0, 8
	v_perm_b32 v10, v10, v10, 0xc0c0302
	v_dot4_i32_iu8 v32, v34, v230, v32 neg_lo:[1,1,0]
	v_perm_b32 v34, v134, v134, 0xc0c0302
	s_set_vgpr_msb 64                       ;  msbs: dst=1 src0=0 src1=0 src2=0
	v_perm_b32 v1 /*v257*/, v5, v5, 0xc0c0302
	v_perm_b32 v14 /*v270*/, v6, v6, 0xc030200
	s_set_vgpr_msb 0                        ;  msbs: dst=0 src0=0 src1=0 src2=0
	v_perm_b32 v159, v131, v14, 0x6040501
	v_perm_b32 v162, v12, v17, 0x6040501
	v_dot4_i32_iu8 v8, v231, v34, v32 neg_lo:[1,1,0]
	v_perm_b32 v32, v178, v178, 0xc0c0001
	v_perm_b32 v163, v16, v12, 0x6040503
	v_bfe_i32 v24, v12, 8, 8
	v_dot4_i32_iu8 v159, v162, v159, 0 neg_lo:[1,1,0]
	v_perm_b32 v162, v13, v131, 0x6040503
	v_dot4_i32_iu8 v8, v232, v32, v8 neg_lo:[1,1,0]
	v_perm_b32 v32, v179, v178, 0xc0c0403
	v_dual_ashrrev_i32 v157, 24, v12 :: v_dual_ashrrev_i32 v166, 24, v13
	v_bfe_i32 v158, v12, 16, 8
	s_delay_alu instid0(VALU_DEP_4)
	v_mad_i32_i24 v8, v33, v19, v8
	v_perm_b32 v33, v137, v137, 0xc0c0001
	v_dot4_i32_iu8 v159, v163, v162, v159 neg_lo:[1,1,0]
	v_perm_b32 v172, v14, v13, 0x7060403
	s_set_vgpr_msb 64                       ;  msbs: dst=1 src0=0 src1=0 src2=0
	v_perm_b32 v2 /*v258*/, v17, v16, 0x7060403
	s_set_vgpr_msb 0                        ;  msbs: dst=0 src0=0 src1=0 src2=0
	v_dot4_i32_iu8 v8, v233, v32, v8 neg_lo:[1,1,0]
	v_perm_b32 v32, v179, v179, 0xc0c0302
	v_bfe_i32 v25, v12, 0, 8
	v_bfe_i32 v156, v13, 8, 8
	s_set_vgpr_msb 4                        ;  msbs: dst=0 src0=0 src1=1 src2=0
	v_dot4_i32_iu8 v167, v172, v2 /*v258*/, v159 neg_lo:[1,1,0]
	v_bfe_i32 v165, v14, 0, 8
	s_set_vgpr_msb 0                        ;  msbs: dst=0 src0=0 src1=0 src2=0
	v_dot4_i32_iu8 v152, v10, v32, v8 neg_lo:[1,1,0]
	v_bfe_i32 v32, v126, 8, 8
	v_bfe_i32 v23, v14, 8, 8
	;; [unrolled: 1-line block ×3, first 2 shown]
	v_perm_b32 v9, v9, v9, 0xc0c0302
	v_bfe_i32 v35, v0, 16, 8
	v_mul_i32_i24_e32 v32, v32, v18
	v_perm_b32 v8, v138, v124, 0x6050401
	v_perm_b32 v235, v0, v2, 0x6050401
	v_bfe_i32 v28, v2, 8, 8
	v_bfe_i32 v144, v2, 0, 8
	v_dot4_i32_iu8 v32, v136, v4, v32 neg_lo:[1,1,0]
	v_lshrrev_b16 v22, 8, v1
	v_dot4_i32_iu8 v8, v8, v235, 0 neg_lo:[1,1,0]
	v_bfe_i32 v29, v0, 8, 8
	s_wait_dscnt 0x2
	v_lshrrev_b16 v155, 8, v143
	v_dot4_i32_iu8 v32, v237, v33, v32 neg_lo:[1,1,0]
	v_perm_b32 v33, v137, v137, 0xc0c0302
	v_bfe_i32 v30, v0, 0, 8
	v_dual_ashrrev_i32 v31, 24, v0 :: v_dual_ashrrev_i32 v150, 24, v3
	v_bfe_i32 v22, v22, 0, 8
	s_set_vgpr_msb 1                        ;  msbs: dst=0 src0=1 src1=0 src2=0
	v_dot4_i32_iu8 v32, v1 /*v257*/, v33, v32 neg_lo:[1,1,0]
	s_set_vgpr_msb 0                        ;  msbs: dst=0 src0=0 src1=0 src2=0
	v_perm_b32 v33, v126, v126, 0xc030200
	v_bfe_i32 v155, v155, 0, 8
	v_bfe_i32 v145, v3, 16, 8
	s_wait_dscnt 0x1
	v_ashrrev_i32_e32 v251, 24, v133
	s_set_vgpr_msb 64                       ;  msbs: dst=1 src0=0 src1=0 src2=0
	v_perm_b32 v3 /*v259*/, v131, v17, 0x6040501
	s_set_vgpr_msb 4                        ;  msbs: dst=0 src0=0 src1=1 src2=0
	v_dot4_i32_iu8 v153, v33, v14 /*v270*/, v32 neg_lo:[1,1,0]
	ds_load_u16 v161, v148 offset:48
	ds_load_b96 v[32:34], v148 offset:50
	ds_load_u16 v170, v148 offset:62
	s_set_vgpr_msb 0                        ;  msbs: dst=0 src0=0 src1=0 src2=0
	v_mul_i32_i24_e32 v22, v155, v22
	v_bfe_i32 v155, v128, 0, 8
	s_set_vgpr_msb 64                       ;  msbs: dst=1 src0=0 src1=0 src2=0
	v_perm_b32 v4 /*v260*/, v16, v131, 0x6040503
	v_perm_b32 v32 /*v288*/, v14, v14, 0xc0c0c01
	s_wait_dscnt 0x3
	s_set_vgpr_msb 0                        ;  msbs: dst=0 src0=0 src1=0 src2=0
	v_bfe_i32 v248, v140, 16, 8
	s_set_vgpr_msb 64                       ;  msbs: dst=1 src0=0 src1=0 src2=0
	v_perm_b32 v33 /*v289*/, v15, v15, 0xc0c0001
	s_set_vgpr_msb 0                        ;  msbs: dst=0 src0=0 src1=0 src2=0
	v_bfe_i32 v245, v140, 0, 8
	v_bfe_i32 v244, v140, 8, 8
	v_lshrrev_b16 v160, 8, v141
	v_perm_b32 v241, v128, v143, 0x7060403
	s_set_vgpr_msb 64                       ;  msbs: dst=1 src0=0 src1=0 src2=0
	v_bfe_i32 v40 /*v296*/, v132, 16, 8
	s_set_vgpr_msb 0                        ;  msbs: dst=0 src0=0 src1=0 src2=0
	v_bfe_i32 v250, v133, 16, 8
	v_bfe_i32 v246, v132, 8, 8
	;; [unrolled: 1-line block ×3, first 2 shown]
	v_ashrrev_i32_e32 v247, 24, v140
	s_set_vgpr_msb 64                       ;  msbs: dst=1 src0=0 src1=0 src2=0
	v_ashrrev_i32_e32 v39 /*v295*/, 24, v132
	s_wait_dscnt 0x2
	s_set_vgpr_msb 0                        ;  msbs: dst=0 src0=0 src1=0 src2=0
	v_lshrrev_b16 v149, 8, v161
	s_wait_dscnt 0x1
	v_lshrrev_b16 v146, 8, v32
	v_bfe_i32 v164, v32, 0, 8
	v_ashrrev_i32_e32 v163, 24, v32
	v_bfe_i32 v159, v34, 8, 8
	v_bfe_i32 v149, v149, 0, 8
	;; [unrolled: 1-line block ×3, first 2 shown]
	v_mul_i32_i24_e32 v158, v164, v158
	v_bfe_i32 v164, v14, 16, 8
	v_bfe_i32 v168, v34, 0, 8
	v_mul_i32_i24_e32 v24, v149, v24
	v_bfe_i32 v149, v161, 0, 8
	v_mul_i32_i24_e32 v146, v146, v157
	v_ashrrev_i32_e32 v157, 24, v14
	v_bfe_i32 v162, v32, 16, 8
	v_bfe_i32 v169, v33, 16, 8
	v_mul_i32_i24_e32 v25, v149, v25
	v_bfe_i32 v149, v13, 0, 8
	v_bfe_i32 v171, v33, 8, 8
	v_mul_i32_i24_e32 v164, v168, v164
	v_mul_i32_i24_e32 v157, v159, v157
	;; [unrolled: 1-line block ×3, first 2 shown]
	v_ashrrev_i32_e32 v147, 24, v33
	v_mul_i32_i24_e32 v166, v171, v166
	v_mad_i32_i24 v149, v162, v149, v164
	v_mad_i32_i24 v156, v163, v156, v157
	v_ashrrev_i32_e32 v159, 24, v34
	v_mad_i32_i24 v23, v147, v23, v25
	v_perm_b32 v25, v34, v33, 0xc0c0600
	v_add3_u32 v149, v158, v166, v149
	v_add3_u32 v146, v146, v165, v156
	v_mul_i32_i24_e32 v26, v159, v26
	v_perm_b32 v156, v1, v138, 0x6040503
	v_ashrrev_i32_e32 v162, 24, v2
	v_bfe_i32 v163, v2, 16, 8
	v_add3_u32 v24, v149, v146, v24
	v_perm_b32 v146, v15, v13, 0xc0c0402
	v_perm_b32 v2, v2, v1, 0x7060403
	v_bfe_i32 v158, v3, 8, 8
	v_perm_b32 v165, v11, v11, 0xc0c0001
	v_bfe_i32 v159, v3, 0, 8
	v_dot4_i32_iu8 v25, v25, v146, v26 neg_lo:[1,1,0]
	ds_load_2addr_b32 v[146:147], v148 offset0:10 offset1:11
	ds_load_2addr_b32 v[148:149], v148 offset0:8 offset1:9
	v_ashrrev_i32_e32 v26, 24, v142
	v_bfe_i32 v157, v143, 16, 8
	v_add3_u32 v171, v24, v23, v25
	v_perm_b32 v252, v32, v161, 0x400010c
	v_perm_b32 v253, v33, v32, 0x4020301
	;; [unrolled: 1-line block ×3, first 2 shown]
	s_wait_dscnt 0x1
	v_bfe_i32 v23, v146, 8, 8
	s_wait_dscnt 0x0
	v_perm_b32 v25, v148, v148, 0xc0c0001
	v_bfe_i32 v24, v146, 0, 8
	v_perm_b32 v164, v146, v146, 0xc0c0302
	v_perm_b32 v255, v149, v148, 0x6040503
	v_mul_i32_i24_e32 v23, v23, v20
	s_set_vgpr_msb 64                       ;  msbs: dst=1 src0=0 src1=0 src2=0
	v_perm_b32 v0 /*v256*/, v146, v149, 0x7060403
	s_set_vgpr_msb 0                        ;  msbs: dst=0 src0=0 src1=0 src2=0
	s_delay_alu instid0(VALU_DEP_2) | instskip(SKIP_1) | instid1(VALU_DEP_1)
	v_dot4_i32_iu8 v23, v25, v230, v23 neg_lo:[1,1,0]
	v_perm_b32 v25, v148, v148, 0xc0c0302
	v_dot4_i32_iu8 v23, v231, v25, v23 neg_lo:[1,1,0]
	v_perm_b32 v25, v149, v149, 0xc0c0001
	s_delay_alu instid0(VALU_DEP_1) | instskip(SKIP_1) | instid1(VALU_DEP_1)
	v_dot4_i32_iu8 v23, v232, v25, v23 neg_lo:[1,1,0]
	v_perm_b32 v25, v149, v149, 0xc0c0302
	v_dot4_i32_iu8 v9, v9, v25, v23 neg_lo:[1,1,0]
	v_bfe_i32 v25, v142, 0, 8
	v_bfe_i32 v23, v128, 8, 8
	s_delay_alu instid0(VALU_DEP_3)
	v_mad_i32_i24 v9, v24, v27, v9
	v_bfe_i32 v27, v142, 16, 8
	v_bfe_i32 v24, v142, 8, 8
	v_mul_i32_i24_e32 v25, v25, v30
	v_bfe_i32 v30, v1, 0, 8
	v_dot4_i32_iu8 v9, v10, v164, v9 neg_lo:[1,1,0]
	v_mul_i32_i24_e32 v27, v27, v35
	v_perm_b32 v35, v139, v0, 0x6040503
	v_perm_b32 v164, v147, v147, 0xc0c0001
	v_mul_i32_i24_e32 v24, v24, v29
	v_ashrrev_i32_e32 v29, 24, v1
	s_delay_alu instid0(VALU_DEP_4)
	v_dot4_i32_iu8 v8, v156, v35, v8 neg_lo:[1,1,0]
	v_ashrrev_i32_e32 v35, 24, v143
	v_dot4_i32_iu8 v173, v165, v164, v9 neg_lo:[1,1,0]
	v_bfe_i32 v9, v129, 0, 8
	v_ashrrev_i32_e32 v164, 24, v128
	v_dot4_i32_iu8 v229, v2, v228, v8 neg_lo:[1,1,0]
	v_bfe_i32 v8, v129, 8, 8
	v_bfe_i32 v165, v128, 16, 8
	v_mul_i32_i24_e32 v26, v26, v31
	v_bfe_i32 v31, v1, 16, 8
	v_bfe_i32 v156, v143, 0, 8
	v_mul_i32_i24_e32 v8, v8, v158
	v_mul_i32_i24_e32 v163, v165, v163
	;; [unrolled: 1-line block ×4, first 2 shown]
	v_bfe_i32 v158, v129, 16, 8
	v_mad_i32_i24 v8, v35, v29, v8
	v_mad_i32_i24 v30, v156, v30, v163
	s_delay_alu instid0(VALU_DEP_4) | instskip(NEXT) | instid1(VALU_DEP_4)
	v_mad_i32_i24 v9, v157, v31, v9
	v_mul_i32_i24_e32 v145, v158, v145
	s_delay_alu instid0(VALU_DEP_4) | instskip(SKIP_1) | instid1(VALU_DEP_3)
	v_add3_u32 v8, v22, v162, v8
	v_ashrrev_i32_e32 v158, 24, v129
	v_mad_i32_i24 v22, v155, v144, v145
	s_delay_alu instid0(VALU_DEP_3)
	v_add3_u32 v8, v30, v9, v8
	v_mad_i32_i24 v9, v23, v28, v24
	v_add_nc_u32_e32 v144, s16, v223
	s_set_vgpr_msb 64                       ;  msbs: dst=1 src0=0 src1=0 src2=0
	v_mul_i32_i24_e32 v15 /*v271*/, v158, v150
	s_set_vgpr_msb 0                        ;  msbs: dst=0 src0=0 src1=0 src2=0
	v_add3_u32 v155, v27, v26, v22
	v_add3_u32 v35, v8, v25, v9
	v_perm_b32 v8, v140, v132, 0x6050401
	v_perm_b32 v9, v4, v6, 0x6050401
	s_set_vgpr_msb 64                       ;  msbs: dst=1 src0=0 src1=0 src2=0
	s_delay_alu instid0(VALU_DEP_1) | instskip(SKIP_2) | instid1(VALU_DEP_1)
	v_dot4_i32_iu8 v16 /*v272*/, v8, v9, 0 neg_lo:[1,1,0]
	s_set_vgpr_msb 0                        ;  msbs: dst=0 src0=0 src1=0 src2=0
	v_or_b32_e32 v8, s11, v207
	v_dual_lshlrev_b32 v30, 2, v8 :: v_dual_lshrrev_b32 v31, 1, v8
	ds_load_b64 v[8:9], v21 offset:43584
	ds_load_b32 v21, v151
	ds_load_2addr_b32 v[156:157], v144 offset0:6 offset1:7
	ds_load_2addr_b32 v[162:163], v144 offset0:4 offset1:5
	;; [unrolled: 1-line block ×3, first 2 shown]
	ds_load_b128 v[22:25], v30 offset:33280
	ds_load_b128 v[26:29], v30 offset:33296
	s_set_vgpr_msb 64                       ;  msbs: dst=1 src0=0 src1=0 src2=0
	ds_load_b128 v[6:9] /*v[262:265]*/, v30 offset:33312
	ds_load_b128 v[10:13] /*v[266:269]*/, v30 offset:33328
	v_add_nc_u32_e32 v19 /*v275*/, s16, v224
	s_mov_b32 s16, 8
	s_set_vgpr_msb 0                        ;  msbs: dst=0 src0=0 src1=0 src2=0
	ds_load_b64 v[30:31], v31 offset:43584
	s_wait_dscnt 0x4
	s_set_vgpr_msb 64                       ;  msbs: dst=1 src0=0 src1=0 src2=0
	v_bfe_i32 v23 /*v279*/, v22, 16, 8
	s_wait_dscnt 0x3
	s_set_vgpr_msb 0                        ;  msbs: dst=0 src0=0 src1=0 src2=0
	v_perm_b32 v164, v27, v138, 0x6040503
	s_wait_dscnt 0x2
	s_set_vgpr_msb 1                        ;  msbs: dst=0 src0=1 src1=0 src2=0
	v_perm_b32 v151, v7 /*v263*/, v134, 0x6040503
	s_wait_dscnt 0x1
	s_set_vgpr_msb 5                        ;  msbs: dst=0 src0=1 src1=1 src2=0
	v_perm_b32 v145, v10 /*v266*/, v12 /*v268*/, 0x6040501
	v_perm_b32 v240, v11 /*v267*/, v10 /*v266*/, 0x6040503
	;; [unrolled: 1-line block ×3, first 2 shown]
	s_set_vgpr_msb 0x45                     ;  msbs: dst=1 src0=1 src1=1 src2=0
	v_perm_b32 v28 /*v284*/, v8 /*v264*/, v7 /*v263*/, 0x7060403
	s_set_vgpr_msb 64                       ;  msbs: dst=1 src0=0 src1=0 src2=0
	v_perm_b32 v29 /*v285*/, v28, v27, 0x7060403
	s_set_vgpr_msb 4                        ;  msbs: dst=0 src0=0 src1=1 src2=0
	v_dot4_i32_iu8 v17, v145, v3 /*v259*/, 0 neg_lo:[1,1,0]
	v_bfe_i32 v242, v21, 0, 8
	v_bfe_i32 v243, v21, 8, 8
	;; [unrolled: 1-line block ×3, first 2 shown]
	s_set_vgpr_msb 64                       ;  msbs: dst=1 src0=0 src1=0 src2=0
	v_ashrrev_i32_e32 v43 /*v299*/, 24, v24
	s_set_vgpr_msb 4                        ;  msbs: dst=0 src0=0 src1=1 src2=0
	v_dot4_i32_iu8 v16, v240, v4 /*v260*/, v17 neg_lo:[1,1,0]
	v_perm_b32 v17, v134, v8 /*v264*/, 0x6040501
	s_set_vgpr_msb 0                        ;  msbs: dst=0 src0=0 src1=0 src2=0
	v_ashrrev_i32_e32 v239, 24, v21
	v_dot4_i32_iu8 v145, v11, v130, v152 neg_lo:[1,1,0]
	v_dot4_i32_iu8 v152, v15, v135, v167 neg_lo:[1,1,0]
	s_set_vgpr_msb 4                        ;  msbs: dst=0 src0=0 src1=1 src2=0
	v_dot4_i32_iu8 v16, v131, v2 /*v258*/, v16 neg_lo:[1,1,0]
	v_mul_i32_i24_e32 v161, v248, v23 /*v279*/
	s_set_vgpr_msb 0x45                     ;  msbs: dst=1 src0=1 src1=1 src2=0
	v_perm_b32 v12 /*v268*/, v12 /*v268*/, v12 /*v268*/, 0xc0c0c01
	s_set_vgpr_msb 64                       ;  msbs: dst=1 src0=0 src1=0 src2=0
	v_bfe_i32 v22 /*v278*/, v22, 0, 8
	v_ashrrev_i32_e32 v24 /*v280*/, 24, v22
	s_set_vgpr_msb 1                        ;  msbs: dst=0 src0=1 src1=0 src2=0
	v_dot4_i32_iu8 v150, v13 /*v269*/, v135, v16 neg_lo:[1,1,0]
	v_perm_b32 v16, v6 /*v262*/, v179, 0x6040501
	s_set_vgpr_msb 64                       ;  msbs: dst=1 src0=0 src1=0 src2=0
	v_bfe_i32 v21 /*v277*/, v22, 8, 8
	v_perm_b32 v38 /*v294*/, v27, v26, 0x6040503
	s_set_vgpr_msb 4                        ;  msbs: dst=0 src0=0 src1=1 src2=0
	v_mul_i32_i24_e32 v247, v247, v24 /*v280*/
	s_set_vgpr_msb 64                       ;  msbs: dst=1 src0=0 src1=0 src2=0
	v_perm_b32 v24 /*v280*/, v23, v136, 0x6040503
	s_set_vgpr_msb 0                        ;  msbs: dst=0 src0=0 src1=0 src2=0
	v_dot4_i32_iu8 v16, v17, v16, 0 neg_lo:[1,1,0]
	s_set_vgpr_msb 4                        ;  msbs: dst=0 src0=0 src1=1 src2=0
	v_perm_b32 v17, v178, v6 /*v262*/, 0x6040503
	s_set_vgpr_msb 1                        ;  msbs: dst=0 src0=1 src1=0 src2=0
	v_lshrrev_b16 v21, 8, v23
	v_mul_i32_i24_e32 v149, v21 /*v277*/, v244
	s_set_vgpr_msb 64                       ;  msbs: dst=1 src0=0 src1=0 src2=0
	v_bfe_i32 v21 /*v277*/, v141, 0, 8
	s_set_vgpr_msb 0                        ;  msbs: dst=0 src0=0 src1=0 src2=0
	v_perm_b32 v244, v141, v140, 0x6040503
	v_dot4_i32_iu8 v16, v151, v17, v16 neg_lo:[1,1,0]
	v_perm_b32 v17, v178, v178, 0xc0c0c03
	v_perm_b32 v151, v179, v179, 0x706000c
	v_bfe_i32 v21, v21, 0, 8
	s_set_vgpr_msb 64                       ;  msbs: dst=1 src0=0 src1=0 src2=0
	v_bfe_i32 v41 /*v297*/, v25, 8, 8
	v_ashrrev_i32_e32 v27 /*v283*/, 24, v25
	v_bfe_i32 v42 /*v298*/, v25, 0, 8
	v_or_b32_e32 v5 /*v261*/, v151, v17
	s_set_vgpr_msb 0                        ;  msbs: dst=0 src0=0 src1=0 src2=0
	v_perm_b32 v17, v138, v28, 0x6050401
	s_set_vgpr_msb 64                       ;  msbs: dst=1 src0=0 src1=0 src2=0
	v_bfe_i32 v44 /*v300*/, v24, 16, 8
	v_bfe_i32 v26 /*v282*/, v25, 16, 8
	v_bfe_i32 v23 /*v279*/, v23, 16, 8
	s_set_vgpr_msb 5                        ;  msbs: dst=0 src0=1 src1=1 src2=0
	v_dot4_i32_iu8 v16, v5 /*v261*/, v28 /*v284*/, v16 neg_lo:[1,1,0]
	s_set_vgpr_msb 64                       ;  msbs: dst=1 src0=0 src1=0 src2=0
	v_bfe_i32 v20 /*v276*/, v24, 8, 8
	v_bfe_i32 v25 /*v281*/, v24, 0, 8
	s_set_vgpr_msb 1                        ;  msbs: dst=0 src0=1 src1=0 src2=0
	v_ashrrev_i32_e32 v248, 24, v141
	v_dot4_i32_iu8 v151, v9 /*v265*/, v130, v16 neg_lo:[1,1,0]
	s_set_vgpr_msb 0                        ;  msbs: dst=0 src0=0 src1=0 src2=0
	v_perm_b32 v16, v26, v124, 0x6050401
	s_delay_alu instid0(VALU_DEP_1) | instskip(SKIP_1) | instid1(VALU_DEP_1)
	v_dot4_i32_iu8 v16, v17, v16, 0 neg_lo:[1,1,0]
	v_perm_b32 v17, v139, v26, 0x6040503
	v_dot4_i32_iu8 v16, v164, v17, v16 neg_lo:[1,1,0]
	v_dot4_i32_iu8 v17, v127, v7, v153 neg_lo:[1,1,0]
	ds_load_2addr_b32 v[168:169], v144 offset1:1
	ds_load_2addr_b32 v[174:175], v144 offset0:13 offset1:14
	ds_load_2addr_b32 v[164:165], v144 offset0:11 offset1:12
	;; [unrolled: 1-line block ×4, first 2 shown]
	s_set_vgpr_msb 1                        ;  msbs: dst=0 src0=1 src1=0 src2=0
	v_dot4_i32_iu8 v16, v29 /*v285*/, v228, v16 neg_lo:[1,1,0]
	s_set_vgpr_msb 64                       ;  msbs: dst=1 src0=0 src1=0 src2=0
	v_mul_lo_u32 v30 /*v286*/, v17, v242
	s_set_vgpr_msb 0                        ;  msbs: dst=0 src0=0 src1=0 src2=0
	v_perm_b32 v17, v136, v24, 0x6050401
	v_dot4_i32_iu8 v16, v29, v125, v16 neg_lo:[1,1,0]
	s_delay_alu instid0(VALU_DEP_1) | instskip(SKIP_2) | instid1(VALU_DEP_1)
	v_mul_lo_u32 v153, v16, v243
	v_perm_b32 v16, v22, v126, 0x6050401
	s_set_vgpr_msb 64                       ;  msbs: dst=1 src0=0 src1=0 src2=0
	v_dot4_i32_iu8 v31 /*v287*/, v17, v16, 0 neg_lo:[1,1,0]
	s_wait_dscnt 0x5
	s_set_vgpr_msb 0                        ;  msbs: dst=0 src0=0 src1=0 src2=0
	v_dual_mov_b32 v16, v30 :: v_dual_mov_b32 v17, v8
	v_mul_lo_u32 v8, v150, v239
	v_mul_lo_u32 v30, v145, v238
	s_wait_dscnt 0x2
	v_perm_b32 v234, v165, v165, 0x600010c
	s_set_vgpr_msb 1                        ;  msbs: dst=0 src0=1 src1=0 src2=0
	ds_load_2addr_b32 v[144:145], v19 /*v275*/ offset0:6 offset1:7
	s_set_vgpr_msb 4                        ;  msbs: dst=0 src0=0 src1=1 src2=0
	v_or_b32_e32 v14, v234, v32 /*v288*/
	s_set_vgpr_msb 0                        ;  msbs: dst=0 src0=0 src1=0 src2=0
	v_mad_u32 v8, v151, v238, v8
	v_mad_u32 v30, v152, v239, v30
	s_set_vgpr_msb 1                        ;  msbs: dst=0 src0=1 src1=0 src2=0
	v_mul_i32_i24_e32 v152, v22 /*v278*/, v245
	s_set_vgpr_msb 0                        ;  msbs: dst=0 src0=0 src1=0 src2=0
	v_perm_b32 v245, v137, v22, 0x6040503
	s_set_vgpr_msb 64                       ;  msbs: dst=1 src0=0 src1=0 src2=0
	v_bfe_i32 v22 /*v278*/, v141, 16, 8
	s_set_vgpr_msb 0x51                     ;  msbs: dst=1 src0=1 src1=0 src2=1
	s_delay_alu instid0(VALU_DEP_2)
	v_dot4_i32_iu8 v24 /*v280*/, v24 /*v280*/, v245, v31 /*v287*/ neg_lo:[1,1,0]
	s_set_vgpr_msb 0                        ;  msbs: dst=0 src0=0 src1=0 src2=0
	v_perm_b32 v245, v132, v141, 0x7060403
	v_perm_b32 v141, v24, v23, 0x7060403
	v_cvt_f32_i32_e32 v150, v8
	v_cvt_f32_i32_e32 v151, v30
	v_mov_b32_e32 v8, v31
	v_perm_b32 v30, v12, v175, 0x6040501
	v_perm_b32 v31, v174, v12, 0x6040503
	s_set_vgpr_msb 64                       ;  msbs: dst=1 src0=0 src1=0 src2=0
	v_bfe_i32 v31 /*v287*/, v133, 0, 8
	s_set_vgpr_msb 0                        ;  msbs: dst=0 src0=0 src1=0 src2=0
	v_dot4_i32_iu8 v14, v30, v14, 0 neg_lo:[1,1,0]
	v_perm_b32 v30, v13, v165, 0x6040503
	s_delay_alu instid0(VALU_DEP_1) | instskip(SKIP_2) | instid1(VALU_DEP_1)
	v_dot4_i32_iu8 v14, v31, v30, v14 neg_lo:[1,1,0]
	v_perm_b32 v30, v174, v174, 0xc0c0c03
	v_perm_b32 v31, v175, v175, 0x706000c
	v_or_b32_e32 v236, v31, v30
	s_wait_dscnt 0x2
	v_perm_b32 v30, v167, v167, 0xc0c0001
	v_perm_b32 v31, v166, v166, 0xc0c0001
	s_delay_alu instid0(VALU_DEP_3) | instskip(SKIP_1) | instid1(VALU_DEP_1)
	v_dot4_i32_iu8 v14, v172, v236, v14 neg_lo:[1,1,0]
	s_set_vgpr_msb 0x41                     ;  msbs: dst=1 src0=1 src1=0 src2=0
	v_dot4_i32_iu8 v34 /*v290*/, v33 /*v289*/, v30, v14 neg_lo:[1,1,0]
	s_wait_dscnt 0x1
	s_set_vgpr_msb 0                        ;  msbs: dst=0 src0=0 src1=0 src2=0
	v_bfe_i32 v14, v177, 8, 8
	v_bfe_i32 v30, v176, 16, 8
	s_delay_alu instid0(VALU_DEP_2) | instskip(NEXT) | instid1(VALU_DEP_1)
	v_mul_i32_i24_e32 v14, v14, v20
	v_dot4_i32_iu8 v14, v31, v230, v14 neg_lo:[1,1,0]
	v_perm_b32 v31, v166, v166, 0xc0c0302
	s_delay_alu instid0(VALU_DEP_1) | instskip(SKIP_1) | instid1(VALU_DEP_1)
	v_dot4_i32_iu8 v14, v231, v31, v14 neg_lo:[1,1,0]
	v_perm_b32 v31, v176, v176, 0xc0c0001
	v_dot4_i32_iu8 v14, v232, v31, v14 neg_lo:[1,1,0]
	v_perm_b32 v31, v1, v162, 0x6040503
	s_delay_alu instid0(VALU_DEP_2) | instskip(SKIP_1) | instid1(VALU_DEP_1)
	v_mad_i32_i24 v14, v30, v19, v14
	v_perm_b32 v30, v177, v176, 0xc0c0403
	v_dot4_i32_iu8 v14, v233, v30, v14 neg_lo:[1,1,0]
	v_perm_b32 v30, v177, v177, 0xc0c0302
	s_set_vgpr_msb 64                       ;  msbs: dst=1 src0=0 src1=0 src2=0
	s_delay_alu instid0(VALU_DEP_1) | instskip(SKIP_3) | instid1(VALU_DEP_2)
	v_dot4_i32_iu8 v35 /*v291*/, v10, v30, v14 neg_lo:[1,1,0]
	s_set_vgpr_msb 0                        ;  msbs: dst=0 src0=0 src1=0 src2=0
	v_perm_b32 v14, v162, v156, 0x6050401
	v_perm_b32 v30, v163, v0, 0x6040503
	v_dot4_i32_iu8 v14, v14, v235, 0 neg_lo:[1,1,0]
	s_delay_alu instid0(VALU_DEP_1) | instskip(SKIP_4) | instid1(VALU_DEP_2)
	v_dot4_i32_iu8 v14, v31, v30, v14 neg_lo:[1,1,0]
	v_perm_b32 v30, v156, v163, 0x7060403
	s_set_vgpr_msb 4                        ;  msbs: dst=0 src0=0 src1=1 src2=0
	v_perm_b32 v31, v148, v8 /*v264*/, 0x6040501
	s_set_vgpr_msb 64                       ;  msbs: dst=1 src0=0 src1=0 src2=0
	v_dot4_i32_iu8 v36 /*v292*/, v2, v30, v14 neg_lo:[1,1,0]
	s_set_vgpr_msb 0                        ;  msbs: dst=0 src0=0 src1=0 src2=0
	v_bfe_i32 v14, v158, 8, 8
	v_perm_b32 v30, v169, v169, 0xc0c0001
	s_delay_alu instid0(VALU_DEP_2) | instskip(NEXT) | instid1(VALU_DEP_1)
	v_mul_i32_i24_e32 v14, v14, v18
	v_dot4_i32_iu8 v14, v168, v4, v14 neg_lo:[1,1,0]
	s_delay_alu instid0(VALU_DEP_1) | instskip(SKIP_2) | instid1(VALU_DEP_1)
	v_dot4_i32_iu8 v14, v237, v30, v14 neg_lo:[1,1,0]
	v_perm_b32 v30, v169, v169, 0xc0c0302
	s_set_vgpr_msb 1                        ;  msbs: dst=0 src0=1 src1=0 src2=0
	v_dot4_i32_iu8 v14, v1 /*v257*/, v30, v14 neg_lo:[1,1,0]
	s_set_vgpr_msb 0                        ;  msbs: dst=0 src0=0 src1=0 src2=0
	v_perm_b32 v30, v158, v158, 0xc030200
	s_set_vgpr_msb 0x44                     ;  msbs: dst=1 src0=0 src1=1 src2=0
	s_delay_alu instid0(VALU_DEP_1)
	v_dot4_i32_iu8 v37 /*v293*/, v30, v14 /*v270*/, v14 neg_lo:[1,1,0]
	s_set_vgpr_msb 1                        ;  msbs: dst=0 src0=1 src1=0 src2=0
	v_perm_b32 v14, v10 /*v266*/, v33, 0x6040503
	s_set_vgpr_msb 4                        ;  msbs: dst=0 src0=0 src1=1 src2=0
	v_or_b32_e32 v30, v252, v12 /*v268*/
	s_set_vgpr_msb 0                        ;  msbs: dst=0 src0=0 src1=0 src2=0
	s_delay_alu instid0(VALU_DEP_1) | instskip(SKIP_3) | instid1(VALU_DEP_2)
	v_dot4_i32_iu8 v14, v30, v14, 0 neg_lo:[1,1,0]
	s_set_vgpr_msb 1                        ;  msbs: dst=0 src0=1 src1=0 src2=0
	v_perm_b32 v30, v6 /*v262*/, v146, 0x6040501
	s_set_vgpr_msb 0                        ;  msbs: dst=0 src0=0 src1=0 src2=0
	v_dot4_i32_iu8 v14, v240, v253, v14 neg_lo:[1,1,0]
	s_delay_alu instid0(VALU_DEP_2)
	v_dot4_i32_iu8 v30, v31, v30, 0 neg_lo:[1,1,0]
	s_set_vgpr_msb 5                        ;  msbs: dst=0 src0=1 src1=1 src2=0
	v_perm_b32 v31, v7 /*v263*/, v6 /*v262*/, 0x6040503
	s_set_vgpr_msb 0                        ;  msbs: dst=0 src0=0 src1=0 src2=0
	v_perm_b32 v240, v143, v142, 0x6040503
	v_dot4_i32_iu8 v14, v254, v131, v14 neg_lo:[1,1,0]
	s_delay_alu instid0(VALU_DEP_3) | instskip(SKIP_2) | instid1(VALU_DEP_2)
	v_dot4_i32_iu8 v30, v255, v31, v30 neg_lo:[1,1,0]
	v_perm_b32 v31, v142, v28, 0x6050401
	s_set_vgpr_msb 5                        ;  msbs: dst=0 src0=1 src1=1 src2=0
	v_dot4_i32_iu8 v32, v0 /*v256*/, v28 /*v284*/, v30 neg_lo:[1,1,0]
	s_set_vgpr_msb 0                        ;  msbs: dst=0 src0=0 src1=0 src2=0
	v_perm_b32 v30, v26, v128, 0x6050401
	s_delay_alu instid0(VALU_DEP_1)
	v_dot4_i32_iu8 v30, v31, v30, 0 neg_lo:[1,1,0]
	v_perm_b32 v31, v5, v4, 0x6040503
	v_perm_b32 v5, v6, v5, 0x7060403
	;; [unrolled: 1-line block ×3, first 2 shown]
	s_set_vgpr_msb 4                        ;  msbs: dst=0 src0=0 src1=1 src2=0
	v_dot4_i32_iu8 v30, v240, v38 /*v294*/, v30 neg_lo:[1,1,0]
	s_set_vgpr_msb 16                       ;  msbs: dst=0 src0=0 src1=0 src2=1
	v_dot4_i32_iu8 v31, v244, v31, v16 /*v272*/ neg_lo:[1,1,0]
	s_set_vgpr_msb 64                       ;  msbs: dst=1 src0=0 src1=0 src2=0
	v_bfe_i32 v16 /*v272*/, v23, 0, 8
	s_set_vgpr_msb 16                       ;  msbs: dst=0 src0=0 src1=0 src2=1
	v_dot4_i32_iu8 v6, v141, v6, v24 /*v280*/ neg_lo:[1,1,0]
	s_set_vgpr_msb 4                        ;  msbs: dst=0 src0=0 src1=1 src2=0
	v_dot4_i32_iu8 v143, v241, v29 /*v285*/, v30 neg_lo:[1,1,0]
	v_bfe_i32 v30, v160, 0, 8
	s_set_vgpr_msb 0                        ;  msbs: dst=0 src0=0 src1=0 src2=0
	v_dot4_i32_iu8 v5, v245, v5, v31 neg_lo:[1,1,0]
	v_dot4_i32_iu8 v6, v25, v127, v6 neg_lo:[1,1,0]
	s_set_vgpr_msb 64                       ;  msbs: dst=1 src0=0 src1=0 src2=0
	v_bfe_i32 v29 /*v285*/, v133, 8, 8
	s_set_vgpr_msb 0                        ;  msbs: dst=0 src0=0 src1=0 src2=0
	v_ashrrev_i32_e32 v160, 24, v23
	v_mul_i32_i24_e32 v21, v21, v30
	v_dot4_i32_iu8 v30, v125, v3, v229 neg_lo:[1,1,0]
	v_mad_u32 v6, v6, v242, v153
	s_set_vgpr_msb 1                        ;  msbs: dst=0 src0=1 src1=0 src2=0
	v_mul_i32_i24_e32 v153, v27 /*v283*/, v251
	s_set_vgpr_msb 0                        ;  msbs: dst=0 src0=0 src1=0 src2=0
	v_perm_b32 v251, v147, v147, 0x7060001
	v_dot4_i32_iu8 v5, v133, v7, v5 neg_lo:[1,1,0]
	s_set_vgpr_msb 16                       ;  msbs: dst=0 src0=0 src1=0 src2=1
	v_mad_u32 v30, v30, v243, v30 /*v286*/
	s_delay_alu instid0(VALU_DEP_1) | instskip(SKIP_4) | instid1(VALU_DEP_2)
	v_cvt_f32_i32_e32 v31, v30
	v_cvt_f32_i32_e32 v30, v6
	s_set_vgpr_msb 5                        ;  msbs: dst=0 src0=1 src1=1 src2=0
	v_mul_i32_i24_e32 v6, v44 /*v300*/, v40 /*v296*/
	s_set_vgpr_msb 0                        ;  msbs: dst=0 src0=0 src1=0 src2=0
	v_pk_fma_f32 v[30:31], v[16:17], v[30:31], 0 op_sel_hi:[1,1,0]
	s_set_vgpr_msb 5                        ;  msbs: dst=0 src0=1 src1=1 src2=0
	s_delay_alu instid0(VALU_DEP_2)
	v_mad_i32_i24 v6, v16 /*v272*/, v21 /*v277*/, v6
	s_set_vgpr_msb 64                       ;  msbs: dst=1 src0=0 src1=0 src2=0
	v_perm_b32 v16 /*v272*/, v15, v15, 0xc0c0302
	s_set_vgpr_msb 16                       ;  msbs: dst=0 src0=0 src1=0 src2=1
	v_add3_u32 v15, v35, v155, v15 /*v271*/
	s_set_vgpr_msb 0                        ;  msbs: dst=0 src0=0 src1=0 src2=0
	v_pk_fma_f32 v[30:31], v[8:9], v[150:151], v[30:31]
	s_set_vgpr_msb 5                        ;  msbs: dst=0 src0=1 src1=1 src2=0
	v_mul_i32_i24_e32 v150, v41 /*v297*/, v29 /*v285*/
	s_set_vgpr_msb 1                        ;  msbs: dst=0 src0=1 src1=0 src2=0
	v_mul_i32_i24_e32 v151, v26 /*v282*/, v250
	s_set_vgpr_msb 0                        ;  msbs: dst=0 src0=0 src1=0 src2=0
	v_perm_b32 v250, v170, v34, 0x5040203
	v_pk_fma_f32 v[70:71], v[116:117], v[30:31], v[70:71]
	s_set_vgpr_msb 5                        ;  msbs: dst=0 src0=1 src1=1 src2=0
	v_mul_i32_i24_e32 v30, v43 /*v299*/, v39 /*v295*/
	v_mul_i32_i24_e32 v31, v42 /*v298*/, v31 /*v287*/
	s_set_vgpr_msb 0                        ;  msbs: dst=0 src0=0 src1=0 src2=0
	v_mad_i32_i24 v150, v160, v248, v150
	s_set_vgpr_msb 5                        ;  msbs: dst=0 src0=1 src1=1 src2=0
	s_delay_alu instid0(VALU_DEP_2) | instskip(SKIP_1) | instid1(VALU_DEP_2)
	v_mad_i32_i24 v31, v23 /*v279*/, v22 /*v278*/, v31
	s_set_vgpr_msb 0                        ;  msbs: dst=0 src0=0 src1=0 src2=0
	v_add3_u32 v21, v21, v30, v150
	s_set_vgpr_msb 1                        ;  msbs: dst=0 src0=1 src1=0 src2=0
	v_mad_i32_i24 v30, v25 /*v281*/, v249, v151
	s_set_vgpr_msb 0                        ;  msbs: dst=0 src0=0 src1=0 src2=0
	s_delay_alu instid0(VALU_DEP_2) | instskip(SKIP_4) | instid1(VALU_DEP_2)
	v_add3_u32 v6, v6, v31, v21
	s_set_vgpr_msb 1                        ;  msbs: dst=0 src0=1 src1=0 src2=0
	v_mad_i32_i24 v21, v20 /*v276*/, v246, v149
	s_set_vgpr_msb 0                        ;  msbs: dst=0 src0=0 src1=0 src2=0
	v_perm_b32 v31, v11, v11, 0xc0c0302
	v_add3_u32 v6, v6, v152, v21
	v_add3_u32 v21, v161, v247, v30
	ds_load_b32 v30, v154
	v_add3_u32 v6, v6, v21, v153
	s_wait_dscnt 0x0
	v_bfe_i32 v248, v30, 8, 8
	v_bfe_i32 v249, v30, 0, 8
	;; [unrolled: 1-line block ×3, first 2 shown]
	v_ashrrev_i32_e32 v247, 24, v30
	s_set_vgpr_msb 5                        ;  msbs: dst=0 src0=1 src1=1 src2=0
	v_perm_b32 v30, v13 /*v269*/, v13 /*v269*/, 0x3020001
	s_set_vgpr_msb 0                        ;  msbs: dst=0 src0=0 src1=0 src2=0
	v_mul_lo_u32 v5, v5, v249
	s_delay_alu instid0(VALU_DEP_2) | instskip(SKIP_1) | instid1(VALU_DEP_1)
	v_dot4_i32_iu8 v30, v30, v250, v14 neg_lo:[1,1,0]
	v_perm_b32 v14, v147, v147, 0xc0c0302
	v_dot4_i32_iu8 v31, v31, v14, v173 neg_lo:[1,1,0]
	v_perm_b32 v14, v170, v170, 0xc0c0100
	v_mad_u32 v5, v15, v248, v5
	s_set_vgpr_msb 1                        ;  msbs: dst=0 src0=1 src1=0 src2=0
	s_delay_alu instid0(VALU_DEP_2) | instskip(SKIP_3) | instid1(VALU_DEP_1)
	v_dot4_i32_iu8 v34, v16 /*v272*/, v14, v171 neg_lo:[1,1,0]
	s_set_vgpr_msb 5                        ;  msbs: dst=0 src0=1 src1=1 src2=0
	v_perm_b32 v14, v9 /*v265*/, v9 /*v265*/, 0x3020001
	s_set_vgpr_msb 0                        ;  msbs: dst=0 src0=0 src1=0 src2=0
	v_dot4_i32_iu8 v32, v14, v251, v32 neg_lo:[1,1,0]
	v_dot4_i32_iu8 v14, v29, v129, v143 neg_lo:[1,1,0]
	v_cvt_f32_i32_e32 v15, v5
	v_mul_lo_u32 v5, v30, v247
	s_delay_alu instid0(VALU_DEP_3) | instskip(NEXT) | instid1(VALU_DEP_2)
	v_mul_lo_u32 v14, v14, v248
	v_mad_u32 v5, v32, v246, v5
	s_delay_alu instid0(VALU_DEP_2) | instskip(NEXT) | instid1(VALU_DEP_2)
	v_mad_u32 v6, v6, v249, v14
	v_cvt_f32_i32_e32 v30, v5
	s_delay_alu instid0(VALU_DEP_2) | instskip(SKIP_1) | instid1(VALU_DEP_2)
	v_cvt_f32_i32_e32 v14, v6
	v_mul_lo_u32 v6, v31, v246
	v_pk_fma_f32 v[14:15], v[16:17], v[14:15], 0 op_sel_hi:[1,1,0]
	s_delay_alu instid0(VALU_DEP_2)
	v_mad_u32 v6, v34, v247, v6
	s_set_vgpr_msb 1                        ;  msbs: dst=0 src0=1 src1=0 src2=0
	ds_load_2addr_b32 v[160:161], v19 /*v275*/ offset0:4 offset1:5
	ds_load_2addr_b32 v[34:35], v19 /*v275*/ offset0:2 offset1:3
	ds_load_2addr_b32 v[154:155], v19 /*v275*/ offset1:1
	ds_load_2addr_b32 v[170:171], v19 /*v275*/ offset0:13 offset1:14
	ds_load_2addr_b32 v[150:151], v19 /*v275*/ offset0:11 offset1:12
	;; [unrolled: 1-line block ×3, first 2 shown]
	s_set_vgpr_msb 0                        ;  msbs: dst=0 src0=0 src1=0 src2=0
	v_cvt_f32_i32_e32 v31, v6
	s_wait_dscnt 0x5
	v_perm_b32 v0, v161, v0, 0x6040503
	v_perm_b32 v1, v1, v160, 0x6040503
	s_delay_alu instid0(VALU_DEP_3)
	v_pk_fma_f32 v[14:15], v[8:9], v[30:31], v[14:15]
	s_wait_dscnt 0x2
	v_perm_b32 v5, v12, v171, 0x6040501
	s_wait_dscnt 0x1
	v_perm_b32 v149, v151, v151, 0x600010c
	v_perm_b32 v12, v170, v12, 0x6040503
	;; [unrolled: 1-line block ×3, first 2 shown]
	v_pk_fma_f32 v[68:69], v[118:119], v[14:15], v[68:69]
	v_perm_b32 v14, v23, v168, 0x6040503
	s_set_vgpr_msb 4                        ;  msbs: dst=0 src0=0 src1=1 src2=0
	v_or_b32_e32 v6, v149, v32 /*v288*/
	s_set_vgpr_msb 0                        ;  msbs: dst=0 src0=0 src1=0 src2=0
	s_delay_alu instid0(VALU_DEP_1) | instskip(SKIP_3) | instid1(VALU_DEP_2)
	v_dot4_i32_iu8 v5, v5, v6, 0 neg_lo:[1,1,0]
	v_perm_b32 v6, v13, v151, 0x6040503
	s_wait_dscnt 0x0
	v_perm_b32 v13, v152, v152, 0xc0c0001
	v_dot4_i32_iu8 v5, v12, v6, v5 neg_lo:[1,1,0]
	v_perm_b32 v6, v170, v170, 0xc0c0c03
	v_perm_b32 v12, v171, v171, 0x706000c
	s_delay_alu instid0(VALU_DEP_1) | instskip(SKIP_1) | instid1(VALU_DEP_2)
	v_or_b32_e32 v229, v12, v6
	v_perm_b32 v6, v153, v153, 0xc0c0001
	v_dot4_i32_iu8 v5, v172, v229, v5 neg_lo:[1,1,0]
	s_set_vgpr_msb 1                        ;  msbs: dst=0 src0=1 src1=0 src2=0
	ds_load_2addr_b32 v[172:173], v19 /*v275*/ offset0:9 offset1:10
	v_dot4_i32_iu8 v6, v33 /*v289*/, v6, v5 neg_lo:[1,1,0]
	s_wait_dscnt 0x0
	s_set_vgpr_msb 0                        ;  msbs: dst=0 src0=0 src1=0 src2=0
	v_bfe_i32 v5, v173, 8, 8
	v_bfe_i32 v12, v172, 16, 8
	s_delay_alu instid0(VALU_DEP_2) | instskip(NEXT) | instid1(VALU_DEP_1)
	v_mul_i32_i24_e32 v5, v5, v20
	v_dot4_i32_iu8 v5, v13, v230, v5 neg_lo:[1,1,0]
	v_perm_b32 v13, v152, v152, 0xc0c0302
	s_delay_alu instid0(VALU_DEP_1) | instskip(SKIP_1) | instid1(VALU_DEP_1)
	v_dot4_i32_iu8 v5, v231, v13, v5 neg_lo:[1,1,0]
	v_perm_b32 v13, v172, v172, 0xc0c0001
	v_dot4_i32_iu8 v5, v232, v13, v5 neg_lo:[1,1,0]
	v_perm_b32 v13, v28, v163, 0x7060403
	s_delay_alu instid0(VALU_DEP_2) | instskip(SKIP_1) | instid1(VALU_DEP_1)
	v_mad_i32_i24 v5, v12, v19, v5
	v_perm_b32 v12, v173, v172, 0xc0c0403
	v_dot4_i32_iu8 v5, v233, v12, v5 neg_lo:[1,1,0]
	v_perm_b32 v12, v173, v173, 0xc0c0302
	s_delay_alu instid0(VALU_DEP_1) | instskip(SKIP_1) | instid1(VALU_DEP_2)
	v_dot4_i32_iu8 v10, v10, v12, v5 neg_lo:[1,1,0]
	v_perm_b32 v5, v160, v144, 0x6050401
	v_dot4_i32_iu8 v10, v11, v150, v10 neg_lo:[1,1,0]
	s_delay_alu instid0(VALU_DEP_2) | instskip(SKIP_1) | instid1(VALU_DEP_2)
	v_dot4_i32_iu8 v5, v5, v235, 0 neg_lo:[1,1,0]
	v_perm_b32 v235, v163, v162, 0x6040503
	v_dot4_i32_iu8 v0, v1, v0, v5 neg_lo:[1,1,0]
	v_perm_b32 v1, v144, v161, 0x7060403
	s_set_vgpr_msb 1                        ;  msbs: dst=0 src0=1 src1=0 src2=0
	v_perm_b32 v5, v7 /*v263*/, v166, 0x6040503
	s_set_vgpr_msb 0                        ;  msbs: dst=0 src0=0 src1=0 src2=0
	s_delay_alu instid0(VALU_DEP_2) | instskip(SKIP_2) | instid1(VALU_DEP_3)
	v_dot4_i32_iu8 v2, v2, v1, v0 neg_lo:[1,1,0]
	v_bfe_i32 v0, v34, 8, 8
	v_perm_b32 v1, v155, v155, 0xc0c0001
	v_dot4_i32_iu8 v2, v145, v3, v2 neg_lo:[1,1,0]
	s_delay_alu instid0(VALU_DEP_3) | instskip(NEXT) | instid1(VALU_DEP_1)
	v_mul_i32_i24_e32 v0, v0, v18
	v_dot4_i32_iu8 v0, v154, v4, v0 neg_lo:[1,1,0]
	s_set_vgpr_msb 1                        ;  msbs: dst=0 src0=1 src1=0 src2=0
	v_perm_b32 v4, v11 /*v267*/, v165, 0x6040503
	s_set_vgpr_msb 0                        ;  msbs: dst=0 src0=0 src1=0 src2=0
	s_delay_alu instid0(VALU_DEP_2) | instskip(SKIP_2) | instid1(VALU_DEP_1)
	v_dot4_i32_iu8 v0, v237, v1, v0 neg_lo:[1,1,0]
	v_perm_b32 v1, v155, v155, 0xc0c0302
	s_set_vgpr_msb 1                        ;  msbs: dst=0 src0=1 src1=0 src2=0
	v_dot4_i32_iu8 v0, v1 /*v257*/, v1, v0 neg_lo:[1,1,0]
	s_set_vgpr_msb 0                        ;  msbs: dst=0 src0=0 src1=0 src2=0
	v_perm_b32 v1, v34, v34, 0xc030200
	s_set_vgpr_msb 4                        ;  msbs: dst=0 src0=0 src1=1 src2=0
	s_delay_alu instid0(VALU_DEP_1)
	v_dot4_i32_iu8 v12, v1, v14 /*v270*/, v0 neg_lo:[1,1,0]
	s_set_vgpr_msb 1                        ;  msbs: dst=0 src0=1 src1=0 src2=0
	v_perm_b32 v0, v10 /*v266*/, v175, 0x6040501
	s_set_vgpr_msb 4                        ;  msbs: dst=0 src0=0 src1=1 src2=0
	v_or_b32_e32 v1, v234, v12 /*v268*/
	s_set_vgpr_msb 0                        ;  msbs: dst=0 src0=0 src1=0 src2=0
	s_delay_alu instid0(VALU_DEP_1) | instskip(SKIP_3) | instid1(VALU_DEP_1)
	v_dot4_i32_iu8 v0, v1, v0, 0 neg_lo:[1,1,0]
	s_set_vgpr_msb 4                        ;  msbs: dst=0 src0=0 src1=1 src2=0
	v_perm_b32 v1, v174, v10 /*v266*/, 0x6040503
	s_set_vgpr_msb 0                        ;  msbs: dst=0 src0=0 src1=0 src2=0
	v_dot4_i32_iu8 v0, v4, v1, v0 neg_lo:[1,1,0]
	s_set_vgpr_msb 1                        ;  msbs: dst=0 src0=1 src1=0 src2=0
	v_perm_b32 v1, v6 /*v262*/, v177, 0x6040501
	s_set_vgpr_msb 4                        ;  msbs: dst=0 src0=0 src1=1 src2=0
	v_perm_b32 v4, v166, v8 /*v264*/, 0x6040501
	s_set_vgpr_msb 0                        ;  msbs: dst=0 src0=0 src1=0 src2=0
	v_dot4_i32_iu8 v0, v236, v131, v0 neg_lo:[1,1,0]
	s_delay_alu instid0(VALU_DEP_2) | instskip(SKIP_3) | instid1(VALU_DEP_1)
	v_dot4_i32_iu8 v1, v4, v1, 0 neg_lo:[1,1,0]
	s_set_vgpr_msb 4                        ;  msbs: dst=0 src0=0 src1=1 src2=0
	v_perm_b32 v4, v176, v6 /*v262*/, 0x6040503
	s_set_vgpr_msb 0                        ;  msbs: dst=0 src0=0 src1=0 src2=0
	v_dot4_i32_iu8 v1, v5, v4, v1 neg_lo:[1,1,0]
	v_perm_b32 v4, v176, v176, 0xc0c0c03
	v_perm_b32 v5, v177, v177, 0x706000c
	s_set_vgpr_msb 64                       ;  msbs: dst=1 src0=0 src1=0 src2=0
	s_delay_alu instid0(VALU_DEP_1)
	v_or_b32_e32 v1 /*v257*/, v5, v4
	s_set_vgpr_msb 0                        ;  msbs: dst=0 src0=0 src1=0 src2=0
	v_perm_b32 v4, v26, v156, 0x6050401
	v_perm_b32 v5, v162, v28, 0x6050401
	s_set_vgpr_msb 5                        ;  msbs: dst=0 src0=1 src1=1 src2=0
	v_dot4_i32_iu8 v1, v1 /*v257*/, v28 /*v284*/, v1 neg_lo:[1,1,0]
	s_set_vgpr_msb 0                        ;  msbs: dst=0 src0=0 src1=0 src2=0
	s_delay_alu instid0(VALU_DEP_2)
	v_dot4_i32_iu8 v4, v5, v4, 0 neg_lo:[1,1,0]
	v_perm_b32 v5, v156, v27, 0x7060403
	s_set_vgpr_msb 1                        ;  msbs: dst=0 src0=1 src1=0 src2=0
	v_dot4_i32_iu8 v15, v9 /*v265*/, v164, v1 neg_lo:[1,1,0]
	s_set_vgpr_msb 16                       ;  msbs: dst=0 src0=0 src1=0 src2=1
	v_dot4_i32_iu8 v1, v159, v7, v37 /*v293*/ neg_lo:[1,1,0]
	s_set_vgpr_msb 4                        ;  msbs: dst=0 src0=0 src1=1 src2=0
	v_dot4_i32_iu8 v4, v235, v38 /*v294*/, v4 neg_lo:[1,1,0]
	s_set_vgpr_msb 0                        ;  msbs: dst=0 src0=0 src1=0 src2=0
	s_delay_alu instid0(VALU_DEP_1) | instskip(SKIP_2) | instid1(VALU_DEP_1)
	v_dot4_i32_iu8 v4, v13, v5, v4 neg_lo:[1,1,0]
	v_perm_b32 v5, v22, v158, 0x6050401
	v_perm_b32 v13, v168, v24, 0x6050401
	v_dot4_i32_iu8 v5, v13, v5, 0 neg_lo:[1,1,0]
	v_perm_b32 v13, v169, v22, 0x6040503
	s_delay_alu instid0(VALU_DEP_1)
	v_dot4_i32_iu8 v5, v14, v13, v5 neg_lo:[1,1,0]
	v_perm_b32 v13, v158, v169, 0x7060403
	s_set_vgpr_msb 1                        ;  msbs: dst=0 src0=1 src1=0 src2=0
	v_dot4_i32_iu8 v14, v13 /*v269*/, v167, v0 neg_lo:[1,1,0]
	s_set_vgpr_msb 0                        ;  msbs: dst=0 src0=0 src1=0 src2=0
	v_perm_b32 v0, v167, v167, 0xc0c0302
	v_dot4_i32_iu8 v5, v141, v13, v5 neg_lo:[1,1,0]
	s_set_vgpr_msb 17                       ;  msbs: dst=0 src0=1 src1=0 src2=1
	ds_load_b32 v13, v17 /*v273*/
	v_dot4_i32_iu8 v18, v16 /*v272*/, v0, v34 /*v290*/ neg_lo:[1,1,0]
	s_set_vgpr_msb 0                        ;  msbs: dst=0 src0=0 src1=0 src2=0
	v_dot4_i32_iu8 v0, v29, v157, v4 neg_lo:[1,1,0]
	v_dot4_i32_iu8 v4, v25, v159, v5 neg_lo:[1,1,0]
	s_set_vgpr_msb 16                       ;  msbs: dst=0 src0=0 src1=0 src2=1
	v_dot4_i32_iu8 v5, v157, v3, v36 /*v292*/ neg_lo:[1,1,0]
	s_wait_dscnt 0x0
	v_bfe_i32 v232, v13, 0, 8
	v_bfe_i32 v233, v13, 8, 8
	v_ashrrev_i32_e32 v230, 24, v13
	v_bfe_i32 v231, v13, 16, 8
	v_dot4_i32_iu8 v13, v11, v164, v35 /*v291*/ neg_lo:[1,1,0]
	v_mul_lo_u32 v1, v1, v232
	v_mul_lo_u32 v0, v0, v233
	s_set_vgpr_msb 0                        ;  msbs: dst=0 src0=0 src1=0 src2=0
	s_delay_alu instid0(VALU_DEP_2) | instskip(NEXT) | instid1(VALU_DEP_2)
	v_mad_u32 v1, v5, v233, v1
	v_mad_u32 v0, v4, v232, v0
	v_mul_lo_u32 v4, v13, v231
	v_mul_lo_u32 v5, v14, v230
	v_perm_b32 v14, v23, v154, 0x6040503
	v_cvt_f32_i32_e32 v1, v1
	v_cvt_f32_i32_e32 v0, v0
	v_mad_u32 v13, v18, v230, v4
	v_mad_u32 v4, v15, v231, v5
	s_delay_alu instid0(VALU_DEP_3) | instskip(NEXT) | instid1(VALU_DEP_3)
	v_pk_fma_f32 v[0:1], v[16:17], v[0:1], 0 op_sel_hi:[1,1,0]
	v_cvt_f32_i32_e32 v5, v13
	s_delay_alu instid0(VALU_DEP_3) | instskip(SKIP_1) | instid1(VALU_DEP_2)
	v_cvt_f32_i32_e32 v4, v4
	v_perm_b32 v13, v28, v161, 0x7060403
	v_pk_fma_f32 v[0:1], v[8:9], v[4:5], v[0:1]
	s_set_vgpr_msb 1                        ;  msbs: dst=0 src0=1 src1=0 src2=0
	v_perm_b32 v4, v11 /*v267*/, v151, 0x6040503
	v_perm_b32 v5, v7 /*v263*/, v152, 0x6040503
	s_set_vgpr_msb 64                       ;  msbs: dst=1 src0=0 src1=0 src2=0
	v_perm_b32 v7 /*v263*/, v169, v168, 0x6040503
	s_set_vgpr_msb 0                        ;  msbs: dst=0 src0=0 src1=0 src2=0
	v_pk_fma_f32 v[66:67], v[120:121], v[0:1], v[66:67]
	s_set_vgpr_msb 1                        ;  msbs: dst=0 src0=1 src1=0 src2=0
	v_perm_b32 v0, v10 /*v266*/, v171, 0x6040501
	s_set_vgpr_msb 4                        ;  msbs: dst=0 src0=0 src1=1 src2=0
	v_or_b32_e32 v1, v149, v12 /*v268*/
	s_set_vgpr_msb 0                        ;  msbs: dst=0 src0=0 src1=0 src2=0
	s_delay_alu instid0(VALU_DEP_1) | instskip(SKIP_3) | instid1(VALU_DEP_1)
	v_dot4_i32_iu8 v0, v1, v0, 0 neg_lo:[1,1,0]
	s_set_vgpr_msb 4                        ;  msbs: dst=0 src0=0 src1=1 src2=0
	v_perm_b32 v1, v170, v10 /*v266*/, 0x6040503
	s_set_vgpr_msb 0                        ;  msbs: dst=0 src0=0 src1=0 src2=0
	v_dot4_i32_iu8 v0, v4, v1, v0 neg_lo:[1,1,0]
	s_set_vgpr_msb 1                        ;  msbs: dst=0 src0=1 src1=0 src2=0
	v_perm_b32 v1, v6 /*v262*/, v173, 0x6040501
	s_set_vgpr_msb 4                        ;  msbs: dst=0 src0=0 src1=1 src2=0
	v_perm_b32 v4, v152, v8 /*v264*/, 0x6040501
	s_set_vgpr_msb 64                       ;  msbs: dst=1 src0=0 src1=0 src2=0
	v_perm_b32 v8 /*v264*/, v137, v136, 0x6040503
	s_set_vgpr_msb 0                        ;  msbs: dst=0 src0=0 src1=0 src2=0
	v_dot4_i32_iu8 v0, v229, v131, v0 neg_lo:[1,1,0]
	v_dot4_i32_iu8 v1, v4, v1, 0 neg_lo:[1,1,0]
	s_set_vgpr_msb 4                        ;  msbs: dst=0 src0=0 src1=1 src2=0
	v_perm_b32 v4, v172, v6 /*v262*/, 0x6040503
	s_set_vgpr_msb 64                       ;  msbs: dst=1 src0=0 src1=0 src2=0
	v_perm_b32 v6 /*v262*/, v155, v154, 0x6040503
	s_set_vgpr_msb 1                        ;  msbs: dst=0 src0=1 src1=0 src2=0
	v_dot4_i32_iu8 v11, v13 /*v269*/, v153, v0 neg_lo:[1,1,0]
	s_set_vgpr_msb 0                        ;  msbs: dst=0 src0=0 src1=0 src2=0
	v_perm_b32 v0, v153, v153, 0xc0c0302
	v_dot4_i32_iu8 v1, v5, v4, v1 neg_lo:[1,1,0]
	v_perm_b32 v4, v172, v172, 0xc0c0c03
	v_perm_b32 v5, v173, v173, 0x706000c
	s_set_vgpr_msb 1                        ;  msbs: dst=0 src0=1 src1=0 src2=0
	v_dot4_i32_iu8 v6, v16 /*v272*/, v0, v6 neg_lo:[1,1,0]
	s_set_vgpr_msb 0                        ;  msbs: dst=0 src0=0 src1=0 src2=0
	s_delay_alu instid0(VALU_DEP_2) | instskip(SKIP_2) | instid1(VALU_DEP_1)
	v_or_b32_e32 v237, v5, v4
	v_perm_b32 v4, v26, v144, 0x6050401
	v_perm_b32 v5, v160, v28, 0x6050401
	v_dot4_i32_iu8 v4, v5, v4, 0 neg_lo:[1,1,0]
	v_perm_b32 v5, v144, v27, 0x7060403
	s_set_vgpr_msb 4                        ;  msbs: dst=0 src0=0 src1=1 src2=0
	s_delay_alu instid0(VALU_DEP_2) | instskip(SKIP_1) | instid1(VALU_DEP_1)
	v_dot4_i32_iu8 v4, v147, v38 /*v294*/, v4 neg_lo:[1,1,0]
	s_set_vgpr_msb 0                        ;  msbs: dst=0 src0=0 src1=0 src2=0
	v_dot4_i32_iu8 v4, v13, v5, v4 neg_lo:[1,1,0]
	v_perm_b32 v5, v22, v34, 0x6050401
	v_perm_b32 v13, v154, v24, 0x6050401
	s_delay_alu instid0(VALU_DEP_3) | instskip(NEXT) | instid1(VALU_DEP_2)
	v_dot4_i32_iu8 v0, v29, v145, v4 neg_lo:[1,1,0]
	v_dot4_i32_iu8 v5, v13, v5, 0 neg_lo:[1,1,0]
	v_perm_b32 v13, v155, v22, 0x6040503
	s_delay_alu instid0(VALU_DEP_1) | instskip(SKIP_1) | instid1(VALU_DEP_1)
	v_dot4_i32_iu8 v5, v14, v13, v5 neg_lo:[1,1,0]
	v_perm_b32 v13, v34, v155, 0x7060403
	v_dot4_i32_iu8 v5, v141, v13, v5 neg_lo:[1,1,0]
	s_set_vgpr_msb 1                        ;  msbs: dst=0 src0=1 src1=0 src2=0
	ds_load_b32 v13, v18 /*v274*/
	s_set_vgpr_msb 0                        ;  msbs: dst=0 src0=0 src1=0 src2=0
	v_dot4_i32_iu8 v4, v25, v35, v5 neg_lo:[1,1,0]
	s_wait_dscnt 0x0
	v_ashrrev_i32_e32 v32, 24, v13
	s_set_vgpr_msb 4                        ;  msbs: dst=0 src0=0 src1=1 src2=0
	v_dot4_i32_iu8 v1, v237, v28 /*v284*/, v1 neg_lo:[1,1,0]
	v_bfe_i32 v141, v13, 0, 8
	v_bfe_i32 v143, v13, 8, 8
	;; [unrolled: 1-line block ×3, first 2 shown]
	s_set_vgpr_msb 0                        ;  msbs: dst=0 src0=0 src1=0 src2=0
	v_mul_lo_u32 v3, v11, v32
	s_set_vgpr_msb 1                        ;  msbs: dst=0 src0=1 src1=0 src2=0
	v_dot4_i32_iu8 v13, v9 /*v265*/, v150, v1 neg_lo:[1,1,0]
	s_set_vgpr_msb 0                        ;  msbs: dst=0 src0=0 src1=0 src2=0
	v_dot4_i32_iu8 v1, v35, v7, v12 neg_lo:[1,1,0]
	v_mul_lo_u32 v0, v0, v143
	s_delay_alu instid0(VALU_DEP_2) | instskip(NEXT) | instid1(VALU_DEP_2)
	v_mul_lo_u32 v1, v1, v141
	v_mad_u32 v0, v4, v141, v0
	s_delay_alu instid0(VALU_DEP_2) | instskip(SKIP_1) | instid1(VALU_DEP_3)
	v_mad_u32 v1, v2, v143, v1
	v_mul_lo_u32 v2, v10, v131
	v_cvt_f32_i32_e32 v0, v0
	s_delay_alu instid0(VALU_DEP_3) | instskip(NEXT) | instid1(VALU_DEP_3)
	v_cvt_f32_i32_e32 v1, v1
	v_mad_u32 v4, v6, v32, v2
	v_mad_u32 v2, v13, v131, v3
	s_delay_alu instid0(VALU_DEP_3) | instskip(NEXT) | instid1(VALU_DEP_3)
	v_pk_fma_f32 v[0:1], v[16:17], v[0:1], 0 op_sel_hi:[1,1,0]
	v_cvt_f32_i32_e32 v3, v4
	s_delay_alu instid0(VALU_DEP_3) | instskip(NEXT) | instid1(VALU_DEP_1)
	v_cvt_f32_i32_e32 v2, v2
	v_pk_fma_f32 v[0:1], v[8:9], v[2:3], v[0:1]
	s_delay_alu instid0(VALU_DEP_1) | instskip(SKIP_1) | instid1(VALU_DEP_1)
	v_pk_fma_f32 v[64:65], v[122:123], v[0:1], v[64:65]
	v_or_b32_e32 v0, s11, v208
	v_lshlrev_b32_e32 v12, 2, v0
	s_set_vgpr_msb 64                       ;  msbs: dst=1 src0=0 src1=0 src2=0
	v_lshrrev_b32_e32 v9 /*v265*/, 1, v0
	s_set_vgpr_msb 0                        ;  msbs: dst=0 src0=0 src1=0 src2=0
	ds_load_b128 v[4:7], v12 offset:33280
	ds_load_b128 v[0:3], v12 offset:33296
	;; [unrolled: 1-line block ×4, first 2 shown]
	s_wait_dscnt 0x3
	v_perm_b32 v22, v126, v5, 0x7060403
	s_wait_dscnt 0x2
	v_perm_b32 v21, v1, v138, 0x6040503
	;; [unrolled: 2-line block ×4, first 2 shown]
	v_perm_b32 v17, v13, v12, 0x6040503
	v_perm_b32 v18, v14, v13, 0x7060403
	;; [unrolled: 1-line block ×4, first 2 shown]
	s_set_vgpr_msb 4                        ;  msbs: dst=0 src0=0 src1=1 src2=0
	v_dot4_i32_iu8 v16, v16, v3 /*v259*/, 0 neg_lo:[1,1,0]
	s_set_vgpr_msb 0                        ;  msbs: dst=0 src0=0 src1=0 src2=0
	v_perm_b32 v14, v14, v14, 0xc0c0c01
	s_set_vgpr_msb 4                        ;  msbs: dst=0 src0=0 src1=1 src2=0
	s_delay_alu instid0(VALU_DEP_2) | instskip(SKIP_1) | instid1(VALU_DEP_1)
	v_dot4_i32_iu8 v16, v17, v4 /*v260*/, v16 neg_lo:[1,1,0]
	s_set_vgpr_msb 0x44                     ;  msbs: dst=1 src0=0 src1=1 src2=0
	v_dot4_i32_iu8 v10 /*v266*/, v18, v2 /*v258*/, v16 neg_lo:[1,1,0]
	s_set_vgpr_msb 0                        ;  msbs: dst=0 src0=0 src1=0 src2=0
	v_perm_b32 v16, v8, v179, 0x6040501
	s_set_vgpr_msb 0x50                     ;  msbs: dst=1 src0=0 src1=0 src2=1
	s_delay_alu instid0(VALU_DEP_2) | instskip(SKIP_1) | instid1(VALU_DEP_2)
	v_dot4_i32_iu8 v10 /*v266*/, v15, v135, v10 /*v266*/ neg_lo:[1,1,0]
	s_set_vgpr_msb 0                        ;  msbs: dst=0 src0=0 src1=0 src2=0
	v_dot4_i32_iu8 v16, v19, v16, 0 neg_lo:[1,1,0]
	v_perm_b32 v19, v178, v8, 0x6040503
	s_delay_alu instid0(VALU_DEP_1) | instskip(SKIP_3) | instid1(VALU_DEP_2)
	v_dot4_i32_iu8 v16, v20, v19, v16 neg_lo:[1,1,0]
	v_perm_b32 v19, v10, v9, 0x7060403
	v_perm_b32 v20, v138, v2, 0x6050401
	s_set_vgpr_msb 0x41                     ;  msbs: dst=1 src0=1 src1=0 src2=0
	v_dot4_i32_iu8 v11 /*v267*/, v5 /*v261*/, v19, v16 neg_lo:[1,1,0]
	s_set_vgpr_msb 0                        ;  msbs: dst=0 src0=0 src1=0 src2=0
	v_perm_b32 v16, v0, v124, 0x6050401
	s_set_vgpr_msb 0x50                     ;  msbs: dst=1 src0=0 src1=0 src2=1
	s_delay_alu instid0(VALU_DEP_2) | instskip(SKIP_1) | instid1(VALU_DEP_2)
	v_dot4_i32_iu8 v11 /*v267*/, v11, v130, v11 /*v267*/ neg_lo:[1,1,0]
	s_set_vgpr_msb 0                        ;  msbs: dst=0 src0=0 src1=0 src2=0
	v_dot4_i32_iu8 v16, v20, v16, 0 neg_lo:[1,1,0]
	v_perm_b32 v20, v139, v0, 0x6040503
	s_delay_alu instid0(VALU_DEP_1) | instskip(SKIP_3) | instid1(VALU_DEP_2)
	v_dot4_i32_iu8 v16, v21, v20, v16 neg_lo:[1,1,0]
	v_perm_b32 v20, v2, v1, 0x7060403
	v_perm_b32 v21, v136, v6, 0x6050401
	s_set_vgpr_msb 64                       ;  msbs: dst=1 src0=0 src1=0 src2=0
	v_dot4_i32_iu8 v12 /*v268*/, v20, v228, v16 neg_lo:[1,1,0]
	s_set_vgpr_msb 0                        ;  msbs: dst=0 src0=0 src1=0 src2=0
	v_perm_b32 v16, v4, v126, 0x6050401
	s_delay_alu instid0(VALU_DEP_1) | instskip(SKIP_2) | instid1(VALU_DEP_1)
	v_dot4_i32_iu8 v16, v21, v16, 0 neg_lo:[1,1,0]
	v_perm_b32 v21, v5, v4, 0x6040503
	s_set_vgpr_msb 1                        ;  msbs: dst=0 src0=1 src1=0 src2=0
	v_dot4_i32_iu8 v16, v8 /*v264*/, v21, v16 neg_lo:[1,1,0]
	s_set_vgpr_msb 64                       ;  msbs: dst=1 src0=0 src1=0 src2=0
	s_delay_alu instid0(VALU_DEP_1) | instskip(SKIP_3) | instid1(VALU_DEP_1)
	v_dot4_i32_iu8 v13 /*v269*/, v23, v22, v16 neg_lo:[1,1,0]
	s_set_vgpr_msb 0                        ;  msbs: dst=0 src0=0 src1=0 src2=0
	v_perm_b32 v16, v12, v33, 0x6040503
	v_or_b32_e32 v22, v252, v14
	v_dot4_i32_iu8 v16, v22, v16, 0 neg_lo:[1,1,0]
	v_perm_b32 v22, v13, v165, 0x6040503
	v_perm_b32 v13, v13, v151, 0x6040503
	s_delay_alu instid0(VALU_DEP_3) | instskip(SKIP_2) | instid1(VALU_DEP_2)
	v_dot4_i32_iu8 v16, v17, v253, v16 neg_lo:[1,1,0]
	v_perm_b32 v17, v148, v10, 0x6040501
	s_set_vgpr_msb 64                       ;  msbs: dst=1 src0=0 src1=0 src2=0
	v_dot4_i32_iu8 v14 /*v270*/, v254, v18, v16 neg_lo:[1,1,0]
	s_set_vgpr_msb 0                        ;  msbs: dst=0 src0=0 src1=0 src2=0
	v_perm_b32 v16, v8, v146, 0x6040501
	s_delay_alu instid0(VALU_DEP_1) | instskip(SKIP_1) | instid1(VALU_DEP_1)
	v_dot4_i32_iu8 v16, v17, v16, 0 neg_lo:[1,1,0]
	v_perm_b32 v17, v9, v8, 0x6040503
	v_dot4_i32_iu8 v16, v255, v17, v16 neg_lo:[1,1,0]
	v_perm_b32 v17, v142, v2, 0x6050401
	s_set_vgpr_msb 0x41                     ;  msbs: dst=1 src0=1 src1=0 src2=0
	s_delay_alu instid0(VALU_DEP_2) | instskip(SKIP_2) | instid1(VALU_DEP_1)
	v_dot4_i32_iu8 v15 /*v271*/, v0 /*v256*/, v19, v16 neg_lo:[1,1,0]
	s_set_vgpr_msb 0                        ;  msbs: dst=0 src0=0 src1=0 src2=0
	v_perm_b32 v16, v0, v128, 0x6050401
	v_dot4_i32_iu8 v16, v17, v16, 0 neg_lo:[1,1,0]
	v_perm_b32 v17, v1, v0, 0x6040503
	s_delay_alu instid0(VALU_DEP_1) | instskip(SKIP_1) | instid1(VALU_DEP_1)
	v_dot4_i32_iu8 v16, v240, v17, v16 neg_lo:[1,1,0]
	s_set_vgpr_msb 64                       ;  msbs: dst=1 src0=0 src1=0 src2=0
	v_dot4_i32_iu8 v16 /*v272*/, v241, v20, v16 neg_lo:[1,1,0]
	s_set_vgpr_msb 0                        ;  msbs: dst=0 src0=0 src1=0 src2=0
	v_perm_b32 v16, v4, v132, 0x6050401
	v_perm_b32 v20, v140, v6, 0x6050401
	s_delay_alu instid0(VALU_DEP_1) | instskip(SKIP_1) | instid1(VALU_DEP_2)
	v_dot4_i32_iu8 v16, v20, v16, 0 neg_lo:[1,1,0]
	v_perm_b32 v20, v6, v5, 0x7060403
	v_dot4_i32_iu8 v16, v244, v21, v16 neg_lo:[1,1,0]
	s_set_vgpr_msb 64                       ;  msbs: dst=1 src0=0 src1=0 src2=0
	s_delay_alu instid0(VALU_DEP_1) | instskip(SKIP_4) | instid1(VALU_DEP_2)
	v_dot4_i32_iu8 v17 /*v273*/, v245, v20, v16 neg_lo:[1,1,0]
	s_set_vgpr_msb 0                        ;  msbs: dst=0 src0=0 src1=0 src2=0
	v_perm_b32 v16, v12, v175, 0x6040501
	v_or_b32_e32 v20, v234, v14
	v_or_b32_e32 v14, v149, v14
	v_dot4_i32_iu8 v16, v20, v16, 0 neg_lo:[1,1,0]
	v_perm_b32 v20, v174, v12, 0x6040503
	s_delay_alu instid0(VALU_DEP_1)
	v_dot4_i32_iu8 v16, v22, v20, v16 neg_lo:[1,1,0]
	v_perm_b32 v20, v166, v10, 0x6040501
	v_perm_b32 v22, v9, v166, 0x6040503
	;; [unrolled: 1-line block ×4, first 2 shown]
	s_set_vgpr_msb 64                       ;  msbs: dst=1 src0=0 src1=0 src2=0
	v_dot4_i32_iu8 v18 /*v274*/, v236, v18, v16 neg_lo:[1,1,0]
	s_set_vgpr_msb 0                        ;  msbs: dst=0 src0=0 src1=0 src2=0
	v_perm_b32 v16, v8, v177, 0x6040501
	s_delay_alu instid0(VALU_DEP_1) | instskip(SKIP_1) | instid1(VALU_DEP_1)
	v_dot4_i32_iu8 v16, v20, v16, 0 neg_lo:[1,1,0]
	v_perm_b32 v20, v176, v8, 0x6040503
	v_dot4_i32_iu8 v16, v22, v20, v16 neg_lo:[1,1,0]
	v_perm_b32 v20, v162, v2, 0x6050401
	v_perm_b32 v22, v2, v163, 0x7060403
	s_set_vgpr_msb 0x41                     ;  msbs: dst=1 src0=1 src1=0 src2=0
	s_delay_alu instid0(VALU_DEP_3) | instskip(SKIP_3) | instid1(VALU_DEP_2)
	v_dot4_i32_iu8 v19 /*v275*/, v1 /*v257*/, v19, v16 neg_lo:[1,1,0]
	s_set_vgpr_msb 0                        ;  msbs: dst=0 src0=0 src1=0 src2=0
	v_perm_b32 v16, v0, v156, 0x6050401
	v_perm_b32 v0, v0, v144, 0x6050401
	v_dot4_i32_iu8 v16, v20, v16, 0 neg_lo:[1,1,0]
	v_perm_b32 v20, v156, v1, 0x7060403
	v_perm_b32 v1, v144, v1, 0x7060403
	s_delay_alu instid0(VALU_DEP_3) | instskip(SKIP_1) | instid1(VALU_DEP_1)
	v_dot4_i32_iu8 v16, v235, v17, v16 neg_lo:[1,1,0]
	s_set_vgpr_msb 64                       ;  msbs: dst=1 src0=0 src1=0 src2=0
	v_dot4_i32_iu8 v20 /*v276*/, v22, v20, v16 neg_lo:[1,1,0]
	s_set_vgpr_msb 0                        ;  msbs: dst=0 src0=0 src1=0 src2=0
	v_perm_b32 v16, v4, v158, 0x6050401
	v_perm_b32 v20, v168, v6, 0x6050401
	;; [unrolled: 1-line block ×3, first 2 shown]
	s_delay_alu instid0(VALU_DEP_2) | instskip(SKIP_2) | instid1(VALU_DEP_2)
	v_dot4_i32_iu8 v16, v20, v16, 0 neg_lo:[1,1,0]
	v_perm_b32 v20, v158, v5, 0x7060403
	s_set_vgpr_msb 1                        ;  msbs: dst=0 src0=1 src1=0 src2=0
	v_dot4_i32_iu8 v16, v7 /*v263*/, v21, v16 neg_lo:[1,1,0]
	s_set_vgpr_msb 64                       ;  msbs: dst=1 src0=0 src1=0 src2=0
	s_delay_alu instid0(VALU_DEP_1) | instskip(SKIP_3) | instid1(VALU_DEP_2)
	v_dot4_i32_iu8 v21 /*v277*/, v22, v20, v16 neg_lo:[1,1,0]
	s_set_vgpr_msb 0                        ;  msbs: dst=0 src0=0 src1=0 src2=0
	v_perm_b32 v16, v12, v171, 0x6040501
	v_perm_b32 v12, v170, v12, 0x6040503
	v_dot4_i32_iu8 v14, v14, v16, 0 neg_lo:[1,1,0]
	s_delay_alu instid0(VALU_DEP_1) | instskip(NEXT) | instid1(VALU_DEP_1)
	v_dot4_i32_iu8 v12, v13, v12, v14 neg_lo:[1,1,0]
	v_dot4_i32_iu8 v14, v229, v18, v12 neg_lo:[1,1,0]
	v_perm_b32 v12, v8, v173, 0x6040501
	v_perm_b32 v8, v172, v8, 0x6040503
	s_delay_alu instid0(VALU_DEP_2) | instskip(NEXT) | instid1(VALU_DEP_1)
	v_dot4_i32_iu8 v10, v10, v12, 0 neg_lo:[1,1,0]
	v_dot4_i32_iu8 v8, v9, v8, v10 neg_lo:[1,1,0]
	s_delay_alu instid0(VALU_DEP_1) | instskip(SKIP_2) | instid1(VALU_DEP_3)
	v_dot4_i32_iu8 v10, v237, v19, v8 neg_lo:[1,1,0]
	v_perm_b32 v8, v160, v2, 0x6050401
	v_perm_b32 v2, v2, v161, 0x7060403
	v_dot4_i32_iu8 v10, v11, v150, v10 neg_lo:[1,1,0]
	s_delay_alu instid0(VALU_DEP_3) | instskip(NEXT) | instid1(VALU_DEP_1)
	v_dot4_i32_iu8 v0, v8, v0, 0 neg_lo:[1,1,0]
	v_dot4_i32_iu8 v0, v147, v17, v0 neg_lo:[1,1,0]
	s_delay_alu instid0(VALU_DEP_1) | instskip(SKIP_3) | instid1(VALU_DEP_4)
	v_dot4_i32_iu8 v2, v2, v1, v0 neg_lo:[1,1,0]
	v_perm_b32 v0, v4, v34, 0x6050401
	v_perm_b32 v1, v154, v6, 0x6050401
	;; [unrolled: 1-line block ×3, first 2 shown]
	v_dot4_i32_iu8 v2, v3, v145, v2 neg_lo:[1,1,0]
	s_delay_alu instid0(VALU_DEP_3) | instskip(SKIP_2) | instid1(VALU_DEP_2)
	v_dot4_i32_iu8 v0, v1, v0, 0 neg_lo:[1,1,0]
	v_perm_b32 v1, v34, v5, 0x7060403
	s_set_vgpr_msb 1                        ;  msbs: dst=0 src0=1 src1=0 src2=0
	v_dot4_i32_iu8 v0, v6 /*v262*/, v21, v0 neg_lo:[1,1,0]
	s_set_vgpr_msb 0                        ;  msbs: dst=0 src0=0 src1=0 src2=0
	s_delay_alu instid0(VALU_DEP_1) | instskip(SKIP_1) | instid1(VALU_DEP_2)
	v_dot4_i32_iu8 v6, v4, v1, v0 neg_lo:[1,1,0]
	v_or_b32_e32 v0, s11, v209
	v_dot4_i32_iu8 v6, v7, v35, v6 neg_lo:[1,1,0]
	s_delay_alu instid0(VALU_DEP_2)
	v_lshlrev_b32_e32 v1, 2, v0
	ds_load_b128 v[16:19], v1 offset:33280
	ds_load_b128 v[20:23], v1 offset:33296
	;; [unrolled: 1-line block ×4, first 2 shown]
	v_lshrrev_b32_e32 v4, 1, v0
	v_mul_lo_u32 v6, v6, v141
	s_delay_alu instid0(VALU_DEP_1)
	v_mad_u32 v2, v2, v143, v6
	v_mul_lo_u32 v6, v10, v131
	s_wait_dscnt 0x3
	s_set_vgpr_msb 64                       ;  msbs: dst=1 src0=0 src1=0 src2=0
	v_perm_b32 v26 /*v282*/, v17, v16, 0x6040503
	s_wait_dscnt 0x2
	v_perm_b32 v25 /*v281*/, v22, v21, 0x7060403
	s_wait_dscnt 0x1
	s_set_vgpr_msb 0                        ;  msbs: dst=0 src0=0 src1=0 src2=0
	v_perm_b32 v1, v134, v26, 0x6040501
	s_wait_dscnt 0x0
	v_perm_b32 v0, v28, v30, 0x6040501
	s_set_vgpr_msb 64                       ;  msbs: dst=1 src0=0 src1=0 src2=0
	v_perm_b32 v22 /*v278*/, v29, v28, 0x6040503
	v_perm_b32 v23 /*v279*/, v30, v29, 0x7060403
	s_set_vgpr_msb 0                        ;  msbs: dst=0 src0=0 src1=0 src2=0
	v_perm_b32 v5, v25, v134, 0x6040503
	s_set_vgpr_msb 64                       ;  msbs: dst=1 src0=0 src1=0 src2=0
	v_perm_b32 v24 /*v280*/, v26, v25, 0x7060403
	s_set_vgpr_msb 4                        ;  msbs: dst=0 src0=0 src1=1 src2=0
	v_dot4_i32_iu8 v0, v0, v3 /*v259*/, 0 neg_lo:[1,1,0]
	s_set_vgpr_msb 0                        ;  msbs: dst=0 src0=0 src1=0 src2=0
	v_perm_b32 v30, v30, v30, 0xc0c0c01
	s_set_vgpr_msb 5                        ;  msbs: dst=0 src0=1 src1=1 src2=0
	s_delay_alu instid0(VALU_DEP_2) | instskip(NEXT) | instid1(VALU_DEP_1)
	v_dot4_i32_iu8 v0, v22 /*v278*/, v4 /*v260*/, v0 neg_lo:[1,1,0]
	v_dot4_i32_iu8 v8, v23 /*v279*/, v2 /*v258*/, v0 neg_lo:[1,1,0]
	s_set_vgpr_msb 0                        ;  msbs: dst=0 src0=0 src1=0 src2=0
	v_perm_b32 v0, v24, v179, 0x6040501
	s_delay_alu instid0(VALU_DEP_1) | instskip(SKIP_1) | instid1(VALU_DEP_1)
	v_dot4_i32_iu8 v0, v1, v0, 0 neg_lo:[1,1,0]
	v_perm_b32 v1, v178, v24, 0x6040503
	v_dot4_i32_iu8 v0, v5, v1, v0 neg_lo:[1,1,0]
	v_perm_b32 v1, v138, v22, 0x6050401
	v_perm_b32 v5, v21, v138, 0x6040503
	s_set_vgpr_msb 5                        ;  msbs: dst=0 src0=1 src1=1 src2=0
	s_delay_alu instid0(VALU_DEP_3) | instskip(SKIP_3) | instid1(VALU_DEP_2)
	v_dot4_i32_iu8 v9, v5 /*v261*/, v24 /*v280*/, v0 neg_lo:[1,1,0]
	s_set_vgpr_msb 0                        ;  msbs: dst=0 src0=0 src1=0 src2=0
	v_perm_b32 v0, v20, v124, 0x6050401
	s_set_vgpr_msb 64                       ;  msbs: dst=1 src0=0 src1=0 src2=0
	v_dot4_i32_iu8 v27 /*v283*/, v27, v130, v9 neg_lo:[1,1,0]
	s_set_vgpr_msb 16                       ;  msbs: dst=0 src0=0 src1=0 src2=1
	s_delay_alu instid0(VALU_DEP_2) | instskip(SKIP_3) | instid1(VALU_DEP_2)
	v_dot4_i32_iu8 v0, v1, v0, 0 neg_lo:[1,1,0]
	v_perm_b32 v1, v139, v20, 0x6040503
	v_dot4_i32_iu8 v9, v7, v127, v13 /*v269*/ neg_lo:[1,1,0]
	s_set_vgpr_msb 0                        ;  msbs: dst=0 src0=0 src1=0 src2=0
	v_dot4_i32_iu8 v0, v5, v1, v0 neg_lo:[1,1,0]
	v_perm_b32 v1, v136, v18, 0x6050401
	v_perm_b32 v5, v18, v137, 0x7060403
	v_mul_lo_u32 v9, v9, v242
	s_set_vgpr_msb 1                        ;  msbs: dst=0 src0=1 src1=0 src2=0
	v_dot4_i32_iu8 v12, v25 /*v281*/, v228, v0 neg_lo:[1,1,0]
	s_set_vgpr_msb 0                        ;  msbs: dst=0 src0=0 src1=0 src2=0
	v_perm_b32 v0, v16, v126, 0x6050401
	s_delay_alu instid0(VALU_DEP_1) | instskip(SKIP_2) | instid1(VALU_DEP_2)
	v_dot4_i32_iu8 v0, v1, v0, 0 neg_lo:[1,1,0]
	v_perm_b32 v1, v126, v17, 0x7060403
	s_set_vgpr_msb 5                        ;  msbs: dst=0 src0=1 src1=1 src2=0
	v_dot4_i32_iu8 v0, v8 /*v264*/, v26 /*v282*/, v0 neg_lo:[1,1,0]
	s_set_vgpr_msb 0                        ;  msbs: dst=0 src0=0 src1=0 src2=0
	s_delay_alu instid0(VALU_DEP_1)
	v_dot4_i32_iu8 v13, v5, v1, v0 neg_lo:[1,1,0]
	s_set_vgpr_msb 1                        ;  msbs: dst=0 src0=1 src1=0 src2=0
	ds_load_b64 v[0:1], v9 /*v265*/ offset:43584
	s_set_vgpr_msb 0                        ;  msbs: dst=0 src0=0 src1=0 src2=0
	ds_load_b64 v[4:5], v4 offset:43584
	s_set_vgpr_msb 64                       ;  msbs: dst=1 src0=0 src1=0 src2=0
	v_dot4_i32_iu8 v9 /*v265*/, v31, v135, v8 neg_lo:[1,1,0]
	s_set_vgpr_msb 0                        ;  msbs: dst=0 src0=0 src1=0 src2=0
	v_dot4_i32_iu8 v8, v23, v125, v12 neg_lo:[1,1,0]
	s_set_vgpr_msb 16                       ;  msbs: dst=0 src0=0 src1=0 src2=1
	v_dot4_i32_iu8 v12, v3, v125, v12 /*v268*/ neg_lo:[1,1,0]
	s_set_vgpr_msb 0                        ;  msbs: dst=0 src0=0 src1=0 src2=0
	v_dot4_i32_iu8 v13, v19, v127, v13 neg_lo:[1,1,0]
	v_mul_lo_u32 v8, v8, v243
	s_delay_alu instid0(VALU_DEP_3) | instskip(NEXT) | instid1(VALU_DEP_2)
	v_mad_u32 v9, v12, v243, v9
	v_mad_u32 v8, v13, v242, v8
	s_wait_dscnt 0x0
	v_dual_mov_b32 v13, v0 :: v_dual_mov_b32 v12, v4
	s_set_vgpr_msb 1                        ;  msbs: dst=0 src0=1 src1=0 src2=0
	v_mul_lo_u32 v0, v11 /*v267*/, v238
	v_mul_lo_u32 v4, v9 /*v265*/, v239
	s_set_vgpr_msb 0                        ;  msbs: dst=0 src0=0 src1=0 src2=0
	v_cvt_f32_i32_e32 v9, v9
	s_set_vgpr_msb 64                       ;  msbs: dst=1 src0=0 src1=0 src2=0
	v_perm_b32 v9 /*v265*/, v21, v20, 0x6040503
	s_set_vgpr_msb 0                        ;  msbs: dst=0 src0=0 src1=0 src2=0
	v_cvt_f32_i32_e32 v8, v8
	s_set_vgpr_msb 1                        ;  msbs: dst=0 src0=1 src1=0 src2=0
	v_mad_u32 v0, v10 /*v266*/, v239, v0
	v_mad_u32 v4, v27 /*v283*/, v238, v4
	s_set_vgpr_msb 0                        ;  msbs: dst=0 src0=0 src1=0 src2=0
	v_pk_fma_f32 v[8:9], v[12:13], v[8:9], 0 op_sel_hi:[1,1,0]
	s_set_vgpr_msb 64                       ;  msbs: dst=1 src0=0 src1=0 src2=0
	s_delay_alu instid0(VALU_DEP_3) | instskip(NEXT) | instid1(VALU_DEP_3)
	v_cvt_f32_i32_e32 v11 /*v267*/, v0
	v_cvt_f32_i32_e32 v10 /*v266*/, v4
	s_set_vgpr_msb 4                        ;  msbs: dst=0 src0=0 src1=1 src2=0
	v_mov_b32_e32 v0, v5
	s_delay_alu instid0(VALU_DEP_1)
	v_pk_fma_f32 v[4:5], v[0:1], v[10:11] /*v[266:267]*/, v[8:9]
	s_set_vgpr_msb 0                        ;  msbs: dst=0 src0=0 src1=0 src2=0
	v_perm_b32 v8, v148, v26, 0x6040501
	v_perm_b32 v9, v142, v22, 0x6050401
	s_set_vgpr_msb 64                       ;  msbs: dst=1 src0=0 src1=0 src2=0
	v_perm_b32 v10 /*v266*/, v140, v18, 0x6050401
	s_set_vgpr_msb 0                        ;  msbs: dst=0 src0=0 src1=0 src2=0
	v_pk_fma_f32 v[62:63], v[116:117], v[4:5], v[62:63]
	v_perm_b32 v4, v28, v33, 0x6040503
	v_or_b32_e32 v5, v252, v30
	s_delay_alu instid0(VALU_DEP_1) | instskip(SKIP_2) | instid1(VALU_DEP_2)
	v_dot4_i32_iu8 v4, v5, v4, 0 neg_lo:[1,1,0]
	v_perm_b32 v5, v24, v146, 0x6040501
	s_set_vgpr_msb 1                        ;  msbs: dst=0 src0=1 src1=0 src2=0
	v_dot4_i32_iu8 v4, v22 /*v278*/, v253, v4 neg_lo:[1,1,0]
	s_set_vgpr_msb 0                        ;  msbs: dst=0 src0=0 src1=0 src2=0
	s_delay_alu instid0(VALU_DEP_2) | instskip(SKIP_4) | instid1(VALU_DEP_2)
	v_dot4_i32_iu8 v5, v8, v5, 0 neg_lo:[1,1,0]
	v_perm_b32 v8, v25, v24, 0x6040503
	s_set_vgpr_msb 4                        ;  msbs: dst=0 src0=0 src1=1 src2=0
	v_dot4_i32_iu8 v4, v254, v23 /*v279*/, v4 neg_lo:[1,1,0]
	s_set_vgpr_msb 0                        ;  msbs: dst=0 src0=0 src1=0 src2=0
	v_dot4_i32_iu8 v5, v255, v8, v5 neg_lo:[1,1,0]
	v_perm_b32 v8, v20, v128, 0x6050401
	s_set_vgpr_msb 5                        ;  msbs: dst=0 src0=1 src1=1 src2=0
	s_delay_alu instid0(VALU_DEP_2) | instskip(SKIP_1) | instid1(VALU_DEP_2)
	v_dot4_i32_iu8 v5, v0 /*v256*/, v24 /*v280*/, v5 neg_lo:[1,1,0]
	s_set_vgpr_msb 0                        ;  msbs: dst=0 src0=0 src1=0 src2=0
	v_dot4_i32_iu8 v8, v9, v8, 0 neg_lo:[1,1,0]
	v_perm_b32 v9, v16, v132, 0x6050401
	s_set_vgpr_msb 4                        ;  msbs: dst=0 src0=0 src1=1 src2=0
	s_delay_alu instid0(VALU_DEP_2) | instskip(SKIP_1) | instid1(VALU_DEP_2)
	v_dot4_i32_iu8 v8, v240, v9 /*v265*/, v8 neg_lo:[1,1,0]
	s_set_vgpr_msb 1                        ;  msbs: dst=0 src0=1 src1=0 src2=0
	v_dot4_i32_iu8 v9, v10 /*v266*/, v9, 0 neg_lo:[1,1,0]
	s_set_vgpr_msb 64                       ;  msbs: dst=1 src0=0 src1=0 src2=0
	v_perm_b32 v10 /*v266*/, v18, v17, 0x7060403
	s_set_vgpr_msb 4                        ;  msbs: dst=0 src0=0 src1=1 src2=0
	v_dot4_i32_iu8 v8, v241, v25 /*v281*/, v8 neg_lo:[1,1,0]
	v_dot4_i32_iu8 v9, v244, v26 /*v282*/, v9 neg_lo:[1,1,0]
	s_delay_alu instid0(VALU_DEP_1) | instskip(SKIP_3) | instid1(VALU_DEP_2)
	v_dot4_i32_iu8 v9, v245, v10 /*v266*/, v9 neg_lo:[1,1,0]
	s_set_vgpr_msb 64                       ;  msbs: dst=1 src0=0 src1=0 src2=0
	v_perm_b32 v10 /*v266*/, v31, v31, 0x3020001
	s_set_vgpr_msb 0                        ;  msbs: dst=0 src0=0 src1=0 src2=0
	v_dot4_i32_iu8 v9, v19, v133, v9 neg_lo:[1,1,0]
	s_set_vgpr_msb 0x41                     ;  msbs: dst=1 src0=1 src1=0 src2=0
	s_delay_alu instid0(VALU_DEP_2) | instskip(SKIP_3) | instid1(VALU_DEP_1)
	v_dot4_i32_iu8 v10 /*v266*/, v10 /*v266*/, v250, v4 neg_lo:[1,1,0]
	s_set_vgpr_msb 0                        ;  msbs: dst=0 src0=0 src1=0 src2=0
	v_perm_b32 v4, v11, v11, 0x3020001
	s_set_vgpr_msb 0x50                     ;  msbs: dst=1 src0=0 src1=0 src2=1
	v_dot4_i32_iu8 v11 /*v267*/, v4, v251, v15 /*v271*/ neg_lo:[1,1,0]
	s_set_vgpr_msb 0                        ;  msbs: dst=0 src0=0 src1=0 src2=0
	v_perm_b32 v4, v15, v15, 0x3020001
	s_set_vgpr_msb 0x50                     ;  msbs: dst=1 src0=0 src1=0 src2=1
	s_delay_alu instid0(VALU_DEP_1) | instskip(SKIP_3) | instid1(VALU_DEP_1)
	v_dot4_i32_iu8 v12 /*v268*/, v4, v250, v14 /*v270*/ neg_lo:[1,1,0]
	s_set_vgpr_msb 0                        ;  msbs: dst=0 src0=0 src1=0 src2=0
	v_perm_b32 v4, v27, v27, 0x3020001
	s_set_vgpr_msb 64                       ;  msbs: dst=1 src0=0 src1=0 src2=0
	v_dot4_i32_iu8 v13 /*v269*/, v4, v251, v5 neg_lo:[1,1,0]
	s_set_vgpr_msb 0                        ;  msbs: dst=0 src0=0 src1=0 src2=0
	v_dot4_i32_iu8 v4, v23, v129, v8 neg_lo:[1,1,0]
	s_set_vgpr_msb 16                       ;  msbs: dst=0 src0=0 src1=0 src2=1
	v_dot4_i32_iu8 v5, v7, v133, v17 /*v273*/ neg_lo:[1,1,0]
	v_dot4_i32_iu8 v8, v3, v129, v16 /*v272*/ neg_lo:[1,1,0]
	s_delay_alu instid0(VALU_DEP_3) | instskip(NEXT) | instid1(VALU_DEP_3)
	v_mul_lo_u32 v4, v4, v248
	v_mul_lo_u32 v5, v5, v249
	s_set_vgpr_msb 0                        ;  msbs: dst=0 src0=0 src1=0 src2=0
	s_delay_alu instid0(VALU_DEP_2) | instskip(NEXT) | instid1(VALU_DEP_2)
	v_mad_u32 v4, v9, v249, v4
	v_mad_u32 v5, v8, v248, v5
	s_set_vgpr_msb 1                        ;  msbs: dst=0 src0=1 src1=0 src2=0
	v_mul_lo_u32 v8, v11 /*v267*/, v246
	v_mul_lo_u32 v9, v10 /*v266*/, v247
	s_set_vgpr_msb 64                       ;  msbs: dst=1 src0=0 src1=0 src2=0
	v_perm_b32 v11 /*v267*/, v18, v169, 0x7060403
	s_set_vgpr_msb 0                        ;  msbs: dst=0 src0=0 src1=0 src2=0
	v_cvt_f32_i32_e32 v4, v4
	v_cvt_f32_i32_e32 v5, v5
	s_set_vgpr_msb 1                        ;  msbs: dst=0 src0=1 src1=0 src2=0
	v_mad_u32 v8, v12 /*v268*/, v247, v8
	s_set_vgpr_msb 0x41                     ;  msbs: dst=1 src0=1 src1=0 src2=0
	v_mad_u32 v10 /*v266*/, v13 /*v269*/, v246, v9
	s_set_vgpr_msb 0x50                     ;  msbs: dst=1 src0=0 src1=0 src2=1
	v_dot4_i32_iu8 v12 /*v268*/, v15, v167, v18 /*v274*/ neg_lo:[1,1,0]
	s_set_vgpr_msb 0                        ;  msbs: dst=0 src0=0 src1=0 src2=0
	v_pk_fma_f32 v[4:5], v[12:13], v[4:5], 0 op_sel_hi:[1,1,0]
	s_delay_alu instid0(VALU_DEP_4) | instskip(SKIP_1) | instid1(VALU_DEP_4)
	v_cvt_f32_i32_e32 v9, v8
	s_set_vgpr_msb 1                        ;  msbs: dst=0 src0=1 src1=0 src2=0
	v_cvt_f32_i32_e32 v8, v10 /*v266*/
	s_set_vgpr_msb 64                       ;  msbs: dst=1 src0=0 src1=0 src2=0
	v_perm_b32 v10 /*v266*/, v22, v163, 0x7060403
	s_set_vgpr_msb 0                        ;  msbs: dst=0 src0=0 src1=0 src2=0
	s_delay_alu instid0(VALU_DEP_2) | instskip(SKIP_2) | instid1(VALU_DEP_3)
	v_pk_fma_f32 v[4:5], v[0:1], v[8:9], v[4:5]
	v_perm_b32 v8, v29, v165, 0x6040503
	v_perm_b32 v9, v25, v166, 0x6040503
	v_pk_fma_f32 v[60:61], v[118:119], v[4:5], v[60:61]
	v_perm_b32 v4, v28, v175, 0x6040501
	v_or_b32_e32 v5, v234, v30
	s_delay_alu instid0(VALU_DEP_1) | instskip(SKIP_1) | instid1(VALU_DEP_1)
	v_dot4_i32_iu8 v4, v5, v4, 0 neg_lo:[1,1,0]
	v_perm_b32 v5, v174, v28, 0x6040503
	v_dot4_i32_iu8 v4, v8, v5, v4 neg_lo:[1,1,0]
	v_perm_b32 v5, v24, v177, 0x6040501
	v_perm_b32 v8, v166, v26, 0x6040501
	s_set_vgpr_msb 4                        ;  msbs: dst=0 src0=0 src1=1 src2=0
	s_delay_alu instid0(VALU_DEP_3) | instskip(SKIP_1) | instid1(VALU_DEP_2)
	v_dot4_i32_iu8 v4, v236, v23 /*v279*/, v4 neg_lo:[1,1,0]
	s_set_vgpr_msb 0                        ;  msbs: dst=0 src0=0 src1=0 src2=0
	v_dot4_i32_iu8 v5, v8, v5, 0 neg_lo:[1,1,0]
	v_perm_b32 v8, v176, v24, 0x6040503
	s_delay_alu instid0(VALU_DEP_1) | instskip(SKIP_3) | instid1(VALU_DEP_3)
	v_dot4_i32_iu8 v5, v9, v8, v5 neg_lo:[1,1,0]
	v_perm_b32 v8, v20, v156, 0x6050401
	v_perm_b32 v9, v162, v22, 0x6050401
	s_set_vgpr_msb 5                        ;  msbs: dst=0 src0=1 src1=1 src2=0
	v_dot4_i32_iu8 v5, v1 /*v257*/, v24 /*v280*/, v5 neg_lo:[1,1,0]
	s_set_vgpr_msb 0                        ;  msbs: dst=0 src0=0 src1=0 src2=0
	s_delay_alu instid0(VALU_DEP_2)
	v_dot4_i32_iu8 v8, v9, v8, 0 neg_lo:[1,1,0]
	v_perm_b32 v9, v156, v21, 0x7060403
	s_set_vgpr_msb 64                       ;  msbs: dst=1 src0=0 src1=0 src2=0
	v_dot4_i32_iu8 v13 /*v269*/, v27, v164, v5 neg_lo:[1,1,0]
	s_set_vgpr_msb 16                       ;  msbs: dst=0 src0=0 src1=0 src2=1
	v_dot4_i32_iu8 v5, v7, v159, v21 /*v277*/ neg_lo:[1,1,0]
	s_set_vgpr_msb 4                        ;  msbs: dst=0 src0=0 src1=1 src2=0
	v_dot4_i32_iu8 v8, v235, v9 /*v265*/, v8 neg_lo:[1,1,0]
	s_set_vgpr_msb 0                        ;  msbs: dst=0 src0=0 src1=0 src2=0
	s_delay_alu instid0(VALU_DEP_2) | instskip(SKIP_1) | instid1(VALU_DEP_2)
	v_mul_lo_u32 v5, v5, v232
	s_set_vgpr_msb 1                        ;  msbs: dst=0 src0=1 src1=0 src2=0
	v_dot4_i32_iu8 v8, v10 /*v266*/, v9, v8 neg_lo:[1,1,0]
	s_set_vgpr_msb 0                        ;  msbs: dst=0 src0=0 src1=0 src2=0
	v_perm_b32 v9, v16, v158, 0x6050401
	s_set_vgpr_msb 64                       ;  msbs: dst=1 src0=0 src1=0 src2=0
	v_perm_b32 v10 /*v266*/, v168, v18, 0x6050401
	s_set_vgpr_msb 1                        ;  msbs: dst=0 src0=1 src1=0 src2=0
	s_delay_alu instid0(VALU_DEP_1) | instskip(SKIP_3) | instid1(VALU_DEP_2)
	v_dot4_i32_iu8 v9, v10 /*v266*/, v9, 0 neg_lo:[1,1,0]
	s_set_vgpr_msb 64                       ;  msbs: dst=1 src0=0 src1=0 src2=0
	v_perm_b32 v10 /*v266*/, v158, v17, 0x7060403
	s_set_vgpr_msb 5                        ;  msbs: dst=0 src0=1 src1=1 src2=0
	v_dot4_i32_iu8 v9, v7 /*v263*/, v26 /*v282*/, v9 neg_lo:[1,1,0]
	s_delay_alu instid0(VALU_DEP_1)
	v_dot4_i32_iu8 v9, v11 /*v267*/, v10 /*v266*/, v9 neg_lo:[1,1,0]
	s_set_vgpr_msb 64                       ;  msbs: dst=1 src0=0 src1=0 src2=0
	v_dot4_i32_iu8 v10 /*v266*/, v31, v167, v4 neg_lo:[1,1,0]
	s_set_vgpr_msb 0                        ;  msbs: dst=0 src0=0 src1=0 src2=0
	v_dot4_i32_iu8 v4, v23, v157, v8 neg_lo:[1,1,0]
	s_set_vgpr_msb 0x50                     ;  msbs: dst=1 src0=0 src1=0 src2=1
	v_dot4_i32_iu8 v11 /*v267*/, v11, v164, v19 /*v275*/ neg_lo:[1,1,0]
	s_set_vgpr_msb 16                       ;  msbs: dst=0 src0=0 src1=0 src2=1
	v_dot4_i32_iu8 v8, v3, v157, v20 /*v276*/ neg_lo:[1,1,0]
	s_set_vgpr_msb 0                        ;  msbs: dst=0 src0=0 src1=0 src2=0
	v_dot4_i32_iu8 v9, v19, v159, v9 neg_lo:[1,1,0]
	v_dot4_i32_iu8 v11, v15, v153, v14 neg_lo:[1,1,0]
	v_mul_lo_u32 v4, v4, v233
	v_mad_u32 v5, v8, v233, v5
	s_set_vgpr_msb 1                        ;  msbs: dst=0 src0=1 src1=0 src2=0
	v_mul_lo_u32 v8, v11 /*v267*/, v231
	s_set_vgpr_msb 0                        ;  msbs: dst=0 src0=0 src1=0 src2=0
	s_delay_alu instid0(VALU_DEP_3) | instskip(SKIP_3) | instid1(VALU_DEP_4)
	v_mad_u32 v4, v9, v232, v4
	s_set_vgpr_msb 1                        ;  msbs: dst=0 src0=1 src1=0 src2=0
	v_mul_lo_u32 v9, v10 /*v266*/, v230
	s_set_vgpr_msb 0                        ;  msbs: dst=0 src0=0 src1=0 src2=0
	v_cvt_f32_i32_e32 v5, v5
	s_set_vgpr_msb 1                        ;  msbs: dst=0 src0=1 src1=0 src2=0
	s_delay_alu instid0(VALU_DEP_4) | instskip(SKIP_1) | instid1(VALU_DEP_4)
	v_mad_u32 v8, v12 /*v268*/, v230, v8
	s_set_vgpr_msb 0                        ;  msbs: dst=0 src0=0 src1=0 src2=0
	v_cvt_f32_i32_e32 v4, v4
	s_set_vgpr_msb 0x41                     ;  msbs: dst=1 src0=1 src1=0 src2=0
	s_delay_alu instid0(VALU_DEP_4) | instskip(SKIP_1) | instid1(VALU_DEP_3)
	v_mad_u32 v10 /*v266*/, v13 /*v269*/, v231, v9
	s_set_vgpr_msb 0                        ;  msbs: dst=0 src0=0 src1=0 src2=0
	v_cvt_f32_i32_e32 v9, v8
	v_pk_fma_f32 v[4:5], v[12:13], v[4:5], 0 op_sel_hi:[1,1,0]
	s_set_vgpr_msb 1                        ;  msbs: dst=0 src0=1 src1=0 src2=0
	s_delay_alu instid0(VALU_DEP_3) | instskip(SKIP_1) | instid1(VALU_DEP_1)
	v_cvt_f32_i32_e32 v8, v10 /*v266*/
	s_set_vgpr_msb 0                        ;  msbs: dst=0 src0=0 src1=0 src2=0
	v_pk_fma_f32 v[4:5], v[0:1], v[8:9], v[4:5]
	v_perm_b32 v8, v29, v151, 0x6040503
	v_perm_b32 v9, v25, v152, 0x6040503
	s_delay_alu instid0(VALU_DEP_3) | instskip(SKIP_2) | instid1(VALU_DEP_1)
	v_pk_fma_f32 v[58:59], v[120:121], v[4:5], v[58:59]
	v_perm_b32 v4, v28, v171, 0x6040501
	v_or_b32_e32 v5, v149, v30
	v_dot4_i32_iu8 v4, v5, v4, 0 neg_lo:[1,1,0]
	v_perm_b32 v5, v170, v28, 0x6040503
	s_delay_alu instid0(VALU_DEP_1) | instskip(SKIP_3) | instid1(VALU_DEP_3)
	v_dot4_i32_iu8 v4, v8, v5, v4 neg_lo:[1,1,0]
	v_perm_b32 v5, v24, v173, 0x6040501
	v_perm_b32 v8, v152, v26, 0x6040501
	s_set_vgpr_msb 4                        ;  msbs: dst=0 src0=0 src1=1 src2=0
	v_dot4_i32_iu8 v4, v229, v23 /*v279*/, v4 neg_lo:[1,1,0]
	s_set_vgpr_msb 0                        ;  msbs: dst=0 src0=0 src1=0 src2=0
	s_delay_alu instid0(VALU_DEP_2) | instskip(SKIP_1) | instid1(VALU_DEP_3)
	v_dot4_i32_iu8 v5, v8, v5, 0 neg_lo:[1,1,0]
	v_perm_b32 v8, v172, v24, 0x6040503
	v_dot4_i32_iu8 v4, v31, v153, v4 neg_lo:[1,1,0]
	s_delay_alu instid0(VALU_DEP_2)
	v_dot4_i32_iu8 v5, v9, v8, v5 neg_lo:[1,1,0]
	v_perm_b32 v8, v20, v144, 0x6050401
	v_perm_b32 v9, v160, v22, 0x6050401
	;; [unrolled: 1-line block ×3, first 2 shown]
	v_mul_lo_u32 v4, v4, v32
	s_set_vgpr_msb 4                        ;  msbs: dst=0 src0=0 src1=1 src2=0
	v_dot4_i32_iu8 v5, v237, v24 /*v280*/, v5 neg_lo:[1,1,0]
	s_set_vgpr_msb 0                        ;  msbs: dst=0 src0=0 src1=0 src2=0
	v_dot4_i32_iu8 v8, v9, v8, 0 neg_lo:[1,1,0]
	v_perm_b32 v9, v144, v21, 0x7060403
	s_delay_alu instid0(VALU_DEP_3) | instskip(SKIP_1) | instid1(VALU_DEP_3)
	v_dot4_i32_iu8 v5, v27, v150, v5 neg_lo:[1,1,0]
	s_set_vgpr_msb 4                        ;  msbs: dst=0 src0=0 src1=1 src2=0
	v_dot4_i32_iu8 v8, v147, v9 /*v265*/, v8 neg_lo:[1,1,0]
	s_set_vgpr_msb 0                        ;  msbs: dst=0 src0=0 src1=0 src2=0
	s_delay_alu instid0(VALU_DEP_2) | instskip(SKIP_1) | instid1(VALU_DEP_3)
	v_mad_u32 v4, v5, v131, v4
	v_mad_u32 v5, v11, v32, v6
	v_dot4_i32_iu8 v8, v20, v9, v8 neg_lo:[1,1,0]
	v_perm_b32 v9, v16, v34, 0x6050401
	v_perm_b32 v16, v154, v18, 0x6050401
	s_delay_alu instid0(VALU_DEP_3) | instskip(NEXT) | instid1(VALU_DEP_2)
	v_dot4_i32_iu8 v8, v23, v145, v8 neg_lo:[1,1,0]
	v_dot4_i32_iu8 v9, v16, v9, 0 neg_lo:[1,1,0]
	v_perm_b32 v16, v34, v17, 0x7060403
	v_perm_b32 v17, v18, v155, 0x7060403
	s_delay_alu instid0(VALU_DEP_4)
	v_mul_lo_u32 v7, v8, v143
	v_cvt_f32_i32_e32 v5, v5
	s_set_vgpr_msb 5                        ;  msbs: dst=0 src0=1 src1=1 src2=0
	v_dot4_i32_iu8 v9, v6 /*v262*/, v26 /*v282*/, v9 neg_lo:[1,1,0]
	s_set_vgpr_msb 0                        ;  msbs: dst=0 src0=0 src1=0 src2=0
	v_cvt_f32_i32_e32 v4, v4
	s_delay_alu instid0(VALU_DEP_2) | instskip(NEXT) | instid1(VALU_DEP_1)
	v_dot4_i32_iu8 v9, v17, v16, v9 neg_lo:[1,1,0]
	v_dot4_i32_iu8 v3, v19, v35, v9 neg_lo:[1,1,0]
	s_delay_alu instid0(VALU_DEP_1) | instskip(SKIP_1) | instid1(VALU_DEP_2)
	v_mad_u32 v7, v3, v141, v7
	v_cvt_f32_i32_e32 v3, v2
	v_cvt_f32_i32_e32 v2, v7
	s_delay_alu instid0(VALU_DEP_1) | instskip(NEXT) | instid1(VALU_DEP_1)
	v_pk_fma_f32 v[2:3], v[12:13], v[2:3], 0 op_sel_hi:[1,1,0]
	v_pk_fma_f32 v[0:1], v[0:1], v[4:5], v[2:3]
	s_delay_alu instid0(VALU_DEP_1) | instskip(SKIP_1) | instid1(VALU_DEP_1)
	v_pk_fma_f32 v[56:57], v[122:123], v[0:1], v[56:57]
	v_or_b32_e32 v0, s11, v210
	v_lshlrev_b32_e32 v12, 2, v0
	s_set_vgpr_msb 64                       ;  msbs: dst=1 src0=0 src1=0 src2=0
	v_lshrrev_b32_e32 v9 /*v265*/, 1, v0
	s_set_vgpr_msb 0                        ;  msbs: dst=0 src0=0 src1=0 src2=0
	ds_load_b128 v[4:7], v12 offset:33280
	ds_load_b128 v[0:3], v12 offset:33296
	;; [unrolled: 1-line block ×4, first 2 shown]
	s_wait_dscnt 0x3
	v_perm_b32 v22, v126, v5, 0x7060403
	s_wait_dscnt 0x2
	v_perm_b32 v21, v1, v138, 0x6040503
	;; [unrolled: 2-line block ×4, first 2 shown]
	v_perm_b32 v17, v13, v12, 0x6040503
	v_perm_b32 v18, v14, v13, 0x7060403
	;; [unrolled: 1-line block ×4, first 2 shown]
	s_set_vgpr_msb 4                        ;  msbs: dst=0 src0=0 src1=1 src2=0
	v_dot4_i32_iu8 v16, v16, v3 /*v259*/, 0 neg_lo:[1,1,0]
	s_set_vgpr_msb 0                        ;  msbs: dst=0 src0=0 src1=0 src2=0
	v_perm_b32 v14, v14, v14, 0xc0c0c01
	s_set_vgpr_msb 4                        ;  msbs: dst=0 src0=0 src1=1 src2=0
	s_delay_alu instid0(VALU_DEP_2) | instskip(SKIP_1) | instid1(VALU_DEP_1)
	v_dot4_i32_iu8 v16, v17, v4 /*v260*/, v16 neg_lo:[1,1,0]
	s_set_vgpr_msb 0x44                     ;  msbs: dst=1 src0=0 src1=1 src2=0
	v_dot4_i32_iu8 v10 /*v266*/, v18, v2 /*v258*/, v16 neg_lo:[1,1,0]
	s_set_vgpr_msb 0                        ;  msbs: dst=0 src0=0 src1=0 src2=0
	v_perm_b32 v16, v8, v179, 0x6040501
	s_set_vgpr_msb 0x50                     ;  msbs: dst=1 src0=0 src1=0 src2=1
	s_delay_alu instid0(VALU_DEP_2) | instskip(SKIP_1) | instid1(VALU_DEP_2)
	v_dot4_i32_iu8 v10 /*v266*/, v15, v135, v10 /*v266*/ neg_lo:[1,1,0]
	s_set_vgpr_msb 0                        ;  msbs: dst=0 src0=0 src1=0 src2=0
	v_dot4_i32_iu8 v16, v19, v16, 0 neg_lo:[1,1,0]
	v_perm_b32 v19, v178, v8, 0x6040503
	s_delay_alu instid0(VALU_DEP_1) | instskip(SKIP_3) | instid1(VALU_DEP_2)
	v_dot4_i32_iu8 v16, v20, v19, v16 neg_lo:[1,1,0]
	v_perm_b32 v19, v10, v9, 0x7060403
	v_perm_b32 v20, v138, v2, 0x6050401
	s_set_vgpr_msb 0x41                     ;  msbs: dst=1 src0=1 src1=0 src2=0
	v_dot4_i32_iu8 v11 /*v267*/, v5 /*v261*/, v19, v16 neg_lo:[1,1,0]
	s_set_vgpr_msb 0                        ;  msbs: dst=0 src0=0 src1=0 src2=0
	v_perm_b32 v16, v0, v124, 0x6050401
	s_set_vgpr_msb 0x50                     ;  msbs: dst=1 src0=0 src1=0 src2=1
	s_delay_alu instid0(VALU_DEP_2) | instskip(SKIP_1) | instid1(VALU_DEP_2)
	v_dot4_i32_iu8 v11 /*v267*/, v11, v130, v11 /*v267*/ neg_lo:[1,1,0]
	s_set_vgpr_msb 0                        ;  msbs: dst=0 src0=0 src1=0 src2=0
	v_dot4_i32_iu8 v16, v20, v16, 0 neg_lo:[1,1,0]
	v_perm_b32 v20, v139, v0, 0x6040503
	s_delay_alu instid0(VALU_DEP_1) | instskip(SKIP_3) | instid1(VALU_DEP_2)
	v_dot4_i32_iu8 v16, v21, v20, v16 neg_lo:[1,1,0]
	v_perm_b32 v20, v2, v1, 0x7060403
	v_perm_b32 v21, v136, v6, 0x6050401
	s_set_vgpr_msb 64                       ;  msbs: dst=1 src0=0 src1=0 src2=0
	v_dot4_i32_iu8 v12 /*v268*/, v20, v228, v16 neg_lo:[1,1,0]
	s_set_vgpr_msb 0                        ;  msbs: dst=0 src0=0 src1=0 src2=0
	v_perm_b32 v16, v4, v126, 0x6050401
	s_delay_alu instid0(VALU_DEP_1) | instskip(SKIP_2) | instid1(VALU_DEP_1)
	v_dot4_i32_iu8 v16, v21, v16, 0 neg_lo:[1,1,0]
	v_perm_b32 v21, v5, v4, 0x6040503
	s_set_vgpr_msb 1                        ;  msbs: dst=0 src0=1 src1=0 src2=0
	v_dot4_i32_iu8 v16, v8 /*v264*/, v21, v16 neg_lo:[1,1,0]
	s_set_vgpr_msb 64                       ;  msbs: dst=1 src0=0 src1=0 src2=0
	s_delay_alu instid0(VALU_DEP_1) | instskip(SKIP_3) | instid1(VALU_DEP_1)
	v_dot4_i32_iu8 v13 /*v269*/, v23, v22, v16 neg_lo:[1,1,0]
	s_set_vgpr_msb 0                        ;  msbs: dst=0 src0=0 src1=0 src2=0
	v_perm_b32 v16, v12, v33, 0x6040503
	v_or_b32_e32 v22, v252, v14
	v_dot4_i32_iu8 v16, v22, v16, 0 neg_lo:[1,1,0]
	v_perm_b32 v22, v13, v165, 0x6040503
	v_perm_b32 v13, v13, v151, 0x6040503
	s_delay_alu instid0(VALU_DEP_3) | instskip(SKIP_2) | instid1(VALU_DEP_2)
	v_dot4_i32_iu8 v16, v17, v253, v16 neg_lo:[1,1,0]
	v_perm_b32 v17, v148, v10, 0x6040501
	s_set_vgpr_msb 64                       ;  msbs: dst=1 src0=0 src1=0 src2=0
	v_dot4_i32_iu8 v14 /*v270*/, v254, v18, v16 neg_lo:[1,1,0]
	s_set_vgpr_msb 0                        ;  msbs: dst=0 src0=0 src1=0 src2=0
	v_perm_b32 v16, v8, v146, 0x6040501
	s_delay_alu instid0(VALU_DEP_1) | instskip(SKIP_1) | instid1(VALU_DEP_1)
	v_dot4_i32_iu8 v16, v17, v16, 0 neg_lo:[1,1,0]
	v_perm_b32 v17, v9, v8, 0x6040503
	v_dot4_i32_iu8 v16, v255, v17, v16 neg_lo:[1,1,0]
	v_perm_b32 v17, v142, v2, 0x6050401
	s_set_vgpr_msb 0x41                     ;  msbs: dst=1 src0=1 src1=0 src2=0
	s_delay_alu instid0(VALU_DEP_2) | instskip(SKIP_2) | instid1(VALU_DEP_1)
	v_dot4_i32_iu8 v15 /*v271*/, v0 /*v256*/, v19, v16 neg_lo:[1,1,0]
	s_set_vgpr_msb 0                        ;  msbs: dst=0 src0=0 src1=0 src2=0
	v_perm_b32 v16, v0, v128, 0x6050401
	v_dot4_i32_iu8 v16, v17, v16, 0 neg_lo:[1,1,0]
	v_perm_b32 v17, v1, v0, 0x6040503
	s_delay_alu instid0(VALU_DEP_1) | instskip(SKIP_1) | instid1(VALU_DEP_1)
	v_dot4_i32_iu8 v16, v240, v17, v16 neg_lo:[1,1,0]
	s_set_vgpr_msb 64                       ;  msbs: dst=1 src0=0 src1=0 src2=0
	v_dot4_i32_iu8 v16 /*v272*/, v241, v20, v16 neg_lo:[1,1,0]
	s_set_vgpr_msb 0                        ;  msbs: dst=0 src0=0 src1=0 src2=0
	v_perm_b32 v16, v4, v132, 0x6050401
	v_perm_b32 v20, v140, v6, 0x6050401
	s_delay_alu instid0(VALU_DEP_1) | instskip(SKIP_1) | instid1(VALU_DEP_2)
	v_dot4_i32_iu8 v16, v20, v16, 0 neg_lo:[1,1,0]
	v_perm_b32 v20, v6, v5, 0x7060403
	v_dot4_i32_iu8 v16, v244, v21, v16 neg_lo:[1,1,0]
	s_set_vgpr_msb 64                       ;  msbs: dst=1 src0=0 src1=0 src2=0
	s_delay_alu instid0(VALU_DEP_1) | instskip(SKIP_4) | instid1(VALU_DEP_2)
	v_dot4_i32_iu8 v17 /*v273*/, v245, v20, v16 neg_lo:[1,1,0]
	s_set_vgpr_msb 0                        ;  msbs: dst=0 src0=0 src1=0 src2=0
	v_perm_b32 v16, v12, v175, 0x6040501
	v_or_b32_e32 v20, v234, v14
	v_or_b32_e32 v14, v149, v14
	v_dot4_i32_iu8 v16, v20, v16, 0 neg_lo:[1,1,0]
	v_perm_b32 v20, v174, v12, 0x6040503
	s_delay_alu instid0(VALU_DEP_1)
	v_dot4_i32_iu8 v16, v22, v20, v16 neg_lo:[1,1,0]
	v_perm_b32 v20, v166, v10, 0x6040501
	v_perm_b32 v22, v9, v166, 0x6040503
	;; [unrolled: 1-line block ×4, first 2 shown]
	s_set_vgpr_msb 64                       ;  msbs: dst=1 src0=0 src1=0 src2=0
	v_dot4_i32_iu8 v18 /*v274*/, v236, v18, v16 neg_lo:[1,1,0]
	s_set_vgpr_msb 0                        ;  msbs: dst=0 src0=0 src1=0 src2=0
	v_perm_b32 v16, v8, v177, 0x6040501
	s_delay_alu instid0(VALU_DEP_1) | instskip(SKIP_1) | instid1(VALU_DEP_1)
	v_dot4_i32_iu8 v16, v20, v16, 0 neg_lo:[1,1,0]
	v_perm_b32 v20, v176, v8, 0x6040503
	v_dot4_i32_iu8 v16, v22, v20, v16 neg_lo:[1,1,0]
	v_perm_b32 v20, v162, v2, 0x6050401
	v_perm_b32 v22, v2, v163, 0x7060403
	s_set_vgpr_msb 0x41                     ;  msbs: dst=1 src0=1 src1=0 src2=0
	s_delay_alu instid0(VALU_DEP_3) | instskip(SKIP_3) | instid1(VALU_DEP_2)
	v_dot4_i32_iu8 v19 /*v275*/, v1 /*v257*/, v19, v16 neg_lo:[1,1,0]
	s_set_vgpr_msb 0                        ;  msbs: dst=0 src0=0 src1=0 src2=0
	v_perm_b32 v16, v0, v156, 0x6050401
	v_perm_b32 v0, v0, v144, 0x6050401
	v_dot4_i32_iu8 v16, v20, v16, 0 neg_lo:[1,1,0]
	v_perm_b32 v20, v156, v1, 0x7060403
	v_perm_b32 v1, v144, v1, 0x7060403
	s_delay_alu instid0(VALU_DEP_3) | instskip(SKIP_1) | instid1(VALU_DEP_1)
	v_dot4_i32_iu8 v16, v235, v17, v16 neg_lo:[1,1,0]
	s_set_vgpr_msb 64                       ;  msbs: dst=1 src0=0 src1=0 src2=0
	v_dot4_i32_iu8 v20 /*v276*/, v22, v20, v16 neg_lo:[1,1,0]
	s_set_vgpr_msb 0                        ;  msbs: dst=0 src0=0 src1=0 src2=0
	v_perm_b32 v16, v4, v158, 0x6050401
	v_perm_b32 v20, v168, v6, 0x6050401
	;; [unrolled: 1-line block ×3, first 2 shown]
	s_delay_alu instid0(VALU_DEP_2) | instskip(SKIP_2) | instid1(VALU_DEP_2)
	v_dot4_i32_iu8 v16, v20, v16, 0 neg_lo:[1,1,0]
	v_perm_b32 v20, v158, v5, 0x7060403
	s_set_vgpr_msb 1                        ;  msbs: dst=0 src0=1 src1=0 src2=0
	v_dot4_i32_iu8 v16, v7 /*v263*/, v21, v16 neg_lo:[1,1,0]
	s_set_vgpr_msb 64                       ;  msbs: dst=1 src0=0 src1=0 src2=0
	s_delay_alu instid0(VALU_DEP_1) | instskip(SKIP_3) | instid1(VALU_DEP_2)
	v_dot4_i32_iu8 v21 /*v277*/, v22, v20, v16 neg_lo:[1,1,0]
	s_set_vgpr_msb 0                        ;  msbs: dst=0 src0=0 src1=0 src2=0
	v_perm_b32 v16, v12, v171, 0x6040501
	v_perm_b32 v12, v170, v12, 0x6040503
	v_dot4_i32_iu8 v14, v14, v16, 0 neg_lo:[1,1,0]
	s_delay_alu instid0(VALU_DEP_1) | instskip(NEXT) | instid1(VALU_DEP_1)
	v_dot4_i32_iu8 v12, v13, v12, v14 neg_lo:[1,1,0]
	v_dot4_i32_iu8 v14, v229, v18, v12 neg_lo:[1,1,0]
	v_perm_b32 v12, v8, v173, 0x6040501
	v_perm_b32 v8, v172, v8, 0x6040503
	s_delay_alu instid0(VALU_DEP_2) | instskip(NEXT) | instid1(VALU_DEP_1)
	v_dot4_i32_iu8 v10, v10, v12, 0 neg_lo:[1,1,0]
	v_dot4_i32_iu8 v8, v9, v8, v10 neg_lo:[1,1,0]
	s_delay_alu instid0(VALU_DEP_1) | instskip(SKIP_2) | instid1(VALU_DEP_3)
	v_dot4_i32_iu8 v10, v237, v19, v8 neg_lo:[1,1,0]
	v_perm_b32 v8, v160, v2, 0x6050401
	v_perm_b32 v2, v2, v161, 0x7060403
	v_dot4_i32_iu8 v10, v11, v150, v10 neg_lo:[1,1,0]
	s_delay_alu instid0(VALU_DEP_3) | instskip(NEXT) | instid1(VALU_DEP_1)
	v_dot4_i32_iu8 v0, v8, v0, 0 neg_lo:[1,1,0]
	v_dot4_i32_iu8 v0, v147, v17, v0 neg_lo:[1,1,0]
	s_delay_alu instid0(VALU_DEP_1) | instskip(SKIP_3) | instid1(VALU_DEP_4)
	v_dot4_i32_iu8 v2, v2, v1, v0 neg_lo:[1,1,0]
	v_perm_b32 v0, v4, v34, 0x6050401
	v_perm_b32 v1, v154, v6, 0x6050401
	;; [unrolled: 1-line block ×3, first 2 shown]
	v_dot4_i32_iu8 v2, v3, v145, v2 neg_lo:[1,1,0]
	s_delay_alu instid0(VALU_DEP_3) | instskip(SKIP_2) | instid1(VALU_DEP_2)
	v_dot4_i32_iu8 v0, v1, v0, 0 neg_lo:[1,1,0]
	v_perm_b32 v1, v34, v5, 0x7060403
	s_set_vgpr_msb 1                        ;  msbs: dst=0 src0=1 src1=0 src2=0
	v_dot4_i32_iu8 v0, v6 /*v262*/, v21, v0 neg_lo:[1,1,0]
	s_set_vgpr_msb 0                        ;  msbs: dst=0 src0=0 src1=0 src2=0
	s_delay_alu instid0(VALU_DEP_1) | instskip(SKIP_1) | instid1(VALU_DEP_2)
	v_dot4_i32_iu8 v6, v4, v1, v0 neg_lo:[1,1,0]
	v_or_b32_e32 v0, s11, v211
	v_dot4_i32_iu8 v6, v7, v35, v6 neg_lo:[1,1,0]
	s_delay_alu instid0(VALU_DEP_2)
	v_lshlrev_b32_e32 v1, 2, v0
	ds_load_b128 v[16:19], v1 offset:33280
	ds_load_b128 v[20:23], v1 offset:33296
	;; [unrolled: 1-line block ×4, first 2 shown]
	v_lshrrev_b32_e32 v4, 1, v0
	v_mul_lo_u32 v6, v6, v141
	s_delay_alu instid0(VALU_DEP_1)
	v_mad_u32 v2, v2, v143, v6
	v_mul_lo_u32 v6, v10, v131
	s_wait_dscnt 0x3
	s_set_vgpr_msb 64                       ;  msbs: dst=1 src0=0 src1=0 src2=0
	v_perm_b32 v26 /*v282*/, v17, v16, 0x6040503
	s_wait_dscnt 0x2
	v_perm_b32 v25 /*v281*/, v22, v21, 0x7060403
	s_wait_dscnt 0x1
	s_set_vgpr_msb 0                        ;  msbs: dst=0 src0=0 src1=0 src2=0
	v_perm_b32 v1, v134, v26, 0x6040501
	s_wait_dscnt 0x0
	v_perm_b32 v0, v28, v30, 0x6040501
	s_set_vgpr_msb 64                       ;  msbs: dst=1 src0=0 src1=0 src2=0
	v_perm_b32 v22 /*v278*/, v29, v28, 0x6040503
	v_perm_b32 v23 /*v279*/, v30, v29, 0x7060403
	s_set_vgpr_msb 0                        ;  msbs: dst=0 src0=0 src1=0 src2=0
	v_perm_b32 v5, v25, v134, 0x6040503
	s_set_vgpr_msb 64                       ;  msbs: dst=1 src0=0 src1=0 src2=0
	v_perm_b32 v24 /*v280*/, v26, v25, 0x7060403
	s_set_vgpr_msb 4                        ;  msbs: dst=0 src0=0 src1=1 src2=0
	v_dot4_i32_iu8 v0, v0, v3 /*v259*/, 0 neg_lo:[1,1,0]
	s_set_vgpr_msb 0                        ;  msbs: dst=0 src0=0 src1=0 src2=0
	v_perm_b32 v30, v30, v30, 0xc0c0c01
	s_set_vgpr_msb 5                        ;  msbs: dst=0 src0=1 src1=1 src2=0
	s_delay_alu instid0(VALU_DEP_2) | instskip(NEXT) | instid1(VALU_DEP_1)
	v_dot4_i32_iu8 v0, v22 /*v278*/, v4 /*v260*/, v0 neg_lo:[1,1,0]
	v_dot4_i32_iu8 v8, v23 /*v279*/, v2 /*v258*/, v0 neg_lo:[1,1,0]
	s_set_vgpr_msb 0                        ;  msbs: dst=0 src0=0 src1=0 src2=0
	v_perm_b32 v0, v24, v179, 0x6040501
	s_delay_alu instid0(VALU_DEP_1) | instskip(SKIP_1) | instid1(VALU_DEP_1)
	v_dot4_i32_iu8 v0, v1, v0, 0 neg_lo:[1,1,0]
	v_perm_b32 v1, v178, v24, 0x6040503
	v_dot4_i32_iu8 v0, v5, v1, v0 neg_lo:[1,1,0]
	v_perm_b32 v1, v138, v22, 0x6050401
	v_perm_b32 v5, v21, v138, 0x6040503
	s_set_vgpr_msb 5                        ;  msbs: dst=0 src0=1 src1=1 src2=0
	s_delay_alu instid0(VALU_DEP_3) | instskip(SKIP_3) | instid1(VALU_DEP_2)
	v_dot4_i32_iu8 v9, v5 /*v261*/, v24 /*v280*/, v0 neg_lo:[1,1,0]
	s_set_vgpr_msb 0                        ;  msbs: dst=0 src0=0 src1=0 src2=0
	v_perm_b32 v0, v20, v124, 0x6050401
	s_set_vgpr_msb 64                       ;  msbs: dst=1 src0=0 src1=0 src2=0
	v_dot4_i32_iu8 v27 /*v283*/, v27, v130, v9 neg_lo:[1,1,0]
	s_set_vgpr_msb 16                       ;  msbs: dst=0 src0=0 src1=0 src2=1
	s_delay_alu instid0(VALU_DEP_2) | instskip(SKIP_3) | instid1(VALU_DEP_2)
	v_dot4_i32_iu8 v0, v1, v0, 0 neg_lo:[1,1,0]
	v_perm_b32 v1, v139, v20, 0x6040503
	v_dot4_i32_iu8 v9, v7, v127, v13 /*v269*/ neg_lo:[1,1,0]
	s_set_vgpr_msb 0                        ;  msbs: dst=0 src0=0 src1=0 src2=0
	v_dot4_i32_iu8 v0, v5, v1, v0 neg_lo:[1,1,0]
	v_perm_b32 v1, v136, v18, 0x6050401
	v_perm_b32 v5, v18, v137, 0x7060403
	v_mul_lo_u32 v9, v9, v242
	s_set_vgpr_msb 1                        ;  msbs: dst=0 src0=1 src1=0 src2=0
	v_dot4_i32_iu8 v12, v25 /*v281*/, v228, v0 neg_lo:[1,1,0]
	s_set_vgpr_msb 0                        ;  msbs: dst=0 src0=0 src1=0 src2=0
	v_perm_b32 v0, v16, v126, 0x6050401
	s_delay_alu instid0(VALU_DEP_1) | instskip(SKIP_2) | instid1(VALU_DEP_2)
	v_dot4_i32_iu8 v0, v1, v0, 0 neg_lo:[1,1,0]
	v_perm_b32 v1, v126, v17, 0x7060403
	s_set_vgpr_msb 5                        ;  msbs: dst=0 src0=1 src1=1 src2=0
	v_dot4_i32_iu8 v0, v8 /*v264*/, v26 /*v282*/, v0 neg_lo:[1,1,0]
	s_set_vgpr_msb 0                        ;  msbs: dst=0 src0=0 src1=0 src2=0
	s_delay_alu instid0(VALU_DEP_1)
	v_dot4_i32_iu8 v13, v5, v1, v0 neg_lo:[1,1,0]
	s_set_vgpr_msb 1                        ;  msbs: dst=0 src0=1 src1=0 src2=0
	ds_load_b64 v[0:1], v9 /*v265*/ offset:43584
	s_set_vgpr_msb 0                        ;  msbs: dst=0 src0=0 src1=0 src2=0
	ds_load_b64 v[4:5], v4 offset:43584
	s_set_vgpr_msb 64                       ;  msbs: dst=1 src0=0 src1=0 src2=0
	v_dot4_i32_iu8 v9 /*v265*/, v31, v135, v8 neg_lo:[1,1,0]
	s_set_vgpr_msb 0                        ;  msbs: dst=0 src0=0 src1=0 src2=0
	v_dot4_i32_iu8 v8, v23, v125, v12 neg_lo:[1,1,0]
	s_set_vgpr_msb 16                       ;  msbs: dst=0 src0=0 src1=0 src2=1
	v_dot4_i32_iu8 v12, v3, v125, v12 /*v268*/ neg_lo:[1,1,0]
	s_set_vgpr_msb 0                        ;  msbs: dst=0 src0=0 src1=0 src2=0
	v_dot4_i32_iu8 v13, v19, v127, v13 neg_lo:[1,1,0]
	v_mul_lo_u32 v8, v8, v243
	s_delay_alu instid0(VALU_DEP_3) | instskip(NEXT) | instid1(VALU_DEP_2)
	v_mad_u32 v9, v12, v243, v9
	v_mad_u32 v8, v13, v242, v8
	s_wait_dscnt 0x0
	v_dual_mov_b32 v13, v0 :: v_dual_mov_b32 v12, v4
	s_set_vgpr_msb 1                        ;  msbs: dst=0 src0=1 src1=0 src2=0
	v_mul_lo_u32 v0, v11 /*v267*/, v238
	v_mul_lo_u32 v4, v9 /*v265*/, v239
	s_set_vgpr_msb 0                        ;  msbs: dst=0 src0=0 src1=0 src2=0
	v_cvt_f32_i32_e32 v9, v9
	s_set_vgpr_msb 64                       ;  msbs: dst=1 src0=0 src1=0 src2=0
	v_perm_b32 v9 /*v265*/, v21, v20, 0x6040503
	s_set_vgpr_msb 0                        ;  msbs: dst=0 src0=0 src1=0 src2=0
	v_cvt_f32_i32_e32 v8, v8
	s_set_vgpr_msb 1                        ;  msbs: dst=0 src0=1 src1=0 src2=0
	v_mad_u32 v0, v10 /*v266*/, v239, v0
	v_mad_u32 v4, v27 /*v283*/, v238, v4
	s_set_vgpr_msb 0                        ;  msbs: dst=0 src0=0 src1=0 src2=0
	v_pk_fma_f32 v[8:9], v[12:13], v[8:9], 0 op_sel_hi:[1,1,0]
	s_set_vgpr_msb 64                       ;  msbs: dst=1 src0=0 src1=0 src2=0
	s_delay_alu instid0(VALU_DEP_3) | instskip(NEXT) | instid1(VALU_DEP_3)
	v_cvt_f32_i32_e32 v11 /*v267*/, v0
	v_cvt_f32_i32_e32 v10 /*v266*/, v4
	s_set_vgpr_msb 4                        ;  msbs: dst=0 src0=0 src1=1 src2=0
	v_mov_b32_e32 v0, v5
	s_delay_alu instid0(VALU_DEP_1)
	v_pk_fma_f32 v[4:5], v[0:1], v[10:11] /*v[266:267]*/, v[8:9]
	s_set_vgpr_msb 0                        ;  msbs: dst=0 src0=0 src1=0 src2=0
	v_perm_b32 v8, v148, v26, 0x6040501
	v_perm_b32 v9, v142, v22, 0x6050401
	s_set_vgpr_msb 64                       ;  msbs: dst=1 src0=0 src1=0 src2=0
	v_perm_b32 v10 /*v266*/, v140, v18, 0x6050401
	s_set_vgpr_msb 0                        ;  msbs: dst=0 src0=0 src1=0 src2=0
	v_pk_fma_f32 v[54:55], v[116:117], v[4:5], v[54:55]
	v_perm_b32 v4, v28, v33, 0x6040503
	v_or_b32_e32 v5, v252, v30
	s_delay_alu instid0(VALU_DEP_1) | instskip(SKIP_2) | instid1(VALU_DEP_2)
	v_dot4_i32_iu8 v4, v5, v4, 0 neg_lo:[1,1,0]
	v_perm_b32 v5, v24, v146, 0x6040501
	s_set_vgpr_msb 1                        ;  msbs: dst=0 src0=1 src1=0 src2=0
	v_dot4_i32_iu8 v4, v22 /*v278*/, v253, v4 neg_lo:[1,1,0]
	s_set_vgpr_msb 0                        ;  msbs: dst=0 src0=0 src1=0 src2=0
	s_delay_alu instid0(VALU_DEP_2) | instskip(SKIP_4) | instid1(VALU_DEP_2)
	v_dot4_i32_iu8 v5, v8, v5, 0 neg_lo:[1,1,0]
	v_perm_b32 v8, v25, v24, 0x6040503
	s_set_vgpr_msb 4                        ;  msbs: dst=0 src0=0 src1=1 src2=0
	v_dot4_i32_iu8 v4, v254, v23 /*v279*/, v4 neg_lo:[1,1,0]
	s_set_vgpr_msb 0                        ;  msbs: dst=0 src0=0 src1=0 src2=0
	v_dot4_i32_iu8 v5, v255, v8, v5 neg_lo:[1,1,0]
	v_perm_b32 v8, v20, v128, 0x6050401
	s_set_vgpr_msb 5                        ;  msbs: dst=0 src0=1 src1=1 src2=0
	s_delay_alu instid0(VALU_DEP_2) | instskip(SKIP_1) | instid1(VALU_DEP_2)
	v_dot4_i32_iu8 v5, v0 /*v256*/, v24 /*v280*/, v5 neg_lo:[1,1,0]
	s_set_vgpr_msb 0                        ;  msbs: dst=0 src0=0 src1=0 src2=0
	v_dot4_i32_iu8 v8, v9, v8, 0 neg_lo:[1,1,0]
	v_perm_b32 v9, v16, v132, 0x6050401
	s_set_vgpr_msb 4                        ;  msbs: dst=0 src0=0 src1=1 src2=0
	s_delay_alu instid0(VALU_DEP_2) | instskip(SKIP_1) | instid1(VALU_DEP_2)
	v_dot4_i32_iu8 v8, v240, v9 /*v265*/, v8 neg_lo:[1,1,0]
	s_set_vgpr_msb 1                        ;  msbs: dst=0 src0=1 src1=0 src2=0
	v_dot4_i32_iu8 v9, v10 /*v266*/, v9, 0 neg_lo:[1,1,0]
	s_set_vgpr_msb 64                       ;  msbs: dst=1 src0=0 src1=0 src2=0
	v_perm_b32 v10 /*v266*/, v18, v17, 0x7060403
	s_set_vgpr_msb 4                        ;  msbs: dst=0 src0=0 src1=1 src2=0
	v_dot4_i32_iu8 v8, v241, v25 /*v281*/, v8 neg_lo:[1,1,0]
	v_dot4_i32_iu8 v9, v244, v26 /*v282*/, v9 neg_lo:[1,1,0]
	s_delay_alu instid0(VALU_DEP_1) | instskip(SKIP_3) | instid1(VALU_DEP_2)
	v_dot4_i32_iu8 v9, v245, v10 /*v266*/, v9 neg_lo:[1,1,0]
	s_set_vgpr_msb 64                       ;  msbs: dst=1 src0=0 src1=0 src2=0
	v_perm_b32 v10 /*v266*/, v31, v31, 0x3020001
	s_set_vgpr_msb 0                        ;  msbs: dst=0 src0=0 src1=0 src2=0
	v_dot4_i32_iu8 v9, v19, v133, v9 neg_lo:[1,1,0]
	s_set_vgpr_msb 0x41                     ;  msbs: dst=1 src0=1 src1=0 src2=0
	s_delay_alu instid0(VALU_DEP_2) | instskip(SKIP_3) | instid1(VALU_DEP_1)
	v_dot4_i32_iu8 v10 /*v266*/, v10 /*v266*/, v250, v4 neg_lo:[1,1,0]
	s_set_vgpr_msb 0                        ;  msbs: dst=0 src0=0 src1=0 src2=0
	v_perm_b32 v4, v11, v11, 0x3020001
	s_set_vgpr_msb 0x50                     ;  msbs: dst=1 src0=0 src1=0 src2=1
	v_dot4_i32_iu8 v11 /*v267*/, v4, v251, v15 /*v271*/ neg_lo:[1,1,0]
	s_set_vgpr_msb 0                        ;  msbs: dst=0 src0=0 src1=0 src2=0
	v_perm_b32 v4, v15, v15, 0x3020001
	s_set_vgpr_msb 0x50                     ;  msbs: dst=1 src0=0 src1=0 src2=1
	s_delay_alu instid0(VALU_DEP_1) | instskip(SKIP_3) | instid1(VALU_DEP_1)
	v_dot4_i32_iu8 v12 /*v268*/, v4, v250, v14 /*v270*/ neg_lo:[1,1,0]
	s_set_vgpr_msb 0                        ;  msbs: dst=0 src0=0 src1=0 src2=0
	v_perm_b32 v4, v27, v27, 0x3020001
	s_set_vgpr_msb 64                       ;  msbs: dst=1 src0=0 src1=0 src2=0
	v_dot4_i32_iu8 v13 /*v269*/, v4, v251, v5 neg_lo:[1,1,0]
	s_set_vgpr_msb 0                        ;  msbs: dst=0 src0=0 src1=0 src2=0
	v_dot4_i32_iu8 v4, v23, v129, v8 neg_lo:[1,1,0]
	s_set_vgpr_msb 16                       ;  msbs: dst=0 src0=0 src1=0 src2=1
	v_dot4_i32_iu8 v5, v7, v133, v17 /*v273*/ neg_lo:[1,1,0]
	v_dot4_i32_iu8 v8, v3, v129, v16 /*v272*/ neg_lo:[1,1,0]
	s_delay_alu instid0(VALU_DEP_3) | instskip(NEXT) | instid1(VALU_DEP_3)
	v_mul_lo_u32 v4, v4, v248
	v_mul_lo_u32 v5, v5, v249
	s_set_vgpr_msb 0                        ;  msbs: dst=0 src0=0 src1=0 src2=0
	s_delay_alu instid0(VALU_DEP_2) | instskip(NEXT) | instid1(VALU_DEP_2)
	v_mad_u32 v4, v9, v249, v4
	v_mad_u32 v5, v8, v248, v5
	s_set_vgpr_msb 1                        ;  msbs: dst=0 src0=1 src1=0 src2=0
	v_mul_lo_u32 v8, v11 /*v267*/, v246
	v_mul_lo_u32 v9, v10 /*v266*/, v247
	s_set_vgpr_msb 64                       ;  msbs: dst=1 src0=0 src1=0 src2=0
	v_perm_b32 v11 /*v267*/, v18, v169, 0x7060403
	s_set_vgpr_msb 0                        ;  msbs: dst=0 src0=0 src1=0 src2=0
	v_cvt_f32_i32_e32 v4, v4
	v_cvt_f32_i32_e32 v5, v5
	s_set_vgpr_msb 1                        ;  msbs: dst=0 src0=1 src1=0 src2=0
	v_mad_u32 v8, v12 /*v268*/, v247, v8
	s_set_vgpr_msb 0x41                     ;  msbs: dst=1 src0=1 src1=0 src2=0
	v_mad_u32 v10 /*v266*/, v13 /*v269*/, v246, v9
	s_set_vgpr_msb 0x50                     ;  msbs: dst=1 src0=0 src1=0 src2=1
	v_dot4_i32_iu8 v12 /*v268*/, v15, v167, v18 /*v274*/ neg_lo:[1,1,0]
	s_set_vgpr_msb 0                        ;  msbs: dst=0 src0=0 src1=0 src2=0
	v_pk_fma_f32 v[4:5], v[12:13], v[4:5], 0 op_sel_hi:[1,1,0]
	s_delay_alu instid0(VALU_DEP_4) | instskip(SKIP_1) | instid1(VALU_DEP_4)
	v_cvt_f32_i32_e32 v9, v8
	s_set_vgpr_msb 1                        ;  msbs: dst=0 src0=1 src1=0 src2=0
	v_cvt_f32_i32_e32 v8, v10 /*v266*/
	s_set_vgpr_msb 64                       ;  msbs: dst=1 src0=0 src1=0 src2=0
	v_perm_b32 v10 /*v266*/, v22, v163, 0x7060403
	s_set_vgpr_msb 0                        ;  msbs: dst=0 src0=0 src1=0 src2=0
	s_delay_alu instid0(VALU_DEP_2) | instskip(SKIP_2) | instid1(VALU_DEP_3)
	v_pk_fma_f32 v[4:5], v[0:1], v[8:9], v[4:5]
	v_perm_b32 v8, v29, v165, 0x6040503
	v_perm_b32 v9, v25, v166, 0x6040503
	v_pk_fma_f32 v[52:53], v[118:119], v[4:5], v[52:53]
	v_perm_b32 v4, v28, v175, 0x6040501
	v_or_b32_e32 v5, v234, v30
	s_delay_alu instid0(VALU_DEP_1) | instskip(SKIP_1) | instid1(VALU_DEP_1)
	v_dot4_i32_iu8 v4, v5, v4, 0 neg_lo:[1,1,0]
	v_perm_b32 v5, v174, v28, 0x6040503
	v_dot4_i32_iu8 v4, v8, v5, v4 neg_lo:[1,1,0]
	v_perm_b32 v5, v24, v177, 0x6040501
	v_perm_b32 v8, v166, v26, 0x6040501
	s_set_vgpr_msb 4                        ;  msbs: dst=0 src0=0 src1=1 src2=0
	s_delay_alu instid0(VALU_DEP_3) | instskip(SKIP_1) | instid1(VALU_DEP_2)
	v_dot4_i32_iu8 v4, v236, v23 /*v279*/, v4 neg_lo:[1,1,0]
	s_set_vgpr_msb 0                        ;  msbs: dst=0 src0=0 src1=0 src2=0
	v_dot4_i32_iu8 v5, v8, v5, 0 neg_lo:[1,1,0]
	v_perm_b32 v8, v176, v24, 0x6040503
	s_delay_alu instid0(VALU_DEP_1) | instskip(SKIP_3) | instid1(VALU_DEP_3)
	v_dot4_i32_iu8 v5, v9, v8, v5 neg_lo:[1,1,0]
	v_perm_b32 v8, v20, v156, 0x6050401
	v_perm_b32 v9, v162, v22, 0x6050401
	s_set_vgpr_msb 5                        ;  msbs: dst=0 src0=1 src1=1 src2=0
	v_dot4_i32_iu8 v5, v1 /*v257*/, v24 /*v280*/, v5 neg_lo:[1,1,0]
	s_set_vgpr_msb 0                        ;  msbs: dst=0 src0=0 src1=0 src2=0
	s_delay_alu instid0(VALU_DEP_2)
	v_dot4_i32_iu8 v8, v9, v8, 0 neg_lo:[1,1,0]
	v_perm_b32 v9, v156, v21, 0x7060403
	s_set_vgpr_msb 64                       ;  msbs: dst=1 src0=0 src1=0 src2=0
	v_dot4_i32_iu8 v13 /*v269*/, v27, v164, v5 neg_lo:[1,1,0]
	s_set_vgpr_msb 16                       ;  msbs: dst=0 src0=0 src1=0 src2=1
	v_dot4_i32_iu8 v5, v7, v159, v21 /*v277*/ neg_lo:[1,1,0]
	s_set_vgpr_msb 4                        ;  msbs: dst=0 src0=0 src1=1 src2=0
	v_dot4_i32_iu8 v8, v235, v9 /*v265*/, v8 neg_lo:[1,1,0]
	s_set_vgpr_msb 0                        ;  msbs: dst=0 src0=0 src1=0 src2=0
	s_delay_alu instid0(VALU_DEP_2) | instskip(SKIP_1) | instid1(VALU_DEP_2)
	v_mul_lo_u32 v5, v5, v232
	s_set_vgpr_msb 1                        ;  msbs: dst=0 src0=1 src1=0 src2=0
	v_dot4_i32_iu8 v8, v10 /*v266*/, v9, v8 neg_lo:[1,1,0]
	s_set_vgpr_msb 0                        ;  msbs: dst=0 src0=0 src1=0 src2=0
	v_perm_b32 v9, v16, v158, 0x6050401
	s_set_vgpr_msb 64                       ;  msbs: dst=1 src0=0 src1=0 src2=0
	v_perm_b32 v10 /*v266*/, v168, v18, 0x6050401
	s_set_vgpr_msb 1                        ;  msbs: dst=0 src0=1 src1=0 src2=0
	s_delay_alu instid0(VALU_DEP_1) | instskip(SKIP_3) | instid1(VALU_DEP_2)
	v_dot4_i32_iu8 v9, v10 /*v266*/, v9, 0 neg_lo:[1,1,0]
	s_set_vgpr_msb 64                       ;  msbs: dst=1 src0=0 src1=0 src2=0
	v_perm_b32 v10 /*v266*/, v158, v17, 0x7060403
	s_set_vgpr_msb 5                        ;  msbs: dst=0 src0=1 src1=1 src2=0
	v_dot4_i32_iu8 v9, v7 /*v263*/, v26 /*v282*/, v9 neg_lo:[1,1,0]
	s_delay_alu instid0(VALU_DEP_1)
	v_dot4_i32_iu8 v9, v11 /*v267*/, v10 /*v266*/, v9 neg_lo:[1,1,0]
	s_set_vgpr_msb 64                       ;  msbs: dst=1 src0=0 src1=0 src2=0
	v_dot4_i32_iu8 v10 /*v266*/, v31, v167, v4 neg_lo:[1,1,0]
	s_set_vgpr_msb 0                        ;  msbs: dst=0 src0=0 src1=0 src2=0
	v_dot4_i32_iu8 v4, v23, v157, v8 neg_lo:[1,1,0]
	s_set_vgpr_msb 0x50                     ;  msbs: dst=1 src0=0 src1=0 src2=1
	v_dot4_i32_iu8 v11 /*v267*/, v11, v164, v19 /*v275*/ neg_lo:[1,1,0]
	s_set_vgpr_msb 16                       ;  msbs: dst=0 src0=0 src1=0 src2=1
	v_dot4_i32_iu8 v8, v3, v157, v20 /*v276*/ neg_lo:[1,1,0]
	s_set_vgpr_msb 0                        ;  msbs: dst=0 src0=0 src1=0 src2=0
	v_dot4_i32_iu8 v9, v19, v159, v9 neg_lo:[1,1,0]
	v_dot4_i32_iu8 v11, v15, v153, v14 neg_lo:[1,1,0]
	v_mul_lo_u32 v4, v4, v233
	v_mad_u32 v5, v8, v233, v5
	s_set_vgpr_msb 1                        ;  msbs: dst=0 src0=1 src1=0 src2=0
	v_mul_lo_u32 v8, v11 /*v267*/, v231
	s_set_vgpr_msb 0                        ;  msbs: dst=0 src0=0 src1=0 src2=0
	s_delay_alu instid0(VALU_DEP_3) | instskip(SKIP_3) | instid1(VALU_DEP_4)
	v_mad_u32 v4, v9, v232, v4
	s_set_vgpr_msb 1                        ;  msbs: dst=0 src0=1 src1=0 src2=0
	v_mul_lo_u32 v9, v10 /*v266*/, v230
	s_set_vgpr_msb 0                        ;  msbs: dst=0 src0=0 src1=0 src2=0
	v_cvt_f32_i32_e32 v5, v5
	s_set_vgpr_msb 1                        ;  msbs: dst=0 src0=1 src1=0 src2=0
	s_delay_alu instid0(VALU_DEP_4) | instskip(SKIP_1) | instid1(VALU_DEP_4)
	v_mad_u32 v8, v12 /*v268*/, v230, v8
	s_set_vgpr_msb 0                        ;  msbs: dst=0 src0=0 src1=0 src2=0
	v_cvt_f32_i32_e32 v4, v4
	s_set_vgpr_msb 0x41                     ;  msbs: dst=1 src0=1 src1=0 src2=0
	s_delay_alu instid0(VALU_DEP_4) | instskip(SKIP_1) | instid1(VALU_DEP_3)
	v_mad_u32 v10 /*v266*/, v13 /*v269*/, v231, v9
	s_set_vgpr_msb 0                        ;  msbs: dst=0 src0=0 src1=0 src2=0
	v_cvt_f32_i32_e32 v9, v8
	v_pk_fma_f32 v[4:5], v[12:13], v[4:5], 0 op_sel_hi:[1,1,0]
	s_set_vgpr_msb 1                        ;  msbs: dst=0 src0=1 src1=0 src2=0
	s_delay_alu instid0(VALU_DEP_3) | instskip(SKIP_1) | instid1(VALU_DEP_1)
	v_cvt_f32_i32_e32 v8, v10 /*v266*/
	s_set_vgpr_msb 0                        ;  msbs: dst=0 src0=0 src1=0 src2=0
	v_pk_fma_f32 v[4:5], v[0:1], v[8:9], v[4:5]
	v_perm_b32 v8, v29, v151, 0x6040503
	v_perm_b32 v9, v25, v152, 0x6040503
	s_delay_alu instid0(VALU_DEP_3) | instskip(SKIP_2) | instid1(VALU_DEP_1)
	v_pk_fma_f32 v[48:49], v[120:121], v[4:5], v[48:49]
	v_perm_b32 v4, v28, v171, 0x6040501
	v_or_b32_e32 v5, v149, v30
	v_dot4_i32_iu8 v4, v5, v4, 0 neg_lo:[1,1,0]
	v_perm_b32 v5, v170, v28, 0x6040503
	s_delay_alu instid0(VALU_DEP_1) | instskip(SKIP_3) | instid1(VALU_DEP_3)
	v_dot4_i32_iu8 v4, v8, v5, v4 neg_lo:[1,1,0]
	v_perm_b32 v5, v24, v173, 0x6040501
	v_perm_b32 v8, v152, v26, 0x6040501
	s_set_vgpr_msb 4                        ;  msbs: dst=0 src0=0 src1=1 src2=0
	v_dot4_i32_iu8 v4, v229, v23 /*v279*/, v4 neg_lo:[1,1,0]
	s_set_vgpr_msb 0                        ;  msbs: dst=0 src0=0 src1=0 src2=0
	s_delay_alu instid0(VALU_DEP_2) | instskip(SKIP_1) | instid1(VALU_DEP_3)
	v_dot4_i32_iu8 v5, v8, v5, 0 neg_lo:[1,1,0]
	v_perm_b32 v8, v172, v24, 0x6040503
	v_dot4_i32_iu8 v4, v31, v153, v4 neg_lo:[1,1,0]
	s_delay_alu instid0(VALU_DEP_2)
	v_dot4_i32_iu8 v5, v9, v8, v5 neg_lo:[1,1,0]
	v_perm_b32 v8, v20, v144, 0x6050401
	v_perm_b32 v9, v160, v22, 0x6050401
	;; [unrolled: 1-line block ×3, first 2 shown]
	v_mul_lo_u32 v4, v4, v32
	s_set_vgpr_msb 4                        ;  msbs: dst=0 src0=0 src1=1 src2=0
	v_dot4_i32_iu8 v5, v237, v24 /*v280*/, v5 neg_lo:[1,1,0]
	s_set_vgpr_msb 0                        ;  msbs: dst=0 src0=0 src1=0 src2=0
	v_dot4_i32_iu8 v8, v9, v8, 0 neg_lo:[1,1,0]
	v_perm_b32 v9, v144, v21, 0x7060403
	s_delay_alu instid0(VALU_DEP_3) | instskip(SKIP_1) | instid1(VALU_DEP_3)
	v_dot4_i32_iu8 v5, v27, v150, v5 neg_lo:[1,1,0]
	s_set_vgpr_msb 4                        ;  msbs: dst=0 src0=0 src1=1 src2=0
	v_dot4_i32_iu8 v8, v147, v9 /*v265*/, v8 neg_lo:[1,1,0]
	s_set_vgpr_msb 0                        ;  msbs: dst=0 src0=0 src1=0 src2=0
	s_delay_alu instid0(VALU_DEP_2) | instskip(SKIP_1) | instid1(VALU_DEP_3)
	v_mad_u32 v4, v5, v131, v4
	v_mad_u32 v5, v11, v32, v6
	v_dot4_i32_iu8 v8, v20, v9, v8 neg_lo:[1,1,0]
	v_perm_b32 v9, v16, v34, 0x6050401
	v_perm_b32 v16, v154, v18, 0x6050401
	s_delay_alu instid0(VALU_DEP_3) | instskip(NEXT) | instid1(VALU_DEP_2)
	v_dot4_i32_iu8 v8, v23, v145, v8 neg_lo:[1,1,0]
	v_dot4_i32_iu8 v9, v16, v9, 0 neg_lo:[1,1,0]
	v_perm_b32 v16, v34, v17, 0x7060403
	v_perm_b32 v17, v18, v155, 0x7060403
	s_delay_alu instid0(VALU_DEP_4)
	v_mul_lo_u32 v7, v8, v143
	v_cvt_f32_i32_e32 v5, v5
	s_set_vgpr_msb 5                        ;  msbs: dst=0 src0=1 src1=1 src2=0
	v_dot4_i32_iu8 v9, v6 /*v262*/, v26 /*v282*/, v9 neg_lo:[1,1,0]
	s_set_vgpr_msb 0                        ;  msbs: dst=0 src0=0 src1=0 src2=0
	v_cvt_f32_i32_e32 v4, v4
	s_delay_alu instid0(VALU_DEP_2) | instskip(NEXT) | instid1(VALU_DEP_1)
	v_dot4_i32_iu8 v9, v17, v16, v9 neg_lo:[1,1,0]
	v_dot4_i32_iu8 v3, v19, v35, v9 neg_lo:[1,1,0]
	s_delay_alu instid0(VALU_DEP_1) | instskip(SKIP_1) | instid1(VALU_DEP_2)
	v_mad_u32 v7, v3, v141, v7
	v_cvt_f32_i32_e32 v3, v2
	v_cvt_f32_i32_e32 v2, v7
	s_delay_alu instid0(VALU_DEP_1) | instskip(NEXT) | instid1(VALU_DEP_1)
	v_pk_fma_f32 v[2:3], v[12:13], v[2:3], 0 op_sel_hi:[1,1,0]
	v_pk_fma_f32 v[0:1], v[0:1], v[4:5], v[2:3]
	s_delay_alu instid0(VALU_DEP_1) | instskip(SKIP_1) | instid1(VALU_DEP_1)
	v_pk_fma_f32 v[44:45], v[122:123], v[0:1], v[44:45]
	v_or_b32_e32 v0, s11, v212
	v_lshlrev_b32_e32 v12, 2, v0
	s_set_vgpr_msb 64                       ;  msbs: dst=1 src0=0 src1=0 src2=0
	v_lshrrev_b32_e32 v16 /*v272*/, 1, v0
	s_set_vgpr_msb 0                        ;  msbs: dst=0 src0=0 src1=0 src2=0
	ds_load_b128 v[4:7], v12 offset:33280
	ds_load_b128 v[0:3], v12 offset:33296
	;; [unrolled: 1-line block ×4, first 2 shown]
	s_wait_dscnt 0x3
	v_perm_b32 v22, v126, v5, 0x7060403
	s_wait_dscnt 0x2
	v_perm_b32 v21, v1, v138, 0x6040503
	;; [unrolled: 2-line block ×4, first 2 shown]
	v_perm_b32 v17, v13, v12, 0x6040503
	v_perm_b32 v18, v14, v13, 0x7060403
	;; [unrolled: 1-line block ×4, first 2 shown]
	s_set_vgpr_msb 4                        ;  msbs: dst=0 src0=0 src1=1 src2=0
	v_dot4_i32_iu8 v16, v16, v3 /*v259*/, 0 neg_lo:[1,1,0]
	s_delay_alu instid0(VALU_DEP_1) | instskip(SKIP_1) | instid1(VALU_DEP_1)
	v_dot4_i32_iu8 v16, v17, v4 /*v260*/, v16 neg_lo:[1,1,0]
	s_set_vgpr_msb 0x44                     ;  msbs: dst=1 src0=0 src1=1 src2=0
	v_dot4_i32_iu8 v17 /*v273*/, v18, v2 /*v258*/, v16 neg_lo:[1,1,0]
	s_set_vgpr_msb 0                        ;  msbs: dst=0 src0=0 src1=0 src2=0
	v_perm_b32 v16, v8, v179, 0x6040501
	s_delay_alu instid0(VALU_DEP_1) | instskip(SKIP_1) | instid1(VALU_DEP_1)
	v_dot4_i32_iu8 v16, v19, v16, 0 neg_lo:[1,1,0]
	v_perm_b32 v19, v178, v8, 0x6040503
	v_dot4_i32_iu8 v16, v20, v19, v16 neg_lo:[1,1,0]
	v_perm_b32 v19, v10, v9, 0x7060403
	v_perm_b32 v20, v138, v2, 0x6050401
	s_set_vgpr_msb 0x41                     ;  msbs: dst=1 src0=1 src1=0 src2=0
	s_delay_alu instid0(VALU_DEP_2) | instskip(SKIP_2) | instid1(VALU_DEP_1)
	v_dot4_i32_iu8 v18 /*v274*/, v5 /*v261*/, v19, v16 neg_lo:[1,1,0]
	s_set_vgpr_msb 0                        ;  msbs: dst=0 src0=0 src1=0 src2=0
	v_perm_b32 v16, v0, v124, 0x6050401
	v_dot4_i32_iu8 v16, v20, v16, 0 neg_lo:[1,1,0]
	v_perm_b32 v20, v139, v0, 0x6040503
	s_delay_alu instid0(VALU_DEP_1) | instskip(SKIP_3) | instid1(VALU_DEP_2)
	v_dot4_i32_iu8 v16, v21, v20, v16 neg_lo:[1,1,0]
	v_perm_b32 v20, v2, v1, 0x7060403
	v_perm_b32 v21, v136, v6, 0x6050401
	s_set_vgpr_msb 64                       ;  msbs: dst=1 src0=0 src1=0 src2=0
	v_dot4_i32_iu8 v19 /*v275*/, v20, v228, v16 neg_lo:[1,1,0]
	s_set_vgpr_msb 0                        ;  msbs: dst=0 src0=0 src1=0 src2=0
	v_perm_b32 v16, v4, v126, 0x6050401
	s_delay_alu instid0(VALU_DEP_1) | instskip(SKIP_2) | instid1(VALU_DEP_1)
	v_dot4_i32_iu8 v16, v21, v16, 0 neg_lo:[1,1,0]
	v_perm_b32 v21, v5, v4, 0x6040503
	s_set_vgpr_msb 1                        ;  msbs: dst=0 src0=1 src1=0 src2=0
	v_dot4_i32_iu8 v16, v8 /*v264*/, v21, v16 neg_lo:[1,1,0]
	s_set_vgpr_msb 64                       ;  msbs: dst=1 src0=0 src1=0 src2=0
	s_delay_alu instid0(VALU_DEP_1) | instskip(SKIP_4) | instid1(VALU_DEP_3)
	v_dot4_i32_iu8 v20 /*v276*/, v23, v22, v16 neg_lo:[1,1,0]
	s_set_vgpr_msb 0                        ;  msbs: dst=0 src0=0 src1=0 src2=0
	v_perm_b32 v22, v14, v14, 0xc0c0c01
	v_perm_b32 v16, v12, v33, 0x6040503
	;; [unrolled: 1-line block ×3, first 2 shown]
	v_or_b32_e32 v14, v252, v22
	s_delay_alu instid0(VALU_DEP_1) | instskip(SKIP_1) | instid1(VALU_DEP_2)
	v_dot4_i32_iu8 v14, v14, v16, 0 neg_lo:[1,1,0]
	v_perm_b32 v16, v148, v10, 0x6040501
	v_dot4_i32_iu8 v14, v17, v253, v14 neg_lo:[1,1,0]
	v_perm_b32 v17, v140, v6, 0x6050401
	s_set_vgpr_msb 64                       ;  msbs: dst=1 src0=0 src1=0 src2=0
	s_delay_alu instid0(VALU_DEP_2) | instskip(SKIP_2) | instid1(VALU_DEP_1)
	v_dot4_i32_iu8 v12 /*v268*/, v254, v18, v14 neg_lo:[1,1,0]
	s_set_vgpr_msb 0                        ;  msbs: dst=0 src0=0 src1=0 src2=0
	v_perm_b32 v14, v8, v146, 0x6040501
	v_dot4_i32_iu8 v14, v16, v14, 0 neg_lo:[1,1,0]
	v_perm_b32 v16, v9, v8, 0x6040503
	v_perm_b32 v9, v9, v152, 0x6040503
	s_delay_alu instid0(VALU_DEP_2) | instskip(SKIP_2) | instid1(VALU_DEP_2)
	v_dot4_i32_iu8 v14, v255, v16, v14 neg_lo:[1,1,0]
	v_perm_b32 v16, v142, v2, 0x6050401
	s_set_vgpr_msb 0x41                     ;  msbs: dst=1 src0=1 src1=0 src2=0
	v_dot4_i32_iu8 v14 /*v270*/, v0 /*v256*/, v19, v14 neg_lo:[1,1,0]
	s_set_vgpr_msb 0                        ;  msbs: dst=0 src0=0 src1=0 src2=0
	v_perm_b32 v14, v0, v128, 0x6050401
	s_delay_alu instid0(VALU_DEP_1) | instskip(SKIP_1) | instid1(VALU_DEP_1)
	v_dot4_i32_iu8 v14, v16, v14, 0 neg_lo:[1,1,0]
	v_perm_b32 v16, v1, v0, 0x6040503
	v_dot4_i32_iu8 v14, v240, v16, v14 neg_lo:[1,1,0]
	s_set_vgpr_msb 64                       ;  msbs: dst=1 src0=0 src1=0 src2=0
	s_delay_alu instid0(VALU_DEP_1) | instskip(SKIP_4) | instid1(VALU_DEP_3)
	v_dot4_i32_iu8 v13 /*v269*/, v241, v20, v14 neg_lo:[1,1,0]
	s_set_vgpr_msb 0                        ;  msbs: dst=0 src0=0 src1=0 src2=0
	v_perm_b32 v14, v4, v132, 0x6050401
	v_perm_b32 v20, v13, v165, 0x6040503
	;; [unrolled: 1-line block ×3, first 2 shown]
	v_dot4_i32_iu8 v14, v17, v14, 0 neg_lo:[1,1,0]
	v_perm_b32 v17, v6, v5, 0x7060403
	s_delay_alu instid0(VALU_DEP_2) | instskip(SKIP_1) | instid1(VALU_DEP_1)
	v_dot4_i32_iu8 v14, v244, v21, v14 neg_lo:[1,1,0]
	s_set_vgpr_msb 64                       ;  msbs: dst=1 src0=0 src1=0 src2=0
	v_dot4_i32_iu8 v15 /*v271*/, v245, v17, v14 neg_lo:[1,1,0]
	s_set_vgpr_msb 0                        ;  msbs: dst=0 src0=0 src1=0 src2=0
	v_perm_b32 v14, v12, v175, 0x6040501
	v_or_b32_e32 v17, v234, v22
	s_delay_alu instid0(VALU_DEP_1) | instskip(SKIP_1) | instid1(VALU_DEP_1)
	v_dot4_i32_iu8 v14, v17, v14, 0 neg_lo:[1,1,0]
	v_perm_b32 v17, v174, v12, 0x6040503
	v_dot4_i32_iu8 v14, v20, v17, v14 neg_lo:[1,1,0]
	v_perm_b32 v17, v8, v177, 0x6040501
	v_perm_b32 v20, v166, v10, 0x6040501
	;; [unrolled: 1-line block ×3, first 2 shown]
	s_delay_alu instid0(VALU_DEP_4) | instskip(NEXT) | instid1(VALU_DEP_3)
	v_dot4_i32_iu8 v14, v236, v18, v14 neg_lo:[1,1,0]
	v_dot4_i32_iu8 v17, v20, v17, 0 neg_lo:[1,1,0]
	v_perm_b32 v20, v176, v8, 0x6040503
	s_delay_alu instid0(VALU_DEP_3) | instskip(NEXT) | instid1(VALU_DEP_2)
	v_dot4_i32_iu8 v14, v15, v167, v14 neg_lo:[1,1,0]
	v_dot4_i32_iu8 v17, v23, v20, v17 neg_lo:[1,1,0]
	v_perm_b32 v20, v162, v2, 0x6050401
	v_perm_b32 v23, v2, v163, 0x7060403
	s_set_vgpr_msb 0x41                     ;  msbs: dst=1 src0=1 src1=0 src2=0
	s_delay_alu instid0(VALU_DEP_3) | instskip(SKIP_3) | instid1(VALU_DEP_2)
	v_dot4_i32_iu8 v9 /*v265*/, v1 /*v257*/, v19, v17 neg_lo:[1,1,0]
	s_set_vgpr_msb 0                        ;  msbs: dst=0 src0=0 src1=0 src2=0
	v_perm_b32 v17, v0, v156, 0x6050401
	v_perm_b32 v0, v0, v144, 0x6050401
	v_dot4_i32_iu8 v17, v20, v17, 0 neg_lo:[1,1,0]
	v_perm_b32 v20, v156, v1, 0x7060403
	v_perm_b32 v1, v144, v1, 0x7060403
	s_delay_alu instid0(VALU_DEP_3) | instskip(SKIP_1) | instid1(VALU_DEP_1)
	v_dot4_i32_iu8 v17, v235, v16, v17 neg_lo:[1,1,0]
	s_set_vgpr_msb 64                       ;  msbs: dst=1 src0=0 src1=0 src2=0
	v_dot4_i32_iu8 v10 /*v266*/, v23, v20, v17 neg_lo:[1,1,0]
	s_set_vgpr_msb 0                        ;  msbs: dst=0 src0=0 src1=0 src2=0
	v_perm_b32 v17, v4, v158, 0x6050401
	v_perm_b32 v20, v168, v6, 0x6050401
	;; [unrolled: 1-line block ×3, first 2 shown]
	s_delay_alu instid0(VALU_DEP_2) | instskip(SKIP_2) | instid1(VALU_DEP_2)
	v_dot4_i32_iu8 v17, v20, v17, 0 neg_lo:[1,1,0]
	v_perm_b32 v20, v158, v5, 0x7060403
	s_set_vgpr_msb 1                        ;  msbs: dst=0 src0=1 src1=0 src2=0
	v_dot4_i32_iu8 v17, v7 /*v263*/, v21, v17 neg_lo:[1,1,0]
	s_set_vgpr_msb 64                       ;  msbs: dst=1 src0=0 src1=0 src2=0
	s_delay_alu instid0(VALU_DEP_1) | instskip(SKIP_4) | instid1(VALU_DEP_2)
	v_dot4_i32_iu8 v11 /*v267*/, v23, v20, v17 neg_lo:[1,1,0]
	s_set_vgpr_msb 0                        ;  msbs: dst=0 src0=0 src1=0 src2=0
	v_perm_b32 v17, v12, v171, 0x6040501
	v_or_b32_e32 v20, v149, v22
	v_perm_b32 v12, v170, v12, 0x6040503
	v_dot4_i32_iu8 v17, v20, v17, 0 neg_lo:[1,1,0]
	s_delay_alu instid0(VALU_DEP_1) | instskip(SKIP_2) | instid1(VALU_DEP_3)
	v_dot4_i32_iu8 v12, v13, v12, v17 neg_lo:[1,1,0]
	v_perm_b32 v13, v8, v173, 0x6040501
	v_perm_b32 v8, v172, v8, 0x6040503
	v_dot4_i32_iu8 v12, v229, v18, v12 neg_lo:[1,1,0]
	s_delay_alu instid0(VALU_DEP_3) | instskip(NEXT) | instid1(VALU_DEP_1)
	v_dot4_i32_iu8 v10, v10, v13, 0 neg_lo:[1,1,0]
	v_dot4_i32_iu8 v8, v9, v8, v10 neg_lo:[1,1,0]
	v_perm_b32 v9, v160, v2, 0x6050401
	v_perm_b32 v2, v2, v161, 0x7060403
	s_delay_alu instid0(VALU_DEP_3) | instskip(NEXT) | instid1(VALU_DEP_3)
	v_dot4_i32_iu8 v8, v237, v19, v8 neg_lo:[1,1,0]
	v_dot4_i32_iu8 v0, v9, v0, 0 neg_lo:[1,1,0]
	s_delay_alu instid0(VALU_DEP_2) | instskip(NEXT) | instid1(VALU_DEP_2)
	v_dot4_i32_iu8 v8, v11, v150, v8 neg_lo:[1,1,0]
	v_dot4_i32_iu8 v0, v147, v16, v0 neg_lo:[1,1,0]
	s_delay_alu instid0(VALU_DEP_1) | instskip(SKIP_3) | instid1(VALU_DEP_4)
	v_dot4_i32_iu8 v2, v2, v1, v0 neg_lo:[1,1,0]
	v_perm_b32 v0, v4, v34, 0x6050401
	v_perm_b32 v1, v154, v6, 0x6050401
	;; [unrolled: 1-line block ×3, first 2 shown]
	v_dot4_i32_iu8 v2, v3, v145, v2 neg_lo:[1,1,0]
	s_delay_alu instid0(VALU_DEP_3) | instskip(SKIP_2) | instid1(VALU_DEP_2)
	v_dot4_i32_iu8 v0, v1, v0, 0 neg_lo:[1,1,0]
	v_perm_b32 v1, v34, v5, 0x7060403
	s_set_vgpr_msb 1                        ;  msbs: dst=0 src0=1 src1=0 src2=0
	v_dot4_i32_iu8 v0, v6 /*v262*/, v21, v0 neg_lo:[1,1,0]
	s_set_vgpr_msb 0                        ;  msbs: dst=0 src0=0 src1=0 src2=0
	s_delay_alu instid0(VALU_DEP_1) | instskip(SKIP_1) | instid1(VALU_DEP_2)
	v_dot4_i32_iu8 v6, v4, v1, v0 neg_lo:[1,1,0]
	v_or_b32_e32 v0, s11, v213
	v_dot4_i32_iu8 v6, v7, v35, v6 neg_lo:[1,1,0]
	s_delay_alu instid0(VALU_DEP_2)
	v_lshlrev_b32_e32 v1, 2, v0
	ds_load_b128 v[16:19], v1 offset:33280
	ds_load_b128 v[20:23], v1 offset:33296
	;; [unrolled: 1-line block ×4, first 2 shown]
	v_lshrrev_b32_e32 v4, 1, v0
	v_mul_lo_u32 v6, v6, v141
	s_delay_alu instid0(VALU_DEP_1)
	v_mad_u32 v2, v2, v143, v6
	s_wait_dscnt 0x1
	v_perm_b32 v1, v134, v26, 0x6040501
	s_wait_dscnt 0x0
	v_perm_b32 v0, v28, v30, 0x6040501
	v_perm_b32 v13, v29, v28, 0x6040503
	;; [unrolled: 1-line block ×5, first 2 shown]
	s_set_vgpr_msb 4                        ;  msbs: dst=0 src0=0 src1=1 src2=0
	v_dot4_i32_iu8 v0, v0, v3 /*v259*/, 0 neg_lo:[1,1,0]
	s_set_vgpr_msb 0                        ;  msbs: dst=0 src0=0 src1=0 src2=0
	v_perm_b32 v33, v28, v33, 0x6040503
	s_set_vgpr_msb 4                        ;  msbs: dst=0 src0=0 src1=1 src2=0
	s_delay_alu instid0(VALU_DEP_2) | instskip(NEXT) | instid1(VALU_DEP_1)
	v_dot4_i32_iu8 v0, v13, v4 /*v260*/, v0 neg_lo:[1,1,0]
	v_dot4_i32_iu8 v5, v9, v2 /*v258*/, v0 neg_lo:[1,1,0]
	s_set_vgpr_msb 16                       ;  msbs: dst=0 src0=0 src1=0 src2=1
	v_perm_b32 v0, v24, v179, 0x6040501
	v_dot4_i32_iu8 v179, v11, v130, v18 /*v274*/ neg_lo:[1,1,0]
	s_delay_alu instid0(VALU_DEP_2)
	v_dot4_i32_iu8 v0, v1, v0, 0 neg_lo:[1,1,0]
	v_perm_b32 v1, v178, v24, 0x6040503
	s_set_vgpr_msb 0                        ;  msbs: dst=0 src0=0 src1=0 src2=0
	v_dot4_i32_iu8 v178, v31, v135, v5 neg_lo:[1,1,0]
	s_set_vgpr_msb 16                       ;  msbs: dst=0 src0=0 src1=0 src2=1
	v_dot4_i32_iu8 v5, v7, v127, v20 /*v276*/ neg_lo:[1,1,0]
	v_dot4_i32_iu8 v135, v15, v135, v17 /*v273*/ neg_lo:[1,1,0]
	s_set_vgpr_msb 0                        ;  msbs: dst=0 src0=0 src1=0 src2=0
	v_dot4_i32_iu8 v0, v10, v1, v0 neg_lo:[1,1,0]
	v_perm_b32 v10, v26, v25, 0x7060403
	v_perm_b32 v1, v138, v22, 0x6050401
	v_mul_lo_u32 v5, v5, v242
	s_set_vgpr_msb 1                        ;  msbs: dst=0 src0=1 src1=0 src2=0
	s_delay_alu instid0(VALU_DEP_3)
	v_dot4_i32_iu8 v134, v5 /*v261*/, v10, v0 neg_lo:[1,1,0]
	s_set_vgpr_msb 0                        ;  msbs: dst=0 src0=0 src1=0 src2=0
	v_perm_b32 v0, v20, v124, 0x6050401
	v_perm_b32 v124, v21, v138, 0x6040503
	;; [unrolled: 1-line block ×3, first 2 shown]
	v_dot4_i32_iu8 v130, v27, v130, v134 neg_lo:[1,1,0]
	s_delay_alu instid0(VALU_DEP_4) | instskip(SKIP_2) | instid1(VALU_DEP_2)
	v_dot4_i32_iu8 v0, v1, v0, 0 neg_lo:[1,1,0]
	v_perm_b32 v1, v139, v20, 0x6040503
	v_perm_b32 v139, v17, v16, 0x6040503
	v_dot4_i32_iu8 v0, v124, v1, v0 neg_lo:[1,1,0]
	v_perm_b32 v1, v136, v18, 0x6050401
	s_delay_alu instid0(VALU_DEP_2) | instskip(SKIP_1) | instid1(VALU_DEP_1)
	v_dot4_i32_iu8 v124, v138, v228, v0 neg_lo:[1,1,0]
	v_perm_b32 v0, v16, v126, 0x6050401
	v_dot4_i32_iu8 v0, v1, v0, 0 neg_lo:[1,1,0]
	v_perm_b32 v1, v126, v17, 0x7060403
	v_perm_b32 v126, v18, v137, 0x7060403
	s_set_vgpr_msb 1                        ;  msbs: dst=0 src0=1 src1=0 src2=0
	s_delay_alu instid0(VALU_DEP_3) | instskip(SKIP_1) | instid1(VALU_DEP_1)
	v_dot4_i32_iu8 v0, v8 /*v264*/, v139, v0 neg_lo:[1,1,0]
	s_set_vgpr_msb 0                        ;  msbs: dst=0 src0=0 src1=0 src2=0
	v_dot4_i32_iu8 v126, v126, v1, v0 neg_lo:[1,1,0]
	s_set_vgpr_msb 1                        ;  msbs: dst=0 src0=1 src1=0 src2=0
	ds_load_b64 v[0:1], v16 /*v272*/ offset:43584
	s_set_vgpr_msb 0                        ;  msbs: dst=0 src0=0 src1=0 src2=0
	ds_load_b64 v[136:137], v4 offset:43584
	v_dot4_i32_iu8 v4, v23, v125, v124 neg_lo:[1,1,0]
	s_set_vgpr_msb 16                       ;  msbs: dst=0 src0=0 src1=0 src2=1
	v_dot4_i32_iu8 v124, v3, v125, v19 /*v275*/ neg_lo:[1,1,0]
	s_set_vgpr_msb 0                        ;  msbs: dst=0 src0=0 src1=0 src2=0
	v_dot4_i32_iu8 v125, v19, v127, v126 neg_lo:[1,1,0]
	v_mul_lo_u32 v126, v178, v239
	v_mul_lo_u32 v4, v4, v243
	v_mad_u32 v5, v124, v243, v5
	s_delay_alu instid0(VALU_DEP_3) | instskip(NEXT) | instid1(VALU_DEP_3)
	v_mad_u32 v126, v130, v238, v126
	v_mad_u32 v4, v125, v242, v4
	s_delay_alu instid0(VALU_DEP_3)
	v_cvt_f32_i32_e32 v125, v5
	s_wait_dscnt 0x1
	v_mov_b32_e32 v5, v0
	v_mul_lo_u32 v0, v179, v238
	v_perm_b32 v130, v27, v27, 0x3020001
	v_cvt_f32_i32_e32 v126, v126
	v_cvt_f32_i32_e32 v124, v4
	s_wait_dscnt 0x0
	v_mov_b32_e32 v4, v136
	v_mad_u32 v0, v135, v239, v0
	s_delay_alu instid0(VALU_DEP_2) | instskip(NEXT) | instid1(VALU_DEP_2)
	v_pk_fma_f32 v[124:125], v[4:5], v[124:125], 0 op_sel_hi:[1,1,0]
	v_cvt_f32_i32_e32 v127, v0
	v_mov_b32_e32 v0, v137
	s_delay_alu instid0(VALU_DEP_1) | instskip(SKIP_2) | instid1(VALU_DEP_3)
	v_pk_fma_f32 v[124:125], v[0:1], v[126:127], v[124:125]
	v_perm_b32 v126, v140, v18, 0x6050401
	v_perm_b32 v127, v15, v15, 0x3020001
	v_pk_fma_f32 v[42:43], v[116:117], v[124:125], v[42:43]
	v_or_b32_e32 v124, v252, v30
	v_perm_b32 v125, v142, v22, 0x6050401
	s_set_vgpr_msb 16                       ;  msbs: dst=0 src0=0 src1=0 src2=1
	v_dot4_i32_iu8 v127, v127, v250, v12 /*v268*/ neg_lo:[1,1,0]
	s_delay_alu instid0(VALU_DEP_3) | instskip(SKIP_2) | instid1(VALU_DEP_2)
	v_dot4_i32_iu8 v33, v124, v33, 0 neg_lo:[1,1,0]
	v_perm_b32 v124, v148, v26, 0x6040501
	s_set_vgpr_msb 0                        ;  msbs: dst=0 src0=0 src1=0 src2=0
	v_dot4_i32_iu8 v13, v13, v253, v33 neg_lo:[1,1,0]
	v_perm_b32 v33, v24, v146, 0x6040501
	s_delay_alu instid0(VALU_DEP_2) | instskip(NEXT) | instid1(VALU_DEP_2)
	v_dot4_i32_iu8 v13, v254, v9, v13 neg_lo:[1,1,0]
	v_dot4_i32_iu8 v33, v124, v33, 0 neg_lo:[1,1,0]
	v_perm_b32 v124, v25, v24, 0x6040503
	s_delay_alu instid0(VALU_DEP_1) | instskip(SKIP_3) | instid1(VALU_DEP_3)
	v_dot4_i32_iu8 v33, v255, v124, v33 neg_lo:[1,1,0]
	v_perm_b32 v124, v20, v128, 0x6050401
	v_perm_b32 v128, v21, v20, 0x6040503
	s_set_vgpr_msb 1                        ;  msbs: dst=0 src0=1 src1=0 src2=0
	v_dot4_i32_iu8 v33, v0 /*v256*/, v10, v33 neg_lo:[1,1,0]
	s_set_vgpr_msb 0                        ;  msbs: dst=0 src0=0 src1=0 src2=0
	v_dot4_i32_iu8 v124, v125, v124, 0 neg_lo:[1,1,0]
	v_perm_b32 v125, v16, v132, 0x6050401
	s_delay_alu instid0(VALU_DEP_3) | instskip(NEXT) | instid1(VALU_DEP_3)
	v_dot4_i32_iu8 v33, v130, v251, v33 neg_lo:[1,1,0]
	v_dot4_i32_iu8 v124, v240, v128, v124 neg_lo:[1,1,0]
	s_delay_alu instid0(VALU_DEP_3)
	v_dot4_i32_iu8 v125, v126, v125, 0 neg_lo:[1,1,0]
	v_perm_b32 v126, v18, v17, 0x7060403
	s_set_vgpr_msb 16                       ;  msbs: dst=0 src0=0 src1=0 src2=1
	v_dot4_i32_iu8 v130, v7, v133, v15 /*v271*/ neg_lo:[1,1,0]
	s_set_vgpr_msb 0                        ;  msbs: dst=0 src0=0 src1=0 src2=0
	v_dot4_i32_iu8 v124, v241, v138, v124 neg_lo:[1,1,0]
	v_dot4_i32_iu8 v125, v244, v139, v125 neg_lo:[1,1,0]
	s_delay_alu instid0(VALU_DEP_3) | instskip(NEXT) | instid1(VALU_DEP_3)
	v_mul_lo_u32 v130, v130, v249
	v_dot4_i32_iu8 v124, v23, v129, v124 neg_lo:[1,1,0]
	s_delay_alu instid0(VALU_DEP_3)
	v_dot4_i32_iu8 v125, v245, v126, v125 neg_lo:[1,1,0]
	v_perm_b32 v126, v31, v31, 0x3020001
	s_set_vgpr_msb 16                       ;  msbs: dst=0 src0=0 src1=0 src2=1
	v_dot4_i32_iu8 v129, v3, v129, v13 /*v269*/ neg_lo:[1,1,0]
	v_mul_lo_u32 v124, v124, v248
	s_set_vgpr_msb 0                        ;  msbs: dst=0 src0=0 src1=0 src2=0
	v_dot4_i32_iu8 v125, v19, v133, v125 neg_lo:[1,1,0]
	v_dot4_i32_iu8 v13, v126, v250, v13 neg_lo:[1,1,0]
	v_perm_b32 v126, v11, v11, 0x3020001
	s_delay_alu instid0(VALU_DEP_2) | instskip(SKIP_1) | instid1(VALU_DEP_2)
	v_mul_lo_u32 v13, v13, v247
	s_set_vgpr_msb 16                       ;  msbs: dst=0 src0=0 src1=0 src2=1
	v_dot4_i32_iu8 v126, v126, v251, v14 /*v270*/ neg_lo:[1,1,0]
	s_set_vgpr_msb 0                        ;  msbs: dst=0 src0=0 src1=0 src2=0
	v_mad_u32 v124, v125, v249, v124
	v_mad_u32 v125, v129, v248, v130
	s_delay_alu instid0(VALU_DEP_3)
	v_mul_lo_u32 v126, v126, v246
	s_set_vgpr_msb 16                       ;  msbs: dst=0 src0=0 src1=0 src2=1
	v_dot4_i32_iu8 v129, v3, v157, v10 /*v266*/ neg_lo:[1,1,0]
	s_set_vgpr_msb 0                        ;  msbs: dst=0 src0=0 src1=0 src2=0
	v_mad_u32 v13, v33, v246, v13
	v_cvt_f32_i32_e32 v124, v124
	v_cvt_f32_i32_e32 v125, v125
	v_mad_u32 v33, v127, v247, v126
	s_delay_alu instid0(VALU_DEP_2) | instskip(SKIP_2) | instid1(VALU_DEP_4)
	v_pk_fma_f32 v[124:125], v[4:5], v[124:125], 0 op_sel_hi:[1,1,0]
	v_cvt_f32_i32_e32 v126, v13
	v_perm_b32 v13, v28, v175, 0x6040501
	v_cvt_f32_i32_e32 v127, v33
	v_or_b32_e32 v33, v234, v30
	s_delay_alu instid0(VALU_DEP_2) | instskip(NEXT) | instid1(VALU_DEP_2)
	v_pk_fma_f32 v[124:125], v[0:1], v[126:127], v[124:125]
	v_dot4_i32_iu8 v13, v33, v13, 0 neg_lo:[1,1,0]
	v_perm_b32 v33, v174, v28, 0x6040503
	v_perm_b32 v126, v22, v163, 0x7060403
	v_perm_b32 v127, v18, v169, 0x7060403
	v_pk_fma_f32 v[40:41], v[118:119], v[124:125], v[40:41]
	v_perm_b32 v124, v29, v165, 0x6040503
	v_perm_b32 v125, v25, v166, 0x6040503
	s_delay_alu instid0(VALU_DEP_2) | instskip(SKIP_2) | instid1(VALU_DEP_3)
	v_dot4_i32_iu8 v13, v124, v33, v13 neg_lo:[1,1,0]
	v_perm_b32 v33, v24, v177, 0x6040501
	v_perm_b32 v124, v166, v26, 0x6040501
	v_dot4_i32_iu8 v13, v236, v9, v13 neg_lo:[1,1,0]
	s_delay_alu instid0(VALU_DEP_2) | instskip(SKIP_1) | instid1(VALU_DEP_3)
	v_dot4_i32_iu8 v33, v124, v33, 0 neg_lo:[1,1,0]
	v_perm_b32 v124, v176, v24, 0x6040503
	v_dot4_i32_iu8 v13, v31, v167, v13 neg_lo:[1,1,0]
	s_delay_alu instid0(VALU_DEP_2) | instskip(SKIP_2) | instid1(VALU_DEP_4)
	v_dot4_i32_iu8 v33, v125, v124, v33 neg_lo:[1,1,0]
	v_perm_b32 v124, v20, v156, 0x6050401
	v_perm_b32 v125, v162, v22, 0x6050401
	v_mul_lo_u32 v13, v13, v230
	s_set_vgpr_msb 1                        ;  msbs: dst=0 src0=1 src1=0 src2=0
	v_dot4_i32_iu8 v33, v1 /*v257*/, v10, v33 neg_lo:[1,1,0]
	s_set_vgpr_msb 0                        ;  msbs: dst=0 src0=0 src1=0 src2=0
	v_dot4_i32_iu8 v124, v125, v124, 0 neg_lo:[1,1,0]
	v_perm_b32 v125, v156, v21, 0x7060403
	s_delay_alu instid0(VALU_DEP_3) | instskip(NEXT) | instid1(VALU_DEP_3)
	v_dot4_i32_iu8 v33, v27, v164, v33 neg_lo:[1,1,0]
	v_dot4_i32_iu8 v124, v235, v128, v124 neg_lo:[1,1,0]
	s_delay_alu instid0(VALU_DEP_2) | instskip(NEXT) | instid1(VALU_DEP_2)
	v_mad_u32 v13, v33, v231, v13
	v_dot4_i32_iu8 v124, v126, v125, v124 neg_lo:[1,1,0]
	v_perm_b32 v125, v16, v158, 0x6050401
	v_perm_b32 v126, v168, v18, 0x6050401
	s_delay_alu instid0(VALU_DEP_3) | instskip(NEXT) | instid1(VALU_DEP_2)
	v_dot4_i32_iu8 v124, v23, v157, v124 neg_lo:[1,1,0]
	v_dot4_i32_iu8 v125, v126, v125, 0 neg_lo:[1,1,0]
	v_perm_b32 v126, v158, v17, 0x7060403
	s_delay_alu instid0(VALU_DEP_3) | instskip(SKIP_1) | instid1(VALU_DEP_3)
	v_mul_lo_u32 v124, v124, v233
	s_set_vgpr_msb 1                        ;  msbs: dst=0 src0=1 src1=0 src2=0
	v_dot4_i32_iu8 v125, v7 /*v263*/, v139, v125 neg_lo:[1,1,0]
	s_set_vgpr_msb 0                        ;  msbs: dst=0 src0=0 src1=0 src2=0
	s_delay_alu instid0(VALU_DEP_1)
	v_dot4_i32_iu8 v125, v127, v126, v125 neg_lo:[1,1,0]
	s_set_vgpr_msb 16                       ;  msbs: dst=0 src0=0 src1=0 src2=1
	v_dot4_i32_iu8 v126, v11, v164, v9 /*v265*/ neg_lo:[1,1,0]
	v_dot4_i32_iu8 v127, v7, v159, v11 /*v267*/ neg_lo:[1,1,0]
	s_set_vgpr_msb 0                        ;  msbs: dst=0 src0=0 src1=0 src2=0
	v_dot4_i32_iu8 v11, v15, v153, v12 neg_lo:[1,1,0]
	v_dot4_i32_iu8 v125, v19, v159, v125 neg_lo:[1,1,0]
	v_mul_lo_u32 v126, v126, v231
	v_mul_lo_u32 v127, v127, v232
	s_delay_alu instid0(VALU_DEP_3) | instskip(NEXT) | instid1(VALU_DEP_3)
	v_mad_u32 v124, v125, v232, v124
	v_mad_u32 v14, v14, v230, v126
	s_delay_alu instid0(VALU_DEP_3)
	v_mad_u32 v125, v129, v233, v127
	v_cvt_f32_i32_e32 v126, v13
	v_perm_b32 v13, v28, v171, 0x6040501
	v_cvt_f32_i32_e32 v124, v124
	v_cvt_f32_i32_e32 v127, v14
	v_or_b32_e32 v14, v149, v30
	v_cvt_f32_i32_e32 v125, v125
	s_delay_alu instid0(VALU_DEP_2) | instskip(SKIP_2) | instid1(VALU_DEP_4)
	v_dot4_i32_iu8 v13, v14, v13, 0 neg_lo:[1,1,0]
	v_perm_b32 v14, v170, v28, 0x6040503
	v_perm_b32 v28, v29, v151, 0x6040503
	v_pk_fma_f32 v[124:125], v[4:5], v[124:125], 0 op_sel_hi:[1,1,0]
	s_delay_alu instid0(VALU_DEP_2) | instskip(SKIP_1) | instid1(VALU_DEP_3)
	v_dot4_i32_iu8 v13, v28, v14, v13 neg_lo:[1,1,0]
	v_perm_b32 v14, v152, v26, 0x6040501
	v_pk_fma_f32 v[124:125], v[0:1], v[126:127], v[124:125]
	s_delay_alu instid0(VALU_DEP_3) | instskip(SKIP_1) | instid1(VALU_DEP_3)
	v_dot4_i32_iu8 v9, v229, v9, v13 neg_lo:[1,1,0]
	v_perm_b32 v13, v24, v173, 0x6040501
	v_pk_fma_f32 v[38:39], v[120:121], v[124:125], v[38:39]
	s_delay_alu instid0(VALU_DEP_3) | instskip(NEXT) | instid1(VALU_DEP_3)
	v_dot4_i32_iu8 v9, v31, v153, v9 neg_lo:[1,1,0]
	v_dot4_i32_iu8 v13, v14, v13, 0 neg_lo:[1,1,0]
	v_perm_b32 v14, v172, v24, 0x6040503
	v_perm_b32 v24, v25, v152, 0x6040503
	s_delay_alu instid0(VALU_DEP_1) | instskip(SKIP_1) | instid1(VALU_DEP_2)
	v_dot4_i32_iu8 v13, v24, v14, v13 neg_lo:[1,1,0]
	v_perm_b32 v14, v160, v22, 0x6050401
	v_dot4_i32_iu8 v10, v237, v10, v13 neg_lo:[1,1,0]
	v_perm_b32 v13, v20, v144, 0x6050401
	v_perm_b32 v20, v22, v161, 0x7060403
	s_delay_alu instid0(VALU_DEP_3) | instskip(NEXT) | instid1(VALU_DEP_3)
	v_dot4_i32_iu8 v10, v27, v150, v10 neg_lo:[1,1,0]
	v_dot4_i32_iu8 v13, v14, v13, 0 neg_lo:[1,1,0]
	v_perm_b32 v14, v144, v21, 0x7060403
	s_delay_alu instid0(VALU_DEP_2) | instskip(NEXT) | instid1(VALU_DEP_1)
	v_dot4_i32_iu8 v13, v147, v128, v13 neg_lo:[1,1,0]
	v_dot4_i32_iu8 v13, v20, v14, v13 neg_lo:[1,1,0]
	v_perm_b32 v14, v16, v34, 0x6050401
	v_perm_b32 v16, v154, v18, 0x6050401
	s_delay_alu instid0(VALU_DEP_3) | instskip(NEXT) | instid1(VALU_DEP_2)
	v_dot4_i32_iu8 v12, v23, v145, v13 neg_lo:[1,1,0]
	v_dot4_i32_iu8 v14, v16, v14, 0 neg_lo:[1,1,0]
	v_perm_b32 v16, v34, v17, 0x7060403
	v_perm_b32 v17, v18, v155, 0x7060403
	s_delay_alu instid0(VALU_DEP_4) | instskip(SKIP_3) | instid1(VALU_DEP_1)
	v_mul_lo_u32 v7, v12, v143
	s_set_vgpr_msb 1                        ;  msbs: dst=0 src0=1 src1=0 src2=0
	v_dot4_i32_iu8 v14, v6 /*v262*/, v139, v14 neg_lo:[1,1,0]
	s_set_vgpr_msb 0                        ;  msbs: dst=0 src0=0 src1=0 src2=0
	v_dot4_i32_iu8 v14, v17, v16, v14 neg_lo:[1,1,0]
	s_delay_alu instid0(VALU_DEP_1) | instskip(NEXT) | instid1(VALU_DEP_1)
	v_dot4_i32_iu8 v3, v19, v35, v14 neg_lo:[1,1,0]
	v_mad_u32 v7, v3, v141, v7
	v_cvt_f32_i32_e32 v3, v2
	s_delay_alu instid0(VALU_DEP_2) | instskip(NEXT) | instid1(VALU_DEP_1)
	v_cvt_f32_i32_e32 v2, v7
	v_pk_fma_f32 v[2:3], v[4:5], v[2:3], 0 op_sel_hi:[1,1,0]
	v_mul_lo_u32 v4, v8, v131
	v_mul_lo_u32 v5, v9, v32
	s_delay_alu instid0(VALU_DEP_2) | instskip(NEXT) | instid1(VALU_DEP_2)
	v_mad_u32 v4, v11, v32, v4
	v_mad_u32 v6, v10, v131, v5
	s_delay_alu instid0(VALU_DEP_2) | instskip(NEXT) | instid1(VALU_DEP_2)
	v_cvt_f32_i32_e32 v5, v4
	v_cvt_f32_i32_e32 v4, v6
	s_delay_alu instid0(VALU_DEP_1) | instskip(NEXT) | instid1(VALU_DEP_1)
	v_pk_fma_f32 v[0:1], v[0:1], v[4:5], v[2:3]
	v_pk_fma_f32 v[36:37], v[122:123], v[0:1], v[36:37]
	s_cbranch_vccnz .LBB136_6
; %bb.7:                                ;   in Loop: Header=BB136_5 Depth=1
	v_dual_add_nc_u32 v8, s7, v200 :: v_dual_add_nc_u32 v4, 4, v227
	s_barrier_signal -1
	s_barrier_wait -1
	s_delay_alu instid0(VALU_DEP_1)
	v_dual_add_nc_u32 v6, v8, v201 :: v_dual_add_nc_u32 v14, v8, v198
	v_dual_add_nc_u32 v0, v8, v193 :: v_dual_add_nc_u32 v2, v8, v194
	;; [unrolled: 1-line block ×3, first 2 shown]
	v_mad_nc_u64_u32 v[4:5], v4, 36, s[2:3]
	v_dual_add_nc_u32 v12, v8, v197 :: v_dual_add_nc_u32 v16, v8, v199
	v_mad_nc_i64_i32 v[6:7], v6, 36, v[76:77]
	v_mad_nc_i64_i32 v[0:1], v0, 36, v[76:77]
	;; [unrolled: 1-line block ×8, first 2 shown]
	s_clause 0x8
	global_load_b32 v18, v[4:5], off
	global_load_b32 v19, v[6:7], off offset:4
	global_load_b32 v20, v[0:1], off offset:4
	;; [unrolled: 1-line block ×8, first 2 shown]
	s_mov_b32 s7, 16
	s_wait_loadcnt 0x8
	s_wait_xcnt 0x6
	v_cvt_f32_f16_e32 v0, v18
	s_wait_loadcnt 0x7
	ds_store_b32 v181, v19
	s_wait_loadcnt 0x6
	ds_store_b32 v105, v20
	s_wait_loadcnt 0x5
	ds_store_b32 v107, v21
	s_wait_loadcnt 0x4
	ds_store_b32 v109, v22
	s_wait_loadcnt 0x3
	ds_store_b32 v111, v23
	s_wait_loadcnt 0x2
	ds_store_b32 v113, v24
	s_wait_loadcnt 0x1
	ds_store_b32 v115, v25
	s_wait_loadcnt 0x0
	ds_store_b32 v180, v26
	ds_store_b32 v192, v0
	s_wait_dscnt 0x0
	s_barrier_signal -1
	s_barrier_wait -1
	ds_load_b32 v116, v203
	ds_load_b32 v118, v204 offset:128
	ds_load_b32 v120, v205 offset:256
	;; [unrolled: 1-line block ×3, first 2 shown]
	s_wait_dscnt 0x2
	v_dual_mov_b32 v117, v116 :: v_dual_mov_b32 v119, v118
	s_wait_dscnt 0x0
	v_dual_mov_b32 v121, v120 :: v_dual_mov_b32 v123, v122
.LBB136_8:                              ;   Parent Loop BB136_5 Depth=1
                                        ; =>  This Inner Loop Header: Depth=2
	s_lshl_b32 s10, s7, 1
	s_lshl_b32 s16, s7, 3
	s_and_b32 s10, s10, 16
	s_lshr_b32 s11, s7, 1
	v_or_b32_e32 v0, s10, v87
	s_add_co_i32 s11, s11, 0xa200
	v_add_nc_u32_e32 v152, s16, v222
	v_add3_u32 v150, s11, v225, v217
	v_add3_u32 v162, s11, v226, v214
	v_lshlrev_b32_e32 v1, 2, v0
	ds_load_b128 v[8:11], v1 offset:33280
	ds_load_b128 v[4:7], v1 offset:33296
	;; [unrolled: 1-line block ×4, first 2 shown]
	s_set_vgpr_msb 64                       ;  msbs: dst=1 src0=0 src1=0 src2=0
	v_add3_u32 v23 /*v279*/, s11, v218, v215
	v_add3_u32 v24 /*v280*/, s11, v219, v216
	v_add_nc_u32_e32 v25 /*v281*/, s16, v224
	s_wait_dscnt 0x3
	s_set_vgpr_msb 0                        ;  msbs: dst=0 src0=0 src1=0 src2=0
	v_bfe_i32 v24, v10, 8, 8
	s_wait_dscnt 0x2
	v_bfe_i32 v25, v6, 8, 8
	s_wait_dscnt 0x1
	v_dual_ashrrev_i32 v157, 24, v18 :: v_dual_lshrrev_b32 v30, 1, v0
	v_add_nc_u32_e32 v0, s16, v221
	ds_load_2addr_b32 v[134:135], v0 offset0:6 offset1:7
	ds_load_2addr_b32 v[140:141], v0 offset0:4 offset1:5
	;; [unrolled: 1-line block ×3, first 2 shown]
	ds_load_2addr_b32 v[138:139], v0 offset1:1
	ds_load_2addr_b32 v[22:23], v0 offset0:13 offset1:14
	ds_load_2addr_b32 v[20:21], v0 offset0:11 offset1:12
	;; [unrolled: 1-line block ×4, first 2 shown]
	v_bfe_i32 v28, v18, 8, 8
	v_perm_b32 v179, v16, v16, 0xc0c0001
	v_perm_b32 v227, v16, v16, 0xc0c0302
	v_perm_b32 v228, v17, v17, 0xc0c0001
	v_bfe_i32 v27, v17, 16, 8
	v_perm_b32 v229, v18, v17, 0xc0c0403
	v_perm_b32 v230, v18, v18, 0xc0c0302
	v_perm_b32 v231, v4, v4, 0xc0c0100
	;; [unrolled: 4-line block ×3, first 2 shown]
	ds_load_2addr_b32 v[124:125], v152 offset0:6 offset1:7
	ds_load_2addr_b32 v[130:131], v152 offset0:4 offset1:5
	;; [unrolled: 1-line block ×3, first 2 shown]
	ds_load_2addr_b32 v[128:129], v152 offset1:1
	s_wait_dscnt 0xc
	v_dual_ashrrev_i32 v161, 24, v12 :: v_dual_ashrrev_i32 v178, 24, v13
	s_wait_dscnt 0x7
	v_perm_b32 v167, v12, v23, 0x6040501
	s_wait_dscnt 0x6
	v_perm_b32 v166, v21, v14, 0x6040501
	;; [unrolled: 2-line block ×3, first 2 shown]
	s_wait_dscnt 0x4
	v_bfe_i32 v0, v173, 8, 8
	v_bfe_i32 v1, v172, 16, 8
	v_bfe_i32 v133, v13, 16, 8
	v_dot4_i32_iu8 v166, v167, v166, 0 neg_lo:[1,1,0]
	v_perm_b32 v167, v13, v21, 0x6040503
	v_mul_i32_i24_e32 v0, v0, v28
	v_perm_b32 v169, v22, v12, 0x6040503
	v_bfe_i32 v29, v14, 8, 8
	v_bfe_i32 v176, v14, 16, 8
	;; [unrolled: 1-line block ×3, first 2 shown]
	v_dot4_i32_iu8 v0, v179, v2, v0 neg_lo:[1,1,0]
	v_perm_b32 v2, v170, v170, 0xc0c0302
	v_dot4_i32_iu8 v166, v169, v167, v166 neg_lo:[1,1,0]
	v_perm_b32 v234, v13, v13, 0xc0c0c03
	v_bfe_i32 v35, v12, 8, 8
	v_perm_b32 v255, v23, v22, 0x7060403
	v_dot4_i32_iu8 v0, v227, v2, v0 neg_lo:[1,1,0]
	v_perm_b32 v2, v172, v172, 0xc0c0001
	v_bfe_i32 v132, v12, 0, 8
	v_bfe_i32 v160, v13, 0, 8
	;; [unrolled: 1-line block ×4, first 2 shown]
	v_dot4_i32_iu8 v0, v228, v2, v0 neg_lo:[1,1,0]
	v_perm_b32 v2, v140, v140, 0xc0c0100
	v_dual_ashrrev_i32 v145, 24, v4 :: v_dual_ashrrev_i32 v148, 24, v6
	s_wait_dscnt 0x2
	v_lshrrev_b16 v153, 8, v131
	v_mad_i32_i24 v0, v1, v27, v0
	v_perm_b32 v1, v173, v172, 0xc0c0403
	v_lshrrev_b16 v31, 8, v5
	v_bfe_i32 v142, v16, 8, 8
	v_bfe_i32 v144, v4, 0, 8
	;; [unrolled: 1-line block ×3, first 2 shown]
	v_dot4_i32_iu8 v0, v229, v1, v0 neg_lo:[1,1,0]
	v_perm_b32 v1, v173, v173, 0xc0c0302
	v_bfe_i32 v31, v31, 0, 8
	v_bfe_i32 v146, v6, 0, 8
	;; [unrolled: 1-line block ×3, first 2 shown]
	s_wait_dscnt 0x0
	v_ashrrev_i32_e32 v239, 24, v128
	v_dot4_i32_iu8 v154, v230, v1, v0 neg_lo:[1,1,0]
	v_bfe_i32 v0, v134, 8, 8
	v_bfe_i32 v1, v140, 16, 8
	s_set_vgpr_msb 64                       ;  msbs: dst=1 src0=0 src1=0 src2=0
	v_perm_b32 v1 /*v257*/, v21, v23, 0x6040501
	v_perm_b32 v2 /*v258*/, v22, v21, 0x6040503
	s_set_vgpr_msb 0                        ;  msbs: dst=0 src0=0 src1=0 src2=0
	v_perm_b32 v245, v171, v171, 0x3020001
	v_mul_i32_i24_e32 v0, v0, v25
	v_perm_b32 v244, v20, v20, 0x3020001
	s_set_vgpr_msb 64                       ;  msbs: dst=1 src0=0 src1=0 src2=0
	v_perm_b32 v37 /*v293*/, v19, v19, 0x7060001
	s_set_vgpr_msb 0                        ;  msbs: dst=0 src0=0 src1=0 src2=0
	v_perm_b32 v247, v134, v141, 0x7060403
	s_set_vgpr_msb 64                       ;  msbs: dst=1 src0=0 src1=0 src2=0
	v_perm_b32 v42 /*v298*/, v12, v12, 0xc0c0001
	s_set_vgpr_msb 0                        ;  msbs: dst=0 src0=0 src1=0 src2=0
	v_dot4_i32_iu8 v0, v231, v2, v0 neg_lo:[1,1,0]
	s_set_vgpr_msb 64                       ;  msbs: dst=1 src0=0 src1=0 src2=0
	v_perm_b32 v48 /*v304*/, v170, v173, 0x6040501
	s_set_vgpr_msb 0                        ;  msbs: dst=0 src0=0 src1=0 src2=0
	v_perm_b32 v16, v17, v16, 0x5030200
	s_set_vgpr_msb 64                       ;  msbs: dst=1 src0=0 src1=0 src2=0
	v_perm_b32 v50 /*v306*/, v172, v170, 0x6040503
	s_set_vgpr_msb 0                        ;  msbs: dst=0 src0=0 src1=0 src2=0
	v_bfe_i32 v156, v18, 16, 8
	v_mad_i32_i24 v151, v1, v26, v0
	v_bfe_i32 v0, v136, 8, 8
	v_perm_b32 v1, v139, v139, 0xc0c0001
	s_set_vgpr_msb 64                       ;  msbs: dst=1 src0=0 src1=0 src2=0
	v_perm_b32 v59 /*v315*/, v15, v15, 0x7060001
	v_bfe_i32 v5 /*v261*/, v128, 16, 8
	s_set_vgpr_msb 0                        ;  msbs: dst=0 src0=0 src1=0 src2=0
	v_lshrrev_b16 v163, 8, v129
	v_mul_i32_i24_e32 v0, v0, v24
	v_bfe_i32 v238, v128, 8, 8
	s_set_vgpr_msb 64                       ;  msbs: dst=1 src0=0 src1=0 src2=0
	v_bfe_i32 v19 /*v275*/, v126, 16, 8
	s_set_vgpr_msb 0                        ;  msbs: dst=0 src0=0 src1=0 src2=0
	v_bfe_i32 v237, v126, 8, 8
	s_set_vgpr_msb 64                       ;  msbs: dst=1 src0=0 src1=0 src2=0
	v_bfe_i32 v18 /*v274*/, v126, 0, 8
	s_set_vgpr_msb 0                        ;  msbs: dst=0 src0=0 src1=0 src2=0
	v_dot4_i32_iu8 v0, v138, v8, v0 neg_lo:[1,1,0]
	s_set_vgpr_msb 64                       ;  msbs: dst=1 src0=0 src1=0 src2=0
	v_bfe_i32 v21 /*v277*/, v127, 8, 8
	s_set_vgpr_msb 0                        ;  msbs: dst=0 src0=0 src1=0 src2=0
	s_delay_alu instid0(VALU_DEP_2) | instskip(SKIP_1) | instid1(VALU_DEP_1)
	v_dot4_i32_iu8 v0, v232, v1, v0 neg_lo:[1,1,0]
	v_perm_b32 v1, v139, v139, 0xc0c0302
	v_dot4_i32_iu8 v0, v233, v1, v0 neg_lo:[1,1,0]
	v_perm_b32 v1, v136, v136, 0xc030200
	s_delay_alu instid0(VALU_DEP_1)
	v_dot4_i32_iu8 v155, v1, v246, v0 neg_lo:[1,1,0]
	ds_load_u16 v164, v152 offset:32
	ds_load_b128 v[0:3], v152 offset:34
	ds_load_b96 v[32:34], v152 offset:50
	ds_load_u16 v174, v152 offset:62
	s_wait_dscnt 0x1
	v_dual_ashrrev_i32 v159, 24, v3 :: v_dual_ashrrev_i32 v158, 24, v33
	v_lshrrev_b16 v152, 8, v32
	v_ashrrev_i32_e32 v167, 24, v32
	v_bfe_i32 v169, v32, 16, 8
	s_delay_alu instid0(VALU_DEP_4)
	v_mul_i32_i24_e32 v35, v159, v35
	v_bfe_i32 v159, v3, 16, 8
	v_bfe_i32 v152, v152, 0, 8
	;; [unrolled: 1-line block ×5, first 2 shown]
	v_mul_i32_i24_e32 v132, v159, v132
	v_mul_i32_i24_e32 v152, v152, v161
	v_bfe_i32 v161, v33, 0, 8
	v_bfe_i32 v159, v13, 8, 8
	v_mul_i32_i24_e32 v175, v175, v168
	v_mul_i32_i24_e32 v178, v236, v178
	;; [unrolled: 1-line block ×4, first 2 shown]
	v_ashrrev_i32_e32 v161, 24, v14
	v_perm_b32 v14, v14, v14, 0x706000c
	v_mad_i32_i24 v132, v158, v29, v132
	v_bfe_i32 v158, v5, 0, 8
	v_lshrrev_b16 v165, 8, v0
	s_set_vgpr_msb 64                       ;  msbs: dst=1 src0=0 src1=0 src2=0
	v_bfe_i32 v47 /*v303*/, v0, 16, 8
	v_or_b32_e32 v0 /*v256*/, v14, v234
	s_set_vgpr_msb 0                        ;  msbs: dst=0 src0=0 src1=0 src2=0
	v_bfe_i32 v234, v34, 0, 8
	s_set_vgpr_msb 64                       ;  msbs: dst=1 src0=0 src1=0 src2=0
	v_bfe_i32 v52 /*v308*/, v1, 8, 8
	s_set_vgpr_msb 0                        ;  msbs: dst=0 src0=0 src1=0 src2=0
	v_bfe_i32 v165, v165, 0, 8
	v_bfe_i32 v235, v128, 0, 8
	s_set_vgpr_msb 1                        ;  msbs: dst=0 src0=1 src1=0 src2=0
	v_dot4_i32_iu8 v14, v0 /*v256*/, v255, v166 neg_lo:[1,1,0]
	s_set_vgpr_msb 0                        ;  msbs: dst=0 src0=0 src1=0 src2=0
	v_bfe_i32 v166, v34, 8, 8
	v_mul_i32_i24_e32 v176, v234, v176
	v_perm_b32 v250, v34, v33, 0x5040201
	s_delay_alu instid0(VALU_DEP_3) | instskip(NEXT) | instid1(VALU_DEP_3)
	v_mul_i32_i24_e32 v161, v166, v161
	v_mad_i32_i24 v160, v169, v160, v176
	v_bfe_i32 v169, v164, 0, 8
	v_add_nc_u32_e32 v166, s16, v223
	s_delay_alu instid0(VALU_DEP_4) | instskip(NEXT) | instid1(VALU_DEP_1)
	v_mad_i32_i24 v159, v167, v159, v161
	v_add3_u32 v152, v152, v177, v159
	v_add3_u32 v159, v175, v178, v160
	v_perm_b32 v160, v5, v140, 0x6040503
	v_ashrrev_i32_e32 v175, 24, v1
	v_bfe_i32 v178, v1, 0, 8
	s_delay_alu instid0(VALU_DEP_4) | instskip(SKIP_2) | instid1(VALU_DEP_3)
	v_add3_u32 v35, v159, v152, v35
	v_perm_b32 v159, v141, v4, 0x6040503
	v_bfe_i32 v152, v5, 16, 8
	v_add3_u32 v35, v35, v132, v133
	v_lshrrev_b16 v133, 8, v164
	s_delay_alu instid0(VALU_DEP_4) | instskip(SKIP_2) | instid1(VALU_DEP_4)
	v_dot4_i32_iu8 v151, v160, v159, v151 neg_lo:[1,1,0]
	v_perm_b32 v159, v6, v141, 0x7060403
	v_perm_b32 v160, v134, v5, 0x7060403
	v_bfe_i32 v176, v133, 0, 8
	v_bfe_i32 v133, v130, 8, 8
	s_delay_alu instid0(VALU_DEP_3) | instskip(SKIP_2) | instid1(VALU_DEP_4)
	v_dot4_i32_iu8 v236, v160, v159, v151 neg_lo:[1,1,0]
	v_bfe_i32 v151, v153, 0, 8
	v_ashrrev_i32_e32 v153, 24, v131
	v_mul_i32_i24_e32 v133, v133, v143
	v_ashrrev_i32_e32 v143, 24, v130
	v_mul_i32_i24_e32 v132, v175, v28
	v_bfe_i32 v159, v131, 16, 8
	v_bfe_i32 v160, v131, 0, 8
	s_delay_alu instid0(VALU_DEP_4)
	v_mul_i32_i24_e32 v143, v143, v145
	v_ashrrev_i32_e32 v145, 24, v5
	v_mad_i32_i24 v234, v176, v142, v132
	v_bfe_i32 v142, v130, 0, 8
	v_mul_i32_i24_e32 v152, v159, v152
	v_bfe_i32 v159, v124, 16, 8
	v_mul_i32_i24_e32 v145, v153, v145
	;; [unrolled: 2-line block ×5, first 2 shown]
	v_bfe_i32 v160, v125, 8, 8
	v_mad_i32_i24 v31, v151, v31, v145
	v_mul_i32_i24_e32 v144, v144, v26
	v_ashrrev_i32_e32 v159, 24, v124
	v_mad_i32_i24 v132, v132, v25, v133
	v_mul_i32_i24_e32 v149, v160, v149
	v_add3_u32 v31, v158, v152, v31
	v_mad_i32_i24 v133, v153, v146, v147
	s_delay_alu instid0(VALU_DEP_3) | instskip(NEXT) | instid1(VALU_DEP_3)
	v_mad_i32_i24 v145, v159, v148, v149
	v_add3_u32 v31, v31, v142, v132
	s_delay_alu instid0(VALU_DEP_3) | instskip(SKIP_3) | instid1(VALU_DEP_2)
	v_add3_u32 v132, v144, v143, v133
	s_set_vgpr_msb 4                        ;  msbs: dst=0 src0=0 src1=1 src2=0
	v_dot4_i32_iu8 v148, v244, v37 /*v293*/, v154 neg_lo:[1,1,0]
	s_set_vgpr_msb 64                       ;  msbs: dst=1 src0=0 src1=0 src2=0
	v_add3_u32 v3 /*v259*/, v31, v132, v145
	s_set_vgpr_msb 0                        ;  msbs: dst=0 src0=0 src1=0 src2=0
	v_perm_b32 v31, v128, v126, 0x6050401
	v_perm_b32 v132, v8, v10, 0x6050401
	s_set_vgpr_msb 64                       ;  msbs: dst=1 src0=0 src1=0 src2=0
	s_delay_alu instid0(VALU_DEP_1) | instskip(SKIP_2) | instid1(VALU_DEP_1)
	v_dot4_i32_iu8 v22 /*v278*/, v31, v132, 0 neg_lo:[1,1,0]
	s_set_vgpr_msb 0                        ;  msbs: dst=0 src0=0 src1=0 src2=0
	v_or_b32_e32 v31, s10, v207
	v_dual_lshlrev_b32 v132, 2, v31 :: v_dual_lshrrev_b32 v133, 1, v31
	ds_load_b64 v[30:31], v30 offset:43584
	ds_load_b32 v142, v150
	s_wait_dscnt 0x0
	v_bfe_i32 v242, v142, 0, 8
	v_bfe_i32 v243, v142, 8, 8
	;; [unrolled: 1-line block ×3, first 2 shown]
	v_ashrrev_i32_e32 v241, 24, v142
	ds_load_2addr_b32 v[142:143], v166 offset0:6 offset1:7
	ds_load_2addr_b32 v[146:147], v166 offset0:4 offset1:5
	;; [unrolled: 1-line block ×3, first 2 shown]
	s_set_vgpr_msb 64                       ;  msbs: dst=1 src0=0 src1=0 src2=0
	ds_load_b128 v[6:9] /*v[262:265]*/, v132 offset:33280
	ds_load_b128 v[10:13] /*v[266:269]*/, v132 offset:33296
	s_set_vgpr_msb 0                        ;  msbs: dst=0 src0=0 src1=0 src2=0
	ds_load_b128 v[150:153], v132 offset:33312
	s_set_vgpr_msb 64                       ;  msbs: dst=1 src0=0 src1=0 src2=0
	ds_load_b128 v[14:17] /*v[270:273]*/, v132 offset:33328
	s_set_vgpr_msb 0                        ;  msbs: dst=0 src0=0 src1=0 src2=0
	ds_load_b64 v[132:133], v133 offset:43584
	s_set_vgpr_msb 64                       ;  msbs: dst=1 src0=0 src1=0 src2=0
	v_ashrrev_i32_e32 v20 /*v276*/, 24, v126
	v_mul_lo_u32 v41 /*v297*/, v148, v240
	s_wait_dscnt 0x4
	s_set_vgpr_msb 0x41                     ;  msbs: dst=1 src0=1 src1=0 src2=0
	v_bfe_i32 v30 /*v286*/, v6 /*v262*/, 0, 8
	s_wait_dscnt 0x3
	s_set_vgpr_msb 1                        ;  msbs: dst=0 src0=1 src1=0 src2=0
	v_perm_b32 v20, v10 /*v266*/, v134, 0x6050401
	v_perm_b32 v154, v11 /*v267*/, v140, 0x6040503
	s_wait_dscnt 0x1
	s_set_vgpr_msb 5                        ;  msbs: dst=0 src0=1 src1=1 src2=0
	v_perm_b32 v23, v14 /*v270*/, v16 /*v272*/, 0x6040501
	v_perm_b32 v22, v15 /*v271*/, v14 /*v270*/, 0x6040503
	s_set_vgpr_msb 0x45                     ;  msbs: dst=1 src0=1 src1=1 src2=0
	v_perm_b32 v38 /*v294*/, v17 /*v273*/, v17 /*v273*/, 0x7060001
	s_set_vgpr_msb 4                        ;  msbs: dst=0 src0=0 src1=1 src2=0
	v_bfe_i32 v251, v150, 8, 8
	v_bfe_i32 v252, v150, 0, 8
	v_dot4_i32_iu8 v23, v23, v1 /*v257*/, 0 neg_lo:[1,1,0]
	s_set_vgpr_msb 64                       ;  msbs: dst=1 src0=0 src1=0 src2=0
	v_perm_b32 v49 /*v305*/, v150, v152, 0x6040501
	s_set_vgpr_msb 0                        ;  msbs: dst=0 src0=0 src1=0 src2=0
	v_bfe_i32 v253, v151, 16, 8
	s_set_vgpr_msb 64                       ;  msbs: dst=1 src0=0 src1=0 src2=0
	v_bfe_i32 v4 /*v260*/, v150, 16, 8
	v_perm_b32 v51 /*v307*/, v151, v150, 0x6040503
	s_set_vgpr_msb 4                        ;  msbs: dst=0 src0=0 src1=1 src2=0
	v_dot4_i32_iu8 v21, v22, v2 /*v258*/, v23 neg_lo:[1,1,0]
	s_set_vgpr_msb 5                        ;  msbs: dst=0 src0=1 src1=1 src2=0
	v_perm_b32 v23, v16 /*v272*/, v15 /*v271*/, 0x7060403
	s_set_vgpr_msb 0x45                     ;  msbs: dst=1 src0=1 src1=1 src2=0
	v_dot4_i32_iu8 v48 /*v304*/, v49 /*v305*/, v48 /*v304*/, 0 neg_lo:[1,1,0]
	s_set_vgpr_msb 0                        ;  msbs: dst=0 src0=0 src1=0 src2=0
	v_mul_i32_i24_e32 v178, v253, v178
	v_bfe_i32 v253, v2, 0, 8
	s_set_vgpr_msb 64                       ;  msbs: dst=1 src0=0 src1=0 src2=0
	v_perm_b32 v58 /*v314*/, v153, v153, 0x7060001
	s_set_vgpr_msb 0                        ;  msbs: dst=0 src0=0 src1=0 src2=0
	v_dot4_i32_iu8 v21, v23, v255, v21 neg_lo:[1,1,0]
	s_set_vgpr_msb 64                       ;  msbs: dst=1 src0=0 src1=0 src2=0
	v_ashrrev_i32_e32 v53 /*v309*/, 24, v152
	v_bfe_i32 v54 /*v310*/, v152, 16, 8
	s_set_vgpr_msb 0                        ;  msbs: dst=0 src0=0 src1=0 src2=0
	v_mul_i32_i24_e32 v156, v253, v156
	s_set_vgpr_msb 64                       ;  msbs: dst=1 src0=0 src1=0 src2=0
	v_bfe_i32 v55 /*v311*/, v152, 0, 8
	s_set_vgpr_msb 4                        ;  msbs: dst=0 src0=0 src1=1 src2=0
	v_dot4_i32_iu8 v149, v245, v38 /*v294*/, v21 neg_lo:[1,1,0]
	v_perm_b32 v21, v140, v12 /*v268*/, 0x6050401
	s_set_vgpr_msb 64                       ;  msbs: dst=1 src0=0 src1=0 src2=0
	v_bfe_i32 v27 /*v283*/, v152, 8, 8
	s_set_vgpr_msb 0x41                     ;  msbs: dst=1 src0=1 src1=0 src2=0
	v_bfe_i32 v31 /*v287*/, v6 /*v262*/, 16, 8
	s_set_vgpr_msb 0x44                     ;  msbs: dst=1 src0=0 src1=1 src2=0
	v_lshrrev_b16 v26 /*v282*/, 8, v7 /*v263*/
	s_set_vgpr_msb 0x41                     ;  msbs: dst=1 src0=1 src1=0 src2=0
	v_bfe_i32 v29 /*v285*/, v6 /*v262*/, 8, 8
	s_set_vgpr_msb 0                        ;  msbs: dst=0 src0=0 src1=0 src2=0
	v_dot4_i32_iu8 v20, v21, v20, 0 neg_lo:[1,1,0]
	s_set_vgpr_msb 4                        ;  msbs: dst=0 src0=0 src1=1 src2=0
	v_perm_b32 v21, v141, v10 /*v266*/, 0x6040503
	s_set_vgpr_msb 0x41                     ;  msbs: dst=1 src0=1 src1=0 src2=0
	v_bfe_i32 v34 /*v290*/, v8 /*v264*/, 16, 8
	v_bfe_i32 v28 /*v284*/, v8 /*v264*/, 8, 8
	s_set_vgpr_msb 0x44                     ;  msbs: dst=1 src0=0 src1=1 src2=0
	v_dual_ashrrev_i32 v32 /*v288*/, 24, v6 /*v262*/ :: v_dual_ashrrev_i32 v35 /*v291*/, 24, v8 /*v264*/
	s_set_vgpr_msb 0                        ;  msbs: dst=0 src0=0 src1=0 src2=0
	v_dot4_i32_iu8 v20, v154, v21, v20 neg_lo:[1,1,0]
	s_set_vgpr_msb 5                        ;  msbs: dst=0 src0=1 src1=1 src2=0
	v_perm_b32 v21, v12 /*v268*/, v11 /*v267*/, 0x7060403
	s_set_vgpr_msb 0x41                     ;  msbs: dst=1 src0=1 src1=0 src2=0
	v_bfe_i32 v33 /*v289*/, v8 /*v264*/, 0, 8
	v_bfe_i32 v36 /*v292*/, v9 /*v265*/, 8, 8
	s_set_vgpr_msb 0                        ;  msbs: dst=0 src0=0 src1=0 src2=0
	v_ashrrev_i32_e32 v254, 24, v150
	s_set_vgpr_msb 21                       ;  msbs: dst=0 src0=1 src1=1 src2=1
	v_dot4_i32_iu8 v150, v51 /*v307*/, v50 /*v306*/, v48 /*v304*/ neg_lo:[1,1,0]
	s_set_vgpr_msb 0                        ;  msbs: dst=0 src0=0 src1=0 src2=0
	v_dot4_i32_iu8 v20, v21, v247, v20 neg_lo:[1,1,0]
	v_dot4_i32_iu8 v21, v137, v11, v155 neg_lo:[1,1,0]
	s_set_vgpr_msb 64                       ;  msbs: dst=1 src0=0 src1=0 src2=0
	v_bfe_i32 v50 /*v306*/, v1, 16, 8
	s_set_vgpr_msb 0                        ;  msbs: dst=0 src0=0 src1=0 src2=0
	v_mul_i32_i24_e32 v165, v254, v165
	v_perm_b32 v254, v1, v0, 0x6050402
	s_set_vgpr_msb 4                        ;  msbs: dst=0 src0=0 src1=1 src2=0
	v_dot4_i32_iu8 v20, v135, v13 /*v269*/, v20 neg_lo:[1,1,0]
	s_set_vgpr_msb 64                       ;  msbs: dst=1 src0=0 src1=0 src2=0
	v_mul_lo_u32 v39 /*v295*/, v21, v242
	s_set_vgpr_msb 4                        ;  msbs: dst=0 src0=0 src1=1 src2=0
	v_perm_b32 v21, v138, v8 /*v264*/, 0x6050401
	s_set_vgpr_msb 0                        ;  msbs: dst=0 src0=0 src1=0 src2=0
	v_perm_b32 v1, v173, v173, 0x706000c
	v_mul_lo_u32 v171, v20, v243
	s_set_vgpr_msb 1                        ;  msbs: dst=0 src0=1 src1=0 src2=0
	v_perm_b32 v20, v6 /*v262*/, v136, 0x6050401
	s_set_vgpr_msb 64                       ;  msbs: dst=1 src0=0 src1=0 src2=0
	s_delay_alu instid0(VALU_DEP_1)
	v_dot4_i32_iu8 v40 /*v296*/, v21, v20, 0 neg_lo:[1,1,0]
	s_wait_dscnt 0x0
	s_set_vgpr_msb 0                        ;  msbs: dst=0 src0=0 src1=0 src2=0
	v_mov_b32_e32 v20, v132
	v_mul_lo_u32 v132, v149, v241
	ds_load_2addr_b32 v[148:149], v166 offset1:1
	ds_load_2addr_b32 v[158:159], v166 offset0:13 offset1:14
	ds_load_2addr_b32 v[160:161], v166 offset0:11 offset1:12
	v_dual_mov_b32 v21, v30 :: v_dual_mov_b32 v30, v133
	ds_load_2addr_b32 v[154:155], v166 offset0:8 offset1:15
	s_wait_dscnt 0x2
	v_bfe_i32 v133, v159, 8, 8
	s_wait_dscnt 0x1
	v_perm_b32 v177, v161, v161, 0xc0c0001
	v_bfe_i32 v167, v161, 16, 8
	s_wait_dscnt 0x0
	v_perm_b32 v249, v154, v154, 0xc0c0001
	v_mul_i32_i24_e32 v133, v133, v29
	s_set_vgpr_msb 1                        ;  msbs: dst=0 src0=1 src1=0 src2=0
	s_delay_alu instid0(VALU_DEP_1) | instskip(SKIP_2) | instid1(VALU_DEP_2)
	v_dot4_i32_iu8 v133, v42 /*v298*/, v177, v133 neg_lo:[1,1,0]
	s_set_vgpr_msb 0                        ;  msbs: dst=0 src0=0 src1=0 src2=0
	v_perm_b32 v177, v158, v12, 0x6040503
	v_mad_i32_i24 v133, v168, v167, v133
	v_perm_b32 v167, v13, v161, 0x6040503
	s_delay_alu instid0(VALU_DEP_1) | instskip(SKIP_2) | instid1(VALU_DEP_1)
	v_dot4_i32_iu8 v133, v177, v167, v133 neg_lo:[1,1,0]
	v_perm_b32 v167, v158, v158, 0xc0c0c03
	v_perm_b32 v177, v159, v159, 0x706000c
	v_or_b32_e32 v177, v177, v167
	ds_load_2addr_b32 v[166:167], v166 offset0:9 offset1:10
	s_set_vgpr_msb 0x41                     ;  msbs: dst=1 src0=1 src1=0 src2=0
	v_dot4_i32_iu8 v43 /*v299*/, v0 /*v256*/, v177, v133 neg_lo:[1,1,0]
	s_wait_dscnt 0x0
	s_set_vgpr_msb 0                        ;  msbs: dst=0 src0=0 src1=0 src2=0
	v_bfe_i32 v133, v167, 8, 8
	v_bfe_i32 v248, v166, 16, 8
	s_delay_alu instid0(VALU_DEP_2) | instskip(NEXT) | instid1(VALU_DEP_1)
	v_mul_i32_i24_e32 v133, v133, v28
	v_dot4_i32_iu8 v133, v179, v249, v133 neg_lo:[1,1,0]
	v_perm_b32 v249, v154, v154, 0xc0c0302
	s_delay_alu instid0(VALU_DEP_1) | instskip(SKIP_1) | instid1(VALU_DEP_1)
	v_dot4_i32_iu8 v133, v227, v249, v133 neg_lo:[1,1,0]
	v_perm_b32 v249, v166, v166, 0xc0c0001
	v_dot4_i32_iu8 v133, v228, v249, v133 neg_lo:[1,1,0]
	v_perm_b32 v249, v146, v146, 0xc0c0100
	s_delay_alu instid0(VALU_DEP_2) | instskip(SKIP_1) | instid1(VALU_DEP_1)
	v_mad_i32_i24 v133, v248, v27, v133
	v_perm_b32 v248, v167, v166, 0xc0c0403
	v_dot4_i32_iu8 v133, v229, v248, v133 neg_lo:[1,1,0]
	v_perm_b32 v248, v167, v167, 0xc0c0302
	s_set_vgpr_msb 64                       ;  msbs: dst=1 src0=0 src1=0 src2=0
	s_delay_alu instid0(VALU_DEP_1) | instskip(SKIP_3) | instid1(VALU_DEP_2)
	v_dot4_i32_iu8 v44 /*v300*/, v230, v248, v133 neg_lo:[1,1,0]
	s_set_vgpr_msb 0                        ;  msbs: dst=0 src0=0 src1=0 src2=0
	v_bfe_i32 v133, v142, 8, 8
	v_bfe_i32 v248, v146, 16, 8
	v_mul_i32_i24_e32 v133, v133, v25
	s_delay_alu instid0(VALU_DEP_1) | instskip(SKIP_1) | instid1(VALU_DEP_2)
	v_dot4_i32_iu8 v133, v231, v249, v133 neg_lo:[1,1,0]
	v_perm_b32 v249, v5, v146, 0x6040503
	v_mad_i32_i24 v133, v248, v26, v133
	v_perm_b32 v248, v147, v4, 0x6040503
	s_delay_alu instid0(VALU_DEP_1) | instskip(SKIP_3) | instid1(VALU_DEP_1)
	v_dot4_i32_iu8 v133, v249, v248, v133 neg_lo:[1,1,0]
	v_perm_b32 v248, v6, v147, 0x7060403
	v_perm_b32 v249, v142, v5, 0x7060403
	s_set_vgpr_msb 64                       ;  msbs: dst=1 src0=0 src1=0 src2=0
	v_dot4_i32_iu8 v45 /*v301*/, v249, v248, v133 neg_lo:[1,1,0]
	s_set_vgpr_msb 0                        ;  msbs: dst=0 src0=0 src1=0 src2=0
	v_bfe_i32 v133, v144, 8, 8
	v_perm_b32 v248, v149, v149, 0xc0c0001
	s_set_vgpr_msb 5                        ;  msbs: dst=0 src0=1 src1=1 src2=0
	v_perm_b32 v249, v16 /*v272*/, v16 /*v272*/, 0xc0c0c01
	s_set_vgpr_msb 0                        ;  msbs: dst=0 src0=0 src1=0 src2=0
	v_mul_i32_i24_e32 v133, v133, v24
	s_delay_alu instid0(VALU_DEP_1) | instskip(NEXT) | instid1(VALU_DEP_1)
	v_dot4_i32_iu8 v133, v148, v8, v133 neg_lo:[1,1,0]
	v_dot4_i32_iu8 v133, v232, v248, v133 neg_lo:[1,1,0]
	v_perm_b32 v248, v149, v149, 0xc0c0302
	s_delay_alu instid0(VALU_DEP_1) | instskip(SKIP_2) | instid1(VALU_DEP_1)
	v_dot4_i32_iu8 v133, v233, v248, v133 neg_lo:[1,1,0]
	v_perm_b32 v248, v144, v144, 0xc030200
	s_set_vgpr_msb 64                       ;  msbs: dst=1 src0=0 src1=0 src2=0
	v_dot4_i32_iu8 v46 /*v302*/, v248, v246, v133 neg_lo:[1,1,0]
	s_set_vgpr_msb 0                        ;  msbs: dst=0 src0=0 src1=0 src2=0
	v_perm_b32 v248, v32, v3, 0x402030c
	s_set_vgpr_msb 1                        ;  msbs: dst=0 src0=1 src1=0 src2=0
	v_perm_b32 v133, v14 /*v270*/, v33, 0x6040503
	s_set_vgpr_msb 0                        ;  msbs: dst=0 src0=0 src1=0 src2=0
	s_delay_alu instid0(VALU_DEP_2) | instskip(NEXT) | instid1(VALU_DEP_1)
	v_or_b32_e32 v249, v248, v249
	v_dot4_i32_iu8 v133, v249, v133, 0 neg_lo:[1,1,0]
	v_perm_b32 v249, v33, v32, 0x4020301
	v_mul_i32_i24_e32 v32, v251, v176
	v_perm_b32 v251, v0, v164, 0x7050400
	v_bfe_i32 v164, v151, 8, 8
	s_delay_alu instid0(VALU_DEP_4)
	v_dot4_i32_iu8 v22, v22, v249, v133 neg_lo:[1,1,0]
	v_mul_i32_i24_e32 v133, v252, v169
	v_bfe_i32 v252, v0, 0, 8
	v_ashrrev_i32_e32 v169, 24, v0
	v_dot4_i32_iu8 v16, v251, v16, v234 neg_lo:[1,1,0]
	v_perm_b32 v0, v18, v17, 0x4030200
	v_bfe_i32 v234, v151, 0, 8
	s_set_vgpr_msb 0x41                     ;  msbs: dst=1 src0=1 src1=0 src2=0
	v_mul_i32_i24_e32 v48 /*v304*/, v4 /*v260*/, v252
	s_set_vgpr_msb 0                        ;  msbs: dst=0 src0=0 src1=0 src2=0
	v_bfe_i32 v252, v2, 8, 8
	s_set_vgpr_msb 1                        ;  msbs: dst=0 src0=1 src1=0 src2=0
	v_mul_i32_i24_e32 v17, v54 /*v310*/, v253
	s_set_vgpr_msb 0                        ;  msbs: dst=0 src0=0 src1=0 src2=0
	v_dot4_i32_iu8 v0, v254, v0, v16 neg_lo:[1,1,0]
	s_set_vgpr_msb 5                        ;  msbs: dst=0 src0=1 src1=1 src2=0
	v_mul_i32_i24_e32 v16, v55 /*v311*/, v50 /*v306*/
	s_set_vgpr_msb 0                        ;  msbs: dst=0 src0=0 src1=0 src2=0
	v_dot4_i32_iu8 v22, v250, v23, v22 neg_lo:[1,1,0]
	v_mul_i32_i24_e32 v157, v252, v157
	s_set_vgpr_msb 4                        ;  msbs: dst=0 src0=0 src1=1 src2=0
	v_mad_i32_i24 v17, v234, v47 /*v303*/, v17
	s_set_vgpr_msb 0                        ;  msbs: dst=0 src0=0 src1=0 src2=0
	v_perm_b32 v234, v131, v130, 0x6040503
	v_add3_u32 v18, v0, v156, v157
	v_perm_b32 v0, v172, v172, 0xc0c0c03
	s_set_vgpr_msb 64                       ;  msbs: dst=1 src0=0 src1=0 src2=0
	v_ashrrev_i32_e32 v56 /*v312*/, 24, v151
	s_set_vgpr_msb 0                        ;  msbs: dst=0 src0=0 src1=0 src2=0
	v_ashrrev_i32_e32 v157, 24, v129
	v_bfe_i32 v156, v163, 0, 8
	v_bfe_i32 v163, v129, 16, 8
	s_set_vgpr_msb 64                       ;  msbs: dst=1 src0=0 src1=0 src2=0
	v_or_b32_e32 v4 /*v260*/, v1, v0
	s_set_vgpr_msb 0                        ;  msbs: dst=0 src0=0 src1=0 src2=0
	v_perm_b32 v0, v151, v151, 0xc0c0c03
	v_perm_b32 v1, v152, v152, 0x706000c
	s_set_vgpr_msb 5                        ;  msbs: dst=0 src0=1 src1=1 src2=0
	v_mul_i32_i24_e32 v151, v5 /*v261*/, v31 /*v287*/
	s_set_vgpr_msb 0x45                     ;  msbs: dst=1 src0=1 src1=1 src2=0
	v_perm_b32 v5 /*v261*/, v8 /*v264*/, v7 /*v263*/, 0x7060403
	s_set_vgpr_msb 4                        ;  msbs: dst=0 src0=0 src1=1 src2=0
	v_mul_i32_i24_e32 v152, v239, v32 /*v288*/
	s_set_vgpr_msb 64                       ;  msbs: dst=1 src0=0 src1=0 src2=0
	v_or_b32_e32 v57 /*v313*/, v1, v0
	s_set_vgpr_msb 1                        ;  msbs: dst=0 src0=1 src1=0 src2=0
	v_dot4_i32_iu8 v1, v59 /*v315*/, v245, v14 neg_lo:[1,1,0]
	s_set_vgpr_msb 5                        ;  msbs: dst=0 src0=1 src1=1 src2=0
	v_mul_i32_i24_e32 v14, v56 /*v312*/, v52 /*v308*/
	v_dot4_i32_iu8 v0, v57 /*v313*/, v4 /*v260*/, v150 neg_lo:[1,1,0]
	s_set_vgpr_msb 4                        ;  msbs: dst=0 src0=0 src1=1 src2=0
	v_mul_i32_i24_e32 v150, v235, v30 /*v286*/
	s_set_vgpr_msb 1                        ;  msbs: dst=0 src0=1 src1=0 src2=0
	v_add3_u32 v14, v48 /*v304*/, v14, v17
	s_set_vgpr_msb 4                        ;  msbs: dst=0 src0=0 src1=1 src2=0
	v_perm_b32 v17, v130, v12 /*v268*/, 0x6050401
	s_set_vgpr_msb 0                        ;  msbs: dst=0 src0=0 src1=0 src2=0
	v_perm_b32 v235, v129, v128, 0x6040503
	s_set_vgpr_msb 1                        ;  msbs: dst=0 src0=1 src1=0 src2=0
	v_dot4_i32_iu8 v0, v58 /*v314*/, v244, v0 neg_lo:[1,1,0]
	s_set_vgpr_msb 16                       ;  msbs: dst=0 src0=0 src1=0 src2=1
	v_mad_u32 v1, v1, v241, v41 /*v297*/
	s_set_vgpr_msb 0                        ;  msbs: dst=0 src0=0 src1=0 src2=0
	s_delay_alu instid0(VALU_DEP_2) | instskip(SKIP_3) | instid1(VALU_DEP_1)
	v_mad_u32 v0, v0, v240, v132
	s_set_vgpr_msb 1                        ;  msbs: dst=0 src0=1 src1=0 src2=0
	v_mul_i32_i24_e32 v132, v53 /*v309*/, v252
	s_set_vgpr_msb 0                        ;  msbs: dst=0 src0=0 src1=0 src2=0
	v_mad_i32_i24 v132, v164, v169, v132
	s_delay_alu instid0(VALU_DEP_4)
	v_cvt_f32_i32_e32 v1, v1
	v_bfe_i32 v164, v129, 0, 8
	s_set_vgpr_msb 1                        ;  msbs: dst=0 src0=1 src1=0 src2=0
	v_bfe_i32 v169, v7 /*v263*/, 16, 8
	s_set_vgpr_msb 0                        ;  msbs: dst=0 src0=0 src1=0 src2=0
	v_add3_u32 v16, v165, v16, v132
	s_set_vgpr_msb 1                        ;  msbs: dst=0 src0=1 src1=0 src2=0
	v_perm_b32 v132, v12 /*v268*/, v131, 0x7060403
	s_set_vgpr_msb 4                        ;  msbs: dst=0 src0=0 src1=1 src2=0
	v_cvt_f32_i32_e32 v0, v0
	v_ashrrev_i32_e32 v165, 24, v7 /*v263*/
	s_set_vgpr_msb 0                        ;  msbs: dst=0 src0=0 src1=0 src2=0
	v_add3_u32 v14, v14, v16, v32
	s_set_vgpr_msb 1                        ;  msbs: dst=0 src0=1 src1=0 src2=0
	v_mad_i32_i24 v16, v27 /*v283*/, v175, v133
	s_set_vgpr_msb 5                        ;  msbs: dst=0 src0=1 src1=1 src2=0
	v_perm_b32 v32, v11 /*v267*/, v10 /*v266*/, 0x6040503
	s_set_vgpr_msb 4                        ;  msbs: dst=0 src0=0 src1=1 src2=0
	v_mul_i32_i24_e32 v133, v238, v29 /*v285*/
	s_set_vgpr_msb 0                        ;  msbs: dst=0 src0=0 src1=0 src2=0
	v_add3_u32 v14, v14, v16, v178
	s_set_vgpr_msb 1                        ;  msbs: dst=0 src0=1 src1=0 src2=0
	v_perm_b32 v16, v10 /*v266*/, v124, 0x6050401
	v_bfe_i32 v178, v7 /*v263*/, 0, 8
	s_set_vgpr_msb 0                        ;  msbs: dst=0 src0=0 src1=0 src2=0
	s_delay_alu instid0(VALU_DEP_2) | instskip(SKIP_3) | instid1(VALU_DEP_2)
	v_dot4_i32_iu8 v16, v17, v16, 0 neg_lo:[1,1,0]
	s_set_vgpr_msb 4                        ;  msbs: dst=0 src0=0 src1=1 src2=0
	v_perm_b32 v17, v124, v11 /*v267*/, 0x7060403
	s_set_vgpr_msb 0                        ;  msbs: dst=0 src0=0 src1=0 src2=0
	v_dot4_i32_iu8 v16, v234, v32, v16 neg_lo:[1,1,0]
	s_delay_alu instid0(VALU_DEP_1)
	v_dot4_i32_iu8 v132, v132, v17, v16 neg_lo:[1,1,0]
	v_perm_b32 v16, v9, v8, 0x6040503
	v_perm_b32 v17, v126, v129, 0x7060403
	v_perm_b32 v9, v10, v9, 0x7060403
	s_set_vgpr_msb 1                        ;  msbs: dst=0 src0=1 src1=0 src2=0
	v_bfe_i32 v10, v26 /*v282*/, 0, 8
	s_set_vgpr_msb 16                       ;  msbs: dst=0 src0=0 src1=0 src2=1
	v_dot4_i32_iu8 v16, v235, v16, v22 /*v278*/ neg_lo:[1,1,0]
	s_set_vgpr_msb 0                        ;  msbs: dst=0 src0=0 src1=0 src2=0
	s_delay_alu instid0(VALU_DEP_1)
	v_dot4_i32_iu8 v9, v17, v9, v16 neg_lo:[1,1,0]
	s_set_vgpr_msb 4                        ;  msbs: dst=0 src0=0 src1=1 src2=0
	v_perm_b32 v16, v139, v6 /*v262*/, 0x6040503
	s_set_vgpr_msb 1                        ;  msbs: dst=0 src0=1 src1=0 src2=0
	v_perm_b32 v17, v7 /*v263*/, v138, 0x6040503
	s_set_vgpr_msb 0                        ;  msbs: dst=0 src0=0 src1=0 src2=0
	v_dot4_i32_iu8 v9, v127, v11, v9 neg_lo:[1,1,0]
	s_set_vgpr_msb 16                       ;  msbs: dst=0 src0=0 src1=0 src2=1
	s_delay_alu instid0(VALU_DEP_2) | instskip(SKIP_2) | instid1(VALU_DEP_1)
	v_dot4_i32_iu8 v16, v17, v16, v40 /*v296*/ neg_lo:[1,1,0]
	v_perm_b32 v17, v136, v139, 0x7060403
	s_set_vgpr_msb 1                        ;  msbs: dst=0 src0=1 src1=0 src2=0
	v_dot4_i32_iu8 v16, v5 /*v261*/, v17, v16 neg_lo:[1,1,0]
	s_set_vgpr_msb 0                        ;  msbs: dst=0 src0=0 src1=0 src2=0
	v_dot4_i32_iu8 v17, v7, v135, v236 neg_lo:[1,1,0]
	s_set_vgpr_msb 1                        ;  msbs: dst=0 src0=1 src1=0 src2=0
	s_delay_alu instid0(VALU_DEP_2) | instskip(SKIP_1) | instid1(VALU_DEP_2)
	v_dot4_i32_iu8 v16, v9 /*v265*/, v137, v16 neg_lo:[1,1,0]
	s_set_vgpr_msb 16                       ;  msbs: dst=0 src0=0 src1=0 src2=1
	v_mad_u32 v17, v17, v243, v39 /*v295*/
	s_set_vgpr_msb 0                        ;  msbs: dst=0 src0=0 src1=0 src2=0
	s_delay_alu instid0(VALU_DEP_2) | instskip(NEXT) | instid1(VALU_DEP_2)
	v_mad_u32 v16, v16, v242, v171
	v_cvt_f32_i32_e32 v17, v17
	s_delay_alu instid0(VALU_DEP_2) | instskip(NEXT) | instid1(VALU_DEP_1)
	v_cvt_f32_i32_e32 v16, v16
	v_pk_fma_f32 v[16:17], v[20:21], v[16:17], 0 op_sel_hi:[1,1,0]
	s_delay_alu instid0(VALU_DEP_1)
	v_pk_fma_f32 v[0:1], v[30:31], v[0:1], v[16:17]
	v_mul_i32_i24_e32 v16, v165, v157
	s_set_vgpr_msb 5                        ;  msbs: dst=0 src0=1 src1=1 src2=0
	v_mul_i32_i24_e32 v17, v34 /*v290*/, v19 /*v275*/
	v_mul_i32_i24_e32 v157, v36 /*v292*/, v21 /*v277*/
	s_set_vgpr_msb 0                        ;  msbs: dst=0 src0=0 src1=0 src2=0
	v_pk_fma_f32 v[70:71], v[116:117], v[0:1], v[70:71]
	v_mul_i32_i24_e32 v0, v178, v164
	v_mul_i32_i24_e32 v1, v169, v163
	v_mad_i32_i24 v10, v10, v156, v16
	s_set_vgpr_msb 5                        ;  msbs: dst=0 src0=1 src1=1 src2=0
	v_mad_i32_i24 v16, v35 /*v291*/, v20 /*v276*/, v157
	s_set_vgpr_msb 0                        ;  msbs: dst=0 src0=0 src1=0 src2=0
	s_delay_alu instid0(VALU_DEP_2)
	v_add3_u32 v0, v0, v1, v10
	s_set_vgpr_msb 1                        ;  msbs: dst=0 src0=1 src1=0 src2=0
	v_mad_i32_i24 v1, v28 /*v284*/, v237, v133
	s_set_vgpr_msb 5                        ;  msbs: dst=0 src0=1 src1=1 src2=0
	v_mad_i32_i24 v10, v33 /*v289*/, v18 /*v274*/, v17
	s_set_vgpr_msb 0                        ;  msbs: dst=0 src0=0 src1=0 src2=0
	v_perm_b32 v17, v3, v153, 0x5040001
	v_add3_u32 v0, v0, v150, v1
	s_delay_alu instid0(VALU_DEP_3) | instskip(SKIP_1) | instid1(VALU_DEP_2)
	v_add3_u32 v1, v151, v152, v10
	v_perm_b32 v10, v3, v19, 0x5040001
	v_add3_u32 v0, v0, v1, v16
	ds_load_b32 v1, v162
	s_set_vgpr_msb 4                        ;  msbs: dst=0 src0=0 src1=1 src2=0
	v_perm_b32 v16, v174, v17 /*v273*/, 0x5040001
	s_wait_dscnt 0x0
	v_bfe_i32 v238, v1, 8, 8
	v_bfe_i32 v239, v1, 0, 8
	s_set_vgpr_msb 0                        ;  msbs: dst=0 src0=0 src1=0 src2=0
	v_ashrrev_i32_e32 v236, 24, v1
	v_bfe_i32 v237, v1, 16, 8
	v_perm_b32 v1, v19, v2, 0x7060203
	s_set_vgpr_msb 5                        ;  msbs: dst=0 src0=1 src1=1 src2=0
	v_perm_b32 v19, v9 /*v265*/, v9 /*v265*/, 0xc030200
	s_set_vgpr_msb 0                        ;  msbs: dst=0 src0=0 src1=0 src2=0
	v_mul_lo_u32 v9, v9, v239
	v_dot4_i32_iu8 v10, v10, v1, v18 neg_lo:[1,1,0]
	s_set_vgpr_msb 1                        ;  msbs: dst=0 src0=1 src1=0 src2=0
	v_perm_b32 v1, v17 /*v273*/, v34, 0x7060203
	s_set_vgpr_msb 0                        ;  msbs: dst=0 src0=0 src1=0 src2=0
	v_perm_b32 v18, v7, v7, 0xc030200
	s_delay_alu instid0(VALU_DEP_2) | instskip(SKIP_1) | instid1(VALU_DEP_1)
	v_dot4_i32_iu8 v16, v16, v1, v22 neg_lo:[1,1,0]
	v_perm_b32 v1, v153, v2, 0x7060203
	v_dot4_i32_iu8 v14, v17, v1, v14 neg_lo:[1,1,0]
	v_perm_b32 v1, v15, v34, 0x7060203
	v_perm_b32 v15, v174, v15, 0x5040001
	;; [unrolled: 1-line block ×3, first 2 shown]
	s_delay_alu instid0(VALU_DEP_2)
	v_dot4_i32_iu8 v15, v15, v1, v35 neg_lo:[1,1,0]
	s_set_vgpr_msb 4                        ;  msbs: dst=0 src0=0 src1=1 src2=0
	v_dot4_i32_iu8 v1, v125, v13 /*v269*/, v132 neg_lo:[1,1,0]
	s_set_vgpr_msb 16                       ;  msbs: dst=0 src0=0 src1=0 src2=1
	v_dot4_i32_iu8 v17, v18, v17, v3 /*v259*/ neg_lo:[1,1,0]
	v_perm_b32 v18, v127, v127, 0xc030200
	s_set_vgpr_msb 64                       ;  msbs: dst=1 src0=0 src1=0 src2=0
	v_perm_b32 v3 /*v259*/, v149, v148, 0x6040503
	s_set_vgpr_msb 0                        ;  msbs: dst=0 src0=0 src1=0 src2=0
	v_mul_lo_u32 v1, v1, v238
	v_dot4_i32_iu8 v0, v19, v18, v0 neg_lo:[1,1,0]
	s_delay_alu instid0(VALU_DEP_1) | instskip(SKIP_3) | instid1(VALU_DEP_4)
	v_mad_u32 v0, v0, v239, v1
	v_mad_u32 v1, v17, v238, v9
	v_mul_lo_u32 v9, v10, v237
	v_mul_lo_u32 v10, v16, v236
	v_cvt_f32_i32_e32 v0, v0
	s_delay_alu instid0(VALU_DEP_4) | instskip(NEXT) | instid1(VALU_DEP_4)
	v_cvt_f32_i32_e32 v1, v1
	v_mad_u32 v9, v15, v236, v9
	s_delay_alu instid0(VALU_DEP_4) | instskip(NEXT) | instid1(VALU_DEP_3)
	v_mad_u32 v10, v14, v237, v10
	v_pk_fma_f32 v[0:1], v[20:21], v[0:1], 0 op_sel_hi:[1,1,0]
	s_delay_alu instid0(VALU_DEP_3) | instskip(NEXT) | instid1(VALU_DEP_3)
	v_cvt_f32_i32_e32 v15, v9
	v_cvt_f32_i32_e32 v14, v10
	s_delay_alu instid0(VALU_DEP_1)
	v_pk_fma_f32 v[14:15], v[30:31], v[14:15], v[0:1]
	s_set_vgpr_msb 1                        ;  msbs: dst=0 src0=1 src1=0 src2=0
	ds_load_2addr_b32 v[132:133], v25 /*v281*/ offset0:6 offset1:7
	ds_load_2addr_b32 v[152:153], v25 /*v281*/ offset0:4 offset1:5
	ds_load_2addr_b32 v[0:1], v25 /*v281*/ offset0:2 offset1:3
	ds_load_2addr_b32 v[150:151], v25 /*v281*/ offset1:1
	ds_load_2addr_b32 v[162:163], v25 /*v281*/ offset0:13 offset1:14
	ds_load_2addr_b32 v[164:165], v25 /*v281*/ offset0:11 offset1:12
	;; [unrolled: 1-line block ×3, first 2 shown]
	s_set_vgpr_msb 0                        ;  msbs: dst=0 src0=0 src1=0 src2=0
	v_pk_fma_f32 v[68:69], v[118:119], v[14:15], v[68:69]
	s_set_vgpr_msb 1                        ;  msbs: dst=0 src0=1 src1=0 src2=0
	v_perm_b32 v14, v12 /*v268*/, v147, 0x7060403
	v_perm_b32 v15, v7 /*v263*/, v148, 0x6040503
	s_wait_dscnt 0x5
	s_set_vgpr_msb 0                        ;  msbs: dst=0 src0=0 src1=0 src2=0
	v_perm_b32 v4, v153, v4, 0x6040503
	v_perm_b32 v6, v6, v153, 0x7060403
	;; [unrolled: 1-line block ×3, first 2 shown]
	s_wait_dscnt 0x2
	v_bfe_i32 v9, v163, 8, 8
	s_wait_dscnt 0x1
	v_perm_b32 v16, v165, v165, 0xc0c0001
	v_bfe_i32 v10, v165, 16, 8
	v_perm_b32 v12, v162, v12, 0x6040503
	v_perm_b32 v164, v164, v164, 0x3020001
	v_mul_i32_i24_e32 v9, v9, v29
	s_wait_dscnt 0x0
	v_perm_b32 v157, v157, v157, 0x3020001
	s_set_vgpr_msb 1                        ;  msbs: dst=0 src0=1 src1=0 src2=0
	s_delay_alu instid0(VALU_DEP_2) | instskip(SKIP_2) | instid1(VALU_DEP_2)
	v_dot4_i32_iu8 v9, v42 /*v298*/, v16, v9 neg_lo:[1,1,0]
	s_set_vgpr_msb 0                        ;  msbs: dst=0 src0=0 src1=0 src2=0
	v_perm_b32 v16, v152, v152, 0xc0c0100
	v_mad_i32_i24 v9, v168, v10, v9
	s_set_vgpr_msb 1                        ;  msbs: dst=0 src0=1 src1=0 src2=0
	ds_load_2addr_b32 v[168:169], v25 /*v281*/ offset0:9 offset1:10
	s_set_vgpr_msb 0                        ;  msbs: dst=0 src0=0 src1=0 src2=0
	v_perm_b32 v10, v13, v165, 0x6040503
	v_perm_b32 v13, v156, v156, 0xc0c0001
	s_delay_alu instid0(VALU_DEP_2) | instskip(SKIP_2) | instid1(VALU_DEP_1)
	v_dot4_i32_iu8 v9, v12, v10, v9 neg_lo:[1,1,0]
	v_perm_b32 v10, v162, v162, 0xc0c0c03
	v_perm_b32 v12, v163, v163, 0x706000c
	v_or_b32_e32 v178, v12, v10
	s_set_vgpr_msb 1                        ;  msbs: dst=0 src0=1 src1=0 src2=0
	s_delay_alu instid0(VALU_DEP_1)
	v_dot4_i32_iu8 v10, v0 /*v256*/, v178, v9 neg_lo:[1,1,0]
	s_set_vgpr_msb 64                       ;  msbs: dst=1 src0=0 src1=0 src2=0
	v_perm_b32 v0 /*v256*/, v151, v150, 0x6040503
	s_wait_dscnt 0x0
	s_set_vgpr_msb 4                        ;  msbs: dst=0 src0=0 src1=1 src2=0
	v_bfe_i32 v9, v169, 8, 8
	v_bfe_i32 v12, v168, 16, 8
	v_dot4_i32_iu8 v10, v157, v59 /*v315*/, v10 neg_lo:[1,1,0]
	s_set_vgpr_msb 0                        ;  msbs: dst=0 src0=0 src1=0 src2=0
	s_delay_alu instid0(VALU_DEP_3) | instskip(NEXT) | instid1(VALU_DEP_1)
	v_mul_i32_i24_e32 v9, v9, v28
	v_dot4_i32_iu8 v9, v179, v13, v9 neg_lo:[1,1,0]
	v_perm_b32 v13, v156, v156, 0xc0c0302
	s_delay_alu instid0(VALU_DEP_1) | instskip(SKIP_1) | instid1(VALU_DEP_1)
	v_dot4_i32_iu8 v9, v227, v13, v9 neg_lo:[1,1,0]
	v_perm_b32 v13, v168, v168, 0xc0c0001
	v_dot4_i32_iu8 v9, v228, v13, v9 neg_lo:[1,1,0]
	v_bfe_i32 v13, v152, 16, 8
	s_delay_alu instid0(VALU_DEP_2) | instskip(SKIP_1) | instid1(VALU_DEP_1)
	v_mad_i32_i24 v9, v12, v27, v9
	v_perm_b32 v12, v169, v168, 0xc0c0403
	v_dot4_i32_iu8 v9, v229, v12, v9 neg_lo:[1,1,0]
	v_perm_b32 v12, v169, v169, 0xc0c0302
	s_delay_alu instid0(VALU_DEP_1) | instskip(SKIP_3) | instid1(VALU_DEP_3)
	v_dot4_i32_iu8 v12, v230, v12, v9 neg_lo:[1,1,0]
	v_bfe_i32 v9, v132, 8, 8
	v_perm_b32 v230, v160, v160, 0x3020001
	s_set_vgpr_msb 4                        ;  msbs: dst=0 src0=0 src1=1 src2=0
	v_dot4_i32_iu8 v12, v164, v37 /*v293*/, v12 neg_lo:[1,1,0]
	s_set_vgpr_msb 0                        ;  msbs: dst=0 src0=0 src1=0 src2=0
	v_mul_i32_i24_e32 v9, v9, v25
	s_delay_alu instid0(VALU_DEP_1) | instskip(SKIP_1) | instid1(VALU_DEP_2)
	v_dot4_i32_iu8 v9, v231, v16, v9 neg_lo:[1,1,0]
	v_perm_b32 v231, v155, v155, 0x3020001
	v_mad_i32_i24 v9, v13, v26, v9
	v_perm_b32 v13, v5, v152, 0x6040503
	v_perm_b32 v5, v132, v5, 0x7060403
	s_set_vgpr_msb 20                       ;  msbs: dst=0 src0=0 src1=1 src2=1
	v_dot4_i32_iu8 v16, v231, v59 /*v315*/, v43 /*v299*/ neg_lo:[1,1,0]
	s_set_vgpr_msb 0                        ;  msbs: dst=0 src0=0 src1=0 src2=0
	v_dot4_i32_iu8 v4, v13, v4, v9 neg_lo:[1,1,0]
	v_perm_b32 v9, v167, v167, 0x706000c
	s_delay_alu instid0(VALU_DEP_2) | instskip(SKIP_2) | instid1(VALU_DEP_3)
	v_dot4_i32_iu8 v6, v5, v6, v4 neg_lo:[1,1,0]
	v_bfe_i32 v4, v0, 8, 8
	v_perm_b32 v5, v151, v151, 0xc0c0001
	v_dot4_i32_iu8 v6, v7, v133, v6 neg_lo:[1,1,0]
	s_delay_alu instid0(VALU_DEP_3) | instskip(NEXT) | instid1(VALU_DEP_1)
	v_mul_i32_i24_e32 v4, v4, v24
	v_dot4_i32_iu8 v4, v150, v8, v4 neg_lo:[1,1,0]
	s_set_vgpr_msb 1                        ;  msbs: dst=0 src0=1 src1=0 src2=0
	v_perm_b32 v8, v15 /*v271*/, v161, 0x6040503
	s_set_vgpr_msb 0                        ;  msbs: dst=0 src0=0 src1=0 src2=0
	s_delay_alu instid0(VALU_DEP_2) | instskip(SKIP_1) | instid1(VALU_DEP_1)
	v_dot4_i32_iu8 v4, v232, v5, v4 neg_lo:[1,1,0]
	v_perm_b32 v5, v151, v151, 0xc0c0302
	v_dot4_i32_iu8 v4, v233, v5, v4 neg_lo:[1,1,0]
	v_perm_b32 v5, v0, v0, 0xc030200
	v_perm_b32 v233, v147, v146, 0x6040503
	s_delay_alu instid0(VALU_DEP_2)
	v_dot4_i32_iu8 v13, v5, v246, v4 neg_lo:[1,1,0]
	s_set_vgpr_msb 1                        ;  msbs: dst=0 src0=1 src1=0 src2=0
	v_perm_b32 v4, v14 /*v270*/, v159, 0x6040501
	s_set_vgpr_msb 4                        ;  msbs: dst=0 src0=0 src1=1 src2=0
	v_perm_b32 v5, v161, v16 /*v272*/, 0x6040501
	s_set_vgpr_msb 0                        ;  msbs: dst=0 src0=0 src1=0 src2=0
	s_delay_alu instid0(VALU_DEP_1) | instskip(SKIP_3) | instid1(VALU_DEP_1)
	v_dot4_i32_iu8 v4, v5, v4, 0 neg_lo:[1,1,0]
	s_set_vgpr_msb 4                        ;  msbs: dst=0 src0=0 src1=1 src2=0
	v_perm_b32 v5, v158, v14 /*v270*/, 0x6040503
	s_set_vgpr_msb 0                        ;  msbs: dst=0 src0=0 src1=0 src2=0
	v_dot4_i32_iu8 v4, v8, v5, v4 neg_lo:[1,1,0]
	v_perm_b32 v5, v154, v167, 0x6040501
	v_perm_b32 v8, v166, v154, 0x6040503
	s_delay_alu instid0(VALU_DEP_3) | instskip(SKIP_1) | instid1(VALU_DEP_3)
	v_dot4_i32_iu8 v4, v177, v23, v4 neg_lo:[1,1,0]
	s_set_vgpr_msb 1                        ;  msbs: dst=0 src0=1 src1=0 src2=0
	v_dot4_i32_iu8 v5, v49 /*v305*/, v5, 0 neg_lo:[1,1,0]
	s_delay_alu instid0(VALU_DEP_1) | instskip(SKIP_2) | instid1(VALU_DEP_1)
	v_dot4_i32_iu8 v5, v51 /*v307*/, v8, v5 neg_lo:[1,1,0]
	s_set_vgpr_msb 0                        ;  msbs: dst=0 src0=0 src1=0 src2=0
	v_perm_b32 v8, v166, v166, 0xc0c0c03
	v_or_b32_e32 v246, v9, v8
	s_set_vgpr_msb 1                        ;  msbs: dst=0 src0=1 src1=0 src2=0
	v_perm_b32 v8, v10 /*v266*/, v142, 0x6050401
	s_set_vgpr_msb 4                        ;  msbs: dst=0 src0=0 src1=1 src2=0
	v_perm_b32 v9, v146, v12 /*v268*/, 0x6050401
	s_set_vgpr_msb 1                        ;  msbs: dst=0 src0=1 src1=0 src2=0
	v_dot4_i32_iu8 v5, v57 /*v313*/, v246, v5 neg_lo:[1,1,0]
	s_set_vgpr_msb 0                        ;  msbs: dst=0 src0=0 src1=0 src2=0
	s_delay_alu instid0(VALU_DEP_2)
	v_dot4_i32_iu8 v8, v9, v8, 0 neg_lo:[1,1,0]
	s_set_vgpr_msb 4                        ;  msbs: dst=0 src0=0 src1=1 src2=0
	v_perm_b32 v9, v142, v11 /*v267*/, 0x7060403
	v_dot4_i32_iu8 v17, v230, v58 /*v314*/, v5 neg_lo:[1,1,0]
	s_set_vgpr_msb 16                       ;  msbs: dst=0 src0=0 src1=0 src2=1
	v_dot4_i32_iu8 v5, v145, v11, v46 /*v302*/ neg_lo:[1,1,0]
	s_set_vgpr_msb 0                        ;  msbs: dst=0 src0=0 src1=0 src2=0
	v_dot4_i32_iu8 v8, v233, v32, v8 neg_lo:[1,1,0]
	s_delay_alu instid0(VALU_DEP_1)
	v_dot4_i32_iu8 v8, v14, v9, v8 neg_lo:[1,1,0]
	s_set_vgpr_msb 1                        ;  msbs: dst=0 src0=1 src1=0 src2=0
	v_perm_b32 v9, v6 /*v262*/, v144, 0x6050401
	s_set_vgpr_msb 4                        ;  msbs: dst=0 src0=0 src1=1 src2=0
	v_perm_b32 v14, v148, v8 /*v264*/, 0x6050401
	s_set_vgpr_msb 0                        ;  msbs: dst=0 src0=0 src1=0 src2=0
	s_delay_alu instid0(VALU_DEP_1) | instskip(SKIP_3) | instid1(VALU_DEP_1)
	v_dot4_i32_iu8 v9, v14, v9, 0 neg_lo:[1,1,0]
	s_set_vgpr_msb 4                        ;  msbs: dst=0 src0=0 src1=1 src2=0
	v_perm_b32 v14, v149, v6 /*v262*/, 0x6040503
	s_set_vgpr_msb 0                        ;  msbs: dst=0 src0=0 src1=0 src2=0
	v_dot4_i32_iu8 v9, v15, v14, v9 neg_lo:[1,1,0]
	v_perm_b32 v14, v144, v149, 0x7060403
	s_set_vgpr_msb 4                        ;  msbs: dst=0 src0=0 src1=1 src2=0
	v_dot4_i32_iu8 v15, v231, v38 /*v294*/, v4 neg_lo:[1,1,0]
	v_dot4_i32_iu8 v4, v143, v13 /*v269*/, v8 neg_lo:[1,1,0]
	s_set_vgpr_msb 16                       ;  msbs: dst=0 src0=0 src1=0 src2=1
	v_dot4_i32_iu8 v8, v7, v143, v45 /*v301*/ neg_lo:[1,1,0]
	s_set_vgpr_msb 1                        ;  msbs: dst=0 src0=1 src1=0 src2=0
	v_dot4_i32_iu8 v9, v5 /*v261*/, v14, v9 neg_lo:[1,1,0]
	ds_load_b32 v14, v23 /*v279*/
	v_dot4_i32_iu8 v9, v9 /*v265*/, v145, v9 neg_lo:[1,1,0]
	s_wait_dscnt 0x0
	s_set_vgpr_msb 0                        ;  msbs: dst=0 src0=0 src1=0 src2=0
	v_bfe_i32 v228, v14, 0, 8
	v_bfe_i32 v229, v14, 8, 8
	v_ashrrev_i32_e32 v179, 24, v14
	v_bfe_i32 v227, v14, 16, 8
	s_set_vgpr_msb 20                       ;  msbs: dst=0 src0=0 src1=1 src2=1
	v_dot4_i32_iu8 v14, v230, v37 /*v293*/, v44 /*v300*/ neg_lo:[1,1,0]
	s_set_vgpr_msb 0                        ;  msbs: dst=0 src0=0 src1=0 src2=0
	v_mul_lo_u32 v5, v5, v228
	v_mul_lo_u32 v4, v4, v229
	s_delay_alu instid0(VALU_DEP_2) | instskip(NEXT) | instid1(VALU_DEP_2)
	v_mad_u32 v5, v8, v229, v5
	v_mad_u32 v4, v9, v228, v4
	v_mul_lo_u32 v8, v14, v227
	v_mul_lo_u32 v9, v15, v179
	s_set_vgpr_msb 1                        ;  msbs: dst=0 src0=1 src1=0 src2=0
	v_perm_b32 v15, v7 /*v263*/, v150, 0x6040503
	s_set_vgpr_msb 0                        ;  msbs: dst=0 src0=0 src1=0 src2=0
	v_cvt_f32_i32_e32 v5, v5
	v_cvt_f32_i32_e32 v4, v4
	v_mad_u32 v8, v16, v179, v8
	v_mad_u32 v14, v17, v227, v9
	s_delay_alu instid0(VALU_DEP_3) | instskip(NEXT) | instid1(VALU_DEP_3)
	v_pk_fma_f32 v[4:5], v[20:21], v[4:5], 0 op_sel_hi:[1,1,0]
	v_cvt_f32_i32_e32 v9, v8
	s_delay_alu instid0(VALU_DEP_3) | instskip(SKIP_3) | instid1(VALU_DEP_2)
	v_cvt_f32_i32_e32 v8, v14
	s_set_vgpr_msb 1                        ;  msbs: dst=0 src0=1 src1=0 src2=0
	v_perm_b32 v14, v12 /*v268*/, v153, 0x7060403
	s_set_vgpr_msb 0                        ;  msbs: dst=0 src0=0 src1=0 src2=0
	v_pk_fma_f32 v[4:5], v[30:31], v[8:9], v[4:5]
	s_set_vgpr_msb 1                        ;  msbs: dst=0 src0=1 src1=0 src2=0
	v_perm_b32 v8, v15 /*v271*/, v165, 0x6040503
	s_set_vgpr_msb 0                        ;  msbs: dst=0 src0=0 src1=0 src2=0
	v_perm_b32 v9, v169, v169, 0x706000c
	v_pk_fma_f32 v[66:67], v[120:121], v[4:5], v[66:67]
	s_set_vgpr_msb 1                        ;  msbs: dst=0 src0=1 src1=0 src2=0
	v_perm_b32 v4, v14 /*v270*/, v163, 0x6040501
	s_set_vgpr_msb 4                        ;  msbs: dst=0 src0=0 src1=1 src2=0
	v_perm_b32 v5, v165, v16 /*v272*/, 0x6040501
	s_set_vgpr_msb 0                        ;  msbs: dst=0 src0=0 src1=0 src2=0
	s_delay_alu instid0(VALU_DEP_1) | instskip(SKIP_3) | instid1(VALU_DEP_1)
	v_dot4_i32_iu8 v4, v5, v4, 0 neg_lo:[1,1,0]
	s_set_vgpr_msb 4                        ;  msbs: dst=0 src0=0 src1=1 src2=0
	v_perm_b32 v5, v162, v14 /*v270*/, 0x6040503
	s_set_vgpr_msb 0                        ;  msbs: dst=0 src0=0 src1=0 src2=0
	v_dot4_i32_iu8 v4, v8, v5, v4 neg_lo:[1,1,0]
	v_perm_b32 v5, v156, v169, 0x6040501
	v_perm_b32 v8, v168, v156, 0x6040503
	s_delay_alu instid0(VALU_DEP_3) | instskip(SKIP_1) | instid1(VALU_DEP_3)
	v_dot4_i32_iu8 v4, v178, v23, v4 neg_lo:[1,1,0]
	s_set_vgpr_msb 1                        ;  msbs: dst=0 src0=1 src1=0 src2=0
	v_dot4_i32_iu8 v5, v49 /*v305*/, v5, 0 neg_lo:[1,1,0]
	s_delay_alu instid0(VALU_DEP_1) | instskip(SKIP_2) | instid1(VALU_DEP_1)
	v_dot4_i32_iu8 v5, v51 /*v307*/, v8, v5 neg_lo:[1,1,0]
	s_set_vgpr_msb 0                        ;  msbs: dst=0 src0=0 src1=0 src2=0
	v_perm_b32 v8, v168, v168, 0xc0c0c03
	v_or_b32_e32 v232, v9, v8
	s_set_vgpr_msb 1                        ;  msbs: dst=0 src0=1 src1=0 src2=0
	v_perm_b32 v8, v10 /*v266*/, v132, 0x6050401
	s_set_vgpr_msb 4                        ;  msbs: dst=0 src0=0 src1=1 src2=0
	v_perm_b32 v9, v152, v12 /*v268*/, 0x6050401
	s_set_vgpr_msb 1                        ;  msbs: dst=0 src0=1 src1=0 src2=0
	v_dot4_i32_iu8 v5, v57 /*v313*/, v232, v5 neg_lo:[1,1,0]
	s_set_vgpr_msb 0                        ;  msbs: dst=0 src0=0 src1=0 src2=0
	s_delay_alu instid0(VALU_DEP_2) | instskip(SKIP_3) | instid1(VALU_DEP_2)
	v_dot4_i32_iu8 v8, v9, v8, 0 neg_lo:[1,1,0]
	s_set_vgpr_msb 4                        ;  msbs: dst=0 src0=0 src1=1 src2=0
	v_perm_b32 v9, v132, v11 /*v267*/, 0x7060403
	s_set_vgpr_msb 0                        ;  msbs: dst=0 src0=0 src1=0 src2=0
	v_dot4_i32_iu8 v8, v171, v32, v8 neg_lo:[1,1,0]
	s_delay_alu instid0(VALU_DEP_1)
	v_dot4_i32_iu8 v8, v14, v9, v8 neg_lo:[1,1,0]
	s_set_vgpr_msb 1                        ;  msbs: dst=0 src0=1 src1=0 src2=0
	v_perm_b32 v9, v6 /*v262*/, v0, 0x6050401
	s_set_vgpr_msb 4                        ;  msbs: dst=0 src0=0 src1=1 src2=0
	v_perm_b32 v14, v150, v8 /*v264*/, 0x6050401
	s_set_vgpr_msb 0                        ;  msbs: dst=0 src0=0 src1=0 src2=0
	s_delay_alu instid0(VALU_DEP_1) | instskip(SKIP_3) | instid1(VALU_DEP_1)
	v_dot4_i32_iu8 v9, v14, v9, 0 neg_lo:[1,1,0]
	s_set_vgpr_msb 4                        ;  msbs: dst=0 src0=0 src1=1 src2=0
	v_perm_b32 v14, v151, v6 /*v262*/, 0x6040503
	s_set_vgpr_msb 0                        ;  msbs: dst=0 src0=0 src1=0 src2=0
	v_dot4_i32_iu8 v9, v15, v14, v9 neg_lo:[1,1,0]
	v_perm_b32 v14, v0, v151, 0x7060403
	s_set_vgpr_msb 4                        ;  msbs: dst=0 src0=0 src1=1 src2=0
	v_dot4_i32_iu8 v15, v164, v58 /*v314*/, v5 neg_lo:[1,1,0]
	s_set_vgpr_msb 0                        ;  msbs: dst=0 src0=0 src1=0 src2=0
	v_dot4_i32_iu8 v5, v1, v11, v13 neg_lo:[1,1,0]
	s_set_vgpr_msb 1                        ;  msbs: dst=0 src0=1 src1=0 src2=0
	v_dot4_i32_iu8 v9, v5 /*v261*/, v14, v9 neg_lo:[1,1,0]
	ds_load_b32 v14, v24 /*v280*/
	s_set_vgpr_msb 64                       ;  msbs: dst=1 src0=0 src1=0 src2=0
	v_perm_b32 v5 /*v261*/, v139, v138, 0x6040503
	s_set_vgpr_msb 1                        ;  msbs: dst=0 src0=1 src1=0 src2=0
	v_dot4_i32_iu8 v7, v9 /*v265*/, v1, v9 neg_lo:[1,1,0]
	s_wait_dscnt 0x0
	s_set_vgpr_msb 0                        ;  msbs: dst=0 src0=0 src1=0 src2=0
	v_bfe_i32 v155, v14, 0, 8
	v_bfe_i32 v160, v14, 8, 8
	v_ashrrev_i32_e32 v32, 24, v14
	v_bfe_i32 v35, v14, 16, 8
	s_set_vgpr_msb 4                        ;  msbs: dst=0 src0=0 src1=1 src2=0
	v_dot4_i32_iu8 v14, v157, v38 /*v294*/, v4 neg_lo:[1,1,0]
	v_dot4_i32_iu8 v4, v133, v13 /*v269*/, v8 neg_lo:[1,1,0]
	s_set_vgpr_msb 0                        ;  msbs: dst=0 src0=0 src1=0 src2=0
	v_mul_lo_u32 v5, v5, v155
	s_delay_alu instid0(VALU_DEP_2) | instskip(NEXT) | instid1(VALU_DEP_2)
	v_mul_lo_u32 v4, v4, v160
	v_mad_u32 v5, v6, v160, v5
	v_mul_lo_u32 v6, v12, v35
	s_delay_alu instid0(VALU_DEP_3) | instskip(SKIP_1) | instid1(VALU_DEP_4)
	v_mad_u32 v4, v7, v155, v4
	v_mul_lo_u32 v7, v14, v32
	v_cvt_f32_i32_e32 v5, v5
	s_delay_alu instid0(VALU_DEP_4) | instskip(NEXT) | instid1(VALU_DEP_4)
	v_mad_u32 v6, v10, v32, v6
	v_cvt_f32_i32_e32 v4, v4
	s_delay_alu instid0(VALU_DEP_4) | instskip(NEXT) | instid1(VALU_DEP_2)
	v_mad_u32 v8, v15, v35, v7
	v_pk_fma_f32 v[4:5], v[20:21], v[4:5], 0 op_sel_hi:[1,1,0]
	s_delay_alu instid0(VALU_DEP_4) | instskip(NEXT) | instid1(VALU_DEP_3)
	v_cvt_f32_i32_e32 v7, v6
	v_cvt_f32_i32_e32 v6, v8
	s_delay_alu instid0(VALU_DEP_1) | instskip(NEXT) | instid1(VALU_DEP_1)
	v_pk_fma_f32 v[4:5], v[30:31], v[6:7], v[4:5]
	v_pk_fma_f32 v[64:65], v[122:123], v[4:5], v[64:65]
	v_or_b32_e32 v4, s10, v208
	s_delay_alu instid0(VALU_DEP_1)
	v_lshlrev_b32_e32 v16, 2, v4
	s_set_vgpr_msb 64                       ;  msbs: dst=1 src0=0 src1=0 src2=0
	v_lshrrev_b32_e32 v6 /*v262*/, 1, v4
	s_set_vgpr_msb 0                        ;  msbs: dst=0 src0=0 src1=0 src2=0
	ds_load_b128 v[8:11], v16 offset:33280
	ds_load_b128 v[4:7], v16 offset:33296
	;; [unrolled: 1-line block ×4, first 2 shown]
	s_wait_dscnt 0x3
	v_perm_b32 v30, v10, v139, 0x7060403
	s_wait_dscnt 0x2
	v_perm_b32 v29, v5, v140, 0x6040503
	s_wait_dscnt 0x1
	v_bfe_i32 v20, v14, 8, 8
	s_wait_dscnt 0x0
	v_perm_b32 v24, v16, v18, 0x6040501
	v_perm_b32 v25, v17, v16, 0x6040503
	v_bfe_i32 v21, v12, 8, 8
	v_perm_b32 v26, v18, v17, 0x7060403
	v_mul_i32_i24_e32 v20, v20, v175
	s_set_vgpr_msb 4                        ;  msbs: dst=0 src0=0 src1=1 src2=0
	v_dot4_i32_iu8 v24, v24, v1 /*v257*/, 0 neg_lo:[1,1,0]
	s_set_vgpr_msb 0                        ;  msbs: dst=0 src0=0 src1=0 src2=0
	v_perm_b32 v27, v170, v14, 0x6040501
	v_bfe_i32 v22, v14, 16, 8
	v_ashrrev_i32_e32 v23, 24, v14
	v_mad_i32_i24 v20, v21, v176, v20
	s_set_vgpr_msb 4                        ;  msbs: dst=0 src0=0 src1=1 src2=0
	v_dot4_i32_iu8 v24, v25, v2 /*v258*/, v24 neg_lo:[1,1,0]
	s_set_vgpr_msb 0                        ;  msbs: dst=0 src0=0 src1=0 src2=0
	v_perm_b32 v21, v13, v12, 0x5030200
	v_perm_b32 v28, v13, v170, 0x6040503
	v_mul_i32_i24_e32 v22, v253, v22
	v_mul_i32_i24_e32 v23, v252, v23
	s_set_vgpr_msb 64                       ;  msbs: dst=1 src0=0 src1=0 src2=0
	v_dot4_i32_iu8 v7 /*v263*/, v26, v255, v24 neg_lo:[1,1,0]
	s_set_vgpr_msb 0                        ;  msbs: dst=0 src0=0 src1=0 src2=0
	v_perm_b32 v24, v12, v173, 0x6040501
	v_dot4_i32_iu8 v20, v251, v21, v20 neg_lo:[1,1,0]
	v_perm_b32 v21, v14, v13, 0x4030200
	s_set_vgpr_msb 64                       ;  msbs: dst=1 src0=0 src1=0 src2=0
	v_perm_b32 v33 /*v289*/, v15, v15, 0x7060001
	s_set_vgpr_msb 0                        ;  msbs: dst=0 src0=0 src1=0 src2=0
	v_dot4_i32_iu8 v24, v27, v24, 0 neg_lo:[1,1,0]
	v_perm_b32 v27, v172, v12, 0x6040503
	v_dot4_i32_iu8 v20, v254, v21, v20 neg_lo:[1,1,0]
	v_perm_b32 v21, v130, v6, 0x6050401
	s_delay_alu instid0(VALU_DEP_3)
	v_dot4_i32_iu8 v24, v28, v27, v24 neg_lo:[1,1,0]
	v_perm_b32 v27, v14, v13, 0x7060403
	v_perm_b32 v28, v140, v6, 0x6050401
	s_set_vgpr_msb 64                       ;  msbs: dst=1 src0=0 src1=0 src2=0
	v_add3_u32 v16 /*v272*/, v20, v22, v23
	s_set_vgpr_msb 0                        ;  msbs: dst=0 src0=0 src1=0 src2=0
	v_perm_b32 v20, v4, v124, 0x6050401
	v_perm_b32 v22, v124, v5, 0x7060403
	s_set_vgpr_msb 0x41                     ;  msbs: dst=1 src0=1 src1=0 src2=0
	v_dot4_i32_iu8 v12 /*v268*/, v4 /*v260*/, v27, v24 neg_lo:[1,1,0]
	s_set_vgpr_msb 0                        ;  msbs: dst=0 src0=0 src1=0 src2=0
	v_perm_b32 v24, v4, v134, 0x6050401
	v_perm_b32 v23, v6, v131, 0x7060403
	v_dot4_i32_iu8 v20, v21, v20, 0 neg_lo:[1,1,0]
	v_perm_b32 v21, v5, v4, 0x6040503
	s_delay_alu instid0(VALU_DEP_4) | instskip(SKIP_1) | instid1(VALU_DEP_3)
	v_dot4_i32_iu8 v24, v28, v24, 0 neg_lo:[1,1,0]
	v_perm_b32 v28, v141, v4, 0x6040503
	v_dot4_i32_iu8 v20, v234, v21, v20 neg_lo:[1,1,0]
	s_delay_alu instid0(VALU_DEP_2) | instskip(SKIP_2) | instid1(VALU_DEP_3)
	v_dot4_i32_iu8 v24, v29, v28, v24 neg_lo:[1,1,0]
	v_perm_b32 v28, v6, v5, 0x7060403
	s_set_vgpr_msb 64                       ;  msbs: dst=1 src0=0 src1=0 src2=0
	v_dot4_i32_iu8 v17 /*v273*/, v23, v22, v20 neg_lo:[1,1,0]
	s_set_vgpr_msb 0                        ;  msbs: dst=0 src0=0 src1=0 src2=0
	v_perm_b32 v20, v8, v126, 0x6050401
	v_perm_b32 v22, v128, v10, 0x6050401
	;; [unrolled: 1-line block ×3, first 2 shown]
	s_set_vgpr_msb 64                       ;  msbs: dst=1 src0=0 src1=0 src2=0
	v_dot4_i32_iu8 v13 /*v269*/, v28, v247, v24 neg_lo:[1,1,0]
	s_set_vgpr_msb 0                        ;  msbs: dst=0 src0=0 src1=0 src2=0
	v_perm_b32 v24, v8, v136, 0x6050401
	v_perm_b32 v28, v138, v10, 0x6050401
	v_dot4_i32_iu8 v20, v22, v20, 0 neg_lo:[1,1,0]
	v_perm_b32 v22, v126, v9, 0x7060403
	v_perm_b32 v29, v136, v9, 0x7060403
	s_delay_alu instid0(VALU_DEP_4) | instskip(SKIP_1) | instid1(VALU_DEP_1)
	v_dot4_i32_iu8 v24, v28, v24, 0 neg_lo:[1,1,0]
	v_perm_b32 v28, v9, v8, 0x6040503
	v_dot4_i32_iu8 v20, v235, v28, v20 neg_lo:[1,1,0]
	s_set_vgpr_msb 1                        ;  msbs: dst=0 src0=1 src1=0 src2=0
	s_delay_alu instid0(VALU_DEP_3) | instskip(SKIP_1) | instid1(VALU_DEP_2)
	v_dot4_i32_iu8 v24, v5 /*v261*/, v28, v24 neg_lo:[1,1,0]
	s_set_vgpr_msb 64                       ;  msbs: dst=1 src0=0 src1=0 src2=0
	v_dot4_i32_iu8 v18 /*v274*/, v23, v22, v20 neg_lo:[1,1,0]
	s_set_vgpr_msb 0                        ;  msbs: dst=0 src0=0 src1=0 src2=0
	v_perm_b32 v20, v16, v159, 0x6040501
	v_perm_b32 v22, v161, v18, 0x6040501
	;; [unrolled: 1-line block ×3, first 2 shown]
	s_set_vgpr_msb 64                       ;  msbs: dst=1 src0=0 src1=0 src2=0
	v_dot4_i32_iu8 v14 /*v270*/, v30, v29, v24 neg_lo:[1,1,0]
	s_set_vgpr_msb 0                        ;  msbs: dst=0 src0=0 src1=0 src2=0
	v_perm_b32 v29, v18, v18, 0xc0c0c01
	v_perm_b32 v18, v165, v18, 0x6040501
	v_dot4_i32_iu8 v20, v22, v20, 0 neg_lo:[1,1,0]
	v_perm_b32 v22, v158, v16, 0x6040503
	v_perm_b32 v24, v16, v33, 0x6040503
	;; [unrolled: 1-line block ×3, first 2 shown]
	s_delay_alu instid0(VALU_DEP_3)
	v_dot4_i32_iu8 v20, v23, v22, v20 neg_lo:[1,1,0]
	v_perm_b32 v22, v154, v14, 0x6040501
	v_perm_b32 v23, v13, v154, 0x6040503
	;; [unrolled: 1-line block ×4, first 2 shown]
	s_set_vgpr_msb 64                       ;  msbs: dst=1 src0=0 src1=0 src2=0
	v_dot4_i32_iu8 v19 /*v275*/, v177, v26, v20 neg_lo:[1,1,0]
	s_set_vgpr_msb 0                        ;  msbs: dst=0 src0=0 src1=0 src2=0
	v_perm_b32 v20, v12, v167, 0x6040501
	s_delay_alu instid0(VALU_DEP_1) | instskip(SKIP_1) | instid1(VALU_DEP_1)
	v_dot4_i32_iu8 v20, v22, v20, 0 neg_lo:[1,1,0]
	v_perm_b32 v22, v166, v12, 0x6040503
	v_dot4_i32_iu8 v20, v23, v22, v20 neg_lo:[1,1,0]
	v_perm_b32 v22, v146, v6, 0x6050401
	v_perm_b32 v23, v6, v147, 0x7060403
	s_set_vgpr_msb 64                       ;  msbs: dst=1 src0=0 src1=0 src2=0
	s_delay_alu instid0(VALU_DEP_3) | instskip(SKIP_3) | instid1(VALU_DEP_2)
	v_dot4_i32_iu8 v20 /*v276*/, v246, v27, v20 neg_lo:[1,1,0]
	s_set_vgpr_msb 0                        ;  msbs: dst=0 src0=0 src1=0 src2=0
	v_perm_b32 v20, v4, v142, 0x6050401
	v_perm_b32 v4, v4, v132, 0x6050401
	v_dot4_i32_iu8 v20, v22, v20, 0 neg_lo:[1,1,0]
	v_perm_b32 v22, v142, v5, 0x7060403
	v_perm_b32 v5, v132, v5, 0x7060403
	s_delay_alu instid0(VALU_DEP_3) | instskip(SKIP_1) | instid1(VALU_DEP_1)
	v_dot4_i32_iu8 v20, v233, v21, v20 neg_lo:[1,1,0]
	s_set_vgpr_msb 64                       ;  msbs: dst=1 src0=0 src1=0 src2=0
	v_dot4_i32_iu8 v21 /*v277*/, v23, v22, v20 neg_lo:[1,1,0]
	s_set_vgpr_msb 0                        ;  msbs: dst=0 src0=0 src1=0 src2=0
	v_perm_b32 v20, v8, v144, 0x6050401
	v_perm_b32 v22, v148, v10, 0x6050401
	;; [unrolled: 1-line block ×3, first 2 shown]
	s_delay_alu instid0(VALU_DEP_2) | instskip(SKIP_2) | instid1(VALU_DEP_2)
	v_dot4_i32_iu8 v20, v22, v20, 0 neg_lo:[1,1,0]
	v_perm_b32 v22, v144, v9, 0x7060403
	s_set_vgpr_msb 1                        ;  msbs: dst=0 src0=1 src1=0 src2=0
	v_dot4_i32_iu8 v20, v3 /*v259*/, v28, v20 neg_lo:[1,1,0]
	s_set_vgpr_msb 64                       ;  msbs: dst=1 src0=0 src1=0 src2=0
	s_delay_alu instid0(VALU_DEP_1) | instskip(SKIP_3) | instid1(VALU_DEP_2)
	v_dot4_i32_iu8 v22 /*v278*/, v23, v22, v20 neg_lo:[1,1,0]
	s_set_vgpr_msb 0                        ;  msbs: dst=0 src0=0 src1=0 src2=0
	v_perm_b32 v20, v16, v163, 0x6040501
	v_perm_b32 v16, v162, v16, 0x6040503
	v_dot4_i32_iu8 v18, v18, v20, 0 neg_lo:[1,1,0]
	s_delay_alu instid0(VALU_DEP_1) | instskip(SKIP_1) | instid1(VALU_DEP_1)
	v_dot4_i32_iu8 v16, v17, v16, v18 neg_lo:[1,1,0]
	s_set_vgpr_msb 64                       ;  msbs: dst=1 src0=0 src1=0 src2=0
	v_dot4_i32_iu8 v23 /*v279*/, v178, v26, v16 neg_lo:[1,1,0]
	s_set_vgpr_msb 0                        ;  msbs: dst=0 src0=0 src1=0 src2=0
	v_perm_b32 v16, v12, v169, 0x6040501
	v_perm_b32 v12, v168, v12, 0x6040503
	s_delay_alu instid0(VALU_DEP_2) | instskip(NEXT) | instid1(VALU_DEP_1)
	v_dot4_i32_iu8 v14, v14, v16, 0 neg_lo:[1,1,0]
	v_dot4_i32_iu8 v12, v13, v12, v14 neg_lo:[1,1,0]
	s_delay_alu instid0(VALU_DEP_1) | instskip(SKIP_3) | instid1(VALU_DEP_3)
	v_dot4_i32_iu8 v14, v232, v27, v12 neg_lo:[1,1,0]
	v_perm_b32 v12, v152, v6, 0x6050401
	v_perm_b32 v6, v6, v153, 0x7060403
	s_set_vgpr_msb 4                        ;  msbs: dst=0 src0=0 src1=1 src2=0
	v_dot4_i32_iu8 v14, v164, v33 /*v289*/, v14 neg_lo:[1,1,0]
	s_set_vgpr_msb 0                        ;  msbs: dst=0 src0=0 src1=0 src2=0
	v_dot4_i32_iu8 v4, v12, v4, 0 neg_lo:[1,1,0]
	s_delay_alu instid0(VALU_DEP_1) | instskip(NEXT) | instid1(VALU_DEP_1)
	v_dot4_i32_iu8 v4, v171, v21, v4 neg_lo:[1,1,0]
	v_dot4_i32_iu8 v6, v6, v5, v4 neg_lo:[1,1,0]
	v_perm_b32 v4, v8, v0, 0x6050401
	v_perm_b32 v5, v150, v10, 0x6050401
	;; [unrolled: 1-line block ×3, first 2 shown]
	s_delay_alu instid0(VALU_DEP_4) | instskip(NEXT) | instid1(VALU_DEP_3)
	v_dot4_i32_iu8 v6, v7, v133, v6 neg_lo:[1,1,0]
	v_dot4_i32_iu8 v4, v5, v4, 0 neg_lo:[1,1,0]
	v_perm_b32 v5, v0, v9, 0x7060403
	s_set_vgpr_msb 1                        ;  msbs: dst=0 src0=1 src1=0 src2=0
	s_delay_alu instid0(VALU_DEP_2) | instskip(SKIP_1) | instid1(VALU_DEP_1)
	v_dot4_i32_iu8 v4, v0 /*v256*/, v28, v4 neg_lo:[1,1,0]
	s_set_vgpr_msb 0                        ;  msbs: dst=0 src0=0 src1=0 src2=0
	v_dot4_i32_iu8 v10, v8, v5, v4 neg_lo:[1,1,0]
	v_or_b32_e32 v4, s10, v209
	v_or_b32_e32 v29, v248, v29
	s_delay_alu instid0(VALU_DEP_3) | instskip(NEXT) | instid1(VALU_DEP_3)
	v_dot4_i32_iu8 v10, v1, v11, v10 neg_lo:[1,1,0]
	v_lshlrev_b32_e32 v5, 2, v4
	s_delay_alu instid0(VALU_DEP_3) | instskip(SKIP_1) | instid1(VALU_DEP_4)
	v_dot4_i32_iu8 v24, v29, v24, 0 neg_lo:[1,1,0]
	v_lshrrev_b32_e32 v8, 1, v4
	v_mul_lo_u32 v10, v10, v155
	s_delay_alu instid0(VALU_DEP_3) | instskip(SKIP_1) | instid1(VALU_DEP_1)
	v_dot4_i32_iu8 v24, v25, v249, v24 neg_lo:[1,1,0]
	s_set_vgpr_msb 64                       ;  msbs: dst=1 src0=0 src1=0 src2=0
	v_dot4_i32_iu8 v15 /*v271*/, v250, v26, v24 neg_lo:[1,1,0]
	s_set_vgpr_msb 0                        ;  msbs: dst=0 src0=0 src1=0 src2=0
	ds_load_b128 v[20:23], v5 offset:33280
	ds_load_b128 v[24:27], v5 offset:33296
	;; [unrolled: 1-line block ×3, first 2 shown]
	s_set_vgpr_msb 64                       ;  msbs: dst=1 src0=0 src1=0 src2=0
	ds_load_b128 v[8:11] /*v[264:267]*/, v5 offset:33328
	s_set_vgpr_msb 0                        ;  msbs: dst=0 src0=0 src1=0 src2=0
	v_mad_u32 v6, v6, v160, v10
	v_mul_lo_u32 v10, v14, v35
	s_wait_dscnt 0x3
	s_set_vgpr_msb 64                       ;  msbs: dst=1 src0=0 src1=0 src2=0
	v_perm_b32 v31 /*v287*/, v21, v20, 0x6040503
	s_wait_dscnt 0x1
	s_set_vgpr_msb 0                        ;  msbs: dst=0 src0=0 src1=0 src2=0
	v_perm_b32 v5, v170, v30, 0x6040501
	s_wait_dscnt 0x0
	s_set_vgpr_msb 5                        ;  msbs: dst=0 src0=1 src1=1 src2=0
	v_perm_b32 v4, v8 /*v264*/, v10 /*v266*/, 0x6040501
	s_set_vgpr_msb 0x45                     ;  msbs: dst=1 src0=1 src1=1 src2=0
	v_perm_b32 v28 /*v284*/, v9 /*v265*/, v8 /*v264*/, 0x6040503
	v_perm_b32 v29 /*v285*/, v10 /*v266*/, v9 /*v265*/, 0x7060403
	s_set_vgpr_msb 0                        ;  msbs: dst=0 src0=0 src1=0 src2=0
	v_perm_b32 v9, v29, v170, 0x6040503
	s_set_vgpr_msb 64                       ;  msbs: dst=1 src0=0 src1=0 src2=0
	v_perm_b32 v30 /*v286*/, v30, v29, 0x7060403
	s_set_vgpr_msb 4                        ;  msbs: dst=0 src0=0 src1=1 src2=0
	v_dot4_i32_iu8 v4, v4, v1 /*v257*/, 0 neg_lo:[1,1,0]
	s_set_vgpr_msb 0x45                     ;  msbs: dst=1 src0=1 src1=1 src2=0
	v_perm_b32 v32 /*v288*/, v11 /*v267*/, v11 /*v267*/, 0x7060001
	s_set_vgpr_msb 0                        ;  msbs: dst=0 src0=0 src1=0 src2=0
	v_perm_b32 v31, v31, v31, 0x7060001
	s_set_vgpr_msb 64                       ;  msbs: dst=1 src0=0 src1=0 src2=0
	v_bfe_i32 v24 /*v280*/, v30, 8, 8
	v_bfe_i32 v25 /*v281*/, v28, 8, 8
	s_set_vgpr_msb 5                        ;  msbs: dst=0 src0=1 src1=1 src2=0
	v_dot4_i32_iu8 v4, v28 /*v284*/, v2 /*v258*/, v4 neg_lo:[1,1,0]
	s_set_vgpr_msb 64                       ;  msbs: dst=1 src0=0 src1=0 src2=0
	v_bfe_i32 v26 /*v282*/, v30, 16, 8
	v_ashrrev_i32_e32 v27 /*v283*/, 24, v30
	s_set_vgpr_msb 1                        ;  msbs: dst=0 src0=1 src1=0 src2=0
	v_dot4_i32_iu8 v12, v29 /*v285*/, v255, v4 neg_lo:[1,1,0]
	s_set_vgpr_msb 0                        ;  msbs: dst=0 src0=0 src1=0 src2=0
	v_perm_b32 v4, v28, v173, 0x6040501
	s_set_vgpr_msb 4                        ;  msbs: dst=0 src0=0 src1=1 src2=0
	s_delay_alu instid0(VALU_DEP_2) | instskip(SKIP_1) | instid1(VALU_DEP_2)
	v_dot4_i32_iu8 v18, v245, v32 /*v288*/, v12 neg_lo:[1,1,0]
	s_set_vgpr_msb 0                        ;  msbs: dst=0 src0=0 src1=0 src2=0
	v_dot4_i32_iu8 v4, v5, v4, 0 neg_lo:[1,1,0]
	v_perm_b32 v5, v172, v28, 0x6040503
	s_delay_alu instid0(VALU_DEP_1) | instskip(SKIP_3) | instid1(VALU_DEP_3)
	v_dot4_i32_iu8 v4, v9, v5, v4 neg_lo:[1,1,0]
	v_perm_b32 v5, v140, v26, 0x6050401
	v_perm_b32 v9, v25, v140, 0x6040503
	s_set_vgpr_msb 5                        ;  msbs: dst=0 src0=1 src1=1 src2=0
	v_dot4_i32_iu8 v13, v4 /*v260*/, v30 /*v286*/, v4 neg_lo:[1,1,0]
	s_set_vgpr_msb 0                        ;  msbs: dst=0 src0=0 src1=0 src2=0
	v_perm_b32 v4, v24, v134, 0x6050401
	s_delay_alu instid0(VALU_DEP_1) | instskip(SKIP_1) | instid1(VALU_DEP_1)
	v_dot4_i32_iu8 v4, v5, v4, 0 neg_lo:[1,1,0]
	v_perm_b32 v5, v141, v24, 0x6040503
	v_dot4_i32_iu8 v4, v9, v5, v4 neg_lo:[1,1,0]
	v_perm_b32 v5, v26, v25, 0x7060403
	v_perm_b32 v9, v22, v139, 0x7060403
	s_delay_alu instid0(VALU_DEP_2) | instskip(SKIP_2) | instid1(VALU_DEP_3)
	v_dot4_i32_iu8 v16, v5, v247, v4 neg_lo:[1,1,0]
	v_perm_b32 v4, v20, v136, 0x6050401
	v_perm_b32 v5, v138, v22, 0x6050401
	v_dot4_i32_iu8 v12, v135, v27, v16 neg_lo:[1,1,0]
	s_set_vgpr_msb 16                       ;  msbs: dst=0 src0=0 src1=0 src2=1
	v_dot4_i32_iu8 v16, v7, v135, v13 /*v269*/ neg_lo:[1,1,0]
	s_delay_alu instid0(VALU_DEP_3) | instskip(SKIP_3) | instid1(VALU_DEP_3)
	v_dot4_i32_iu8 v4, v5, v4, 0 neg_lo:[1,1,0]
	v_perm_b32 v5, v136, v21, 0x7060403
	v_mul_lo_u32 v12, v12, v243
	s_set_vgpr_msb 5                        ;  msbs: dst=0 src0=1 src1=1 src2=0
	v_dot4_i32_iu8 v4, v5 /*v261*/, v31 /*v287*/, v4 neg_lo:[1,1,0]
	s_set_vgpr_msb 0                        ;  msbs: dst=0 src0=0 src1=0 src2=0
	s_delay_alu instid0(VALU_DEP_1)
	v_dot4_i32_iu8 v17, v9, v5, v4 neg_lo:[1,1,0]
	s_set_vgpr_msb 1                        ;  msbs: dst=0 src0=1 src1=0 src2=0
	ds_load_b64 v[4:5], v6 /*v262*/ offset:43584
	s_set_vgpr_msb 0                        ;  msbs: dst=0 src0=0 src1=0 src2=0
	ds_load_b64 v[8:9], v8 offset:43584
	s_set_vgpr_msb 0x54                     ;  msbs: dst=1 src0=0 src1=1 src2=1
	v_dot4_i32_iu8 v6 /*v262*/, v244, v33 /*v289*/, v12 /*v268*/ neg_lo:[1,1,0]
	s_set_vgpr_msb 64                       ;  msbs: dst=1 src0=0 src1=0 src2=0
	v_perm_b32 v12 /*v268*/, v19, v19, 0x7060001
	s_set_vgpr_msb 0                        ;  msbs: dst=0 src0=0 src1=0 src2=0
	v_dot4_i32_iu8 v17, v23, v137, v17 neg_lo:[1,1,0]
	s_set_vgpr_msb 17                       ;  msbs: dst=0 src0=1 src1=0 src2=1
	s_delay_alu instid0(VALU_DEP_2)
	v_dot4_i32_iu8 v19, v12 /*v268*/, v245, v7 /*v263*/ neg_lo:[1,1,0]
	s_set_vgpr_msb 64                       ;  msbs: dst=1 src0=0 src1=0 src2=0
	v_dot4_i32_iu8 v7 /*v263*/, v31, v244, v13 neg_lo:[1,1,0]
	s_set_vgpr_msb 16                       ;  msbs: dst=0 src0=0 src1=0 src2=1
	v_dot4_i32_iu8 v13, v137, v11, v14 /*v270*/ neg_lo:[1,1,0]
	s_set_vgpr_msb 0                        ;  msbs: dst=0 src0=0 src1=0 src2=0
	v_mad_u32 v12, v17, v242, v12
	s_delay_alu instid0(VALU_DEP_2)
	v_mul_lo_u32 v13, v13, v242
	s_wait_dscnt 0x1
	v_mov_b32_e32 v17, v4
	s_set_vgpr_msb 1                        ;  msbs: dst=0 src0=1 src1=0 src2=0
	v_mul_lo_u32 v4, v6 /*v262*/, v240
	s_set_vgpr_msb 0                        ;  msbs: dst=0 src0=0 src1=0 src2=0
	s_delay_alu instid0(VALU_DEP_4)
	v_cvt_f32_i32_e32 v12, v12
	s_set_vgpr_msb 64                       ;  msbs: dst=1 src0=0 src1=0 src2=0
	v_perm_b32 v6 /*v262*/, v22, v129, 0x7060403
	s_set_vgpr_msb 0                        ;  msbs: dst=0 src0=0 src1=0 src2=0
	v_mad_u32 v13, v16, v243, v13
	s_wait_dscnt 0x0
	v_mov_b32_e32 v16, v8
	v_mul_lo_u32 v8, v18, v241
	v_mad_u32 v4, v19, v241, v4
	s_delay_alu instid0(VALU_DEP_4) | instskip(SKIP_1) | instid1(VALU_DEP_3)
	v_cvt_f32_i32_e32 v13, v13
	s_set_vgpr_msb 1                        ;  msbs: dst=0 src0=1 src1=0 src2=0
	v_mad_u32 v8, v7 /*v263*/, v240, v8
	s_set_vgpr_msb 64                       ;  msbs: dst=1 src0=0 src1=0 src2=0
	v_perm_b32 v7 /*v263*/, v174, v34, 0x5040203
	s_set_vgpr_msb 0                        ;  msbs: dst=0 src0=0 src1=0 src2=0
	v_pk_fma_f32 v[12:13], v[16:17], v[12:13], 0 op_sel_hi:[1,1,0]
	v_cvt_f32_i32_e32 v19, v4
	v_mov_b32_e32 v4, v9
	s_set_vgpr_msb 0x55                     ;  msbs: dst=1 src0=1 src1=1 src2=1
	v_dot4_i32_iu8 v13 /*v269*/, v12 /*v268*/, v7 /*v263*/, v15 /*v271*/ neg_lo:[1,1,0]
	s_set_vgpr_msb 0                        ;  msbs: dst=0 src0=0 src1=0 src2=0
	v_cvt_f32_i32_e32 v18, v8
	s_delay_alu instid0(VALU_DEP_1)
	v_pk_fma_f32 v[8:9], v[4:5], v[18:19], v[12:13]
	v_perm_b32 v18, v29, v28, 0x5030200
	s_set_vgpr_msb 4                        ;  msbs: dst=0 src0=0 src1=1 src2=0
	v_mul_i32_i24_e32 v12, v253, v26 /*v282*/
	v_mul_i32_i24_e32 v13, v252, v27 /*v283*/
	s_set_vgpr_msb 0                        ;  msbs: dst=0 src0=0 src1=0 src2=0
	v_perm_b32 v19, v26, v131, 0x7060403
	v_pk_fma_f32 v[62:63], v[116:117], v[8:9], v[62:63]
	s_set_vgpr_msb 5                        ;  msbs: dst=0 src0=1 src1=1 src2=0
	v_perm_b32 v9, v10 /*v266*/, v10 /*v266*/, 0xc0c0c01
	s_set_vgpr_msb 1                        ;  msbs: dst=0 src0=1 src1=0 src2=0
	v_perm_b32 v8, v8 /*v264*/, v33, 0x6040503
	s_set_vgpr_msb 0                        ;  msbs: dst=0 src0=0 src1=0 src2=0
	s_delay_alu instid0(VALU_DEP_2) | instskip(NEXT) | instid1(VALU_DEP_1)
	v_or_b32_e32 v9, v248, v9
	v_dot4_i32_iu8 v8, v9, v8, 0 neg_lo:[1,1,0]
	s_set_vgpr_msb 1                        ;  msbs: dst=0 src0=1 src1=0 src2=0
	v_mul_i32_i24_e32 v9, v24 /*v280*/, v175
	s_delay_alu instid0(VALU_DEP_2) | instskip(NEXT) | instid1(VALU_DEP_2)
	v_dot4_i32_iu8 v8, v28 /*v284*/, v249, v8 neg_lo:[1,1,0]
	v_mad_i32_i24 v9, v25 /*v281*/, v176, v9
	s_set_vgpr_msb 4                        ;  msbs: dst=0 src0=0 src1=1 src2=0
	s_delay_alu instid0(VALU_DEP_2) | instskip(SKIP_1) | instid1(VALU_DEP_2)
	v_dot4_i32_iu8 v8, v250, v29 /*v285*/, v8 neg_lo:[1,1,0]
	s_set_vgpr_msb 0                        ;  msbs: dst=0 src0=0 src1=0 src2=0
	v_dot4_i32_iu8 v9, v251, v18, v9 neg_lo:[1,1,0]
	v_perm_b32 v18, v30, v29, 0x4030200
	s_delay_alu instid0(VALU_DEP_1) | instskip(SKIP_1) | instid1(VALU_DEP_2)
	v_dot4_i32_iu8 v9, v254, v18, v9 neg_lo:[1,1,0]
	v_perm_b32 v18, v25, v24, 0x6040503
	v_add3_u32 v9, v9, v12, v13
	v_perm_b32 v12, v24, v124, 0x6050401
	v_perm_b32 v13, v130, v26, 0x6050401
	s_delay_alu instid0(VALU_DEP_1) | instskip(SKIP_1) | instid1(VALU_DEP_2)
	v_dot4_i32_iu8 v12, v13, v12, 0 neg_lo:[1,1,0]
	v_perm_b32 v13, v124, v25, 0x7060403
	v_dot4_i32_iu8 v12, v234, v18, v12 neg_lo:[1,1,0]
	s_delay_alu instid0(VALU_DEP_1) | instskip(SKIP_2) | instid1(VALU_DEP_1)
	v_dot4_i32_iu8 v12, v19, v13, v12 neg_lo:[1,1,0]
	v_perm_b32 v13, v20, v126, 0x6050401
	v_perm_b32 v19, v128, v22, 0x6050401
	v_dot4_i32_iu8 v13, v19, v13, 0 neg_lo:[1,1,0]
	v_perm_b32 v19, v126, v21, 0x7060403
	s_set_vgpr_msb 4                        ;  msbs: dst=0 src0=0 src1=1 src2=0
	s_delay_alu instid0(VALU_DEP_2) | instskip(SKIP_1) | instid1(VALU_DEP_1)
	v_dot4_i32_iu8 v13, v235, v31 /*v287*/, v13 neg_lo:[1,1,0]
	s_set_vgpr_msb 1                        ;  msbs: dst=0 src0=1 src1=0 src2=0
	v_dot4_i32_iu8 v13, v6 /*v262*/, v19, v13 neg_lo:[1,1,0]
	s_set_vgpr_msb 0                        ;  msbs: dst=0 src0=0 src1=0 src2=0
	v_perm_b32 v19, v15, v2, 0x7060203
	v_perm_b32 v15, v3, v15, 0x5040001
	s_set_vgpr_msb 0x44                     ;  msbs: dst=1 src0=0 src1=1 src2=0
	v_perm_b32 v6 /*v262*/, v174, v11 /*v267*/, 0x5040001
	s_set_vgpr_msb 0                        ;  msbs: dst=0 src0=0 src1=0 src2=0
	v_dot4_i32_iu8 v13, v23, v127, v13 neg_lo:[1,1,0]
	s_set_vgpr_msb 16                       ;  msbs: dst=0 src0=0 src1=0 src2=1
	v_dot4_i32_iu8 v15, v15, v19, v16 /*v272*/ neg_lo:[1,1,0]
	s_set_vgpr_msb 1                        ;  msbs: dst=0 src0=1 src1=0 src2=0
	v_perm_b32 v19, v11 /*v267*/, v34, 0x7060203
	s_delay_alu instid0(VALU_DEP_1)
	v_dot4_i32_iu8 v19, v6 /*v262*/, v19, v8 neg_lo:[1,1,0]
	s_set_vgpr_msb 64                       ;  msbs: dst=1 src0=0 src1=0 src2=0
	v_perm_b32 v6 /*v262*/, v3, v2, 0x5040203
	s_set_vgpr_msb 0                        ;  msbs: dst=0 src0=0 src1=0 src2=0
	v_dot4_i32_iu8 v8, v125, v27, v12 neg_lo:[1,1,0]
	s_set_vgpr_msb 16                       ;  msbs: dst=0 src0=0 src1=0 src2=1
	v_dot4_i32_iu8 v12, v7, v125, v17 /*v273*/ neg_lo:[1,1,0]
	s_set_vgpr_msb 0x44                     ;  msbs: dst=1 src0=0 src1=1 src2=0
	v_dot4_i32_iu8 v11 /*v267*/, v31, v6 /*v262*/, v9 neg_lo:[1,1,0]
	s_set_vgpr_msb 16                       ;  msbs: dst=0 src0=0 src1=0 src2=1
	v_dot4_i32_iu8 v9, v127, v11, v18 /*v274*/ neg_lo:[1,1,0]
	v_mul_lo_u32 v8, v8, v238
	s_delay_alu instid0(VALU_DEP_2) | instskip(SKIP_1) | instid1(VALU_DEP_2)
	v_mul_lo_u32 v9, v9, v239
	s_set_vgpr_msb 0                        ;  msbs: dst=0 src0=0 src1=0 src2=0
	v_mad_u32 v8, v13, v239, v8
	v_mul_lo_u32 v13, v19, v236
	v_perm_b32 v19, v22, v149, 0x7060403
	s_delay_alu instid0(VALU_DEP_4) | instskip(SKIP_2) | instid1(VALU_DEP_3)
	v_mad_u32 v9, v12, v238, v9
	v_mul_lo_u32 v12, v15, v237
	v_cvt_f32_i32_e32 v8, v8
	v_cvt_f32_i32_e32 v9, v9
	s_set_vgpr_msb 1                        ;  msbs: dst=0 src0=1 src1=0 src2=0
	s_delay_alu instid0(VALU_DEP_3)
	v_mad_u32 v15, v13 /*v269*/, v236, v12
	v_mad_u32 v12, v11 /*v267*/, v237, v13
	s_set_vgpr_msb 0x51                     ;  msbs: dst=1 src0=1 src1=0 src2=1
	v_dot4_i32_iu8 v11 /*v267*/, v12 /*v268*/, v231, v19 /*v275*/ neg_lo:[1,1,0]
	s_set_vgpr_msb 0                        ;  msbs: dst=0 src0=0 src1=0 src2=0
	v_pk_fma_f32 v[8:9], v[16:17], v[8:9], 0 op_sel_hi:[1,1,0]
	s_delay_alu instid0(VALU_DEP_4) | instskip(NEXT) | instid1(VALU_DEP_4)
	v_cvt_f32_i32_e32 v13, v15
	v_cvt_f32_i32_e32 v12, v12
	v_perm_b32 v15, v26, v147, 0x7060403
	s_delay_alu instid0(VALU_DEP_2)
	v_pk_fma_f32 v[8:9], v[4:5], v[12:13], v[8:9]
	s_set_vgpr_msb 1                        ;  msbs: dst=0 src0=1 src1=0 src2=0
	v_perm_b32 v12, v9 /*v265*/, v161, 0x6040503
	s_set_vgpr_msb 0                        ;  msbs: dst=0 src0=0 src1=0 src2=0
	v_perm_b32 v13, v29, v154, 0x6040503
	v_pk_fma_f32 v[60:61], v[118:119], v[8:9], v[60:61]
	s_set_vgpr_msb 1                        ;  msbs: dst=0 src0=1 src1=0 src2=0
	v_perm_b32 v8, v8 /*v264*/, v159, 0x6040501
	s_set_vgpr_msb 4                        ;  msbs: dst=0 src0=0 src1=1 src2=0
	v_perm_b32 v9, v161, v10 /*v266*/, 0x6040501
	s_set_vgpr_msb 0                        ;  msbs: dst=0 src0=0 src1=0 src2=0
	s_delay_alu instid0(VALU_DEP_1) | instskip(SKIP_3) | instid1(VALU_DEP_1)
	v_dot4_i32_iu8 v8, v9, v8, 0 neg_lo:[1,1,0]
	s_set_vgpr_msb 4                        ;  msbs: dst=0 src0=0 src1=1 src2=0
	v_perm_b32 v9, v158, v8 /*v264*/, 0x6040503
	s_set_vgpr_msb 0                        ;  msbs: dst=0 src0=0 src1=0 src2=0
	v_dot4_i32_iu8 v8, v12, v9, v8 neg_lo:[1,1,0]
	v_perm_b32 v9, v28, v167, 0x6040501
	v_perm_b32 v12, v154, v30, 0x6040501
	s_set_vgpr_msb 4                        ;  msbs: dst=0 src0=0 src1=1 src2=0
	s_delay_alu instid0(VALU_DEP_3) | instskip(SKIP_1) | instid1(VALU_DEP_2)
	v_dot4_i32_iu8 v8, v177, v29 /*v285*/, v8 neg_lo:[1,1,0]
	s_set_vgpr_msb 0                        ;  msbs: dst=0 src0=0 src1=0 src2=0
	v_dot4_i32_iu8 v9, v12, v9, 0 neg_lo:[1,1,0]
	v_perm_b32 v12, v166, v28, 0x6040503
	s_delay_alu instid0(VALU_DEP_1) | instskip(SKIP_3) | instid1(VALU_DEP_3)
	v_dot4_i32_iu8 v9, v13, v12, v9 neg_lo:[1,1,0]
	v_perm_b32 v12, v24, v142, 0x6050401
	v_perm_b32 v13, v146, v26, 0x6050401
	s_set_vgpr_msb 4                        ;  msbs: dst=0 src0=0 src1=1 src2=0
	v_dot4_i32_iu8 v9, v246, v30 /*v286*/, v9 neg_lo:[1,1,0]
	s_set_vgpr_msb 0                        ;  msbs: dst=0 src0=0 src1=0 src2=0
	s_delay_alu instid0(VALU_DEP_2)
	v_dot4_i32_iu8 v12, v13, v12, 0 neg_lo:[1,1,0]
	v_perm_b32 v13, v142, v25, 0x7060403
	s_set_vgpr_msb 64                       ;  msbs: dst=1 src0=0 src1=0 src2=0
	v_dot4_i32_iu8 v13 /*v269*/, v31, v230, v9 neg_lo:[1,1,0]
	s_set_vgpr_msb 16                       ;  msbs: dst=0 src0=0 src1=0 src2=1
	v_dot4_i32_iu8 v9, v145, v11, v22 /*v278*/ neg_lo:[1,1,0]
	s_set_vgpr_msb 0                        ;  msbs: dst=0 src0=0 src1=0 src2=0
	v_dot4_i32_iu8 v12, v233, v18, v12 neg_lo:[1,1,0]
	s_delay_alu instid0(VALU_DEP_2) | instskip(NEXT) | instid1(VALU_DEP_2)
	v_mul_lo_u32 v9, v9, v228
	v_dot4_i32_iu8 v12, v15, v13, v12 neg_lo:[1,1,0]
	v_perm_b32 v13, v20, v144, 0x6050401
	v_perm_b32 v15, v148, v22, 0x6050401
	s_delay_alu instid0(VALU_DEP_1) | instskip(SKIP_2) | instid1(VALU_DEP_2)
	v_dot4_i32_iu8 v13, v15, v13, 0 neg_lo:[1,1,0]
	v_perm_b32 v15, v144, v21, 0x7060403
	s_set_vgpr_msb 5                        ;  msbs: dst=0 src0=1 src1=1 src2=0
	v_dot4_i32_iu8 v13, v3 /*v259*/, v31 /*v287*/, v13 neg_lo:[1,1,0]
	s_set_vgpr_msb 0                        ;  msbs: dst=0 src0=0 src1=0 src2=0
	s_delay_alu instid0(VALU_DEP_1)
	v_dot4_i32_iu8 v13, v19, v15, v13 neg_lo:[1,1,0]
	s_set_vgpr_msb 4                        ;  msbs: dst=0 src0=0 src1=1 src2=0
	v_dot4_i32_iu8 v15, v231, v32 /*v288*/, v8 neg_lo:[1,1,0]
	s_set_vgpr_msb 0                        ;  msbs: dst=0 src0=0 src1=0 src2=0
	v_dot4_i32_iu8 v8, v143, v27, v12 neg_lo:[1,1,0]
	s_set_vgpr_msb 20                       ;  msbs: dst=0 src0=0 src1=1 src2=1
	v_dot4_i32_iu8 v19, v230, v33 /*v289*/, v20 /*v276*/ neg_lo:[1,1,0]
	s_set_vgpr_msb 16                       ;  msbs: dst=0 src0=0 src1=0 src2=1
	v_dot4_i32_iu8 v12, v7, v143, v21 /*v277*/ neg_lo:[1,1,0]
	s_set_vgpr_msb 0                        ;  msbs: dst=0 src0=0 src1=0 src2=0
	v_dot4_i32_iu8 v13, v23, v145, v13 neg_lo:[1,1,0]
	v_mul_lo_u32 v8, v8, v229
	s_delay_alu instid0(VALU_DEP_3) | instskip(SKIP_1) | instid1(VALU_DEP_3)
	v_mad_u32 v9, v12, v229, v9
	v_mul_lo_u32 v12, v19, v227
	v_mad_u32 v8, v13, v228, v8
	v_mul_lo_u32 v13, v15, v179
	s_delay_alu instid0(VALU_DEP_4) | instskip(SKIP_1) | instid1(VALU_DEP_4)
	v_cvt_f32_i32_e32 v9, v9
	s_set_vgpr_msb 1                        ;  msbs: dst=0 src0=1 src1=0 src2=0
	v_mad_u32 v12, v11 /*v267*/, v179, v12
	s_set_vgpr_msb 0                        ;  msbs: dst=0 src0=0 src1=0 src2=0
	s_delay_alu instid0(VALU_DEP_4) | instskip(SKIP_1) | instid1(VALU_DEP_4)
	v_cvt_f32_i32_e32 v8, v8
	s_set_vgpr_msb 1                        ;  msbs: dst=0 src0=1 src1=0 src2=0
	v_mad_u32 v15, v13 /*v269*/, v227, v13
	s_set_vgpr_msb 0                        ;  msbs: dst=0 src0=0 src1=0 src2=0
	s_delay_alu instid0(VALU_DEP_3) | instskip(SKIP_1) | instid1(VALU_DEP_3)
	v_cvt_f32_i32_e32 v13, v12
	v_pk_fma_f32 v[8:9], v[16:17], v[8:9], 0 op_sel_hi:[1,1,0]
	v_cvt_f32_i32_e32 v12, v15
	v_perm_b32 v15, v26, v153, 0x7060403
	s_delay_alu instid0(VALU_DEP_2)
	v_pk_fma_f32 v[8:9], v[4:5], v[12:13], v[8:9]
	s_set_vgpr_msb 1                        ;  msbs: dst=0 src0=1 src1=0 src2=0
	v_perm_b32 v12, v9 /*v265*/, v165, 0x6040503
	s_set_vgpr_msb 0                        ;  msbs: dst=0 src0=0 src1=0 src2=0
	v_perm_b32 v13, v29, v156, 0x6040503
	v_pk_fma_f32 v[58:59], v[120:121], v[8:9], v[58:59]
	s_set_vgpr_msb 1                        ;  msbs: dst=0 src0=1 src1=0 src2=0
	v_perm_b32 v8, v8 /*v264*/, v163, 0x6040501
	s_set_vgpr_msb 4                        ;  msbs: dst=0 src0=0 src1=1 src2=0
	v_perm_b32 v9, v165, v10 /*v266*/, 0x6040501
	s_set_vgpr_msb 0                        ;  msbs: dst=0 src0=0 src1=0 src2=0
	s_delay_alu instid0(VALU_DEP_1) | instskip(SKIP_3) | instid1(VALU_DEP_1)
	v_dot4_i32_iu8 v8, v9, v8, 0 neg_lo:[1,1,0]
	s_set_vgpr_msb 4                        ;  msbs: dst=0 src0=0 src1=1 src2=0
	v_perm_b32 v9, v162, v8 /*v264*/, 0x6040503
	s_set_vgpr_msb 0                        ;  msbs: dst=0 src0=0 src1=0 src2=0
	v_dot4_i32_iu8 v8, v12, v9, v8 neg_lo:[1,1,0]
	v_perm_b32 v9, v28, v169, 0x6040501
	v_perm_b32 v12, v156, v30, 0x6040501
	s_set_vgpr_msb 4                        ;  msbs: dst=0 src0=0 src1=1 src2=0
	s_delay_alu instid0(VALU_DEP_3) | instskip(SKIP_1) | instid1(VALU_DEP_2)
	v_dot4_i32_iu8 v8, v178, v29 /*v285*/, v8 neg_lo:[1,1,0]
	s_set_vgpr_msb 0                        ;  msbs: dst=0 src0=0 src1=0 src2=0
	v_dot4_i32_iu8 v9, v12, v9, 0 neg_lo:[1,1,0]
	v_perm_b32 v12, v168, v28, 0x6040503
	s_set_vgpr_msb 4                        ;  msbs: dst=0 src0=0 src1=1 src2=0
	v_dot4_i32_iu8 v8, v157, v32 /*v288*/, v8 neg_lo:[1,1,0]
	s_set_vgpr_msb 0                        ;  msbs: dst=0 src0=0 src1=0 src2=0
	s_delay_alu instid0(VALU_DEP_2)
	v_dot4_i32_iu8 v9, v13, v12, v9 neg_lo:[1,1,0]
	v_perm_b32 v12, v24, v132, 0x6050401
	v_perm_b32 v13, v152, v26, 0x6050401
	v_mul_lo_u32 v8, v8, v32
	s_set_vgpr_msb 4                        ;  msbs: dst=0 src0=0 src1=1 src2=0
	v_dot4_i32_iu8 v9, v232, v30 /*v286*/, v9 neg_lo:[1,1,0]
	s_set_vgpr_msb 0                        ;  msbs: dst=0 src0=0 src1=0 src2=0
	v_dot4_i32_iu8 v12, v13, v12, 0 neg_lo:[1,1,0]
	v_perm_b32 v13, v132, v25, 0x7060403
	s_delay_alu instid0(VALU_DEP_3) | instskip(NEXT) | instid1(VALU_DEP_3)
	v_dot4_i32_iu8 v9, v31, v164, v9 neg_lo:[1,1,0]
	v_dot4_i32_iu8 v12, v171, v18, v12 neg_lo:[1,1,0]
	v_perm_b32 v18, v22, v151, 0x7060403
	s_delay_alu instid0(VALU_DEP_3) | instskip(NEXT) | instid1(VALU_DEP_3)
	v_mad_u32 v8, v9, v35, v8
	v_dot4_i32_iu8 v12, v15, v13, v12 neg_lo:[1,1,0]
	v_perm_b32 v13, v20, v0, 0x6050401
	v_perm_b32 v15, v150, v22, 0x6050401
	s_delay_alu instid0(VALU_DEP_3) | instskip(NEXT) | instid1(VALU_DEP_2)
	v_dot4_i32_iu8 v12, v133, v27, v12 neg_lo:[1,1,0]
	v_dot4_i32_iu8 v13, v15, v13, 0 neg_lo:[1,1,0]
	v_perm_b32 v15, v0, v21, 0x7060403
	v_cvt_f32_i32_e32 v8, v8
	s_delay_alu instid0(VALU_DEP_4) | instskip(SKIP_3) | instid1(VALU_DEP_1)
	v_mul_lo_u32 v11, v12, v160
	s_set_vgpr_msb 5                        ;  msbs: dst=0 src0=1 src1=1 src2=0
	v_dot4_i32_iu8 v13, v0 /*v256*/, v31 /*v287*/, v13 neg_lo:[1,1,0]
	s_set_vgpr_msb 0                        ;  msbs: dst=0 src0=0 src1=0 src2=0
	v_dot4_i32_iu8 v13, v18, v15, v13 neg_lo:[1,1,0]
	s_set_vgpr_msb 17                       ;  msbs: dst=0 src0=1 src1=0 src2=1
	v_dot4_i32_iu8 v15, v12 /*v268*/, v157, v23 /*v279*/ neg_lo:[1,1,0]
	s_set_vgpr_msb 0                        ;  msbs: dst=0 src0=0 src1=0 src2=0
	s_delay_alu instid0(VALU_DEP_2) | instskip(NEXT) | instid1(VALU_DEP_2)
	v_dot4_i32_iu8 v7, v23, v1, v13 neg_lo:[1,1,0]
	v_mad_u32 v9, v15, v32, v10
	s_delay_alu instid0(VALU_DEP_2) | instskip(SKIP_1) | instid1(VALU_DEP_3)
	v_mad_u32 v11, v7, v155, v11
	v_cvt_f32_i32_e32 v7, v6
	v_cvt_f32_i32_e32 v9, v9
	s_delay_alu instid0(VALU_DEP_3) | instskip(NEXT) | instid1(VALU_DEP_1)
	v_cvt_f32_i32_e32 v6, v11
	v_pk_fma_f32 v[6:7], v[16:17], v[6:7], 0 op_sel_hi:[1,1,0]
	s_delay_alu instid0(VALU_DEP_1) | instskip(NEXT) | instid1(VALU_DEP_1)
	v_pk_fma_f32 v[4:5], v[4:5], v[8:9], v[6:7]
	v_pk_fma_f32 v[56:57], v[122:123], v[4:5], v[56:57]
	v_or_b32_e32 v4, s10, v210
	s_delay_alu instid0(VALU_DEP_1)
	v_lshlrev_b32_e32 v16, 2, v4
	s_set_vgpr_msb 64                       ;  msbs: dst=1 src0=0 src1=0 src2=0
	v_lshrrev_b32_e32 v12 /*v268*/, 1, v4
	s_set_vgpr_msb 0                        ;  msbs: dst=0 src0=0 src1=0 src2=0
	ds_load_b128 v[8:11], v16 offset:33280
	ds_load_b128 v[4:7], v16 offset:33296
	;; [unrolled: 1-line block ×4, first 2 shown]
	s_wait_dscnt 0x3
	v_perm_b32 v30, v10, v139, 0x7060403
	s_wait_dscnt 0x2
	v_perm_b32 v29, v5, v140, 0x6040503
	s_wait_dscnt 0x1
	v_bfe_i32 v20, v14, 8, 8
	s_wait_dscnt 0x0
	v_perm_b32 v24, v16, v18, 0x6040501
	v_perm_b32 v25, v17, v16, 0x6040503
	v_bfe_i32 v21, v12, 8, 8
	v_perm_b32 v26, v18, v17, 0x7060403
	v_mul_i32_i24_e32 v20, v20, v175
	s_set_vgpr_msb 4                        ;  msbs: dst=0 src0=0 src1=1 src2=0
	v_dot4_i32_iu8 v24, v24, v1 /*v257*/, 0 neg_lo:[1,1,0]
	s_set_vgpr_msb 0                        ;  msbs: dst=0 src0=0 src1=0 src2=0
	v_perm_b32 v27, v170, v14, 0x6040501
	v_bfe_i32 v22, v14, 16, 8
	v_ashrrev_i32_e32 v23, 24, v14
	v_mad_i32_i24 v20, v21, v176, v20
	s_set_vgpr_msb 4                        ;  msbs: dst=0 src0=0 src1=1 src2=0
	v_dot4_i32_iu8 v24, v25, v2 /*v258*/, v24 neg_lo:[1,1,0]
	s_set_vgpr_msb 0                        ;  msbs: dst=0 src0=0 src1=0 src2=0
	v_perm_b32 v21, v13, v12, 0x5030200
	v_perm_b32 v28, v13, v170, 0x6040503
	v_mul_i32_i24_e32 v22, v253, v22
	v_mul_i32_i24_e32 v23, v252, v23
	s_set_vgpr_msb 64                       ;  msbs: dst=1 src0=0 src1=0 src2=0
	v_dot4_i32_iu8 v13 /*v269*/, v26, v255, v24 neg_lo:[1,1,0]
	s_set_vgpr_msb 0                        ;  msbs: dst=0 src0=0 src1=0 src2=0
	v_perm_b32 v24, v12, v173, 0x6040501
	v_dot4_i32_iu8 v20, v251, v21, v20 neg_lo:[1,1,0]
	v_perm_b32 v21, v14, v13, 0x4030200
	s_set_vgpr_msb 64                       ;  msbs: dst=1 src0=0 src1=0 src2=0
	v_perm_b32 v35 /*v291*/, v19, v19, 0x7060001
	v_perm_b32 v34 /*v290*/, v15, v15, 0x7060001
	s_set_vgpr_msb 0                        ;  msbs: dst=0 src0=0 src1=0 src2=0
	v_dot4_i32_iu8 v24, v27, v24, 0 neg_lo:[1,1,0]
	v_perm_b32 v27, v172, v12, 0x6040503
	v_dot4_i32_iu8 v20, v254, v21, v20 neg_lo:[1,1,0]
	v_perm_b32 v21, v130, v6, 0x6050401
	s_set_vgpr_msb 17                       ;  msbs: dst=0 src0=1 src1=0 src2=1
	v_dot4_i32_iu8 v19, v35 /*v291*/, v245, v13 /*v269*/ neg_lo:[1,1,0]
	s_set_vgpr_msb 0                        ;  msbs: dst=0 src0=0 src1=0 src2=0
	v_dot4_i32_iu8 v24, v28, v27, v24 neg_lo:[1,1,0]
	v_perm_b32 v27, v14, v13, 0x7060403
	v_perm_b32 v28, v140, v6, 0x6050401
	s_set_vgpr_msb 64                       ;  msbs: dst=1 src0=0 src1=0 src2=0
	v_add3_u32 v18 /*v274*/, v20, v22, v23
	s_set_vgpr_msb 0                        ;  msbs: dst=0 src0=0 src1=0 src2=0
	v_perm_b32 v20, v4, v124, 0x6050401
	v_perm_b32 v22, v124, v5, 0x7060403
	s_set_vgpr_msb 0x41                     ;  msbs: dst=1 src0=1 src1=0 src2=0
	v_dot4_i32_iu8 v14 /*v270*/, v4 /*v260*/, v27, v24 neg_lo:[1,1,0]
	s_set_vgpr_msb 0                        ;  msbs: dst=0 src0=0 src1=0 src2=0
	v_perm_b32 v24, v4, v134, 0x6050401
	v_perm_b32 v23, v6, v131, 0x7060403
	v_dot4_i32_iu8 v20, v21, v20, 0 neg_lo:[1,1,0]
	v_perm_b32 v21, v5, v4, 0x6040503
	s_set_vgpr_msb 0x54                     ;  msbs: dst=1 src0=0 src1=1 src2=1
	v_dot4_i32_iu8 v14 /*v270*/, v244, v34 /*v290*/, v14 /*v270*/ neg_lo:[1,1,0]
	s_set_vgpr_msb 0                        ;  msbs: dst=0 src0=0 src1=0 src2=0
	v_dot4_i32_iu8 v24, v28, v24, 0 neg_lo:[1,1,0]
	v_perm_b32 v28, v141, v4, 0x6040503
	v_dot4_i32_iu8 v20, v234, v21, v20 neg_lo:[1,1,0]
	s_delay_alu instid0(VALU_DEP_2) | instskip(SKIP_2) | instid1(VALU_DEP_3)
	v_dot4_i32_iu8 v24, v29, v28, v24 neg_lo:[1,1,0]
	v_perm_b32 v28, v6, v5, 0x7060403
	s_set_vgpr_msb 64                       ;  msbs: dst=1 src0=0 src1=0 src2=0
	v_dot4_i32_iu8 v19 /*v275*/, v23, v22, v20 neg_lo:[1,1,0]
	s_set_vgpr_msb 0                        ;  msbs: dst=0 src0=0 src1=0 src2=0
	v_perm_b32 v20, v8, v126, 0x6050401
	v_perm_b32 v22, v128, v10, 0x6050401
	;; [unrolled: 1-line block ×3, first 2 shown]
	s_set_vgpr_msb 64                       ;  msbs: dst=1 src0=0 src1=0 src2=0
	v_dot4_i32_iu8 v15 /*v271*/, v28, v247, v24 neg_lo:[1,1,0]
	s_set_vgpr_msb 0                        ;  msbs: dst=0 src0=0 src1=0 src2=0
	v_perm_b32 v24, v8, v136, 0x6050401
	v_perm_b32 v28, v138, v10, 0x6050401
	v_dot4_i32_iu8 v20, v22, v20, 0 neg_lo:[1,1,0]
	v_perm_b32 v22, v126, v9, 0x7060403
	v_perm_b32 v29, v136, v9, 0x7060403
	s_delay_alu instid0(VALU_DEP_4) | instskip(SKIP_1) | instid1(VALU_DEP_1)
	v_dot4_i32_iu8 v24, v28, v24, 0 neg_lo:[1,1,0]
	v_perm_b32 v28, v9, v8, 0x6040503
	v_dot4_i32_iu8 v20, v235, v28, v20 neg_lo:[1,1,0]
	s_set_vgpr_msb 1                        ;  msbs: dst=0 src0=1 src1=0 src2=0
	s_delay_alu instid0(VALU_DEP_3) | instskip(SKIP_1) | instid1(VALU_DEP_2)
	v_dot4_i32_iu8 v24, v5 /*v261*/, v28, v24 neg_lo:[1,1,0]
	s_set_vgpr_msb 64                       ;  msbs: dst=1 src0=0 src1=0 src2=0
	v_dot4_i32_iu8 v20 /*v276*/, v23, v22, v20 neg_lo:[1,1,0]
	s_set_vgpr_msb 0                        ;  msbs: dst=0 src0=0 src1=0 src2=0
	v_perm_b32 v20, v16, v159, 0x6040501
	v_perm_b32 v22, v161, v18, 0x6040501
	;; [unrolled: 1-line block ×3, first 2 shown]
	s_set_vgpr_msb 64                       ;  msbs: dst=1 src0=0 src1=0 src2=0
	v_dot4_i32_iu8 v16 /*v272*/, v30, v29, v24 neg_lo:[1,1,0]
	s_set_vgpr_msb 0                        ;  msbs: dst=0 src0=0 src1=0 src2=0
	v_perm_b32 v29, v18, v18, 0xc0c0c01
	v_perm_b32 v18, v165, v18, 0x6040501
	v_dot4_i32_iu8 v20, v22, v20, 0 neg_lo:[1,1,0]
	v_perm_b32 v22, v158, v16, 0x6040503
	v_perm_b32 v24, v16, v33, 0x6040503
	;; [unrolled: 1-line block ×3, first 2 shown]
	v_or_b32_e32 v29, v248, v29
	s_delay_alu instid0(VALU_DEP_4)
	v_dot4_i32_iu8 v20, v23, v22, v20 neg_lo:[1,1,0]
	v_perm_b32 v22, v154, v14, 0x6040501
	v_perm_b32 v23, v13, v154, 0x6040503
	;; [unrolled: 1-line block ×4, first 2 shown]
	s_set_vgpr_msb 64                       ;  msbs: dst=1 src0=0 src1=0 src2=0
	v_dot4_i32_iu8 v21 /*v277*/, v177, v26, v20 neg_lo:[1,1,0]
	s_set_vgpr_msb 0                        ;  msbs: dst=0 src0=0 src1=0 src2=0
	v_perm_b32 v20, v12, v167, 0x6040501
	v_dot4_i32_iu8 v24, v29, v24, 0 neg_lo:[1,1,0]
	s_delay_alu instid0(VALU_DEP_2) | instskip(SKIP_1) | instid1(VALU_DEP_3)
	v_dot4_i32_iu8 v20, v22, v20, 0 neg_lo:[1,1,0]
	v_perm_b32 v22, v166, v12, 0x6040503
	v_dot4_i32_iu8 v24, v25, v249, v24 neg_lo:[1,1,0]
	s_delay_alu instid0(VALU_DEP_2)
	v_dot4_i32_iu8 v20, v23, v22, v20 neg_lo:[1,1,0]
	v_perm_b32 v22, v146, v6, 0x6050401
	v_perm_b32 v23, v6, v147, 0x7060403
	s_set_vgpr_msb 64                       ;  msbs: dst=1 src0=0 src1=0 src2=0
	v_dot4_i32_iu8 v17 /*v273*/, v250, v26, v24 neg_lo:[1,1,0]
	v_dot4_i32_iu8 v22 /*v278*/, v246, v27, v20 neg_lo:[1,1,0]
	s_set_vgpr_msb 0                        ;  msbs: dst=0 src0=0 src1=0 src2=0
	v_perm_b32 v20, v4, v142, 0x6050401
	v_perm_b32 v4, v4, v132, 0x6050401
	s_delay_alu instid0(VALU_DEP_2) | instskip(SKIP_2) | instid1(VALU_DEP_3)
	v_dot4_i32_iu8 v20, v22, v20, 0 neg_lo:[1,1,0]
	v_perm_b32 v22, v142, v5, 0x7060403
	v_perm_b32 v5, v132, v5, 0x7060403
	v_dot4_i32_iu8 v20, v233, v21, v20 neg_lo:[1,1,0]
	s_set_vgpr_msb 64                       ;  msbs: dst=1 src0=0 src1=0 src2=0
	s_delay_alu instid0(VALU_DEP_1) | instskip(SKIP_4) | instid1(VALU_DEP_2)
	v_dot4_i32_iu8 v23 /*v279*/, v23, v22, v20 neg_lo:[1,1,0]
	s_set_vgpr_msb 0                        ;  msbs: dst=0 src0=0 src1=0 src2=0
	v_perm_b32 v20, v8, v144, 0x6050401
	v_perm_b32 v22, v148, v10, 0x6050401
	v_perm_b32 v23, v10, v149, 0x7060403
	v_dot4_i32_iu8 v20, v22, v20, 0 neg_lo:[1,1,0]
	v_perm_b32 v22, v144, v9, 0x7060403
	s_set_vgpr_msb 1                        ;  msbs: dst=0 src0=1 src1=0 src2=0
	s_delay_alu instid0(VALU_DEP_2) | instskip(SKIP_1) | instid1(VALU_DEP_1)
	v_dot4_i32_iu8 v20, v3 /*v259*/, v28, v20 neg_lo:[1,1,0]
	s_set_vgpr_msb 64                       ;  msbs: dst=1 src0=0 src1=0 src2=0
	v_dot4_i32_iu8 v24 /*v280*/, v23, v22, v20 neg_lo:[1,1,0]
	s_set_vgpr_msb 0                        ;  msbs: dst=0 src0=0 src1=0 src2=0
	v_perm_b32 v20, v16, v163, 0x6040501
	v_perm_b32 v16, v162, v16, 0x6040503
	s_delay_alu instid0(VALU_DEP_2) | instskip(NEXT) | instid1(VALU_DEP_1)
	v_dot4_i32_iu8 v18, v18, v20, 0 neg_lo:[1,1,0]
	v_dot4_i32_iu8 v16, v17, v16, v18 neg_lo:[1,1,0]
	s_set_vgpr_msb 64                       ;  msbs: dst=1 src0=0 src1=0 src2=0
	s_delay_alu instid0(VALU_DEP_1) | instskip(SKIP_3) | instid1(VALU_DEP_2)
	v_dot4_i32_iu8 v25 /*v281*/, v178, v26, v16 neg_lo:[1,1,0]
	s_set_vgpr_msb 0                        ;  msbs: dst=0 src0=0 src1=0 src2=0
	v_perm_b32 v16, v12, v169, 0x6040501
	v_perm_b32 v12, v168, v12, 0x6040503
	v_dot4_i32_iu8 v14, v14, v16, 0 neg_lo:[1,1,0]
	s_delay_alu instid0(VALU_DEP_1) | instskip(NEXT) | instid1(VALU_DEP_1)
	v_dot4_i32_iu8 v12, v13, v12, v14 neg_lo:[1,1,0]
	v_dot4_i32_iu8 v14, v232, v27, v12 neg_lo:[1,1,0]
	v_perm_b32 v12, v152, v6, 0x6050401
	v_perm_b32 v6, v6, v153, 0x7060403
	s_set_vgpr_msb 4                        ;  msbs: dst=0 src0=0 src1=1 src2=0
	s_delay_alu instid0(VALU_DEP_3) | instskip(SKIP_2) | instid1(VALU_DEP_1)
	v_dot4_i32_iu8 v14, v164, v34 /*v290*/, v14 neg_lo:[1,1,0]
	s_set_vgpr_msb 0                        ;  msbs: dst=0 src0=0 src1=0 src2=0
	v_dot4_i32_iu8 v4, v12, v4, 0 neg_lo:[1,1,0]
	v_dot4_i32_iu8 v4, v171, v21, v4 neg_lo:[1,1,0]
	s_delay_alu instid0(VALU_DEP_1) | instskip(SKIP_3) | instid1(VALU_DEP_4)
	v_dot4_i32_iu8 v6, v6, v5, v4 neg_lo:[1,1,0]
	v_perm_b32 v4, v8, v0, 0x6050401
	v_perm_b32 v5, v150, v10, 0x6050401
	;; [unrolled: 1-line block ×3, first 2 shown]
	v_dot4_i32_iu8 v6, v7, v133, v6 neg_lo:[1,1,0]
	s_delay_alu instid0(VALU_DEP_3) | instskip(SKIP_2) | instid1(VALU_DEP_2)
	v_dot4_i32_iu8 v4, v5, v4, 0 neg_lo:[1,1,0]
	v_perm_b32 v5, v0, v9, 0x7060403
	s_set_vgpr_msb 1                        ;  msbs: dst=0 src0=1 src1=0 src2=0
	v_dot4_i32_iu8 v4, v0 /*v256*/, v28, v4 neg_lo:[1,1,0]
	s_set_vgpr_msb 0                        ;  msbs: dst=0 src0=0 src1=0 src2=0
	s_delay_alu instid0(VALU_DEP_1) | instskip(SKIP_1) | instid1(VALU_DEP_2)
	v_dot4_i32_iu8 v10, v8, v5, v4 neg_lo:[1,1,0]
	v_or_b32_e32 v4, s10, v211
	v_dot4_i32_iu8 v10, v1, v11, v10 neg_lo:[1,1,0]
	s_delay_alu instid0(VALU_DEP_2)
	v_dual_lshlrev_b32 v5, 2, v4 :: v_dual_lshrrev_b32 v8, 1, v4
	ds_load_b128 v[20:23], v5 offset:33280
	ds_load_b128 v[24:27], v5 offset:33296
	;; [unrolled: 1-line block ×3, first 2 shown]
	s_set_vgpr_msb 64                       ;  msbs: dst=1 src0=0 src1=0 src2=0
	ds_load_b128 v[8:11] /*v[264:267]*/, v5 offset:33328
	s_set_vgpr_msb 0                        ;  msbs: dst=0 src0=0 src1=0 src2=0
	v_mul_lo_u32 v10, v10, v155
	s_delay_alu instid0(VALU_DEP_1)
	v_mad_u32 v6, v6, v160, v10
	v_mul_lo_u32 v10, v14, v35
	s_wait_dscnt 0x3
	s_set_vgpr_msb 64                       ;  msbs: dst=1 src0=0 src1=0 src2=0
	v_perm_b32 v33 /*v289*/, v21, v20, 0x6040503
	s_wait_dscnt 0x1
	s_set_vgpr_msb 0                        ;  msbs: dst=0 src0=0 src1=0 src2=0
	v_perm_b32 v5, v170, v30, 0x6040501
	s_wait_dscnt 0x0
	s_set_vgpr_msb 5                        ;  msbs: dst=0 src0=1 src1=1 src2=0
	v_perm_b32 v4, v8 /*v264*/, v10 /*v266*/, 0x6040501
	s_set_vgpr_msb 0x45                     ;  msbs: dst=1 src0=1 src1=1 src2=0
	v_perm_b32 v30 /*v286*/, v9 /*v265*/, v8 /*v264*/, 0x6040503
	v_perm_b32 v31 /*v287*/, v10 /*v266*/, v9 /*v265*/, 0x7060403
	s_set_vgpr_msb 0                        ;  msbs: dst=0 src0=0 src1=0 src2=0
	v_perm_b32 v9, v29, v170, 0x6040503
	s_set_vgpr_msb 64                       ;  msbs: dst=1 src0=0 src1=0 src2=0
	v_perm_b32 v32 /*v288*/, v30, v29, 0x7060403
	s_set_vgpr_msb 4                        ;  msbs: dst=0 src0=0 src1=1 src2=0
	v_dot4_i32_iu8 v4, v4, v1 /*v257*/, 0 neg_lo:[1,1,0]
	s_set_vgpr_msb 0                        ;  msbs: dst=0 src0=0 src1=0 src2=0
	v_perm_b32 v31, v31, v31, 0x7060001
	s_set_vgpr_msb 64                       ;  msbs: dst=1 src0=0 src1=0 src2=0
	v_bfe_i32 v26 /*v282*/, v30, 8, 8
	v_bfe_i32 v27 /*v283*/, v28, 8, 8
	;; [unrolled: 1-line block ×3, first 2 shown]
	s_set_vgpr_msb 5                        ;  msbs: dst=0 src0=1 src1=1 src2=0
	v_dot4_i32_iu8 v4, v30 /*v286*/, v2 /*v258*/, v4 neg_lo:[1,1,0]
	s_set_vgpr_msb 64                       ;  msbs: dst=1 src0=0 src1=0 src2=0
	v_ashrrev_i32_e32 v29 /*v285*/, 24, v30
	s_set_vgpr_msb 1                        ;  msbs: dst=0 src0=1 src1=0 src2=0
	s_delay_alu instid0(VALU_DEP_2) | instskip(SKIP_2) | instid1(VALU_DEP_1)
	v_dot4_i32_iu8 v12, v31 /*v287*/, v255, v4 neg_lo:[1,1,0]
	s_set_vgpr_msb 0                        ;  msbs: dst=0 src0=0 src1=0 src2=0
	v_perm_b32 v4, v28, v173, 0x6040501
	v_dot4_i32_iu8 v4, v5, v4, 0 neg_lo:[1,1,0]
	v_perm_b32 v5, v172, v28, 0x6040503
	s_delay_alu instid0(VALU_DEP_1) | instskip(SKIP_3) | instid1(VALU_DEP_3)
	v_dot4_i32_iu8 v4, v9, v5, v4 neg_lo:[1,1,0]
	v_perm_b32 v5, v140, v26, 0x6050401
	v_perm_b32 v9, v25, v140, 0x6040503
	s_set_vgpr_msb 5                        ;  msbs: dst=0 src0=1 src1=1 src2=0
	v_dot4_i32_iu8 v13, v4 /*v260*/, v32 /*v288*/, v4 neg_lo:[1,1,0]
	s_set_vgpr_msb 0                        ;  msbs: dst=0 src0=0 src1=0 src2=0
	v_perm_b32 v4, v24, v134, 0x6050401
	s_set_vgpr_msb 64                       ;  msbs: dst=1 src0=0 src1=0 src2=0
	s_delay_alu instid0(VALU_DEP_2) | instskip(SKIP_1) | instid1(VALU_DEP_2)
	v_dot4_i32_iu8 v13 /*v269*/, v31, v244, v13 neg_lo:[1,1,0]
	s_set_vgpr_msb 16                       ;  msbs: dst=0 src0=0 src1=0 src2=1
	v_dot4_i32_iu8 v4, v5, v4, 0 neg_lo:[1,1,0]
	v_perm_b32 v5, v141, v24, 0x6040503
	v_dot4_i32_iu8 v13, v137, v11, v16 /*v272*/ neg_lo:[1,1,0]
	s_set_vgpr_msb 0                        ;  msbs: dst=0 src0=0 src1=0 src2=0
	s_delay_alu instid0(VALU_DEP_2) | instskip(SKIP_3) | instid1(VALU_DEP_3)
	v_dot4_i32_iu8 v4, v9, v5, v4 neg_lo:[1,1,0]
	v_perm_b32 v5, v26, v25, 0x7060403
	v_perm_b32 v9, v22, v139, 0x7060403
	v_mul_lo_u32 v13, v13, v242
	v_dot4_i32_iu8 v16, v5, v247, v4 neg_lo:[1,1,0]
	v_perm_b32 v4, v20, v136, 0x6050401
	v_perm_b32 v5, v138, v22, 0x6050401
	s_delay_alu instid0(VALU_DEP_1) | instskip(SKIP_2) | instid1(VALU_DEP_2)
	v_dot4_i32_iu8 v4, v5, v4, 0 neg_lo:[1,1,0]
	v_perm_b32 v5, v136, v21, 0x7060403
	s_set_vgpr_msb 5                        ;  msbs: dst=0 src0=1 src1=1 src2=0
	v_dot4_i32_iu8 v4, v5 /*v261*/, v33 /*v289*/, v4 neg_lo:[1,1,0]
	s_set_vgpr_msb 0                        ;  msbs: dst=0 src0=0 src1=0 src2=0
	s_delay_alu instid0(VALU_DEP_1)
	v_dot4_i32_iu8 v17, v9, v5, v4 neg_lo:[1,1,0]
	s_set_vgpr_msb 1                        ;  msbs: dst=0 src0=1 src1=0 src2=0
	ds_load_b64 v[4:5], v12 /*v268*/ offset:43584
	s_set_vgpr_msb 0                        ;  msbs: dst=0 src0=0 src1=0 src2=0
	ds_load_b64 v[8:9], v8 offset:43584
	s_set_vgpr_msb 0x45                     ;  msbs: dst=1 src0=1 src1=1 src2=0
	v_perm_b32 v12 /*v268*/, v11 /*v267*/, v11 /*v267*/, 0x7060001
	s_set_vgpr_msb 0                        ;  msbs: dst=0 src0=0 src1=0 src2=0
	v_dot4_i32_iu8 v17, v23, v137, v17 neg_lo:[1,1,0]
	s_set_vgpr_msb 4                        ;  msbs: dst=0 src0=0 src1=1 src2=0
	s_delay_alu instid0(VALU_DEP_2) | instskip(SKIP_4) | instid1(VALU_DEP_2)
	v_dot4_i32_iu8 v18, v245, v12 /*v268*/, v12 neg_lo:[1,1,0]
	s_set_vgpr_msb 0                        ;  msbs: dst=0 src0=0 src1=0 src2=0
	v_dot4_i32_iu8 v12, v135, v27, v16 neg_lo:[1,1,0]
	s_set_vgpr_msb 16                       ;  msbs: dst=0 src0=0 src1=0 src2=1
	v_dot4_i32_iu8 v16, v7, v135, v15 /*v271*/ neg_lo:[1,1,0]
	v_mul_lo_u32 v12, v12, v243
	s_set_vgpr_msb 0                        ;  msbs: dst=0 src0=0 src1=0 src2=0
	s_delay_alu instid0(VALU_DEP_2) | instskip(SKIP_3) | instid1(VALU_DEP_4)
	v_mad_u32 v13, v16, v243, v13
	s_wait_dscnt 0x0
	v_mov_b32_e32 v16, v8
	v_mul_lo_u32 v8, v18, v241
	v_mad_u32 v12, v17, v242, v12
	v_mov_b32_e32 v17, v4
	s_set_vgpr_msb 1                        ;  msbs: dst=0 src0=1 src1=0 src2=0
	v_mul_lo_u32 v4, v14 /*v270*/, v240
	s_set_vgpr_msb 0                        ;  msbs: dst=0 src0=0 src1=0 src2=0
	v_cvt_f32_i32_e32 v13, v13
	s_set_vgpr_msb 1                        ;  msbs: dst=0 src0=1 src1=0 src2=0
	v_mad_u32 v8, v13 /*v269*/, v240, v8
	s_set_vgpr_msb 64                       ;  msbs: dst=1 src0=0 src1=0 src2=0
	v_perm_b32 v13 /*v269*/, v22, v129, 0x7060403
	s_set_vgpr_msb 0                        ;  msbs: dst=0 src0=0 src1=0 src2=0
	v_cvt_f32_i32_e32 v12, v12
	v_mad_u32 v4, v19, v241, v4
	s_delay_alu instid0(VALU_DEP_4) | instskip(NEXT) | instid1(VALU_DEP_2)
	v_cvt_f32_i32_e32 v18, v8
	v_cvt_f32_i32_e32 v19, v4
	v_mov_b32_e32 v4, v9
	v_pk_fma_f32 v[12:13], v[16:17], v[12:13], 0 op_sel_hi:[1,1,0]
	s_delay_alu instid0(VALU_DEP_1)
	v_pk_fma_f32 v[8:9], v[4:5], v[18:19], v[12:13]
	v_perm_b32 v18, v29, v28, 0x5030200
	s_set_vgpr_msb 4                        ;  msbs: dst=0 src0=0 src1=1 src2=0
	v_mul_i32_i24_e32 v12, v253, v28 /*v284*/
	v_mul_i32_i24_e32 v13, v252, v29 /*v285*/
	s_set_vgpr_msb 0                        ;  msbs: dst=0 src0=0 src1=0 src2=0
	v_perm_b32 v19, v26, v131, 0x7060403
	v_pk_fma_f32 v[54:55], v[116:117], v[8:9], v[54:55]
	s_set_vgpr_msb 5                        ;  msbs: dst=0 src0=1 src1=1 src2=0
	v_perm_b32 v9, v10 /*v266*/, v10 /*v266*/, 0xc0c0c01
	s_set_vgpr_msb 1                        ;  msbs: dst=0 src0=1 src1=0 src2=0
	v_perm_b32 v8, v8 /*v264*/, v33, 0x6040503
	s_set_vgpr_msb 0                        ;  msbs: dst=0 src0=0 src1=0 src2=0
	s_delay_alu instid0(VALU_DEP_2) | instskip(NEXT) | instid1(VALU_DEP_1)
	v_or_b32_e32 v9, v248, v9
	v_dot4_i32_iu8 v8, v9, v8, 0 neg_lo:[1,1,0]
	s_set_vgpr_msb 1                        ;  msbs: dst=0 src0=1 src1=0 src2=0
	v_mul_i32_i24_e32 v9, v26 /*v282*/, v175
	s_delay_alu instid0(VALU_DEP_2) | instskip(NEXT) | instid1(VALU_DEP_2)
	v_dot4_i32_iu8 v8, v30 /*v286*/, v249, v8 neg_lo:[1,1,0]
	v_mad_i32_i24 v9, v27 /*v283*/, v176, v9
	s_set_vgpr_msb 4                        ;  msbs: dst=0 src0=0 src1=1 src2=0
	s_delay_alu instid0(VALU_DEP_2) | instskip(SKIP_1) | instid1(VALU_DEP_2)
	v_dot4_i32_iu8 v8, v250, v31 /*v287*/, v8 neg_lo:[1,1,0]
	s_set_vgpr_msb 0                        ;  msbs: dst=0 src0=0 src1=0 src2=0
	v_dot4_i32_iu8 v9, v251, v18, v9 neg_lo:[1,1,0]
	v_perm_b32 v18, v30, v29, 0x4030200
	s_delay_alu instid0(VALU_DEP_1) | instskip(SKIP_1) | instid1(VALU_DEP_2)
	v_dot4_i32_iu8 v9, v254, v18, v9 neg_lo:[1,1,0]
	v_perm_b32 v18, v25, v24, 0x6040503
	v_add3_u32 v9, v9, v12, v13
	v_perm_b32 v12, v24, v124, 0x6050401
	v_perm_b32 v13, v130, v26, 0x6050401
	s_delay_alu instid0(VALU_DEP_1) | instskip(SKIP_1) | instid1(VALU_DEP_2)
	v_dot4_i32_iu8 v12, v13, v12, 0 neg_lo:[1,1,0]
	v_perm_b32 v13, v124, v25, 0x7060403
	v_dot4_i32_iu8 v12, v234, v18, v12 neg_lo:[1,1,0]
	s_delay_alu instid0(VALU_DEP_1) | instskip(SKIP_2) | instid1(VALU_DEP_1)
	v_dot4_i32_iu8 v12, v19, v13, v12 neg_lo:[1,1,0]
	v_perm_b32 v13, v20, v126, 0x6050401
	v_perm_b32 v19, v128, v22, 0x6050401
	v_dot4_i32_iu8 v13, v19, v13, 0 neg_lo:[1,1,0]
	v_perm_b32 v19, v126, v21, 0x7060403
	s_set_vgpr_msb 4                        ;  msbs: dst=0 src0=0 src1=1 src2=0
	s_delay_alu instid0(VALU_DEP_2) | instskip(SKIP_1) | instid1(VALU_DEP_1)
	v_dot4_i32_iu8 v13, v235, v33 /*v289*/, v13 neg_lo:[1,1,0]
	s_set_vgpr_msb 1                        ;  msbs: dst=0 src0=1 src1=0 src2=0
	v_dot4_i32_iu8 v13, v13 /*v269*/, v19, v13 neg_lo:[1,1,0]
	s_set_vgpr_msb 0                        ;  msbs: dst=0 src0=0 src1=0 src2=0
	v_perm_b32 v19, v15, v2, 0x7060203
	v_perm_b32 v15, v3, v15, 0x5040001
	s_set_vgpr_msb 0x55                     ;  msbs: dst=1 src0=1 src1=1 src2=1
	v_dot4_i32_iu8 v13 /*v269*/, v35 /*v291*/, v7 /*v263*/, v17 /*v273*/ neg_lo:[1,1,0]
	s_set_vgpr_msb 0                        ;  msbs: dst=0 src0=0 src1=0 src2=0
	v_dot4_i32_iu8 v13, v23, v127, v13 neg_lo:[1,1,0]
	s_set_vgpr_msb 16                       ;  msbs: dst=0 src0=0 src1=0 src2=1
	v_dot4_i32_iu8 v15, v15, v19, v18 /*v274*/ neg_lo:[1,1,0]
	s_set_vgpr_msb 1                        ;  msbs: dst=0 src0=1 src1=0 src2=0
	v_perm_b32 v19, v11 /*v267*/, v34, 0x7060203
	s_set_vgpr_msb 0x44                     ;  msbs: dst=1 src0=0 src1=1 src2=0
	v_perm_b32 v11 /*v267*/, v174, v11 /*v267*/, 0x5040001
	s_set_vgpr_msb 1                        ;  msbs: dst=0 src0=1 src1=0 src2=0
	s_delay_alu instid0(VALU_DEP_1)
	v_dot4_i32_iu8 v19, v11 /*v267*/, v19, v8 neg_lo:[1,1,0]
	s_set_vgpr_msb 0x44                     ;  msbs: dst=1 src0=0 src1=1 src2=0
	v_dot4_i32_iu8 v11 /*v267*/, v31, v6 /*v262*/, v9 neg_lo:[1,1,0]
	s_set_vgpr_msb 0                        ;  msbs: dst=0 src0=0 src1=0 src2=0
	v_dot4_i32_iu8 v8, v125, v27, v12 neg_lo:[1,1,0]
	s_set_vgpr_msb 16                       ;  msbs: dst=0 src0=0 src1=0 src2=1
	v_dot4_i32_iu8 v9, v127, v11, v20 /*v276*/ neg_lo:[1,1,0]
	v_dot4_i32_iu8 v12, v7, v125, v19 /*v275*/ neg_lo:[1,1,0]
	s_delay_alu instid0(VALU_DEP_3) | instskip(NEXT) | instid1(VALU_DEP_3)
	v_mul_lo_u32 v8, v8, v238
	v_mul_lo_u32 v9, v9, v239
	s_set_vgpr_msb 0                        ;  msbs: dst=0 src0=0 src1=0 src2=0
	s_delay_alu instid0(VALU_DEP_2) | instskip(NEXT) | instid1(VALU_DEP_2)
	v_mad_u32 v8, v13, v239, v8
	v_mad_u32 v9, v12, v238, v9
	v_mul_lo_u32 v12, v15, v237
	v_mul_lo_u32 v13, v19, v236
	v_perm_b32 v19, v22, v149, 0x7060403
	v_cvt_f32_i32_e32 v8, v8
	v_cvt_f32_i32_e32 v9, v9
	s_set_vgpr_msb 1                        ;  msbs: dst=0 src0=1 src1=0 src2=0
	v_mad_u32 v15, v13 /*v269*/, v236, v12
	v_mad_u32 v12, v11 /*v267*/, v237, v13
	s_set_vgpr_msb 0x51                     ;  msbs: dst=1 src0=1 src1=0 src2=1
	v_dot4_i32_iu8 v11 /*v267*/, v35 /*v291*/, v231, v21 /*v277*/ neg_lo:[1,1,0]
	s_set_vgpr_msb 0                        ;  msbs: dst=0 src0=0 src1=0 src2=0
	v_pk_fma_f32 v[8:9], v[16:17], v[8:9], 0 op_sel_hi:[1,1,0]
	s_delay_alu instid0(VALU_DEP_4) | instskip(NEXT) | instid1(VALU_DEP_4)
	v_cvt_f32_i32_e32 v13, v15
	v_cvt_f32_i32_e32 v12, v12
	v_perm_b32 v15, v26, v147, 0x7060403
	s_delay_alu instid0(VALU_DEP_2)
	v_pk_fma_f32 v[8:9], v[4:5], v[12:13], v[8:9]
	s_set_vgpr_msb 1                        ;  msbs: dst=0 src0=1 src1=0 src2=0
	v_perm_b32 v12, v9 /*v265*/, v161, 0x6040503
	s_set_vgpr_msb 0                        ;  msbs: dst=0 src0=0 src1=0 src2=0
	v_perm_b32 v13, v29, v154, 0x6040503
	v_pk_fma_f32 v[52:53], v[118:119], v[8:9], v[52:53]
	s_set_vgpr_msb 1                        ;  msbs: dst=0 src0=1 src1=0 src2=0
	v_perm_b32 v8, v8 /*v264*/, v159, 0x6040501
	s_set_vgpr_msb 4                        ;  msbs: dst=0 src0=0 src1=1 src2=0
	v_perm_b32 v9, v161, v10 /*v266*/, 0x6040501
	s_set_vgpr_msb 0                        ;  msbs: dst=0 src0=0 src1=0 src2=0
	s_delay_alu instid0(VALU_DEP_1) | instskip(SKIP_3) | instid1(VALU_DEP_1)
	v_dot4_i32_iu8 v8, v9, v8, 0 neg_lo:[1,1,0]
	s_set_vgpr_msb 4                        ;  msbs: dst=0 src0=0 src1=1 src2=0
	v_perm_b32 v9, v158, v8 /*v264*/, 0x6040503
	s_set_vgpr_msb 0                        ;  msbs: dst=0 src0=0 src1=0 src2=0
	v_dot4_i32_iu8 v8, v12, v9, v8 neg_lo:[1,1,0]
	v_perm_b32 v9, v28, v167, 0x6040501
	v_perm_b32 v12, v154, v30, 0x6040501
	s_set_vgpr_msb 4                        ;  msbs: dst=0 src0=0 src1=1 src2=0
	s_delay_alu instid0(VALU_DEP_3) | instskip(SKIP_1) | instid1(VALU_DEP_2)
	v_dot4_i32_iu8 v8, v177, v31 /*v287*/, v8 neg_lo:[1,1,0]
	s_set_vgpr_msb 0                        ;  msbs: dst=0 src0=0 src1=0 src2=0
	v_dot4_i32_iu8 v9, v12, v9, 0 neg_lo:[1,1,0]
	v_perm_b32 v12, v166, v28, 0x6040503
	s_delay_alu instid0(VALU_DEP_1) | instskip(SKIP_3) | instid1(VALU_DEP_3)
	v_dot4_i32_iu8 v9, v13, v12, v9 neg_lo:[1,1,0]
	v_perm_b32 v12, v24, v142, 0x6050401
	v_perm_b32 v13, v146, v26, 0x6050401
	s_set_vgpr_msb 4                        ;  msbs: dst=0 src0=0 src1=1 src2=0
	v_dot4_i32_iu8 v9, v246, v32 /*v288*/, v9 neg_lo:[1,1,0]
	s_set_vgpr_msb 0                        ;  msbs: dst=0 src0=0 src1=0 src2=0
	s_delay_alu instid0(VALU_DEP_2)
	v_dot4_i32_iu8 v12, v13, v12, 0 neg_lo:[1,1,0]
	v_perm_b32 v13, v142, v25, 0x7060403
	s_set_vgpr_msb 64                       ;  msbs: dst=1 src0=0 src1=0 src2=0
	v_dot4_i32_iu8 v13 /*v269*/, v31, v230, v9 neg_lo:[1,1,0]
	s_set_vgpr_msb 16                       ;  msbs: dst=0 src0=0 src1=0 src2=1
	v_dot4_i32_iu8 v9, v145, v11, v24 /*v280*/ neg_lo:[1,1,0]
	s_set_vgpr_msb 0                        ;  msbs: dst=0 src0=0 src1=0 src2=0
	v_dot4_i32_iu8 v12, v233, v18, v12 neg_lo:[1,1,0]
	s_delay_alu instid0(VALU_DEP_2) | instskip(NEXT) | instid1(VALU_DEP_2)
	v_mul_lo_u32 v9, v9, v228
	v_dot4_i32_iu8 v12, v15, v13, v12 neg_lo:[1,1,0]
	v_perm_b32 v13, v20, v144, 0x6050401
	v_perm_b32 v15, v148, v22, 0x6050401
	s_delay_alu instid0(VALU_DEP_1) | instskip(SKIP_2) | instid1(VALU_DEP_2)
	v_dot4_i32_iu8 v13, v15, v13, 0 neg_lo:[1,1,0]
	v_perm_b32 v15, v144, v21, 0x7060403
	s_set_vgpr_msb 5                        ;  msbs: dst=0 src0=1 src1=1 src2=0
	v_dot4_i32_iu8 v13, v3 /*v259*/, v33 /*v289*/, v13 neg_lo:[1,1,0]
	s_set_vgpr_msb 0                        ;  msbs: dst=0 src0=0 src1=0 src2=0
	s_delay_alu instid0(VALU_DEP_1)
	v_dot4_i32_iu8 v13, v19, v15, v13 neg_lo:[1,1,0]
	s_set_vgpr_msb 4                        ;  msbs: dst=0 src0=0 src1=1 src2=0
	v_dot4_i32_iu8 v15, v231, v12 /*v268*/, v8 neg_lo:[1,1,0]
	s_set_vgpr_msb 0                        ;  msbs: dst=0 src0=0 src1=0 src2=0
	v_dot4_i32_iu8 v8, v143, v27, v12 neg_lo:[1,1,0]
	s_set_vgpr_msb 20                       ;  msbs: dst=0 src0=0 src1=1 src2=1
	v_dot4_i32_iu8 v19, v230, v34 /*v290*/, v22 /*v278*/ neg_lo:[1,1,0]
	s_set_vgpr_msb 16                       ;  msbs: dst=0 src0=0 src1=0 src2=1
	v_dot4_i32_iu8 v12, v7, v143, v23 /*v279*/ neg_lo:[1,1,0]
	s_set_vgpr_msb 0                        ;  msbs: dst=0 src0=0 src1=0 src2=0
	v_dot4_i32_iu8 v13, v23, v145, v13 neg_lo:[1,1,0]
	v_mul_lo_u32 v8, v8, v229
	s_delay_alu instid0(VALU_DEP_3) | instskip(SKIP_1) | instid1(VALU_DEP_3)
	v_mad_u32 v9, v12, v229, v9
	v_mul_lo_u32 v12, v19, v227
	v_mad_u32 v8, v13, v228, v8
	v_mul_lo_u32 v13, v15, v179
	s_delay_alu instid0(VALU_DEP_4) | instskip(SKIP_1) | instid1(VALU_DEP_4)
	v_cvt_f32_i32_e32 v9, v9
	s_set_vgpr_msb 1                        ;  msbs: dst=0 src0=1 src1=0 src2=0
	v_mad_u32 v12, v11 /*v267*/, v179, v12
	s_set_vgpr_msb 0                        ;  msbs: dst=0 src0=0 src1=0 src2=0
	s_delay_alu instid0(VALU_DEP_4) | instskip(SKIP_1) | instid1(VALU_DEP_4)
	v_cvt_f32_i32_e32 v8, v8
	s_set_vgpr_msb 1                        ;  msbs: dst=0 src0=1 src1=0 src2=0
	v_mad_u32 v15, v13 /*v269*/, v227, v13
	s_set_vgpr_msb 0                        ;  msbs: dst=0 src0=0 src1=0 src2=0
	s_delay_alu instid0(VALU_DEP_3) | instskip(SKIP_1) | instid1(VALU_DEP_3)
	v_cvt_f32_i32_e32 v13, v12
	v_pk_fma_f32 v[8:9], v[16:17], v[8:9], 0 op_sel_hi:[1,1,0]
	v_cvt_f32_i32_e32 v12, v15
	v_perm_b32 v15, v26, v153, 0x7060403
	s_delay_alu instid0(VALU_DEP_2)
	v_pk_fma_f32 v[8:9], v[4:5], v[12:13], v[8:9]
	s_set_vgpr_msb 1                        ;  msbs: dst=0 src0=1 src1=0 src2=0
	v_perm_b32 v12, v9 /*v265*/, v165, 0x6040503
	s_set_vgpr_msb 0                        ;  msbs: dst=0 src0=0 src1=0 src2=0
	v_perm_b32 v13, v29, v156, 0x6040503
	v_pk_fma_f32 v[48:49], v[120:121], v[8:9], v[48:49]
	s_set_vgpr_msb 1                        ;  msbs: dst=0 src0=1 src1=0 src2=0
	v_perm_b32 v8, v8 /*v264*/, v163, 0x6040501
	s_set_vgpr_msb 4                        ;  msbs: dst=0 src0=0 src1=1 src2=0
	v_perm_b32 v9, v165, v10 /*v266*/, 0x6040501
	s_set_vgpr_msb 0                        ;  msbs: dst=0 src0=0 src1=0 src2=0
	s_delay_alu instid0(VALU_DEP_1) | instskip(SKIP_3) | instid1(VALU_DEP_1)
	v_dot4_i32_iu8 v8, v9, v8, 0 neg_lo:[1,1,0]
	s_set_vgpr_msb 4                        ;  msbs: dst=0 src0=0 src1=1 src2=0
	v_perm_b32 v9, v162, v8 /*v264*/, 0x6040503
	s_set_vgpr_msb 0                        ;  msbs: dst=0 src0=0 src1=0 src2=0
	v_dot4_i32_iu8 v8, v12, v9, v8 neg_lo:[1,1,0]
	v_perm_b32 v9, v28, v169, 0x6040501
	v_perm_b32 v12, v156, v30, 0x6040501
	s_set_vgpr_msb 4                        ;  msbs: dst=0 src0=0 src1=1 src2=0
	s_delay_alu instid0(VALU_DEP_3) | instskip(SKIP_1) | instid1(VALU_DEP_2)
	v_dot4_i32_iu8 v8, v178, v31 /*v287*/, v8 neg_lo:[1,1,0]
	s_set_vgpr_msb 0                        ;  msbs: dst=0 src0=0 src1=0 src2=0
	v_dot4_i32_iu8 v9, v12, v9, 0 neg_lo:[1,1,0]
	v_perm_b32 v12, v168, v28, 0x6040503
	s_set_vgpr_msb 4                        ;  msbs: dst=0 src0=0 src1=1 src2=0
	v_dot4_i32_iu8 v8, v157, v12 /*v268*/, v8 neg_lo:[1,1,0]
	s_set_vgpr_msb 0                        ;  msbs: dst=0 src0=0 src1=0 src2=0
	s_delay_alu instid0(VALU_DEP_2)
	v_dot4_i32_iu8 v9, v13, v12, v9 neg_lo:[1,1,0]
	v_perm_b32 v12, v24, v132, 0x6050401
	v_perm_b32 v13, v152, v26, 0x6050401
	v_mul_lo_u32 v8, v8, v32
	s_set_vgpr_msb 4                        ;  msbs: dst=0 src0=0 src1=1 src2=0
	v_dot4_i32_iu8 v9, v232, v32 /*v288*/, v9 neg_lo:[1,1,0]
	s_set_vgpr_msb 0                        ;  msbs: dst=0 src0=0 src1=0 src2=0
	v_dot4_i32_iu8 v12, v13, v12, 0 neg_lo:[1,1,0]
	v_perm_b32 v13, v132, v25, 0x7060403
	s_delay_alu instid0(VALU_DEP_3) | instskip(NEXT) | instid1(VALU_DEP_3)
	v_dot4_i32_iu8 v9, v31, v164, v9 neg_lo:[1,1,0]
	v_dot4_i32_iu8 v12, v171, v18, v12 neg_lo:[1,1,0]
	v_perm_b32 v18, v22, v151, 0x7060403
	s_delay_alu instid0(VALU_DEP_3) | instskip(NEXT) | instid1(VALU_DEP_3)
	v_mad_u32 v8, v9, v35, v8
	v_dot4_i32_iu8 v12, v15, v13, v12 neg_lo:[1,1,0]
	v_perm_b32 v13, v20, v0, 0x6050401
	v_perm_b32 v15, v150, v22, 0x6050401
	s_delay_alu instid0(VALU_DEP_3) | instskip(NEXT) | instid1(VALU_DEP_2)
	v_dot4_i32_iu8 v12, v133, v27, v12 neg_lo:[1,1,0]
	v_dot4_i32_iu8 v13, v15, v13, 0 neg_lo:[1,1,0]
	v_perm_b32 v15, v0, v21, 0x7060403
	v_cvt_f32_i32_e32 v8, v8
	s_delay_alu instid0(VALU_DEP_4) | instskip(SKIP_3) | instid1(VALU_DEP_1)
	v_mul_lo_u32 v11, v12, v160
	s_set_vgpr_msb 5                        ;  msbs: dst=0 src0=1 src1=1 src2=0
	v_dot4_i32_iu8 v13, v0 /*v256*/, v33 /*v289*/, v13 neg_lo:[1,1,0]
	s_set_vgpr_msb 0                        ;  msbs: dst=0 src0=0 src1=0 src2=0
	v_dot4_i32_iu8 v13, v18, v15, v13 neg_lo:[1,1,0]
	s_set_vgpr_msb 17                       ;  msbs: dst=0 src0=1 src1=0 src2=1
	v_dot4_i32_iu8 v15, v35 /*v291*/, v157, v25 /*v281*/ neg_lo:[1,1,0]
	s_set_vgpr_msb 0                        ;  msbs: dst=0 src0=0 src1=0 src2=0
	s_delay_alu instid0(VALU_DEP_2) | instskip(NEXT) | instid1(VALU_DEP_2)
	v_dot4_i32_iu8 v7, v23, v1, v13 neg_lo:[1,1,0]
	v_mad_u32 v9, v15, v32, v10
	s_delay_alu instid0(VALU_DEP_2) | instskip(SKIP_1) | instid1(VALU_DEP_3)
	v_mad_u32 v11, v7, v155, v11
	v_cvt_f32_i32_e32 v7, v6
	v_cvt_f32_i32_e32 v9, v9
	s_delay_alu instid0(VALU_DEP_3) | instskip(NEXT) | instid1(VALU_DEP_1)
	v_cvt_f32_i32_e32 v6, v11
	v_pk_fma_f32 v[6:7], v[16:17], v[6:7], 0 op_sel_hi:[1,1,0]
	s_delay_alu instid0(VALU_DEP_1) | instskip(NEXT) | instid1(VALU_DEP_1)
	v_pk_fma_f32 v[4:5], v[4:5], v[8:9], v[6:7]
	v_pk_fma_f32 v[44:45], v[122:123], v[4:5], v[44:45]
	v_or_b32_e32 v4, s10, v212
	s_delay_alu instid0(VALU_DEP_1)
	v_lshlrev_b32_e32 v5, 2, v4
	ds_load_b128 v[10:13], v5 offset:33280
	ds_load_b128 v[6:9], v5 offset:33296
	;; [unrolled: 1-line block ×4, first 2 shown]
	s_set_vgpr_msb 64                       ;  msbs: dst=1 src0=0 src1=0 src2=0
	v_lshrrev_b32_e32 v16 /*v272*/, 1, v4
	s_wait_dscnt 0x3
	s_set_vgpr_msb 0                        ;  msbs: dst=0 src0=0 src1=0 src2=0
	v_perm_b32 v30, v12, v139, 0x7060403
	s_wait_dscnt 0x2
	v_perm_b32 v29, v7, v140, 0x6040503
	s_wait_dscnt 0x1
	v_bfe_i32 v4, v16, 8, 8
	s_wait_dscnt 0x0
	v_perm_b32 v24, v20, v22, 0x6040501
	v_perm_b32 v25, v21, v20, 0x6040503
	v_bfe_i32 v5, v14, 8, 8
	v_perm_b32 v26, v22, v21, 0x7060403
	v_mul_i32_i24_e32 v4, v4, v175
	s_set_vgpr_msb 4                        ;  msbs: dst=0 src0=0 src1=1 src2=0
	v_dot4_i32_iu8 v24, v24, v1 /*v257*/, 0 neg_lo:[1,1,0]
	s_set_vgpr_msb 0                        ;  msbs: dst=0 src0=0 src1=0 src2=0
	v_perm_b32 v27, v170, v16, 0x6040501
	v_bfe_i32 v18, v16, 16, 8
	v_ashrrev_i32_e32 v19, 24, v16
	v_mad_i32_i24 v4, v5, v176, v4
	s_set_vgpr_msb 4                        ;  msbs: dst=0 src0=0 src1=1 src2=0
	v_dot4_i32_iu8 v24, v25, v2 /*v258*/, v24 neg_lo:[1,1,0]
	s_set_vgpr_msb 0                        ;  msbs: dst=0 src0=0 src1=0 src2=0
	v_perm_b32 v5, v15, v14, 0x5030200
	v_perm_b32 v28, v15, v170, 0x6040503
	v_mul_i32_i24_e32 v18, v253, v18
	v_mul_i32_i24_e32 v19, v252, v19
	s_set_vgpr_msb 64                       ;  msbs: dst=1 src0=0 src1=0 src2=0
	v_dot4_i32_iu8 v17 /*v273*/, v26, v255, v24 neg_lo:[1,1,0]
	s_set_vgpr_msb 0                        ;  msbs: dst=0 src0=0 src1=0 src2=0
	v_perm_b32 v24, v14, v173, 0x6040501
	v_dot4_i32_iu8 v4, v251, v5, v4 neg_lo:[1,1,0]
	v_perm_b32 v5, v16, v15, 0x4030200
	v_perm_b32 v23, v23, v23, 0x7060001
	;; [unrolled: 1-line block ×3, first 2 shown]
	v_dot4_i32_iu8 v24, v27, v24, 0 neg_lo:[1,1,0]
	v_perm_b32 v27, v172, v14, 0x6040503
	v_dot4_i32_iu8 v4, v254, v5, v4 neg_lo:[1,1,0]
	v_perm_b32 v5, v130, v8, 0x6050401
	v_perm_b32 v3, v3, v17, 0x5040001
	s_delay_alu instid0(VALU_DEP_4)
	v_dot4_i32_iu8 v24, v28, v27, v24 neg_lo:[1,1,0]
	v_perm_b32 v27, v16, v15, 0x7060403
	v_perm_b32 v28, v140, v8, 0x6050401
	s_set_vgpr_msb 64                       ;  msbs: dst=1 src0=0 src1=0 src2=0
	v_add3_u32 v14 /*v270*/, v4, v18, v19
	s_set_vgpr_msb 0                        ;  msbs: dst=0 src0=0 src1=0 src2=0
	v_perm_b32 v4, v6, v124, 0x6050401
	v_perm_b32 v18, v124, v7, 0x7060403
	s_set_vgpr_msb 0x41                     ;  msbs: dst=1 src0=1 src1=0 src2=0
	v_dot4_i32_iu8 v19 /*v275*/, v4 /*v260*/, v27, v24 neg_lo:[1,1,0]
	s_set_vgpr_msb 0                        ;  msbs: dst=0 src0=0 src1=0 src2=0
	v_perm_b32 v24, v6, v134, 0x6050401
	v_perm_b32 v19, v8, v131, 0x7060403
	v_dot4_i32_iu8 v4, v5, v4, 0 neg_lo:[1,1,0]
	v_perm_b32 v5, v7, v6, 0x6040503
	s_delay_alu instid0(VALU_DEP_4) | instskip(SKIP_1) | instid1(VALU_DEP_3)
	v_dot4_i32_iu8 v24, v28, v24, 0 neg_lo:[1,1,0]
	v_perm_b32 v28, v141, v6, 0x6040503
	v_dot4_i32_iu8 v4, v234, v5, v4 neg_lo:[1,1,0]
	s_delay_alu instid0(VALU_DEP_2) | instskip(SKIP_2) | instid1(VALU_DEP_3)
	v_dot4_i32_iu8 v24, v29, v28, v24 neg_lo:[1,1,0]
	v_perm_b32 v28, v8, v7, 0x7060403
	s_set_vgpr_msb 64                       ;  msbs: dst=1 src0=0 src1=0 src2=0
	v_dot4_i32_iu8 v13 /*v269*/, v19, v18, v4 neg_lo:[1,1,0]
	s_set_vgpr_msb 0                        ;  msbs: dst=0 src0=0 src1=0 src2=0
	v_perm_b32 v4, v10, v126, 0x6050401
	v_perm_b32 v18, v128, v12, 0x6050401
	v_perm_b32 v19, v12, v129, 0x7060403
	s_set_vgpr_msb 64                       ;  msbs: dst=1 src0=0 src1=0 src2=0
	v_dot4_i32_iu8 v18 /*v274*/, v28, v247, v24 neg_lo:[1,1,0]
	s_set_vgpr_msb 0                        ;  msbs: dst=0 src0=0 src1=0 src2=0
	v_perm_b32 v24, v10, v136, 0x6050401
	v_perm_b32 v28, v138, v12, 0x6050401
	v_dot4_i32_iu8 v4, v18, v4, 0 neg_lo:[1,1,0]
	v_perm_b32 v18, v126, v11, 0x7060403
	v_perm_b32 v29, v136, v11, 0x7060403
	s_delay_alu instid0(VALU_DEP_4) | instskip(SKIP_1) | instid1(VALU_DEP_1)
	v_dot4_i32_iu8 v24, v28, v24, 0 neg_lo:[1,1,0]
	v_perm_b32 v28, v11, v10, 0x6040503
	v_dot4_i32_iu8 v4, v235, v28, v4 neg_lo:[1,1,0]
	s_set_vgpr_msb 1                        ;  msbs: dst=0 src0=1 src1=0 src2=0
	s_delay_alu instid0(VALU_DEP_3) | instskip(SKIP_1) | instid1(VALU_DEP_2)
	v_dot4_i32_iu8 v24, v5 /*v261*/, v28, v24 neg_lo:[1,1,0]
	s_set_vgpr_msb 64                       ;  msbs: dst=1 src0=0 src1=0 src2=0
	v_dot4_i32_iu8 v15 /*v271*/, v19, v18, v4 neg_lo:[1,1,0]
	s_set_vgpr_msb 0                        ;  msbs: dst=0 src0=0 src1=0 src2=0
	v_perm_b32 v4, v20, v159, 0x6040501
	v_perm_b32 v18, v161, v22, 0x6040501
	;; [unrolled: 1-line block ×3, first 2 shown]
	s_set_vgpr_msb 64                       ;  msbs: dst=1 src0=0 src1=0 src2=0
	v_dot4_i32_iu8 v20 /*v276*/, v30, v29, v24 neg_lo:[1,1,0]
	s_set_vgpr_msb 0                        ;  msbs: dst=0 src0=0 src1=0 src2=0
	v_perm_b32 v29, v22, v22, 0xc0c0c01
	v_perm_b32 v24, v20, v33, 0x6040503
	v_dot4_i32_iu8 v4, v18, v4, 0 neg_lo:[1,1,0]
	v_perm_b32 v18, v158, v20, 0x6040503
	s_delay_alu instid0(VALU_DEP_1)
	v_dot4_i32_iu8 v4, v19, v18, v4 neg_lo:[1,1,0]
	v_perm_b32 v18, v154, v16, 0x6040501
	v_perm_b32 v19, v15, v154, 0x6040503
	;; [unrolled: 1-line block ×4, first 2 shown]
	s_set_vgpr_msb 64                       ;  msbs: dst=1 src0=0 src1=0 src2=0
	v_dot4_i32_iu8 v8 /*v264*/, v177, v26, v4 neg_lo:[1,1,0]
	s_set_vgpr_msb 0                        ;  msbs: dst=0 src0=0 src1=0 src2=0
	v_perm_b32 v4, v14, v167, 0x6040501
	s_delay_alu instid0(VALU_DEP_1) | instskip(SKIP_1) | instid1(VALU_DEP_1)
	v_dot4_i32_iu8 v4, v18, v4, 0 neg_lo:[1,1,0]
	v_perm_b32 v18, v166, v14, 0x6040503
	v_dot4_i32_iu8 v4, v19, v18, v4 neg_lo:[1,1,0]
	v_perm_b32 v18, v146, v8, 0x6050401
	v_perm_b32 v19, v8, v147, 0x7060403
	s_set_vgpr_msb 64                       ;  msbs: dst=1 src0=0 src1=0 src2=0
	s_delay_alu instid0(VALU_DEP_3) | instskip(SKIP_2) | instid1(VALU_DEP_1)
	v_dot4_i32_iu8 v9 /*v265*/, v246, v27, v4 neg_lo:[1,1,0]
	s_set_vgpr_msb 0                        ;  msbs: dst=0 src0=0 src1=0 src2=0
	v_perm_b32 v4, v6, v142, 0x6050401
	v_dot4_i32_iu8 v4, v18, v4, 0 neg_lo:[1,1,0]
	v_perm_b32 v18, v142, v7, 0x7060403
	s_delay_alu instid0(VALU_DEP_2) | instskip(SKIP_1) | instid1(VALU_DEP_1)
	v_dot4_i32_iu8 v4, v233, v5, v4 neg_lo:[1,1,0]
	s_set_vgpr_msb 64                       ;  msbs: dst=1 src0=0 src1=0 src2=0
	v_dot4_i32_iu8 v10 /*v266*/, v19, v18, v4 neg_lo:[1,1,0]
	s_set_vgpr_msb 0                        ;  msbs: dst=0 src0=0 src1=0 src2=0
	v_perm_b32 v4, v10, v144, 0x6050401
	v_perm_b32 v18, v148, v12, 0x6050401
	v_perm_b32 v19, v12, v149, 0x7060403
	s_delay_alu instid0(VALU_DEP_2) | instskip(SKIP_2) | instid1(VALU_DEP_2)
	v_dot4_i32_iu8 v4, v18, v4, 0 neg_lo:[1,1,0]
	v_perm_b32 v18, v144, v11, 0x7060403
	s_set_vgpr_msb 1                        ;  msbs: dst=0 src0=1 src1=0 src2=0
	v_dot4_i32_iu8 v4, v3 /*v259*/, v28, v4 neg_lo:[1,1,0]
	s_set_vgpr_msb 64                       ;  msbs: dst=1 src0=0 src1=0 src2=0
	s_delay_alu instid0(VALU_DEP_1) | instskip(SKIP_4) | instid1(VALU_DEP_2)
	v_dot4_i32_iu8 v11 /*v267*/, v19, v18, v4 neg_lo:[1,1,0]
	s_set_vgpr_msb 0                        ;  msbs: dst=0 src0=0 src1=0 src2=0
	v_perm_b32 v4, v20, v163, 0x6040501
	v_perm_b32 v18, v165, v22, 0x6040501
	;; [unrolled: 1-line block ×3, first 2 shown]
	v_dot4_i32_iu8 v4, v18, v4, 0 neg_lo:[1,1,0]
	v_perm_b32 v18, v162, v20, 0x6040503
	s_delay_alu instid0(VALU_DEP_1) | instskip(NEXT) | instid1(VALU_DEP_1)
	v_dot4_i32_iu8 v4, v19, v18, v4 neg_lo:[1,1,0]
	v_dot4_i32_iu8 v22, v178, v26, v4 neg_lo:[1,1,0]
	v_perm_b32 v4, v14, v169, 0x6040501
	v_perm_b32 v14, v168, v14, 0x6040503
	s_delay_alu instid0(VALU_DEP_2) | instskip(NEXT) | instid1(VALU_DEP_1)
	v_dot4_i32_iu8 v4, v16, v4, 0 neg_lo:[1,1,0]
	v_dot4_i32_iu8 v4, v15, v14, v4 neg_lo:[1,1,0]
	s_delay_alu instid0(VALU_DEP_1) | instskip(SKIP_2) | instid1(VALU_DEP_1)
	v_dot4_i32_iu8 v16, v232, v27, v4 neg_lo:[1,1,0]
	v_perm_b32 v4, v6, v132, 0x6050401
	v_perm_b32 v6, v152, v8, 0x6050401
	v_dot4_i32_iu8 v4, v6, v4, 0 neg_lo:[1,1,0]
	v_perm_b32 v6, v8, v153, 0x7060403
	s_delay_alu instid0(VALU_DEP_2) | instskip(SKIP_1) | instid1(VALU_DEP_1)
	v_dot4_i32_iu8 v4, v171, v5, v4 neg_lo:[1,1,0]
	v_perm_b32 v5, v132, v7, 0x7060403
	v_dot4_i32_iu8 v8, v6, v5, v4 neg_lo:[1,1,0]
	v_perm_b32 v4, v10, v0, 0x6050401
	v_perm_b32 v5, v150, v12, 0x6050401
	;; [unrolled: 1-line block ×3, first 2 shown]
	s_delay_alu instid0(VALU_DEP_4) | instskip(NEXT) | instid1(VALU_DEP_3)
	v_dot4_i32_iu8 v8, v9, v133, v8 neg_lo:[1,1,0]
	v_dot4_i32_iu8 v4, v5, v4, 0 neg_lo:[1,1,0]
	v_perm_b32 v5, v0, v11, 0x7060403
	s_set_vgpr_msb 1                        ;  msbs: dst=0 src0=1 src1=0 src2=0
	s_delay_alu instid0(VALU_DEP_2) | instskip(SKIP_1) | instid1(VALU_DEP_1)
	v_dot4_i32_iu8 v4, v0 /*v256*/, v28, v4 neg_lo:[1,1,0]
	s_set_vgpr_msb 0                        ;  msbs: dst=0 src0=0 src1=0 src2=0
	v_dot4_i32_iu8 v12, v6, v5, v4 neg_lo:[1,1,0]
	v_or_b32_e32 v4, s10, v213
	v_or_b32_e32 v29, v248, v29
	s_add_co_i32 s10, s7, 8
	s_cmp_lt_u32 s7, 24
	s_mov_b32 s7, s10
	v_lshlrev_b32_e32 v10, 2, v4
	v_dot4_i32_iu8 v24, v29, v24, 0 neg_lo:[1,1,0]
	v_lshrrev_b32_e32 v14, 1, v4
	s_delay_alu instid0(VALU_DEP_2) | instskip(SKIP_1) | instid1(VALU_DEP_1)
	v_dot4_i32_iu8 v24, v25, v249, v24 neg_lo:[1,1,0]
	s_set_vgpr_msb 64                       ;  msbs: dst=1 src0=0 src1=0 src2=0
	v_dot4_i32_iu8 v12 /*v268*/, v250, v26, v24 neg_lo:[1,1,0]
	s_set_vgpr_msb 0                        ;  msbs: dst=0 src0=0 src1=0 src2=0
	ds_load_b128 v[4:7], v10 offset:33280
	ds_load_b128 v[18:21], v10 offset:33296
	;; [unrolled: 1-line block ×4, first 2 shown]
	s_wait_dscnt 0x3
	v_perm_b32 v128, v128, v6, 0x6050401
	s_wait_dscnt 0x2
	v_perm_b32 v130, v130, v20, 0x6050401
	s_wait_dscnt 0x1
	v_perm_b32 v11, v170, v26, 0x6040501
	s_wait_dscnt 0x0
	v_perm_b32 v10, v28, v30, 0x6040501
	s_set_vgpr_msb 64                       ;  msbs: dst=1 src0=0 src1=0 src2=0
	v_perm_b32 v25 /*v281*/, v29, v28, 0x6040503
	s_set_vgpr_msb 0                        ;  msbs: dst=0 src0=0 src1=0 src2=0
	v_perm_b32 v170, v25, v170, 0x6040503
	v_perm_b32 v27, v27, v27, 0x7060001
	s_set_vgpr_msb 64                       ;  msbs: dst=1 src0=0 src1=0 src2=0
	v_bfe_i32 v22 /*v278*/, v26, 8, 8
	s_set_vgpr_msb 4                        ;  msbs: dst=0 src0=0 src1=1 src2=0
	v_dot4_i32_iu8 v10, v10, v1 /*v257*/, 0 neg_lo:[1,1,0]
	s_set_vgpr_msb 64                       ;  msbs: dst=1 src0=0 src1=0 src2=0
	v_perm_b32 v1 /*v257*/, v30, v29, 0x7060403
	s_set_vgpr_msb 0                        ;  msbs: dst=0 src0=0 src1=0 src2=0
	v_perm_b32 v33, v28, v33, 0x6040503
	s_set_vgpr_msb 64                       ;  msbs: dst=1 src0=0 src1=0 src2=0
	v_bfe_i32 v21 /*v277*/, v24, 8, 8
	v_bfe_i32 v23 /*v279*/, v26, 16, 8
	s_set_vgpr_msb 5                        ;  msbs: dst=0 src0=1 src1=1 src2=0
	v_dot4_i32_iu8 v10, v25 /*v281*/, v2 /*v258*/, v10 neg_lo:[1,1,0]
	s_set_vgpr_msb 64                       ;  msbs: dst=1 src0=0 src1=0 src2=0
	v_ashrrev_i32_e32 v24 /*v280*/, 24, v26
	s_set_vgpr_msb 0                        ;  msbs: dst=0 src0=0 src1=0 src2=0
	v_perm_b32 v131, v20, v131, 0x7060403
	v_perm_b32 v129, v6, v129, 0x7060403
	s_set_vgpr_msb 1                        ;  msbs: dst=0 src0=1 src1=0 src2=0
	v_dot4_i32_iu8 v15, v1 /*v257*/, v255, v10 neg_lo:[1,1,0]
	s_set_vgpr_msb 0                        ;  msbs: dst=0 src0=0 src1=0 src2=0
	v_perm_b32 v10, v24, v173, 0x6040501
	s_delay_alu instid0(VALU_DEP_1) | instskip(SKIP_1) | instid1(VALU_DEP_1)
	v_dot4_i32_iu8 v10, v11, v10, 0 neg_lo:[1,1,0]
	v_perm_b32 v11, v172, v24, 0x6040503
	v_dot4_i32_iu8 v10, v170, v11, v10 neg_lo:[1,1,0]
	v_perm_b32 v170, v26, v25, 0x7060403
	v_perm_b32 v11, v140, v20, 0x6050401
	s_set_vgpr_msb 1                        ;  msbs: dst=0 src0=1 src1=0 src2=0
	s_delay_alu instid0(VALU_DEP_2)
	v_dot4_i32_iu8 v172, v4 /*v260*/, v170, v10 neg_lo:[1,1,0]
	s_set_vgpr_msb 0                        ;  msbs: dst=0 src0=0 src1=0 src2=0
	v_perm_b32 v10, v18, v134, 0x6050401
	v_perm_b32 v134, v19, v140, 0x6040503
	;; [unrolled: 1-line block ×3, first 2 shown]
	v_dot4_i32_iu8 v172, v27, v244, v172 neg_lo:[1,1,0]
	s_delay_alu instid0(VALU_DEP_4) | instskip(SKIP_2) | instid1(VALU_DEP_2)
	v_dot4_i32_iu8 v10, v11, v10, 0 neg_lo:[1,1,0]
	v_perm_b32 v11, v141, v18, 0x6040503
	v_perm_b32 v141, v31, v31, 0x7060001
	v_dot4_i32_iu8 v10, v134, v11, v10 neg_lo:[1,1,0]
	v_perm_b32 v11, v20, v19, 0x7060403
	s_delay_alu instid0(VALU_DEP_3)
	v_dot4_i32_iu8 v173, v245, v141, v15 neg_lo:[1,1,0]
	s_set_vgpr_msb 16                       ;  msbs: dst=0 src0=0 src1=0 src2=1
	v_dot4_i32_iu8 v15, v137, v13, v20 /*v276*/ neg_lo:[1,1,0]
	v_dot4_i32_iu8 v245, v23, v245, v17 /*v273*/ neg_lo:[1,1,0]
	s_set_vgpr_msb 0                        ;  msbs: dst=0 src0=0 src1=0 src2=0
	v_dot4_i32_iu8 v134, v11, v247, v10 neg_lo:[1,1,0]
	v_perm_b32 v10, v4, v136, 0x6050401
	v_perm_b32 v11, v138, v6, 0x6050401
	v_mul_lo_u32 v15, v15, v242
	v_perm_b32 v247, v17, v17, 0x7060001
	s_set_vgpr_msb 16                       ;  msbs: dst=0 src0=0 src1=0 src2=1
	v_dot4_i32_iu8 v17, v3, v2, v14 /*v270*/ neg_lo:[1,1,0]
	v_perm_b32 v2, v31, v34, 0x7060203
	v_dot4_i32_iu8 v10, v11, v10, 0 neg_lo:[1,1,0]
	v_perm_b32 v11, v136, v5, 0x7060403
	v_perm_b32 v136, v6, v139, 0x7060403
	v_dot4_i32_iu8 v255, v244, v247, v19 /*v275*/ neg_lo:[1,1,0]
	v_perm_b32 v3, v174, v31, 0x5040001
	s_set_vgpr_msb 1                        ;  msbs: dst=0 src0=1 src1=0 src2=0
	v_dot4_i32_iu8 v10, v5 /*v261*/, v140, v10 neg_lo:[1,1,0]
	s_set_vgpr_msb 0                        ;  msbs: dst=0 src0=0 src1=0 src2=0
	v_mul_lo_u32 v17, v17, v237
	s_set_vgpr_msb 20                       ;  msbs: dst=0 src0=0 src1=1 src2=1
	v_dot4_i32_iu8 v34, v23, v7 /*v263*/, v12 /*v268*/ neg_lo:[1,1,0]
	s_set_vgpr_msb 0                        ;  msbs: dst=0 src0=0 src1=0 src2=0
	v_dot4_i32_iu8 v136, v136, v11, v10 neg_lo:[1,1,0]
	s_set_vgpr_msb 1                        ;  msbs: dst=0 src0=1 src1=0 src2=0
	ds_load_b64 v[10:11], v16 /*v272*/ offset:43584
	s_set_vgpr_msb 0                        ;  msbs: dst=0 src0=0 src1=0 src2=0
	ds_load_b64 v[138:139], v14 offset:43584
	v_dot4_i32_iu8 v14, v135, v21, v134 neg_lo:[1,1,0]
	s_set_vgpr_msb 16                       ;  msbs: dst=0 src0=0 src1=0 src2=1
	v_dot4_i32_iu8 v134, v9, v135, v18 /*v274*/ neg_lo:[1,1,0]
	s_set_vgpr_msb 0                        ;  msbs: dst=0 src0=0 src1=0 src2=0
	v_dot4_i32_iu8 v135, v7, v137, v136 neg_lo:[1,1,0]
	v_mul_lo_u32 v136, v173, v241
	v_mul_lo_u32 v14, v14, v243
	v_mad_u32 v15, v134, v243, v15
	v_mad_u32 v17, v34, v236, v17
	v_perm_b32 v34, v6, v149, 0x7060403
	v_mad_u32 v136, v172, v240, v136
	v_mad_u32 v14, v135, v242, v14
	v_cvt_f32_i32_e32 v135, v15
	s_wait_dscnt 0x1
	v_mov_b32_e32 v15, v10
	v_mul_lo_u32 v10, v255, v240
	v_cvt_f32_i32_e32 v136, v136
	v_cvt_f32_i32_e32 v134, v14
	s_wait_dscnt 0x0
	v_mov_b32_e32 v14, v138
	s_delay_alu instid0(VALU_DEP_4) | instskip(NEXT) | instid1(VALU_DEP_2)
	v_mad_u32 v10, v245, v241, v10
	v_pk_fma_f32 v[134:135], v[14:15], v[134:135], 0 op_sel_hi:[1,1,0]
	s_delay_alu instid0(VALU_DEP_2) | instskip(SKIP_1) | instid1(VALU_DEP_1)
	v_cvt_f32_i32_e32 v137, v10
	v_mov_b32_e32 v10, v139
	v_pk_fma_f32 v[134:135], v[10:11], v[136:137], v[134:135]
	v_perm_b32 v137, v25, v24, 0x5030200
	s_set_vgpr_msb 4                        ;  msbs: dst=0 src0=0 src1=1 src2=0
	v_mul_i32_i24_e32 v136, v252, v24 /*v280*/
	s_set_vgpr_msb 0                        ;  msbs: dst=0 src0=0 src1=0 src2=0
	v_pk_fma_f32 v[42:43], v[116:117], v[134:135], v[42:43]
	v_perm_b32 v134, v30, v30, 0xc0c0c01
	s_set_vgpr_msb 4                        ;  msbs: dst=0 src0=0 src1=1 src2=0
	v_mul_i32_i24_e32 v135, v253, v23 /*v279*/
	s_set_vgpr_msb 0                        ;  msbs: dst=0 src0=0 src1=0 src2=0
	s_delay_alu instid0(VALU_DEP_2) | instskip(NEXT) | instid1(VALU_DEP_1)
	v_or_b32_e32 v134, v248, v134
	v_dot4_i32_iu8 v33, v134, v33, 0 neg_lo:[1,1,0]
	s_set_vgpr_msb 1                        ;  msbs: dst=0 src0=1 src1=0 src2=0
	v_mul_i32_i24_e32 v134, v22 /*v278*/, v175
	s_delay_alu instid0(VALU_DEP_2) | instskip(NEXT) | instid1(VALU_DEP_2)
	v_dot4_i32_iu8 v33, v25 /*v281*/, v249, v33 neg_lo:[1,1,0]
	v_mad_i32_i24 v134, v21 /*v277*/, v176, v134
	s_set_vgpr_msb 4                        ;  msbs: dst=0 src0=0 src1=1 src2=0
	s_delay_alu instid0(VALU_DEP_2) | instskip(SKIP_1) | instid1(VALU_DEP_2)
	v_dot4_i32_iu8 v33, v250, v1 /*v257*/, v33 neg_lo:[1,1,0]
	s_set_vgpr_msb 0                        ;  msbs: dst=0 src0=0 src1=0 src2=0
	v_dot4_i32_iu8 v134, v251, v137, v134 neg_lo:[1,1,0]
	v_perm_b32 v137, v26, v25, 0x4030200
	s_delay_alu instid0(VALU_DEP_3)
	v_dot4_i32_iu8 v31, v3, v2, v33 neg_lo:[1,1,0]
	s_set_vgpr_msb 16                       ;  msbs: dst=0 src0=0 src1=0 src2=1
	v_dot4_i32_iu8 v3, v127, v13, v15 /*v271*/ neg_lo:[1,1,0]
	s_set_vgpr_msb 0                        ;  msbs: dst=0 src0=0 src1=0 src2=0
	v_dot4_i32_iu8 v134, v254, v137, v134 neg_lo:[1,1,0]
	v_mul_lo_u32 v31, v31, v236
	s_delay_alu instid0(VALU_DEP_3) | instskip(NEXT) | instid1(VALU_DEP_3)
	v_mul_lo_u32 v3, v3, v239
	v_add3_u32 v134, v134, v135, v136
	v_perm_b32 v135, v18, v124, 0x6050401
	v_perm_b32 v124, v124, v19, 0x7060403
	s_set_vgpr_msb 4                        ;  msbs: dst=0 src0=0 src1=1 src2=0
	s_delay_alu instid0(VALU_DEP_3) | instskip(SKIP_3) | instid1(VALU_DEP_3)
	v_dot4_i32_iu8 v33, v27, v6 /*v262*/, v134 neg_lo:[1,1,0]
	s_set_vgpr_msb 0                        ;  msbs: dst=0 src0=0 src1=0 src2=0
	v_dot4_i32_iu8 v130, v130, v135, 0 neg_lo:[1,1,0]
	v_perm_b32 v135, v19, v18, 0x6040503
	v_mad_u32 v31, v33, v237, v31
	v_perm_b32 v33, v20, v147, 0x7060403
	s_delay_alu instid0(VALU_DEP_3) | instskip(NEXT) | instid1(VALU_DEP_1)
	v_dot4_i32_iu8 v130, v234, v135, v130 neg_lo:[1,1,0]
	v_dot4_i32_iu8 v124, v131, v124, v130 neg_lo:[1,1,0]
	v_perm_b32 v130, v4, v126, 0x6050401
	v_perm_b32 v126, v126, v5, 0x7060403
	s_delay_alu instid0(VALU_DEP_3) | instskip(NEXT) | instid1(VALU_DEP_3)
	v_dot4_i32_iu8 v2, v125, v21, v124 neg_lo:[1,1,0]
	v_dot4_i32_iu8 v128, v128, v130, 0 neg_lo:[1,1,0]
	s_set_vgpr_msb 16                       ;  msbs: dst=0 src0=0 src1=0 src2=1
	v_dot4_i32_iu8 v124, v9, v125, v13 /*v269*/ neg_lo:[1,1,0]
	s_delay_alu instid0(VALU_DEP_3) | instskip(SKIP_2) | instid1(VALU_DEP_3)
	v_mul_lo_u32 v2, v2, v238
	s_set_vgpr_msb 0                        ;  msbs: dst=0 src0=0 src1=0 src2=0
	v_dot4_i32_iu8 v128, v235, v140, v128 neg_lo:[1,1,0]
	v_mad_u32 v3, v124, v238, v3
	v_cvt_f32_i32_e32 v124, v31
	v_perm_b32 v31, v25, v154, 0x6040503
	s_delay_alu instid0(VALU_DEP_4) | instskip(NEXT) | instid1(VALU_DEP_1)
	v_dot4_i32_iu8 v126, v129, v126, v128 neg_lo:[1,1,0]
	v_dot4_i32_iu8 v125, v7, v127, v126 neg_lo:[1,1,0]
	v_cvt_f32_i32_e32 v3, v3
	s_delay_alu instid0(VALU_DEP_2) | instskip(SKIP_2) | instid1(VALU_DEP_3)
	v_mad_u32 v2, v125, v239, v2
	v_cvt_f32_i32_e32 v125, v17
	v_perm_b32 v17, v29, v161, 0x6040503
	v_cvt_f32_i32_e32 v2, v2
	s_delay_alu instid0(VALU_DEP_1) | instskip(NEXT) | instid1(VALU_DEP_1)
	v_pk_fma_f32 v[2:3], v[14:15], v[2:3], 0 op_sel_hi:[1,1,0]
	v_pk_fma_f32 v[2:3], v[10:11], v[124:125], v[2:3]
	s_set_vgpr_msb 16                       ;  msbs: dst=0 src0=0 src1=0 src2=1
	v_dot4_i32_iu8 v124, v23, v231, v8 /*v264*/ neg_lo:[1,1,0]
	s_set_vgpr_msb 0                        ;  msbs: dst=0 src0=0 src1=0 src2=0
	s_delay_alu instid0(VALU_DEP_2) | instskip(SKIP_2) | instid1(VALU_DEP_1)
	v_pk_fma_f32 v[40:41], v[118:119], v[2:3], v[40:41]
	v_perm_b32 v2, v28, v159, 0x6040501
	v_perm_b32 v3, v161, v30, 0x6040501
	v_dot4_i32_iu8 v2, v3, v2, 0 neg_lo:[1,1,0]
	v_perm_b32 v3, v158, v28, 0x6040503
	s_delay_alu instid0(VALU_DEP_1) | instskip(SKIP_3) | instid1(VALU_DEP_3)
	v_dot4_i32_iu8 v2, v17, v3, v2 neg_lo:[1,1,0]
	v_perm_b32 v3, v24, v167, 0x6040501
	v_perm_b32 v17, v154, v26, 0x6040501
	s_set_vgpr_msb 4                        ;  msbs: dst=0 src0=0 src1=1 src2=0
	v_dot4_i32_iu8 v2, v177, v1 /*v257*/, v2 neg_lo:[1,1,0]
	s_set_vgpr_msb 0                        ;  msbs: dst=0 src0=0 src1=0 src2=0
	s_delay_alu instid0(VALU_DEP_2) | instskip(SKIP_1) | instid1(VALU_DEP_1)
	v_dot4_i32_iu8 v3, v17, v3, 0 neg_lo:[1,1,0]
	v_perm_b32 v17, v166, v24, 0x6040503
	v_dot4_i32_iu8 v3, v31, v17, v3 neg_lo:[1,1,0]
	v_perm_b32 v17, v18, v142, 0x6050401
	v_perm_b32 v31, v146, v20, 0x6050401
	s_delay_alu instid0(VALU_DEP_3) | instskip(NEXT) | instid1(VALU_DEP_2)
	v_dot4_i32_iu8 v3, v246, v170, v3 neg_lo:[1,1,0]
	v_dot4_i32_iu8 v17, v31, v17, 0 neg_lo:[1,1,0]
	v_perm_b32 v31, v142, v19, 0x7060403
	s_delay_alu instid0(VALU_DEP_3) | instskip(SKIP_4) | instid1(VALU_DEP_2)
	v_dot4_i32_iu8 v125, v27, v230, v3 neg_lo:[1,1,0]
	s_set_vgpr_msb 16                       ;  msbs: dst=0 src0=0 src1=0 src2=1
	v_dot4_i32_iu8 v3, v145, v13, v11 /*v267*/ neg_lo:[1,1,0]
	s_set_vgpr_msb 0                        ;  msbs: dst=0 src0=0 src1=0 src2=0
	v_dot4_i32_iu8 v17, v233, v135, v17 neg_lo:[1,1,0]
	v_mul_lo_u32 v3, v3, v228
	s_delay_alu instid0(VALU_DEP_2) | instskip(SKIP_4) | instid1(VALU_DEP_3)
	v_dot4_i32_iu8 v17, v33, v31, v17 neg_lo:[1,1,0]
	v_perm_b32 v31, v4, v144, 0x6050401
	v_perm_b32 v33, v148, v6, 0x6050401
	;; [unrolled: 1-line block ×4, first 2 shown]
	v_dot4_i32_iu8 v31, v33, v31, 0 neg_lo:[1,1,0]
	v_perm_b32 v33, v144, v5, 0x7060403
	v_perm_b32 v5, v6, v151, 0x7060403
	s_set_vgpr_msb 1                        ;  msbs: dst=0 src0=1 src1=0 src2=0
	s_delay_alu instid0(VALU_DEP_3) | instskip(SKIP_1) | instid1(VALU_DEP_1)
	v_dot4_i32_iu8 v31, v3 /*v259*/, v140, v31 neg_lo:[1,1,0]
	s_set_vgpr_msb 0                        ;  msbs: dst=0 src0=0 src1=0 src2=0
	v_dot4_i32_iu8 v31, v34, v33, v31 neg_lo:[1,1,0]
	v_dot4_i32_iu8 v33, v231, v141, v2 neg_lo:[1,1,0]
	;; [unrolled: 1-line block ×3, first 2 shown]
	s_set_vgpr_msb 16                       ;  msbs: dst=0 src0=0 src1=0 src2=1
	v_dot4_i32_iu8 v34, v230, v247, v9 /*v265*/ neg_lo:[1,1,0]
	v_dot4_i32_iu8 v17, v9, v143, v10 /*v266*/ neg_lo:[1,1,0]
	s_set_vgpr_msb 0                        ;  msbs: dst=0 src0=0 src1=0 src2=0
	v_dot4_i32_iu8 v31, v7, v145, v31 neg_lo:[1,1,0]
	v_mul_lo_u32 v2, v2, v229
	s_delay_alu instid0(VALU_DEP_3) | instskip(SKIP_1) | instid1(VALU_DEP_3)
	v_mad_u32 v3, v17, v229, v3
	v_mul_lo_u32 v17, v34, v227
	v_mad_u32 v2, v31, v228, v2
	v_mul_lo_u32 v31, v33, v179
	s_delay_alu instid0(VALU_DEP_4) | instskip(NEXT) | instid1(VALU_DEP_4)
	v_cvt_f32_i32_e32 v3, v3
	v_mad_u32 v17, v124, v179, v17
	s_delay_alu instid0(VALU_DEP_4) | instskip(NEXT) | instid1(VALU_DEP_4)
	v_cvt_f32_i32_e32 v2, v2
	v_mad_u32 v31, v125, v227, v31
	s_delay_alu instid0(VALU_DEP_3) | instskip(SKIP_1) | instid1(VALU_DEP_4)
	v_cvt_f32_i32_e32 v125, v17
	v_perm_b32 v17, v29, v165, 0x6040503
	v_pk_fma_f32 v[2:3], v[14:15], v[2:3], 0 op_sel_hi:[1,1,0]
	s_delay_alu instid0(VALU_DEP_4) | instskip(NEXT) | instid1(VALU_DEP_1)
	v_cvt_f32_i32_e32 v124, v31
	v_pk_fma_f32 v[2:3], v[10:11], v[124:125], v[2:3]
	s_delay_alu instid0(VALU_DEP_1) | instskip(SKIP_2) | instid1(VALU_DEP_1)
	v_pk_fma_f32 v[38:39], v[120:121], v[2:3], v[38:39]
	v_perm_b32 v2, v28, v163, 0x6040501
	v_perm_b32 v3, v165, v30, 0x6040501
	v_dot4_i32_iu8 v2, v3, v2, 0 neg_lo:[1,1,0]
	v_perm_b32 v3, v162, v28, 0x6040503
	s_delay_alu instid0(VALU_DEP_1) | instskip(SKIP_3) | instid1(VALU_DEP_3)
	v_dot4_i32_iu8 v2, v17, v3, v2 neg_lo:[1,1,0]
	v_perm_b32 v3, v24, v169, 0x6040501
	v_perm_b32 v17, v156, v26, 0x6040501
	s_set_vgpr_msb 4                        ;  msbs: dst=0 src0=0 src1=1 src2=0
	v_dot4_i32_iu8 v2, v178, v1 /*v257*/, v2 neg_lo:[1,1,0]
	s_set_vgpr_msb 0                        ;  msbs: dst=0 src0=0 src1=0 src2=0
	s_delay_alu instid0(VALU_DEP_2) | instskip(SKIP_2) | instid1(VALU_DEP_1)
	v_dot4_i32_iu8 v3, v17, v3, 0 neg_lo:[1,1,0]
	v_perm_b32 v17, v168, v24, 0x6040503
	v_perm_b32 v24, v25, v156, 0x6040503
	v_dot4_i32_iu8 v3, v24, v17, v3 neg_lo:[1,1,0]
	v_perm_b32 v17, v18, v132, 0x6050401
	v_perm_b32 v18, v152, v20, 0x6050401
	s_delay_alu instid0(VALU_DEP_3) | instskip(NEXT) | instid1(VALU_DEP_2)
	v_dot4_i32_iu8 v3, v232, v170, v3 neg_lo:[1,1,0]
	v_dot4_i32_iu8 v17, v18, v17, 0 neg_lo:[1,1,0]
	v_perm_b32 v18, v132, v19, 0x7060403
	v_perm_b32 v19, v20, v153, 0x7060403
	s_delay_alu instid0(VALU_DEP_4) | instskip(NEXT) | instid1(VALU_DEP_4)
	v_dot4_i32_iu8 v3, v27, v164, v3 neg_lo:[1,1,0]
	v_dot4_i32_iu8 v17, v171, v135, v17 neg_lo:[1,1,0]
	s_delay_alu instid0(VALU_DEP_1) | instskip(SKIP_2) | instid1(VALU_DEP_2)
	v_dot4_i32_iu8 v17, v19, v18, v17 neg_lo:[1,1,0]
	v_perm_b32 v18, v150, v6, 0x6050401
	v_dot4_i32_iu8 v6, v1, v13, v12 neg_lo:[1,1,0]
	v_dot4_i32_iu8 v4, v18, v4, 0 neg_lo:[1,1,0]
	s_delay_alu instid0(VALU_DEP_2) | instskip(SKIP_1) | instid1(VALU_DEP_2)
	v_mul_lo_u32 v6, v6, v155
	s_set_vgpr_msb 1                        ;  msbs: dst=0 src0=1 src1=0 src2=0
	v_dot4_i32_iu8 v4, v0 /*v256*/, v140, v4 neg_lo:[1,1,0]
	s_set_vgpr_msb 0                        ;  msbs: dst=0 src0=0 src1=0 src2=0
	s_delay_alu instid0(VALU_DEP_1)
	v_dot4_i32_iu8 v0, v5, v0, v4 neg_lo:[1,1,0]
	v_dot4_i32_iu8 v5, v164, v247, v16 neg_lo:[1,1,0]
	;; [unrolled: 1-line block ×6, first 2 shown]
	v_mul_lo_u32 v5, v5, v35
	v_mul_lo_u32 v12, v16, v160
	;; [unrolled: 1-line block ×3, first 2 shown]
	v_mad_u32 v1, v8, v160, v6
	s_delay_alu instid0(VALU_DEP_4) | instskip(NEXT) | instid1(VALU_DEP_4)
	v_mad_u32 v2, v2, v32, v5
	v_mad_u32 v0, v0, v155, v12
	s_delay_alu instid0(VALU_DEP_4) | instskip(NEXT) | instid1(VALU_DEP_4)
	v_mad_u32 v4, v3, v35, v4
	v_cvt_f32_i32_e32 v1, v1
	s_delay_alu instid0(VALU_DEP_4) | instskip(NEXT) | instid1(VALU_DEP_4)
	v_cvt_f32_i32_e32 v3, v2
	v_cvt_f32_i32_e32 v0, v0
	s_delay_alu instid0(VALU_DEP_4) | instskip(NEXT) | instid1(VALU_DEP_2)
	v_cvt_f32_i32_e32 v2, v4
	v_pk_fma_f32 v[0:1], v[14:15], v[0:1], 0 op_sel_hi:[1,1,0]
	s_delay_alu instid0(VALU_DEP_1) | instskip(NEXT) | instid1(VALU_DEP_1)
	v_pk_fma_f32 v[0:1], v[10:11], v[2:3], v[0:1]
	v_pk_fma_f32 v[36:37], v[122:123], v[0:1], v[36:37]
	s_cbranch_scc1 .LBB136_8
; %bb.9:                                ;   in Loop: Header=BB136_5 Depth=1
	s_add_co_i32 s4, s4, 1
	s_delay_alu instid0(SALU_CYCLE_1)
	s_cmp_eq_u32 s4, s15
	s_barrier_signal -1
	s_barrier_wait -1
	s_cbranch_scc0 .LBB136_5
; %bb.10:
	v_dual_mov_b32 v1, v75 :: v_dual_mov_b32 v2, v79
.LBB136_11:
	s_wait_xcnt 0x0
	s_mov_b32 s0, exec_lo
	v_cmpx_gt_u32_e64 s6, v81
	s_cbranch_execz .LBB136_62
; %bb.12:
	v_mul_lo_u32 v5, v81, s12
	v_add_nc_u32_e32 v0, s14, v2
	s_delay_alu instid0(VALU_DEP_1)
	v_cmp_gt_u32_e32 vcc_lo, s12, v0
	s_and_saveexec_b32 s0, vcc_lo
	s_cbranch_execz .LBB136_14
; %bb.13:
	s_delay_alu instid0(VALU_DEP_3)
	v_add_nc_u32_e32 v2, v0, v5
	s_wait_kmcnt 0x0
	global_store_b32 v2, v71, s[8:9] scale_offset
.LBB136_14:
	s_wait_xcnt 0x0
	s_or_b32 exec_lo, exec_lo, s0
	v_add_nc_u32_e32 v2, 32, v0
	s_delay_alu instid0(VALU_DEP_1)
	v_cmp_gt_u32_e64 s0, s12, v2
	s_and_saveexec_b32 s1, s0
	s_cbranch_execz .LBB136_16
; %bb.15:
	v_add_nc_u32_e32 v3, v2, v5
	s_wait_kmcnt 0x0
	global_store_b32 v3, v69, s[8:9] scale_offset
.LBB136_16:
	s_wait_xcnt 0x0
	s_or_b32 exec_lo, exec_lo, s1
	v_add_nc_u32_e32 v3, 64, v0
	s_delay_alu instid0(VALU_DEP_1)
	v_cmp_gt_u32_e64 s1, s12, v3
	s_and_saveexec_b32 s2, s1
	s_cbranch_execz .LBB136_18
; %bb.17:
	v_add_nc_u32_e32 v4, v3, v5
	s_wait_kmcnt 0x0
	global_store_b32 v4, v67, s[8:9] scale_offset
.LBB136_18:
	;; [unrolled: 12-line block ×3, first 2 shown]
	s_wait_xcnt 0x0
	s_or_b32 exec_lo, exec_lo, s3
	v_add3_u32 v5, v1, s13, 8
	s_delay_alu instid0(VALU_DEP_1)
	v_cmp_gt_u32_e64 s3, s6, v5
	s_and_b32 exec_lo, exec_lo, s3
	s_cbranch_execz .LBB136_62
; %bb.21:
	v_mul_lo_u32 v5, v5, s12
	s_and_saveexec_b32 s3, vcc_lo
	s_cbranch_execnz .LBB136_63
; %bb.22:
	s_or_b32 exec_lo, exec_lo, s3
	s_and_saveexec_b32 s3, s0
	s_cbranch_execnz .LBB136_64
.LBB136_23:
	s_or_b32 exec_lo, exec_lo, s3
	s_and_saveexec_b32 s3, s1
	s_cbranch_execnz .LBB136_65
.LBB136_24:
	s_or_b32 exec_lo, exec_lo, s3
	s_and_saveexec_b32 s3, s2
	s_cbranch_execz .LBB136_26
.LBB136_25:
	v_add_nc_u32_e32 v5, v5, v4
	s_wait_kmcnt 0x0
	global_store_b32 v5, v64, s[8:9] scale_offset
.LBB136_26:
	s_wait_xcnt 0x0
	s_or_b32 exec_lo, exec_lo, s3
	v_add3_u32 v5, v1, s13, 16
	s_delay_alu instid0(VALU_DEP_1)
	v_cmp_gt_u32_e64 s3, s6, v5
	s_and_b32 exec_lo, exec_lo, s3
	s_cbranch_execz .LBB136_62
; %bb.27:
	v_mul_lo_u32 v5, v5, s12
	s_and_saveexec_b32 s3, vcc_lo
	s_cbranch_execnz .LBB136_66
; %bb.28:
	s_or_b32 exec_lo, exec_lo, s3
	s_and_saveexec_b32 s3, s0
	s_cbranch_execnz .LBB136_67
.LBB136_29:
	s_or_b32 exec_lo, exec_lo, s3
	s_and_saveexec_b32 s3, s1
	s_cbranch_execnz .LBB136_68
.LBB136_30:
	s_or_b32 exec_lo, exec_lo, s3
	s_and_saveexec_b32 s3, s2
	s_cbranch_execz .LBB136_32
.LBB136_31:
	v_add_nc_u32_e32 v5, v5, v4
	s_wait_kmcnt 0x0
	global_store_b32 v5, v57, s[8:9] scale_offset
.LBB136_32:
	s_wait_xcnt 0x0
	s_or_b32 exec_lo, exec_lo, s3
	v_add3_u32 v5, v1, s13, 24
	s_delay_alu instid0(VALU_DEP_1)
	v_cmp_gt_u32_e64 s3, s6, v5
	s_and_b32 exec_lo, exec_lo, s3
	s_cbranch_execz .LBB136_62
; %bb.33:
	v_mul_lo_u32 v5, v5, s12
	s_and_saveexec_b32 s3, vcc_lo
	s_cbranch_execnz .LBB136_69
; %bb.34:
	s_or_b32 exec_lo, exec_lo, s3
	s_and_saveexec_b32 s3, s0
	s_cbranch_execnz .LBB136_70
.LBB136_35:
	s_or_b32 exec_lo, exec_lo, s3
	s_and_saveexec_b32 s3, s1
	s_cbranch_execnz .LBB136_71
.LBB136_36:
	s_or_b32 exec_lo, exec_lo, s3
	s_and_saveexec_b32 s3, s2
	s_cbranch_execz .LBB136_38
.LBB136_37:
	v_add_nc_u32_e32 v5, v5, v4
	s_wait_kmcnt 0x0
	global_store_b32 v5, v56, s[8:9] scale_offset
.LBB136_38:
	s_wait_xcnt 0x0
	s_or_b32 exec_lo, exec_lo, s3
	v_add3_u32 v5, v1, s13, 32
	s_delay_alu instid0(VALU_DEP_1)
	v_cmp_gt_u32_e64 s3, s6, v5
	s_and_b32 exec_lo, exec_lo, s3
	s_cbranch_execz .LBB136_62
; %bb.39:
	v_mul_lo_u32 v5, v5, s12
	s_and_saveexec_b32 s3, vcc_lo
	s_cbranch_execnz .LBB136_72
; %bb.40:
	s_or_b32 exec_lo, exec_lo, s3
	s_and_saveexec_b32 s3, s0
	s_cbranch_execnz .LBB136_73
.LBB136_41:
	s_or_b32 exec_lo, exec_lo, s3
	s_and_saveexec_b32 s3, s1
	s_cbranch_execnz .LBB136_74
.LBB136_42:
	s_or_b32 exec_lo, exec_lo, s3
	s_and_saveexec_b32 s3, s2
	s_cbranch_execz .LBB136_44
.LBB136_43:
	v_add_nc_u32_e32 v5, v5, v4
	s_wait_kmcnt 0x0
	global_store_b32 v5, v45, s[8:9] scale_offset
.LBB136_44:
	s_wait_xcnt 0x0
	s_or_b32 exec_lo, exec_lo, s3
	v_add3_u32 v5, v1, s13, 40
	s_delay_alu instid0(VALU_DEP_1)
	v_cmp_gt_u32_e64 s3, s6, v5
	s_and_b32 exec_lo, exec_lo, s3
	s_cbranch_execz .LBB136_62
; %bb.45:
	v_mul_lo_u32 v5, v5, s12
	s_and_saveexec_b32 s3, vcc_lo
	s_cbranch_execnz .LBB136_75
; %bb.46:
	s_or_b32 exec_lo, exec_lo, s3
	s_and_saveexec_b32 s3, s0
	s_cbranch_execnz .LBB136_76
.LBB136_47:
	s_or_b32 exec_lo, exec_lo, s3
	s_and_saveexec_b32 s3, s1
	s_cbranch_execnz .LBB136_77
.LBB136_48:
	s_or_b32 exec_lo, exec_lo, s3
	s_and_saveexec_b32 s3, s2
	s_cbranch_execz .LBB136_50
.LBB136_49:
	v_add_nc_u32_e32 v5, v5, v4
	s_wait_kmcnt 0x0
	global_store_b32 v5, v44, s[8:9] scale_offset
.LBB136_50:
	s_wait_xcnt 0x0
	s_or_b32 exec_lo, exec_lo, s3
	v_add3_u32 v5, v1, s13, 48
	s_delay_alu instid0(VALU_DEP_1)
	v_cmp_gt_u32_e64 s3, s6, v5
	s_and_b32 exec_lo, exec_lo, s3
	s_cbranch_execz .LBB136_62
; %bb.51:
	v_mul_lo_u32 v5, v5, s12
	s_and_saveexec_b32 s3, vcc_lo
	s_cbranch_execnz .LBB136_78
; %bb.52:
	s_or_b32 exec_lo, exec_lo, s3
	s_and_saveexec_b32 s3, s0
	s_cbranch_execnz .LBB136_79
.LBB136_53:
	s_or_b32 exec_lo, exec_lo, s3
	s_and_saveexec_b32 s3, s1
	s_cbranch_execnz .LBB136_80
.LBB136_54:
	s_or_b32 exec_lo, exec_lo, s3
	s_and_saveexec_b32 s3, s2
	s_cbranch_execz .LBB136_56
.LBB136_55:
	v_add_nc_u32_e32 v5, v5, v4
	s_wait_kmcnt 0x0
	global_store_b32 v5, v37, s[8:9] scale_offset
.LBB136_56:
	s_wait_xcnt 0x0
	s_or_b32 exec_lo, exec_lo, s3
	v_add3_u32 v1, v1, s13, 56
	s_delay_alu instid0(VALU_DEP_1)
	v_cmp_gt_u32_e64 s3, s6, v1
	s_and_b32 exec_lo, exec_lo, s3
	s_cbranch_execz .LBB136_62
; %bb.57:
	v_mul_lo_u32 v1, v1, s12
	s_and_saveexec_b32 s3, vcc_lo
	s_cbranch_execnz .LBB136_81
; %bb.58:
	s_or_b32 exec_lo, exec_lo, s3
	s_and_saveexec_b32 s3, s0
	s_cbranch_execnz .LBB136_82
.LBB136_59:
	s_or_b32 exec_lo, exec_lo, s3
	s_and_saveexec_b32 s0, s1
	s_cbranch_execnz .LBB136_83
.LBB136_60:
	s_or_b32 exec_lo, exec_lo, s0
	s_delay_alu instid0(SALU_CYCLE_1)
	s_and_b32 exec_lo, exec_lo, s2
	s_cbranch_execz .LBB136_62
.LBB136_61:
	v_add_nc_u32_e32 v0, v1, v4
	s_wait_kmcnt 0x0
	global_store_b32 v0, v36, s[8:9] scale_offset
.LBB136_62:
	s_sendmsg sendmsg(MSG_DEALLOC_VGPRS)
	s_endpgm
.LBB136_63:
	s_delay_alu instid0(VALU_DEP_1)
	v_add_nc_u32_e32 v6, v5, v0
	s_wait_kmcnt 0x0
	global_store_b32 v6, v70, s[8:9] scale_offset
	s_wait_xcnt 0x0
	s_or_b32 exec_lo, exec_lo, s3
	s_and_saveexec_b32 s3, s0
	s_cbranch_execz .LBB136_23
.LBB136_64:
	s_delay_alu instid0(VALU_DEP_1)
	v_add_nc_u32_e32 v6, v5, v2
	s_wait_kmcnt 0x0
	global_store_b32 v6, v68, s[8:9] scale_offset
	s_wait_xcnt 0x0
	s_or_b32 exec_lo, exec_lo, s3
	s_and_saveexec_b32 s3, s1
	s_cbranch_execz .LBB136_24
.LBB136_65:
	s_delay_alu instid0(VALU_DEP_1)
	v_add_nc_u32_e32 v6, v5, v3
	s_wait_kmcnt 0x0
	global_store_b32 v6, v66, s[8:9] scale_offset
	s_wait_xcnt 0x0
	s_or_b32 exec_lo, exec_lo, s3
	s_and_saveexec_b32 s3, s2
	s_cbranch_execnz .LBB136_25
	s_branch .LBB136_26
.LBB136_66:
	s_delay_alu instid0(VALU_DEP_1)
	v_add_nc_u32_e32 v6, v5, v0
	s_wait_kmcnt 0x0
	global_store_b32 v6, v63, s[8:9] scale_offset
	s_wait_xcnt 0x0
	s_or_b32 exec_lo, exec_lo, s3
	s_and_saveexec_b32 s3, s0
	s_cbranch_execz .LBB136_29
.LBB136_67:
	s_delay_alu instid0(VALU_DEP_1)
	v_add_nc_u32_e32 v6, v5, v2
	s_wait_kmcnt 0x0
	global_store_b32 v6, v61, s[8:9] scale_offset
	s_wait_xcnt 0x0
	s_or_b32 exec_lo, exec_lo, s3
	s_and_saveexec_b32 s3, s1
	s_cbranch_execz .LBB136_30
.LBB136_68:
	s_delay_alu instid0(VALU_DEP_1)
	v_add_nc_u32_e32 v6, v5, v3
	s_wait_kmcnt 0x0
	global_store_b32 v6, v59, s[8:9] scale_offset
	s_wait_xcnt 0x0
	s_or_b32 exec_lo, exec_lo, s3
	s_and_saveexec_b32 s3, s2
	s_cbranch_execnz .LBB136_31
	s_branch .LBB136_32
.LBB136_69:
	s_delay_alu instid0(VALU_DEP_1)
	v_add_nc_u32_e32 v6, v5, v0
	s_wait_kmcnt 0x0
	global_store_b32 v6, v62, s[8:9] scale_offset
	s_wait_xcnt 0x0
	s_or_b32 exec_lo, exec_lo, s3
	s_and_saveexec_b32 s3, s0
	s_cbranch_execz .LBB136_35
.LBB136_70:
	s_delay_alu instid0(VALU_DEP_1)
	v_add_nc_u32_e32 v6, v5, v2
	s_wait_kmcnt 0x0
	global_store_b32 v6, v60, s[8:9] scale_offset
	s_wait_xcnt 0x0
	s_or_b32 exec_lo, exec_lo, s3
	s_and_saveexec_b32 s3, s1
	s_cbranch_execz .LBB136_36
.LBB136_71:
	s_delay_alu instid0(VALU_DEP_1)
	v_add_nc_u32_e32 v6, v5, v3
	s_wait_kmcnt 0x0
	global_store_b32 v6, v58, s[8:9] scale_offset
	s_wait_xcnt 0x0
	s_or_b32 exec_lo, exec_lo, s3
	s_and_saveexec_b32 s3, s2
	s_cbranch_execnz .LBB136_37
	s_branch .LBB136_38
.LBB136_72:
	s_delay_alu instid0(VALU_DEP_1)
	v_add_nc_u32_e32 v6, v5, v0
	s_wait_kmcnt 0x0
	global_store_b32 v6, v55, s[8:9] scale_offset
	s_wait_xcnt 0x0
	s_or_b32 exec_lo, exec_lo, s3
	s_and_saveexec_b32 s3, s0
	s_cbranch_execz .LBB136_41
.LBB136_73:
	s_delay_alu instid0(VALU_DEP_1)
	v_add_nc_u32_e32 v6, v5, v2
	s_wait_kmcnt 0x0
	global_store_b32 v6, v53, s[8:9] scale_offset
	s_wait_xcnt 0x0
	s_or_b32 exec_lo, exec_lo, s3
	s_and_saveexec_b32 s3, s1
	s_cbranch_execz .LBB136_42
.LBB136_74:
	s_delay_alu instid0(VALU_DEP_1)
	v_add_nc_u32_e32 v6, v5, v3
	s_wait_kmcnt 0x0
	global_store_b32 v6, v49, s[8:9] scale_offset
	s_wait_xcnt 0x0
	s_or_b32 exec_lo, exec_lo, s3
	s_and_saveexec_b32 s3, s2
	s_cbranch_execnz .LBB136_43
	s_branch .LBB136_44
.LBB136_75:
	s_delay_alu instid0(VALU_DEP_1)
	v_add_nc_u32_e32 v6, v5, v0
	s_wait_kmcnt 0x0
	global_store_b32 v6, v54, s[8:9] scale_offset
	s_wait_xcnt 0x0
	s_or_b32 exec_lo, exec_lo, s3
	s_and_saveexec_b32 s3, s0
	s_cbranch_execz .LBB136_47
.LBB136_76:
	s_delay_alu instid0(VALU_DEP_1)
	v_add_nc_u32_e32 v6, v5, v2
	s_wait_kmcnt 0x0
	global_store_b32 v6, v52, s[8:9] scale_offset
	s_wait_xcnt 0x0
	s_or_b32 exec_lo, exec_lo, s3
	s_and_saveexec_b32 s3, s1
	s_cbranch_execz .LBB136_48
.LBB136_77:
	s_delay_alu instid0(VALU_DEP_1)
	v_add_nc_u32_e32 v6, v5, v3
	s_wait_kmcnt 0x0
	global_store_b32 v6, v48, s[8:9] scale_offset
	s_wait_xcnt 0x0
	s_or_b32 exec_lo, exec_lo, s3
	s_and_saveexec_b32 s3, s2
	s_cbranch_execnz .LBB136_49
	s_branch .LBB136_50
.LBB136_78:
	s_delay_alu instid0(VALU_DEP_1)
	v_add_nc_u32_e32 v6, v5, v0
	s_wait_kmcnt 0x0
	global_store_b32 v6, v43, s[8:9] scale_offset
	s_wait_xcnt 0x0
	s_or_b32 exec_lo, exec_lo, s3
	s_and_saveexec_b32 s3, s0
	s_cbranch_execz .LBB136_53
.LBB136_79:
	s_delay_alu instid0(VALU_DEP_1)
	v_add_nc_u32_e32 v6, v5, v2
	s_wait_kmcnt 0x0
	global_store_b32 v6, v41, s[8:9] scale_offset
	s_wait_xcnt 0x0
	s_or_b32 exec_lo, exec_lo, s3
	s_and_saveexec_b32 s3, s1
	s_cbranch_execz .LBB136_54
.LBB136_80:
	s_delay_alu instid0(VALU_DEP_1)
	v_add_nc_u32_e32 v6, v5, v3
	s_wait_kmcnt 0x0
	global_store_b32 v6, v39, s[8:9] scale_offset
	s_wait_xcnt 0x0
	s_or_b32 exec_lo, exec_lo, s3
	s_and_saveexec_b32 s3, s2
	s_cbranch_execnz .LBB136_55
	s_branch .LBB136_56
.LBB136_81:
	s_delay_alu instid0(VALU_DEP_1)
	v_add_nc_u32_e32 v0, v1, v0
	s_wait_kmcnt 0x0
	global_store_b32 v0, v42, s[8:9] scale_offset
	s_wait_xcnt 0x0
	s_or_b32 exec_lo, exec_lo, s3
	s_and_saveexec_b32 s3, s0
	s_cbranch_execz .LBB136_59
.LBB136_82:
	s_delay_alu instid0(VALU_DEP_1)
	v_add_nc_u32_e32 v0, v1, v2
	s_wait_kmcnt 0x0
	global_store_b32 v0, v40, s[8:9] scale_offset
	s_wait_xcnt 0x0
	s_or_b32 exec_lo, exec_lo, s3
	s_and_saveexec_b32 s0, s1
	s_cbranch_execz .LBB136_60
.LBB136_83:
	s_delay_alu instid0(VALU_DEP_1) | instskip(SKIP_4) | instid1(SALU_CYCLE_1)
	v_add_nc_u32_e32 v0, v1, v3
	s_wait_kmcnt 0x0
	global_store_b32 v0, v38, s[8:9] scale_offset
	s_wait_xcnt 0x0
	s_or_b32 exec_lo, exec_lo, s0
	s_and_b32 exec_lo, exec_lo, s2
	s_cbranch_execnz .LBB136_61
	s_branch .LBB136_62
	.section	.rodata,"a",@progbits
	.p2align	6, 0x0
	.amdhsa_kernel _ZL12mul_mat_q6_KIfLb1EEvPKvS1_PT_iiiii
		.amdhsa_group_segment_fixed_size 45136
		.amdhsa_private_segment_fixed_size 0
		.amdhsa_kernarg_size 44
		.amdhsa_user_sgpr_count 2
		.amdhsa_user_sgpr_dispatch_ptr 0
		.amdhsa_user_sgpr_queue_ptr 0
		.amdhsa_user_sgpr_kernarg_segment_ptr 1
		.amdhsa_user_sgpr_dispatch_id 0
		.amdhsa_user_sgpr_kernarg_preload_length 0
		.amdhsa_user_sgpr_kernarg_preload_offset 0
		.amdhsa_user_sgpr_private_segment_size 0
		.amdhsa_wavefront_size32 1
		.amdhsa_uses_dynamic_stack 0
		.amdhsa_enable_private_segment 0
		.amdhsa_system_sgpr_workgroup_id_x 1
		.amdhsa_system_sgpr_workgroup_id_y 1
		.amdhsa_system_sgpr_workgroup_id_z 0
		.amdhsa_system_sgpr_workgroup_info 0
		.amdhsa_system_vgpr_workitem_id 1
		.amdhsa_next_free_vgpr 316
		.amdhsa_next_free_sgpr 18
		.amdhsa_named_barrier_count 0
		.amdhsa_reserve_vcc 1
		.amdhsa_float_round_mode_32 0
		.amdhsa_float_round_mode_16_64 0
		.amdhsa_float_denorm_mode_32 3
		.amdhsa_float_denorm_mode_16_64 3
		.amdhsa_fp16_overflow 0
		.amdhsa_memory_ordered 1
		.amdhsa_forward_progress 1
		.amdhsa_inst_pref_size 255
		.amdhsa_round_robin_scheduling 0
		.amdhsa_exception_fp_ieee_invalid_op 0
		.amdhsa_exception_fp_denorm_src 0
		.amdhsa_exception_fp_ieee_div_zero 0
		.amdhsa_exception_fp_ieee_overflow 0
		.amdhsa_exception_fp_ieee_underflow 0
		.amdhsa_exception_fp_ieee_inexact 0
		.amdhsa_exception_int_div_zero 0
	.end_amdhsa_kernel
	.section	.text._ZL12mul_mat_q6_KIfLb1EEvPKvS1_PT_iiiii,"axG",@progbits,_ZL12mul_mat_q6_KIfLb1EEvPKvS1_PT_iiiii,comdat
.Lfunc_end136:
	.size	_ZL12mul_mat_q6_KIfLb1EEvPKvS1_PT_iiiii, .Lfunc_end136-_ZL12mul_mat_q6_KIfLb1EEvPKvS1_PT_iiiii
                                        ; -- End function
	.set _ZL12mul_mat_q6_KIfLb1EEvPKvS1_PT_iiiii.num_vgpr, 316
	.set _ZL12mul_mat_q6_KIfLb1EEvPKvS1_PT_iiiii.num_agpr, 0
	.set _ZL12mul_mat_q6_KIfLb1EEvPKvS1_PT_iiiii.numbered_sgpr, 18
	.set _ZL12mul_mat_q6_KIfLb1EEvPKvS1_PT_iiiii.num_named_barrier, 0
	.set _ZL12mul_mat_q6_KIfLb1EEvPKvS1_PT_iiiii.private_seg_size, 0
	.set _ZL12mul_mat_q6_KIfLb1EEvPKvS1_PT_iiiii.uses_vcc, 1
	.set _ZL12mul_mat_q6_KIfLb1EEvPKvS1_PT_iiiii.uses_flat_scratch, 0
	.set _ZL12mul_mat_q6_KIfLb1EEvPKvS1_PT_iiiii.has_dyn_sized_stack, 0
	.set _ZL12mul_mat_q6_KIfLb1EEvPKvS1_PT_iiiii.has_recursion, 0
	.set _ZL12mul_mat_q6_KIfLb1EEvPKvS1_PT_iiiii.has_indirect_call, 0
	.section	.AMDGPU.csdata,"",@progbits
; Kernel info:
; codeLenInByte = 48360
; TotalNumSgprs: 20
; NumVgprs: 316
; ScratchSize: 0
; MemoryBound: 0
; FloatMode: 240
; IeeeMode: 1
; LDSByteSize: 45136 bytes/workgroup (compile time only)
; SGPRBlocks: 0
; VGPRBlocks: 19
; NumSGPRsForWavesPerEU: 20
; NumVGPRsForWavesPerEU: 316
; NamedBarCnt: 0
; Occupancy: 3
; WaveLimiterHint : 0
; COMPUTE_PGM_RSRC2:SCRATCH_EN: 0
; COMPUTE_PGM_RSRC2:USER_SGPR: 2
; COMPUTE_PGM_RSRC2:TRAP_HANDLER: 0
; COMPUTE_PGM_RSRC2:TGID_X_EN: 1
; COMPUTE_PGM_RSRC2:TGID_Y_EN: 1
; COMPUTE_PGM_RSRC2:TGID_Z_EN: 0
; COMPUTE_PGM_RSRC2:TIDIG_COMP_CNT: 1
	.section	.text._ZL12mul_mat_q4_0IN3c104HalfELb0EEvPKvS3_PT_iiiii,"axG",@progbits,_ZL12mul_mat_q4_0IN3c104HalfELb0EEvPKvS3_PT_iiiii,comdat
	.globl	_ZL12mul_mat_q4_0IN3c104HalfELb0EEvPKvS3_PT_iiiii ; -- Begin function _ZL12mul_mat_q4_0IN3c104HalfELb0EEvPKvS3_PT_iiiii
	.p2align	8
	.type	_ZL12mul_mat_q4_0IN3c104HalfELb0EEvPKvS3_PT_iiiii,@function
_ZL12mul_mat_q4_0IN3c104HalfELb0EEvPKvS3_PT_iiiii: ; @_ZL12mul_mat_q4_0IN3c104HalfELb0EEvPKvS3_PT_iiiii
; %bb.0:
	s_clause 0x1
	s_load_b32 s12, s[0:1], 0x18
	s_load_b96 s[4:6], s[0:1], 0x20
	s_bfe_u32 s2, ttmp6, 0x4000c
	s_bfe_u32 s7, ttmp6, 0x40010
	s_add_co_i32 s2, s2, 1
	s_and_b32 s3, ttmp6, 15
	s_mul_i32 s2, ttmp9, s2
	s_add_co_i32 s7, s7, 1
	s_add_co_i32 s3, s3, s2
	s_mul_i32 s2, ttmp7, s7
	s_bfe_u32 s7, ttmp6, 0x40004
	s_getreg_b32 s8, hwreg(HW_REG_IB_STS2, 6, 4)
	s_add_co_i32 s7, s7, s2
	s_cmp_eq_u32 s8, 0
	v_bfe_u32 v1, v0, 10, 10
	s_cselect_b32 s7, ttmp7, s7
	v_and_b32_e32 v3, 0x3ff, v0
	s_cselect_b32 s2, ttmp9, s3
	s_lshl_b32 s7, s7, 6
	s_mov_b32 s3, 0
	s_wait_kmcnt 0x0
	s_cmp_gt_i32 s12, 31
	s_cbranch_scc1 .LBB137_2
; %bb.1:
	v_bfe_u32 v6, v0, 10, 10
	v_and_b32_e32 v21, 0x3ff, v0
	s_delay_alu instid0(VALU_DEP_2)
	v_add_nc_u32_e32 v7, s7, v6
	s_branch .LBB137_3
.LBB137_2:
	s_mov_b32 s3, -1
                                        ; implicit-def: $vgpr6
                                        ; implicit-def: $vgpr21
                                        ; implicit-def: $vgpr7
.LBB137_3:
	s_load_b64 s[8:9], s[0:1], 0x10
	v_dual_mov_b32 v2, 0 :: v_dual_mov_b32 v9, 0
	v_dual_mov_b32 v13, 0 :: v_dual_mov_b32 v17, 0
	;; [unrolled: 1-line block ×8, first 2 shown]
	s_lshl_b32 s16, s2, 7
	s_and_not1_b32 vcc_lo, exec_lo, s3
	s_mov_b32 s11, 0
	s_cbranch_vccnz .LBB137_14
; %bb.4:
	v_add_nc_u32_e32 v7, s7, v1
	s_add_co_i32 s10, s4, -1
	v_bfe_u32 v9, v0, 3, 7
	v_cvt_f64_i32_e32 v[22:23], s10
	s_ashr_i32 s13, s12, 31
	v_add_nc_u32_e32 v5, 24, v7
	s_ashr_i32 s14, s5, 31
	v_lshl_add_u32 v32, v1, 2, v9
	s_lshr_b32 s13, s13, 27
	s_lshr_b32 s14, s14, 27
	v_cvt_f64_u32_e32 v[18:19], v5
	v_mov_b32_e32 v5, 0
	v_cvt_f64_u32_e32 v[12:13], v7
	v_dual_add_nc_u32 v2, 8, v7 :: v_dual_add_nc_u32 v4, 16, v7
	v_dual_add_nc_u32 v8, 40, v7 :: v_dual_add_nc_u32 v6, 32, v7
	v_and_b32_e32 v30, 3, v0
	s_delay_alu instid0(VALU_DEP_3) | instskip(NEXT) | instid1(VALU_DEP_4)
	v_cvt_f64_u32_e32 v[14:15], v2
	v_cvt_f64_u32_e32 v[16:17], v4
	v_add_nc_u32_e32 v4, 48, v7
	v_cvt_f64_u32_e32 v[20:21], v6
	v_cvt_f64_u32_e32 v[24:25], v8
	v_dual_lshlrev_b32 v8, 2, v3 :: v_dual_bitop2_b32 v6, 7, v0 bitop3:0x40
	s_delay_alu instid0(VALU_DEP_4)
	v_cvt_f64_u32_e32 v[26:27], v4
	v_add_nc_u32_e32 v4, 56, v7
	s_add_co_i32 s12, s12, s13
	s_add_co_i32 s13, s5, s14
	s_ashr_i32 s5, s12, 5
	v_mad_u32_u24 v11, 0x84, v1, v8
	v_cvt_f64_u32_e32 v[28:29], v4
	v_dual_lshlrev_b32 v38, 2, v6 :: v_dual_bitop2_b32 v4, 12, v8 bitop3:0x40
	v_dual_mov_b32 v37, v5 :: v_dual_bitop2_b32 v36, 28, v8 bitop3:0x40
	s_lshl_b32 s15, s5, 3
	v_mul_lo_u32 v8, s5, v1
	v_bfe_u32 v2, v0, 2, 8
	v_dual_lshlrev_b32 v34, 7, v1 :: v_dual_bitop2_b32 v10, 31, v0 bitop3:0x40
	s_ashr_i32 s18, s13, 5
	v_min_num_f64_e32 v[48:49], v[18:19], v[22:23]
	s_wait_xcnt 0x0
	s_load_b128 s[0:3], s[0:1], 0x0
	v_min_num_f64_e32 v[40:41], v[12:13], v[22:23]
	v_lshl_or_b32 v44, v10, 2, 0x4200
	v_lshl_add_u32 v10, v1, 3, v2
	v_add_nc_u32_e32 v58, 0x800, v34
	v_add_nc_u32_e32 v52, 0x400, v34
	s_and_b32 s14, s12, 0xffffffe0
	v_min_num_f64_e32 v[42:43], v[14:15], v[22:23]
	v_min_num_f64_e32 v[46:47], v[16:17], v[22:23]
	v_and_b32_e32 v10, 63, v10
	v_min_num_f64_e32 v[50:51], v[20:21], v[22:23]
	v_min_num_f64_e32 v[54:55], v[24:25], v[22:23]
	v_add_nc_u32_e32 v180, 0x4200, v34
	s_mul_i32 s12, s5, s16
	v_min_num_f64_e32 v[56:57], v[26:27], v[22:23]
	v_and_b32_e32 v26, 0x7fc, v32
	v_mov_b64_e32 v[64:65], 0
	v_mov_b64_e32 v[70:71], 0
	;; [unrolled: 1-line block ×4, first 2 shown]
	v_dual_min_num_f64 v[22:23], v[28:29], v[22:23] :: v_dual_lshlrev_b32 v28, 5, v32
	v_add3_u32 v26, v26, v38, 0x6200
	v_mov_b64_e32 v[74:75], 0
	v_mov_b64_e32 v[72:73], 0
	;; [unrolled: 1-line block ×4, first 2 shown]
	s_ashr_i32 s13, s12, 31
	v_add_nc_u32_e32 v13, 0x420, v11
	v_add_nc_u32_e32 v15, 0x840, v11
	;; [unrolled: 1-line block ×5, first 2 shown]
	v_cvt_i32_f64_e32 v14, v[40:41]
	v_add_nc_u32_e32 v41, 32, v32
	v_add_nc_u32_e32 v25, 0x18c0, v11
	;; [unrolled: 1-line block ×5, first 2 shown]
	v_cvt_i32_f64_e32 v16, v[42:43]
	v_add_nc_u32_e32 v43, 64, v32
	v_cvt_i32_f64_e32 v18, v[46:47]
	v_and_b32_e32 v47, 0xffc, v41
	v_lshlrev_b32_e32 v41, 5, v41
	v_cvt_i32_f64_e32 v20, v[48:49]
	v_lshlrev_b32_e32 v12, 2, v30
	v_and_b32_e32 v48, 0xffc, v43
	v_lshlrev_b32_e32 v43, 5, v43
	v_cvt_i32_f64_e32 v42, v[56:57]
	v_add_nc_u32_e32 v46, 0x60, v32
	v_add3_u32 v47, v47, v38, 0x6200
	v_add3_u32 v48, v48, v38, 0x6200
	v_add_nc_u32_e32 v164, v26, v28
	v_add_nc_u32_e32 v56, 0x1c00, v34
	;; [unrolled: 1-line block ×9, first 2 shown]
	v_mul_u32_u24_e32 v186, 0x84, v3
	v_lshl_add_u32 v187, v1, 4, 0x7280
	v_mad_u32_u24 v188, 0x84, v3, 64
	s_mul_u64 s[12:13], s[12:13], 18
	v_mul_lo_u32 v79, s18, v14
	s_add_co_i32 s17, s5, 3
	s_wait_kmcnt 0x0
	s_add_nc_u64 s[0:1], s[0:1], s[12:13]
	s_mov_b32 s12, 0x41000000
	v_dual_add_nc_u32 v166, v47, v41 :: v_dual_add_nc_u32 v173, v44, v58
	v_mul_lo_u32 v156, s18, v16
	v_mov_b64_e32 v[58:59], 0
	v_mul_lo_u32 v157, s18, v18
	v_add_nc_u32_e32 v18, 0x60, v3
	v_add_nc_u32_e32 v179, v44, v34
	v_mul_lo_u32 v158, s18, v20
	v_dual_add_nc_u32 v20, 64, v3 :: v_dual_bitop2_b32 v49, s7, v10 bitop3:0x54
	v_lshl_or_b32 v12, v10, 4, v12
	v_add_nc_u32_e32 v10, s15, v8
	v_cvt_i32_f64_e32 v24, v[50:51]
	v_and_b32_e32 v50, 0xffc, v46
	v_lshlrev_b32_e32 v46, 5, v46
	v_add_nc_u32_e32 v57, 0x7280, v12
	v_add_nc_u32_e32 v12, s15, v10
	v_and_b32_e32 v20, 0x1fc, v20
	v_add3_u32 v38, v50, v38, 0x6200
	v_and_b32_e32 v50, 0x1fc, v18
	v_mul_lo_u32 v161, s18, v42
	v_add_nc_u32_e32 v14, s15, v12
	v_add_nc_u32_e32 v42, 0x1800, v34
	s_delay_alu instid0(VALU_DEP_2) | instskip(NEXT) | instid1(VALU_DEP_2)
	v_add_nc_u32_e32 v16, s15, v14
	v_add_nc_u32_e32 v177, v44, v42
	v_mov_b64_e32 v[42:43], 0
	v_mul_lo_u32 v159, s18, v24
	s_delay_alu instid0(VALU_DEP_4)
	v_dual_lshlrev_b32 v24, 5, v3 :: v_dual_add_nc_u32 v18, s15, v16
	v_cvt_i32_f64_e32 v22, v[22:23]
	v_min_i32_e32 v23, s10, v49
	v_cvt_i32_f64_e32 v40, v[54:55]
	v_and_b32_e32 v54, 0xfc, v0
	v_dual_add_nc_u32 v50, v24, v50 :: v_dual_add_nc_u32 v55, v24, v20
	s_delay_alu instid0(VALU_DEP_4) | instskip(NEXT) | instid1(VALU_DEP_3)
	v_mad_u32 v77, v23, s18, v30
	v_dual_add_nc_u32 v23, 32, v3 :: v_dual_add_nc_u32 v54, v24, v54
	v_add_nc_u32_e32 v170, v38, v46
	v_add_nc_u32_e32 v30, 0xc00, v34
	;; [unrolled: 1-line block ×3, first 2 shown]
	s_delay_alu instid0(VALU_DEP_4) | instskip(SKIP_1) | instid1(VALU_DEP_4)
	v_and_b32_e32 v51, 0x1fc, v23
	v_dual_add_nc_u32 v0, s15, v18 :: v_dual_add_nc_u32 v172, v44, v52
	v_add_nc_u32_e32 v174, v44, v30
	v_mul_lo_u32 v30, s5, v32
	s_delay_alu instid0(VALU_DEP_3) | instskip(SKIP_3) | instid1(VALU_DEP_4)
	v_dual_add_nc_u32 v51, v24, v51 :: v_dual_add_nc_u32 v20, s15, v0
	v_dual_add_nc_u32 v175, v44, v49 :: v_dual_lshrrev_b32 v163, 3, v23
	v_add_nc_u32_e32 v165, 0x6e00, v50
	v_add_nc_u32_e32 v167, 0x6a00, v55
	;; [unrolled: 1-line block ×10, first 2 shown]
	v_mov_b64_e32 v[54:55], 0
	v_mul_lo_u32 v162, s18, v22
	v_add_nc_u32_e32 v28, s15, v26
	v_mul_lo_u32 v160, s18, v40
	v_add_nc_u32_e32 v40, 0x1400, v34
	v_add_nc_u64_e32 v[22:23], s[2:3], v[36:37]
	v_mov_b64_e32 v[46:47], 0
	v_add_nc_u32_e32 v32, s15, v28
	v_mov_b64_e32 v[36:37], 0
	v_add_nc_u32_e32 v176, v44, v40
	v_mov_b64_e32 v[40:41], 0
	v_mov_b64_e32 v[48:49], 0
	v_add_nc_u32_e32 v34, s15, v32
	v_dual_add_nc_u32 v178, v44, v56 :: v_dual_add_nc_u32 v44, s14, v30
	v_mov_b64_e32 v[50:51], 0
	s_mov_b32 s10, s11
	s_delay_alu instid0(VALU_DEP_2) | instskip(NEXT) | instid1(VALU_DEP_1)
	v_dual_add_nc_u32 v38, s15, v34 :: v_dual_add_nc_u32 v56, s14, v44
	v_dual_add_nc_u32 v52, s15, v38 :: v_dual_add_nc_u32 v78, s14, v56
	s_delay_alu instid0(VALU_DEP_1)
	v_add_nc_u32_e32 v76, s15, v52
	s_branch .LBB137_6
.LBB137_5:                              ;   in Loop: Header=BB137_6 Depth=1
	s_add_co_i32 s10, s10, 8
	s_add_co_i32 s17, s17, -8
	s_cmp_ge_i32 s10, s5
	s_cbranch_scc1 .LBB137_13
.LBB137_6:                              ; =>This Loop Header: Depth=1
                                        ;     Child Loop BB137_8 Depth 2
                                        ;     Child Loop BB137_11 Depth 2
	s_mul_u64 s[14:15], s[10:11], 18
	s_cmp_gt_u32 s17, 3
	s_add_nc_u64 s[14:15], s[0:1], s[14:15]
	s_delay_alu instid0(SALU_CYCLE_1) | instskip(NEXT) | instid1(VALU_DEP_1)
	v_mad_nc_u64_u32 v[80:81], v2, 18, s[14:15]
	v_mad_nc_u64_u32 v[82:83], v8, 18, v[80:81]
	s_delay_alu instid0(VALU_DEP_1)
	v_add_nc_u64_e32 v[82:83], v[82:83], v[4:5]
	global_load_b32 v82, v[82:83], off offset:2
	s_wait_loadcnt 0x0
	ds_store_b32 v11, v82
	s_wait_xcnt 0x0
	v_mad_nc_u64_u32 v[82:83], v10, 18, v[80:81]
	s_delay_alu instid0(VALU_DEP_1)
	v_add_nc_u64_e32 v[82:83], v[82:83], v[4:5]
	global_load_b32 v82, v[82:83], off offset:2
	s_wait_loadcnt 0x0
	ds_store_b32 v13, v82
	s_wait_xcnt 0x0
	;; [unrolled: 7-line block ×14, first 2 shown]
	v_mad_nc_u64_u32 v[82:83], v52, 18, v[80:81]
	v_mad_nc_u64_u32 v[80:81], v76, 18, v[80:81]
	s_delay_alu instid0(VALU_DEP_2) | instskip(NEXT) | instid1(VALU_DEP_2)
	v_add_nc_u64_e32 v[82:83], v[82:83], v[4:5]
	v_add_nc_u64_e32 v[80:81], v[80:81], v[4:5]
	s_clause 0x1
	global_load_b32 v82, v[82:83], off offset:2
	global_load_b32 v80, v[80:81], off offset:2
	s_wait_loadcnt 0x1
	ds_store_b32 v53, v82
	s_wait_loadcnt 0x0
	ds_store_b32 v185, v80
	s_wait_xcnt 0x0
	v_mad_nc_u64_u32 v[80:81], v6, 18, s[14:15]
	s_delay_alu instid0(VALU_DEP_1)
	v_mad_nc_u64_u32 v[82:83], v30, 18, v[80:81]
	global_load_u16 v82, v[82:83], off
	s_wait_loadcnt 0x0
	s_wait_xcnt 0x0
	v_cvt_f32_f16_e32 v82, v82
	ds_store_b32 v164, v82
	v_mad_nc_u64_u32 v[82:83], v44, 18, v[80:81]
	global_load_u16 v82, v[82:83], off
	s_wait_loadcnt 0x0
	s_wait_xcnt 0x0
	v_cvt_f32_f16_e32 v82, v82
	ds_store_b32 v166, v82
	v_mad_nc_u64_u32 v[82:83], v56, 18, v[80:81]
	v_mad_nc_u64_u32 v[80:81], v78, 18, v[80:81]
	s_clause 0x1
	global_load_u16 v82, v[82:83], off
	global_load_u16 v80, v[80:81], off
	s_wait_loadcnt 0x1
	s_wait_xcnt 0x1
	v_cvt_f32_f16_e32 v82, v82
	s_wait_loadcnt 0x0
	s_wait_xcnt 0x0
	v_cvt_f32_f16_e32 v80, v80
	ds_store_b32 v168, v82
	ds_store_b32 v170, v80
	s_cbranch_scc0 .LBB137_5
; %bb.7:                                ;   in Loop: Header=BB137_6 Depth=1
	v_dual_mov_b32 v189, v180 :: v_dual_add_nc_u32 v80, s10, v9
	v_dual_add_nc_u32 v81, s10, v77 :: v_dual_mov_b32 v195, v186
	s_mov_b32 s13, -4
	s_delay_alu instid0(VALU_DEP_2) | instskip(SKIP_2) | instid1(VALU_DEP_3)
	v_dual_add_nc_u32 v82, v80, v79 :: v_dual_mov_b32 v190, v187
	v_dual_mov_b32 v191, v171 :: v_dual_mov_b32 v192, v169
	v_mov_b32_e32 v193, v167
	v_mad_nc_i64_i32 v[82:83], v82, 36, v[22:23]
	v_mov_b32_e32 v194, v165
	global_load_b32 v82, v[82:83], off offset:4
	s_wait_loadcnt 0x0
	ds_store_b32 v179, v82
	v_add_nc_u32_e32 v82, v80, v156
	s_delay_alu instid0(VALU_DEP_1) | instskip(SKIP_4) | instid1(VALU_DEP_1)
	v_mad_nc_i64_i32 v[82:83], v82, 36, v[22:23]
	global_load_b32 v82, v[82:83], off offset:4
	s_wait_loadcnt 0x0
	ds_store_b32 v172, v82
	v_add_nc_u32_e32 v82, v80, v157
	v_mad_nc_i64_i32 v[82:83], v82, 36, v[22:23]
	global_load_b32 v82, v[82:83], off offset:4
	s_wait_loadcnt 0x0
	ds_store_b32 v173, v82
	v_add_nc_u32_e32 v82, v80, v158
	s_delay_alu instid0(VALU_DEP_1) | instskip(SKIP_4) | instid1(VALU_DEP_1)
	v_mad_nc_i64_i32 v[82:83], v82, 36, v[22:23]
	global_load_b32 v82, v[82:83], off offset:4
	s_wait_loadcnt 0x0
	ds_store_b32 v174, v82
	v_add_nc_u32_e32 v82, v80, v159
	v_mad_nc_i64_i32 v[82:83], v82, 36, v[22:23]
	global_load_b32 v82, v[82:83], off offset:4
	s_wait_loadcnt 0x0
	ds_store_b32 v175, v82
	v_add_nc_u32_e32 v82, v80, v160
	s_delay_alu instid0(VALU_DEP_1) | instskip(SKIP_4) | instid1(VALU_DEP_1)
	v_mad_nc_i64_i32 v[82:83], v82, 36, v[22:23]
	global_load_b32 v82, v[82:83], off offset:4
	s_wait_loadcnt 0x0
	ds_store_b32 v176, v82
	v_dual_add_nc_u32 v82, v80, v161 :: v_dual_add_nc_u32 v80, v80, v162
	v_mad_nc_i64_i32 v[82:83], v82, 36, v[22:23]
	global_load_b32 v82, v[82:83], off offset:4
	s_wait_loadcnt 0x0
	ds_store_b32 v177, v82
	v_mad_nc_i64_i32 v[82:83], v80, 36, v[22:23]
	global_load_b32 v80, v[82:83], off offset:4
	s_wait_xcnt 0x0
	v_mad_nc_u64_u32 v[82:83], v81, 36, s[2:3]
	s_wait_loadcnt 0x0
	ds_store_b32 v178, v80
	global_load_b32 v80, v[82:83], off
	s_wait_loadcnt 0x0
	ds_store_b32 v57, v80
	s_wait_dscnt 0x0
	s_barrier_signal -1
	s_barrier_wait -1
.LBB137_8:                              ;   Parent Loop BB137_6 Depth=1
                                        ; =>  This Inner Loop Header: Depth=2
	ds_load_2addr_b32 v[86:87], v189 offset1:3
	ds_load_2addr_b32 v[82:83], v189 offset0:4 offset1:7
	ds_load_2addr_b32 v[84:85], v195 offset1:1
	v_add_nc_u32_e32 v94, 0x1080, v195
	v_add_nc_u32_e32 v95, 0x1088, v195
	;; [unrolled: 1-line block ×22, first 2 shown]
	ds_load_2addr_b32 v[90:91], v195 offset0:2 offset1:3
	ds_load_b32 v80, v194
	v_add_nc_u32_e32 v196, 0xc00, v189
	v_add_nc_u32_e32 v197, 0x1000, v189
	;; [unrolled: 1-line block ×5, first 2 shown]
	ds_load_2addr_b32 v[92:93], v189 offset0:1 offset1:2
	ds_load_2addr_b32 v[88:89], v189 offset0:5 offset1:6
	ds_load_2addr_b32 v[148:149], v190 offset1:32
	ds_load_2addr_b32 v[204:205], v190 offset0:64 offset1:96
	ds_load_2addr_b32 v[224:225], v190 offset0:128 offset1:160
	;; [unrolled: 1-line block ×3, first 2 shown]
	ds_load_2addr_b32 v[150:151], v94 offset1:1
	ds_load_2addr_b32 v[106:107], v95 offset1:1
	;; [unrolled: 1-line block ×4, first 2 shown]
	ds_load_2addr_b32 v[154:155], v100 offset0:4 offset1:7
	ds_load_2addr_b32 v[234:235], v98 offset1:1
	ds_load_2addr_b32 v[242:243], v99 offset1:1
	;; [unrolled: 1-line block ×3, first 2 shown]
	s_set_vgpr_msb 64                       ;  msbs: dst=1 src0=0 src1=0 src2=0
	ds_load_2addr_b32 v[4:5] /*v[260:261]*/, v102 offset1:1
	s_set_vgpr_msb 0                        ;  msbs: dst=0 src0=0 src1=0 src2=0
	ds_load_2addr_b32 v[120:121], v103 offset0:4 offset1:7
	ds_load_2addr_b32 v[118:119], v196 offset0:4 offset1:7
	;; [unrolled: 1-line block ×6, first 2 shown]
	ds_load_2addr_b32 v[134:135], v100 offset1:3
	ds_load_2addr_b32 v[146:147], v104 offset1:1
	;; [unrolled: 1-line block ×19, first 2 shown]
	s_wait_dscnt 0x2a
	v_dual_ashrrev_i32 v244, 24, v86 :: v_dual_bitop2_b32 v238, 15, v84 bitop3:0x40
	v_lshrrev_b16 v208, 8, v86
	v_bfe_i32 v250, v86, 0, 8
	s_wait_dscnt 0x21
	v_and_b32_e32 v252, 15, v150
	v_lshrrev_b16 v198, 8, v82
	s_set_vgpr_msb 64                       ;  msbs: dst=1 src0=0 src1=0 src2=0
	v_bfe_u32 v80 /*v336*/, v84, 8, 4
	s_set_vgpr_msb 0                        ;  msbs: dst=0 src0=0 src1=0 src2=0
	v_bfe_u32 v237, v84, 16, 4
	s_set_vgpr_msb 64                       ;  msbs: dst=1 src0=0 src1=0 src2=0
	v_bfe_u32 v23 /*v279*/, v84, 24, 4
	s_set_vgpr_msb 0                        ;  msbs: dst=0 src0=0 src1=0 src2=0
	v_bfe_i32 v249, v86, 16, 8
	s_set_vgpr_msb 64                       ;  msbs: dst=1 src0=0 src1=0 src2=0
	v_bfe_u32 v84 /*v340*/, v150, 8, 4
	s_set_vgpr_msb 0                        ;  msbs: dst=0 src0=0 src1=0 src2=0
	v_bfe_u32 v239, v150, 16, 4
	s_set_vgpr_msb 64                       ;  msbs: dst=1 src0=0 src1=0 src2=0
	v_bfe_u32 v24 /*v280*/, v150, 24, 4
	s_wait_dscnt 0x1c
	v_dual_lshrrev_b32 v34 /*v290*/, 28, v234 :: v_dual_bitop2_b32 v1 /*v257*/, 15, v152 bitop3:0x40
	v_bfe_i32 v35 /*v291*/, v208, 0, 8
	v_mul_i32_i24_e32 v36 /*v292*/, v250, v238
	v_bfe_u32 v39 /*v295*/, v235, 24, 4
	v_dual_lshrrev_b32 v40 /*v296*/, 28, v235 :: v_dual_ashrrev_i32 v45 /*v301*/, 24, v154
	v_bfe_u32 v41 /*v297*/, v234, 20, 4
	v_bfe_i32 v47 /*v303*/, v154, 16, 8
	s_wait_dscnt 0x1a
	v_dual_ashrrev_i32 v50 /*v306*/, 24, v254 :: v_dual_bitop2_b32 v48 /*v304*/, 15, v235 bitop3:0x40
	v_bfe_u32 v49 /*v305*/, v235, 16, 4
	v_bfe_i32 v51 /*v307*/, v254, 16, 8
	s_set_vgpr_msb 0                        ;  msbs: dst=0 src0=0 src1=0 src2=0
	v_bfe_u32 v229, v235, 20, 4
	s_wait_dscnt 0x19
	s_set_vgpr_msb 0x44                     ;  msbs: dst=1 src0=0 src1=1 src2=0
	v_ashrrev_i32_e32 v54 /*v310*/, 24, v4 /*v260*/
	s_set_vgpr_msb 0x41                     ;  msbs: dst=1 src0=1 src1=0 src2=0
	v_bfe_i32 v55 /*v311*/, v4 /*v260*/, 16, 8
	s_wait_dscnt 0x18
	s_set_vgpr_msb 64                       ;  msbs: dst=1 src0=0 src1=0 src2=0
	v_bfe_i32 v60 /*v316*/, v120, 8, 8
	v_bfe_i32 v61 /*v317*/, v120, 0, 8
	;; [unrolled: 1-line block ×3, first 2 shown]
	s_set_vgpr_msb 0                        ;  msbs: dst=0 src0=0 src1=0 src2=0
	v_ashrrev_i32_e32 v120, 24, v120
	s_set_vgpr_msb 64                       ;  msbs: dst=1 src0=0 src1=0 src2=0
	v_mul_i32_i24_e32 v128 /*v384*/, v250, v252
	s_set_vgpr_msb 0                        ;  msbs: dst=0 src0=0 src1=0 src2=0
	v_bfe_u32 v236, v84, 4, 4
	v_bfe_u32 v240, v84, 12, 4
	v_bfe_i32 v253, v82, 16, 8
	s_set_vgpr_msb 64                       ;  msbs: dst=1 src0=0 src1=0 src2=0
	v_bfe_i32 v0 /*v256*/, v82, 0, 8
	v_bfe_i32 v10 /*v266*/, v92, 0, 8
	v_dual_ashrrev_i32 v16 /*v272*/, 24, v92 :: v_dual_bitop2_b32 v12 /*v268*/, 15, v85 bitop3:0x40
	v_bfe_i32 v13 /*v269*/, v92, 8, 8
	s_set_vgpr_msb 0                        ;  msbs: dst=0 src0=0 src1=0 src2=0
	v_dual_ashrrev_i32 v218, 24, v93 :: v_dual_ashrrev_i32 v196, 24, v87
	v_bfe_i32 v200, v83, 0, 8
	s_set_vgpr_msb 64                       ;  msbs: dst=1 src0=0 src1=0 src2=0
	v_bfe_i32 v107 /*v363*/, v83, 8, 8
	v_bfe_i32 v19 /*v275*/, v92, 16, 8
	s_set_vgpr_msb 0                        ;  msbs: dst=0 src0=0 src1=0 src2=0
	v_bfe_i32 v219, v93, 16, 8
	v_bfe_i32 v230, v93, 0, 8
	;; [unrolled: 1-line block ×4, first 2 shown]
	v_dual_ashrrev_i32 v248, 24, v83 :: v_dual_lshrrev_b32 v222, 28, v90
	v_dual_lshrrev_b32 v92, 16, v204 :: v_dual_lshrrev_b32 v93, 16, v205
	v_cvt_f32_f16_e64 v83, v205
	s_set_vgpr_msb 64                       ;  msbs: dst=1 src0=0 src1=0 src2=0
	v_bfe_u32 v85 /*v341*/, v152, 8, 4
	s_set_vgpr_msb 0                        ;  msbs: dst=0 src0=0 src1=0 src2=0
	v_bfe_u32 v241, v152, 16, 4
	s_set_vgpr_msb 64                       ;  msbs: dst=1 src0=0 src1=0 src2=0
	v_bfe_u32 v25 /*v281*/, v152, 24, 4
	v_mul_i32_i24_e32 v37 /*v293*/, v249, v237
	s_set_vgpr_msb 0x44                     ;  msbs: dst=1 src0=0 src1=1 src2=0
	v_mul_i32_i24_e32 v38 /*v294*/, v244, v23 /*v279*/
	v_bfe_u32 v42 /*v298*/, v234, 4, 4
	v_bfe_i32 v43 /*v299*/, v198, 0, 8
	v_bfe_i32 v46 /*v302*/, v154, 0, 8
	;; [unrolled: 1-line block ×3, first 2 shown]
	v_bfe_u32 v53 /*v309*/, v235, 4, 4
	s_set_vgpr_msb 0x41                     ;  msbs: dst=1 src0=1 src1=0 src2=0
	v_bfe_i32 v56 /*v312*/, v4 /*v260*/, 0, 8
	s_set_vgpr_msb 0                        ;  msbs: dst=0 src0=0 src1=0 src2=0
	v_bfe_u32 v214, v242, 16, 4
	s_set_vgpr_msb 64                       ;  msbs: dst=1 src0=0 src1=0 src2=0
	v_bfe_i32 v59 /*v315*/, v255, 16, 8
	s_set_vgpr_msb 0                        ;  msbs: dst=0 src0=0 src1=0 src2=0
	v_bfe_u32 v205, v242, 20, 4
	s_set_vgpr_msb 1                        ;  msbs: dst=0 src0=1 src1=0 src2=0
	v_bfe_i32 v220, v5 /*v261*/, 16, 8
	s_set_vgpr_msb 64                       ;  msbs: dst=1 src0=0 src1=0 src2=0
	v_bfe_u32 v67 /*v323*/, v152, 12, 4
	s_set_vgpr_msb 0x55                     ;  msbs: dst=1 src0=1 src1=1 src2=1
	v_mad_i32_i24 v36 /*v292*/, v35 /*v291*/, v80 /*v336*/, v36 /*v292*/
	v_mul_i32_i24_e32 v120 /*v376*/, v45 /*v301*/, v34 /*v290*/
	v_mul_i32_i24_e32 v121 /*v377*/, v50 /*v306*/, v39 /*v295*/
	;; [unrolled: 1-line block ×5, first 2 shown]
	s_set_vgpr_msb 0x41                     ;  msbs: dst=1 src0=1 src1=0 src2=0
	v_mul_i32_i24_e32 v125 /*v381*/, v55 /*v311*/, v229
	s_set_vgpr_msb 64                       ;  msbs: dst=1 src0=0 src1=0 src2=0
	v_mul_i32_i24_e32 v129 /*v385*/, v249, v239
	s_set_vgpr_msb 0x44                     ;  msbs: dst=1 src0=0 src1=1 src2=0
	v_mul_i32_i24_e32 v130 /*v386*/, v244, v24 /*v280*/
	v_mul_i32_i24_e32 v131 /*v387*/, v250, v1 /*v257*/
	s_set_vgpr_msb 0x55                     ;  msbs: dst=1 src0=1 src1=1 src2=1
	v_mad_i32_i24 v128 /*v384*/, v35 /*v291*/, v84 /*v340*/, v128 /*v384*/
	s_set_vgpr_msb 64                       ;  msbs: dst=1 src0=0 src1=0 src2=0
	v_bfe_u32 v3 /*v259*/, v84, 20, 4
	v_dual_lshrrev_b32 v6 /*v262*/, 28, v84 :: v_dual_ashrrev_i32 v7 /*v263*/, 24, v82
	v_bfe_u32 v28 /*v284*/, v234, 16, 4
	s_set_vgpr_msb 0                        ;  msbs: dst=0 src0=0 src1=0 src2=0
	v_and_b32_e32 v247, 15, v234
	s_set_vgpr_msb 0x41                     ;  msbs: dst=1 src0=1 src1=0 src2=0
	v_mul_i32_i24_e32 v44 /*v300*/, v0 /*v256*/, v236
	s_set_vgpr_msb 64                       ;  msbs: dst=1 src0=0 src1=0 src2=0
	v_bfe_u32 v63 /*v319*/, v150, 12, 4
	v_bfe_u32 v68 /*v324*/, v152, 4, 4
	;; [unrolled: 1-line block ×3, first 2 shown]
	s_wait_dscnt 0x15
	v_dual_lshrrev_b32 v70 /*v326*/, 28, v152 :: v_dual_ashrrev_i32 v81 /*v337*/, 24, v114
	v_bfe_i32 v71 /*v327*/, v118, 8, 8
	v_bfe_i32 v74 /*v330*/, v116, 8, 8
	s_set_vgpr_msb 0x45                     ;  msbs: dst=1 src0=1 src1=1 src2=0
	v_mul_i32_i24_e32 v119 /*v375*/, v46 /*v302*/, v42 /*v298*/
	v_mul_i32_i24_e32 v126 /*v382*/, v52 /*v308*/, v48 /*v304*/
	;; [unrolled: 1-line block ×3, first 2 shown]
	s_set_vgpr_msb 64                       ;  msbs: dst=1 src0=0 src1=0 src2=0
	v_mul_i32_i24_e32 v132 /*v388*/, v249, v241
	s_set_vgpr_msb 0x44                     ;  msbs: dst=1 src0=0 src1=1 src2=0
	v_mul_i32_i24_e32 v133 /*v389*/, v244, v25 /*v281*/
	s_set_vgpr_msb 0x41                     ;  msbs: dst=1 src0=1 src1=0 src2=0
	v_mul_i32_i24_e32 v134 /*v390*/, v43 /*v299*/, v240
	v_mul_i32_i24_e32 v135 /*v391*/, v41 /*v297*/, v253
	s_set_vgpr_msb 0x55                     ;  msbs: dst=1 src0=1 src1=1 src2=1
	v_add3_u32 v36 /*v292*/, v36 /*v292*/, v37 /*v293*/, v38 /*v294*/
	s_set_vgpr_msb 0x41                     ;  msbs: dst=1 src0=1 src1=0 src2=0
	v_mul_i32_i24_e32 v38 /*v294*/, v59 /*v315*/, v214
	s_set_vgpr_msb 0x55                     ;  msbs: dst=1 src0=1 src1=1 src2=1
	v_add3_u32 v120 /*v376*/, v120 /*v376*/, v121 /*v377*/, v122 /*v378*/
	s_set_vgpr_msb 64                       ;  msbs: dst=1 src0=0 src1=0 src2=0
	v_mul_i32_i24_e32 v121 /*v377*/, v220, v205
	s_set_vgpr_msb 0x41                     ;  msbs: dst=1 src0=1 src1=0 src2=0
	v_mul_i32_i24_e32 v122 /*v378*/, v60 /*v316*/, v240
	s_set_vgpr_msb 0x55                     ;  msbs: dst=1 src0=1 src1=1 src2=1
	v_add3_u32 v123 /*v379*/, v123 /*v379*/, v124 /*v380*/, v125 /*v381*/
	v_add3_u32 v128 /*v384*/, v128 /*v384*/, v129 /*v385*/, v130 /*v386*/
	v_mul_i32_i24_e32 v130 /*v386*/, v60 /*v316*/, v67 /*v323*/
	v_mad_i32_i24 v131 /*v387*/, v35 /*v291*/, v85 /*v341*/, v131 /*v387*/
	s_set_vgpr_msb 64                       ;  msbs: dst=1 src0=0 src1=0 src2=0
	v_bfe_u32 v8 /*v264*/, v85, 8, 4
	v_bfe_u32 v9 /*v265*/, v85, 24, 4
	;; [unrolled: 1-line block ×3, first 2 shown]
	v_dual_ashrrev_i32 v20 /*v276*/, 24, v88 :: v_dual_lshrrev_b32 v22 /*v278*/, 28, v85
	s_set_vgpr_msb 0                        ;  msbs: dst=0 src0=0 src1=0 src2=0
	v_bfe_i32 v199, v87, 0, 8
	v_bfe_i32 v201, v87, 8, 8
	v_bfe_i32 v197, v87, 16, 8
	s_set_vgpr_msb 64                       ;  msbs: dst=1 src0=0 src1=0 src2=0
	v_bfe_u32 v21 /*v277*/, v85, 4, 4
	v_bfe_u32 v26 /*v282*/, v85, 12, 4
	;; [unrolled: 1-line block ×3, first 2 shown]
	s_set_vgpr_msb 0                        ;  msbs: dst=0 src0=0 src1=0 src2=0
	v_cvt_f32_f16_e64 v85, v225
	v_cvt_f32_f16_e64 v84, v224
	v_dual_lshrrev_b32 v223, 16, v224 :: v_dual_lshrrev_b32 v224, 16, v225
	v_cvt_f32_f16_e64 v87, v227
	v_cvt_f32_f16_e64 v86, v226
	v_dual_lshrrev_b32 v225, 16, v226 :: v_dual_lshrrev_b32 v226, 16, v227
	v_bfe_u32 v217, v242, 24, 4
	v_lshrrev_b32_e32 v208, 28, v242
	s_set_vgpr_msb 64                       ;  msbs: dst=1 src0=0 src1=0 src2=0
	v_dual_ashrrev_i32 v57 /*v313*/, 24, v255 :: v_dual_lshrrev_b32 v66 /*v322*/, 28, v150
	s_set_vgpr_msb 4                        ;  msbs: dst=0 src0=0 src1=1 src2=0
	v_ashrrev_i32_e32 v227, 24, v5 /*v261*/
	s_set_vgpr_msb 64                       ;  msbs: dst=1 src0=0 src1=0 src2=0
	v_bfe_u32 v64 /*v320*/, v150, 4, 4
	v_bfe_u32 v65 /*v321*/, v150, 20, 4
	v_bfe_i32 v72 /*v328*/, v118, 0, 8
	v_bfe_i32 v73 /*v329*/, v118, 16, 8
	s_set_vgpr_msb 0                        ;  msbs: dst=0 src0=0 src1=0 src2=0
	v_ashrrev_i32_e32 v118, 24, v118
	s_set_vgpr_msb 64                       ;  msbs: dst=1 src0=0 src1=0 src2=0
	v_bfe_i32 v75 /*v331*/, v116, 0, 8
	v_bfe_i32 v76 /*v332*/, v116, 16, 8
	s_set_vgpr_msb 0                        ;  msbs: dst=0 src0=0 src1=0 src2=0
	v_ashrrev_i32_e32 v116, 24, v116
	v_mul_i32_i24_e32 v250, v247, v250
	s_set_vgpr_msb 0x45                     ;  msbs: dst=1 src0=1 src1=1 src2=0
	v_mul_i32_i24_e32 v136 /*v392*/, v42 /*v298*/, v0 /*v256*/
	v_mul_i32_i24_e32 v124 /*v380*/, v62 /*v318*/, v3 /*v259*/
	s_set_vgpr_msb 0x44                     ;  msbs: dst=1 src0=0 src1=1 src2=0
	v_mul_i32_i24_e32 v125 /*v381*/, v120, v6 /*v262*/
	s_set_vgpr_msb 0x55                     ;  msbs: dst=1 src0=1 src1=1 src2=1
	v_add3_u32 v119 /*v375*/, v119 /*v375*/, v126 /*v382*/, v127 /*v383*/
	v_mul_i32_i24_e32 v126 /*v382*/, v60 /*v316*/, v63 /*v319*/
	v_add3_u32 v131 /*v387*/, v131 /*v387*/, v132 /*v388*/, v133 /*v389*/
	v_mul_i32_i24_e32 v132 /*v388*/, v62 /*v318*/, v69 /*v325*/
	s_set_vgpr_msb 0x44                     ;  msbs: dst=1 src0=0 src1=1 src2=0
	v_mul_i32_i24_e32 v133 /*v389*/, v120, v70 /*v326*/
	s_set_vgpr_msb 0x55                     ;  msbs: dst=1 src0=1 src1=1 src2=1
	v_add3_u32 v36 /*v292*/, v36 /*v292*/, v134 /*v390*/, v44 /*v300*/
	s_set_vgpr_msb 0x41                     ;  msbs: dst=1 src0=1 src1=0 src2=0
	v_mul_i32_i24_e32 v44 /*v300*/, v71 /*v327*/, v240
	s_set_vgpr_msb 17                       ;  msbs: dst=0 src0=1 src1=0 src2=1
	v_mad_i32_i24 v249, v28 /*v284*/, v249, v135 /*v391*/
	s_set_vgpr_msb 0x55                     ;  msbs: dst=1 src0=1 src1=1 src2=1
	v_add3_u32 v38 /*v294*/, v123 /*v379*/, v38 /*v294*/, v121 /*v377*/
	s_set_vgpr_msb 0x51                     ;  msbs: dst=1 src0=1 src1=0 src2=1
	v_mul_i32_i24_e32 v121 /*v377*/, v74 /*v330*/, v240
	v_mad_i32_i24 v122 /*v378*/, v61 /*v317*/, v236, v122 /*v378*/
	s_set_vgpr_msb 0x55                     ;  msbs: dst=1 src0=1 src1=1 src2=1
	v_mad_i32_i24 v130 /*v386*/, v61 /*v317*/, v68 /*v324*/, v130 /*v386*/
	s_set_vgpr_msb 64                       ;  msbs: dst=1 src0=0 src1=0 src2=0
	v_bfe_i32 v14 /*v270*/, v88, 16, 8
	v_bfe_i32 v15 /*v271*/, v88, 8, 8
	;; [unrolled: 1-line block ×3, first 2 shown]
	s_set_vgpr_msb 0                        ;  msbs: dst=0 src0=0 src1=0 src2=0
	v_bfe_i32 v207, v89, 16, 8
	v_bfe_i32 v212, v89, 8, 8
	;; [unrolled: 1-line block ×3, first 2 shown]
	v_dual_ashrrev_i32 v209, 24, v89 :: v_dual_bitop2_b32 v232, 15, v90 bitop3:0x40
	s_set_vgpr_msb 64                       ;  msbs: dst=1 src0=0 src1=0 src2=0
	v_bfe_u32 v29 /*v285*/, v90, 8, 4
	v_bfe_u32 v30 /*v286*/, v90, 24, 4
	s_set_vgpr_msb 0                        ;  msbs: dst=0 src0=0 src1=0 src2=0
	v_bfe_u32 v233, v90, 16, 4
	v_bfe_u32 v221, v90, 4, 4
	;; [unrolled: 1-line block ×6, first 2 shown]
	v_and_b32_e32 v203, 15, v91
	v_cvt_f32_f16_e64 v89, v149
	v_cvt_f32_f16_e64 v88, v148
	s_set_vgpr_msb 64                       ;  msbs: dst=1 src0=0 src1=0 src2=0
	v_dual_lshrrev_b32 v31 /*v287*/, 16, v149 :: v_dual_lshrrev_b32 v33 /*v289*/, 16, v148
	s_set_vgpr_msb 0                        ;  msbs: dst=0 src0=0 src1=0 src2=0
	v_bfe_u32 v206, v91, 16, 4
	v_bfe_u32 v148, v91, 4, 4
	v_lshrrev_b32_e32 v149, 28, v91
	s_set_vgpr_msb 64                       ;  msbs: dst=1 src0=0 src1=0 src2=0
	v_bfe_u32 v110 /*v366*/, v91, 12, 4
	s_set_vgpr_msb 0                        ;  msbs: dst=0 src0=0 src1=0 src2=0
	v_bfe_u32 v202, v91, 20, 4
	v_and_b32_e32 v91, 15, v242
	s_set_vgpr_msb 64                       ;  msbs: dst=1 src0=0 src1=0 src2=0
	v_bfe_i32 v58 /*v314*/, v255, 0, 8
	s_set_vgpr_msb 0                        ;  msbs: dst=0 src0=0 src1=0 src2=0
	v_bfe_u32 v210, v242, 4, 4
	s_set_vgpr_msb 1                        ;  msbs: dst=0 src0=1 src1=0 src2=0
	v_bfe_i32 v228, v5 /*v261*/, 0, 8
	s_set_vgpr_msb 64                       ;  msbs: dst=1 src0=0 src1=0 src2=0
	v_bfe_i32 v77 /*v333*/, v114, 8, 8
	v_bfe_i32 v78 /*v334*/, v114, 0, 8
	v_bfe_i32 v79 /*v335*/, v114, 16, 8
	s_wait_dscnt 0x12
	s_set_vgpr_msb 0                        ;  msbs: dst=0 src0=0 src1=0 src2=0
	v_ashrrev_i32_e32 v114, 24, v135
	s_set_vgpr_msb 0x41                     ;  msbs: dst=1 src0=1 src1=0 src2=0
	v_mul_i32_i24_e32 v137 /*v393*/, v57 /*v313*/, v217
	s_set_vgpr_msb 64                       ;  msbs: dst=1 src0=0 src1=0 src2=0
	v_mul_i32_i24_e32 v138 /*v394*/, v227, v208
	s_set_vgpr_msb 0x45                     ;  msbs: dst=1 src0=1 src1=1 src2=0
	v_mul_i32_i24_e32 v127 /*v383*/, v62 /*v318*/, v65 /*v321*/
	s_set_vgpr_msb 0x44                     ;  msbs: dst=1 src0=0 src1=1 src2=0
	v_mul_i32_i24_e32 v129 /*v385*/, v120, v66 /*v322*/
	s_set_vgpr_msb 0x45                     ;  msbs: dst=1 src0=1 src1=1 src2=0
	v_mul_i32_i24_e32 v134 /*v390*/, v73 /*v329*/, v3 /*v259*/
	s_set_vgpr_msb 0x44                     ;  msbs: dst=1 src0=0 src1=1 src2=0
	v_mul_i32_i24_e32 v135 /*v391*/, v118, v6 /*v262*/
	s_set_vgpr_msb 4                        ;  msbs: dst=0 src0=0 src1=1 src2=0
	v_add3_u32 v249, v250, v136 /*v392*/, v249
	s_set_vgpr_msb 5                        ;  msbs: dst=0 src0=1 src1=1 src2=0
	v_mul_i32_i24_e32 v250, v71 /*v327*/, v63 /*v319*/
	s_set_vgpr_msb 0x55                     ;  msbs: dst=1 src0=1 src1=1 src2=1
	v_mul_i32_i24_e32 v123 /*v379*/, v76 /*v332*/, v3 /*v259*/
	v_add3_u32 v122 /*v378*/, v122 /*v378*/, v124 /*v380*/, v125 /*v381*/
	s_set_vgpr_msb 0x44                     ;  msbs: dst=1 src0=0 src1=1 src2=0
	v_mul_i32_i24_e32 v124 /*v380*/, v116, v6 /*v262*/
	s_set_vgpr_msb 0x55                     ;  msbs: dst=1 src0=1 src1=1 src2=1
	v_mul_i32_i24_e32 v125 /*v381*/, v74 /*v330*/, v63 /*v319*/
	v_mad_i32_i24 v126 /*v382*/, v61 /*v317*/, v64 /*v320*/, v126 /*v382*/
	v_add3_u32 v130 /*v386*/, v130 /*v386*/, v132 /*v388*/, v133 /*v389*/
	v_mul_i32_i24_e32 v132 /*v388*/, v74 /*v330*/, v67 /*v323*/
	s_set_vgpr_msb 0x51                     ;  msbs: dst=1 src0=1 src1=0 src2=1
	v_mad_i32_i24 v44 /*v300*/, v72 /*v328*/, v236, v44 /*v300*/
	v_mad_i32_i24 v121 /*v377*/, v75 /*v331*/, v236, v121 /*v377*/
	s_set_vgpr_msb 64                       ;  msbs: dst=1 src0=0 src1=0 src2=0
	v_bfe_i32 v82 /*v338*/, v112, 8, 8
	s_set_vgpr_msb 0x41                     ;  msbs: dst=1 src0=1 src1=0 src2=0
	v_mul_i32_i24_e32 v139 /*v395*/, v58 /*v314*/, v91
	s_set_vgpr_msb 64                       ;  msbs: dst=1 src0=0 src1=0 src2=0
	v_mul_i32_i24_e32 v37 /*v293*/, v228, v210
	s_set_vgpr_msb 0x55                     ;  msbs: dst=1 src0=1 src1=1 src2=1
	v_mul_i32_i24_e32 v136 /*v392*/, v73 /*v329*/, v65 /*v321*/
	v_add3_u32 v120 /*v376*/, v120 /*v376*/, v137 /*v393*/, v138 /*v394*/
	s_set_vgpr_msb 0x44                     ;  msbs: dst=1 src0=0 src1=1 src2=0
	v_mul_i32_i24_e32 v137 /*v393*/, v118, v66 /*v322*/
	s_set_vgpr_msb 0x55                     ;  msbs: dst=1 src0=1 src1=1 src2=1
	v_mul_i32_i24_e32 v138 /*v394*/, v71 /*v327*/, v67 /*v323*/
	v_add3_u32 v126 /*v382*/, v126 /*v382*/, v127 /*v383*/, v129 /*v385*/
	v_mul_i32_i24_e32 v127 /*v383*/, v76 /*v332*/, v65 /*v321*/
	s_set_vgpr_msb 0x44                     ;  msbs: dst=1 src0=0 src1=1 src2=0
	v_mul_i32_i24_e32 v129 /*v385*/, v116, v66 /*v322*/
	s_set_vgpr_msb 0x55                     ;  msbs: dst=1 src0=1 src1=1 src2=1
	v_mul_i32_i24_e32 v133 /*v389*/, v76 /*v332*/, v69 /*v325*/
	v_add3_u32 v44 /*v300*/, v44 /*v300*/, v134 /*v390*/, v135 /*v391*/
	s_set_vgpr_msb 0x44                     ;  msbs: dst=1 src0=0 src1=1 src2=0
	v_mul_i32_i24_e32 v134 /*v390*/, v116, v70 /*v326*/
	s_set_vgpr_msb 0x41                     ;  msbs: dst=1 src0=1 src1=0 src2=0
	v_mul_i32_i24_e32 v135 /*v391*/, v77 /*v333*/, v240
	s_set_vgpr_msb 5                        ;  msbs: dst=0 src0=1 src1=1 src2=0
	v_mad_i32_i24 v250, v72 /*v328*/, v64 /*v320*/, v250
	s_set_vgpr_msb 0x55                     ;  msbs: dst=1 src0=1 src1=1 src2=1
	v_add3_u32 v121 /*v377*/, v121 /*v377*/, v123 /*v379*/, v124 /*v380*/
	v_mul_i32_i24_e32 v124 /*v380*/, v77 /*v333*/, v67 /*v323*/
	v_mad_i32_i24 v125 /*v381*/, v75 /*v331*/, v64 /*v320*/, v125 /*v381*/
	v_mad_i32_i24 v132 /*v388*/, v75 /*v331*/, v68 /*v324*/, v132 /*v388*/
	s_set_vgpr_msb 64                       ;  msbs: dst=1 src0=0 src1=0 src2=0
	v_bfe_i32 v83 /*v339*/, v112, 0, 8
	v_bfe_i32 v86 /*v342*/, v112, 16, 8
	v_dual_ashrrev_i32 v89 /*v345*/, 24, v112 :: v_dual_ashrrev_i32 v92 /*v348*/, 24, v110
	s_set_vgpr_msb 0x55                     ;  msbs: dst=1 src0=1 src1=1 src2=1
	v_add3_u32 v37 /*v293*/, v119 /*v375*/, v139 /*v395*/, v37 /*v293*/
	v_mul_i32_i24_e32 v119 /*v375*/, v73 /*v329*/, v69 /*v325*/
	s_set_vgpr_msb 0x44                     ;  msbs: dst=1 src0=0 src1=1 src2=0
	v_mul_i32_i24_e32 v139 /*v395*/, v118, v70 /*v326*/
	s_set_vgpr_msb 20                       ;  msbs: dst=0 src0=0 src1=1 src2=1
	v_add3_u32 v250, v250, v136 /*v392*/, v137 /*v393*/
	s_set_vgpr_msb 0x55                     ;  msbs: dst=1 src0=1 src1=1 src2=1
	v_mul_i32_i24_e32 v136 /*v392*/, v79 /*v335*/, v3 /*v259*/
	v_mul_i32_i24_e32 v137 /*v393*/, v81 /*v337*/, v6 /*v262*/
	v_mad_i32_i24 v138 /*v394*/, v72 /*v328*/, v68 /*v324*/, v138 /*v394*/
	v_add3_u32 v125 /*v381*/, v125 /*v381*/, v127 /*v383*/, v129 /*v385*/
	v_mul_i32_i24_e32 v127 /*v383*/, v79 /*v335*/, v69 /*v325*/
	v_mul_i32_i24_e32 v129 /*v385*/, v81 /*v337*/, v70 /*v326*/
	v_add3_u32 v132 /*v388*/, v132 /*v388*/, v133 /*v389*/, v134 /*v390*/
	s_set_vgpr_msb 0x51                     ;  msbs: dst=1 src0=1 src1=0 src2=1
	v_mul_i32_i24_e32 v133 /*v389*/, v82 /*v338*/, v240
	v_mad_i32_i24 v135 /*v391*/, v78 /*v334*/, v236, v135 /*v391*/
	s_set_vgpr_msb 0x55                     ;  msbs: dst=1 src0=1 src1=1 src2=1
	v_mad_i32_i24 v124 /*v380*/, v78 /*v334*/, v68 /*v324*/, v124 /*v380*/
	s_set_vgpr_msb 0                        ;  msbs: dst=0 src0=0 src1=0 src2=0
	v_lshrrev_b16 v154, 8, v154
	s_set_vgpr_msb 0x55                     ;  msbs: dst=1 src0=1 src1=1 src2=1
	v_add3_u32 v119 /*v375*/, v138 /*v394*/, v119 /*v375*/, v139 /*v395*/
	v_mul_i32_i24_e32 v138 /*v394*/, v77 /*v333*/, v63 /*v319*/
	v_mul_i32_i24_e32 v134 /*v390*/, v86 /*v342*/, v3 /*v259*/
	v_add3_u32 v135 /*v391*/, v135 /*v391*/, v136 /*v392*/, v137 /*v393*/
	v_mul_i32_i24_e32 v136 /*v392*/, v89 /*v345*/, v6 /*v262*/
	v_add3_u32 v124 /*v380*/, v124 /*v380*/, v127 /*v383*/, v129 /*v385*/
	v_mul_i32_i24_e32 v127 /*v383*/, v82 /*v338*/, v67 /*v323*/
	s_set_vgpr_msb 0x51                     ;  msbs: dst=1 src0=1 src1=0 src2=1
	v_mad_i32_i24 v133 /*v389*/, v83 /*v339*/, v236, v133 /*v389*/
	s_set_vgpr_msb 0x44                     ;  msbs: dst=1 src0=0 src1=1 src2=0
	v_bfe_i32 v88 /*v344*/, v110, 8, 8
	v_mul_i32_i24_e32 v93 /*v349*/, v253, v3 /*v259*/
	s_set_vgpr_msb 0x55                     ;  msbs: dst=1 src0=1 src1=1 src2=1
	v_mul_i32_i24_e32 v94 /*v350*/, v7 /*v263*/, v6 /*v262*/
	v_mul_i32_i24_e32 v139 /*v395*/, v79 /*v335*/, v65 /*v321*/
	;; [unrolled: 1-line block ×4, first 2 shown]
	v_mad_i32_i24 v138 /*v394*/, v78 /*v334*/, v64 /*v320*/, v138 /*v394*/
	v_mul_i32_i24_e32 v129 /*v385*/, v86 /*v342*/, v69 /*v325*/
	v_add3_u32 v133 /*v389*/, v133 /*v389*/, v134 /*v390*/, v136 /*v392*/
	v_mul_i32_i24_e32 v134 /*v390*/, v89 /*v345*/, v70 /*v326*/
	v_mad_i32_i24 v127 /*v383*/, v83 /*v339*/, v68 /*v324*/, v127 /*v383*/
	s_set_vgpr_msb 0                        ;  msbs: dst=0 src0=0 src1=0 src2=0
	v_bfe_i32 v154, v154, 0, 8
	s_set_vgpr_msb 64                       ;  msbs: dst=1 src0=0 src1=0 src2=0
	v_bfe_i32 v90 /*v346*/, v110, 0, 8
	v_bfe_i32 v91 /*v347*/, v110, 16, 8
	s_set_vgpr_msb 0x55                     ;  msbs: dst=1 src0=1 src1=1 src2=1
	v_add3_u32 v123 /*v379*/, v138 /*v394*/, v139 /*v395*/, v123 /*v379*/
	v_mul_i32_i24_e32 v138 /*v394*/, v86 /*v342*/, v65 /*v321*/
	v_mul_i32_i24_e32 v139 /*v395*/, v89 /*v345*/, v66 /*v322*/
	s_set_vgpr_msb 0x41                     ;  msbs: dst=1 src0=1 src1=0 src2=0
	v_mul_i32_i24_e32 v136 /*v392*/, v88 /*v344*/, v240
	s_set_vgpr_msb 0x55                     ;  msbs: dst=1 src0=1 src1=1 src2=1
	v_mad_i32_i24 v137 /*v393*/, v83 /*v339*/, v64 /*v320*/, v137 /*v393*/
	v_add3_u32 v127 /*v383*/, v127 /*v383*/, v129 /*v385*/, v134 /*v390*/
	v_mul_i32_i24_e32 v129 /*v385*/, v88 /*v344*/, v63 /*v319*/
	v_add3_u32 v36 /*v292*/, v36 /*v292*/, v93 /*v349*/, v94 /*v350*/
	v_mul_i32_i24_e32 v94 /*v350*/, v43 /*v299*/, v63 /*v319*/
	s_set_vgpr_msb 0                        ;  msbs: dst=0 src0=0 src1=0 src2=0
	v_mul_i32_i24_e32 v240, v154, v240
	s_set_vgpr_msb 0x44                     ;  msbs: dst=1 src0=0 src1=1 src2=0
	v_mul_i32_i24_e32 v63 /*v319*/, v154, v63 /*v319*/
	s_set_vgpr_msb 0x55                     ;  msbs: dst=1 src0=1 src1=1 src2=1
	v_add3_u32 v137 /*v393*/, v137 /*v393*/, v138 /*v394*/, v139 /*v395*/
	v_mul_i32_i24_e32 v138 /*v394*/, v91 /*v347*/, v3 /*v259*/
	v_mul_i32_i24_e32 v139 /*v395*/, v92 /*v348*/, v6 /*v262*/
	s_set_vgpr_msb 0x51                     ;  msbs: dst=1 src0=1 src1=0 src2=1
	v_mad_i32_i24 v136 /*v392*/, v90 /*v346*/, v236, v136 /*v392*/
	s_set_vgpr_msb 0x55                     ;  msbs: dst=1 src0=1 src1=1 src2=1
	v_mad_i32_i24 v129 /*v385*/, v90 /*v346*/, v64 /*v320*/, v129 /*v385*/
	v_mul_i32_i24_e32 v93 /*v349*/, v0 /*v256*/, v64 /*v320*/
	s_set_vgpr_msb 1                        ;  msbs: dst=0 src0=1 src1=0 src2=0
	v_mad_i32_i24 v236, v46 /*v302*/, v236, v240
	s_set_vgpr_msb 0x55                     ;  msbs: dst=1 src0=1 src1=1 src2=1
	v_mad_i32_i24 v63 /*v319*/, v46 /*v302*/, v64 /*v320*/, v63 /*v319*/
	s_set_vgpr_msb 0x44                     ;  msbs: dst=1 src0=0 src1=1 src2=0
	v_mul_i32_i24_e32 v64 /*v320*/, v154, v67 /*v323*/
	s_set_vgpr_msb 0x45                     ;  msbs: dst=1 src0=1 src1=1 src2=0
	v_mul_i32_i24_e32 v3 /*v259*/, v47 /*v303*/, v3 /*v259*/
	v_mul_i32_i24_e32 v6 /*v262*/, v45 /*v301*/, v6 /*v262*/
	s_set_vgpr_msb 0                        ;  msbs: dst=0 src0=0 src1=0 src2=0
	v_bfe_u32 v198, v243, 24, 4
	s_wait_dscnt 0x11
	s_set_vgpr_msb 64                       ;  msbs: dst=1 src0=0 src1=0 src2=0
	v_dual_lshrrev_b32 v2 /*v258*/, 28, v243 :: v_dual_ashrrev_i32 v96 /*v352*/, 24, v146
	s_set_vgpr_msb 0                        ;  msbs: dst=0 src0=0 src1=0 src2=0
	v_ashrrev_i32_e32 v150, 24, v155
	s_set_vgpr_msb 0x55                     ;  msbs: dst=1 src0=1 src1=1 src2=1
	v_mad_i32_i24 v46 /*v302*/, v46 /*v302*/, v68 /*v324*/, v64 /*v320*/
	s_set_vgpr_msb 20                       ;  msbs: dst=0 src0=0 src1=1 src2=1
	v_add3_u32 v236, v236, v3 /*v259*/, v6 /*v262*/
	s_set_vgpr_msb 0x45                     ;  msbs: dst=1 src0=1 src1=1 src2=0
	v_mul_i32_i24_e32 v3 /*v259*/, v47 /*v303*/, v65 /*v321*/
	v_mul_i32_i24_e32 v6 /*v262*/, v45 /*v301*/, v66 /*v322*/
	;; [unrolled: 1-line block ×4, first 2 shown]
	s_set_vgpr_msb 0                        ;  msbs: dst=0 src0=0 src1=0 src2=0
	v_cvt_f32_f16_e64 v82, v204
	v_bfe_u32 v251, v243, 16, 4
	v_bfe_i32 v110, v135, 16, 8
	s_set_vgpr_msb 64                       ;  msbs: dst=1 src0=0 src1=0 src2=0
	v_bfe_u32 v32 /*v288*/, v243, 20, 4
	s_set_vgpr_msb 0                        ;  msbs: dst=0 src0=0 src1=0 src2=0
	v_bfe_i32 v204, v155, 16, 8
	s_set_vgpr_msb 0x55                     ;  msbs: dst=1 src0=1 src1=1 src2=1
	v_add3_u32 v45 /*v301*/, v46 /*v302*/, v47 /*v303*/, v45 /*v301*/
	s_set_vgpr_msb 64                       ;  msbs: dst=1 src0=0 src1=0 src2=0
	v_mul_i32_i24_e32 v46 /*v302*/, v114, v198
	s_set_vgpr_msb 0x44                     ;  msbs: dst=1 src0=0 src1=1 src2=0
	v_mul_i32_i24_e32 v47 /*v303*/, v150, v2 /*v258*/
	s_set_vgpr_msb 0                        ;  msbs: dst=0 src0=0 src1=0 src2=0
	v_and_b32_e32 v245, 15, v243
	v_bfe_i32 v112, v135, 0, 8
	s_set_vgpr_msb 64                       ;  msbs: dst=1 src0=0 src1=0 src2=0
	v_bfe_u32 v11 /*v267*/, v243, 4, 4
	s_set_vgpr_msb 0                        ;  msbs: dst=0 src0=0 src1=0 src2=0
	v_bfe_i32 v152, v155, 0, 8
	s_set_vgpr_msb 0x55                     ;  msbs: dst=1 src0=1 src1=1 src2=1
	v_add3_u32 v3 /*v259*/, v63 /*v319*/, v3 /*v259*/, v6 /*v262*/
	v_add3_u32 v46 /*v302*/, v120 /*v376*/, v46 /*v302*/, v47 /*v303*/
	s_set_vgpr_msb 64                       ;  msbs: dst=1 src0=0 src1=0 src2=0
	v_mul_i32_i24_e32 v47 /*v303*/, v110, v251
	s_set_vgpr_msb 0x44                     ;  msbs: dst=1 src0=0 src1=1 src2=0
	v_mul_i32_i24_e32 v63 /*v319*/, v204, v32 /*v288*/
	v_bfe_i32 v95 /*v351*/, v146, 8, 8
	s_wait_dscnt 0x3
	v_bfe_i32 v169 /*v425*/, v100, 0, 8
	v_bfe_i32 v170 /*v426*/, v100, 8, 8
	;; [unrolled: 1-line block ×3, first 2 shown]
	s_set_vgpr_msb 0x55                     ;  msbs: dst=1 src0=1 src1=1 src2=1
	v_add3_u32 v38 /*v294*/, v38 /*v294*/, v47 /*v303*/, v63 /*v319*/
	s_set_vgpr_msb 0x44                     ;  msbs: dst=1 src0=0 src1=1 src2=0
	v_mul_i32_i24_e32 v63 /*v319*/, v152, v11 /*v267*/
	s_set_vgpr_msb 0                        ;  msbs: dst=0 src0=0 src1=0 src2=0
	v_ashrrev_i32_e32 v100, 24, v100
	s_set_vgpr_msb 64                       ;  msbs: dst=1 src0=0 src1=0 src2=0
	v_mul_i32_i24_e32 v47 /*v303*/, v112, v245
	v_bfe_u32 v97 /*v353*/, v151, 8, 4
	v_bfe_u32 v98 /*v354*/, v151, 24, 4
	;; [unrolled: 1-line block ×4, first 2 shown]
	s_set_vgpr_msb 0x55                     ;  msbs: dst=1 src0=1 src1=1 src2=1
	v_add3_u32 v37 /*v293*/, v37 /*v293*/, v47 /*v303*/, v63 /*v319*/
	v_mul_i32_i24_e32 v47 /*v303*/, v95 /*v351*/, v8 /*v264*/
	v_mul_i32_i24_e32 v63 /*v319*/, v96 /*v352*/, v9 /*v265*/
	;; [unrolled: 1-line block ×3, first 2 shown]
	s_set_vgpr_msb 64                       ;  msbs: dst=1 src0=0 src1=0 src2=0
	v_bfe_i32 v101 /*v357*/, v136, 8, 8
	v_dual_ashrrev_i32 v102 /*v358*/, 24, v136 :: v_dual_ashrrev_i32 v104 /*v360*/, 24, v138
	s_set_vgpr_msb 0x55                     ;  msbs: dst=1 src0=1 src1=1 src2=1
	v_add3_u32 v47 /*v303*/, v122 /*v378*/, v63 /*v319*/, v47 /*v303*/
	v_mul_i32_i24_e32 v63 /*v319*/, v95 /*v351*/, v97 /*v353*/
	v_mul_i32_i24_e32 v122 /*v378*/, v96 /*v352*/, v100 /*v356*/
	s_set_vgpr_msb 64                       ;  msbs: dst=1 src0=0 src1=0 src2=0
	v_bfe_i32 v103 /*v359*/, v138, 8, 8
	v_bfe_i32 v105 /*v361*/, v140, 8, 8
	v_dual_ashrrev_i32 v106 /*v362*/, 24, v140 :: v_dual_ashrrev_i32 v109 /*v365*/, 24, v142
	s_set_vgpr_msb 0x55                     ;  msbs: dst=1 src0=1 src1=1 src2=1
	v_add3_u32 v63 /*v319*/, v126 /*v382*/, v120 /*v376*/, v63 /*v319*/
	v_mul_i32_i24_e32 v120 /*v376*/, v95 /*v351*/, v99 /*v355*/
	v_mul_i32_i24_e32 v126 /*v382*/, v102 /*v358*/, v9 /*v265*/
	v_add3_u32 v93 /*v349*/, v128 /*v384*/, v94 /*v350*/, v93 /*v349*/
	v_mul_i32_i24_e32 v128 /*v384*/, v106 /*v362*/, v9 /*v265*/
	s_set_vgpr_msb 64                       ;  msbs: dst=1 src0=0 src1=0 src2=0
	v_bfe_i32 v108 /*v364*/, v142, 8, 8
	s_set_vgpr_msb 0x55                     ;  msbs: dst=1 src0=1 src1=1 src2=1
	v_add3_u32 v120 /*v376*/, v130 /*v386*/, v122 /*v378*/, v120 /*v376*/
	v_mul_i32_i24_e32 v122 /*v378*/, v101 /*v357*/, v8 /*v264*/
	v_mul_i32_i24_e32 v130 /*v386*/, v106 /*v362*/, v98 /*v354*/
	v_add3_u32 v136 /*v392*/, v136 /*v392*/, v138 /*v394*/, v139 /*v395*/
	v_mul_i32_i24_e32 v139 /*v395*/, v88 /*v344*/, v67 /*v323*/
	v_mul_i32_i24_e32 v0 /*v256*/, v0 /*v256*/, v68 /*v324*/
	;; [unrolled: 3-line block ×3, first 2 shown]
	v_mul_i32_i24_e32 v67 /*v323*/, v43 /*v299*/, v67 /*v323*/
	s_set_vgpr_msb 64                       ;  msbs: dst=1 src0=0 src1=0 src2=0
	v_bfe_i32 v111 /*v367*/, v144, 8, 8
	v_dual_ashrrev_i32 v112 /*v368*/, 24, v144 :: v_dual_lshrrev_b32 v115 /*v371*/, 4, v234
	s_set_vgpr_msb 20                       ;  msbs: dst=0 src0=0 src1=1 src2=1
	v_add3_u32 v250, v250, v126 /*v382*/, v122 /*v378*/
	s_set_vgpr_msb 0x55                     ;  msbs: dst=1 src0=1 src1=1 src2=1
	v_mul_i32_i24_e32 v122 /*v378*/, v101 /*v357*/, v99 /*v355*/
	v_mul_i32_i24_e32 v126 /*v382*/, v102 /*v358*/, v100 /*v356*/
	v_add3_u32 v0 /*v256*/, v131 /*v387*/, v67 /*v323*/, v0 /*v256*/
	v_mul_i32_i24_e32 v131 /*v387*/, v109 /*v365*/, v98 /*v354*/
	s_set_vgpr_msb 0                        ;  msbs: dst=0 src0=0 src1=0 src2=0
	v_bfe_i32 v254, v254, 8, 8
	s_set_vgpr_msb 0x55                     ;  msbs: dst=1 src0=1 src1=1 src2=1
	v_mul_i32_i24_e32 v134 /*v390*/, v91 /*v347*/, v65 /*v321*/
	v_add3_u32 v119 /*v375*/, v119 /*v375*/, v126 /*v382*/, v122 /*v378*/
	v_mul_i32_i24_e32 v122 /*v378*/, v103 /*v359*/, v8 /*v264*/
	v_mul_i32_i24_e32 v126 /*v382*/, v104 /*v360*/, v9 /*v265*/
	;; [unrolled: 1-line block ×3, first 2 shown]
	s_set_vgpr_msb 0x44                     ;  msbs: dst=1 src0=0 src1=1 src2=0
	v_mul_i32_i24_e32 v65 /*v321*/, v253, v65 /*v321*/
	s_set_vgpr_msb 0x55                     ;  msbs: dst=1 src0=1 src1=1 src2=1
	v_mul_i32_i24_e32 v66 /*v322*/, v7 /*v263*/, v66 /*v322*/
	v_mul_i32_i24_e32 v114 /*v370*/, v13 /*v269*/, v8 /*v264*/
	v_add3_u32 v121 /*v377*/, v121 /*v377*/, v126 /*v382*/, v122 /*v378*/
	v_mul_i32_i24_e32 v122 /*v378*/, v103 /*v359*/, v97 /*v353*/
	v_mul_i32_i24_e32 v126 /*v382*/, v104 /*v360*/, v98 /*v354*/
	s_set_vgpr_msb 64                       ;  msbs: dst=1 src0=0 src1=0 src2=0
	v_bfe_u32 v87 /*v343*/, v234, 24, 4
	s_set_vgpr_msb 0                        ;  msbs: dst=0 src0=0 src1=0 src2=0
	v_and_b32_e32 v234, 0xf0f0f0f, v234
	s_set_vgpr_msb 64                       ;  msbs: dst=1 src0=0 src1=0 src2=0
	v_dual_lshrrev_b32 v116 /*v372*/, 4, v235 :: v_dual_lshrrev_b32 v117 /*v373*/, 4, v242
	s_set_vgpr_msb 0x55                     ;  msbs: dst=1 src0=1 src1=1 src2=1
	v_add3_u32 v122 /*v378*/, v125 /*v381*/, v126 /*v382*/, v122 /*v378*/
	v_mul_i32_i24_e32 v125 /*v381*/, v103 /*v359*/, v99 /*v355*/
	v_mul_i32_i24_e32 v126 /*v382*/, v104 /*v360*/, v100 /*v356*/
	v_add3_u32 v129 /*v385*/, v129 /*v385*/, v134 /*v390*/, v138 /*v394*/
	v_mul_i32_i24_e32 v134 /*v390*/, v91 /*v347*/, v69 /*v325*/
	v_mul_i32_i24_e32 v138 /*v394*/, v92 /*v348*/, v70 /*v326*/
	v_add3_u32 v65 /*v321*/, v93 /*v349*/, v65 /*v321*/, v66 /*v322*/
	v_add3_u32 v125 /*v381*/, v132 /*v388*/, v126 /*v382*/, v125 /*v381*/
	v_mul_i32_i24_e32 v126 /*v382*/, v105 /*v361*/, v8 /*v264*/
	v_mul_i32_i24_e32 v132 /*v388*/, v109 /*v365*/, v100 /*v356*/
	;; [unrolled: 1-line block ×3, first 2 shown]
	s_set_vgpr_msb 4                        ;  msbs: dst=0 src0=0 src1=1 src2=0
	v_mul_i32_i24_e32 v253, v253, v69 /*v325*/
	s_set_vgpr_msb 0x55                     ;  msbs: dst=1 src0=1 src1=1 src2=1
	v_mul_i32_i24_e32 v69 /*v325*/, v7 /*v263*/, v70 /*v326*/
	v_add3_u32 v126 /*v382*/, v135 /*v391*/, v128 /*v384*/, v126 /*v382*/
	v_mul_i32_i24_e32 v128 /*v384*/, v105 /*v361*/, v97 /*v353*/
	v_lshrrev_b16 v70 /*v326*/, 8, v115 /*v371*/
	s_set_vgpr_msb 0                        ;  msbs: dst=0 src0=0 src1=0 src2=0
	v_lshrrev_b16 v234, 8, v234
	s_set_vgpr_msb 0x44                     ;  msbs: dst=1 src0=0 src1=1 src2=0
	v_lshrrev_b16 v116 /*v372*/, 8, v116 /*v372*/
	s_set_vgpr_msb 0                        ;  msbs: dst=0 src0=0 src1=0 src2=0
	v_and_b32_e32 v235, 0xf0f0f0f, v235
	s_set_vgpr_msb 0x55                     ;  msbs: dst=1 src0=1 src1=1 src2=1
	v_add3_u32 v123 /*v379*/, v123 /*v379*/, v130 /*v386*/, v128 /*v384*/
	v_mul_i32_i24_e32 v128 /*v384*/, v105 /*v361*/, v99 /*v355*/
	v_mul_i32_i24_e32 v130 /*v386*/, v106 /*v362*/, v100 /*v356*/
	v_and_b32_e32 v70 /*v326*/, 15, v70 /*v326*/
	v_mul_i32_i24_e32 v7 /*v263*/, v34 /*v290*/, v7 /*v263*/
	v_lshrrev_b16 v117 /*v373*/, 8, v117 /*v373*/
	s_set_vgpr_msb 64                       ;  msbs: dst=1 src0=0 src1=0 src2=0
	v_and_b32_e32 v115 /*v371*/, 0xffff, v234
	s_set_vgpr_msb 0x55                     ;  msbs: dst=1 src0=1 src1=1 src2=1
	v_add3_u32 v124 /*v380*/, v124 /*v380*/, v130 /*v386*/, v128 /*v384*/
	v_mul_i32_i24_e32 v128 /*v384*/, v108 /*v364*/, v8 /*v264*/
	v_mul_i32_i24_e32 v130 /*v386*/, v109 /*v365*/, v9 /*v265*/
	s_set_vgpr_msb 4                        ;  msbs: dst=0 src0=0 src1=1 src2=0
	v_and_b32_e32 v234, 0xffff, v70 /*v326*/
	s_set_vgpr_msb 0x44                     ;  msbs: dst=1 src0=0 src1=1 src2=0
	v_and_b32_e32 v70 /*v326*/, 15, v116 /*v372*/
	s_set_vgpr_msb 17                       ;  msbs: dst=0 src0=1 src1=0 src2=1
	v_and_b32_e32 v242, 0xf0f0f0f, v242
	v_mad_i32_i24 v244, v87 /*v343*/, v244, v7 /*v263*/
	s_set_vgpr_msb 0x55                     ;  msbs: dst=1 src0=1 src1=1 src2=1
	v_add3_u32 v128 /*v384*/, v133 /*v389*/, v130 /*v386*/, v128 /*v384*/
	v_mul_i32_i24_e32 v130 /*v386*/, v108 /*v364*/, v97 /*v353*/
	v_mul_i32_i24_e32 v35 /*v291*/, v115 /*v371*/, v35 /*v291*/
	s_set_vgpr_msb 0x44                     ;  msbs: dst=1 src0=0 src1=1 src2=0
	v_mul_i32_i24_e32 v43 /*v299*/, v234, v43 /*v299*/
	v_and_b32_e32 v70 /*v326*/, 0xffff, v70 /*v326*/
	v_and_b32_e32 v116 /*v372*/, 15, v117 /*v373*/
	s_set_vgpr_msb 0x55                     ;  msbs: dst=1 src0=1 src1=1 src2=1
	v_add3_u32 v130 /*v386*/, v137 /*v393*/, v131 /*v387*/, v130 /*v386*/
	v_mul_i32_i24_e32 v131 /*v387*/, v108 /*v364*/, v99 /*v355*/
	s_set_vgpr_msb 0                        ;  msbs: dst=0 src0=0 src1=0 src2=0
	v_lshrrev_b16 v235, 8, v235
	s_set_vgpr_msb 64                       ;  msbs: dst=1 src0=0 src1=0 src2=0
	v_dual_lshrrev_b32 v118 /*v374*/, 4, v243 :: v_dual_bitop2_b32 v64 /*v320*/, 15, v153 bitop3:0x40
	s_set_vgpr_msb 0x55                     ;  msbs: dst=1 src0=1 src1=1 src2=1
	v_mul_i32_i24_e32 v7 /*v263*/, v17 /*v273*/, v53 /*v309*/
	v_add3_u32 v127 /*v383*/, v127 /*v383*/, v132 /*v388*/, v131 /*v387*/
	v_mul_i32_i24_e32 v131 /*v387*/, v111 /*v367*/, v8 /*v264*/
	v_mul_i32_i24_e32 v132 /*v388*/, v112 /*v368*/, v9 /*v265*/
	s_set_vgpr_msb 0x44                     ;  msbs: dst=1 src0=0 src1=1 src2=0
	v_mul_i32_i24_e32 v8 /*v264*/, v254, v8 /*v264*/
	s_set_vgpr_msb 0x45                     ;  msbs: dst=1 src0=1 src1=1 src2=0
	v_mul_i32_i24_e32 v9 /*v265*/, v50 /*v306*/, v9 /*v265*/
	s_set_vgpr_msb 5                        ;  msbs: dst=0 src0=1 src1=1 src2=0
	v_add3_u32 v244, v35 /*v291*/, v43 /*v299*/, v244
	s_set_vgpr_msb 64                       ;  msbs: dst=1 src0=0 src1=0 src2=0
	v_mul_i32_i24_e32 v35 /*v291*/, v207, v205
	s_set_vgpr_msb 0x44                     ;  msbs: dst=1 src0=0 src1=1 src2=0
	v_and_b32_e32 v116 /*v372*/, 0xffff, v116 /*v372*/
	s_set_vgpr_msb 0                        ;  msbs: dst=0 src0=0 src1=0 src2=0
	v_lshrrev_b16 v242, 8, v242
	s_set_vgpr_msb 20                       ;  msbs: dst=0 src0=0 src1=1 src2=1
	v_add3_u32 v236, v236, v9 /*v265*/, v8 /*v264*/
	s_set_vgpr_msb 0x44                     ;  msbs: dst=1 src0=0 src1=1 src2=0
	v_mul_i32_i24_e32 v8 /*v264*/, v254, v97 /*v353*/
	s_set_vgpr_msb 0x45                     ;  msbs: dst=1 src0=1 src1=1 src2=0
	v_mul_i32_i24_e32 v9 /*v265*/, v50 /*v306*/, v98 /*v354*/
	s_set_vgpr_msb 0                        ;  msbs: dst=0 src0=0 src1=0 src2=0
	v_and_b32_e32 v235, 0xffff, v235
	v_bfe_i32 v255, v255, 8, 8
	s_set_vgpr_msb 0x55                     ;  msbs: dst=1 src0=1 src1=1 src2=1
	v_mad_i32_i24 v139 /*v395*/, v90 /*v346*/, v68 /*v324*/, v139 /*v395*/
	v_bfe_i32 v4 /*v260*/, v4 /*v260*/, 8, 8
	v_add3_u32 v3 /*v259*/, v3 /*v259*/, v9 /*v265*/, v8 /*v264*/
	v_mul_i32_i24_e32 v9 /*v265*/, v50 /*v306*/, v100 /*v356*/
	s_set_vgpr_msb 0x44                     ;  msbs: dst=1 src0=0 src1=1 src2=0
	v_mul_i32_i24_e32 v50 /*v306*/, v254, v99 /*v355*/
	s_set_vgpr_msb 64                       ;  msbs: dst=1 src0=0 src1=0 src2=0
	v_mul_i32_i24_e32 v43 /*v299*/, v218, v217
	s_set_vgpr_msb 0x54                     ;  msbs: dst=1 src0=0 src1=1 src2=1
	v_mad_i32_i24 v35 /*v291*/, v212, v116 /*v372*/, v35 /*v291*/
	s_set_vgpr_msb 0                        ;  msbs: dst=0 src0=0 src1=0 src2=0
	v_and_b32_e32 v242, 0xffff, v242
	v_mul_i32_i24_e32 v254, v254, v235
	s_set_vgpr_msb 0x55                     ;  msbs: dst=1 src0=1 src1=1 src2=1
	v_add3_u32 v9 /*v265*/, v45 /*v301*/, v9 /*v265*/, v50 /*v306*/
	s_set_vgpr_msb 0x41                     ;  msbs: dst=1 src0=1 src1=0 src2=0
	v_mul_i32_i24_e32 v45 /*v301*/, v14 /*v270*/, v229
	s_set_vgpr_msb 0x55                     ;  msbs: dst=1 src0=1 src1=1 src2=1
	v_mul_i32_i24_e32 v50 /*v306*/, v16 /*v272*/, v39 /*v295*/
	v_add3_u32 v134 /*v390*/, v139 /*v395*/, v134 /*v390*/, v138 /*v394*/
	s_set_vgpr_msb 64                       ;  msbs: dst=1 src0=0 src1=0 src2=0
	v_bfe_i32 v138 /*v394*/, v146, 0, 8
	s_set_vgpr_msb 0                        ;  msbs: dst=0 src0=0 src1=0 src2=0
	v_bfe_i32 v146, v146, 16, 8
	s_set_vgpr_msb 0x55                     ;  msbs: dst=1 src0=1 src1=1 src2=1
	v_mad_i32_i24 v45 /*v301*/, v15 /*v271*/, v70 /*v326*/, v45 /*v301*/
	s_set_vgpr_msb 0                        ;  msbs: dst=0 src0=0 src1=0 src2=0
	v_mad_i32_i24 v154, v154, v234, v254
	s_set_vgpr_msb 5                        ;  msbs: dst=0 src0=1 src1=1 src2=0
	v_mul_i32_i24_e32 v254, v4 /*v260*/, v70 /*v326*/
	s_set_vgpr_msb 64                       ;  msbs: dst=1 src0=0 src1=0 src2=0
	v_and_b32_e32 v94 /*v350*/, 15, v151
	s_set_vgpr_msb 0                        ;  msbs: dst=0 src0=0 src1=0 src2=0
	v_bfe_u32 v240, v151, 16, 4
	s_set_vgpr_msb 0x55                     ;  msbs: dst=1 src0=1 src1=1 src2=1
	v_add3_u32 v7 /*v263*/, v50 /*v306*/, v7 /*v263*/, v45 /*v301*/
	s_set_vgpr_msb 64                       ;  msbs: dst=1 src0=0 src1=0 src2=0
	v_mul_i32_i24_e32 v45 /*v301*/, v213, v210
	s_set_vgpr_msb 0x44                     ;  msbs: dst=1 src0=0 src1=1 src2=0
	v_lshrrev_b16 v50 /*v306*/, 8, v118 /*v374*/
	v_bfe_u32 v68 /*v324*/, v153, 16, 4
	s_set_vgpr_msb 17                       ;  msbs: dst=0 src0=1 src1=0 src2=1
	v_add3_u32 v253, v0 /*v256*/, v253, v69 /*v325*/
	s_set_vgpr_msb 64                       ;  msbs: dst=1 src0=0 src1=0 src2=0
	v_ashrrev_i32_e32 v69 /*v325*/, 24, v132
	s_set_vgpr_msb 0x55                     ;  msbs: dst=1 src0=1 src1=1 src2=1
	v_add3_u32 v35 /*v291*/, v43 /*v299*/, v45 /*v301*/, v35 /*v291*/
	v_and_b32_e32 v45 /*v301*/, 15, v50 /*v306*/
	s_set_vgpr_msb 64                       ;  msbs: dst=1 src0=0 src1=0 src2=0
	v_mul_i32_i24_e32 v50 /*v306*/, v255, v242
	v_bfe_i32 v67 /*v323*/, v136, 0, 8
	s_set_vgpr_msb 0                        ;  msbs: dst=0 src0=0 src1=0 src2=0
	v_bfe_i32 v136, v136, 16, 8
	s_set_vgpr_msb 0x44                     ;  msbs: dst=1 src0=0 src1=1 src2=0
	v_bfe_i32 v6 /*v262*/, v138, 0, 8
	v_and_b32_e32 v141 /*v397*/, 0xffff, v45 /*v301*/
	s_set_vgpr_msb 16                       ;  msbs: dst=0 src0=0 src1=0 src2=1
	v_add3_u32 v154, v154, v254, v50 /*v306*/
	s_set_vgpr_msb 5                        ;  msbs: dst=0 src0=1 src1=1 src2=0
	v_mul_i32_i24_e32 v254, v138 /*v394*/, v12 /*v268*/
	s_set_vgpr_msb 0x44                     ;  msbs: dst=1 src0=0 src1=1 src2=0
	v_mul_i32_i24_e32 v50 /*v306*/, v146, v18 /*v274*/
	v_mul_i32_i24_e32 v117 /*v373*/, v136, v18 /*v274*/
	s_set_vgpr_msb 0                        ;  msbs: dst=0 src0=0 src1=0 src2=0
	v_bfe_i32 v138, v138, 16, 8
	s_set_vgpr_msb 64                       ;  msbs: dst=1 src0=0 src1=0 src2=0
	v_mul_i32_i24_e32 v118 /*v374*/, v196, v198
	s_set_vgpr_msb 0x44                     ;  msbs: dst=1 src0=0 src1=1 src2=0
	v_mul_i32_i24_e32 v43 /*v299*/, v200, v11 /*v267*/
	s_set_vgpr_msb 17                       ;  msbs: dst=0 src0=1 src1=0 src2=1
	v_add3_u32 v254, v47 /*v303*/, v254, v50 /*v306*/
	s_set_vgpr_msb 0x45                     ;  msbs: dst=1 src0=1 src1=1 src2=0
	v_mul_i32_i24_e32 v47 /*v303*/, v138 /*v394*/, v94 /*v350*/
	s_set_vgpr_msb 64                       ;  msbs: dst=1 src0=0 src1=0 src2=0
	v_mul_i32_i24_e32 v50 /*v306*/, v146, v240
	s_set_vgpr_msb 0x55                     ;  msbs: dst=1 src0=1 src1=1 src2=1
	v_mul_i32_i24_e32 v45 /*v301*/, v107 /*v363*/, v141 /*v397*/
	v_add3_u32 v131 /*v387*/, v136 /*v392*/, v132 /*v388*/, v131 /*v387*/
	v_mul_i32_i24_e32 v132 /*v388*/, v111 /*v367*/, v97 /*v353*/
	v_mul_i32_i24_e32 v133 /*v389*/, v112 /*v368*/, v98 /*v354*/
	v_add3_u32 v47 /*v303*/, v63 /*v319*/, v47 /*v303*/, v50 /*v306*/
	v_mul_i32_i24_e32 v50 /*v306*/, v138 /*v394*/, v64 /*v320*/
	s_set_vgpr_msb 0x44                     ;  msbs: dst=1 src0=0 src1=1 src2=0
	v_mul_i32_i24_e32 v63 /*v319*/, v146, v68 /*v324*/
	s_set_vgpr_msb 0x55                     ;  msbs: dst=1 src0=1 src1=1 src2=1
	v_add3_u32 v43 /*v299*/, v118 /*v374*/, v43 /*v299*/, v45 /*v301*/
	s_set_vgpr_msb 0x44                     ;  msbs: dst=1 src0=0 src1=1 src2=0
	v_mul_i32_i24_e32 v118 /*v374*/, v138, v18 /*v274*/
	s_set_vgpr_msb 0x55                     ;  msbs: dst=1 src0=1 src1=1 src2=1
	v_add3_u32 v129 /*v385*/, v129 /*v385*/, v133 /*v389*/, v132 /*v388*/
	v_mul_i32_i24_e32 v132 /*v388*/, v111 /*v367*/, v99 /*v355*/
	v_add3_u32 v50 /*v306*/, v120 /*v376*/, v50 /*v306*/, v63 /*v319*/
	v_mul_i32_i24_e32 v63 /*v319*/, v67 /*v323*/, v12 /*v268*/
	v_mul_i32_i24_e32 v133 /*v389*/, v112 /*v368*/, v100 /*v356*/
	s_set_vgpr_msb 0x44                     ;  msbs: dst=1 src0=0 src1=1 src2=0
	v_mul_i32_i24_e32 v120 /*v376*/, v138, v68 /*v324*/
	s_set_vgpr_msb 0x45                     ;  msbs: dst=1 src0=1 src1=1 src2=0
	v_mul_i32_i24_e32 v113 /*v369*/, v10 /*v266*/, v12 /*v268*/
	s_set_vgpr_msb 0x44                     ;  msbs: dst=1 src0=0 src1=1 src2=0
	v_mul_i32_i24_e32 v60 /*v316*/, v234, v60 /*v316*/
	s_set_vgpr_msb 0x55                     ;  msbs: dst=1 src0=1 src1=1 src2=1
	v_add3_u32 v44 /*v300*/, v44 /*v300*/, v63 /*v319*/, v117 /*v373*/
	v_mul_i32_i24_e32 v63 /*v319*/, v67 /*v323*/, v94 /*v350*/
	s_set_vgpr_msb 64                       ;  msbs: dst=1 src0=0 src1=0 src2=0
	v_mul_i32_i24_e32 v117 /*v373*/, v136, v240
	s_set_vgpr_msb 0x55                     ;  msbs: dst=1 src0=1 src1=1 src2=1
	v_add3_u32 v132 /*v388*/, v134 /*v390*/, v133 /*v389*/, v132 /*v388*/
	s_set_vgpr_msb 64                       ;  msbs: dst=1 src0=0 src1=0 src2=0
	v_bfe_i32 v133 /*v389*/, v140, 0, 8
	s_set_vgpr_msb 0                        ;  msbs: dst=0 src0=0 src1=0 src2=0
	v_bfe_i32 v140, v140, 16, 8
	s_set_vgpr_msb 0x55                     ;  msbs: dst=1 src0=1 src1=1 src2=1
	v_add3_u32 v36 /*v292*/, v36 /*v292*/, v114 /*v370*/, v113 /*v369*/
	s_set_vgpr_msb 20                       ;  msbs: dst=0 src0=0 src1=1 src2=1
	v_add3_u32 v250, v250, v63 /*v319*/, v117 /*v373*/
	s_set_vgpr_msb 0x45                     ;  msbs: dst=1 src0=1 src1=1 src2=0
	v_mul_i32_i24_e32 v63 /*v319*/, v67 /*v323*/, v64 /*v320*/
	s_set_vgpr_msb 0x44                     ;  msbs: dst=1 src0=0 src1=1 src2=0
	v_mul_i32_i24_e32 v117 /*v373*/, v136, v68 /*v324*/
	v_bfe_i32 v113 /*v369*/, v142, 0, 8
	s_set_vgpr_msb 0                        ;  msbs: dst=0 src0=0 src1=0 src2=0
	v_bfe_i32 v142, v142, 16, 8
	s_set_vgpr_msb 0x44                     ;  msbs: dst=1 src0=0 src1=1 src2=0
	v_mul_i32_i24_e32 v71 /*v327*/, v234, v71 /*v327*/
	v_mul_i32_i24_e32 v74 /*v330*/, v234, v74 /*v330*/
	s_set_vgpr_msb 0x55                     ;  msbs: dst=1 src0=1 src1=1 src2=1
	v_add3_u32 v63 /*v319*/, v119 /*v375*/, v63 /*v319*/, v117 /*v373*/
	v_mul_i32_i24_e32 v117 /*v373*/, v6 /*v262*/, v12 /*v268*/
	s_set_vgpr_msb 64                       ;  msbs: dst=1 src0=0 src1=0 src2=0
	v_mul_i32_i24_e32 v119 /*v375*/, v138, v240
	s_set_vgpr_msb 0x44                     ;  msbs: dst=1 src0=0 src1=1 src2=0
	v_mul_i32_i24_e32 v77 /*v333*/, v234, v77 /*v333*/
	v_mul_i32_i24_e32 v82 /*v338*/, v234, v82 /*v338*/
	s_set_vgpr_msb 4                        ;  msbs: dst=0 src0=0 src1=1 src2=0
	v_mul_i32_i24_e32 v234, v234, v88 /*v344*/
	s_set_vgpr_msb 0x55                     ;  msbs: dst=1 src0=1 src1=1 src2=1
	v_add3_u32 v118 /*v374*/, v121 /*v377*/, v117 /*v373*/, v118 /*v374*/
	v_mul_i32_i24_e32 v117 /*v373*/, v6 /*v262*/, v94 /*v350*/
	s_set_vgpr_msb 0x44                     ;  msbs: dst=1 src0=0 src1=1 src2=0
	v_mul_i32_i24_e32 v121 /*v377*/, v140, v18 /*v274*/
	s_set_vgpr_msb 0x45                     ;  msbs: dst=1 src0=1 src1=1 src2=0
	v_mul_i32_i24_e32 v88 /*v344*/, v13 /*v269*/, v97 /*v353*/
	s_set_vgpr_msb 5                        ;  msbs: dst=0 src0=1 src1=1 src2=0
	v_mad_i32_i24 v234, v42 /*v298*/, v90 /*v346*/, v234
	s_set_vgpr_msb 0x55                     ;  msbs: dst=1 src0=1 src1=1 src2=1
	v_mul_i32_i24_e32 v90 /*v346*/, v10 /*v266*/, v94 /*v350*/
	v_add3_u32 v119 /*v375*/, v122 /*v378*/, v117 /*v373*/, v119 /*v375*/
	v_mul_i32_i24_e32 v117 /*v373*/, v6 /*v262*/, v64 /*v320*/
	s_set_vgpr_msb 64                       ;  msbs: dst=1 src0=0 src1=0 src2=0
	v_mul_i32_i24_e32 v122 /*v378*/, v140, v240
	v_bfe_i32 v66 /*v322*/, v144, 0, 8
	s_set_vgpr_msb 0                        ;  msbs: dst=0 src0=0 src1=0 src2=0
	v_bfe_i32 v144, v144, 16, 8
	s_set_vgpr_msb 0x55                     ;  msbs: dst=1 src0=1 src1=1 src2=1
	v_add3_u32 v65 /*v321*/, v65 /*v321*/, v88 /*v344*/, v90 /*v346*/
	v_add3_u32 v120 /*v376*/, v125 /*v381*/, v117 /*v373*/, v120 /*v376*/
	v_mul_i32_i24_e32 v117 /*v373*/, v133 /*v389*/, v12 /*v268*/
	s_set_vgpr_msb 64                       ;  msbs: dst=1 src0=0 src1=0 src2=0
	v_mul_i32_i24_e32 v125 /*v381*/, v142, v240
	s_set_vgpr_msb 0x45                     ;  msbs: dst=1 src0=1 src1=1 src2=0
	v_mul_i32_i24_e32 v88 /*v344*/, v13 /*v269*/, v99 /*v355*/
	s_set_vgpr_msb 0x41                     ;  msbs: dst=1 src0=1 src1=0 src2=0
	v_mul_i32_i24_e32 v13 /*v269*/, v13 /*v269*/, v235
	s_set_vgpr_msb 0                        ;  msbs: dst=0 src0=0 src1=0 src2=0
	v_and_b32_e32 v243, 0xf0f0f0f, v243
	s_set_vgpr_msb 0x55                     ;  msbs: dst=1 src0=1 src1=1 src2=1
	v_add3_u32 v121 /*v377*/, v126 /*v382*/, v117 /*v373*/, v121 /*v377*/
	v_mul_i32_i24_e32 v117 /*v373*/, v133 /*v389*/, v94 /*v350*/
	s_set_vgpr_msb 0x44                     ;  msbs: dst=1 src0=0 src1=1 src2=0
	v_mul_i32_i24_e32 v126 /*v382*/, v142, v68 /*v324*/
	s_set_vgpr_msb 0x45                     ;  msbs: dst=1 src0=1 src1=1 src2=0
	v_mul_i32_i24_e32 v90 /*v346*/, v10 /*v266*/, v64 /*v320*/
	s_set_vgpr_msb 16                       ;  msbs: dst=0 src0=0 src1=0 src2=1
	v_add3_u32 v244, v249, v244, v13 /*v269*/
	v_mul_i32_i24_e32 v249, v219, v214
	s_set_vgpr_msb 0x55                     ;  msbs: dst=1 src0=1 src1=1 src2=1
	v_add3_u32 v122 /*v378*/, v123 /*v379*/, v117 /*v373*/, v122 /*v378*/
	v_mul_i32_i24_e32 v117 /*v373*/, v133 /*v389*/, v64 /*v320*/
	s_set_vgpr_msb 0x44                     ;  msbs: dst=1 src0=0 src1=1 src2=0
	v_mul_i32_i24_e32 v123 /*v379*/, v140, v68 /*v324*/
	s_set_vgpr_msb 64                       ;  msbs: dst=1 src0=0 src1=0 src2=0
	v_mul_i32_i24_e32 v13 /*v269*/, v231, v242
	s_set_vgpr_msb 20                       ;  msbs: dst=0 src0=0 src1=1 src2=1
	v_add3_u32 v253, v253, v88 /*v344*/, v90 /*v346*/
	s_set_vgpr_msb 0x45                     ;  msbs: dst=1 src0=1 src1=1 src2=0
	v_mul_i32_i24_e32 v88 /*v344*/, v52 /*v308*/, v94 /*v350*/
	s_set_vgpr_msb 0                        ;  msbs: dst=0 src0=0 src1=0 src2=0
	v_lshrrev_b16 v243, 8, v243
	s_set_vgpr_msb 0x55                     ;  msbs: dst=1 src0=1 src1=1 src2=1
	v_add3_u32 v123 /*v379*/, v124 /*v380*/, v117 /*v373*/, v123 /*v379*/
	v_mul_i32_i24_e32 v117 /*v373*/, v113 /*v369*/, v12 /*v268*/
	s_set_vgpr_msb 0x44                     ;  msbs: dst=1 src0=0 src1=1 src2=0
	v_mul_i32_i24_e32 v124 /*v380*/, v142, v18 /*v274*/
	s_set_vgpr_msb 0                        ;  msbs: dst=0 src0=0 src1=0 src2=0
	v_mad_i32_i24 v249, v230, v91, v249
	s_set_vgpr_msb 0x55                     ;  msbs: dst=1 src0=1 src1=1 src2=1
	v_mad_i32_i24 v13 /*v269*/, v20 /*v276*/, v40 /*v296*/, v13 /*v269*/
	v_bfe_i32 v5 /*v261*/, v5 /*v261*/, 8, 8
	s_set_vgpr_msb 0                        ;  msbs: dst=0 src0=0 src1=0 src2=0
	v_bfe_i32 v135, v135, 8, 8
	s_set_vgpr_msb 0x55                     ;  msbs: dst=1 src0=1 src1=1 src2=1
	v_add3_u32 v124 /*v380*/, v128 /*v384*/, v117 /*v373*/, v124 /*v380*/
	v_mul_i32_i24_e32 v117 /*v373*/, v113 /*v369*/, v94 /*v350*/
	s_set_vgpr_msb 17                       ;  msbs: dst=0 src0=1 src1=0 src2=1
	v_add3_u32 v249, v13 /*v269*/, v249, v35 /*v291*/
	s_set_vgpr_msb 64                       ;  msbs: dst=1 src0=0 src1=0 src2=0
	v_mul_i32_i24_e32 v13 /*v269*/, v197, v251
	v_bfe_i32 v0 /*v256*/, v132, 0, 8
	v_mul_i32_i24_e32 v128 /*v384*/, v144, v240
	s_set_vgpr_msb 0x55                     ;  msbs: dst=1 src0=1 src1=1 src2=1
	v_add3_u32 v125 /*v381*/, v130 /*v386*/, v117 /*v373*/, v125 /*v381*/
	v_mul_i32_i24_e32 v117 /*v373*/, v113 /*v369*/, v64 /*v320*/
	v_mul_i32_i24_e32 v35 /*v291*/, v5 /*v261*/, v116 /*v372*/
	v_mul_i32_i24_e32 v114 /*v370*/, v19 /*v275*/, v18 /*v274*/
	s_set_vgpr_msb 64                       ;  msbs: dst=1 src0=0 src1=0 src2=0
	v_bfe_u32 v8 /*v264*/, v151, 4, 4
	v_lshrrev_b32_e32 v45 /*v301*/, 28, v151
	s_set_vgpr_msb 0x55                     ;  msbs: dst=1 src0=1 src1=1 src2=1
	v_add3_u32 v126 /*v382*/, v127 /*v383*/, v117 /*v373*/, v126 /*v382*/
	v_mul_i32_i24_e32 v117 /*v373*/, v66 /*v322*/, v12 /*v268*/
	s_set_vgpr_msb 0x44                     ;  msbs: dst=1 src0=0 src1=1 src2=0
	v_mul_i32_i24_e32 v127 /*v383*/, v144, v18 /*v274*/
	v_bfe_u32 v130 /*v386*/, v153, 4, 4
	s_set_vgpr_msb 0x55                     ;  msbs: dst=1 src0=1 src1=1 src2=1
	v_mad_i32_i24 v60 /*v316*/, v42 /*v298*/, v61 /*v317*/, v60 /*v316*/
	s_set_vgpr_msb 64                       ;  msbs: dst=1 src0=0 src1=0 src2=0
	v_ashrrev_i32_e32 v61 /*v317*/, 24, v122
	s_set_vgpr_msb 0x55                     ;  msbs: dst=1 src0=1 src1=1 src2=1
	v_add3_u32 v36 /*v292*/, v36 /*v292*/, v114 /*v370*/, v93 /*v349*/
	v_add3_u32 v127 /*v383*/, v131 /*v387*/, v117 /*v373*/, v127 /*v383*/
	v_mul_i32_i24_e32 v117 /*v373*/, v66 /*v322*/, v94 /*v350*/
	s_set_vgpr_msb 0x41                     ;  msbs: dst=1 src0=1 src1=0 src2=0
	v_mul_i32_i24_e32 v94 /*v350*/, v51 /*v307*/, v240
	v_lshrrev_b32_e32 v131 /*v387*/, 28, v153
	s_set_vgpr_msb 0x45                     ;  msbs: dst=1 src0=1 src1=1 src2=0
	v_mul_i32_i24_e32 v18 /*v274*/, v51 /*v307*/, v18 /*v274*/
	s_set_vgpr_msb 64                       ;  msbs: dst=1 src0=0 src1=0 src2=0
	v_bfe_i32 v114 /*v370*/, v122, 16, 8
	s_set_vgpr_msb 0x55                     ;  msbs: dst=1 src0=1 src1=1 src2=1
	v_add3_u32 v128 /*v384*/, v129 /*v385*/, v117 /*v373*/, v128 /*v384*/
	v_add3_u32 v3 /*v259*/, v3 /*v259*/, v88 /*v344*/, v94 /*v350*/
	s_set_vgpr_msb 64                       ;  msbs: dst=1 src0=0 src1=0 src2=0
	v_and_b32_e32 v88 /*v344*/, 0xffff, v243
	s_set_vgpr_msb 16                       ;  msbs: dst=0 src0=0 src1=0 src2=1
	v_mad_i32_i24 v243, v199, v245, v13 /*v269*/
	s_set_vgpr_msb 0x45                     ;  msbs: dst=1 src0=1 src1=1 src2=0
	v_mul_i32_i24_e32 v117 /*v373*/, v66 /*v322*/, v64 /*v320*/
	s_set_vgpr_msb 0x44                     ;  msbs: dst=1 src0=0 src1=1 src2=0
	v_mul_i32_i24_e32 v129 /*v385*/, v144, v68 /*v324*/
	v_bfe_i32 v94 /*v350*/, v122, 8, 8
	v_mul_i32_i24_e32 v13 /*v269*/, v201, v88 /*v344*/
	s_set_vgpr_msb 0x55                     ;  msbs: dst=1 src0=1 src1=1 src2=1
	v_mul_i32_i24_e32 v51 /*v307*/, v51 /*v307*/, v68 /*v324*/
	v_mad_i32_i24 v71 /*v327*/, v42 /*v298*/, v72 /*v328*/, v71 /*v327*/
	v_add3_u32 v129 /*v385*/, v132 /*v388*/, v117 /*v373*/, v129 /*v385*/
	s_set_vgpr_msb 0x50                     ;  msbs: dst=1 src0=0 src1=0 src2=1
	v_bfe_i32 v132 /*v388*/, v122, 0, 8
	v_mad_i32_i24 v13 /*v269*/, v209, v208, v13 /*v269*/
	s_set_vgpr_msb 5                        ;  msbs: dst=0 src0=1 src1=1 src2=0
	v_mul_i32_i24_e32 v122, v52 /*v308*/, v64 /*v320*/
	s_set_vgpr_msb 64                       ;  msbs: dst=1 src0=0 src1=0 src2=0
	v_bfe_i32 v72 /*v328*/, v124, 0, 8
	s_set_vgpr_msb 0x55                     ;  msbs: dst=1 src0=1 src1=1 src2=1
	v_mad_i32_i24 v74 /*v330*/, v42 /*v298*/, v75 /*v331*/, v74 /*v330*/
	s_set_vgpr_msb 64                       ;  msbs: dst=1 src0=0 src1=0 src2=0
	v_ashrrev_i32_e32 v75 /*v331*/, 24, v124
	s_set_vgpr_msb 17                       ;  msbs: dst=0 src0=1 src1=0 src2=1
	v_add3_u32 v243, v13 /*v269*/, v243, v43 /*v299*/
	s_set_vgpr_msb 0x44                     ;  msbs: dst=1 src0=0 src1=1 src2=0
	v_mul_i32_i24_e32 v13 /*v269*/, v135, v88 /*v344*/
	s_set_vgpr_msb 0x55                     ;  msbs: dst=1 src0=1 src1=1 src2=1
	v_mad_i32_i24 v77 /*v333*/, v42 /*v298*/, v78 /*v334*/, v77 /*v333*/
	v_mad_i32_i24 v82 /*v338*/, v42 /*v298*/, v83 /*v339*/, v82 /*v338*/
	s_set_vgpr_msb 64                       ;  msbs: dst=1 src0=0 src1=0 src2=0
	v_dual_ashrrev_i32 v83 /*v339*/, 24, v126 :: v_dual_ashrrev_i32 v134 /*v390*/, 24, v128
	s_set_vgpr_msb 20                       ;  msbs: dst=0 src0=0 src1=1 src2=1
	v_add3_u32 v154, v154, v35 /*v291*/, v13 /*v269*/
	s_set_vgpr_msb 0x45                     ;  msbs: dst=1 src0=1 src1=1 src2=0
	v_mul_i32_i24_e32 v13 /*v269*/, v0 /*v256*/, v21 /*v277*/
	v_mul_i32_i24_e32 v35 /*v291*/, v69 /*v325*/, v22 /*v278*/
	s_set_vgpr_msb 64                       ;  msbs: dst=1 src0=0 src1=0 src2=0
	v_bfe_i32 v42 /*v298*/, v128, 0, 8
	s_set_vgpr_msb 17                       ;  msbs: dst=0 src0=1 src1=0 src2=1
	v_add3_u32 v122, v9 /*v265*/, v122, v51 /*v307*/
	s_set_vgpr_msb 0x45                     ;  msbs: dst=1 src0=1 src1=1 src2=0
	v_mul_i32_i24_e32 v43 /*v299*/, v69 /*v325*/, v131 /*v387*/
	s_set_vgpr_msb 1                        ;  msbs: dst=0 src0=1 src1=0 src2=0
	v_mul_i32_i24_e32 v120, v34 /*v290*/, v120
	s_set_vgpr_msb 20                       ;  msbs: dst=0 src0=0 src1=1 src2=1
	v_add3_u32 v254, v254, v35 /*v291*/, v13 /*v269*/
	s_set_vgpr_msb 0x45                     ;  msbs: dst=1 src0=1 src1=1 src2=0
	v_mul_i32_i24_e32 v13 /*v269*/, v0 /*v256*/, v8 /*v264*/
	v_mul_i32_i24_e32 v35 /*v291*/, v69 /*v325*/, v45 /*v301*/
	;; [unrolled: 1-line block ×3, first 2 shown]
	s_set_vgpr_msb 1                        ;  msbs: dst=0 src0=1 src1=0 src2=0
	v_mul_i32_i24_e32 v118, v34 /*v290*/, v118
	s_set_vgpr_msb 0x55                     ;  msbs: dst=1 src0=1 src1=1 src2=1
	v_mul_i32_i24_e32 v79 /*v335*/, v41 /*v297*/, v79 /*v335*/
	v_mul_i32_i24_e32 v81 /*v337*/, v34 /*v290*/, v81 /*v337*/
	v_add3_u32 v13 /*v269*/, v47 /*v303*/, v35 /*v291*/, v13 /*v269*/
	v_mul_i32_i24_e32 v35 /*v291*/, v0 /*v256*/, v130 /*v386*/
	v_mul_i32_i24_e32 v47 /*v303*/, v41 /*v297*/, v62 /*v318*/
	s_set_vgpr_msb 5                        ;  msbs: dst=0 src0=1 src1=1 src2=0
	v_add3_u32 v118, v71 /*v327*/, v51 /*v307*/, v118
	s_set_vgpr_msb 0x55                     ;  msbs: dst=1 src0=1 src1=1 src2=1
	v_mul_i32_i24_e32 v51 /*v307*/, v72 /*v328*/, v21 /*v277*/
	v_add3_u32 v77 /*v333*/, v77 /*v333*/, v79 /*v335*/, v81 /*v337*/
	v_add3_u32 v35 /*v291*/, v50 /*v306*/, v43 /*v299*/, v35 /*v291*/
	s_set_vgpr_msb 5                        ;  msbs: dst=0 src0=1 src1=1 src2=0
	v_add3_u32 v120, v60 /*v316*/, v47 /*v303*/, v120
	s_set_vgpr_msb 0x45                     ;  msbs: dst=1 src0=1 src1=1 src2=0
	v_mul_i32_i24_e32 v47 /*v303*/, v132 /*v388*/, v21 /*v277*/
	v_mul_i32_i24_e32 v50 /*v306*/, v61 /*v317*/, v22 /*v278*/
	v_mul_i32_i24_e32 v60 /*v316*/, v75 /*v331*/, v22 /*v278*/
	v_mul_i32_i24_e32 v79 /*v335*/, v42 /*v298*/, v21 /*v277*/
	v_mul_i32_i24_e32 v81 /*v337*/, v134 /*v390*/, v22 /*v278*/
	s_set_vgpr_msb 64                       ;  msbs: dst=1 src0=0 src1=0 src2=0
	v_bfe_i32 v78 /*v334*/, v126, 0, 8
	s_set_vgpr_msb 0x55                     ;  msbs: dst=1 src0=1 src1=1 src2=1
	v_add3_u32 v44 /*v300*/, v44 /*v300*/, v50 /*v306*/, v47 /*v303*/
	v_mul_i32_i24_e32 v47 /*v303*/, v132 /*v388*/, v8 /*v264*/
	v_mul_i32_i24_e32 v50 /*v306*/, v61 /*v317*/, v45 /*v301*/
	v_add3_u32 v51 /*v307*/, v118 /*v374*/, v60 /*v316*/, v51 /*v307*/
	v_mul_i32_i24_e32 v60 /*v316*/, v72 /*v328*/, v8 /*v264*/
	v_mul_i32_i24_e32 v62 /*v318*/, v75 /*v331*/, v45 /*v301*/
	;; [unrolled: 1-line block ×3, first 2 shown]
	s_set_vgpr_msb 1                        ;  msbs: dst=0 src0=1 src1=0 src2=0
	v_mul_i32_i24_e32 v116, v34 /*v290*/, v116
	s_set_vgpr_msb 0x55                     ;  msbs: dst=1 src0=1 src1=1 src2=1
	v_add3_u32 v79 /*v335*/, v124 /*v380*/, v81 /*v337*/, v79 /*v335*/
	v_mul_i32_i24_e32 v81 /*v337*/, v42 /*v298*/, v8 /*v264*/
	v_mul_i32_i24_e32 v118 /*v374*/, v134 /*v390*/, v45 /*v301*/
	s_set_vgpr_msb 64                       ;  msbs: dst=1 src0=0 src1=0 src2=0
	v_bfe_i32 v93 /*v349*/, v130, 0, 8
	v_ashrrev_i32_e32 v97 /*v353*/, 24, v130
	s_set_vgpr_msb 20                       ;  msbs: dst=0 src0=0 src1=1 src2=1
	v_add3_u32 v250, v250, v50 /*v306*/, v47 /*v303*/
	s_set_vgpr_msb 0x55                     ;  msbs: dst=1 src0=1 src1=1 src2=1
	v_mul_i32_i24_e32 v47 /*v303*/, v132 /*v388*/, v130 /*v386*/
	v_mul_i32_i24_e32 v50 /*v306*/, v61 /*v317*/, v131 /*v387*/
	v_add3_u32 v60 /*v316*/, v119 /*v375*/, v62 /*v318*/, v60 /*v316*/
	s_set_vgpr_msb 5                        ;  msbs: dst=0 src0=1 src1=1 src2=0
	v_add3_u32 v116, v74 /*v330*/, v64 /*v320*/, v116
	s_set_vgpr_msb 0x55                     ;  msbs: dst=1 src0=1 src1=1 src2=1
	v_mul_i32_i24_e32 v64 /*v320*/, v78 /*v334*/, v21 /*v277*/
	v_mul_i32_i24_e32 v71 /*v327*/, v83 /*v339*/, v22 /*v278*/
	v_add3_u32 v81 /*v337*/, v125 /*v381*/, v118 /*v374*/, v81 /*v337*/
	v_mul_i32_i24_e32 v118 /*v374*/, v42 /*v298*/, v130 /*v386*/
	v_mul_i32_i24_e32 v119 /*v375*/, v134 /*v390*/, v131 /*v387*/
	;; [unrolled: 1-line block ×4, first 2 shown]
	s_set_vgpr_msb 1                        ;  msbs: dst=0 src0=1 src1=0 src2=0
	v_mul_i32_i24_e32 v240, v19 /*v275*/, v240
	s_set_vgpr_msb 0x45                     ;  msbs: dst=1 src0=1 src1=1 src2=0
	v_mul_i32_i24_e32 v68 /*v324*/, v19 /*v275*/, v68 /*v324*/
	v_mul_i32_i24_e32 v19 /*v275*/, v19 /*v275*/, v49 /*v305*/
	s_set_vgpr_msb 64                       ;  msbs: dst=1 src0=0 src1=0 src2=0
	v_bfe_i32 v117 /*v373*/, v155, 8, 8
	s_set_vgpr_msb 0x45                     ;  msbs: dst=1 src0=1 src1=1 src2=0
	v_mul_i32_i24_e32 v12 /*v268*/, v52 /*v308*/, v12 /*v268*/
	s_set_vgpr_msb 64                       ;  msbs: dst=1 src0=0 src1=0 src2=0
	v_bfe_i32 v43 /*v299*/, v128, 8, 8
	s_set_vgpr_msb 0x55                     ;  msbs: dst=1 src0=1 src1=1 src2=1
	v_add3_u32 v47 /*v303*/, v63 /*v319*/, v50 /*v306*/, v47 /*v303*/
	s_set_vgpr_msb 0                        ;  msbs: dst=0 src0=0 src1=0 src2=0
	v_bfe_i32 v128, v128, 16, 8
	s_set_vgpr_msb 64                       ;  msbs: dst=1 src0=0 src1=0 src2=0
	v_bfe_i32 v50 /*v306*/, v130, 8, 8
	s_set_vgpr_msb 0x45                     ;  msbs: dst=1 src0=1 src1=1 src2=0
	v_mul_i32_i24_e32 v62 /*v318*/, v72 /*v328*/, v130 /*v386*/
	v_mul_i32_i24_e32 v63 /*v319*/, v75 /*v331*/, v131 /*v387*/
	s_set_vgpr_msb 0                        ;  msbs: dst=0 src0=0 src1=0 src2=0
	v_bfe_i32 v130, v130, 16, 8
	s_set_vgpr_msb 0x55                     ;  msbs: dst=1 src0=1 src1=1 src2=1
	v_add3_u32 v64 /*v320*/, v121 /*v377*/, v71 /*v327*/, v64 /*v320*/
	v_mul_i32_i24_e32 v71 /*v327*/, v78 /*v334*/, v8 /*v264*/
	v_mul_i32_i24_e32 v73 /*v329*/, v83 /*v339*/, v45 /*v301*/
	v_add3_u32 v118 /*v374*/, v126 /*v382*/, v119 /*v375*/, v118 /*v374*/
	s_set_vgpr_msb 64                       ;  msbs: dst=1 src0=0 src1=0 src2=0
	v_ashrrev_i32_e32 v119 /*v375*/, 24, v147
	s_set_vgpr_msb 0x55                     ;  msbs: dst=1 src0=1 src1=1 src2=1
	v_add3_u32 v82 /*v338*/, v82 /*v338*/, v86 /*v342*/, v89 /*v345*/
	v_mul_i32_i24_e32 v86 /*v342*/, v93 /*v349*/, v21 /*v277*/
	v_mul_i32_i24_e32 v89 /*v345*/, v97 /*v353*/, v22 /*v278*/
	v_mad_i32_i24 v10 /*v266*/, v10 /*v266*/, v48 /*v304*/, v19 /*v275*/
	v_mul_i32_i24_e32 v106 /*v362*/, v106 /*v362*/, v39 /*v295*/
	s_set_vgpr_msb 0x41                     ;  msbs: dst=1 src0=1 src1=0 src2=0
	v_mul_i32_i24_e32 v105 /*v361*/, v105 /*v361*/, v235
	s_set_vgpr_msb 0x45                     ;  msbs: dst=1 src0=1 src1=1 src2=0
	v_mul_i32_i24_e32 v109 /*v365*/, v109 /*v365*/, v39 /*v295*/
	s_set_vgpr_msb 0x41                     ;  msbs: dst=1 src0=1 src1=0 src2=0
	v_mul_i32_i24_e32 v108 /*v364*/, v108 /*v364*/, v235
	s_set_vgpr_msb 0x45                     ;  msbs: dst=1 src0=1 src1=1 src2=0
	v_mul_i32_i24_e32 v90 /*v346*/, v17 /*v273*/, v21 /*v277*/
	v_mul_i32_i24_e32 v99 /*v355*/, v15 /*v271*/, v26 /*v282*/
	s_set_vgpr_msb 20                       ;  msbs: dst=0 src0=0 src1=1 src2=1
	v_bfe_i32 v155, v132, 8, 8
	v_add3_u32 v236, v236, v12 /*v268*/, v18 /*v274*/
	v_bfe_i32 v132, v132, 16, 8
	s_set_vgpr_msb 64                       ;  msbs: dst=1 src0=0 src1=0 src2=0
	v_bfe_u32 v12 /*v268*/, v151, 12, 4
	s_set_vgpr_msb 0                        ;  msbs: dst=0 src0=0 src1=0 src2=0
	v_bfe_u32 v151, v151, 20, 4
	s_set_vgpr_msb 64                       ;  msbs: dst=1 src0=0 src1=0 src2=0
	v_bfe_i32 v52 /*v308*/, v124, 8, 8
	s_set_vgpr_msb 0                        ;  msbs: dst=0 src0=0 src1=0 src2=0
	v_bfe_i32 v124, v124, 16, 8
	s_set_vgpr_msb 64                       ;  msbs: dst=1 src0=0 src1=0 src2=0
	v_bfe_i32 v9 /*v265*/, v126, 8, 8
	s_set_vgpr_msb 0                        ;  msbs: dst=0 src0=0 src1=0 src2=0
	v_bfe_i32 v126, v126, 16, 8
	s_set_vgpr_msb 0x55                     ;  msbs: dst=1 src0=1 src1=1 src2=1
	v_add3_u32 v62 /*v318*/, v120 /*v376*/, v63 /*v319*/, v62 /*v318*/
	v_mul_i32_i24_e32 v63 /*v319*/, v20 /*v276*/, v22 /*v278*/
	v_add3_u32 v71 /*v327*/, v122 /*v378*/, v73 /*v329*/, v71 /*v327*/
	v_mul_i32_i24_e32 v73 /*v329*/, v78 /*v334*/, v130 /*v386*/
	v_mul_i32_i24_e32 v74 /*v330*/, v83 /*v339*/, v131 /*v387*/
	v_add3_u32 v86 /*v342*/, v127 /*v383*/, v89 /*v345*/, v86 /*v342*/
	v_mul_i32_i24_e32 v89 /*v345*/, v93 /*v349*/, v8 /*v264*/
	v_mul_i32_i24_e32 v121 /*v377*/, v97 /*v353*/, v45 /*v301*/
	;; [unrolled: 1-line block ×4, first 2 shown]
	s_set_vgpr_msb 20                       ;  msbs: dst=0 src0=0 src1=1 src2=1
	v_add3_u32 v244, v244, v10 /*v266*/, v7 /*v263*/
	s_set_vgpr_msb 0x45                     ;  msbs: dst=1 src0=1 src1=1 src2=0
	v_mul_i32_i24_e32 v10 /*v266*/, v117 /*v373*/, v141 /*v397*/
	v_mul_i32_i24_e32 v96 /*v352*/, v96 /*v352*/, v39 /*v295*/
	s_set_vgpr_msb 0x41                     ;  msbs: dst=1 src0=1 src1=0 src2=0
	v_mul_i32_i24_e32 v95 /*v351*/, v95 /*v351*/, v235
	s_set_vgpr_msb 0x45                     ;  msbs: dst=1 src0=1 src1=1 src2=0
	v_mul_i32_i24_e32 v102 /*v358*/, v102 /*v358*/, v39 /*v295*/
	s_set_vgpr_msb 0x41                     ;  msbs: dst=1 src0=1 src1=0 src2=0
	v_mul_i32_i24_e32 v101 /*v357*/, v101 /*v357*/, v235
	s_set_vgpr_msb 0x45                     ;  msbs: dst=1 src0=1 src1=1 src2=0
	;; [unrolled: 4-line block ×3, first 2 shown]
	v_add3_u32 v77 /*v333*/, v77 /*v333*/, v106 /*v362*/, v105 /*v361*/
	v_mul_i32_i24_e32 v105 /*v361*/, v43 /*v299*/, v26 /*v282*/
	s_set_vgpr_msb 0x44                     ;  msbs: dst=1 src0=0 src1=1 src2=0
	v_mul_i32_i24_e32 v106 /*v362*/, v128, v27 /*v283*/
	s_set_vgpr_msb 0x55                     ;  msbs: dst=1 src0=1 src1=1 src2=1
	v_add3_u32 v82 /*v338*/, v82 /*v338*/, v109 /*v365*/, v108 /*v364*/
	v_mul_i32_i24_e32 v108 /*v364*/, v50 /*v306*/, v26 /*v282*/
	s_set_vgpr_msb 0x44                     ;  msbs: dst=1 src0=0 src1=1 src2=0
	v_mul_i32_i24_e32 v109 /*v365*/, v130, v27 /*v283*/
	v_bfe_u32 v18 /*v274*/, v153, 12, 4
	s_set_vgpr_msb 0                        ;  msbs: dst=0 src0=0 src1=0 src2=0
	v_bfe_u32 v153, v153, 20, 4
	s_set_vgpr_msb 0x55                     ;  msbs: dst=1 src0=1 src1=1 src2=1
	v_add3_u32 v73 /*v329*/, v123 /*v379*/, v74 /*v330*/, v73 /*v329*/
	v_mul_i32_i24_e32 v74 /*v330*/, v14 /*v270*/, v27 /*v283*/
	v_add3_u32 v89 /*v345*/, v128 /*v384*/, v121 /*v377*/, v89 /*v345*/
	v_mul_i32_i24_e32 v121 /*v377*/, v93 /*v349*/, v130 /*v386*/
	v_mul_i32_i24_e32 v122 /*v378*/, v97 /*v353*/, v131 /*v387*/
	v_add3_u32 v36 /*v292*/, v36 /*v292*/, v90 /*v346*/, v99 /*v355*/
	s_set_vgpr_msb 20                       ;  msbs: dst=0 src0=0 src1=1 src2=1
	v_add3_u32 v236, v236, v22 /*v278*/, v21 /*v277*/
	s_set_vgpr_msb 0x45                     ;  msbs: dst=1 src0=1 src1=1 src2=0
	v_mul_i32_i24_e32 v21 /*v277*/, v56 /*v312*/, v8 /*v264*/
	v_mul_i32_i24_e32 v22 /*v278*/, v54 /*v310*/, v45 /*v301*/
	s_set_vgpr_msb 20                       ;  msbs: dst=0 src0=0 src1=1 src2=1
	v_add3_u32 v154, v154, v10 /*v266*/, v46 /*v302*/
	s_set_vgpr_msb 0x44                     ;  msbs: dst=1 src0=0 src1=1 src2=0
	v_mul_i32_i24_e32 v10 /*v266*/, v155, v26 /*v282*/
	v_mul_i32_i24_e32 v46 /*v302*/, v132, v27 /*v283*/
	s_set_vgpr_msb 20                       ;  msbs: dst=0 src0=0 src1=1 src2=1
	v_add3_u32 v120, v120, v96 /*v352*/, v95 /*v351*/
	s_set_vgpr_msb 0x45                     ;  msbs: dst=1 src0=1 src1=1 src2=0
	v_mul_i32_i24_e32 v95 /*v351*/, v94 /*v350*/, v26 /*v282*/
	v_mul_i32_i24_e32 v96 /*v352*/, v114 /*v370*/, v27 /*v283*/
	s_set_vgpr_msb 20                       ;  msbs: dst=0 src0=0 src1=1 src2=1
	v_add3_u32 v118, v118, v102 /*v358*/, v101 /*v357*/
	s_set_vgpr_msb 0x45                     ;  msbs: dst=1 src0=1 src1=1 src2=0
	v_mul_i32_i24_e32 v101 /*v357*/, v52 /*v308*/, v26 /*v282*/
	s_set_vgpr_msb 0x44                     ;  msbs: dst=1 src0=0 src1=1 src2=0
	v_mul_i32_i24_e32 v102 /*v358*/, v124, v27 /*v283*/
	s_set_vgpr_msb 20                       ;  msbs: dst=0 src0=0 src1=1 src2=1
	v_add3_u32 v116, v116, v104 /*v360*/, v103 /*v359*/
	s_set_vgpr_msb 0x45                     ;  msbs: dst=1 src0=1 src1=1 src2=0
	v_mul_i32_i24_e32 v103 /*v359*/, v9 /*v265*/, v26 /*v282*/
	s_set_vgpr_msb 0x44                     ;  msbs: dst=1 src0=0 src1=1 src2=0
	v_mul_i32_i24_e32 v104 /*v360*/, v126, v27 /*v283*/
	s_set_vgpr_msb 0x55                     ;  msbs: dst=1 src0=1 src1=1 src2=1
	v_add3_u32 v79 /*v335*/, v79 /*v335*/, v105 /*v361*/, v106 /*v362*/
	v_mul_i32_i24_e32 v105 /*v361*/, v43 /*v299*/, v12 /*v268*/
	s_set_vgpr_msb 64                       ;  msbs: dst=1 src0=0 src1=0 src2=0
	v_mul_i32_i24_e32 v106 /*v362*/, v128, v151
	s_set_vgpr_msb 0x55                     ;  msbs: dst=1 src0=1 src1=1 src2=1
	v_add3_u32 v86 /*v342*/, v86 /*v342*/, v108 /*v364*/, v109 /*v365*/
	v_mul_i32_i24_e32 v108 /*v364*/, v50 /*v306*/, v12 /*v268*/
	s_set_vgpr_msb 64                       ;  msbs: dst=1 src0=0 src1=0 src2=0
	v_mul_i32_i24_e32 v109 /*v365*/, v130, v151
	s_set_vgpr_msb 0x55                     ;  msbs: dst=1 src0=1 src1=1 src2=1
	v_mul_i32_i24_e32 v26 /*v282*/, v4 /*v260*/, v26 /*v282*/
	v_mul_i32_i24_e32 v27 /*v283*/, v55 /*v311*/, v27 /*v283*/
	v_add3_u32 v121 /*v377*/, v129 /*v385*/, v122 /*v378*/, v121 /*v377*/
	v_add3_u32 v3 /*v259*/, v3 /*v259*/, v22 /*v278*/, v21 /*v277*/
	v_mul_i32_i24_e32 v56 /*v312*/, v56 /*v312*/, v130 /*v386*/
	v_mul_i32_i24_e32 v54 /*v310*/, v54 /*v310*/, v131 /*v387*/
	s_set_vgpr_msb 20                       ;  msbs: dst=0 src0=0 src1=1 src2=1
	v_add3_u32 v254, v254, v10 /*v266*/, v46 /*v302*/
	s_set_vgpr_msb 0x44                     ;  msbs: dst=1 src0=0 src1=1 src2=0
	v_mul_i32_i24_e32 v10 /*v266*/, v155, v12 /*v268*/
	s_set_vgpr_msb 0x55                     ;  msbs: dst=1 src0=1 src1=1 src2=1
	v_add3_u32 v44 /*v300*/, v44 /*v300*/, v95 /*v351*/, v96 /*v352*/
	v_mul_i32_i24_e32 v95 /*v351*/, v94 /*v350*/, v12 /*v268*/
	v_add3_u32 v51 /*v307*/, v51 /*v307*/, v101 /*v357*/, v102 /*v358*/
	v_mul_i32_i24_e32 v101 /*v357*/, v52 /*v308*/, v12 /*v268*/
	v_add3_u32 v64 /*v320*/, v64 /*v320*/, v103 /*v359*/, v104 /*v360*/
	v_mul_i32_i24_e32 v103 /*v359*/, v9 /*v265*/, v12 /*v268*/
	v_add3_u32 v81 /*v337*/, v81 /*v337*/, v105 /*v361*/, v106 /*v362*/
	v_mul_i32_i24_e32 v105 /*v361*/, v43 /*v299*/, v18 /*v274*/
	s_set_vgpr_msb 64                       ;  msbs: dst=1 src0=0 src1=0 src2=0
	v_mul_i32_i24_e32 v106 /*v362*/, v128, v153
	s_set_vgpr_msb 0x55                     ;  msbs: dst=1 src0=1 src1=1 src2=1
	v_add3_u32 v89 /*v345*/, v89 /*v345*/, v108 /*v364*/, v109 /*v365*/
	v_mul_i32_i24_e32 v108 /*v364*/, v50 /*v306*/, v18 /*v274*/
	s_set_vgpr_msb 64                       ;  msbs: dst=1 src0=0 src1=0 src2=0
	v_mul_i32_i24_e32 v109 /*v365*/, v130, v153
	s_set_vgpr_msb 0x55                     ;  msbs: dst=1 src0=1 src1=1 src2=1
	v_add3_u32 v36 /*v292*/, v36 /*v292*/, v74 /*v330*/, v63 /*v319*/
	v_mul_i32_i24_e32 v74 /*v330*/, v15 /*v271*/, v12 /*v268*/
	s_set_vgpr_msb 20                       ;  msbs: dst=0 src0=0 src1=1 src2=1
	v_add3_u32 v236, v236, v26 /*v282*/, v27 /*v283*/
	s_set_vgpr_msb 0x45                     ;  msbs: dst=1 src0=1 src1=1 src2=0
	v_mul_i32_i24_e32 v12 /*v268*/, v4 /*v260*/, v12 /*v268*/
	s_set_vgpr_msb 0x41                     ;  msbs: dst=1 src0=1 src1=0 src2=0
	v_mul_i32_i24_e32 v27 /*v283*/, v55 /*v311*/, v151
	s_set_vgpr_msb 64                       ;  msbs: dst=1 src0=0 src1=0 src2=0
	v_bfe_i32 v76 /*v332*/, v147, 8, 8
	s_set_vgpr_msb 20                       ;  msbs: dst=0 src0=0 src1=1 src2=1
	v_add3_u32 v122, v122, v54 /*v310*/, v56 /*v312*/
	s_set_vgpr_msb 0x55                     ;  msbs: dst=1 src0=1 src1=1 src2=1
	v_add3_u32 v105 /*v361*/, v118 /*v374*/, v105 /*v361*/, v106 /*v362*/
	s_set_vgpr_msb 64                       ;  msbs: dst=1 src0=0 src1=0 src2=0
	v_lshrrev_b32_e32 v118 /*v374*/, 28, v108
	s_set_vgpr_msb 0x55                     ;  msbs: dst=1 src0=1 src1=1 src2=1
	v_add3_u32 v108 /*v364*/, v121 /*v377*/, v108 /*v364*/, v109 /*v365*/
	s_set_vgpr_msb 64                       ;  msbs: dst=1 src0=0 src1=0 src2=0
	v_bfe_i32 v109 /*v365*/, v123, 0, 8
	v_ashrrev_i32_e32 v121 /*v377*/, 24, v123
	s_set_vgpr_msb 0x55                     ;  msbs: dst=1 src0=1 src1=1 src2=1
	v_add3_u32 v3 /*v259*/, v3 /*v259*/, v12 /*v268*/, v27 /*v283*/
	s_set_vgpr_msb 64                       ;  msbs: dst=1 src0=0 src1=0 src2=0
	v_bfe_i32 v12 /*v268*/, v123, 8, 8
	v_bfe_i32 v27 /*v283*/, v123, 16, 8
	s_set_vgpr_msb 5                        ;  msbs: dst=0 src0=1 src1=1 src2=0
	v_mul_i32_i24_e32 v123, v4 /*v260*/, v18 /*v274*/
	s_set_vgpr_msb 0x41                     ;  msbs: dst=1 src0=1 src1=0 src2=0
	v_mul_i32_i24_e32 v4 /*v260*/, v55 /*v311*/, v153
	s_set_vgpr_msb 0x50                     ;  msbs: dst=1 src0=0 src1=0 src2=1
	v_bfe_u32 v120 /*v376*/, v106, 8, 4
	v_bfe_u32 v122 /*v378*/, v106, 24, 4
	v_mul_i32_i24_e32 v46 /*v302*/, v132, v151
	v_bfe_u32 v123 /*v379*/, v108, 8, 4
	v_add3_u32 v4 /*v260*/, v122, v123, v4 /*v260*/
	s_set_vgpr_msb 5                        ;  msbs: dst=0 src0=1 src1=1 src2=0
	v_mul_i32_i24_e32 v122, v76 /*v332*/, v29 /*v285*/
	v_mul_i32_i24_e32 v123, v119 /*v375*/, v30 /*v286*/
	s_set_vgpr_msb 0x45                     ;  msbs: dst=1 src0=1 src1=1 src2=0
	v_mul_i32_i24_e32 v41 /*v297*/, v41 /*v297*/, v91 /*v347*/
	s_set_vgpr_msb 64                       ;  msbs: dst=1 src0=0 src1=0 src2=0
	v_bfe_u32 v91 /*v347*/, v108, 24, 4
	s_set_vgpr_msb 0x55                     ;  msbs: dst=1 src0=1 src1=1 src2=1
	v_add3_u32 v10 /*v266*/, v13 /*v269*/, v10 /*v266*/, v46 /*v302*/
	s_set_vgpr_msb 0x44                     ;  msbs: dst=1 src0=0 src1=1 src2=0
	v_mul_i32_i24_e32 v13 /*v269*/, v155, v18 /*v274*/
	s_set_vgpr_msb 64                       ;  msbs: dst=1 src0=0 src1=0 src2=0
	v_mul_i32_i24_e32 v46 /*v302*/, v132, v153
	s_set_vgpr_msb 0                        ;  msbs: dst=0 src0=0 src1=0 src2=0
	v_add3_u32 v243, v244, v249, v243
	v_add3_u32 v249, v254, v123, v122
	s_set_vgpr_msb 5                        ;  msbs: dst=0 src0=1 src1=1 src2=0
	v_mul_i32_i24_e32 v122, v76 /*v332*/, v120 /*v376*/
	v_mul_i32_i24_e32 v123, v119 /*v375*/, v122 /*v378*/
	s_set_vgpr_msb 0x55                     ;  msbs: dst=1 src0=1 src1=1 src2=1
	v_mul_i32_i24_e32 v34 /*v290*/, v34 /*v290*/, v92 /*v348*/
	v_add3_u32 v13 /*v269*/, v35 /*v291*/, v13 /*v269*/, v46 /*v302*/
	s_set_vgpr_msb 64                       ;  msbs: dst=1 src0=0 src1=0 src2=0
	v_bfe_i32 v92 /*v348*/, v137, 8, 8
	v_ashrrev_i32_e32 v99 /*v355*/, 24, v139
	s_set_vgpr_msb 1                        ;  msbs: dst=0 src0=1 src1=0 src2=0
	v_add3_u32 v254, v10 /*v266*/, v123, v122
	s_set_vgpr_msb 5                        ;  msbs: dst=0 src0=1 src1=1 src2=0
	v_mul_i32_i24_e32 v122, v76 /*v332*/, v123 /*v379*/
	v_mul_i32_i24_e32 v123, v119 /*v375*/, v91 /*v347*/
	s_set_vgpr_msb 20                       ;  msbs: dst=0 src0=0 src1=1 src2=1
	v_add3_u32 v234, v234, v41 /*v297*/, v34 /*v290*/
	s_set_vgpr_msb 0x41                     ;  msbs: dst=1 src0=1 src1=0 src2=0
	v_ashrrev_i32_e32 v34 /*v290*/, 24, v137
	v_mul_i32_i24_e32 v96 /*v352*/, v114 /*v370*/, v151
	s_set_vgpr_msb 64                       ;  msbs: dst=1 src0=0 src1=0 src2=0
	v_bfe_i32 v41 /*v297*/, v139, 8, 8
	s_set_vgpr_msb 0x41                     ;  msbs: dst=1 src0=1 src1=0 src2=0
	v_add3_u32 v10 /*v266*/, v13 /*v269*/, v123, v122
	s_set_vgpr_msb 5                        ;  msbs: dst=0 src0=1 src1=1 src2=0
	v_mul_i32_i24_e32 v122, v138 /*v394*/, v48 /*v304*/
	s_set_vgpr_msb 20                       ;  msbs: dst=0 src0=0 src1=1 src2=1
	v_mul_i32_i24_e32 v123, v146, v49 /*v305*/
	v_add3_u32 v250, v250, v95 /*v351*/, v96 /*v352*/
	s_set_vgpr_msb 0x45                     ;  msbs: dst=1 src0=1 src1=1 src2=0
	v_mul_i32_i24_e32 v95 /*v351*/, v94 /*v350*/, v18 /*v274*/
	s_set_vgpr_msb 0x41                     ;  msbs: dst=1 src0=1 src1=0 src2=0
	v_mul_i32_i24_e32 v96 /*v352*/, v114 /*v370*/, v153
	s_set_vgpr_msb 5                        ;  msbs: dst=0 src0=1 src1=1 src2=0
	v_add3_u32 v154, v37 /*v293*/, v38 /*v294*/, v154
	s_set_vgpr_msb 0                        ;  msbs: dst=0 src0=0 src1=0 src2=0
	v_add3_u32 v120, v120, v122, v123
	s_set_vgpr_msb 5                        ;  msbs: dst=0 src0=1 src1=1 src2=0
	v_mul_i32_i24_e32 v122, v92 /*v348*/, v29 /*v285*/
	v_mul_i32_i24_e32 v123, v34 /*v290*/, v30 /*v286*/
	s_set_vgpr_msb 0x55                     ;  msbs: dst=1 src0=1 src1=1 src2=1
	v_add3_u32 v47 /*v303*/, v47 /*v303*/, v95 /*v351*/, v96 /*v352*/
	s_set_vgpr_msb 64                       ;  msbs: dst=1 src0=0 src1=0 src2=0
	v_mul_i32_i24_e32 v102 /*v358*/, v124, v151
	s_set_vgpr_msb 0x45                     ;  msbs: dst=1 src0=1 src1=1 src2=0
	v_mul_i32_i24_e32 v90 /*v346*/, v16 /*v272*/, v98 /*v354*/
	s_set_vgpr_msb 64                       ;  msbs: dst=1 src0=0 src1=0 src2=0
	v_bfe_i32 v124 /*v380*/, v141, 8, 8
	s_set_vgpr_msb 1                        ;  msbs: dst=0 src0=1 src1=0 src2=0
	v_add3_u32 v146, v44 /*v300*/, v123, v122
	s_set_vgpr_msb 5                        ;  msbs: dst=0 src0=1 src1=1 src2=0
	v_mul_i32_i24_e32 v122, v92 /*v348*/, v120 /*v376*/
	v_mul_i32_i24_e32 v123, v34 /*v290*/, v122 /*v378*/
	s_set_vgpr_msb 0x55                     ;  msbs: dst=1 src0=1 src1=1 src2=1
	v_add3_u32 v60 /*v316*/, v60 /*v316*/, v101 /*v357*/, v102 /*v358*/
	v_mul_i32_i24_e32 v101 /*v357*/, v52 /*v308*/, v18 /*v274*/
	s_set_vgpr_msb 64                       ;  msbs: dst=1 src0=0 src1=0 src2=0
	v_mul_i32_i24_e32 v102 /*v358*/, v124, v153
	s_set_vgpr_msb 17                       ;  msbs: dst=0 src0=1 src1=0 src2=1
	v_add3_u32 v240, v65 /*v321*/, v240, v90 /*v346*/
	s_set_vgpr_msb 0                        ;  msbs: dst=0 src0=0 src1=0 src2=0
	v_add3_u32 v250, v250, v123, v122
	s_set_vgpr_msb 5                        ;  msbs: dst=0 src0=1 src1=1 src2=0
	v_mul_i32_i24_e32 v122, v92 /*v348*/, v123 /*v379*/
	v_mul_i32_i24_e32 v123, v34 /*v290*/, v91 /*v347*/
	s_set_vgpr_msb 0x55                     ;  msbs: dst=1 src0=1 src1=1 src2=1
	v_add3_u32 v62 /*v318*/, v62 /*v318*/, v101 /*v357*/, v102 /*v358*/
	s_set_vgpr_msb 64                       ;  msbs: dst=1 src0=0 src1=0 src2=0
	v_ashrrev_i32_e32 v65 /*v321*/, 24, v141
	s_set_vgpr_msb 0x45                     ;  msbs: dst=1 src0=1 src1=1 src2=0
	v_mul_i32_i24_e32 v16 /*v272*/, v16 /*v272*/, v100 /*v356*/
	s_set_vgpr_msb 0x41                     ;  msbs: dst=1 src0=1 src1=0 src2=0
	v_ashrrev_i32_e32 v100 /*v356*/, 24, v143
	v_add3_u32 v38 /*v294*/, v47 /*v303*/, v123, v122
	s_set_vgpr_msb 5                        ;  msbs: dst=0 src0=1 src1=1 src2=0
	v_mul_i32_i24_e32 v122, v67 /*v323*/, v48 /*v304*/
	s_set_vgpr_msb 4                        ;  msbs: dst=0 src0=0 src1=1 src2=0
	v_mul_i32_i24_e32 v123, v136, v49 /*v305*/
	s_set_vgpr_msb 64                       ;  msbs: dst=1 src0=0 src1=0 src2=0
	v_mul_i32_i24_e32 v104 /*v360*/, v126, v151
	v_bfe_i32 v98 /*v354*/, v143, 8, 8
	s_set_vgpr_msb 20                       ;  msbs: dst=0 src0=0 src1=1 src2=1
	v_add3_u32 v253, v253, v68 /*v324*/, v16 /*v272*/
	s_set_vgpr_msb 64                       ;  msbs: dst=1 src0=0 src1=0 src2=0
	v_mul_i32_i24_e32 v21 /*v277*/, v230, v232
	s_set_vgpr_msb 0                        ;  msbs: dst=0 src0=0 src1=0 src2=0
	v_add3_u32 v118, v118, v122, v123
	s_set_vgpr_msb 5                        ;  msbs: dst=0 src0=1 src1=1 src2=0
	v_mul_i32_i24_e32 v122, v41 /*v297*/, v29 /*v285*/
	v_mul_i32_i24_e32 v123, v99 /*v355*/, v30 /*v286*/
	s_set_vgpr_msb 0x55                     ;  msbs: dst=1 src0=1 src1=1 src2=1
	v_add3_u32 v71 /*v327*/, v71 /*v327*/, v103 /*v359*/, v104 /*v360*/
	v_mul_i32_i24_e32 v103 /*v359*/, v9 /*v265*/, v18 /*v274*/
	s_set_vgpr_msb 64                       ;  msbs: dst=1 src0=0 src1=0 src2=0
	v_mul_i32_i24_e32 v104 /*v360*/, v126, v153
	s_set_vgpr_msb 0x44                     ;  msbs: dst=1 src0=0 src1=1 src2=0
	v_mul_i32_i24_e32 v22 /*v278*/, v231, v29 /*v285*/
	s_set_vgpr_msb 1                        ;  msbs: dst=0 src0=1 src1=0 src2=0
	v_add3_u32 v136, v51 /*v307*/, v123, v122
	s_set_vgpr_msb 5                        ;  msbs: dst=0 src0=1 src1=1 src2=0
	v_mul_i32_i24_e32 v122, v41 /*v297*/, v120 /*v376*/
	v_mul_i32_i24_e32 v123, v99 /*v355*/, v122 /*v378*/
	s_set_vgpr_msb 0x55                     ;  msbs: dst=1 src0=1 src1=1 src2=1
	v_add3_u32 v73 /*v329*/, v73 /*v329*/, v103 /*v359*/, v104 /*v360*/
	v_mul_i32_i24_e32 v8 /*v264*/, v17 /*v273*/, v8 /*v264*/
	v_mul_i32_i24_e32 v17 /*v273*/, v17 /*v273*/, v130 /*v386*/
	;; [unrolled: 1-line block ×3, first 2 shown]
	s_set_vgpr_msb 0x41                     ;  msbs: dst=1 src0=1 src1=0 src2=0
	v_add3_u32 v51 /*v307*/, v60 /*v316*/, v123, v122
	s_set_vgpr_msb 5                        ;  msbs: dst=0 src0=1 src1=1 src2=0
	v_mul_i32_i24_e32 v122, v41 /*v297*/, v123 /*v379*/
	v_mul_i32_i24_e32 v123, v99 /*v355*/, v91 /*v347*/
	s_set_vgpr_msb 64                       ;  msbs: dst=1 src0=0 src1=0 src2=0
	v_bfe_i32 v16 /*v272*/, v145, 8, 8
	s_set_vgpr_msb 20                       ;  msbs: dst=0 src0=0 src1=1 src2=1
	v_add3_u32 v253, v253, v17 /*v273*/, v15 /*v271*/
	s_set_vgpr_msb 64                       ;  msbs: dst=1 src0=0 src1=0 src2=0
	v_bfe_i32 v149 /*v405*/, v105, 8, 8
	s_set_vgpr_msb 0                        ;  msbs: dst=0 src0=0 src1=0 src2=0
	v_ashrrev_i32_e32 v244, 24, v105
	s_set_vgpr_msb 0x41                     ;  msbs: dst=1 src0=1 src1=0 src2=0
	v_add3_u32 v60 /*v316*/, v62 /*v318*/, v123, v122
	s_set_vgpr_msb 5                        ;  msbs: dst=0 src0=1 src1=1 src2=0
	v_mul_i32_i24_e32 v122, v6 /*v262*/, v48 /*v304*/
	s_set_vgpr_msb 4                        ;  msbs: dst=0 src0=0 src1=1 src2=0
	v_mul_i32_i24_e32 v123, v138, v49 /*v305*/
	s_set_vgpr_msb 0x55                     ;  msbs: dst=1 src0=1 src1=1 src2=1
	v_add3_u32 v21 /*v277*/, v36 /*v292*/, v22 /*v278*/, v21 /*v277*/
	s_set_vgpr_msb 64                       ;  msbs: dst=1 src0=0 src1=0 src2=0
	v_bfe_i32 v22 /*v278*/, v105, 0, 8
	v_bfe_i32 v36 /*v292*/, v105, 16, 8
	s_set_vgpr_msb 1                        ;  msbs: dst=0 src0=1 src1=0 src2=0
	v_mul_i32_i24_e32 v105, v14 /*v270*/, v151
	s_set_vgpr_msb 0                        ;  msbs: dst=0 src0=0 src1=0 src2=0
	v_add3_u32 v116, v116, v122, v123
	s_set_vgpr_msb 5                        ;  msbs: dst=0 src0=1 src1=1 src2=0
	v_mul_i32_i24_e32 v122, v124 /*v380*/, v29 /*v285*/
	v_mul_i32_i24_e32 v123, v65 /*v321*/, v30 /*v286*/
	;; [unrolled: 1-line block ×3, first 2 shown]
	s_set_vgpr_msb 1                        ;  msbs: dst=0 src0=1 src1=0 src2=0
	v_mul_i32_i24_e32 v153, v14 /*v270*/, v153
	s_set_vgpr_msb 0x45                     ;  msbs: dst=1 src0=1 src1=1 src2=0
	v_mul_i32_i24_e32 v20 /*v276*/, v20 /*v276*/, v131 /*v387*/
	s_set_vgpr_msb 64                       ;  msbs: dst=1 src0=0 src1=0 src2=0
	v_bfe_i32 v150 /*v406*/, v103, 8, 8
	s_set_vgpr_msb 1                        ;  msbs: dst=0 src0=1 src1=0 src2=0
	v_add3_u32 v138, v64 /*v320*/, v123, v122
	s_set_vgpr_msb 5                        ;  msbs: dst=0 src0=1 src1=1 src2=0
	v_mul_i32_i24_e32 v122, v124 /*v380*/, v120 /*v376*/
	v_mul_i32_i24_e32 v123, v65 /*v321*/, v122 /*v378*/
	s_set_vgpr_msb 64                       ;  msbs: dst=1 src0=0 src1=0 src2=0
	v_dual_ashrrev_i32 v62 /*v318*/, 24, v103 :: v_dual_ashrrev_i32 v67 /*v323*/, 24, v101
	s_set_vgpr_msb 16                       ;  msbs: dst=0 src0=0 src1=0 src2=1
	v_add3_u32 v153, v253, v153, v20 /*v276*/
	v_bfe_i32 v253, v103, 0, 8
	s_set_vgpr_msb 0x41                     ;  msbs: dst=1 src0=1 src1=0 src2=0
	v_add3_u32 v6 /*v262*/, v71 /*v327*/, v123, v122
	s_set_vgpr_msb 5                        ;  msbs: dst=0 src0=1 src1=1 src2=0
	v_mul_i32_i24_e32 v122, v124 /*v380*/, v123 /*v379*/
	v_mul_i32_i24_e32 v123, v65 /*v321*/, v91 /*v347*/
	s_set_vgpr_msb 64                       ;  msbs: dst=1 src0=0 src1=0 src2=0
	v_bfe_i32 v20 /*v276*/, v103, 16, 8
	s_set_vgpr_msb 4                        ;  msbs: dst=0 src0=0 src1=1 src2=0
	v_mul_i32_i24_e32 v103, v255, v29 /*v285*/
	s_set_vgpr_msb 0x41                     ;  msbs: dst=1 src0=1 src1=0 src2=0
	v_dual_ashrrev_i32 v68 /*v324*/, 24, v145 :: v_dual_bitop2_b32 v19 /*v275*/, 15, v106 bitop3:0x40
	v_add3_u32 v64 /*v320*/, v73 /*v329*/, v123, v122
	s_set_vgpr_msb 5                        ;  msbs: dst=0 src0=1 src1=1 src2=0
	v_mul_i32_i24_e32 v122, v133 /*v389*/, v48 /*v304*/
	s_set_vgpr_msb 4                        ;  msbs: dst=0 src0=0 src1=1 src2=0
	v_mul_i32_i24_e32 v123, v140, v49 /*v305*/
	s_set_vgpr_msb 0x44                     ;  msbs: dst=1 src0=0 src1=1 src2=0
	v_bfe_i32 v54 /*v310*/, v134, 0, 8
	v_bfe_i32 v90 /*v346*/, v134, 8, 8
	v_mul_i32_i24_e32 v95 /*v351*/, v218, v30 /*v286*/
	v_bfe_i32 v151 /*v407*/, v101, 8, 8
	s_set_vgpr_msb 1                        ;  msbs: dst=0 src0=1 src1=0 src2=0
	v_add3_u32 v140, v77 /*v333*/, v122, v123
	s_set_vgpr_msb 5                        ;  msbs: dst=0 src0=1 src1=1 src2=0
	v_mul_i32_i24_e32 v122, v98 /*v354*/, v29 /*v285*/
	v_mul_i32_i24_e32 v123, v100 /*v356*/, v30 /*v286*/
	s_set_vgpr_msb 64                       ;  msbs: dst=1 src0=0 src1=0 src2=0
	v_bfe_i32 v56 /*v312*/, v147, 0, 8
	s_set_vgpr_msb 0                        ;  msbs: dst=0 src0=0 src1=0 src2=0
	v_bfe_i32 v147, v147, 16, 8
	s_set_vgpr_msb 64                       ;  msbs: dst=1 src0=0 src1=0 src2=0
	v_bfe_u32 v7 /*v263*/, v106, 16, 4
	v_dual_ashrrev_i32 v135 /*v391*/, 24, v134 :: v_dual_bitop2_b32 v35 /*v291*/, 15, v108 bitop3:0x40
	s_set_vgpr_msb 0x41                     ;  msbs: dst=1 src0=1 src1=0 src2=0
	v_add3_u32 v71 /*v327*/, v79 /*v335*/, v123, v122
	s_set_vgpr_msb 5                        ;  msbs: dst=0 src0=1 src1=1 src2=0
	v_mul_i32_i24_e32 v122, v98 /*v354*/, v120 /*v376*/
	v_mul_i32_i24_e32 v123, v100 /*v356*/, v122 /*v378*/
	s_set_vgpr_msb 64                       ;  msbs: dst=1 src0=0 src1=0 src2=0
	v_bfe_u32 v129 /*v385*/, v108, 16, 4
	v_bfe_i32 v46 /*v302*/, v137, 0, 8
	s_set_vgpr_msb 0                        ;  msbs: dst=0 src0=0 src1=0 src2=0
	v_bfe_i32 v137, v137, 16, 8
	s_wait_dscnt 0x2
	s_set_vgpr_msb 64                       ;  msbs: dst=1 src0=0 src1=0 src2=0
	v_bfe_i32 v133 /*v389*/, v99, 8, 8
	s_set_vgpr_msb 0x41                     ;  msbs: dst=1 src0=1 src1=0 src2=0
	v_add3_u32 v73 /*v329*/, v81 /*v337*/, v123, v122
	s_set_vgpr_msb 5                        ;  msbs: dst=0 src0=1 src1=1 src2=0
	v_mul_i32_i24_e32 v122, v98 /*v354*/, v123 /*v379*/
	v_mul_i32_i24_e32 v123, v100 /*v356*/, v91 /*v347*/
	s_set_vgpr_msb 64                       ;  msbs: dst=1 src0=0 src1=0 src2=0
	v_ashrrev_i32_e32 v79 /*v335*/, 24, v99
	v_bfe_i32 v125 /*v381*/, v139, 0, 8
	s_set_vgpr_msb 0                        ;  msbs: dst=0 src0=0 src1=0 src2=0
	v_bfe_i32 v139, v139, 16, 8
	s_wait_dscnt 0x1
	s_set_vgpr_msb 64                       ;  msbs: dst=1 src0=0 src1=0 src2=0
	v_bfe_i32 v152 /*v408*/, v97, 8, 8
	s_set_vgpr_msb 0x41                     ;  msbs: dst=1 src0=1 src1=0 src2=0
	v_add3_u32 v77 /*v333*/, v105 /*v361*/, v123, v122
	s_set_vgpr_msb 5                        ;  msbs: dst=0 src0=1 src1=1 src2=0
	v_mul_i32_i24_e32 v122, v113 /*v369*/, v48 /*v304*/
	s_set_vgpr_msb 4                        ;  msbs: dst=0 src0=0 src1=1 src2=0
	v_mul_i32_i24_e32 v123, v142, v49 /*v305*/
	s_set_vgpr_msb 64                       ;  msbs: dst=1 src0=0 src1=0 src2=0
	v_bfe_i32 v45 /*v301*/, v97, 16, 8
	v_bfe_i32 v126 /*v382*/, v141, 0, 8
	s_set_vgpr_msb 0                        ;  msbs: dst=0 src0=0 src1=0 src2=0
	v_bfe_i32 v141, v141, 16, 8
	s_wait_dscnt 0x0
	s_set_vgpr_msb 64                       ;  msbs: dst=1 src0=0 src1=0 src2=0
	v_bfe_i32 v153 /*v409*/, v95, 8, 8
	s_set_vgpr_msb 1                        ;  msbs: dst=0 src0=1 src1=0 src2=0
	v_add3_u32 v142, v82 /*v338*/, v122, v123
	s_set_vgpr_msb 5                        ;  msbs: dst=0 src0=1 src1=1 src2=0
	v_mul_i32_i24_e32 v122, v16 /*v272*/, v29 /*v285*/
	s_set_vgpr_msb 0x45                     ;  msbs: dst=1 src0=1 src1=1 src2=0
	v_mul_i32_i24_e32 v29 /*v285*/, v57 /*v313*/, v30 /*v286*/
	s_set_vgpr_msb 5                        ;  msbs: dst=0 src0=1 src1=1 src2=0
	v_mul_i32_i24_e32 v123, v68 /*v324*/, v30 /*v286*/
	s_set_vgpr_msb 64                       ;  msbs: dst=1 src0=0 src1=0 src2=0
	v_bfe_i32 v30 /*v286*/, v101, 16, 8
	v_bfe_i32 v127 /*v383*/, v143, 0, 8
	s_set_vgpr_msb 4                        ;  msbs: dst=0 src0=0 src1=1 src2=0
	v_bfe_i32 v143, v143, 16, 8
	v_add3_u32 v103, v236, v29 /*v285*/, v103
	v_mul_i32_i24_e32 v236, v255, v120 /*v376*/
	s_set_vgpr_msb 0x45                     ;  msbs: dst=1 src0=1 src1=1 src2=0
	v_mul_i32_i24_e32 v29 /*v285*/, v57 /*v313*/, v122 /*v378*/
	s_set_vgpr_msb 0x41                     ;  msbs: dst=1 src0=1 src1=0 src2=0
	v_add3_u32 v81 /*v337*/, v86 /*v342*/, v123, v122
	s_set_vgpr_msb 5                        ;  msbs: dst=0 src0=1 src1=1 src2=0
	v_mul_i32_i24_e32 v122, v16 /*v272*/, v120 /*v376*/
	v_mul_i32_i24_e32 v123, v68 /*v324*/, v122 /*v378*/
	s_set_vgpr_msb 64                       ;  msbs: dst=1 src0=0 src1=0 src2=0
	v_bfe_i32 v128 /*v384*/, v145, 0, 8
	s_set_vgpr_msb 5                        ;  msbs: dst=0 src0=1 src1=1 src2=0
	v_add3_u32 v236, v3 /*v259*/, v29 /*v285*/, v236
	s_set_vgpr_msb 64                       ;  msbs: dst=1 src0=0 src1=0 src2=0
	v_bfe_i32 v3 /*v259*/, v101, 0, 8
	s_set_vgpr_msb 4                        ;  msbs: dst=0 src0=0 src1=1 src2=0
	v_mul_i32_i24_e32 v101, v255, v123 /*v379*/
	s_set_vgpr_msb 5                        ;  msbs: dst=0 src0=1 src1=1 src2=0
	v_mul_i32_i24_e32 v255, v57 /*v313*/, v91 /*v347*/
	s_set_vgpr_msb 0x41                     ;  msbs: dst=1 src0=1 src1=0 src2=0
	v_add3_u32 v82 /*v338*/, v89 /*v345*/, v123, v122
	v_ashrrev_i32_e32 v89 /*v345*/, 24, v97
	s_set_vgpr_msb 5                        ;  msbs: dst=0 src0=1 src1=1 src2=0
	v_mul_i32_i24_e32 v122, v16 /*v272*/, v123 /*v379*/
	v_mul_i32_i24_e32 v123, v68 /*v324*/, v91 /*v347*/
	s_set_vgpr_msb 1                        ;  msbs: dst=0 src0=1 src1=0 src2=0
	v_add3_u32 v101, v4 /*v260*/, v255, v101
	s_set_vgpr_msb 4                        ;  msbs: dst=0 src0=0 src1=1 src2=0
	v_mul_i32_i24_e32 v255, v247, v54 /*v310*/
	s_set_vgpr_msb 0x45                     ;  msbs: dst=1 src0=1 src1=1 src2=0
	v_mul_i32_i24_e32 v4 /*v260*/, v115 /*v371*/, v90 /*v346*/
	s_set_vgpr_msb 0x44                     ;  msbs: dst=1 src0=0 src1=1 src2=0
	v_mul_i32_i24_e32 v29 /*v285*/, v139, v129 /*v385*/
	s_set_vgpr_msb 0x41                     ;  msbs: dst=1 src0=1 src1=0 src2=0
	v_add3_u32 v86 /*v342*/, v108 /*v364*/, v123, v122
	s_set_vgpr_msb 5                        ;  msbs: dst=0 src0=1 src1=1 src2=0
	v_mul_i32_i24_e32 v122, v66 /*v322*/, v48 /*v304*/
	s_set_vgpr_msb 4                        ;  msbs: dst=0 src0=0 src1=1 src2=0
	v_mul_i32_i24_e32 v123, v144, v49 /*v305*/
	s_set_vgpr_msb 16                       ;  msbs: dst=0 src0=0 src1=0 src2=1
	v_add3_u32 v154, v154, v255, v4 /*v260*/
	s_set_vgpr_msb 4                        ;  msbs: dst=0 src0=0 src1=1 src2=0
	v_mul_i32_i24_e32 v255, v246, v32 /*v288*/
	s_set_vgpr_msb 0x44                     ;  msbs: dst=1 src0=0 src1=1 src2=0
	v_mul_i32_i24_e32 v4 /*v260*/, v248, v2 /*v258*/
	s_set_vgpr_msb 64                       ;  msbs: dst=1 src0=0 src1=0 src2=0
	v_dual_ashrrev_i32 v48 /*v304*/, 24, v95 :: v_dual_bitop2_b32 v14 /*v270*/, 15, v109 bitop3:0x40
	v_bfe_i32 v49 /*v305*/, v95, 0, 8
	s_set_vgpr_msb 0x44                     ;  msbs: dst=1 src0=0 src1=1 src2=0
	v_mul_i32_i24_e32 v66 /*v322*/, v143, v129 /*v385*/
	s_set_vgpr_msb 16                       ;  msbs: dst=0 src0=0 src1=0 src2=1
	v_add3_u32 v243, v243, v255, v4 /*v260*/
	s_set_vgpr_msb 1                        ;  msbs: dst=0 src0=1 src1=0 src2=0
	v_mul_i32_i24_e32 v255, v56 /*v312*/, v232
	s_set_vgpr_msb 64                       ;  msbs: dst=1 src0=0 src1=0 src2=0
	v_mul_i32_i24_e32 v4 /*v260*/, v147, v233
	s_set_vgpr_msb 0                        ;  msbs: dst=0 src0=0 src1=0 src2=0
	v_bfe_i32 v145, v145, 16, 8
	s_set_vgpr_msb 0x45                     ;  msbs: dst=1 src0=1 src1=1 src2=0
	v_mul_i32_i24_e32 v39 /*v295*/, v112 /*v368*/, v39 /*v295*/
	s_set_vgpr_msb 1                        ;  msbs: dst=0 src0=1 src1=0 src2=0
	v_mul_i32_i24_e32 v235, v111 /*v367*/, v235
	s_set_vgpr_msb 64                       ;  msbs: dst=1 src0=0 src1=0 src2=0
	v_bfe_i32 v96 /*v352*/, v134, 16, 8
	s_set_vgpr_msb 16                       ;  msbs: dst=0 src0=0 src1=0 src2=1
	v_add3_u32 v249, v249, v255, v4 /*v260*/
	s_set_vgpr_msb 5                        ;  msbs: dst=0 src0=1 src1=1 src2=0
	v_mul_i32_i24_e32 v255, v56 /*v312*/, v19 /*v275*/
	s_set_vgpr_msb 0x44                     ;  msbs: dst=1 src0=0 src1=1 src2=0
	v_mul_i32_i24_e32 v4 /*v260*/, v147, v7 /*v263*/
	s_set_vgpr_msb 4                        ;  msbs: dst=0 src0=0 src1=1 src2=0
	v_add3_u32 v234, v234, v39 /*v295*/, v235
	s_set_vgpr_msb 0                        ;  msbs: dst=0 src0=0 src1=0 src2=0
	v_mul_i32_i24_e32 v134, v219, v233
	s_set_vgpr_msb 20                       ;  msbs: dst=0 src0=0 src1=1 src2=1
	v_add3_u32 v240, v240, v8 /*v264*/, v74 /*v330*/
	s_set_vgpr_msb 64                       ;  msbs: dst=1 src0=0 src1=0 src2=0
	v_bfe_u32 v13 /*v269*/, v107, 8, 4
	s_set_vgpr_msb 16                       ;  msbs: dst=0 src0=0 src1=0 src2=1
	v_add3_u32 v254, v254, v255, v4 /*v260*/
	s_set_vgpr_msb 5                        ;  msbs: dst=0 src0=1 src1=1 src2=0
	v_mul_i32_i24_e32 v255, v56 /*v312*/, v35 /*v291*/
	s_set_vgpr_msb 0x44                     ;  msbs: dst=1 src0=0 src1=1 src2=0
	v_mul_i32_i24_e32 v4 /*v260*/, v147, v129 /*v385*/
	s_set_vgpr_msb 0                        ;  msbs: dst=0 src0=0 src1=0 src2=0
	v_add3_u32 v144, v234, v122, v123
	v_add3_u32 v105, v240, v105, v151
	s_set_vgpr_msb 17                       ;  msbs: dst=0 src0=1 src1=0 src2=1
	v_add3_u32 v134, v21 /*v277*/, v134, v95 /*v351*/
	s_set_vgpr_msb 0x44                     ;  msbs: dst=1 src0=0 src1=1 src2=0
	v_mul_i32_i24_e32 v21 /*v277*/, v230, v19 /*v275*/
	s_set_vgpr_msb 17                       ;  msbs: dst=0 src0=1 src1=0 src2=1
	v_add3_u32 v255, v10 /*v266*/, v255, v4 /*v260*/
	s_set_vgpr_msb 64                       ;  msbs: dst=1 src0=0 src1=0 src2=0
	v_bfe_i32 v4 /*v260*/, v99, 0, 8
	v_bfe_i32 v10 /*v266*/, v99, 16, 8
	s_set_vgpr_msb 5                        ;  msbs: dst=0 src0=1 src1=1 src2=0
	v_mul_i32_i24_e32 v99, v0 /*v256*/, v53 /*v309*/
	s_set_vgpr_msb 0x45                     ;  msbs: dst=1 src0=1 src1=1 src2=0
	v_mul_i32_i24_e32 v0 /*v256*/, v69 /*v325*/, v40 /*v296*/
	s_set_vgpr_msb 4                        ;  msbs: dst=0 src0=0 src1=1 src2=0
	v_mul_i32_i24_e32 v230, v230, v35 /*v291*/
	s_set_vgpr_msb 64                       ;  msbs: dst=1 src0=0 src1=0 src2=0
	v_bfe_u32 v37 /*v293*/, v107, 24, 4
	s_set_vgpr_msb 0                        ;  msbs: dst=0 src0=0 src1=0 src2=0
	v_dual_add_nc_u32 v194, 4, v194 :: v_dual_bitop2_b32 v151, 15, v107 bitop3:0x40
	s_set_vgpr_msb 4                        ;  msbs: dst=0 src0=0 src1=1 src2=0
	v_add3_u32 v120, v120, v0 /*v256*/, v99
	s_set_vgpr_msb 1                        ;  msbs: dst=0 src0=1 src1=0 src2=0
	v_mul_i32_i24_e32 v99, v46 /*v302*/, v232
	s_set_vgpr_msb 64                       ;  msbs: dst=1 src0=0 src1=0 src2=0
	v_mul_i32_i24_e32 v0 /*v256*/, v137, v233
	s_set_vgpr_msb 0                        ;  msbs: dst=0 src0=0 src1=0 src2=0
	v_bfe_u32 v240, v107, 16, 4
	s_set_vgpr_msb 64                       ;  msbs: dst=1 src0=0 src1=0 src2=0
	v_bfe_u32 v155 /*v411*/, v107, 12, 4
	v_bfe_i32 v101 /*v357*/, v133, 0, 8
	v_dual_ashrrev_i32 v102 /*v358*/, 24, v133 :: v_dual_lshrrev_b32 v104 /*v360*/, 28, v106
	s_set_vgpr_msb 16                       ;  msbs: dst=0 src0=0 src1=0 src2=1
	v_add3_u32 v146, v146, v99, v0 /*v256*/
	s_set_vgpr_msb 5                        ;  msbs: dst=0 src0=1 src1=1 src2=0
	v_mul_i32_i24_e32 v99, v46 /*v302*/, v19 /*v275*/
	s_set_vgpr_msb 0x44                     ;  msbs: dst=1 src0=0 src1=1 src2=0
	v_mul_i32_i24_e32 v0 /*v256*/, v137, v7 /*v263*/
	v_bfe_u32 v103 /*v359*/, v106, 4, 4
	v_bfe_u32 v44 /*v300*/, v109, 8, 4
	;; [unrolled: 1-line block ×3, first 2 shown]
	s_set_vgpr_msb 1                        ;  msbs: dst=0 src0=1 src1=0 src2=0
	v_cvt_f32_f16_e64 v122, v33 /*v289*/
	s_set_vgpr_msb 16                       ;  msbs: dst=0 src0=0 src1=0 src2=1
	v_add3_u32 v250, v250, v99, v0 /*v256*/
	s_set_vgpr_msb 5                        ;  msbs: dst=0 src0=1 src1=1 src2=0
	v_mul_i32_i24_e32 v99, v46 /*v302*/, v35 /*v291*/
	s_set_vgpr_msb 0x44                     ;  msbs: dst=1 src0=0 src1=1 src2=0
	v_mul_i32_i24_e32 v0 /*v256*/, v137, v129 /*v385*/
	v_bfe_u32 v33 /*v289*/, v109, 16, 4
	v_bfe_u32 v156 /*v412*/, v109, 12, 4
	;; [unrolled: 1-line block ×3, first 2 shown]
	s_set_vgpr_msb 0x51                     ;  msbs: dst=1 src0=1 src1=0 src2=1
	v_ashrrev_i32_e32 v131 /*v387*/, 24, v111
	v_add3_u32 v0 /*v256*/, v38 /*v294*/, v99, v0 /*v256*/
	s_set_vgpr_msb 64                       ;  msbs: dst=1 src0=0 src1=0 src2=0
	v_bfe_i32 v38 /*v294*/, v97, 0, 8
	s_set_vgpr_msb 5                        ;  msbs: dst=0 src0=1 src1=1 src2=0
	v_mul_i32_i24_e32 v97, v132 /*v388*/, v53 /*v309*/
	v_mul_i32_i24_e32 v99, v61 /*v317*/, v40 /*v296*/
	s_set_vgpr_msb 0x45                     ;  msbs: dst=1 src0=1 src1=1 src2=0
	v_mul_i32_i24_e32 v61 /*v317*/, v83 /*v339*/, v40 /*v296*/
	s_set_vgpr_msb 64                       ;  msbs: dst=1 src0=0 src1=0 src2=0
	v_bfe_i32 v163 /*v419*/, v111, 8, 8
	v_bfe_i32 v164 /*v420*/, v111, 16, 8
	;; [unrolled: 1-line block ×3, first 2 shown]
	s_set_vgpr_msb 0                        ;  msbs: dst=0 src0=0 src1=0 src2=0
	v_add3_u32 v97, v118, v99, v97
	s_set_vgpr_msb 1                        ;  msbs: dst=0 src0=1 src1=0 src2=0
	v_mul_i32_i24_e32 v99, v125 /*v381*/, v232
	s_set_vgpr_msb 0                        ;  msbs: dst=0 src0=0 src1=0 src2=0
	v_mul_i32_i24_e32 v118, v139, v233
	s_set_vgpr_msb 64                       ;  msbs: dst=1 src0=0 src1=0 src2=0
	v_bfe_i32 v162 /*v418*/, v113, 16, 8
	v_ashrrev_i32_e32 v95 /*v351*/, 24, v115
	v_bfe_i32 v159 /*v415*/, v115, 8, 8
	v_bfe_i32 v160 /*v416*/, v115, 16, 8
	s_set_vgpr_msb 0                        ;  msbs: dst=0 src0=0 src1=0 src2=0
	v_add3_u32 v118, v136, v99, v118
	s_set_vgpr_msb 5                        ;  msbs: dst=0 src0=1 src1=1 src2=0
	v_mul_i32_i24_e32 v99, v125 /*v381*/, v19 /*v275*/
	s_set_vgpr_msb 4                        ;  msbs: dst=0 src0=0 src1=1 src2=0
	v_mul_i32_i24_e32 v136, v139, v7 /*v263*/
	s_set_vgpr_msb 64                       ;  msbs: dst=1 src0=0 src1=0 src2=0
	v_bfe_i32 v83 /*v339*/, v117, 0, 8
	v_bfe_i32 v158 /*v414*/, v117, 8, 8
	;; [unrolled: 1-line block ×4, first 2 shown]
	s_set_vgpr_msb 1                        ;  msbs: dst=0 src0=1 src1=0 src2=0
	v_add3_u32 v136, v51 /*v307*/, v99, v136
	s_set_vgpr_msb 5                        ;  msbs: dst=0 src0=1 src1=1 src2=0
	v_mul_i32_i24_e32 v99, v125 /*v381*/, v35 /*v291*/
	s_set_vgpr_msb 64                       ;  msbs: dst=1 src0=0 src1=0 src2=0
	v_bfe_i32 v51 /*v307*/, v95, 16, 8
	s_set_vgpr_msb 5                        ;  msbs: dst=0 src0=1 src1=1 src2=0
	v_mul_i32_i24_e32 v95, v72 /*v328*/, v53 /*v309*/
	s_set_vgpr_msb 64                       ;  msbs: dst=1 src0=0 src1=0 src2=0
	v_ashrrev_i32_e32 v72 /*v328*/, 24, v121
	v_bfe_i32 v112 /*v368*/, v125, 0, 8
	s_set_vgpr_msb 0x51                     ;  msbs: dst=1 src0=1 src1=0 src2=1
	v_add3_u32 v29 /*v285*/, v60 /*v316*/, v99, v29 /*v285*/
	s_set_vgpr_msb 5                        ;  msbs: dst=0 src0=1 src1=1 src2=0
	v_mul_i32_i24_e32 v99, v75 /*v331*/, v40 /*v296*/
	s_set_vgpr_msb 64                       ;  msbs: dst=1 src0=0 src1=0 src2=0
	v_bfe_u32 v75 /*v331*/, v107, 4, 4
	v_dual_ashrrev_i32 v111 /*v367*/, 24, v125 :: v_dual_ashrrev_i32 v39 /*v295*/, 24, v127
	v_bfe_i32 v69 /*v325*/, v121, 0, 8
	s_set_vgpr_msb 0                        ;  msbs: dst=0 src0=0 src1=0 src2=0
	v_add3_u32 v95, v116, v99, v95
	s_set_vgpr_msb 1                        ;  msbs: dst=0 src0=1 src1=0 src2=0
	v_mul_i32_i24_e32 v99, v126 /*v382*/, v232
	s_set_vgpr_msb 0                        ;  msbs: dst=0 src0=0 src1=0 src2=0
	v_mul_i32_i24_e32 v116, v141, v233
	s_set_vgpr_msb 64                       ;  msbs: dst=1 src0=0 src1=0 src2=0
	v_bfe_i32 v154 /*v410*/, v121, 8, 8
	v_bfe_i32 v132 /*v388*/, v121, 16, 8
	s_set_vgpr_msb 0                        ;  msbs: dst=0 src0=0 src1=0 src2=0
	v_bfe_i32 v235, v127, 0, 8
	s_set_vgpr_msb 64                       ;  msbs: dst=1 src0=0 src1=0 src2=0
	v_bfe_i32 v63 /*v319*/, v129, 0, 8
	s_set_vgpr_msb 0                        ;  msbs: dst=0 src0=0 src1=0 src2=0
	v_add3_u32 v116, v138, v99, v116
	s_set_vgpr_msb 5                        ;  msbs: dst=0 src0=1 src1=1 src2=0
	v_mul_i32_i24_e32 v99, v126 /*v382*/, v19 /*v275*/
	s_set_vgpr_msb 4                        ;  msbs: dst=0 src0=0 src1=1 src2=0
	v_mul_i32_i24_e32 v138, v141, v7 /*v263*/
	s_set_vgpr_msb 64                       ;  msbs: dst=1 src0=0 src1=0 src2=0
	v_dual_ashrrev_i32 v8 /*v264*/, 24, v129 :: v_dual_ashrrev_i32 v130 /*v386*/, 24, v131
	v_bfe_i32 v74 /*v330*/, v131, 0, 8
	v_bfe_i32 v17 /*v273*/, v133, 8, 8
	s_set_vgpr_msb 1                        ;  msbs: dst=0 src0=1 src1=0 src2=0
	v_add3_u32 v138, v6 /*v262*/, v99, v138
	s_set_vgpr_msb 5                        ;  msbs: dst=0 src0=1 src1=1 src2=0
	v_mul_i32_i24_e32 v99, v126 /*v382*/, v35 /*v291*/
	s_set_vgpr_msb 0x44                     ;  msbs: dst=1 src0=0 src1=1 src2=0
	v_mul_i32_i24_e32 v6 /*v262*/, v141, v129 /*v385*/
	s_set_vgpr_msb 0                        ;  msbs: dst=0 src0=0 src1=0 src2=0
	v_bfe_i32 v133, v133, 16, 8
	s_set_vgpr_msb 64                       ;  msbs: dst=1 src0=0 src1=0 src2=0
	v_mul_i32_i24_e32 v136 /*v392*/, v213, v221
	v_bfe_u32 v26 /*v282*/, v106, 12, 4
	s_set_vgpr_msb 0                        ;  msbs: dst=0 src0=0 src1=0 src2=0
	v_bfe_u32 v106, v106, 20, 4
	s_set_vgpr_msb 0x51                     ;  msbs: dst=1 src0=1 src1=0 src2=1
	v_add3_u32 v6 /*v262*/, v64 /*v320*/, v99, v6 /*v262*/
	s_set_vgpr_msb 5                        ;  msbs: dst=0 src0=1 src1=1 src2=0
	v_mul_i32_i24_e32 v99, v78 /*v334*/, v53 /*v309*/
	s_set_vgpr_msb 0x44                     ;  msbs: dst=1 src0=0 src1=1 src2=0
	v_mul_i32_i24_e32 v64 /*v320*/, v143, v7 /*v263*/
	s_set_vgpr_msb 64                       ;  msbs: dst=1 src0=0 src1=0 src2=0
	v_lshrrev_b32_e32 v78 /*v334*/, 28, v107
	v_mul_i32_i24_e32 v18 /*v274*/, v209, v222
	v_bfe_i32 v171 /*v427*/, v98, 8, 8
	s_set_vgpr_msb 4                        ;  msbs: dst=0 src0=0 src1=1 src2=0
	v_add3_u32 v140, v140, v61 /*v317*/, v99
	s_set_vgpr_msb 1                        ;  msbs: dst=0 src0=1 src1=0 src2=0
	v_mul_i32_i24_e32 v99, v127 /*v383*/, v232
	s_set_vgpr_msb 64                       ;  msbs: dst=1 src0=0 src1=0 src2=0
	v_mul_i32_i24_e32 v61 /*v317*/, v143, v233
	v_bfe_i32 v180 /*v436*/, v98, 16, 8
	v_dual_ashrrev_i32 v181 /*v437*/, 24, v98 :: v_dual_ashrrev_i32 v183 /*v439*/, 24, v96
	v_bfe_i32 v137 /*v393*/, v125, 8, 8
	s_set_vgpr_msb 0x51                     ;  msbs: dst=1 src0=1 src1=0 src2=1
	v_add3_u32 v61 /*v317*/, v71 /*v327*/, v99, v61 /*v317*/
	s_set_vgpr_msb 5                        ;  msbs: dst=0 src0=1 src1=1 src2=0
	v_mul_i32_i24_e32 v99, v127 /*v383*/, v19 /*v275*/
	s_set_vgpr_msb 0x44                     ;  msbs: dst=1 src0=0 src1=1 src2=0
	v_mul_i32_i24_e32 v71 /*v327*/, v145, v7 /*v263*/
	s_set_vgpr_msb 0                        ;  msbs: dst=0 src0=0 src1=0 src2=0
	v_bfe_i32 v125, v125, 16, 8
	s_set_vgpr_msb 64                       ;  msbs: dst=1 src0=0 src1=0 src2=0
	v_bfe_i32 v140 /*v396*/, v129, 8, 8
	s_set_vgpr_msb 0                        ;  msbs: dst=0 src0=0 src1=0 src2=0
	v_bfe_i32 v129, v129, 16, 8
	s_set_vgpr_msb 0x51                     ;  msbs: dst=1 src0=1 src1=0 src2=1
	v_add3_u32 v64 /*v320*/, v73 /*v329*/, v99, v64 /*v320*/
	s_set_vgpr_msb 5                        ;  msbs: dst=0 src0=1 src1=1 src2=0
	v_mul_i32_i24_e32 v99, v127 /*v383*/, v35 /*v291*/
	s_set_vgpr_msb 0x44                     ;  msbs: dst=1 src0=0 src1=1 src2=0
	v_mul_i32_i24_e32 v73 /*v329*/, v145, v129 /*v385*/
	v_bfe_u32 v143 /*v399*/, v108, 12, 4
	s_set_vgpr_msb 0                        ;  msbs: dst=0 src0=0 src1=0 src2=0
	v_bfe_u32 v108, v108, 20, 4
	s_set_vgpr_msb 64                       ;  msbs: dst=1 src0=0 src1=0 src2=0
	v_bfe_i32 v165 /*v421*/, v104, 0, 8
	s_set_vgpr_msb 0x51                     ;  msbs: dst=1 src0=1 src1=0 src2=1
	v_add3_u32 v66 /*v322*/, v77 /*v333*/, v99, v66 /*v322*/
	s_set_vgpr_msb 5                        ;  msbs: dst=0 src0=1 src1=1 src2=0
	v_mul_i32_i24_e32 v99, v42 /*v298*/, v53 /*v309*/
	s_set_vgpr_msb 0x45                     ;  msbs: dst=1 src0=1 src1=1 src2=0
	v_mul_i32_i24_e32 v42 /*v298*/, v134 /*v390*/, v40 /*v296*/
	v_mul_i32_i24_e32 v40 /*v296*/, v97 /*v353*/, v40 /*v296*/
	s_set_vgpr_msb 64                       ;  msbs: dst=1 src0=0 src1=0 src2=0
	v_bfe_i32 v97 /*v353*/, v113, 0, 8
	v_bfe_i32 v134 /*v390*/, v119, 16, 8
	;; [unrolled: 1-line block ×3, first 2 shown]
	s_set_vgpr_msb 4                        ;  msbs: dst=0 src0=0 src1=1 src2=0
	v_add3_u32 v142, v142, v42 /*v298*/, v99
	s_set_vgpr_msb 1                        ;  msbs: dst=0 src0=1 src1=0 src2=0
	v_mul_i32_i24_e32 v99, v128 /*v384*/, v232
	s_set_vgpr_msb 64                       ;  msbs: dst=1 src0=0 src1=0 src2=0
	v_mul_i32_i24_e32 v42 /*v298*/, v145, v233
	v_bfe_i32 v172 /*v428*/, v96, 0, 8
	v_bfe_i32 v173 /*v429*/, v96, 8, 8
	;; [unrolled: 1-line block ×4, first 2 shown]
	s_set_vgpr_msb 0x51                     ;  msbs: dst=1 src0=1 src1=0 src2=1
	v_add3_u32 v42 /*v298*/, v81 /*v337*/, v99, v42 /*v298*/
	s_set_vgpr_msb 5                        ;  msbs: dst=0 src0=1 src1=1 src2=0
	v_mul_i32_i24_e32 v99, v128 /*v384*/, v19 /*v275*/
	s_set_vgpr_msb 64                       ;  msbs: dst=1 src0=0 src1=0 src2=0
	v_dual_lshrrev_b32 v81 /*v337*/, 28, v109 :: v_dual_ashrrev_i32 v176 /*v432*/, 24, v104
	v_ashrrev_i32_e32 v178 /*v434*/, 24, v102
	v_bfe_i32 v182 /*v438*/, v96, 16, 8
	s_set_vgpr_msb 0x51                     ;  msbs: dst=1 src0=1 src1=0 src2=1
	v_add3_u32 v71 /*v327*/, v82 /*v338*/, v99, v71 /*v327*/
	s_set_vgpr_msb 5                        ;  msbs: dst=0 src0=1 src1=1 src2=0
	v_mul_i32_i24_e32 v99, v128 /*v384*/, v35 /*v291*/
	s_set_vgpr_msb 64                       ;  msbs: dst=1 src0=0 src1=0 src2=0
	v_ashrrev_i32_e32 v82 /*v338*/, 24, v119
	v_bfe_i32 v184 /*v440*/, v94, 16, 8
	v_ashrrev_i32_e32 v185 /*v441*/, 24, v94
	s_set_vgpr_msb 0                        ;  msbs: dst=0 src0=0 src1=0 src2=0
	v_cvt_f32_f16_e64 v96, v225
	s_set_vgpr_msb 0x51                     ;  msbs: dst=1 src0=1 src1=0 src2=1
	v_add3_u32 v73 /*v329*/, v86 /*v342*/, v99, v73 /*v329*/
	s_set_vgpr_msb 5                        ;  msbs: dst=0 src0=1 src1=1 src2=0
	v_mul_i32_i24_e32 v99, v93 /*v349*/, v53 /*v309*/
	s_set_vgpr_msb 64                       ;  msbs: dst=1 src0=0 src1=0 src2=0
	v_bfe_u32 v53 /*v309*/, v109, 4, 4
	v_ashrrev_i32_e32 v86 /*v342*/, 24, v117
	v_bfe_i32 v93 /*v349*/, v115, 0, 8
	s_set_vgpr_msb 4                        ;  msbs: dst=0 src0=0 src1=1 src2=0
	v_mul_i32_i24_e32 v104, v218, v122 /*v378*/
	v_add3_u32 v144, v144, v40 /*v296*/, v99
	v_mul_i32_i24_e32 v99, v231, v120 /*v376*/
	s_set_vgpr_msb 64                       ;  msbs: dst=1 src0=0 src1=0 src2=0
	v_ashrrev_i32_e32 v120 /*v376*/, 24, v113
	v_bfe_i32 v40 /*v296*/, v119, 0, 8
	s_set_vgpr_msb 4                        ;  msbs: dst=0 src0=0 src1=1 src2=0
	v_mul_i32_i24_e32 v225, v227, v104 /*v360*/
	s_set_vgpr_msb 64                       ;  msbs: dst=1 src0=0 src1=0 src2=0
	v_mul_i32_i24_e32 v15 /*v271*/, v212, v215
	s_set_vgpr_msb 16                       ;  msbs: dst=0 src0=0 src1=0 src2=1
	v_add3_u32 v105, v105, v99, v21 /*v277*/
	s_set_vgpr_msb 4                        ;  msbs: dst=0 src0=0 src1=1 src2=0
	v_mul_i32_i24_e32 v99, v231, v123 /*v379*/
	s_set_vgpr_msb 64                       ;  msbs: dst=1 src0=0 src1=0 src2=0
	v_bfe_u32 v21 /*v277*/, v109, 20, 4
	v_bfe_i32 v123 /*v379*/, v111, 0, 8
	v_bfe_i32 v139 /*v395*/, v127, 8, 8
	s_set_vgpr_msb 0                        ;  msbs: dst=0 src0=0 src1=0 src2=0
	v_bfe_i32 v127, v127, 16, 8
	v_add3_u32 v153, v153, v99, v230
	s_set_vgpr_msb 1                        ;  msbs: dst=0 src0=1 src1=0 src2=0
	v_mul_i32_i24_e32 v99, v58 /*v314*/, v232
	v_mul_i32_i24_e32 v230, v59 /*v315*/, v233
	s_set_vgpr_msb 64                       ;  msbs: dst=1 src0=0 src1=0 src2=0
	v_bfe_i32 v142 /*v398*/, v131, 8, 8
	s_set_vgpr_msb 0                        ;  msbs: dst=0 src0=0 src1=0 src2=0
	v_bfe_i32 v131, v131, 16, 8
	s_set_vgpr_msb 64                       ;  msbs: dst=1 src0=0 src1=0 src2=0
	v_mul_i32_i24_e32 v55 /*v311*/, v207, v216
	s_set_vgpr_msb 20                       ;  msbs: dst=0 src0=0 src1=1 src2=1
	v_add3_u32 v134, v134, v136 /*v392*/, v15 /*v271*/
	s_set_vgpr_msb 0                        ;  msbs: dst=0 src0=0 src1=0 src2=0
	v_add3_u32 v230, v103, v99, v230
	s_set_vgpr_msb 5                        ;  msbs: dst=0 src0=1 src1=1 src2=0
	v_mul_i32_i24_e32 v99, v58 /*v314*/, v19 /*v275*/
	v_mul_i32_i24_e32 v103, v59 /*v315*/, v7 /*v263*/
	s_set_vgpr_msb 64                       ;  msbs: dst=1 src0=0 src1=0 src2=0
	v_bfe_u32 v19 /*v275*/, v107, 20, 4
	s_set_vgpr_msb 5                        ;  msbs: dst=0 src0=1 src1=1 src2=0
	v_mul_i32_i24_e32 v107, v59 /*v315*/, v129 /*v385*/
	s_set_vgpr_msb 0x44                     ;  msbs: dst=1 src0=0 src1=1 src2=0
	v_mul_i32_i24_e32 v15 /*v271*/, v212, v26 /*v282*/
	s_set_vgpr_msb 1                        ;  msbs: dst=0 src0=1 src1=0 src2=0
	v_cvt_f32_f16_e64 v123, v31 /*v287*/
	s_set_vgpr_msb 0                        ;  msbs: dst=0 src0=0 src1=0 src2=0
	v_add3_u32 v231, v236, v99, v103
	s_set_vgpr_msb 5                        ;  msbs: dst=0 src0=1 src1=1 src2=0
	v_mul_i32_i24_e32 v103, v58 /*v314*/, v35 /*v291*/
	s_set_vgpr_msb 0x41                     ;  msbs: dst=1 src0=1 src1=0 src2=0
	v_mul_i32_i24_e32 v35 /*v291*/, v41 /*v297*/, v242
	s_set_vgpr_msb 4                        ;  msbs: dst=0 src0=0 src1=1 src2=0
	v_mul_i32_i24_e32 v212, v212, v143 /*v399*/
	s_set_vgpr_msb 0                        ;  msbs: dst=0 src0=0 src1=0 src2=0
	v_mul_i32_i24_e32 v147, v147, v214
	s_set_vgpr_msb 0x41                     ;  msbs: dst=1 src0=1 src1=0 src2=0
	v_mul_i32_i24_e32 v41 /*v297*/, v150 /*v406*/, v90
	s_set_vgpr_msb 0                        ;  msbs: dst=0 src0=0 src1=0 src2=0
	v_add3_u32 v107, v101, v103, v107
	s_set_vgpr_msb 5                        ;  msbs: dst=0 src0=1 src1=1 src2=0
	v_mul_i32_i24_e32 v101, v28 /*v284*/, v96 /*v352*/
	v_mul_i32_i24_e32 v103, v135 /*v391*/, v87 /*v343*/
	s_set_vgpr_msb 0                        ;  msbs: dst=0 src0=0 src1=0 src2=0
	v_mul_i32_i24_e32 v137, v137, v214
	s_set_vgpr_msb 20                       ;  msbs: dst=0 src0=0 src1=1 src2=1
	v_add3_u32 v134, v134, v55 /*v311*/, v18 /*v274*/
	s_set_vgpr_msb 0x45                     ;  msbs: dst=1 src0=1 src1=1 src2=0
	v_mul_i32_i24_e32 v18 /*v274*/, v152 /*v408*/, v44 /*v300*/
	v_mul_i32_i24_e32 v55 /*v311*/, v89 /*v345*/, v47 /*v303*/
	s_set_vgpr_msb 0                        ;  msbs: dst=0 src0=0 src1=0 src2=0
	v_add3_u32 v109, v154, v101, v103
	s_set_vgpr_msb 1                        ;  msbs: dst=0 src0=1 src1=0 src2=0
	v_mul_i32_i24_e32 v101, v101 /*v357*/, v221
	v_mul_i32_i24_e32 v103, v102 /*v358*/, v222
	s_set_vgpr_msb 0                        ;  msbs: dst=0 src0=0 src1=0 src2=0
	v_mul_i32_i24_e32 v143, v143, v214
	v_mul_i32_i24_e32 v234, v199, v203
	s_set_vgpr_msb 64                       ;  msbs: dst=1 src0=0 src1=0 src2=0
	v_mul_i32_i24_e32 v31 /*v287*/, v201, v90
	v_mul_i32_i24_e32 v57 /*v313*/, v196, v211
	s_set_vgpr_msb 0                        ;  msbs: dst=0 src0=0 src1=0 src2=0
	v_add3_u32 v111, v249, v103, v101
	s_set_vgpr_msb 5                        ;  msbs: dst=0 src0=1 src1=1 src2=0
	v_mul_i32_i24_e32 v101, v101 /*v357*/, v103 /*v359*/
	v_mul_i32_i24_e32 v103, v102 /*v358*/, v104 /*v360*/
	s_set_vgpr_msb 1                        ;  msbs: dst=0 src0=1 src1=0 src2=0
	v_mul_i32_i24_e32 v249, v119 /*v375*/, v217
	s_set_vgpr_msb 64                       ;  msbs: dst=1 src0=0 src1=0 src2=0
	v_bfe_i32 v167 /*v423*/, v102, 0, 8
	s_set_vgpr_msb 0                        ;  msbs: dst=0 src0=0 src1=0 src2=0
	v_mul_i32_i24_e32 v141, v141, v214
	s_set_vgpr_msb 0x41                     ;  msbs: dst=1 src0=1 src1=0 src2=0
	v_mul_i32_i24_e32 v58 /*v314*/, v128 /*v384*/, v91
	s_set_vgpr_msb 0                        ;  msbs: dst=0 src0=0 src1=0 src2=0
	v_add3_u32 v113, v254, v103, v101
	s_set_vgpr_msb 5                        ;  msbs: dst=0 src0=1 src1=1 src2=0
	v_mul_i32_i24_e32 v101, v101 /*v357*/, v106 /*v362*/
	v_mul_i32_i24_e32 v103, v102 /*v358*/, v118 /*v374*/
	s_set_vgpr_msb 1                        ;  msbs: dst=0 src0=1 src1=0 src2=0
	v_mul_i32_i24_e32 v254, v99 /*v355*/, v217
	s_set_vgpr_msb 0                        ;  msbs: dst=0 src0=0 src1=0 src2=0
	v_mul_i32_i24_e32 v145, v145, v214
	s_set_vgpr_msb 0x41                     ;  msbs: dst=1 src0=1 src1=0 src2=0
	v_mul_i32_i24_e32 v77 /*v333*/, v121 /*v377*/, v208
	v_mul_i32_i24_e32 v113 /*v369*/, v130 /*v386*/, v208
	s_set_vgpr_msb 0                        ;  msbs: dst=0 src0=0 src1=0 src2=0
	v_add3_u32 v115, v255, v103, v101
	v_mul_i32_i24_e32 v101, v132, v229
	s_set_vgpr_msb 4                        ;  msbs: dst=0 src0=0 src1=1 src2=0
	v_mul_i32_i24_e32 v103, v155, v70 /*v326*/
	s_set_vgpr_msb 1                        ;  msbs: dst=0 src0=1 src1=0 src2=0
	v_mul_i32_i24_e32 v255, v76 /*v332*/, v242
	s_set_vgpr_msb 0x41                     ;  msbs: dst=1 src0=1 src1=0 src2=0
	v_mul_i32_i24_e32 v76 /*v332*/, v109 /*v365*/, v210
	s_set_vgpr_msb 64                       ;  msbs: dst=1 src0=0 src1=0 src2=0
	v_mul_i32_i24_e32 v119 /*v375*/, v199, v151
	s_set_vgpr_msb 0                        ;  msbs: dst=0 src0=0 src1=0 src2=0
	v_mul_i32_i24_e32 v139, v139, v214
	v_add3_u32 v117, v120, v103, v101
	s_set_vgpr_msb 1                        ;  msbs: dst=0 src0=1 src1=0 src2=0
	v_mul_i32_i24_e32 v101, v109 /*v365*/, v221
	v_mul_i32_i24_e32 v103, v121 /*v377*/, v222
	s_set_vgpr_msb 0x45                     ;  msbs: dst=1 src0=1 src1=1 src2=0
	v_mul_i32_i24_e32 v59 /*v315*/, v153 /*v409*/, v13 /*v269*/
	s_set_vgpr_msb 0x41                     ;  msbs: dst=1 src0=1 src1=0 src2=0
	v_mul_i32_i24_e32 v99 /*v355*/, v112 /*v368*/, v210
	s_set_vgpr_msb 0                        ;  msbs: dst=0 src0=0 src1=0 src2=0
	v_add3_u32 v117, v117, v249, v255
	s_set_vgpr_msb 5                        ;  msbs: dst=0 src0=1 src1=1 src2=0
	v_mul_i32_i24_e32 v249, v139 /*v395*/, v26 /*v282*/
	s_set_vgpr_msb 0                        ;  msbs: dst=0 src0=0 src1=0 src2=0
	v_add3_u32 v119, v146, v103, v101
	s_set_vgpr_msb 5                        ;  msbs: dst=0 src0=1 src1=1 src2=0
	v_mul_i32_i24_e32 v101, v109 /*v365*/, v103 /*v359*/
	v_mul_i32_i24_e32 v103, v121 /*v377*/, v104 /*v360*/
	s_set_vgpr_msb 0                        ;  msbs: dst=0 src0=0 src1=0 src2=0
	v_mul_i32_i24_e32 v255, v127, v106
	s_set_vgpr_msb 0x45                     ;  msbs: dst=1 src0=1 src1=1 src2=0
	v_mul_i32_i24_e32 v108 /*v364*/, v45 /*v301*/, v33 /*v289*/
	s_set_vgpr_msb 64                       ;  msbs: dst=1 src0=0 src1=0 src2=0
	v_mul_i32_i24_e32 v122 /*v378*/, v112, v203
	v_mul_i32_i24_e32 v187 /*v443*/, v133, v205
	s_set_vgpr_msb 0                        ;  msbs: dst=0 src0=0 src1=0 src2=0
	v_add3_u32 v120, v250, v103, v101
	s_set_vgpr_msb 5                        ;  msbs: dst=0 src0=1 src1=1 src2=0
	v_mul_i32_i24_e32 v101, v109 /*v365*/, v106 /*v362*/
	v_mul_i32_i24_e32 v103, v121 /*v377*/, v118 /*v374*/
	s_set_vgpr_msb 1                        ;  msbs: dst=0 src0=1 src1=0 src2=0
	v_mul_i32_i24_e32 v250, v34 /*v290*/, v217
	s_set_vgpr_msb 0x41                     ;  msbs: dst=1 src0=1 src1=0 src2=0
	v_mul_i32_i24_e32 v34 /*v290*/, v149 /*v405*/, v90
	v_mul_i32_i24_e32 v109 /*v365*/, v51 /*v307*/, v206
	s_set_vgpr_msb 0x44                     ;  msbs: dst=1 src0=0 src1=1 src2=0
	v_mul_i32_i24_e32 v121 /*v377*/, v199, v14 /*v270*/
	s_set_vgpr_msb 1                        ;  msbs: dst=0 src0=1 src1=0 src2=0
	v_add3_u32 v121, v0 /*v256*/, v103, v101
	v_mul_i32_i24_e32 v101, v114 /*v370*/, v229
	s_set_vgpr_msb 5                        ;  msbs: dst=0 src0=1 src1=1 src2=0
	v_mul_i32_i24_e32 v103, v94 /*v350*/, v70 /*v326*/
	s_set_vgpr_msb 64                       ;  msbs: dst=1 src0=0 src1=0 src2=0
	v_bfe_i32 v94 /*v350*/, v98, 0, 8
	s_set_vgpr_msb 0                        ;  msbs: dst=0 src0=0 src1=0 src2=0
	v_mul_i32_i24_e32 v98, v130, v229
	s_set_vgpr_msb 4                        ;  msbs: dst=0 src0=0 src1=1 src2=0
	v_mul_i32_i24_e32 v130, v218, v91 /*v347*/
	v_mul_i32_i24_e32 v218, v219, v7 /*v263*/
	s_set_vgpr_msb 0                        ;  msbs: dst=0 src0=0 src1=0 src2=0
	v_add3_u32 v132, v97, v103, v101
	s_set_vgpr_msb 1                        ;  msbs: dst=0 src0=1 src1=0 src2=0
	v_mul_i32_i24_e32 v97, v112 /*v368*/, v221
	v_mul_i32_i24_e32 v101, v111 /*v367*/, v222
	s_set_vgpr_msb 4                        ;  msbs: dst=0 src0=0 src1=1 src2=0
	v_mul_i32_i24_e32 v219, v219, v129 /*v385*/
	s_set_vgpr_msb 0                        ;  msbs: dst=0 src0=0 src1=0 src2=0
	v_add3_u32 v104, v105, v218, v104
	s_set_vgpr_msb 5                        ;  msbs: dst=0 src0=1 src1=1 src2=0
	v_mul_i32_i24_e32 v105, v17 /*v273*/, v143 /*v399*/
	s_set_vgpr_msb 0                        ;  msbs: dst=0 src0=0 src1=0 src2=0
	v_mul_i32_i24_e32 v218, v133, v108
	v_add3_u32 v118, v118, v101, v97
	s_set_vgpr_msb 5                        ;  msbs: dst=0 src0=1 src1=1 src2=0
	v_mul_i32_i24_e32 v97, v112 /*v368*/, v103 /*v359*/
	v_mul_i32_i24_e32 v101, v111 /*v367*/, v104 /*v360*/
	s_set_vgpr_msb 0                        ;  msbs: dst=0 src0=0 src1=0 src2=0
	v_add3_u32 v130, v153, v219, v130
	s_set_vgpr_msb 1                        ;  msbs: dst=0 src0=1 src1=0 src2=0
	v_mul_i32_i24_e32 v153, v12 /*v268*/, v215
	v_mul_i32_i24_e32 v219, v27 /*v283*/, v216
	s_set_vgpr_msb 0                        ;  msbs: dst=0 src0=0 src1=0 src2=0
	v_add3_u32 v105, v115, v105, v218
	v_add3_u32 v136, v136, v101, v97
	s_set_vgpr_msb 5                        ;  msbs: dst=0 src0=1 src1=1 src2=0
	v_mul_i32_i24_e32 v97, v112 /*v368*/, v106 /*v362*/
	v_mul_i32_i24_e32 v101, v111 /*v367*/, v118 /*v374*/
	s_set_vgpr_msb 1                        ;  msbs: dst=0 src0=1 src1=0 src2=0
	v_mul_i32_i24_e32 v115, v139 /*v395*/, v215
	s_set_vgpr_msb 0                        ;  msbs: dst=0 src0=0 src1=0 src2=0
	v_mul_i32_i24_e32 v218, v127, v216
	v_add3_u32 v119, v119, v153, v219
	s_set_vgpr_msb 5                        ;  msbs: dst=0 src0=1 src1=1 src2=0
	v_mul_i32_i24_e32 v153, v139 /*v395*/, v143 /*v399*/
	s_set_vgpr_msb 1                        ;  msbs: dst=0 src0=1 src1=0 src2=0
	v_add3_u32 v146, v29 /*v285*/, v101, v97
	s_set_vgpr_msb 0                        ;  msbs: dst=0 src0=0 src1=0 src2=0
	v_mul_i32_i24_e32 v97, v124, v229
	s_set_vgpr_msb 5                        ;  msbs: dst=0 src0=1 src1=1 src2=0
	v_mul_i32_i24_e32 v101, v52 /*v308*/, v70 /*v326*/
	s_set_vgpr_msb 0                        ;  msbs: dst=0 src0=0 src1=0 src2=0
	v_mul_i32_i24_e32 v219, v127, v108
	s_set_vgpr_msb 0x41                     ;  msbs: dst=1 src0=1 src1=0 src2=0
	v_mul_i32_i24_e32 v0 /*v256*/, v65 /*v321*/, v217
	v_mul_i32_i24_e32 v7 /*v263*/, v100 /*v356*/, v217
	s_set_vgpr_msb 1                        ;  msbs: dst=0 src0=1 src1=0 src2=0
	v_mul_i32_i24_e32 v217, v68 /*v324*/, v217
	s_set_vgpr_msb 0                        ;  msbs: dst=0 src0=0 src1=0 src2=0
	v_add3_u32 v124, v95, v101, v97
	v_mul_i32_i24_e32 v95, v235, v221
	s_set_vgpr_msb 1                        ;  msbs: dst=0 src0=1 src1=0 src2=0
	v_mul_i32_i24_e32 v97, v39 /*v295*/, v222
	s_set_vgpr_msb 64                       ;  msbs: dst=1 src0=0 src1=0 src2=0
	v_mul_i32_i24_e32 v29 /*v285*/, v220, v106
	s_set_vgpr_msb 0x41                     ;  msbs: dst=1 src0=1 src1=0 src2=0
	v_mul_i32_i24_e32 v52 /*v308*/, v152 /*v408*/, v90
	s_set_vgpr_msb 16                       ;  msbs: dst=0 src0=0 src1=0 src2=1
	v_add3_u32 v124, v124, v254, v35 /*v291*/
	v_mul_i32_i24_e32 v254, v244, v211
	s_set_vgpr_msb 0                        ;  msbs: dst=0 src0=0 src1=0 src2=0
	v_add3_u32 v116, v116, v97, v95
	s_set_vgpr_msb 4                        ;  msbs: dst=0 src0=0 src1=1 src2=0
	v_mul_i32_i24_e32 v95, v235, v103 /*v359*/
	s_set_vgpr_msb 5                        ;  msbs: dst=0 src0=1 src1=1 src2=0
	v_mul_i32_i24_e32 v97, v39 /*v295*/, v104 /*v360*/
	s_set_vgpr_msb 0x45                     ;  msbs: dst=1 src0=1 src1=1 src2=0
	v_mul_i32_i24_e32 v35 /*v291*/, v149 /*v405*/, v13 /*v269*/
	s_set_vgpr_msb 0x41                     ;  msbs: dst=1 src0=1 src1=0 src2=0
	v_mul_i32_i24_e32 v100 /*v356*/, v111 /*v367*/, v208
	s_set_vgpr_msb 0                        ;  msbs: dst=0 src0=0 src1=0 src2=0
	v_add3_u32 v115, v116, v115, v218
	s_set_vgpr_msb 4                        ;  msbs: dst=0 src0=0 src1=1 src2=0
	v_mul_i32_i24_e32 v116, v244, v37 /*v293*/
	s_set_vgpr_msb 0                        ;  msbs: dst=0 src0=0 src1=0 src2=0
	v_add3_u32 v138, v138, v97, v95
	s_set_vgpr_msb 4                        ;  msbs: dst=0 src0=0 src1=1 src2=0
	v_mul_i32_i24_e32 v95, v235, v106 /*v362*/
	s_set_vgpr_msb 5                        ;  msbs: dst=0 src0=1 src1=1 src2=0
	v_mul_i32_i24_e32 v97, v39 /*v295*/, v118 /*v374*/
	v_mul_i32_i24_e32 v218, v149 /*v405*/, v44 /*v300*/
	s_set_vgpr_msb 0x41                     ;  msbs: dst=1 src0=1 src1=0 src2=0
	v_mul_i32_i24_e32 v39 /*v295*/, v39 /*v295*/, v208
	s_set_vgpr_msb 0                        ;  msbs: dst=0 src0=0 src1=0 src2=0
	v_add3_u32 v138, v138, v249, v255
	s_set_vgpr_msb 1                        ;  msbs: dst=0 src0=1 src1=0 src2=0
	v_mul_i32_i24_e32 v255, v56 /*v312*/, v91
	v_add3_u32 v154, v6 /*v262*/, v97, v95
	s_set_vgpr_msb 0                        ;  msbs: dst=0 src0=0 src1=0 src2=0
	v_mul_i32_i24_e32 v95, v126, v229
	s_set_vgpr_msb 5                        ;  msbs: dst=0 src0=1 src1=1 src2=0
	v_mul_i32_i24_e32 v97, v9 /*v265*/, v70 /*v326*/
	s_set_vgpr_msb 0x41                     ;  msbs: dst=1 src0=1 src1=0 src2=0
	v_mul_i32_i24_e32 v6 /*v262*/, v92 /*v348*/, v242
	s_set_vgpr_msb 0x44                     ;  msbs: dst=1 src0=0 src1=1 src2=0
	v_mul_i32_i24_e32 v9 /*v265*/, v213, v103 /*v359*/
	s_set_vgpr_msb 4                        ;  msbs: dst=0 src0=0 src1=1 src2=0
	v_mul_i32_i24_e32 v213, v213, v106 /*v362*/
	s_set_vgpr_msb 0                        ;  msbs: dst=0 src0=0 src1=0 src2=0
	v_add3_u32 v153, v154, v153, v219
	v_add3_u32 v126, v140, v97, v95
	s_set_vgpr_msb 1                        ;  msbs: dst=0 src0=1 src1=0 src2=0
	v_mul_i32_i24_e32 v95, v63 /*v319*/, v221
	v_mul_i32_i24_e32 v97, v8 /*v264*/, v222
	s_set_vgpr_msb 16                       ;  msbs: dst=0 src0=0 src1=0 src2=1
	v_add3_u32 v132, v132, v250, v6 /*v262*/
	s_set_vgpr_msb 5                        ;  msbs: dst=0 src0=1 src1=1 src2=0
	v_mul_i32_i24_e32 v250, v140 /*v396*/, v143 /*v399*/
	s_set_vgpr_msb 64                       ;  msbs: dst=1 src0=0 src1=0 src2=0
	v_mul_i32_i24_e32 v6 /*v262*/, v129, v108
	s_set_vgpr_msb 1                        ;  msbs: dst=0 src0=1 src1=0 src2=0
	v_mul_i32_i24_e32 v154, v62 /*v318*/, v211
	v_add3_u32 v140, v61 /*v317*/, v97, v95
	s_set_vgpr_msb 5                        ;  msbs: dst=0 src0=1 src1=1 src2=0
	v_mul_i32_i24_e32 v95, v63 /*v319*/, v103 /*v359*/
	v_mul_i32_i24_e32 v97, v8 /*v264*/, v104 /*v360*/
	s_set_vgpr_msb 64                       ;  msbs: dst=1 src0=0 src1=0 src2=0
	v_bfe_i32 v61 /*v317*/, v94, 0, 8
	s_set_vgpr_msb 4                        ;  msbs: dst=0 src0=0 src1=1 src2=0
	v_cvt_f32_f16_e64 v94, v223
	v_mul_i32_i24_e32 v223, v228, v103 /*v359*/
	s_set_vgpr_msb 0x41                     ;  msbs: dst=1 src0=1 src1=0 src2=0
	v_mul_i32_i24_e32 v56 /*v312*/, v127 /*v383*/, v91
	s_set_vgpr_msb 1                        ;  msbs: dst=0 src0=1 src1=0 src2=0
	v_add3_u32 v155, v64 /*v320*/, v97, v95
	s_set_vgpr_msb 5                        ;  msbs: dst=0 src0=1 src1=1 src2=0
	v_mul_i32_i24_e32 v95, v63 /*v319*/, v106 /*v362*/
	v_mul_i32_i24_e32 v97, v8 /*v264*/, v118 /*v374*/
	s_set_vgpr_msb 0                        ;  msbs: dst=0 src0=0 src1=0 src2=0
	v_add3_u32 v223, v231, v225, v223
	s_set_vgpr_msb 5                        ;  msbs: dst=0 src0=1 src1=1 src2=0
	v_mul_i32_i24_e32 v225, v12 /*v268*/, v143 /*v399*/
	s_set_vgpr_msb 1                        ;  msbs: dst=0 src0=1 src1=0 src2=0
	v_mul_i32_i24_e32 v231, v27 /*v283*/, v108
	s_set_vgpr_msb 20                       ;  msbs: dst=0 src0=0 src1=1 src2=1
	v_add3_u32 v104, v104, v9 /*v265*/, v15 /*v271*/
	s_set_vgpr_msb 1                        ;  msbs: dst=0 src0=1 src1=0 src2=0
	v_add3_u32 v232, v66 /*v322*/, v97, v95
	s_set_vgpr_msb 0                        ;  msbs: dst=0 src0=0 src1=0 src2=0
	v_mul_i32_i24_e32 v95, v128, v229
	s_set_vgpr_msb 5                        ;  msbs: dst=0 src0=1 src1=1 src2=0
	v_mul_i32_i24_e32 v97, v43 /*v299*/, v70 /*v326*/
	s_set_vgpr_msb 0                        ;  msbs: dst=0 src0=0 src1=0 src2=0
	v_mul_i32_i24_e32 v229, v133, v106
	v_add3_u32 v121, v121, v225, v231
	s_set_vgpr_msb 5                        ;  msbs: dst=0 src0=1 src1=1 src2=0
	v_mul_i32_i24_e32 v225, v140 /*v396*/, v26 /*v282*/
	s_set_vgpr_msb 0                        ;  msbs: dst=0 src0=0 src1=0 src2=0
	v_mul_i32_i24_e32 v231, v129, v106
	v_add3_u32 v128, v142, v97, v95
	s_set_vgpr_msb 1                        ;  msbs: dst=0 src0=1 src1=0 src2=0
	v_mul_i32_i24_e32 v95, v74 /*v330*/, v221
	v_mul_i32_i24_e32 v97, v130 /*v386*/, v222
	s_set_vgpr_msb 0                        ;  msbs: dst=0 src0=0 src1=0 src2=0
	v_mul_i32_i24_e32 v221, v228, v221
	v_mul_i32_i24_e32 v222, v227, v222
	s_set_vgpr_msb 4                        ;  msbs: dst=0 src0=0 src1=1 src2=0
	v_mul_i32_i24_e32 v227, v227, v118 /*v374*/
	s_set_vgpr_msb 0                        ;  msbs: dst=0 src0=0 src1=0 src2=0
	v_add3_u32 v155, v155, v225, v231
	s_set_vgpr_msb 1                        ;  msbs: dst=0 src0=1 src1=0 src2=0
	v_add3_u32 v142, v42 /*v298*/, v97, v95
	s_set_vgpr_msb 5                        ;  msbs: dst=0 src0=1 src1=1 src2=0
	v_mul_i32_i24_e32 v95, v74 /*v330*/, v103 /*v359*/
	v_mul_i32_i24_e32 v97, v130 /*v386*/, v104 /*v360*/
	s_set_vgpr_msb 0                        ;  msbs: dst=0 src0=0 src1=0 src2=0
	v_add3_u32 v221, v230, v222, v221
	s_set_vgpr_msb 5                        ;  msbs: dst=0 src0=1 src1=1 src2=0
	v_mul_i32_i24_e32 v222, v12 /*v268*/, v26 /*v282*/
	s_set_vgpr_msb 1                        ;  msbs: dst=0 src0=1 src1=0 src2=0
	v_mul_i32_i24_e32 v230, v27 /*v283*/, v106
	s_set_vgpr_msb 0x41                     ;  msbs: dst=1 src0=1 src1=0 src2=0
	v_mul_i32_i24_e32 v42 /*v298*/, v124 /*v380*/, v242
	s_set_vgpr_msb 1                        ;  msbs: dst=0 src0=1 src1=0 src2=0
	v_add3_u32 v233, v71 /*v327*/, v97, v95
	s_set_vgpr_msb 5                        ;  msbs: dst=0 src0=1 src1=1 src2=0
	v_mul_i32_i24_e32 v95, v74 /*v330*/, v106 /*v362*/
	v_mul_i32_i24_e32 v97, v130 /*v386*/, v118 /*v374*/
	s_set_vgpr_msb 0                        ;  msbs: dst=0 src0=0 src1=0 src2=0
	v_add3_u32 v120, v120, v222, v230
	s_set_vgpr_msb 1                        ;  msbs: dst=0 src0=1 src1=0 src2=0
	v_mul_i32_i24_e32 v222, v140 /*v396*/, v215
	s_set_vgpr_msb 0                        ;  msbs: dst=0 src0=0 src1=0 src2=0
	v_mul_i32_i24_e32 v230, v129, v216
	s_set_vgpr_msb 5                        ;  msbs: dst=0 src0=1 src1=1 src2=0
	v_mul_i32_i24_e32 v231, v151 /*v407*/, v13 /*v269*/
	s_set_vgpr_msb 1                        ;  msbs: dst=0 src0=1 src1=0 src2=0
	v_add3_u32 v236, v73 /*v329*/, v97, v95
	s_set_vgpr_msb 0                        ;  msbs: dst=0 src0=0 src1=0 src2=0
	v_cvt_f32_f16_e64 v95, v224
	s_set_vgpr_msb 5                        ;  msbs: dst=0 src0=1 src1=1 src2=0
	v_mul_i32_i24_e32 v224, v50 /*v306*/, v70 /*v326*/
	s_set_vgpr_msb 4                        ;  msbs: dst=0 src0=0 src1=1 src2=0
	v_cvt_f32_f16_e64 v97, v226
	v_mul_i32_i24_e32 v226, v228, v106 /*v362*/
	s_set_vgpr_msb 5                        ;  msbs: dst=0 src0=1 src1=1 src2=0
	v_mul_i32_i24_e32 v228, v17 /*v273*/, v26 /*v282*/
	s_set_vgpr_msb 0                        ;  msbs: dst=0 src0=0 src1=0 src2=0
	v_add3_u32 v140, v140, v222, v230
	v_add3_u32 v98, v144, v224, v98
	s_set_vgpr_msb 1                        ;  msbs: dst=0 src0=1 src1=0 src2=0
	v_mul_i32_i24_e32 v144, v17 /*v273*/, v215
	s_set_vgpr_msb 0                        ;  msbs: dst=0 src0=0 src1=0 src2=0
	v_mul_i32_i24_e32 v224, v133, v216
	v_add3_u32 v107, v107, v227, v226
	s_set_vgpr_msb 1                        ;  msbs: dst=0 src0=1 src1=0 src2=0
	v_mul_i32_i24_e32 v226, v137 /*v393*/, v215
	s_set_vgpr_msb 0                        ;  msbs: dst=0 src0=0 src1=0 src2=0
	v_mul_i32_i24_e32 v227, v125, v216
	v_add3_u32 v113, v113, v228, v229
	v_add3_u32 v111, v111, v144, v224
	s_set_vgpr_msb 5                        ;  msbs: dst=0 src0=1 src1=1 src2=0
	v_mul_i32_i24_e32 v144, v137 /*v393*/, v26 /*v282*/
	s_set_vgpr_msb 0                        ;  msbs: dst=0 src0=0 src1=0 src2=0
	v_mul_i32_i24_e32 v224, v125, v106
	s_set_vgpr_msb 5                        ;  msbs: dst=0 src0=1 src1=1 src2=0
	v_mul_i32_i24_e32 v228, v137 /*v393*/, v143 /*v399*/
	s_set_vgpr_msb 0                        ;  msbs: dst=0 src0=0 src1=0 src2=0
	v_mul_i32_i24_e32 v229, v125, v108
	v_add3_u32 v118, v118, v226, v227
	s_set_vgpr_msb 1                        ;  msbs: dst=0 src0=1 src1=0 src2=0
	v_mul_i32_i24_e32 v226, v142 /*v398*/, v215
	s_set_vgpr_msb 0                        ;  msbs: dst=0 src0=0 src1=0 src2=0
	v_mul_i32_i24_e32 v227, v131, v216
	v_add3_u32 v136, v136, v144, v224
	s_set_vgpr_msb 5                        ;  msbs: dst=0 src0=1 src1=1 src2=0
	v_mul_i32_i24_e32 v144, v142 /*v398*/, v26 /*v282*/
	s_set_vgpr_msb 0                        ;  msbs: dst=0 src0=0 src1=0 src2=0
	v_mul_i32_i24_e32 v224, v131, v106
	v_add3_u32 v146, v146, v228, v229
	s_set_vgpr_msb 5                        ;  msbs: dst=0 src0=1 src1=1 src2=0
	v_mul_i32_i24_e32 v228, v142 /*v398*/, v143 /*v399*/
	s_set_vgpr_msb 0                        ;  msbs: dst=0 src0=0 src1=0 src2=0
	v_mul_i32_i24_e32 v229, v131, v108
	s_set_vgpr_msb 1                        ;  msbs: dst=0 src0=1 src1=0 src2=0
	v_mul_i32_i24_e32 v230, v46 /*v302*/, v91
	s_set_vgpr_msb 0x41                     ;  msbs: dst=1 src0=1 src1=0 src2=0
	v_mul_i32_i24_e32 v46 /*v302*/, v98 /*v354*/, v242
	s_set_vgpr_msb 1                        ;  msbs: dst=0 src0=1 src1=0 src2=0
	v_mul_i32_i24_e32 v242, v16 /*v272*/, v242
	v_mul_i32_i24_e32 v215, v5 /*v261*/, v215
	s_set_vgpr_msb 0                        ;  msbs: dst=0 src0=0 src1=0 src2=0
	v_mul_i32_i24_e32 v216, v220, v216
	s_set_vgpr_msb 0x45                     ;  msbs: dst=1 src0=1 src1=1 src2=0
	v_mul_i32_i24_e32 v26 /*v282*/, v5 /*v261*/, v26 /*v282*/
	s_set_vgpr_msb 16                       ;  msbs: dst=0 src0=0 src1=0 src2=1
	v_add3_u32 v232, v232, v250, v6 /*v262*/
	s_set_vgpr_msb 5                        ;  msbs: dst=0 src0=1 src1=1 src2=0
	v_mul_i32_i24_e32 v250, v67 /*v323*/, v37 /*v293*/
	s_set_vgpr_msb 0x45                     ;  msbs: dst=1 src0=1 src1=1 src2=0
	v_mul_i32_i24_e32 v6 /*v262*/, v151 /*v407*/, v44 /*v300*/
	s_set_vgpr_msb 20                       ;  msbs: dst=0 src0=0 src1=1 src2=1
	v_add3_u32 v128, v128, v7 /*v263*/, v46 /*v302*/
	s_set_vgpr_msb 0x45                     ;  msbs: dst=1 src0=1 src1=1 src2=0
	v_mul_i32_i24_e32 v7 /*v263*/, v67 /*v323*/, v47 /*v303*/
	s_set_vgpr_msb 0x41                     ;  msbs: dst=1 src0=1 src1=0 src2=0
	v_mul_i32_i24_e32 v50 /*v306*/, v133 /*v389*/, v90
	s_set_vgpr_msb 0                        ;  msbs: dst=0 src0=0 src1=0 src2=0
	v_add3_u32 v142, v142, v226, v227
	s_set_vgpr_msb 1                        ;  msbs: dst=0 src0=1 src1=0 src2=0
	v_mul_i32_i24_e32 v226, v79 /*v335*/, v211
	s_set_vgpr_msb 5                        ;  msbs: dst=0 src0=1 src1=1 src2=0
	v_mul_i32_i24_e32 v227, v133 /*v389*/, v13 /*v269*/
	s_set_vgpr_msb 0                        ;  msbs: dst=0 src0=0 src1=0 src2=0
	v_add3_u32 v144, v233, v144, v224
	s_set_vgpr_msb 5                        ;  msbs: dst=0 src0=1 src1=1 src2=0
	v_mul_i32_i24_e32 v224, v79 /*v335*/, v37 /*v293*/
	v_mul_i32_i24_e32 v233, v133 /*v389*/, v44 /*v300*/
	s_set_vgpr_msb 0                        ;  msbs: dst=0 src0=0 src1=0 src2=0
	v_add3_u32 v228, v236, v228, v229
	s_set_vgpr_msb 5                        ;  msbs: dst=0 src0=1 src1=1 src2=0
	v_mul_i32_i24_e32 v229, v79 /*v335*/, v47 /*v303*/
	s_set_vgpr_msb 0                        ;  msbs: dst=0 src0=0 src1=0 src2=0
	v_add3_u32 v98, v98, v217, v242
	s_set_vgpr_msb 5                        ;  msbs: dst=0 src0=1 src1=1 src2=0
	v_mul_i32_i24_e32 v217, v152 /*v408*/, v13 /*v269*/
	v_mul_i32_i24_e32 v242, v89 /*v345*/, v37 /*v293*/
	s_set_vgpr_msb 0x41                     ;  msbs: dst=1 src0=1 src1=0 src2=0
	v_mul_i32_i24_e32 v9 /*v265*/, v153 /*v409*/, v90
	v_mul_i32_i24_e32 v15 /*v271*/, v48 /*v304*/, v211
	s_set_vgpr_msb 0x45                     ;  msbs: dst=1 src0=1 src1=1 src2=0
	v_mul_i32_i24_e32 v5 /*v261*/, v5 /*v261*/, v143 /*v399*/
	s_set_vgpr_msb 0                        ;  msbs: dst=0 src0=0 src1=0 src2=0
	v_mul_i32_i24_e32 v220, v220, v108
	s_set_vgpr_msb 4                        ;  msbs: dst=0 src0=0 src1=1 src2=0
	v_mul_i32_i24_e32 v249, v244, v47 /*v303*/
	s_set_vgpr_msb 5                        ;  msbs: dst=0 src0=1 src1=1 src2=0
	v_mul_i32_i24_e32 v219, v150 /*v406*/, v13 /*v269*/
	s_set_vgpr_msb 20                       ;  msbs: dst=0 src0=0 src1=1 src2=1
	v_add3_u32 v126, v126, v0 /*v256*/, v42 /*v298*/
	s_set_vgpr_msb 0x45                     ;  msbs: dst=1 src0=1 src1=1 src2=0
	v_mul_i32_i24_e32 v0 /*v256*/, v62 /*v318*/, v37 /*v293*/
	v_mul_i32_i24_e32 v42 /*v298*/, v150 /*v406*/, v44 /*v300*/
	s_set_vgpr_msb 5                        ;  msbs: dst=0 src0=1 src1=1 src2=0
	v_mul_i32_i24_e32 v222, v62 /*v318*/, v47 /*v303*/
	s_set_vgpr_msb 0x41                     ;  msbs: dst=1 src0=1 src1=0 src2=0
	v_mul_i32_i24_e32 v43 /*v299*/, v151 /*v407*/, v90
	s_set_vgpr_msb 1                        ;  msbs: dst=0 src0=1 src1=0 src2=0
	v_mul_i32_i24_e32 v225, v67 /*v323*/, v211
	s_set_vgpr_msb 0x41                     ;  msbs: dst=1 src0=1 src1=0 src2=0
	v_mul_i32_i24_e32 v46 /*v302*/, v125 /*v381*/, v91
	s_set_vgpr_msb 1                        ;  msbs: dst=0 src0=1 src1=0 src2=0
	v_mul_i32_i24_e32 v236, v126 /*v382*/, v91
	s_set_vgpr_msb 0x41                     ;  msbs: dst=1 src0=1 src1=0 src2=0
	v_mul_i32_i24_e32 v16 /*v272*/, v89 /*v345*/, v211
	s_set_vgpr_msb 0x44                     ;  msbs: dst=1 src0=0 src1=1 src2=0
	v_mul_i32_i24_e32 v64 /*v320*/, v209, v104 /*v360*/
	s_set_vgpr_msb 4                        ;  msbs: dst=0 src0=0 src1=1 src2=0
	v_mul_i32_i24_e32 v209, v209, v118 /*v374*/
	s_set_vgpr_msb 0                        ;  msbs: dst=0 src0=0 src1=0 src2=0
	v_mul_i32_i24_e32 v106, v207, v106
	v_mul_i32_i24_e32 v108, v207, v108
	s_set_vgpr_msb 64                       ;  msbs: dst=1 src0=0 src1=0 src2=0
	v_mul_i32_i24_e32 v66 /*v322*/, v135, v90
	s_set_vgpr_msb 0                        ;  msbs: dst=0 src0=0 src1=0 src2=0
	v_mul_i32_i24_e32 v211, v114, v211
	v_add3_u32 v130, v130, v213, v212
	s_set_vgpr_msb 4                        ;  msbs: dst=0 src0=0 src1=1 src2=0
	v_mul_i32_i24_e32 v212, v135, v13 /*v269*/
	v_mul_i32_i24_e32 v213, v114, v37 /*v293*/
	v_pk_mul_f32 v[90:91], v[122:123], s[12:13] op_sel_hi:[1,0]
	s_set_vgpr_msb 0                        ;  msbs: dst=0 src0=0 src1=0 src2=0
	v_add3_u32 v122, v221, v215, v216
	s_set_vgpr_msb 20                       ;  msbs: dst=0 src0=0 src1=1 src2=1
	v_add3_u32 v216, v223, v26 /*v282*/, v29 /*v285*/
	s_set_vgpr_msb 0x41                     ;  msbs: dst=1 src0=1 src1=0 src2=0
	v_mul_i32_i24_e32 v26 /*v282*/, v101 /*v357*/, v210
	v_mul_i32_i24_e32 v29 /*v285*/, v102 /*v358*/, v208
	s_set_vgpr_msb 0                        ;  msbs: dst=0 src0=0 src1=0 src2=0
	v_add3_u32 v147, v117, v255, v147
	s_set_vgpr_msb 16                       ;  msbs: dst=0 src0=0 src1=0 src2=1
	v_add3_u32 v154, v119, v154, v41 /*v297*/
	s_set_vgpr_msb 0x41                     ;  msbs: dst=1 src0=1 src1=0 src2=0
	v_mul_i32_i24_e32 v41 /*v297*/, v3 /*v259*/, v151
	v_mul_i32_i24_e32 v92 /*v348*/, v30 /*v286*/, v240
	s_set_vgpr_msb 0                        ;  msbs: dst=0 src0=0 src1=0 src2=0
	v_add3_u32 v230, v132, v230, v137
	s_set_vgpr_msb 0x41                     ;  msbs: dst=1 src0=1 src1=0 src2=0
	v_mul_i32_i24_e32 v102 /*v358*/, v4 /*v260*/, v151
	v_mul_i32_i24_e32 v103 /*v359*/, v10 /*v266*/, v240
	s_set_vgpr_msb 0                        ;  msbs: dst=0 src0=0 src1=0 src2=0
	v_add3_u32 v231, v136, v250, v231
	s_set_vgpr_msb 20                       ;  msbs: dst=0 src0=0 src1=1 src2=1
	v_add3_u32 v146, v146, v7 /*v263*/, v6 /*v262*/
	s_set_vgpr_msb 0x41                     ;  msbs: dst=1 src0=1 src1=0 src2=0
	v_mul_i32_i24_e32 v6 /*v262*/, v38 /*v294*/, v151
	v_mul_i32_i24_e32 v7 /*v263*/, v45 /*v301*/, v240
	;; [unrolled: 1-line block ×4, first 2 shown]
	s_set_vgpr_msb 16                       ;  msbs: dst=0 src0=0 src1=0 src2=1
	v_add3_u32 v226, v115, v226, v50 /*v306*/
	s_set_vgpr_msb 0x41                     ;  msbs: dst=1 src0=1 src1=0 src2=0
	v_mul_i32_i24_e32 v50 /*v306*/, v49 /*v305*/, v203
	s_set_vgpr_msb 0                        ;  msbs: dst=0 src0=0 src1=0 src2=0
	v_add3_u32 v224, v138, v224, v227
	v_add3_u32 v199, v153, v229, v233
	;; [unrolled: 1-line block ×3, first 2 shown]
	s_set_vgpr_msb 20                       ;  msbs: dst=0 src0=0 src1=1 src2=1
	v_add3_u32 v217, v232, v55 /*v311*/, v18 /*v274*/
	s_set_vgpr_msb 4                        ;  msbs: dst=0 src0=0 src1=1 src2=0
	v_add3_u32 v229, v128, v56 /*v312*/, v143
	s_set_vgpr_msb 20                       ;  msbs: dst=0 src0=0 src1=1 src2=1
	v_add3_u32 v232, v142, v15 /*v271*/, v9 /*v265*/
	s_set_vgpr_msb 1                        ;  msbs: dst=0 src0=1 src1=0 src2=0
	v_mul_i32_i24_e32 v123, v22 /*v278*/, v203
	s_set_vgpr_msb 4                        ;  msbs: dst=0 src0=0 src1=1 src2=0
	v_add3_u32 v107, v107, v5 /*v261*/, v220
	s_set_vgpr_msb 5                        ;  msbs: dst=0 src0=1 src1=1 src2=0
	v_mul_i32_i24_e32 v220, v22 /*v278*/, v14 /*v270*/
	s_set_vgpr_msb 0x45                     ;  msbs: dst=1 src0=1 src1=1 src2=0
	v_mul_i32_i24_e32 v5 /*v261*/, v36 /*v292*/, v33 /*v289*/
	s_set_vgpr_msb 16                       ;  msbs: dst=0 src0=0 src1=0 src2=1
	v_add3_u32 v254, v111, v254, v34 /*v290*/
	s_set_vgpr_msb 0x50                     ;  msbs: dst=1 src0=0 src1=0 src2=1
	v_mul_i32_i24_e32 v34 /*v290*/, v253, v203
	v_add3_u32 v35 /*v291*/, v113, v116, v35 /*v291*/
	s_set_vgpr_msb 0                        ;  msbs: dst=0 src0=0 src1=0 src2=0
	v_add3_u32 v218, v105, v249, v218
	s_set_vgpr_msb 4                        ;  msbs: dst=0 src0=0 src1=1 src2=0
	v_mul_i32_i24_e32 v249, v253, v14 /*v270*/
	s_set_vgpr_msb 0x45                     ;  msbs: dst=1 src0=1 src1=1 src2=0
	v_mul_i32_i24_e32 v73 /*v329*/, v20 /*v276*/, v33 /*v289*/
	s_set_vgpr_msb 1                        ;  msbs: dst=0 src0=1 src1=0 src2=0
	v_mul_i32_i24_e32 v255, v3 /*v259*/, v203
	s_set_vgpr_msb 4                        ;  msbs: dst=0 src0=0 src1=1 src2=0
	v_add3_u32 v219, v120, v0 /*v256*/, v219
	s_set_vgpr_msb 0x45                     ;  msbs: dst=1 src0=1 src1=1 src2=0
	v_mul_i32_i24_e32 v0 /*v256*/, v3 /*v259*/, v14 /*v270*/
	v_mul_i32_i24_e32 v98 /*v354*/, v30 /*v286*/, v33 /*v289*/
	s_set_vgpr_msb 16                       ;  msbs: dst=0 src0=0 src1=0 src2=1
	v_add3_u32 v222, v121, v222, v42 /*v298*/
	s_set_vgpr_msb 0x41                     ;  msbs: dst=1 src0=1 src1=0 src2=0
	v_mul_i32_i24_e32 v42 /*v298*/, v4 /*v260*/, v203
	s_set_vgpr_msb 16                       ;  msbs: dst=0 src0=0 src1=0 src2=1
	v_add3_u32 v225, v118, v225, v43 /*v299*/
	s_set_vgpr_msb 0x45                     ;  msbs: dst=1 src0=1 src1=1 src2=0
	v_mul_i32_i24_e32 v43 /*v299*/, v4 /*v260*/, v14 /*v270*/
	v_mul_i32_i24_e32 v104 /*v360*/, v10 /*v266*/, v33 /*v289*/
	s_set_vgpr_msb 1                        ;  msbs: dst=0 src0=1 src1=0 src2=0
	v_mul_i32_i24_e32 v250, v38 /*v294*/, v203
	s_set_vgpr_msb 0x45                     ;  msbs: dst=1 src0=1 src1=1 src2=0
	v_mul_i32_i24_e32 v106 /*v362*/, v38 /*v294*/, v14 /*v270*/
	v_mul_i32_i24_e32 v112 /*v368*/, v49 /*v305*/, v14 /*v270*/
	;; [unrolled: 1-line block ×3, first 2 shown]
	s_set_vgpr_msb 0x44                     ;  msbs: dst=1 src0=0 src1=1 src2=0
	v_mul_i32_i24_e32 v13 /*v269*/, v201, v13 /*v269*/
	v_mul_i32_i24_e32 v118 /*v374*/, v201, v44 /*v300*/
	s_set_vgpr_msb 64                       ;  msbs: dst=1 src0=0 src1=0 src2=0
	v_mul_i32_i24_e32 v125 /*v381*/, v112, v151
	s_set_vgpr_msb 0x44                     ;  msbs: dst=1 src0=0 src1=1 src2=0
	v_mul_i32_i24_e32 v14 /*v270*/, v112, v14 /*v270*/
	v_mul_i32_i24_e32 v127 /*v383*/, v110, v33 /*v289*/
	s_set_vgpr_msb 0                        ;  msbs: dst=0 src0=0 src1=0 src2=0
	v_add3_u32 v201, v126, v236, v141
	s_set_vgpr_msb 20                       ;  msbs: dst=0 src0=0 src1=1 src2=1
	v_add3_u32 v203, v140, v16 /*v272*/, v52 /*v308*/
	s_set_vgpr_msb 0x41                     ;  msbs: dst=1 src0=1 src1=0 src2=0
	v_mul_i32_i24_e32 v193 /*v449*/, v27 /*v283*/, v205
	s_set_vgpr_msb 64                       ;  msbs: dst=1 src0=0 src1=0 src2=0
	v_mul_i32_i24_e32 v198 /*v454*/, v125, v205
	s_set_vgpr_msb 4                        ;  msbs: dst=0 src0=0 src1=1 src2=0
	v_add3_u32 v236, v98, v58 /*v314*/, v145
	s_set_vgpr_msb 16                       ;  msbs: dst=0 src0=0 src1=0 src2=1
	v_add3_u32 v242, v104, v106, v64 /*v320*/
	s_set_vgpr_msb 64                       ;  msbs: dst=1 src0=0 src1=0 src2=0
	v_mul_i32_i24_e32 v205 /*v461*/, v127, v205
	v_add3_u32 v9 /*v265*/, v130, v108, v209
	s_set_vgpr_msb 0x50                     ;  msbs: dst=1 src0=0 src1=0 src2=1
	v_add3_u32 v15 /*v271*/, v122, v211, v66 /*v322*/
	s_set_vgpr_msb 64                       ;  msbs: dst=1 src0=0 src1=0 src2=0
	v_add3_u32 v16 /*v272*/, v216, v213, v212
	s_set_vgpr_msb 0                        ;  msbs: dst=0 src0=0 src1=0 src2=0
	v_mul_i32_i24_e32 v106, v129, v205
	v_mul_i32_i24_e32 v112, v131, v205
	s_set_vgpr_msb 4                        ;  msbs: dst=0 src0=0 src1=1 src2=0
	v_mul_i32_i24_e32 v116, v197, v33 /*v289*/
	s_set_vgpr_msb 0x54                     ;  msbs: dst=1 src0=0 src1=1 src2=1
	v_add3_u32 v26 /*v282*/, v147, v29 /*v285*/, v26 /*v282*/
	s_set_vgpr_msb 0                        ;  msbs: dst=0 src0=0 src1=0 src2=0
	v_mul_i32_i24_e32 v130, v244, v198
	s_set_vgpr_msb 0x54                     ;  msbs: dst=1 src0=0 src1=1 src2=1
	v_add3_u32 v58 /*v314*/, v230, v77 /*v333*/, v76 /*v332*/
	v_add3_u32 v66 /*v322*/, v231, v41 /*v297*/, v92 /*v348*/
	;; [unrolled: 1-line block ×3, first 2 shown]
	s_set_vgpr_msb 1                        ;  msbs: dst=0 src0=1 src1=0 src2=0
	v_mul_i32_i24_e32 v205, v165 /*v421*/, v238
	s_set_vgpr_msb 0x54                     ;  msbs: dst=1 src0=0 src1=1 src2=1
	v_add3_u32 v148 /*v404*/, v208, v6 /*v262*/, v7 /*v263*/
	v_add3_u32 v33 /*v289*/, v229, v8 /*v264*/, v63 /*v319*/
	s_set_vgpr_msb 1                        ;  msbs: dst=0 src0=1 src1=0 src2=0
	v_mul_i32_i24_e32 v216, v167 /*v423*/, v238
	s_set_vgpr_msb 0x54                     ;  msbs: dst=1 src0=0 src1=1 src2=1
	v_add3_u32 v41 /*v297*/, v232, v50 /*v306*/, v109 /*v365*/
	s_set_vgpr_msb 1                        ;  msbs: dst=0 src0=1 src1=0 src2=0
	v_mul_i32_i24_e32 v224, v169 /*v425*/, v238
	v_mul_i32_i24_e32 v232, v94 /*v350*/, v238
	;; [unrolled: 1-line block ×3, first 2 shown]
	s_set_vgpr_msb 0x41                     ;  msbs: dst=1 src0=1 src1=0 src2=0
	v_mul_i32_i24_e32 v8 /*v264*/, v61 /*v317*/, v238
	v_mul_i32_i24_e32 v6 /*v262*/, v54 /*v310*/, v238
	s_set_vgpr_msb 5                        ;  msbs: dst=0 src0=1 src1=1 src2=0
	v_mul_i32_i24_e32 v238, v17 /*v273*/, v116 /*v372*/
	v_mul_i32_i24_e32 v214, v48 /*v304*/, v37 /*v293*/
	s_set_vgpr_msb 0x45                     ;  msbs: dst=1 src0=1 src1=1 src2=0
	v_mul_i32_i24_e32 v65 /*v321*/, v153 /*v409*/, v44 /*v300*/
	s_set_vgpr_msb 5                        ;  msbs: dst=0 src0=1 src1=1 src2=0
	v_mul_i32_i24_e32 v207, v48 /*v304*/, v47 /*v303*/
	s_set_vgpr_msb 4                        ;  msbs: dst=0 src0=0 src1=1 src2=0
	v_mul_i32_i24_e32 v135, v135, v44 /*v300*/
	v_mul_i32_i24_e32 v114, v114, v47 /*v303*/
	s_set_vgpr_msb 1                        ;  msbs: dst=0 src0=1 src1=0 src2=0
	v_mul_i32_i24_e32 v215, v36 /*v292*/, v206
	v_mul_i32_i24_e32 v221, v22 /*v278*/, v151
	;; [unrolled: 1-line block ×3, first 2 shown]
	s_set_vgpr_msb 0x41                     ;  msbs: dst=1 src0=1 src1=0 src2=0
	v_mul_i32_i24_e32 v68 /*v324*/, v20 /*v276*/, v206
	s_set_vgpr_msb 64                       ;  msbs: dst=1 src0=0 src1=0 src2=0
	v_mul_i32_i24_e32 v70 /*v326*/, v253, v151
	s_set_vgpr_msb 0x41                     ;  msbs: dst=1 src0=1 src1=0 src2=0
	v_mul_i32_i24_e32 v71 /*v327*/, v20 /*v276*/, v240
	v_mul_i32_i24_e32 v91 /*v347*/, v30 /*v286*/, v206
	;; [unrolled: 1-line block ×3, first 2 shown]
	s_set_vgpr_msb 0x44                     ;  msbs: dst=1 src0=0 src1=1 src2=0
	v_add3_u32 v46 /*v302*/, v124, v46 /*v302*/, v139
	s_set_vgpr_msb 64                       ;  msbs: dst=1 src0=0 src1=0 src2=0
	v_mul_i32_i24_e32 v124 /*v380*/, v110, v206
	v_mul_i32_i24_e32 v126 /*v382*/, v110, v240
	s_set_vgpr_msb 0                        ;  msbs: dst=0 src0=0 src1=0 src2=0
	v_cvt_f32_i32_e32 v110, v243
	v_cvt_f32_i32_e32 v111, v109
	s_set_vgpr_msb 0x51                     ;  msbs: dst=1 src0=1 src1=0 src2=1
	v_add3_u32 v102 /*v358*/, v26 /*v282*/, v238, v187 /*v443*/
	s_set_vgpr_msb 5                        ;  msbs: dst=0 src0=1 src1=1 src2=0
	v_mul_i32_i24_e32 v238, v12 /*v268*/, v116 /*v372*/
	s_set_vgpr_msb 64                       ;  msbs: dst=1 src0=0 src1=0 src2=0
	v_mul_i32_i24_e32 v60 /*v316*/, v197, v206
	v_bfe_i32 v177 /*v433*/, v102, 16, 8
	s_set_vgpr_msb 0                        ;  msbs: dst=0 src0=0 src1=0 src2=0
	v_mul_i32_i24_e32 v235, v235, v210
	s_set_vgpr_msb 0x41                     ;  msbs: dst=1 src0=1 src1=0 src2=0
	v_mul_i32_i24_e32 v105 /*v361*/, v45 /*v301*/, v206
	s_set_vgpr_msb 1                        ;  msbs: dst=0 src0=1 src1=0 src2=0
	v_mul_i32_i24_e32 v227, v49 /*v305*/, v151
	s_set_vgpr_msb 0x41                     ;  msbs: dst=1 src0=1 src1=0 src2=0
	v_mul_i32_i24_e32 v111 /*v367*/, v51 /*v307*/, v240
	v_mul_i32_i24_e32 v74 /*v330*/, v74 /*v330*/, v210
	;; [unrolled: 1-line block ×4, first 2 shown]
	s_set_vgpr_msb 0x45                     ;  msbs: dst=1 src0=1 src1=1 src2=0
	v_mul_i32_i24_e32 v143 /*v399*/, v69 /*v325*/, v53 /*v309*/
	v_mul_i32_i24_e32 v186 /*v442*/, v72 /*v328*/, v81 /*v337*/
	s_set_vgpr_msb 0x41                     ;  msbs: dst=1 src0=1 src1=0 src2=0
	v_mul_i32_i24_e32 v188 /*v444*/, v40 /*v296*/, v148
	v_mul_i32_i24_e32 v189 /*v445*/, v82 /*v338*/, v149
	;; [unrolled: 1-line block ×4, first 2 shown]
	s_set_vgpr_msb 16                       ;  msbs: dst=0 src0=0 src1=0 src2=1
	v_add3_u32 v233, v144, v214, v59 /*v315*/
	s_set_vgpr_msb 0x45                     ;  msbs: dst=1 src0=1 src1=1 src2=0
	v_mul_i32_i24_e32 v59 /*v315*/, v83 /*v339*/, v75 /*v331*/
	v_mul_i32_i24_e32 v196 /*v452*/, v86 /*v342*/, v78 /*v334*/
	s_set_vgpr_msb 16                       ;  msbs: dst=0 src0=0 src1=0 src2=1
	v_add3_u32 v228, v228, v207, v65 /*v321*/
	s_set_vgpr_msb 0x45                     ;  msbs: dst=1 src0=1 src1=1 src2=0
	v_mul_i32_i24_e32 v65 /*v321*/, v83 /*v339*/, v53 /*v309*/
	v_mul_i32_i24_e32 v197 /*v453*/, v86 /*v342*/, v81 /*v337*/
	s_set_vgpr_msb 0x41                     ;  msbs: dst=1 src0=1 src1=0 src2=0
	v_mul_i32_i24_e32 v199 /*v455*/, v93 /*v349*/, v148
	v_mul_i32_i24_e32 v200 /*v456*/, v95 /*v351*/, v149
	s_set_vgpr_msb 4                        ;  msbs: dst=0 src0=0 src1=1 src2=0
	v_add3_u32 v234, v134, v31 /*v287*/, v234
	s_set_vgpr_msb 64                       ;  msbs: dst=1 src0=0 src1=0 src2=0
	v_add3_u32 v18 /*v274*/, v107, v114, v135
	s_set_vgpr_msb 0                        ;  msbs: dst=0 src0=0 src1=0 src2=0
	v_pk_fma_f32 v[110:111], v[88:89], v[110:111], v[90:91] neg_lo:[0,0,1] neg_hi:[0,0,1]
	s_set_vgpr_msb 4                        ;  msbs: dst=0 src0=0 src1=1 src2=0
	v_mul_i32_i24_e32 v109, v196, v37 /*v293*/
	s_set_vgpr_msb 0                        ;  msbs: dst=0 src0=0 src1=0 src2=0
	v_add3_u32 v254, v254, v123, v215
	s_set_vgpr_msb 0x41                     ;  msbs: dst=1 src0=1 src1=0 src2=0
	v_add3_u32 v27 /*v283*/, v35 /*v291*/, v221, v223
	s_set_vgpr_msb 0x50                     ;  msbs: dst=1 src0=0 src1=0 src2=1
	v_add3_u32 v31 /*v287*/, v218, v220, v5 /*v261*/
	s_set_vgpr_msb 0x54                     ;  msbs: dst=1 src0=0 src1=1 src2=1
	v_add3_u32 v34 /*v290*/, v154, v34 /*v290*/, v68 /*v324*/
	v_add3_u32 v35 /*v291*/, v219, v70 /*v326*/, v71 /*v327*/
	s_set_vgpr_msb 0x50                     ;  msbs: dst=1 src0=0 src1=0 src2=1
	v_add3_u32 v37 /*v293*/, v222, v249, v73 /*v329*/
	v_add3_u32 v64 /*v320*/, v225, v255, v91 /*v347*/
	s_set_vgpr_msb 0x54                     ;  msbs: dst=1 src0=0 src1=1 src2=1
	v_add3_u32 v68 /*v324*/, v146, v0 /*v256*/, v98 /*v354*/
	s_set_vgpr_msb 0x55                     ;  msbs: dst=1 src0=1 src1=1 src2=1
	v_add3_u32 v70 /*v326*/, v46 /*v302*/, v100 /*v356*/, v99 /*v355*/
	s_set_vgpr_msb 0x54                     ;  msbs: dst=1 src0=0 src1=1 src2=1
	v_add3_u32 v73 /*v329*/, v226, v42 /*v298*/, v101 /*v357*/
	v_add3_u32 v29 /*v285*/, v217, v106 /*v362*/, v108 /*v364*/
	s_set_vgpr_msb 0x51                     ;  msbs: dst=1 src0=1 src1=0 src2=1
	v_add3_u32 v108 /*v364*/, v58 /*v314*/, v238, v193 /*v449*/
	s_set_vgpr_msb 5                        ;  msbs: dst=0 src0=1 src1=1 src2=0
	v_mul_i32_i24_e32 v238, v137 /*v393*/, v116 /*v372*/
	s_set_vgpr_msb 64                       ;  msbs: dst=1 src0=0 src1=0 src2=0
	v_bfe_i32 v168 /*v424*/, v102, 8, 8
	s_set_vgpr_msb 0                        ;  msbs: dst=0 src0=0 src1=0 src2=0
	v_mul_i32_i24_e32 v103, v200, v148
	v_mul_i32_i24_e32 v101, v246, v202
	;; [unrolled: 1-line block ×3, first 2 shown]
	s_set_vgpr_msb 0x45                     ;  msbs: dst=1 src0=1 src1=1 src2=0
	v_mul_i32_i24_e32 v130 /*v386*/, v69 /*v325*/, v75 /*v331*/
	v_mul_i32_i24_e32 v136 /*v392*/, v72 /*v328*/, v78 /*v334*/
	;; [unrolled: 1-line block ×10, first 2 shown]
	s_set_vgpr_msb 1                        ;  msbs: dst=0 src0=1 src1=0 src2=0
	v_mul_i32_i24_e32 v98, v97 /*v353*/, v148
	s_set_vgpr_msb 0x41                     ;  msbs: dst=1 src0=1 src1=0 src2=0
	v_mul_i32_i24_e32 v145 /*v401*/, v120 /*v376*/, v149
	s_set_vgpr_msb 0x45                     ;  msbs: dst=1 src0=1 src1=1 src2=0
	v_mul_i32_i24_e32 v146 /*v402*/, v120 /*v376*/, v78 /*v334*/
	s_set_vgpr_msb 5                        ;  msbs: dst=0 src0=1 src1=1 src2=0
	v_mul_i32_i24_e32 v104, v97 /*v353*/, v53 /*v309*/
	v_mul_i32_i24_e32 v105, v120 /*v376*/, v81 /*v337*/
	s_set_vgpr_msb 1                        ;  msbs: dst=0 src0=1 src1=0 src2=0
	v_mul_i32_i24_e32 v107, v123 /*v379*/, v148
	v_mul_i32_i24_e32 v108, v131 /*v387*/, v149
	s_set_vgpr_msb 0                        ;  msbs: dst=0 src0=0 src1=0 src2=0
	v_pk_fma_f32 v[74:75], v[80:81], v[110:111], v[74:75] op_sel_hi:[0,1,1]
	s_set_vgpr_msb 5                        ;  msbs: dst=0 src0=1 src1=1 src2=0
	v_mul_i32_i24_e32 v111, v123 /*v379*/, v75 /*v331*/
	v_mul_i32_i24_e32 v113, v131 /*v387*/, v78 /*v334*/
	;; [unrolled: 1-line block ×3, first 2 shown]
	s_set_vgpr_msb 4                        ;  msbs: dst=0 src0=0 src1=1 src2=0
	v_mul_i32_i24_e32 v110, v196, v47 /*v303*/
	s_set_vgpr_msb 5                        ;  msbs: dst=0 src0=1 src1=1 src2=0
	v_mul_i32_i24_e32 v120, v131 /*v387*/, v81 /*v337*/
	s_set_vgpr_msb 0                        ;  msbs: dst=0 src0=0 src1=0 src2=0
	v_mul_i32_i24_e32 v115, v197, v240
	v_mul_i32_i24_e32 v118, v150, v149
	s_set_vgpr_msb 4                        ;  msbs: dst=0 src0=0 src1=1 src2=0
	v_mul_i32_i24_e32 v121, v150, v78 /*v334*/
	v_mul_i32_i24_e32 v122, v152, v53 /*v309*/
	;; [unrolled: 1-line block ×3, first 2 shown]
	s_set_vgpr_msb 1                        ;  msbs: dst=0 src0=1 src1=0 src2=0
	v_mul_i32_i24_e32 v125, v132 /*v388*/, v202
	s_set_vgpr_msb 5                        ;  msbs: dst=0 src0=1 src1=1 src2=0
	v_mul_i32_i24_e32 v129, v132 /*v388*/, v21 /*v277*/
	s_set_vgpr_msb 1                        ;  msbs: dst=0 src0=1 src1=0 src2=0
	v_mul_i32_i24_e32 v132, v134 /*v390*/, v202
	s_set_vgpr_msb 5                        ;  msbs: dst=0 src0=1 src1=1 src2=0
	v_mul_i32_i24_e32 v136, v134 /*v390*/, v21 /*v277*/
	s_set_vgpr_msb 1                        ;  msbs: dst=0 src0=1 src1=0 src2=0
	v_mul_i32_i24_e32 v137, v62 /*v318*/, v198
	v_mul_i32_i24_e32 v139, v138 /*v394*/, v202
	s_set_vgpr_msb 5                        ;  msbs: dst=0 src0=1 src1=1 src2=0
	v_mul_i32_i24_e32 v143, v138 /*v394*/, v21 /*v277*/
	s_set_vgpr_msb 1                        ;  msbs: dst=0 src0=1 src1=0 src2=0
	v_mul_i32_i24_e32 v144, v67 /*v323*/, v198
	;; [unrolled: 5-line block ×3, first 2 shown]
	v_mul_i32_i24_e32 v153, v162 /*v418*/, v202
	s_set_vgpr_msb 0x54                     ;  msbs: dst=1 src0=0 src1=1 src2=1
	v_add3_u32 v91 /*v347*/, v199, v43 /*v299*/, v104 /*v360*/
	s_set_vgpr_msb 5                        ;  msbs: dst=0 src0=1 src1=1 src2=0
	v_mul_i32_i24_e32 v196, v162 /*v418*/, v21 /*v277*/
	s_set_vgpr_msb 1                        ;  msbs: dst=0 src0=1 src1=0 src2=0
	v_mul_i32_i24_e32 v197, v89 /*v345*/, v198
	s_set_vgpr_msb 0x44                     ;  msbs: dst=1 src0=0 src1=1 src2=0
	v_add3_u32 v206 /*v462*/, v201, v39 /*v295*/, v235
	s_set_vgpr_msb 1                        ;  msbs: dst=0 src0=1 src1=0 src2=0
	v_mul_i32_i24_e32 v206, v164 /*v420*/, v202
	v_mul_i32_i24_e32 v198, v48 /*v304*/, v198
	s_set_vgpr_msb 4                        ;  msbs: dst=0 src0=0 src1=1 src2=0
	v_mul_i32_i24_e32 v199, v200, v75 /*v331*/
	v_mul_i32_i24_e32 v200, v200, v53 /*v309*/
	s_set_vgpr_msb 5                        ;  msbs: dst=0 src0=1 src1=1 src2=0
	v_mul_i32_i24_e32 v210, v164 /*v420*/, v21 /*v277*/
	s_set_vgpr_msb 0                        ;  msbs: dst=0 src0=0 src1=0 src2=0
	v_mul_i32_i24_e32 v202, v204, v202
	s_set_vgpr_msb 0x50                     ;  msbs: dst=1 src0=0 src1=0 src2=1
	v_add3_u32 v147 /*v403*/, v203, v250, v105 /*v361*/
	s_set_vgpr_msb 4                        ;  msbs: dst=0 src0=0 src1=1 src2=0
	v_mul_i32_i24_e32 v203, v204, v19 /*v275*/
	v_mul_i32_i24_e32 v204, v204, v21 /*v277*/
	s_set_vgpr_msb 1                        ;  msbs: dst=0 src0=1 src1=0 src2=0
	v_mul_i32_i24_e32 v209, v165 /*v421*/, v252
	s_set_vgpr_msb 5                        ;  msbs: dst=0 src0=1 src1=1 src2=0
	v_mul_i32_i24_e32 v212, v165 /*v421*/, v1 /*v257*/
	s_set_vgpr_msb 1                        ;  msbs: dst=0 src0=1 src1=0 src2=0
	v_mul_i32_i24_e32 v215, v36 /*v292*/, v251
	v_mul_i32_i24_e32 v218, v167 /*v423*/, v252
	s_set_vgpr_msb 0x50                     ;  msbs: dst=1 src0=0 src1=0 src2=1
	v_add3_u32 v44 /*v300*/, v233, v227, v111 /*v367*/
	s_set_vgpr_msb 5                        ;  msbs: dst=0 src0=1 src1=1 src2=0
	v_mul_i32_i24_e32 v220, v167 /*v423*/, v1 /*v257*/
	s_set_vgpr_msb 0x54                     ;  msbs: dst=1 src0=0 src1=1 src2=1
	v_add3_u32 v47 /*v303*/, v228, v112 /*v368*/, v114 /*v370*/
	s_set_vgpr_msb 1                        ;  msbs: dst=0 src0=1 src1=0 src2=0
	v_mul_i32_i24_e32 v223, v20 /*v276*/, v251
	s_set_vgpr_msb 0x54                     ;  msbs: dst=1 src0=0 src1=1 src2=1
	v_add3_u32 v52 /*v308*/, v236, v113 /*v369*/, v74 /*v330*/
	s_set_vgpr_msb 1                        ;  msbs: dst=0 src0=1 src1=0 src2=0
	v_mul_i32_i24_e32 v226, v169 /*v425*/, v252
	s_set_vgpr_msb 0x54                     ;  msbs: dst=1 src0=0 src1=1 src2=1
	v_add3_u32 v53 /*v309*/, v234, v60 /*v316*/, v57 /*v313*/
	s_set_vgpr_msb 5                        ;  msbs: dst=0 src0=1 src1=1 src2=0
	v_mul_i32_i24_e32 v228, v169 /*v425*/, v1 /*v257*/
	s_set_vgpr_msb 0x54                     ;  msbs: dst=1 src0=0 src1=1 src2=1
	v_add3_u32 v56 /*v312*/, v242, v13 /*v269*/, v119 /*v375*/
	s_set_vgpr_msb 1                        ;  msbs: dst=0 src0=1 src1=0 src2=0
	v_mul_i32_i24_e32 v230, v3 /*v259*/, v245
	v_mul_i32_i24_e32 v231, v30 /*v286*/, v251
	s_set_vgpr_msb 0x55                     ;  msbs: dst=1 src0=1 src1=1 src2=1
	v_add3_u32 v62 /*v318*/, v9 /*v265*/, v118 /*v374*/, v121 /*v377*/
	s_set_vgpr_msb 1                        ;  msbs: dst=0 src0=1 src1=0 src2=0
	v_mul_i32_i24_e32 v234, v94 /*v350*/, v252
	s_set_vgpr_msb 0x55                     ;  msbs: dst=1 src0=1 src1=1 src2=1
	v_add3_u32 v67 /*v323*/, v15 /*v271*/, v122 /*v378*/, v124 /*v380*/
	s_set_vgpr_msb 5                        ;  msbs: dst=0 src0=1 src1=1 src2=0
	v_mul_i32_i24_e32 v236, v94 /*v350*/, v1 /*v257*/
	s_set_vgpr_msb 0x55                     ;  msbs: dst=1 src0=1 src1=1 src2=1
	v_add3_u32 v71 /*v327*/, v16 /*v272*/, v125 /*v381*/, v126 /*v382*/
	s_set_vgpr_msb 1                        ;  msbs: dst=0 src0=1 src1=0 src2=0
	v_mul_i32_i24_e32 v243, v10 /*v266*/, v251
	s_set_vgpr_msb 0x55                     ;  msbs: dst=1 src0=1 src1=1 src2=1
	v_add3_u32 v77 /*v333*/, v18 /*v274*/, v14 /*v270*/, v127 /*v383*/
	s_set_vgpr_msb 1                        ;  msbs: dst=0 src0=1 src1=0 src2=0
	v_mul_i32_i24_e32 v250, v172 /*v428*/, v252
	s_set_vgpr_msb 0x54                     ;  msbs: dst=1 src0=0 src1=1 src2=1
	v_add3_u32 v79 /*v335*/, v254, v129 /*v385*/, v128 /*v384*/
	s_set_vgpr_msb 5                        ;  msbs: dst=0 src0=1 src1=1 src2=0
	v_mul_i32_i24_e32 v254, v172 /*v428*/, v1 /*v257*/
	s_set_vgpr_msb 1                        ;  msbs: dst=0 src0=1 src1=0 src2=0
	v_mul_i32_i24_e32 v255, v38 /*v294*/, v245
	s_set_vgpr_msb 0x41                     ;  msbs: dst=1 src0=1 src1=0 src2=0
	v_mul_i32_i24_e32 v5 /*v261*/, v45 /*v301*/, v251
	v_mul_i32_i24_e32 v0 /*v256*/, v51 /*v307*/, v251
	s_set_vgpr_msb 4                        ;  msbs: dst=0 src0=0 src1=1 src2=0
	v_mul_i32_i24_e32 v251, v246, v19 /*v275*/
	v_mul_i32_i24_e32 v246, v246, v21 /*v277*/
	s_set_vgpr_msb 0x41                     ;  msbs: dst=1 src0=1 src1=0 src2=0
	v_mul_i32_i24_e32 v16 /*v272*/, v61 /*v317*/, v252
	v_mul_i32_i24_e32 v7 /*v263*/, v54 /*v310*/, v252
	s_set_vgpr_msb 0x45                     ;  msbs: dst=1 src0=1 src1=1 src2=0
	v_mul_i32_i24_e32 v3 /*v259*/, v54 /*v310*/, v1 /*v257*/
	v_mul_i32_i24_e32 v20 /*v276*/, v61 /*v317*/, v1 /*v257*/
	s_set_vgpr_msb 0x44                     ;  msbs: dst=1 src0=0 src1=1 src2=0
	v_mul_i32_i24_e32 v13 /*v269*/, v248, v78 /*v334*/
	v_mul_i32_i24_e32 v9 /*v265*/, v248, v81 /*v337*/
	s_set_vgpr_msb 0x45                     ;  msbs: dst=1 src0=1 src1=1 src2=0
	v_mul_i32_i24_e32 v10 /*v266*/, v69 /*v325*/, v11 /*v267*/
	v_mul_i32_i24_e32 v15 /*v271*/, v72 /*v328*/, v2 /*v258*/
	s_set_vgpr_msb 0x41                     ;  msbs: dst=1 src0=1 src1=0 src2=0
	v_mul_i32_i24_e32 v14 /*v270*/, v175 /*v431*/, v237
	v_mul_i32_i24_e32 v18 /*v274*/, v177 /*v433*/, v237
	s_set_vgpr_msb 0x55                     ;  msbs: dst=1 src0=1 src1=1 src2=1
	v_add3_u32 v100 /*v356*/, v31 /*v287*/, v186 /*v442*/, v143 /*v399*/
	s_set_vgpr_msb 0x41                     ;  msbs: dst=1 src0=1 src1=0 src2=0
	v_mul_i32_i24_e32 v21 /*v277*/, v175 /*v431*/, v239
	v_mul_i32_i24_e32 v26 /*v282*/, v177 /*v433*/, v239
	s_set_vgpr_msb 0x55                     ;  msbs: dst=1 src0=1 src1=1 src2=1
	v_add3_u32 v104 /*v360*/, v34 /*v290*/, v189 /*v445*/, v188 /*v444*/
	s_set_vgpr_msb 0x41                     ;  msbs: dst=1 src0=1 src1=0 src2=0
	v_mul_i32_i24_e32 v30 /*v286*/, v175 /*v431*/, v241
	v_mul_i32_i24_e32 v34 /*v290*/, v177 /*v433*/, v241
	s_set_vgpr_msb 0x45                     ;  msbs: dst=1 src0=1 src1=1 src2=0
	v_mul_i32_i24_e32 v38 /*v294*/, v40 /*v296*/, v11 /*v267*/
	v_mul_i32_i24_e32 v39 /*v295*/, v82 /*v338*/, v2 /*v258*/
	;; [unrolled: 1-line block ×4, first 2 shown]
	s_set_vgpr_msb 0x41                     ;  msbs: dst=1 src0=1 src1=0 src2=0
	v_mul_i32_i24_e32 v42 /*v298*/, v179 /*v435*/, v237
	s_set_vgpr_msb 0x44                     ;  msbs: dst=1 src0=0 src1=1 src2=0
	v_mul_i32_i24_e32 v46 /*v302*/, v100, v23 /*v279*/
	s_set_vgpr_msb 0x41                     ;  msbs: dst=1 src0=1 src1=0 src2=0
	v_mul_i32_i24_e32 v45 /*v301*/, v180 /*v436*/, v237
	s_set_vgpr_msb 0x55                     ;  msbs: dst=1 src0=1 src1=1 src2=1
	v_add3_u32 v109 /*v365*/, v64 /*v320*/, v195 /*v451*/, v194 /*v450*/
	s_set_vgpr_msb 0x41                     ;  msbs: dst=1 src0=1 src1=0 src2=0
	v_mul_i32_i24_e32 v48 /*v304*/, v179 /*v435*/, v239
	s_set_vgpr_msb 0x55                     ;  msbs: dst=1 src0=1 src1=1 src2=1
	v_add3_u32 v111 /*v367*/, v66 /*v322*/, v196 /*v452*/, v59 /*v315*/
	s_set_vgpr_msb 0x44                     ;  msbs: dst=1 src0=0 src1=1 src2=0
	v_mul_i32_i24_e32 v51 /*v307*/, v100, v24 /*v280*/
	s_set_vgpr_msb 0x41                     ;  msbs: dst=1 src0=1 src1=0 src2=0
	v_mul_i32_i24_e32 v50 /*v306*/, v180 /*v436*/, v239
	s_set_vgpr_msb 0x55                     ;  msbs: dst=1 src0=1 src1=1 src2=1
	v_add3_u32 v112 /*v368*/, v68 /*v324*/, v197 /*v453*/, v65 /*v321*/
	s_set_vgpr_msb 0x51                     ;  msbs: dst=1 src0=1 src1=0 src2=1
	v_mul_i32_i24_e32 v54 /*v310*/, v179 /*v435*/, v241
	v_add3_u32 v113 /*v369*/, v70 /*v326*/, v238, v198 /*v454*/
	s_set_vgpr_msb 0x44                     ;  msbs: dst=1 src0=0 src1=1 src2=0
	v_mul_i32_i24_e32 v58 /*v314*/, v100, v25 /*v281*/
	s_set_vgpr_msb 0x41                     ;  msbs: dst=1 src0=1 src1=0 src2=0
	v_mul_i32_i24_e32 v57 /*v313*/, v180 /*v436*/, v241
	s_set_vgpr_msb 0x55                     ;  msbs: dst=1 src0=1 src1=1 src2=1
	v_add3_u32 v114 /*v370*/, v73 /*v329*/, v200 /*v456*/, v199 /*v455*/
	v_mul_i32_i24_e32 v60 /*v316*/, v93 /*v349*/, v11 /*v267*/
	v_mul_i32_i24_e32 v63 /*v319*/, v95 /*v351*/, v2 /*v258*/
	;; [unrolled: 1-line block ×4, first 2 shown]
	s_set_vgpr_msb 0x41                     ;  msbs: dst=1 src0=1 src1=0 src2=0
	v_mul_i32_i24_e32 v65 /*v321*/, v182 /*v438*/, v237
	v_mul_i32_i24_e32 v69 /*v325*/, v184 /*v440*/, v237
	;; [unrolled: 1-line block ×3, first 2 shown]
	s_set_vgpr_msb 0x45                     ;  msbs: dst=1 src0=1 src1=1 src2=0
	v_mul_i32_i24_e32 v68 /*v324*/, v123 /*v379*/, v11 /*v267*/
	v_mul_i32_i24_e32 v72 /*v328*/, v131 /*v387*/, v2 /*v258*/
	s_set_vgpr_msb 0x41                     ;  msbs: dst=1 src0=1 src1=0 src2=0
	v_mul_i32_i24_e32 v78 /*v334*/, v184 /*v440*/, v239
	s_set_vgpr_msb 0x44                     ;  msbs: dst=1 src0=0 src1=1 src2=0
	v_mul_i32_i24_e32 v17 /*v273*/, v247, v165 /*v421*/
	v_mul_i32_i24_e32 v11 /*v267*/, v247, v167 /*v423*/
	;; [unrolled: 1-line block ×5, first 2 shown]
	s_set_vgpr_msb 4                        ;  msbs: dst=0 src0=0 src1=1 src2=0
	v_mul_i32_i24_e32 v252, v247, v61 /*v317*/
	s_set_vgpr_msb 0x41                     ;  msbs: dst=1 src0=1 src1=0 src2=0
	v_mul_i32_i24_e32 v86 /*v342*/, v182 /*v438*/, v241
	v_mul_i32_i24_e32 v81 /*v337*/, v96 /*v352*/, v237
	;; [unrolled: 1-line block ×5, first 2 shown]
	s_set_vgpr_msb 5                        ;  msbs: dst=0 src0=1 src1=1 src2=0
	v_mul_i32_i24_e32 v247, v28 /*v284*/, v175 /*v431*/
	v_mul_i32_i24_e32 v248, v28 /*v284*/, v177 /*v433*/
	;; [unrolled: 1-line block ×6, first 2 shown]
	s_set_vgpr_msb 0x44                     ;  msbs: dst=1 src0=0 src1=1 src2=0
	v_mul_i32_i24_e32 v28 /*v284*/, v100, v87 /*v343*/
	s_set_vgpr_msb 5                        ;  msbs: dst=0 src0=1 src1=1 src2=0
	v_mul_i32_i24_e32 v100, v139 /*v395*/, v116 /*v372*/
	s_set_vgpr_msb 0x45                     ;  msbs: dst=1 src0=1 src1=1 src2=0
	v_mul_i32_i24_e32 v143 /*v399*/, v140 /*v396*/, v116 /*v372*/
	v_mul_i32_i24_e32 v142 /*v398*/, v142 /*v398*/, v116 /*v372*/
	s_set_vgpr_msb 5                        ;  msbs: dst=0 src0=1 src1=1 src2=0
	v_mul_i32_i24_e32 v99, v107 /*v363*/, v110 /*v366*/
	s_set_vgpr_msb 0x45                     ;  msbs: dst=1 src0=1 src1=1 src2=0
	v_mul_i32_i24_e32 v144 /*v400*/, v97 /*v353*/, v75 /*v331*/
	s_set_vgpr_msb 0                        ;  msbs: dst=0 src0=0 src1=0 src2=0
	v_mul_i32_i24_e32 v117, v152, v148
	s_set_vgpr_msb 4                        ;  msbs: dst=0 src0=0 src1=1 src2=0
	v_mul_i32_i24_e32 v119, v152, v75 /*v331*/
	s_set_vgpr_msb 5                        ;  msbs: dst=0 src0=1 src1=1 src2=0
	v_mul_i32_i24_e32 v124, v154 /*v410*/, v110 /*v366*/
	v_mul_i32_i24_e32 v126, v154 /*v410*/, v155 /*v411*/
	;; [unrolled: 1-line block ×23, first 2 shown]
	s_set_vgpr_msb 1                        ;  msbs: dst=0 src0=1 src1=0 src2=0
	v_mul_i32_i24_e32 v214, v22 /*v278*/, v245
	s_set_vgpr_msb 5                        ;  msbs: dst=0 src0=1 src1=1 src2=0
	v_mul_i32_i24_e32 v217, v168 /*v424*/, v80 /*v336*/
	v_mul_i32_i24_e32 v219, v168 /*v424*/, v84 /*v340*/
	;; [unrolled: 1-line block ×3, first 2 shown]
	s_set_vgpr_msb 0                        ;  msbs: dst=0 src0=0 src1=0 src2=0
	v_mul_i32_i24_e32 v222, v253, v245
	s_set_vgpr_msb 5                        ;  msbs: dst=0 src0=1 src1=1 src2=0
	v_mul_i32_i24_e32 v225, v170 /*v426*/, v80 /*v336*/
	v_mul_i32_i24_e32 v227, v170 /*v426*/, v84 /*v340*/
	;; [unrolled: 1-line block ×6, first 2 shown]
	s_set_vgpr_msb 1                        ;  msbs: dst=0 src0=1 src1=0 src2=0
	v_mul_i32_i24_e32 v242, v4 /*v260*/, v245
	s_set_vgpr_msb 5                        ;  msbs: dst=0 src0=1 src1=1 src2=0
	v_mul_i32_i24_e32 v249, v173 /*v429*/, v80 /*v336*/
	v_mul_i32_i24_e32 v253, v173 /*v429*/, v84 /*v340*/
	s_set_vgpr_msb 1                        ;  msbs: dst=0 src0=1 src1=0 src2=0
	v_mul_i32_i24_e32 v245, v49 /*v305*/, v245
	s_set_vgpr_msb 0x55                     ;  msbs: dst=1 src0=1 src1=1 src2=1
	v_mul_i32_i24_e32 v4 /*v260*/, v173 /*v429*/, v85 /*v341*/
	v_add3_u32 v99 /*v355*/, v27 /*v283*/, v136 /*v392*/, v130 /*v386*/
	v_mul_i32_i24_e32 v19 /*v275*/, v176 /*v432*/, v23 /*v279*/
	v_mul_i32_i24_e32 v22 /*v278*/, v178 /*v434*/, v23 /*v279*/
	;; [unrolled: 1-line block ×4, first 2 shown]
	v_add3_u32 v105 /*v361*/, v35 /*v291*/, v190 /*v446*/, v55 /*v311*/
	v_mul_i32_i24_e32 v35 /*v291*/, v176 /*v432*/, v25 /*v281*/
	v_add3_u32 v106 /*v362*/, v37 /*v293*/, v192 /*v448*/, v191 /*v447*/
	v_mul_i32_i24_e32 v37 /*v293*/, v178 /*v434*/, v25 /*v281*/
	v_mul_i32_i24_e32 v49 /*v305*/, v181 /*v437*/, v23 /*v279*/
	;; [unrolled: 1-line block ×4, first 2 shown]
	v_add3_u32 v118 /*v374*/, v76 /*v332*/, v202 /*v458*/, v201 /*v457*/
	v_mul_i32_i24_e32 v70 /*v326*/, v183 /*v439*/, v23 /*v279*/
	v_add3_u32 v120 /*v376*/, v91 /*v347*/, v204 /*v460*/, v203 /*v459*/
	v_mul_i32_i24_e32 v75 /*v331*/, v185 /*v441*/, v23 /*v279*/
	v_mul_i32_i24_e32 v76 /*v332*/, v183 /*v439*/, v24 /*v280*/
	;; [unrolled: 1-line block ×48, first 2 shown]
	s_set_vgpr_msb 0x51                     ;  msbs: dst=1 src0=1 src1=0 src2=1
	v_add3_u32 v141 /*v397*/, v206 /*v462*/, v100, v205 /*v461*/
	s_set_vgpr_msb 0x45                     ;  msbs: dst=1 src0=1 src1=1 src2=0
	v_add3_u32 v145 /*v401*/, v147 /*v403*/, v145 /*v401*/, v98
	s_set_vgpr_msb 1                        ;  msbs: dst=0 src0=1 src1=0 src2=0
	v_add3_u32 v104, v29 /*v285*/, v105, v104
	s_set_vgpr_msb 5                        ;  msbs: dst=0 src0=1 src1=1 src2=0
	v_add3_u32 v105, v33 /*v289*/, v143 /*v399*/, v106
	s_set_vgpr_msb 1                        ;  msbs: dst=0 src0=1 src1=0 src2=0
	v_add3_u32 v106, v41 /*v297*/, v108, v107
	v_add3_u32 v107, v44 /*v300*/, v113, v111
	s_set_vgpr_msb 5                        ;  msbs: dst=0 src0=1 src1=1 src2=0
	v_add3_u32 v111, v52 /*v308*/, v142 /*v398*/, v112
	v_mul_i32_i24_e32 v154, v161 /*v417*/, v155 /*v411*/
	s_set_vgpr_msb 0x55                     ;  msbs: dst=1 src0=1 src1=1 src2=1
	v_mul_i32_i24_e32 v134 /*v390*/, v163 /*v419*/, v155 /*v411*/
	v_mul_i32_i24_e32 v139 /*v395*/, v163 /*v419*/, v156 /*v412*/
	v_add3_u32 v144 /*v400*/, v148 /*v404*/, v146 /*v402*/, v144 /*v400*/
	s_set_vgpr_msb 1                        ;  msbs: dst=0 src0=1 src1=0 src2=0
	v_add3_u32 v108, v47 /*v303*/, v120, v114
	v_add3_u32 v99, v53 /*v309*/, v103, v99
	;; [unrolled: 1-line block ×10, first 2 shown]
	s_set_vgpr_msb 17                       ;  msbs: dst=0 src0=1 src1=0 src2=1
	v_add3_u32 v117, v102 /*v358*/, v130, v138 /*v394*/
	s_set_vgpr_msb 1                        ;  msbs: dst=0 src0=1 src1=0 src2=0
	v_add3_u32 v118, v104 /*v360*/, v131, v132
	v_add3_u32 v119, v105 /*v361*/, v133, v134
	v_add3_u32 v120, v106 /*v362*/, v135, v136
	s_set_vgpr_msb 17                       ;  msbs: dst=0 src0=1 src1=0 src2=1
	v_add3_u32 v121, v108 /*v364*/, v137, v131 /*v387*/
	s_set_vgpr_msb 1                        ;  msbs: dst=0 src0=1 src1=0 src2=0
	v_add3_u32 v122, v109 /*v365*/, v138, v139
	v_add3_u32 v123, v111 /*v367*/, v140, v141
	v_add3_u32 v124, v112 /*v368*/, v142, v143
	;; [unrolled: 6-line block ×3, first 2 shown]
	s_set_vgpr_msb 17                       ;  msbs: dst=0 src0=1 src1=0 src2=1
	v_add3_u32 v129, v141 /*v397*/, v151, v129 /*v385*/
	s_set_vgpr_msb 1                        ;  msbs: dst=0 src0=1 src1=0 src2=0
	v_add3_u32 v130, v145 /*v401*/, v152, v153
	s_set_vgpr_msb 16                       ;  msbs: dst=0 src0=0 src1=0 src2=1
	v_add3_u32 v105, v105, v197, v128 /*v384*/
	v_add3_u32 v111, v111, v198, v127 /*v383*/
	s_set_vgpr_msb 0x45                     ;  msbs: dst=1 src0=1 src1=1 src2=0
	v_mul_i32_i24_e32 v140 /*v396*/, v161 /*v417*/, v156 /*v412*/
	s_set_vgpr_msb 0                        ;  msbs: dst=0 src0=0 src1=0 src2=0
	ds_load_b32 v100, v191
	ds_load_b32 v98, v192
	s_set_vgpr_msb 64                       ;  msbs: dst=1 src0=0 src1=0 src2=0
	ds_load_b32 v146 /*v402*/, v193
	s_set_vgpr_msb 1                        ;  msbs: dst=0 src0=1 src1=0 src2=0
	v_add3_u32 v131, v144 /*v400*/, v154, v155
	s_set_vgpr_msb 0                        ;  msbs: dst=0 src0=0 src1=0 src2=0
	v_add3_u32 v106, v106, v201, v206
	s_set_vgpr_msb 4                        ;  msbs: dst=0 src0=0 src1=1 src2=0
	v_add3_u32 v107, v107, v134 /*v390*/, v207
	v_add3_u32 v108, v108, v139 /*v395*/, v210
	s_set_vgpr_msb 16                       ;  msbs: dst=0 src0=0 src1=0 src2=1
	v_add3_u32 v109, v109, v200, v136 /*v392*/
	s_set_vgpr_msb 4                        ;  msbs: dst=0 src0=0 src1=1 src2=0
	v_add3_u32 v110, v110, v137 /*v393*/, v202
	s_set_vgpr_msb 0                        ;  msbs: dst=0 src0=0 src1=0 src2=0
	v_add3_u32 v99, v99, v101, v102
	s_set_vgpr_msb 4                        ;  msbs: dst=0 src0=0 src1=1 src2=0
	v_add3_u32 v101, v112, v132 /*v388*/, v203
	v_add3_u32 v102, v113, v133 /*v389*/, v204
	s_set_vgpr_msb 0                        ;  msbs: dst=0 src0=0 src1=0 src2=0
	v_add3_u32 v112, v114, v205, v208
	v_add3_u32 v113, v115, v209, v211
	;; [unrolled: 1-line block ×17, first 2 shown]
	s_set_vgpr_msb 16                       ;  msbs: dst=0 src0=0 src1=0 src2=1
	v_add3_u32 v105, v105, v255, v5 /*v261*/
	v_add3_u32 v111, v111, v245, v0 /*v256*/
	v_cvt_f32_f16_e32 v93, v93
	v_cvt_f32_f16_e32 v92, v92
	s_set_vgpr_msb 4                        ;  msbs: dst=0 src0=0 src1=1 src2=0
	v_add3_u32 v104, v104, v140 /*v396*/, v196
	s_set_vgpr_msb 16                       ;  msbs: dst=0 src0=0 src1=0 src2=1
	v_add3_u32 v103, v103, v199, v135 /*v391*/
	s_set_vgpr_msb 0                        ;  msbs: dst=0 src0=0 src1=0 src2=0
	v_add3_u32 v129, v131, v250, v253
	s_set_vgpr_msb 20                       ;  msbs: dst=0 src0=0 src1=1 src2=1
	v_add3_u32 v106, v106, v8 /*v264*/, v121 /*v377*/
	v_add3_u32 v107, v107, v16 /*v272*/, v125 /*v381*/
	v_add3_u32 v108, v108, v20 /*v276*/, v126 /*v382*/
	v_add3_u32 v110, v110, v6 /*v262*/, v123 /*v379*/
	v_add3_u32 v101, v101, v7 /*v263*/, v124 /*v380*/
	v_add3_u32 v130, v102, v3 /*v259*/, v122 /*v378*/
	s_set_vgpr_msb 16                       ;  msbs: dst=0 src0=0 src1=0 src2=1
	v_add3_u32 v131, v109, v246, v9 /*v265*/
	s_set_vgpr_msb 20                       ;  msbs: dst=0 src0=0 src1=1 src2=1
	v_add3_u32 v109, v115, v15 /*v271*/, v10 /*v266*/
	v_add3_u32 v112, v112, v14 /*v270*/, v19 /*v275*/
	;; [unrolled: 1-line block ×18, first 2 shown]
	s_add_co_i32 s13, s13, 4
	s_set_vgpr_msb 16                       ;  msbs: dst=0 src0=0 src1=0 src2=1
	v_add3_u32 v104, v104, v254, v4 /*v260*/
	v_pk_mul_f32 v[92:93], v[92:93], s[12:13] op_sel_hi:[1,0]
	v_pk_mul_f32 v[94:95], v[94:95], s[12:13] op_sel_hi:[1,0]
	v_add3_u32 v103, v103, v251, v13 /*v269*/
	s_set_vgpr_msb 20                       ;  msbs: dst=0 src0=0 src1=1 src2=1
	v_add3_u32 v122, v122, v54 /*v310*/, v58 /*v314*/
	v_add3_u32 v128, v106, v69 /*v325*/, v75 /*v331*/
	;; [unrolled: 1-line block ×5, first 2 shown]
	v_cvt_f32_i32_e32 v102, v99
	v_add3_u32 v99, v110, v81 /*v337*/, v96 /*v352*/
	v_add3_u32 v101, v101, v82 /*v338*/, v97 /*v353*/
	;; [unrolled: 1-line block ×7, first 2 shown]
	v_cvt_f32_i32_e32 v107, v115
	v_cvt_f32_i32_e32 v106, v112
	;; [unrolled: 1-line block ×10, first 2 shown]
	v_add3_u32 v131, v105, v110 /*v366*/, v74 /*v330*/
	v_cvt_f32_i32_e32 v120, v127
	v_add3_u32 v127, v135, v107 /*v363*/, v61 /*v317*/
	v_add3_u32 v133, v104, v86 /*v342*/, v101 /*v357*/
	v_cvt_f32_i32_e32 v104, v103
	v_cvt_f32_i32_e32 v116, v122
	;; [unrolled: 1-line block ×7, first 2 shown]
	v_add3_u32 v99, v136, v17 /*v273*/, v90 /*v346*/
	s_set_vgpr_msb 0                        ;  msbs: dst=0 src0=0 src1=0 src2=0
	v_pk_fma_f32 v[106:107], v[82:83], v[106:107], v[92:93] neg_lo:[0,0,1] neg_hi:[0,0,1]
	v_pk_fma_f32 v[108:109], v[82:83], v[108:109], v[92:93] neg_lo:[0,0,1] neg_hi:[0,0,1]
	s_set_vgpr_msb 20                       ;  msbs: dst=0 src0=0 src1=1 src2=1
	v_add3_u32 v101, v137, v11 /*v267*/, v87 /*v343*/
	v_add3_u32 v128, v138, v12 /*v268*/, v88 /*v344*/
	s_set_vgpr_msb 0                        ;  msbs: dst=0 src0=0 src1=0 src2=0
	v_pk_fma_f32 v[112:113], v[84:85], v[112:113], v[94:95] neg_lo:[0,0,1] neg_hi:[0,0,1]
	v_pk_fma_f32 v[114:115], v[84:85], v[114:115], v[94:95] neg_lo:[0,0,1] neg_hi:[0,0,1]
	s_set_vgpr_msb 20                       ;  msbs: dst=0 src0=0 src1=1 src2=1
	v_add3_u32 v126, v126, v1 /*v257*/, v84 /*v340*/
	v_add3_u32 v129, v131, v2 /*v258*/, v85 /*v341*/
	s_set_vgpr_msb 16                       ;  msbs: dst=0 src0=0 src1=0 src2=1
	v_add3_u32 v127, v127, v252, v80 /*v336*/
	s_set_vgpr_msb 0                        ;  msbs: dst=0 src0=0 src1=0 src2=0
	v_pk_fma_f32 v[102:103], v[88:89], v[102:103], v[90:91] neg_lo:[0,0,1] neg_hi:[0,0,1]
	v_pk_fma_f32 v[104:105], v[88:89], v[104:105], v[90:91] neg_lo:[0,0,1] neg_hi:[0,0,1]
	;; [unrolled: 1-line block ×3, first 2 shown]
	s_wait_dscnt 0x2
	v_pk_fma_f32 v[46:47], v[100:101], v[106:107], v[46:47] op_sel_hi:[0,1,1]
	s_wait_dscnt 0x1
	v_pk_fma_f32 v[58:59], v[98:99], v[108:109], v[58:59] op_sel_hi:[0,1,1]
	s_set_vgpr_msb 16                       ;  msbs: dst=0 src0=0 src1=0 src2=1
	v_add3_u32 v90, v99, v247, v36 /*v292*/
	v_add3_u32 v91, v101, v248, v32 /*v288*/
	s_set_vgpr_msb 0                        ;  msbs: dst=0 src0=0 src1=0 src2=0
	v_pk_fma_f32 v[40:41], v[100:101], v[112:113], v[40:41] op_sel_hi:[0,1,1]
	v_pk_fma_f32 v[48:49], v[98:99], v[114:115], v[48:49] op_sel_hi:[0,1,1]
	s_set_vgpr_msb 16                       ;  msbs: dst=0 src0=0 src1=0 src2=1
	v_add3_u32 v99, v128, v239, v28 /*v284*/
	v_add3_u32 v101, v126, v241, v24 /*v280*/
	;; [unrolled: 1-line block ×4, first 2 shown]
	v_pk_mul_f32 v[96:97], v[96:97], s[12:13] op_sel_hi:[1,0]
	v_cvt_f32_i32_e32 v111, v117
	v_cvt_f32_i32_e32 v117, v125
	;; [unrolled: 1-line block ×11, first 2 shown]
	s_set_vgpr_msb 0                        ;  msbs: dst=0 src0=0 src1=0 src2=0
	v_pk_fma_f32 v[110:111], v[82:83], v[110:111], v[92:93] neg_lo:[0,0,1] neg_hi:[0,0,1]
	v_pk_fma_f32 v[116:117], v[84:85], v[116:117], v[94:95] neg_lo:[0,0,1] neg_hi:[0,0,1]
	;; [unrolled: 1-line block ×8, first 2 shown]
	v_dual_add_nc_u32 v195, 16, v195 :: v_dual_add_nc_u32 v193, 4, v193
	v_dual_add_nc_u32 v192, 4, v192 :: v_dual_add_nc_u32 v191, 4, v191
	;; [unrolled: 1-line block ×3, first 2 shown]
	s_wait_dscnt 0x0
	s_set_vgpr_msb 1                        ;  msbs: dst=0 src0=1 src1=0 src2=0
	v_pk_fma_f32 v[66:67], v[146:147] /*v[402:403]*/, v[110:111], v[66:67] op_sel_hi:[0,1,1]
	v_pk_fma_f32 v[60:61], v[146:147] /*v[402:403]*/, v[116:117], v[60:61] op_sel_hi:[0,1,1]
	s_set_vgpr_msb 0                        ;  msbs: dst=0 src0=0 src1=0 src2=0
	v_pk_fma_f32 v[36:37], v[100:101], v[120:121], v[36:37] op_sel_hi:[0,1,1]
	v_pk_fma_f32 v[42:43], v[98:99], v[122:123], v[42:43] op_sel_hi:[0,1,1]
	s_set_vgpr_msb 1                        ;  msbs: dst=0 src0=1 src1=0 src2=0
	v_pk_fma_f32 v[50:51], v[146:147] /*v[402:403]*/, v[124:125], v[50:51] op_sel_hi:[0,1,1]
	s_set_vgpr_msb 0                        ;  msbs: dst=0 src0=0 src1=0 src2=0
	v_pk_fma_f32 v[54:55], v[100:101], v[102:103], v[54:55] op_sel_hi:[0,1,1]
	v_pk_fma_f32 v[64:65], v[98:99], v[104:105], v[64:65] op_sel_hi:[0,1,1]
	s_set_vgpr_msb 1                        ;  msbs: dst=0 src0=1 src1=0 src2=0
	v_pk_fma_f32 v[70:71], v[146:147] /*v[402:403]*/, v[88:89], v[70:71] op_sel_hi:[0,1,1]
	s_set_vgpr_msb 0                        ;  msbs: dst=0 src0=0 src1=0 src2=0
	v_pk_fma_f32 v[72:73], v[80:81], v[82:83], v[72:73] op_sel_hi:[0,1,1]
	v_pk_fma_f32 v[68:69], v[80:81], v[84:85], v[68:69] op_sel_hi:[0,1,1]
	;; [unrolled: 1-line block ×3, first 2 shown]
	s_cmp_lt_u32 s13, 12
	s_cbranch_scc1 .LBB137_8
; %bb.9:                                ;   in Loop: Header=BB137_6 Depth=1
	s_and_b32 s13, s17, -4
	s_delay_alu instid0(SALU_CYCLE_1)
	s_cmp_eq_u32 s13, 4
	s_barrier_signal -1
	s_barrier_wait -1
	s_cbranch_scc1 .LBB137_5
; %bb.10:                               ;   in Loop: Header=BB137_6 Depth=1
	v_dual_add_nc_u32 v80, s10, v163 :: v_dual_add_nc_u32 v96, 4, v81
	s_mov_b32 s13, 12
	s_delay_alu instid0(VALU_DEP_1) | instskip(SKIP_3) | instid1(VALU_DEP_4)
	v_dual_add_nc_u32 v86, v80, v157 :: v_dual_add_nc_u32 v81, v80, v162
	v_dual_add_nc_u32 v82, v80, v79 :: v_dual_add_nc_u32 v84, v80, v156
	;; [unrolled: 1-line block ×4, first 2 shown]
	v_mad_nc_i64_i32 v[80:81], v81, 36, v[22:23]
	s_delay_alu instid0(VALU_DEP_4)
	v_mad_nc_i64_i32 v[82:83], v82, 36, v[22:23]
	v_mad_nc_i64_i32 v[84:85], v84, 36, v[22:23]
	;; [unrolled: 1-line block ×7, first 2 shown]
	v_mad_nc_u64_u32 v[96:97], v96, 36, s[2:3]
	s_clause 0x8
	global_load_b32 v98, v[80:81], off offset:4
	global_load_b32 v99, v[82:83], off offset:4
	;; [unrolled: 1-line block ×8, first 2 shown]
	global_load_b32 v106, v[96:97], off
	s_wait_xcnt 0x6
	v_dual_mov_b32 v83, v187 :: v_dual_mov_b32 v85, v180
	s_wait_xcnt 0x1
	v_dual_mov_b32 v87, v184 :: v_dual_mov_b32 v94, v183
	s_wait_xcnt 0x0
	v_dual_mov_b32 v95, v182 :: v_dual_mov_b32 v96, v181
	v_mov_b32_e32 v97, v188
	s_wait_loadcnt 0x8
	ds_store_b32 v178, v98
	s_wait_loadcnt 0x7
	ds_store_b32 v179, v99
	s_wait_loadcnt 0x6
	ds_store_b32 v172, v100
	s_wait_loadcnt 0x5
	ds_store_b32 v173, v101
	s_wait_loadcnt 0x4
	ds_store_b32 v174, v102
	s_wait_loadcnt 0x3
	ds_store_b32 v175, v103
	s_wait_loadcnt 0x2
	ds_store_b32 v176, v104
	s_wait_loadcnt 0x1
	ds_store_b32 v177, v105
	s_wait_loadcnt 0x0
	ds_store_b32 v57, v106
	s_wait_dscnt 0x0
	s_barrier_signal -1
	s_barrier_wait -1
.LBB137_11:                             ;   Parent Loop BB137_6 Depth=1
                                        ; =>  This Inner Loop Header: Depth=2
	ds_load_2addr_b32 v[80:81], v85 offset0:1 offset1:2
	ds_load_2addr_b32 v[90:91], v85 offset0:5 offset1:6
	ds_load_2addr_b32 v[92:93], v85 offset1:3
	ds_load_2addr_b32 v[98:99], v85 offset0:4 offset1:7
	ds_load_2addr_b32 v[88:89], v83 offset1:32
	v_add_nc_u32_e32 v251, 0x404, v85
	s_wait_dscnt 0x4
	v_bfe_i32 v113, v80, 0, 8
	s_wait_dscnt 0x3
	v_bfe_i32 v116, v90, 0, 8
	v_bfe_i32 v118, v90, 8, 8
	v_bfe_i32 v119, v90, 16, 8
	s_set_vgpr_msb 64                       ;  msbs: dst=1 src0=0 src1=0 src2=0
	v_dual_ashrrev_i32 v9 /*v265*/, 24, v90 :: v_dual_ashrrev_i32 v8 /*v264*/, 24, v81
	s_set_vgpr_msb 0                        ;  msbs: dst=0 src0=0 src1=0 src2=0
	v_bfe_i32 v125, v91, 0, 8
	v_bfe_i32 v126, v91, 8, 8
	v_bfe_i32 v127, v91, 16, 8
	s_wait_dscnt 0x2
	s_set_vgpr_msb 64                       ;  msbs: dst=1 src0=0 src1=0 src2=0
	v_dual_ashrrev_i32 v7 /*v263*/, 24, v91 :: v_dual_ashrrev_i32 v6 /*v262*/, 24, v93
	s_set_vgpr_msb 0                        ;  msbs: dst=0 src0=0 src1=0 src2=0
	ds_load_b32 v84, v87
	ds_load_2addr_b32 v[90:91], v97 offset1:1
	v_bfe_i32 v106, v92, 0, 8
	v_ashrrev_i32_e32 v255, 24, v92
	v_bfe_i32 v108, v92, 8, 8
	s_wait_dscnt 0x3
	s_set_vgpr_msb 64                       ;  msbs: dst=1 src0=0 src1=0 src2=0
	v_dual_ashrrev_i32 v11 /*v267*/, 24, v98 :: v_dual_ashrrev_i32 v10 /*v266*/, 24, v80
	s_set_vgpr_msb 0                        ;  msbs: dst=0 src0=0 src1=0 src2=0
	v_bfe_i32 v114, v80, 8, 8
	v_bfe_i32 v115, v80, 16, 8
	;; [unrolled: 1-line block ×8, first 2 shown]
	s_set_vgpr_msb 64                       ;  msbs: dst=1 src0=0 src1=0 src2=0
	v_bfe_i32 v5 /*v261*/, v93, 16, 8
	s_set_vgpr_msb 0                        ;  msbs: dst=0 src0=0 src1=0 src2=0
	v_bfe_i32 v109, v99, 0, 8
	s_set_vgpr_msb 64                       ;  msbs: dst=1 src0=0 src1=0 src2=0
	v_bfe_i32 v4 /*v260*/, v99, 8, 8
	v_bfe_i32 v3 /*v259*/, v99, 16, 8
	s_set_vgpr_msb 0                        ;  msbs: dst=0 src0=0 src1=0 src2=0
	v_bfe_i32 v110, v98, 0, 8
	v_bfe_i32 v111, v98, 8, 8
	s_wait_dscnt 0x0
	v_and_b32_e32 v222, 15, v90
	v_bfe_u32 v189, v90, 8, 4
	v_bfe_u32 v254, v90, 16, 4
	;; [unrolled: 1-line block ×4, first 2 shown]
	v_mul_i32_i24_e32 v80, v222, v106
	v_bfe_u32 v224, v90, 12, 4
	v_dual_lshrrev_b32 v225, 28, v90 :: v_dual_bitop2_b32 v226, 15, v91 bitop3:0x40
	v_bfe_i32 v112, v98, 16, 8
	s_delay_alu instid0(VALU_DEP_4)
	v_mad_i32_i24 v107, v189, v108, v80
	ds_load_2addr_b32 v[80:81], v97 offset0:2 offset1:3
	v_lshrrev_b32_e32 v232, 28, v91
	v_mul_i32_i24_e32 v117, v218, v110
	v_mul_i32_i24_e32 v153, v224, v111
	v_mul_i32_i24_e32 v248, v221, v112
	s_set_vgpr_msb 4                        ;  msbs: dst=0 src0=0 src1=1 src2=0
	v_mul_i32_i24_e32 v249, v225, v11 /*v267*/
	v_bfe_u32 v227, v91, 8, 4
	s_set_vgpr_msb 0                        ;  msbs: dst=0 src0=0 src1=0 src2=0
	v_mul_i32_i24_e32 v250, v113, v226
	v_bfe_u32 v228, v91, 16, 4
	v_bfe_u32 v229, v91, 24, 4
	;; [unrolled: 1-line block ×3, first 2 shown]
	v_mul_i32_i24_e32 v252, v114, v227
	v_bfe_u32 v231, v91, 12, 4
	v_mul_i32_i24_e32 v253, v115, v228
	s_set_vgpr_msb 0x41                     ;  msbs: dst=1 src0=1 src1=0 src2=0
	v_mul_i32_i24_e32 v26 /*v282*/, v10 /*v266*/, v229
	s_set_vgpr_msb 64                       ;  msbs: dst=1 src0=0 src1=0 src2=0
	v_mul_i32_i24_e32 v27 /*v283*/, v116, v230
	s_set_vgpr_msb 0                        ;  msbs: dst=0 src0=0 src1=0 src2=0
	v_bfe_u32 v223, v91, 20, 4
	s_set_vgpr_msb 64                       ;  msbs: dst=1 src0=0 src1=0 src2=0
	v_mul_i32_i24_e32 v28 /*v284*/, v118, v231
	s_wait_dscnt 0x0
	s_set_vgpr_msb 0                        ;  msbs: dst=0 src0=0 src1=0 src2=0
	v_and_b32_e32 v233, 15, v80
	v_bfe_u32 v234, v80, 8, 4
	v_bfe_u32 v235, v80, 24, 4
	;; [unrolled: 1-line block ×5, first 2 shown]
	v_dual_lshrrev_b32 v239, 28, v80 :: v_dual_bitop2_b32 v241, 15, v81 bitop3:0x40
	v_bfe_u32 v240, v80, 20, 4
	v_add_nc_u32_e32 v80, 0x1080, v97
	ds_load_b32 v86, v94
	ds_load_2addr_b32 v[92:93], v80 offset1:1
	v_bfe_u32 v242, v81, 8, 4
	v_bfe_u32 v243, v81, 24, 4
	v_bfe_u32 v244, v81, 16, 4
	v_bfe_u32 v245, v81, 4, 4
	v_bfe_u32 v246, v81, 12, 4
	s_set_vgpr_msb 64                       ;  msbs: dst=1 src0=0 src1=0 src2=0
	v_bfe_u32 v2 /*v258*/, v81, 20, 4
	v_mul_i32_i24_e32 v29 /*v285*/, v119, v223
	v_mul_i32_i24_e32 v31 /*v287*/, v122, v233
	s_set_vgpr_msb 0                        ;  msbs: dst=0 src0=0 src1=0 src2=0
	v_mul_i32_i24_e32 v91, v109, v245
	s_set_vgpr_msb 64                       ;  msbs: dst=1 src0=0 src1=0 src2=0
	v_mul_i32_i24_e32 v34 /*v290*/, v124, v236
	v_mul_i32_i24_e32 v32 /*v288*/, v123, v234
	s_set_vgpr_msb 0x41                     ;  msbs: dst=1 src0=1 src1=0 src2=0
	v_mul_i32_i24_e32 v30 /*v286*/, v9 /*v265*/, v232
	s_set_vgpr_msb 64                       ;  msbs: dst=1 src0=0 src1=0 src2=0
	v_mul_i32_i24_e32 v35 /*v291*/, v126, v238
	v_mul_i32_i24_e32 v36 /*v292*/, v125, v237
	v_mul_i32_i24_e32 v38 /*v294*/, v127, v240
	s_set_vgpr_msb 0x41                     ;  msbs: dst=1 src0=1 src1=0 src2=0
	v_mul_i32_i24_e32 v33 /*v289*/, v8 /*v264*/, v235
	s_set_vgpr_msb 64                       ;  msbs: dst=1 src0=0 src1=0 src2=0
	v_mul_i32_i24_e32 v39 /*v295*/, v128, v241
	s_set_vgpr_msb 0x41                     ;  msbs: dst=1 src0=1 src1=0 src2=0
	v_mul_i32_i24_e32 v37 /*v293*/, v7 /*v263*/, v239
	s_set_vgpr_msb 64                       ;  msbs: dst=1 src0=0 src1=0 src2=0
	v_mul_i32_i24_e32 v40 /*v296*/, v129, v242
	s_wait_dscnt 0x0
	s_set_vgpr_msb 0                        ;  msbs: dst=0 src0=0 src1=0 src2=0
	v_dual_lshrrev_b32 v196, 28, v92 :: v_dual_bitop2_b32 v193, 15, v92 bitop3:0x40
	v_bfe_u32 v190, v92, 8, 4
	v_bfe_u32 v194, v93, 20, 4
	v_dual_lshrrev_b32 v203, 28, v93 :: v_dual_bitop2_b32 v197, 15, v93 bitop3:0x40
	s_delay_alu instid0(VALU_DEP_4)
	v_mul_i32_i24_e32 v80, v193, v106
	v_bfe_u32 v198, v93, 8, 4
	v_bfe_u32 v199, v93, 16, 4
	;; [unrolled: 1-line block ×4, first 2 shown]
	s_set_vgpr_msb 64                       ;  msbs: dst=1 src0=0 src1=0 src2=0
	v_mad_i32_i24 v43 /*v299*/, v190, v108, v80
	s_set_vgpr_msb 0                        ;  msbs: dst=0 src0=0 src1=0 src2=0
	v_add_nc_u32_e32 v80, 0x1088, v97
	v_bfe_u32 v202, v93, 12, 4
	v_add_nc_u32_e32 v93, 0x3180, v97
	v_bfe_u32 v192, v92, 20, 4
	v_bfe_u32 v191, v92, 4, 4
	ds_load_2addr_b32 v[120:121], v80 offset1:1
	v_add_nc_u32_e32 v80, 0x2100, v97
	ds_load_b32 v82, v95
	s_set_vgpr_msb 64                       ;  msbs: dst=1 src0=0 src1=0 src2=0
	ds_load_2addr_b32 v[12:13] /*v[268:269]*/, v80 offset1:1
	s_set_vgpr_msb 0                        ;  msbs: dst=0 src0=0 src1=0 src2=0
	v_add_nc_u32_e32 v80, 0x2108, v97
	v_bfe_u32 v195, v92, 12, 4
	s_set_vgpr_msb 64                       ;  msbs: dst=1 src0=0 src1=0 src2=0
	v_mul_i32_i24_e32 v44 /*v300*/, v191, v110
	v_mul_i32_i24_e32 v46 /*v302*/, v192, v112
	s_set_vgpr_msb 0x44                     ;  msbs: dst=1 src0=0 src1=1 src2=0
	v_mul_i32_i24_e32 v47 /*v303*/, v196, v11 /*v267*/
	s_set_vgpr_msb 0                        ;  msbs: dst=0 src0=0 src1=0 src2=0
	ds_load_2addr_b32 v[154:155], v80 offset1:1
	ds_load_b32 v80, v96
	s_set_vgpr_msb 64                       ;  msbs: dst=1 src0=0 src1=0 src2=0
	ds_load_2addr_b32 v[14:15] /*v[270:271]*/, v93 offset1:1
	v_mul_i32_i24_e32 v45 /*v301*/, v195, v111
	v_mul_i32_i24_e32 v48 /*v304*/, v113, v197
	;; [unrolled: 1-line block ×4, first 2 shown]
	s_set_vgpr_msb 0x41                     ;  msbs: dst=1 src0=1 src1=0 src2=0
	v_mul_i32_i24_e32 v51 /*v307*/, v10 /*v266*/, v200
	s_set_vgpr_msb 64                       ;  msbs: dst=1 src0=0 src1=0 src2=0
	v_mul_i32_i24_e32 v52 /*v308*/, v116, v201
	v_mul_i32_i24_e32 v53 /*v309*/, v118, v202
	s_wait_dscnt 0x5
	s_set_vgpr_msb 0                        ;  msbs: dst=0 src0=0 src1=0 src2=0
	v_and_b32_e32 v213, 15, v121
	s_set_vgpr_msb 64                       ;  msbs: dst=1 src0=0 src1=0 src2=0
	v_mul_i32_i24_e32 v54 /*v310*/, v119, v194
	v_lshrrev_b32_e32 v1 /*v257*/, 28, v81
	s_set_vgpr_msb 0                        ;  msbs: dst=0 src0=0 src1=0 src2=0
	v_mul_i32_i24_e32 v81, v254, v247
	s_set_vgpr_msb 0x41                     ;  msbs: dst=1 src0=1 src1=0 src2=0
	v_mul_i32_i24_e32 v55 /*v311*/, v9 /*v265*/, v203
	s_wait_dscnt 0x3
	s_set_vgpr_msb 4                        ;  msbs: dst=0 src0=0 src1=1 src2=0
	v_lshrrev_b32_e32 v139, 28, v13 /*v269*/
	v_bfe_u32 v204, v120, 8, 4
	s_set_vgpr_msb 64                       ;  msbs: dst=1 src0=0 src1=0 src2=0
	ds_load_2addr_b32 v[20:21] /*v[276:277]*/, v251 offset1:1
	s_set_vgpr_msb 0                        ;  msbs: dst=0 src0=0 src1=0 src2=0
	v_add_nc_u32_e32 v251, 0x414, v85
	v_dual_lshrrev_b32 v210, 28, v120 :: v_dual_bitop2_b32 v205, 15, v120 bitop3:0x40
	s_wait_dscnt 0x3
	v_bfe_u32 v140, v154, 8, 4
	s_wait_dscnt 0x1
	s_set_vgpr_msb 4                        ;  msbs: dst=0 src0=0 src1=1 src2=0
	v_dual_lshrrev_b32 v93, 4, v14 /*v270*/ :: v_dual_lshrrev_b32 v102, 4, v15 /*v271*/
	s_set_vgpr_msb 0                        ;  msbs: dst=0 src0=0 src1=0 src2=0
	v_and_b32_e32 v141, 15, v154
	v_bfe_u32 v142, v154, 24, 4
	v_bfe_u32 v143, v154, 16, 4
	v_lshrrev_b16 v93, 8, v93
	s_set_vgpr_msb 64                       ;  msbs: dst=1 src0=0 src1=0 src2=0
	v_ashrrev_i32_e32 v0 /*v256*/, 24, v99
	s_set_vgpr_msb 4                        ;  msbs: dst=0 src0=0 src1=1 src2=0
	v_lshrrev_b32_e32 v99, 28, v14 /*v270*/
	s_set_vgpr_msb 0                        ;  msbs: dst=0 src0=0 src1=0 src2=0
	v_lshrrev_b16 v102, 8, v102
	v_bfe_u32 v144, v154, 4, 4
	v_bfe_u32 v145, v154, 12, 4
	v_lshrrev_b32_e32 v146, 28, v154
	v_bfe_u32 v147, v154, 20, 4
	s_set_vgpr_msb 64                       ;  msbs: dst=1 src0=0 src1=0 src2=0
	v_and_b32_e32 v93 /*v349*/, 15, v102
	s_set_vgpr_msb 0                        ;  msbs: dst=0 src0=0 src1=0 src2=0
	v_add_nc_u32_e32 v102, 0x3188, v97
	v_add_nc_u32_e32 v154, 0x400, v85
	s_set_vgpr_msb 64                       ;  msbs: dst=1 src0=0 src1=0 src2=0
	v_mul_i32_i24_e32 v56 /*v312*/, v122, v205
	v_mul_i32_i24_e32 v57 /*v313*/, v123, v204
	s_set_vgpr_msb 0                        ;  msbs: dst=0 src0=0 src1=0 src2=0
	v_bfe_u32 v206, v120, 24, 4
	s_set_vgpr_msb 64                       ;  msbs: dst=1 src0=0 src1=0 src2=0
	ds_load_2addr_b32 v[16:17] /*v[272:273]*/, v102 offset1:1
	ds_load_2addr_b32 v[18:19] /*v[274:275]*/, v154 offset0:4 offset1:7
	ds_load_2addr_b32 v[22:23] /*v[278:279]*/, v251 offset1:1
	ds_load_2addr_b32 v[24:25] /*v[280:281]*/, v154 offset1:3
	s_set_vgpr_msb 0                        ;  msbs: dst=0 src0=0 src1=0 src2=0
	v_bfe_u32 v251, v90, 24, 4
	v_bfe_u32 v207, v120, 16, 4
	s_set_vgpr_msb 0x41                     ;  msbs: dst=1 src0=1 src1=0 src2=0
	v_mul_i32_i24_e32 v58 /*v314*/, v8 /*v264*/, v206
	s_set_vgpr_msb 0                        ;  msbs: dst=0 src0=0 src1=0 src2=0
	v_bfe_u32 v208, v120, 4, 4
	v_bfe_u32 v209, v120, 12, 4
	v_mul_i32_i24_e32 v90, v251, v255
	s_set_vgpr_msb 64                       ;  msbs: dst=1 src0=0 src1=0 src2=0
	v_mul_i32_i24_e32 v59 /*v315*/, v124, v207
	s_set_vgpr_msb 0                        ;  msbs: dst=0 src0=0 src1=0 src2=0
	v_bfe_u32 v211, v120, 20, 4
	s_set_vgpr_msb 64                       ;  msbs: dst=1 src0=0 src1=0 src2=0
	v_mul_i32_i24_e32 v61 /*v317*/, v125, v208
	v_mul_i32_i24_e32 v60 /*v316*/, v126, v209
	s_set_vgpr_msb 0                        ;  msbs: dst=0 src0=0 src1=0 src2=0
	v_add3_u32 v81, v107, v81, v90
	s_set_vgpr_msb 1                        ;  msbs: dst=0 src0=1 src1=0 src2=0
	v_mul_i32_i24_e32 v120, v7 /*v263*/, v210
	s_set_vgpr_msb 64                       ;  msbs: dst=1 src0=0 src1=0 src2=0
	v_mul_i32_i24_e32 v62 /*v318*/, v127, v211
	s_set_vgpr_msb 1                        ;  msbs: dst=0 src0=1 src1=0 src2=0
	v_bfe_u32 v98, v12 /*v268*/, 8, 4
	s_set_vgpr_msb 0                        ;  msbs: dst=0 src0=0 src1=0 src2=0
	v_bfe_u32 v212, v121, 8, 4
	v_add3_u32 v81, v81, v153, v117
	s_set_vgpr_msb 1                        ;  msbs: dst=0 src0=1 src1=0 src2=0
	v_bfe_u32 v117, v12 /*v268*/, 24, 4
	s_set_vgpr_msb 0                        ;  msbs: dst=0 src0=0 src1=0 src2=0
	v_bfe_u32 v214, v121, 24, 4
	v_bfe_u32 v215, v121, 16, 4
	;; [unrolled: 1-line block ×3, first 2 shown]
	v_add3_u32 v81, v81, v248, v249
	v_bfe_u32 v248, v92, 24, 4
	v_bfe_u32 v249, v92, 16, 4
	;; [unrolled: 1-line block ×3, first 2 shown]
	s_set_vgpr_msb 1                        ;  msbs: dst=0 src0=1 src1=0 src2=0
	v_bfe_u32 v219, v12 /*v268*/, 20, 4
	s_set_vgpr_msb 0                        ;  msbs: dst=0 src0=0 src1=0 src2=0
	v_add3_u32 v81, v81, v252, v250
	v_mul_i32_i24_e32 v107, v248, v255
	v_mul_i32_i24_e32 v92, v249, v247
	s_set_vgpr_msb 4                        ;  msbs: dst=0 src0=0 src1=1 src2=0
	v_and_b32_e32 v250, 15, v12 /*v268*/
	s_set_vgpr_msb 1                        ;  msbs: dst=0 src0=1 src1=0 src2=0
	v_bfe_u32 v130, v12 /*v268*/, 4, 4
	v_bfe_u32 v220, v12 /*v268*/, 12, 4
	s_set_vgpr_msb 4                        ;  msbs: dst=0 src0=0 src1=1 src2=0
	v_dual_lshrrev_b32 v132, 28, v12 /*v268*/ :: v_dual_bitop2_b32 v133, 15, v13 /*v269*/ bitop3:0x40
	s_set_vgpr_msb 1                        ;  msbs: dst=0 src0=1 src1=0 src2=0
	v_add3_u32 v92, v43 /*v299*/, v92, v107
	s_set_vgpr_msb 16                       ;  msbs: dst=0 src0=0 src1=0 src2=1
	v_mul_i32_i24_e32 v107, v250, v106
	v_add3_u32 v81, v81, v253, v26 /*v282*/
	v_dual_lshrrev_b32 v252, 28, v121 :: v_dual_lshrrev_b32 v154, 28, v155
	s_set_vgpr_msb 20                       ;  msbs: dst=0 src0=0 src1=1 src2=1
	v_add3_u32 v92, v92, v45 /*v301*/, v44 /*v300*/
	v_bfe_u32 v253, v121, 20, 4
	s_set_vgpr_msb 0                        ;  msbs: dst=0 src0=0 src1=0 src2=0
	v_mad_i32_i24 v107, v98, v108, v107
	s_set_vgpr_msb 64                       ;  msbs: dst=1 src0=0 src1=0 src2=0
	v_mul_i32_i24_e32 v68 /*v324*/, v130, v110
	v_mul_i32_i24_e32 v69 /*v325*/, v220, v111
	s_set_vgpr_msb 20                       ;  msbs: dst=0 src0=0 src1=1 src2=1
	v_add3_u32 v92, v92, v46 /*v302*/, v47 /*v303*/
	s_set_vgpr_msb 64                       ;  msbs: dst=1 src0=0 src1=0 src2=0
	v_mul_i32_i24_e32 v70 /*v326*/, v219, v112
	s_set_vgpr_msb 0x44                     ;  msbs: dst=1 src0=0 src1=1 src2=0
	v_mul_i32_i24_e32 v71 /*v327*/, v132, v11 /*v267*/
	s_set_vgpr_msb 1                        ;  msbs: dst=0 src0=1 src1=0 src2=0
	v_bfe_u32 v134, v13 /*v269*/, 8, 4
	s_set_vgpr_msb 64                       ;  msbs: dst=1 src0=0 src1=0 src2=0
	v_mul_i32_i24_e32 v72 /*v328*/, v113, v133
	s_set_vgpr_msb 20                       ;  msbs: dst=0 src0=0 src1=1 src2=1
	v_add3_u32 v92, v92, v49 /*v305*/, v48 /*v304*/
	s_set_vgpr_msb 1                        ;  msbs: dst=0 src0=1 src1=0 src2=0
	v_bfe_u32 v135, v13 /*v269*/, 16, 4
	v_bfe_u32 v136, v13 /*v269*/, 24, 4
	s_set_vgpr_msb 64                       ;  msbs: dst=1 src0=0 src1=0 src2=0
	v_mul_i32_i24_e32 v73 /*v329*/, v114, v134
	s_set_vgpr_msb 1                        ;  msbs: dst=0 src0=1 src1=0 src2=0
	v_bfe_u32 v137, v13 /*v269*/, 4, 4
	s_set_vgpr_msb 20                       ;  msbs: dst=0 src0=0 src1=1 src2=1
	v_add3_u32 v92, v92, v50 /*v306*/, v51 /*v307*/
	s_set_vgpr_msb 64                       ;  msbs: dst=1 src0=0 src1=0 src2=0
	v_mul_i32_i24_e32 v74 /*v330*/, v115, v135
	s_set_vgpr_msb 0x41                     ;  msbs: dst=1 src0=1 src1=0 src2=0
	v_mul_i32_i24_e32 v75 /*v331*/, v10 /*v266*/, v136
	s_set_vgpr_msb 1                        ;  msbs: dst=0 src0=1 src1=0 src2=0
	v_bfe_u32 v138, v13 /*v269*/, 12, 4
	v_bfe_u32 v131, v13 /*v269*/, 20, 4
	s_set_vgpr_msb 20                       ;  msbs: dst=0 src0=0 src1=1 src2=1
	v_add3_u32 v92, v92, v52 /*v308*/, v53 /*v309*/
	s_set_vgpr_msb 64                       ;  msbs: dst=1 src0=0 src1=0 src2=0
	v_mul_i32_i24_e32 v76 /*v332*/, v116, v137
	s_set_vgpr_msb 0x41                     ;  msbs: dst=1 src0=1 src1=0 src2=0
	v_mul_i32_i24_e32 v13 /*v269*/, v9 /*v265*/, v139
	s_set_vgpr_msb 64                       ;  msbs: dst=1 src0=0 src1=0 src2=0
	v_mul_i32_i24_e32 v77 /*v333*/, v118, v138
	v_mul_i32_i24_e32 v78 /*v334*/, v119, v131
	s_set_vgpr_msb 20                       ;  msbs: dst=0 src0=0 src1=1 src2=1
	v_add3_u32 v92, v92, v54 /*v310*/, v55 /*v311*/
	s_set_vgpr_msb 64                       ;  msbs: dst=1 src0=0 src1=0 src2=0
	v_mul_i32_i24_e32 v80 /*v336*/, v123, v140
	s_set_vgpr_msb 20                       ;  msbs: dst=0 src0=0 src1=1 src2=1
	v_add3_u32 v81, v81, v27 /*v283*/, v28 /*v284*/
	s_set_vgpr_msb 64                       ;  msbs: dst=1 src0=0 src1=0 src2=0
	v_cvt_f32_f16_e64 v27 /*v283*/, v89
	s_set_vgpr_msb 0                        ;  msbs: dst=0 src0=0 src1=0 src2=0
	v_lshrrev_b32_e32 v89, 16, v89
	s_set_vgpr_msb 20                       ;  msbs: dst=0 src0=0 src1=1 src2=1
	v_add3_u32 v92, v92, v57 /*v313*/, v56 /*v312*/
	s_set_vgpr_msb 64                       ;  msbs: dst=1 src0=0 src1=0 src2=0
	v_mul_i32_i24_e32 v79 /*v335*/, v122, v141
	s_set_vgpr_msb 0x41                     ;  msbs: dst=1 src0=1 src1=0 src2=0
	v_mul_i32_i24_e32 v81 /*v337*/, v8 /*v264*/, v142
	s_set_vgpr_msb 64                       ;  msbs: dst=1 src0=0 src1=0 src2=0
	v_mul_i32_i24_e32 v82 /*v338*/, v124, v143
	v_mul_i32_i24_e32 v83 /*v339*/, v126, v145
	s_set_vgpr_msb 20                       ;  msbs: dst=0 src0=0 src1=1 src2=1
	v_add3_u32 v92, v92, v59 /*v315*/, v58 /*v314*/
	s_set_vgpr_msb 64                       ;  msbs: dst=1 src0=0 src1=0 src2=0
	v_mul_i32_i24_e32 v84 /*v340*/, v125, v144
	s_set_vgpr_msb 0x41                     ;  msbs: dst=1 src0=1 src1=0 src2=0
	v_mul_i32_i24_e32 v85 /*v341*/, v7 /*v263*/, v146
	s_set_vgpr_msb 64                       ;  msbs: dst=1 src0=0 src1=0 src2=0
	v_mul_i32_i24_e32 v86 /*v342*/, v127, v147
	s_set_vgpr_msb 20                       ;  msbs: dst=0 src0=0 src1=1 src2=1
	v_bfe_u32 v148, v155, 8, 4
	v_add3_u32 v92, v92, v61 /*v317*/, v60 /*v316*/
	s_set_vgpr_msb 0                        ;  msbs: dst=0 src0=0 src1=0 src2=0
	v_and_b32_e32 v149, 15, v155
	v_bfe_u32 v150, v155, 24, 4
	v_bfe_u32 v151, v155, 16, 4
	s_set_vgpr_msb 64                       ;  msbs: dst=1 src0=0 src1=0 src2=0
	v_mul_i32_i24_e32 v88 /*v344*/, v129, v148
	s_set_vgpr_msb 4                        ;  msbs: dst=0 src0=0 src1=1 src2=0
	v_add3_u32 v92, v92, v62 /*v318*/, v120
	s_set_vgpr_msb 1                        ;  msbs: dst=0 src0=1 src1=0 src2=0
	v_bfe_u32 v120, v12 /*v268*/, 16, 4
	s_set_vgpr_msb 64                       ;  msbs: dst=1 src0=0 src1=0 src2=0
	v_mul_i32_i24_e32 v12 /*v268*/, v117, v255
	s_wait_dscnt 0x3
	s_set_vgpr_msb 4                        ;  msbs: dst=0 src0=0 src1=1 src2=0
	v_lshrrev_b32_e32 v104, 28, v16 /*v272*/
	s_set_vgpr_msb 64                       ;  msbs: dst=1 src0=0 src1=0 src2=0
	v_cvt_f32_f16_e64 v26 /*v282*/, v88
	s_set_vgpr_msb 0                        ;  msbs: dst=0 src0=0 src1=0 src2=0
	v_lshrrev_b32_e32 v88, 16, v88
	v_mul_i32_i24_e32 v121, v120, v247
	s_set_vgpr_msb 64                       ;  msbs: dst=1 src0=0 src1=0 src2=0
	v_mul_i32_i24_e32 v87 /*v343*/, v128, v149
	s_set_vgpr_msb 0x41                     ;  msbs: dst=1 src0=1 src1=0 src2=0
	v_mul_i32_i24_e32 v89 /*v345*/, v6 /*v262*/, v150
	v_mul_i32_i24_e32 v90 /*v346*/, v5 /*v261*/, v151
	v_and_b32_e32 v91 /*v347*/, 15, v93
	s_set_vgpr_msb 16                       ;  msbs: dst=0 src0=0 src1=0 src2=1
	v_add3_u32 v107, v107, v121, v12 /*v268*/
	s_set_vgpr_msb 4                        ;  msbs: dst=0 src0=0 src1=1 src2=0
	v_and_b32_e32 v121, 15, v14 /*v270*/
	s_set_vgpr_msb 1                        ;  msbs: dst=0 src0=1 src1=0 src2=0
	v_bfe_u32 v93, v14 /*v270*/, 8, 4
	s_wait_dscnt 0x2
	s_set_vgpr_msb 0x44                     ;  msbs: dst=1 src0=0 src1=1 src2=0
	v_lshrrev_b16 v97 /*v353*/, 8, v18 /*v274*/
	s_set_vgpr_msb 20                       ;  msbs: dst=0 src0=0 src1=1 src2=1
	v_bfe_u32 v153, v155, 4, 4
	v_add3_u32 v107, v107, v69 /*v325*/, v68 /*v324*/
	s_set_vgpr_msb 0                        ;  msbs: dst=0 src0=0 src1=0 src2=0
	v_mul_i32_i24_e32 v106, v121, v106
	s_set_vgpr_msb 64                       ;  msbs: dst=1 src0=0 src1=0 src2=0
	v_mul_i32_i24_e32 v63 /*v319*/, v128, v213
	v_mul_i32_i24_e32 v64 /*v320*/, v129, v212
	;; [unrolled: 1-line block ×3, first 2 shown]
	s_set_vgpr_msb 20                       ;  msbs: dst=0 src0=0 src1=1 src2=1
	v_add3_u32 v107, v107, v70 /*v326*/, v71 /*v327*/
	s_set_vgpr_msb 64                       ;  msbs: dst=1 src0=0 src1=0 src2=0
	v_mad_i32_i24 v57 /*v313*/, v93, v108, v106
	s_set_vgpr_msb 1                        ;  msbs: dst=0 src0=1 src1=0 src2=0
	v_bfe_u32 v106, v14 /*v270*/, 4, 4
	s_set_vgpr_msb 64                       ;  msbs: dst=1 src0=0 src1=0 src2=0
	v_mul_i32_i24_e32 v47 /*v303*/, v109, v153
	s_set_vgpr_msb 1                        ;  msbs: dst=0 src0=1 src1=0 src2=0
	v_bfe_u32 v108, v14 /*v270*/, 20, 4
	s_set_vgpr_msb 20                       ;  msbs: dst=0 src0=0 src1=1 src2=1
	v_add3_u32 v107, v107, v73 /*v329*/, v72 /*v328*/
	s_set_vgpr_msb 0x41                     ;  msbs: dst=1 src0=1 src1=0 src2=0
	v_mul_i32_i24_e32 v65 /*v321*/, v6 /*v262*/, v214
	s_set_vgpr_msb 64                       ;  msbs: dst=1 src0=0 src1=0 src2=0
	v_mul_i32_i24_e32 v60 /*v316*/, v106, v110
	s_set_vgpr_msb 1                        ;  msbs: dst=0 src0=1 src1=0 src2=0
	v_bfe_i32 v110, v97 /*v353*/, 0, 8
	s_set_vgpr_msb 0x41                     ;  msbs: dst=1 src0=1 src1=0 src2=0
	v_mul_i32_i24_e32 v66 /*v322*/, v5 /*v261*/, v215
	s_set_vgpr_msb 20                       ;  msbs: dst=0 src0=0 src1=1 src2=1
	v_add3_u32 v107, v107, v74 /*v330*/, v75 /*v331*/
	v_add3_u32 v92, v92, v64 /*v320*/, v63 /*v319*/
	s_set_vgpr_msb 64                       ;  msbs: dst=1 src0=0 src1=0 src2=0
	v_mul_i32_i24_e32 v62 /*v318*/, v108, v112
	s_set_vgpr_msb 0x44                     ;  msbs: dst=1 src0=0 src1=1 src2=0
	v_ashrrev_i32_e32 v63 /*v319*/, 24, v18 /*v274*/
	s_set_vgpr_msb 0                        ;  msbs: dst=0 src0=0 src1=0 src2=0
	v_mul_i32_i24_e32 v112, v110, v224
	s_set_vgpr_msb 20                       ;  msbs: dst=0 src0=0 src1=1 src2=1
	v_add3_u32 v107, v107, v76 /*v332*/, v77 /*v333*/
	v_add3_u32 v92, v92, v66 /*v322*/, v65 /*v321*/
	v_and_b32_e32 v101, 0xf0f0f0f, v15 /*v271*/
	s_set_vgpr_msb 0x41                     ;  msbs: dst=1 src0=1 src1=0 src2=0
	v_mul_i32_i24_e32 v65 /*v321*/, v63 /*v319*/, v225
	v_mul_i32_i24_e32 v66 /*v322*/, v63 /*v319*/, v196
	s_set_vgpr_msb 20                       ;  msbs: dst=0 src0=0 src1=1 src2=1
	v_add3_u32 v107, v107, v78 /*v334*/, v13 /*v269*/
	s_set_vgpr_msb 0x41                     ;  msbs: dst=1 src0=1 src1=0 src2=0
	v_mul_i32_i24_e32 v68 /*v324*/, v63 /*v319*/, v132
	v_lshrrev_b16 v92 /*v348*/, 8, v101
	s_set_vgpr_msb 1                        ;  msbs: dst=0 src0=1 src1=0 src2=0
	v_bfe_u32 v100, v15 /*v271*/, 24, 4
	s_set_vgpr_msb 20                       ;  msbs: dst=0 src0=0 src1=1 src2=1
	v_lshrrev_b32_e32 v101, 28, v15 /*v271*/
	v_add3_u32 v107, v107, v80 /*v336*/, v79 /*v335*/
	v_and_b32_e32 v102, 0xf0f0f0f, v16 /*v272*/
	s_set_vgpr_msb 1                        ;  msbs: dst=0 src0=1 src1=0 src2=0
	v_bfe_u32 v103, v16 /*v272*/, 24, 4
	s_set_vgpr_msb 20                       ;  msbs: dst=0 src0=0 src1=1 src2=1
	v_add3_u32 v81, v81, v29 /*v285*/, v30 /*v286*/
	v_and_b32_e32 v105, 0xf0f0f0f, v17 /*v273*/
	v_add3_u32 v107, v107, v82 /*v338*/, v81 /*v337*/
	s_set_vgpr_msb 64                       ;  msbs: dst=1 src0=0 src1=0 src2=0
	v_lshrrev_b16 v94 /*v350*/, 8, v102
	s_set_vgpr_msb 20                       ;  msbs: dst=0 src0=0 src1=1 src2=1
	v_lshrrev_b32_e32 v102, 4, v16 /*v272*/
	v_add3_u32 v81, v81, v32 /*v288*/, v31 /*v287*/
	s_set_vgpr_msb 64                       ;  msbs: dst=1 src0=0 src1=0 src2=0
	v_lshrrev_b16 v96 /*v352*/, 8, v105
	s_set_vgpr_msb 20                       ;  msbs: dst=0 src0=0 src1=1 src2=1
	v_add3_u32 v107, v107, v84 /*v340*/, v83 /*v339*/
	s_wait_dscnt 0x0
	s_set_vgpr_msb 0x41                     ;  msbs: dst=1 src0=1 src1=0 src2=0
	v_bfe_i32 v98 /*v354*/, v24 /*v280*/, 0, 8
	s_set_vgpr_msb 0                        ;  msbs: dst=0 src0=0 src1=0 src2=0
	v_lshrrev_b16 v102, 8, v102
	s_set_vgpr_msb 20                       ;  msbs: dst=0 src0=0 src1=1 src2=1
	v_add3_u32 v81, v81, v34 /*v290*/, v33 /*v289*/
	s_set_vgpr_msb 0x41                     ;  msbs: dst=1 src0=1 src1=0 src2=0
	v_bfe_i32 v99 /*v355*/, v24 /*v280*/, 8, 8
	s_set_vgpr_msb 20                       ;  msbs: dst=0 src0=0 src1=1 src2=1
	v_add3_u32 v107, v107, v86 /*v342*/, v85 /*v341*/
	s_set_vgpr_msb 0x41                     ;  msbs: dst=1 src0=1 src1=0 src2=0
	v_mul_i32_i24_e32 v104 /*v360*/, v98 /*v354*/, v222
	v_and_b32_e32 v95 /*v351*/, 15, v102
	s_set_vgpr_msb 20                       ;  msbs: dst=0 src0=0 src1=1 src2=1
	v_add3_u32 v81, v81, v36 /*v292*/, v35 /*v291*/
	s_set_vgpr_msb 0x41                     ;  msbs: dst=1 src0=1 src1=0 src2=0
	v_mul_i32_i24_e32 v35 /*v291*/, v98 /*v354*/, v193
	s_set_vgpr_msb 20                       ;  msbs: dst=0 src0=0 src1=1 src2=1
	v_add3_u32 v107, v107, v88 /*v344*/, v87 /*v343*/
	s_set_vgpr_msb 0x41                     ;  msbs: dst=1 src0=1 src1=0 src2=0
	v_mul_i32_i24_e32 v59 /*v315*/, v98 /*v354*/, v121
	v_bfe_i32 v100 /*v356*/, v24 /*v280*/, 16, 8
	s_set_vgpr_msb 0x44                     ;  msbs: dst=1 src0=0 src1=1 src2=0
	v_ashrrev_i32_e32 v24 /*v280*/, 24, v24 /*v280*/
	s_set_vgpr_msb 0x41                     ;  msbs: dst=1 src0=1 src1=0 src2=0
	v_bfe_i32 v101 /*v357*/, v19 /*v275*/, 0, 8
	s_set_vgpr_msb 0x54                     ;  msbs: dst=1 src0=0 src1=1 src2=1
	v_add3_u32 v12 /*v268*/, v107, v90 /*v346*/, v89 /*v345*/
	s_set_vgpr_msb 1                        ;  msbs: dst=0 src0=1 src1=0 src2=0
	v_bfe_u32 v107, v17 /*v273*/, 4, 4
	s_set_vgpr_msb 0x41                     ;  msbs: dst=1 src0=1 src1=0 src2=0
	v_bfe_i32 v102 /*v358*/, v19 /*v275*/, 8, 8
	v_bfe_i32 v103 /*v359*/, v19 /*v275*/, 16, 8
	s_set_vgpr_msb 0x44                     ;  msbs: dst=1 src0=0 src1=1 src2=0
	v_ashrrev_i32_e32 v19 /*v275*/, 24, v19 /*v275*/
	s_set_vgpr_msb 20                       ;  msbs: dst=0 src0=0 src1=1 src2=1
	v_add3_u32 v81, v81, v38 /*v294*/, v37 /*v293*/
	s_set_vgpr_msb 64                       ;  msbs: dst=1 src0=0 src1=0 src2=0
	v_mul_i32_i24_e32 v58 /*v314*/, v109, v107
	s_set_vgpr_msb 4                        ;  msbs: dst=0 src0=0 src1=1 src2=0
	v_and_b32_e32 v109, 0xffff, v91 /*v347*/
	s_set_vgpr_msb 0x41                     ;  msbs: dst=1 src0=1 src1=0 src2=0
	v_mul_i32_i24_e32 v41 /*v297*/, v6 /*v262*/, v243
	v_mul_i32_i24_e32 v42 /*v298*/, v5 /*v261*/, v244
	;; [unrolled: 1-line block ×3, first 2 shown]
	s_set_vgpr_msb 20                       ;  msbs: dst=0 src0=0 src1=1 src2=1
	v_add3_u32 v81, v81, v40 /*v296*/, v39 /*v295*/
	s_set_vgpr_msb 64                       ;  msbs: dst=1 src0=0 src1=0 src2=0
	v_mul_i32_i24_e32 v61 /*v317*/, v109, v111
	s_set_vgpr_msb 1                        ;  msbs: dst=0 src0=1 src1=0 src2=0
	v_bfe_i32 v111, v18 /*v274*/, 0, 8
	s_set_vgpr_msb 0x41                     ;  msbs: dst=1 src0=1 src1=0 src2=0
	v_bfe_i32 v18 /*v274*/, v18 /*v274*/, 16, 8
	s_set_vgpr_msb 64                       ;  msbs: dst=1 src0=0 src1=0 src2=0
	v_mul_i32_i24_e32 v69 /*v325*/, v110, v109
	s_set_vgpr_msb 0x45                     ;  msbs: dst=1 src0=1 src1=1 src2=0
	v_mul_i32_i24_e32 v34 /*v290*/, v19 /*v275*/, v1 /*v257*/
	s_set_vgpr_msb 0x41                     ;  msbs: dst=1 src0=1 src1=0 src2=0
	v_mul_i32_i24_e32 v106 /*v362*/, v102 /*v358*/, v246
	s_set_vgpr_msb 0                        ;  msbs: dst=0 src0=0 src1=0 src2=0
	v_mad_i32_i24 v112, v111, v218, v112
	s_set_vgpr_msb 0x41                     ;  msbs: dst=1 src0=1 src1=0 src2=0
	v_mul_i32_i24_e32 v64 /*v320*/, v18 /*v274*/, v221
	s_set_vgpr_msb 20                       ;  msbs: dst=0 src0=0 src1=1 src2=1
	v_add3_u32 v81, v81, v42 /*v298*/, v41 /*v297*/
	s_set_vgpr_msb 0x41                     ;  msbs: dst=1 src0=1 src1=0 src2=0
	v_mul_i32_i24_e32 v28 /*v284*/, v4 /*v260*/, v246
	s_set_vgpr_msb 0x45                     ;  msbs: dst=1 src0=1 src1=1 src2=0
	v_mul_i32_i24_e32 v33 /*v289*/, v103 /*v359*/, v2 /*v258*/
	s_set_vgpr_msb 1                        ;  msbs: dst=0 src0=1 src1=0 src2=0
	v_mul_i32_i24_e32 v90, v99 /*v355*/, v189
	s_set_vgpr_msb 0x54                     ;  msbs: dst=1 src0=0 src1=1 src2=1
	v_add3_u32 v64 /*v320*/, v112, v64 /*v320*/, v65 /*v321*/
	s_set_vgpr_msb 0                        ;  msbs: dst=0 src0=0 src1=0 src2=0
	v_mul_i32_i24_e32 v112, v110, v195
	s_set_vgpr_msb 0x41                     ;  msbs: dst=1 src0=1 src1=0 src2=0
	v_mul_i32_i24_e32 v65 /*v321*/, v18 /*v274*/, v192
	s_set_vgpr_msb 0x45                     ;  msbs: dst=1 src0=1 src1=1 src2=0
	v_mul_i32_i24_e32 v29 /*v285*/, v3 /*v259*/, v2 /*v258*/
	v_mul_i32_i24_e32 v31 /*v287*/, v0 /*v256*/, v1 /*v257*/
	s_set_vgpr_msb 16                       ;  msbs: dst=0 src0=0 src1=0 src2=1
	v_add3_u32 v81, v81, v91, v28 /*v284*/
	s_set_vgpr_msb 0                        ;  msbs: dst=0 src0=0 src1=0 src2=0
	v_mad_i32_i24 v112, v111, v191, v112
	s_set_vgpr_msb 0x41                     ;  msbs: dst=1 src0=1 src1=0 src2=0
	v_mul_i32_i24_e32 v30 /*v286*/, v100 /*v356*/, v254
	v_mul_i32_i24_e32 v32 /*v288*/, v24 /*v280*/, v251
	;; [unrolled: 1-line block ×3, first 2 shown]
	s_set_vgpr_msb 20                       ;  msbs: dst=0 src0=0 src1=1 src2=1
	v_add3_u32 v81, v81, v29 /*v285*/, v31 /*v287*/
	s_set_vgpr_msb 0x54                     ;  msbs: dst=1 src0=0 src1=1 src2=1
	v_add3_u32 v65 /*v321*/, v112, v65 /*v321*/, v66 /*v322*/
	s_set_vgpr_msb 0                        ;  msbs: dst=0 src0=0 src1=0 src2=0
	v_mul_i32_i24_e32 v112, v110, v220
	s_set_vgpr_msb 0x41                     ;  msbs: dst=1 src0=1 src1=0 src2=0
	v_mul_i32_i24_e32 v66 /*v322*/, v18 /*v274*/, v219
	s_set_vgpr_msb 1                        ;  msbs: dst=0 src0=1 src1=0 src2=0
	v_bfe_u32 v110, v15 /*v271*/, 16, 4
	s_set_vgpr_msb 0x41                     ;  msbs: dst=1 src0=1 src1=0 src2=0
	v_mul_i32_i24_e32 v45 /*v301*/, v19 /*v275*/, v252
	v_mul_i32_i24_e32 v37 /*v293*/, v102 /*v358*/, v217
	s_set_vgpr_msb 0                        ;  msbs: dst=0 src0=0 src1=0 src2=0
	v_mad_i32_i24 v112, v111, v130, v112
	s_set_vgpr_msb 0x41                     ;  msbs: dst=1 src0=1 src1=0 src2=0
	v_mul_i32_i24_e32 v44 /*v300*/, v103 /*v359*/, v253
	s_set_vgpr_msb 64                       ;  msbs: dst=1 src0=0 src1=0 src2=0
	v_mul_i32_i24_e32 v72 /*v328*/, v115, v110
	s_set_vgpr_msb 1                        ;  msbs: dst=0 src0=1 src1=0 src2=0
	v_bfe_i32 v115, v20 /*v276*/, 8, 8
	s_set_vgpr_msb 0                        ;  msbs: dst=0 src0=0 src1=0 src2=0
	v_cvt_f32_f16_e32 v89, v89
	s_set_vgpr_msb 0x54                     ;  msbs: dst=1 src0=0 src1=1 src2=1
	v_add3_u32 v66 /*v322*/, v112, v66 /*v322*/, v68 /*v324*/
	s_set_vgpr_msb 4                        ;  msbs: dst=0 src0=0 src1=1 src2=0
	v_and_b32_e32 v112, 15, v15 /*v271*/
	s_set_vgpr_msb 64                       ;  msbs: dst=1 src0=0 src1=0 src2=0
	v_mul_i32_i24_e32 v68 /*v324*/, v111, v106
	s_set_vgpr_msb 4                        ;  msbs: dst=0 src0=0 src1=1 src2=0
	v_and_b32_e32 v111, 0xffff, v92 /*v348*/
	s_set_vgpr_msb 64                       ;  msbs: dst=1 src0=0 src1=0 src2=0
	v_mul_i32_i24_e32 v74 /*v330*/, v115, v227
	v_mul_i32_i24_e32 v78 /*v334*/, v115, v198
	;; [unrolled: 1-line block ×3, first 2 shown]
	s_set_vgpr_msb 4                        ;  msbs: dst=0 src0=0 src1=1 src2=0
	v_ashrrev_i32_e32 v113, 24, v20 /*v276*/
	s_set_vgpr_msb 64                       ;  msbs: dst=1 src0=0 src1=0 src2=0
	v_mul_i32_i24_e32 v71 /*v327*/, v114, v111
	s_set_vgpr_msb 1                        ;  msbs: dst=0 src0=1 src1=0 src2=0
	v_bfe_i32 v114, v20 /*v276*/, 16, 8
	s_set_vgpr_msb 0x41                     ;  msbs: dst=1 src0=1 src1=0 src2=0
	v_bfe_i32 v20 /*v276*/, v20 /*v276*/, 0, 8
	s_set_vgpr_msb 64                       ;  msbs: dst=1 src0=0 src1=0 src2=0
	v_mul_i32_i24_e32 v82 /*v338*/, v115, v134
	v_mul_i32_i24_e32 v76 /*v332*/, v113, v229
	;; [unrolled: 1-line block ×4, first 2 shown]
	s_set_vgpr_msb 0x41                     ;  msbs: dst=1 src0=1 src1=0 src2=0
	v_mul_i32_i24_e32 v73 /*v329*/, v20 /*v276*/, v226
	v_mul_i32_i24_e32 v77 /*v333*/, v20 /*v276*/, v197
	s_set_vgpr_msb 0x55                     ;  msbs: dst=1 src0=1 src1=1 src2=1
	v_add3_u32 v64 /*v320*/, v64 /*v320*/, v76 /*v332*/, v74 /*v330*/
	s_set_vgpr_msb 64                       ;  msbs: dst=1 src0=0 src1=0 src2=0
	v_mul_i32_i24_e32 v79 /*v335*/, v114, v199
	v_mul_i32_i24_e32 v83 /*v339*/, v114, v135
	;; [unrolled: 1-line block ×3, first 2 shown]
	s_set_vgpr_msb 0x55                     ;  msbs: dst=1 src0=1 src1=1 src2=1
	v_add3_u32 v65 /*v321*/, v65 /*v321*/, v80 /*v336*/, v78 /*v334*/
	v_add3_u32 v64 /*v320*/, v64 /*v320*/, v73 /*v329*/, v75 /*v331*/
	s_set_vgpr_msb 64                       ;  msbs: dst=1 src0=0 src1=0 src2=0
	v_mul_i32_i24_e32 v73 /*v329*/, v115, v111
	v_mul_i32_i24_e32 v74 /*v330*/, v114, v110
	v_mul_i32_i24_e32 v75 /*v331*/, v113, v100
	s_set_vgpr_msb 1                        ;  msbs: dst=0 src0=1 src1=0 src2=0
	v_bfe_u32 v113, v15 /*v271*/, 20, 4
	s_set_vgpr_msb 4                        ;  msbs: dst=0 src0=0 src1=1 src2=0
	v_and_b32_e32 v114, 0xffff, v93 /*v349*/
	s_set_vgpr_msb 1                        ;  msbs: dst=0 src0=1 src1=0 src2=0
	v_bfe_u32 v115, v15 /*v271*/, 4, 4
	s_set_vgpr_msb 0x41                     ;  msbs: dst=1 src0=1 src1=0 src2=0
	v_mul_i32_i24_e32 v81 /*v337*/, v20 /*v276*/, v133
	s_set_vgpr_msb 0x55                     ;  msbs: dst=1 src0=1 src1=1 src2=1
	v_add3_u32 v65 /*v321*/, v65 /*v321*/, v77 /*v333*/, v79 /*v335*/
	v_add3_u32 v66 /*v322*/, v66 /*v322*/, v84 /*v340*/, v82 /*v338*/
	s_set_vgpr_msb 64                       ;  msbs: dst=1 src0=0 src1=0 src2=0
	v_mul_i32_i24_e32 v76 /*v332*/, v118, v114
	v_mul_i32_i24_e32 v15 /*v271*/, v116, v115
	;; [unrolled: 1-line block ×3, first 2 shown]
	s_set_vgpr_msb 4                        ;  msbs: dst=0 src0=0 src1=1 src2=0
	v_ashrrev_i32_e32 v116, 24, v22 /*v278*/
	s_set_vgpr_msb 1                        ;  msbs: dst=0 src0=1 src1=0 src2=0
	v_bfe_i32 v118, v22 /*v278*/, 16, 8
	v_bfe_i32 v119, v22 /*v278*/, 8, 8
	s_set_vgpr_msb 0x55                     ;  msbs: dst=1 src0=1 src1=1 src2=1
	v_bfe_i32 v22 /*v278*/, v22 /*v278*/, 0, 8
	v_add3_u32 v66 /*v322*/, v66 /*v322*/, v81 /*v337*/, v83 /*v339*/
	s_set_vgpr_msb 64                       ;  msbs: dst=1 src0=0 src1=0 src2=0
	v_mul_i32_i24_e32 v81 /*v337*/, v116, v232
	v_mul_i32_i24_e32 v80 /*v336*/, v118, v223
	;; [unrolled: 1-line block ×3, first 2 shown]
	s_set_vgpr_msb 0x41                     ;  msbs: dst=1 src0=1 src1=0 src2=0
	v_mul_i32_i24_e32 v78 /*v334*/, v22 /*v278*/, v230
	v_mul_i32_i24_e32 v82 /*v338*/, v22 /*v278*/, v201
	s_set_vgpr_msb 64                       ;  msbs: dst=1 src0=0 src1=0 src2=0
	v_mul_i32_i24_e32 v85 /*v341*/, v116, v203
	v_mul_i32_i24_e32 v83 /*v339*/, v119, v202
	;; [unrolled: 1-line block ×3, first 2 shown]
	s_set_vgpr_msb 0x55                     ;  msbs: dst=1 src0=1 src1=1 src2=1
	v_add3_u32 v64 /*v320*/, v64 /*v320*/, v81 /*v337*/, v78 /*v334*/
	s_set_vgpr_msb 0x41                     ;  msbs: dst=1 src0=1 src1=0 src2=0
	v_mul_i32_i24_e32 v86 /*v342*/, v22 /*v278*/, v137
	s_set_vgpr_msb 64                       ;  msbs: dst=1 src0=0 src1=0 src2=0
	v_mul_i32_i24_e32 v87 /*v343*/, v119, v138
	v_mul_i32_i24_e32 v89 /*v345*/, v116, v139
	s_set_vgpr_msb 0x55                     ;  msbs: dst=1 src0=1 src1=1 src2=1
	v_add3_u32 v65 /*v321*/, v65 /*v321*/, v85 /*v341*/, v82 /*v338*/
	v_add3_u32 v64 /*v320*/, v64 /*v320*/, v79 /*v335*/, v80 /*v336*/
	s_set_vgpr_msb 64                       ;  msbs: dst=1 src0=0 src1=0 src2=0
	v_mul_i32_i24_e32 v78 /*v334*/, v119, v114
	v_mul_i32_i24_e32 v80 /*v336*/, v116, v101
	s_set_vgpr_msb 1                        ;  msbs: dst=0 src0=1 src1=0 src2=0
	v_bfe_u32 v116, v16 /*v272*/, 16, 4
	s_set_vgpr_msb 4                        ;  msbs: dst=0 src0=0 src1=1 src2=0
	v_and_b32_e32 v119, 15, v16 /*v272*/
	s_set_vgpr_msb 64                       ;  msbs: dst=1 src0=0 src1=0 src2=0
	v_mul_i32_i24_e32 v88 /*v344*/, v118, v131
	s_set_vgpr_msb 0x55                     ;  msbs: dst=1 src0=1 src1=1 src2=1
	v_add3_u32 v65 /*v321*/, v65 /*v321*/, v83 /*v339*/, v84 /*v340*/
	v_add3_u32 v66 /*v322*/, v66 /*v322*/, v89 /*v345*/, v86 /*v342*/
	s_set_vgpr_msb 64                       ;  msbs: dst=1 src0=0 src1=0 src2=0
	v_mul_i32_i24_e32 v79 /*v335*/, v118, v113
	s_set_vgpr_msb 4                        ;  msbs: dst=0 src0=0 src1=1 src2=0
	v_and_b32_e32 v118, 0xffff, v94 /*v350*/
	s_set_vgpr_msb 64                       ;  msbs: dst=1 src0=0 src1=0 src2=0
	v_mul_i32_i24_e32 v81 /*v337*/, v122, v119
	v_mul_i32_i24_e32 v83 /*v339*/, v124, v116
	s_set_vgpr_msb 4                        ;  msbs: dst=0 src0=0 src1=1 src2=0
	v_ashrrev_i32_e32 v122, 24, v21 /*v277*/
	s_set_vgpr_msb 1                        ;  msbs: dst=0 src0=1 src1=0 src2=0
	v_bfe_i32 v124, v21 /*v277*/, 8, 8
	s_set_vgpr_msb 0x55                     ;  msbs: dst=1 src0=1 src1=1 src2=1
	v_add3_u32 v66 /*v322*/, v66 /*v322*/, v87 /*v343*/, v88 /*v344*/
	s_set_vgpr_msb 64                       ;  msbs: dst=1 src0=0 src1=0 src2=0
	v_mul_i32_i24_e32 v82 /*v338*/, v123, v118
	s_set_vgpr_msb 1                        ;  msbs: dst=0 src0=1 src1=0 src2=0
	v_bfe_i32 v123, v21 /*v277*/, 16, 8
	s_set_vgpr_msb 0x41                     ;  msbs: dst=1 src0=1 src1=0 src2=0
	v_bfe_i32 v21 /*v277*/, v21 /*v277*/, 0, 8
	s_set_vgpr_msb 64                       ;  msbs: dst=1 src0=0 src1=0 src2=0
	v_mul_i32_i24_e32 v85 /*v341*/, v124, v234
	v_mul_i32_i24_e32 v87 /*v343*/, v122, v235
	;; [unrolled: 1-line block ×4, first 2 shown]
	s_set_vgpr_msb 0x41                     ;  msbs: dst=1 src0=1 src1=0 src2=0
	v_mul_i32_i24_e32 v84 /*v340*/, v21 /*v277*/, v233
	s_set_vgpr_msb 64                       ;  msbs: dst=1 src0=0 src1=0 src2=0
	v_mul_i32_i24_e32 v91 /*v347*/, v122, v206
	s_set_vgpr_msb 0x55                     ;  msbs: dst=1 src0=1 src1=1 src2=1
	v_add3_u32 v64 /*v320*/, v64 /*v320*/, v87 /*v343*/, v85 /*v341*/
	s_set_vgpr_msb 0x41                     ;  msbs: dst=1 src0=1 src1=0 src2=0
	v_mul_i32_i24_e32 v88 /*v344*/, v21 /*v277*/, v205
	s_set_vgpr_msb 64                       ;  msbs: dst=1 src0=0 src1=0 src2=0
	v_mul_i32_i24_e32 v90 /*v346*/, v123, v207
	v_mul_i32_i24_e32 v93 /*v349*/, v124, v140
	v_mul_i32_i24_e32 v94 /*v350*/, v123, v143
	v_mul_i32_i24_e32 v97 /*v353*/, v122, v142
	s_set_vgpr_msb 0x55                     ;  msbs: dst=1 src0=1 src1=1 src2=1
	v_add3_u32 v64 /*v320*/, v64 /*v320*/, v84 /*v340*/, v86 /*v342*/
	v_add3_u32 v65 /*v321*/, v65 /*v321*/, v91 /*v347*/, v89 /*v345*/
	s_set_vgpr_msb 64                       ;  msbs: dst=1 src0=0 src1=0 src2=0
	v_mul_i32_i24_e32 v84 /*v340*/, v124, v118
	v_mul_i32_i24_e32 v85 /*v341*/, v123, v116
	;; [unrolled: 1-line block ×3, first 2 shown]
	s_set_vgpr_msb 1                        ;  msbs: dst=0 src0=1 src1=0 src2=0
	v_bfe_u32 v122, v16 /*v272*/, 20, 4
	s_set_vgpr_msb 4                        ;  msbs: dst=0 src0=0 src1=1 src2=0
	v_and_b32_e32 v123, 0xffff, v95 /*v351*/
	s_set_vgpr_msb 1                        ;  msbs: dst=0 src0=1 src1=0 src2=0
	v_bfe_u32 v124, v16 /*v272*/, 4, 4
	s_set_vgpr_msb 0x41                     ;  msbs: dst=1 src0=1 src1=0 src2=0
	v_mul_i32_i24_e32 v92 /*v348*/, v21 /*v277*/, v141
	s_set_vgpr_msb 0x55                     ;  msbs: dst=1 src0=1 src1=1 src2=1
	v_add3_u32 v65 /*v321*/, v65 /*v321*/, v88 /*v344*/, v90 /*v346*/
	v_add3_u32 v66 /*v322*/, v66 /*v322*/, v97 /*v353*/, v93 /*v349*/
	s_set_vgpr_msb 64                       ;  msbs: dst=1 src0=0 src1=0 src2=0
	v_mul_i32_i24_e32 v87 /*v343*/, v126, v123
	v_mul_i32_i24_e32 v16 /*v272*/, v125, v124
	;; [unrolled: 1-line block ×3, first 2 shown]
	s_set_vgpr_msb 4                        ;  msbs: dst=0 src0=0 src1=1 src2=0
	v_ashrrev_i32_e32 v125, 24, v23 /*v279*/
	s_set_vgpr_msb 1                        ;  msbs: dst=0 src0=1 src1=0 src2=0
	v_bfe_i32 v126, v23 /*v279*/, 16, 8
	v_bfe_i32 v127, v23 /*v279*/, 8, 8
	s_set_vgpr_msb 0x55                     ;  msbs: dst=1 src0=1 src1=1 src2=1
	v_bfe_i32 v23 /*v279*/, v23 /*v279*/, 0, 8
	v_add3_u32 v66 /*v322*/, v66 /*v322*/, v92 /*v348*/, v94 /*v350*/
	s_set_vgpr_msb 64                       ;  msbs: dst=1 src0=0 src1=0 src2=0
	v_mul_i32_i24_e32 v92 /*v348*/, v125, v239
	v_mul_i32_i24_e32 v91 /*v347*/, v126, v240
	;; [unrolled: 1-line block ×3, first 2 shown]
	s_set_vgpr_msb 0x41                     ;  msbs: dst=1 src0=1 src1=0 src2=0
	v_mul_i32_i24_e32 v89 /*v345*/, v23 /*v279*/, v237
	v_mul_i32_i24_e32 v93 /*v349*/, v23 /*v279*/, v208
	s_set_vgpr_msb 64                       ;  msbs: dst=1 src0=0 src1=0 src2=0
	v_mul_i32_i24_e32 v94 /*v350*/, v127, v209
	v_mul_i32_i24_e32 v107 /*v363*/, v127, v145
	;; [unrolled: 1-line block ×3, first 2 shown]
	s_set_vgpr_msb 0x55                     ;  msbs: dst=1 src0=1 src1=1 src2=1
	v_add3_u32 v64 /*v320*/, v64 /*v320*/, v92 /*v348*/, v89 /*v345*/
	s_set_vgpr_msb 64                       ;  msbs: dst=1 src0=0 src1=0 src2=0
	v_mul_i32_i24_e32 v89 /*v345*/, v127, v123
	s_set_vgpr_msb 4                        ;  msbs: dst=0 src0=0 src1=1 src2=0
	v_and_b32_e32 v127, 15, v17 /*v273*/
	s_set_vgpr_msb 64                       ;  msbs: dst=1 src0=0 src1=0 src2=0
	v_mul_i32_i24_e32 v97 /*v353*/, v125, v210
	s_set_vgpr_msb 0x41                     ;  msbs: dst=1 src0=1 src1=0 src2=0
	v_mul_i32_i24_e32 v46 /*v302*/, v98 /*v354*/, v250
	v_mul_i32_i24_e32 v98 /*v354*/, v23 /*v279*/, v144
	s_set_vgpr_msb 64                       ;  msbs: dst=1 src0=0 src1=0 src2=0
	v_mul_i32_i24_e32 v108 /*v364*/, v126, v147
	v_mul_i32_i24_e32 v109 /*v365*/, v125, v146
	s_set_vgpr_msb 0x55                     ;  msbs: dst=1 src0=1 src1=1 src2=1
	v_add3_u32 v65 /*v321*/, v65 /*v321*/, v97 /*v353*/, v93 /*v349*/
	v_add3_u32 v64 /*v320*/, v64 /*v320*/, v90 /*v346*/, v91 /*v347*/
	s_set_vgpr_msb 64                       ;  msbs: dst=1 src0=0 src1=0 src2=0
	v_mul_i32_i24_e32 v90 /*v346*/, v126, v122
	s_set_vgpr_msb 4                        ;  msbs: dst=0 src0=0 src1=1 src2=0
	v_and_b32_e32 v126, 0xffff, v96 /*v352*/
	s_set_vgpr_msb 64                       ;  msbs: dst=1 src0=0 src1=0 src2=0
	v_mul_i32_i24_e32 v92 /*v348*/, v128, v127
	s_set_vgpr_msb 0x55                     ;  msbs: dst=1 src0=1 src1=1 src2=1
	v_add3_u32 v65 /*v321*/, v65 /*v321*/, v94 /*v350*/, v95 /*v351*/
	s_set_vgpr_msb 4                        ;  msbs: dst=0 src0=0 src1=1 src2=0
	v_ashrrev_i32_e32 v128, 24, v25 /*v281*/
	s_set_vgpr_msb 0x55                     ;  msbs: dst=1 src0=1 src1=1 src2=1
	v_bfe_i32 v94 /*v350*/, v25 /*v281*/, 8, 8
	v_add3_u32 v66 /*v322*/, v66 /*v322*/, v109 /*v365*/, v98 /*v354*/
	s_set_vgpr_msb 64                       ;  msbs: dst=1 src0=0 src1=0 src2=0
	v_mul_i32_i24_e32 v93 /*v349*/, v129, v126
	s_set_vgpr_msb 1                        ;  msbs: dst=0 src0=1 src1=0 src2=0
	v_bfe_i32 v129, v25 /*v281*/, 16, 8
	s_set_vgpr_msb 0x41                     ;  msbs: dst=1 src0=1 src1=0 src2=0
	v_bfe_i32 v25 /*v281*/, v25 /*v281*/, 0, 8
	v_mul_i32_i24_e32 v96 /*v352*/, v94 /*v350*/, v242
	s_set_vgpr_msb 64                       ;  msbs: dst=1 src0=0 src1=0 src2=0
	v_mul_i32_i24_e32 v98 /*v354*/, v128, v243
	s_set_vgpr_msb 0x55                     ;  msbs: dst=1 src0=1 src1=1 src2=1
	v_add3_u32 v66 /*v322*/, v66 /*v322*/, v107 /*v363*/, v108 /*v364*/
	s_set_vgpr_msb 64                       ;  msbs: dst=1 src0=0 src1=0 src2=0
	v_mul_i32_i24_e32 v97 /*v353*/, v129, v244
	s_set_vgpr_msb 0x41                     ;  msbs: dst=1 src0=1 src1=0 src2=0
	v_mul_i32_i24_e32 v95 /*v351*/, v25 /*v281*/, v241
	v_mul_i32_i24_e32 v108 /*v364*/, v94 /*v350*/, v212
	s_set_vgpr_msb 0x55                     ;  msbs: dst=1 src0=1 src1=1 src2=1
	v_add3_u32 v64 /*v320*/, v64 /*v320*/, v98 /*v354*/, v96 /*v352*/
	s_set_vgpr_msb 64                       ;  msbs: dst=1 src0=0 src1=0 src2=0
	v_mul_i32_i24_e32 v110 /*v366*/, v128, v214
	s_set_vgpr_msb 0x41                     ;  msbs: dst=1 src0=1 src1=0 src2=0
	v_mul_i32_i24_e32 v107 /*v363*/, v25 /*v281*/, v213
	s_set_vgpr_msb 64                       ;  msbs: dst=1 src0=0 src1=0 src2=0
	v_mul_i32_i24_e32 v109 /*v365*/, v129, v215
	s_set_vgpr_msb 0                        ;  msbs: dst=0 src0=0 src1=0 src2=0
	v_cvt_f32_f16_e32 v88, v88
	s_set_vgpr_msb 0x55                     ;  msbs: dst=1 src0=1 src1=1 src2=1
	v_add3_u32 v64 /*v320*/, v64 /*v320*/, v95 /*v351*/, v97 /*v353*/
	s_set_vgpr_msb 0x41                     ;  msbs: dst=1 src0=1 src1=0 src2=0
	v_mul_i32_i24_e32 v38 /*v294*/, v99 /*v355*/, v190
	v_mul_i32_i24_e32 v41 /*v297*/, v100 /*v356*/, v249
	;; [unrolled: 1-line block ×3, first 2 shown]
	s_set_vgpr_msb 0                        ;  msbs: dst=0 src0=0 src1=0 src2=0
	v_pk_mul_f32 v[88:89], v[88:89], s[12:13] op_sel_hi:[1,0]
	s_set_vgpr_msb 0x55                     ;  msbs: dst=1 src0=1 src1=1 src2=1
	v_add3_u32 v34 /*v290*/, v64 /*v320*/, v34 /*v290*/, v105 /*v361*/
	s_set_vgpr_msb 0x41                     ;  msbs: dst=1 src0=1 src1=0 src2=0
	v_mul_i32_i24_e32 v112 /*v368*/, v94 /*v350*/, v148
	s_set_vgpr_msb 64                       ;  msbs: dst=1 src0=0 src1=0 src2=0
	v_mul_i32_i24_e32 v114 /*v370*/, v128, v150
	s_set_vgpr_msb 0x41                     ;  msbs: dst=1 src0=1 src1=0 src2=0
	v_mul_i32_i24_e32 v111 /*v367*/, v25 /*v281*/, v149
	s_set_vgpr_msb 64                       ;  msbs: dst=1 src0=0 src1=0 src2=0
	v_mul_i32_i24_e32 v113 /*v369*/, v129, v151
	s_set_vgpr_msb 0x55                     ;  msbs: dst=1 src0=1 src1=1 src2=1
	v_add3_u32 v33 /*v289*/, v34 /*v290*/, v106 /*v362*/, v33 /*v289*/
	s_set_vgpr_msb 0                        ;  msbs: dst=0 src0=0 src1=0 src2=0
	v_bfe_u32 v152, v155, 12, 4
	s_set_vgpr_msb 0x41                     ;  msbs: dst=1 src0=1 src1=0 src2=0
	v_mul_i32_i24_e32 v39 /*v295*/, v4 /*v260*/, v217
	v_mul_i32_i24_e32 v48 /*v304*/, v101 /*v357*/, v153
	s_set_vgpr_msb 0                        ;  msbs: dst=0 src0=0 src1=0 src2=0
	v_bfe_u32 v155, v155, 20, 4
	s_set_vgpr_msb 5                        ;  msbs: dst=0 src0=1 src1=1 src2=0
	v_add3_u32 v90, v33 /*v289*/, v104 /*v360*/, v90
	s_set_vgpr_msb 0x41                     ;  msbs: dst=1 src0=1 src1=0 src2=0
	v_mul_i32_i24_e32 v56 /*v312*/, v19 /*v275*/, v154
	v_mul_i32_i24_e32 v40 /*v296*/, v3 /*v259*/, v253
	;; [unrolled: 1-line block ×4, first 2 shown]
	s_set_vgpr_msb 20                       ;  msbs: dst=0 src0=0 src1=1 src2=1
	v_add3_u32 v91, v90, v30 /*v286*/, v32 /*v288*/
	v_cvt_f32_i32_e32 v90, v81
	s_set_vgpr_msb 21                       ;  msbs: dst=0 src0=1 src1=1 src2=1
	v_add3_u32 v81, v65 /*v321*/, v110 /*v366*/, v108 /*v364*/
	s_set_vgpr_msb 0x41                     ;  msbs: dst=1 src0=1 src1=0 src2=0
	v_mul_i32_i24_e32 v55 /*v311*/, v103 /*v359*/, v155
	v_mul_i32_i24_e32 v13 /*v269*/, v99 /*v355*/, v98
	s_set_vgpr_msb 0                        ;  msbs: dst=0 src0=0 src1=0 src2=0
	v_cvt_f32_i32_e32 v91, v91
	s_set_vgpr_msb 0x41                     ;  msbs: dst=1 src0=1 src1=0 src2=0
	v_mul_i32_i24_e32 v52 /*v308*/, v100 /*v356*/, v120
	s_set_vgpr_msb 20                       ;  msbs: dst=0 src0=0 src1=1 src2=1
	v_add3_u32 v81, v81, v107 /*v363*/, v109 /*v365*/
	s_set_vgpr_msb 0x41                     ;  msbs: dst=1 src0=1 src1=0 src2=0
	v_mul_i32_i24_e32 v54 /*v310*/, v24 /*v280*/, v117
	s_set_vgpr_msb 0x44                     ;  msbs: dst=1 src0=0 src1=1 src2=0
	v_mul_i32_i24_e32 v11 /*v267*/, v99, v11 /*v267*/
	s_set_vgpr_msb 1                        ;  msbs: dst=0 src0=1 src1=0 src2=0
	v_pk_fma_f32 v[90:91], v[26:27] /*v[282:283]*/, v[90:91], v[88:89] neg_lo:[0,0,1] neg_hi:[0,0,1]
	s_set_vgpr_msb 0x41                     ;  msbs: dst=1 src0=1 src1=0 src2=0
	v_mul_i32_i24_e32 v10 /*v266*/, v10 /*v266*/, v100
	s_set_vgpr_msb 20                       ;  msbs: dst=0 src0=0 src1=1 src2=1
	v_add3_u32 v81, v81, v45 /*v301*/, v36 /*v292*/
	s_set_vgpr_msb 0x41                     ;  msbs: dst=1 src0=1 src1=0 src2=0
	v_mul_i32_i24_e32 v50 /*v306*/, v4 /*v260*/, v152
	v_mul_i32_i24_e32 v51 /*v307*/, v3 /*v259*/, v155
	s_set_vgpr_msb 0                        ;  msbs: dst=0 src0=0 src1=0 src2=0
	v_pk_fma_f32 v[54:55], v[84:85], v[90:91], v[54:55] op_sel_hi:[0,1,1]
	s_set_vgpr_msb 20                       ;  msbs: dst=0 src0=0 src1=1 src2=1
	v_add3_u32 v90, v92, v67 /*v323*/, v39 /*v295*/
	v_add3_u32 v81, v81, v37 /*v293*/, v44 /*v300*/
	s_set_vgpr_msb 1                        ;  msbs: dst=0 src0=1 src1=0 src2=0
	v_bfe_u32 v92, v14 /*v270*/, 16, 4
	s_set_vgpr_msb 0x41                     ;  msbs: dst=1 src0=1 src1=0 src2=0
	v_mul_i32_i24_e32 v53 /*v309*/, v0 /*v256*/, v154
	v_mul_i32_i24_e32 v9 /*v265*/, v9 /*v265*/, v101
	s_set_vgpr_msb 20                       ;  msbs: dst=0 src0=0 src1=1 src2=1
	v_add3_u32 v90, v90, v40 /*v296*/, v42 /*v298*/
	v_add3_u32 v81, v81, v35 /*v291*/, v38 /*v294*/
	s_set_vgpr_msb 0                        ;  msbs: dst=0 src0=0 src1=0 src2=0
	v_mul_i32_i24_e32 v247, v92, v247
	s_set_vgpr_msb 1                        ;  msbs: dst=0 src0=1 src1=0 src2=0
	v_bfe_u32 v102, v17 /*v273*/, 24, 4
	s_set_vgpr_msb 0x41                     ;  msbs: dst=1 src0=1 src1=0 src2=0
	v_mul_i32_i24_e32 v20 /*v276*/, v20 /*v276*/, v112
	s_set_vgpr_msb 20                       ;  msbs: dst=0 src0=0 src1=1 src2=1
	v_cvt_f32_i32_e32 v90, v90
	v_add3_u32 v81, v81, v41 /*v297*/, v43 /*v299*/
	s_set_vgpr_msb 0x41                     ;  msbs: dst=1 src0=1 src1=0 src2=0
	v_mul_i32_i24_e32 v22 /*v278*/, v22 /*v278*/, v115
	v_mul_i32_i24_e32 v8 /*v264*/, v8 /*v264*/, v103
	s_set_vgpr_msb 64                       ;  msbs: dst=1 src0=0 src1=0 src2=0
	v_mul_i32_i24_e32 v91 /*v347*/, v125, v104
	s_set_vgpr_msb 1                        ;  msbs: dst=0 src0=1 src1=0 src2=0
	v_bfe_u32 v125, v17 /*v273*/, 16, 4
	s_set_vgpr_msb 0                        ;  msbs: dst=0 src0=0 src1=0 src2=0
	v_cvt_f32_i32_e32 v91, v81
	s_set_vgpr_msb 21                       ;  msbs: dst=0 src0=1 src1=1 src2=1
	v_add3_u32 v81, v66 /*v322*/, v114 /*v370*/, v112 /*v368*/
	s_set_vgpr_msb 0x41                     ;  msbs: dst=1 src0=1 src1=0 src2=0
	v_mul_i32_i24_e32 v21 /*v277*/, v21 /*v277*/, v119
	v_mul_i32_i24_e32 v23 /*v279*/, v23 /*v279*/, v124
	s_set_vgpr_msb 1                        ;  msbs: dst=0 src0=1 src1=0 src2=0
	v_bfe_u32 v105, v17 /*v273*/, 12, 4
	v_pk_fma_f32 v[90:91], v[26:27] /*v[282:283]*/, v[90:91], v[88:89] neg_lo:[0,0,1] neg_hi:[0,0,1]
	s_set_vgpr_msb 20                       ;  msbs: dst=0 src0=0 src1=1 src2=1
	v_add3_u32 v81, v81, v111 /*v367*/, v113 /*v369*/
	s_set_vgpr_msb 0x41                     ;  msbs: dst=1 src0=1 src1=0 src2=0
	v_mul_i32_i24_e32 v7 /*v263*/, v7 /*v263*/, v104
	v_mul_i32_i24_e32 v5 /*v261*/, v5 /*v261*/, v125
	;; [unrolled: 1-line block ×3, first 2 shown]
	s_set_vgpr_msb 0                        ;  msbs: dst=0 src0=0 src1=0 src2=0
	v_pk_fma_f32 v[64:65], v[86:87], v[90:91], v[64:65] op_sel_hi:[0,1,1]
	s_set_vgpr_msb 20                       ;  msbs: dst=0 src0=0 src1=1 src2=1
	v_add3_u32 v81, v81, v56 /*v312*/, v48 /*v304*/
	s_set_vgpr_msb 21                       ;  msbs: dst=0 src0=1 src1=1 src2=1
	v_add3_u32 v90, v12 /*v268*/, v47 /*v303*/, v50 /*v306*/
	s_set_vgpr_msb 64                       ;  msbs: dst=1 src0=0 src1=0 src2=0
	v_mul_i32_i24_e32 v12 /*v268*/, v129, v125
	s_set_vgpr_msb 1                        ;  msbs: dst=0 src0=1 src1=0 src2=0
	v_bfe_u32 v129, v17 /*v273*/, 20, 4
	v_dual_add_nc_u32 v97, 16, v97 :: v_dual_add_nc_u32 v96, 4, v96
	s_set_vgpr_msb 20                       ;  msbs: dst=0 src0=0 src1=1 src2=1
	v_add3_u32 v81, v81, v49 /*v305*/, v55 /*v311*/
	v_add3_u32 v90, v90, v51 /*v307*/, v53 /*v309*/
	s_set_vgpr_msb 0x41                     ;  msbs: dst=1 src0=1 src1=0 src2=0
	v_mul_i32_i24_e32 v3 /*v259*/, v3 /*v259*/, v129
	s_set_vgpr_msb 0                        ;  msbs: dst=0 src0=0 src1=0 src2=0
	v_dual_add_nc_u32 v95, 4, v95 :: v_dual_add_nc_u32 v94, 4, v94
	s_set_vgpr_msb 20                       ;  msbs: dst=0 src0=0 src1=1 src2=1
	v_add3_u32 v81, v81, v46 /*v302*/, v13 /*v269*/
	v_cvt_f32_i32_e32 v90, v90
	s_set_vgpr_msb 64                       ;  msbs: dst=1 src0=0 src1=0 src2=0
	v_mul_i32_i24_e32 v13 /*v269*/, v128, v102
	s_set_vgpr_msb 20                       ;  msbs: dst=0 src0=0 src1=1 src2=1
	v_lshrrev_b32_e32 v128, 28, v17 /*v273*/
	v_add3_u32 v81, v81, v52 /*v308*/, v54 /*v310*/
	s_set_vgpr_msb 0x41                     ;  msbs: dst=1 src0=1 src1=0 src2=0
	s_delay_alu instid0(VALU_DEP_2) | instskip(SKIP_1) | instid1(VALU_DEP_2)
	v_mul_i32_i24_e32 v0 /*v256*/, v0 /*v256*/, v128
	s_set_vgpr_msb 0                        ;  msbs: dst=0 src0=0 src1=0 src2=0
	v_cvt_f32_i32_e32 v91, v81
	s_set_vgpr_msb 1                        ;  msbs: dst=0 src0=1 src1=0 src2=0
	v_bfe_u32 v81, v14 /*v270*/, 24, 4
	s_set_vgpr_msb 0x55                     ;  msbs: dst=1 src0=1 src1=1 src2=1
	v_add3_u32 v14 /*v270*/, v68 /*v324*/, v20 /*v276*/, v22 /*v278*/
	s_set_vgpr_msb 1                        ;  msbs: dst=0 src0=1 src1=0 src2=0
	v_pk_fma_f32 v[90:91], v[26:27] /*v[282:283]*/, v[90:91], v[88:89] neg_lo:[0,0,1] neg_hi:[0,0,1]
	s_set_vgpr_msb 0                        ;  msbs: dst=0 src0=0 src1=0 src2=0
	v_mul_i32_i24_e32 v255, v81, v255
	s_set_vgpr_msb 0x55                     ;  msbs: dst=1 src0=1 src1=1 src2=1
	v_add3_u32 v14 /*v270*/, v14 /*v270*/, v21 /*v277*/, v23 /*v279*/
	s_set_vgpr_msb 0                        ;  msbs: dst=0 src0=0 src1=0 src2=0
	v_pk_fma_f32 v[70:71], v[82:83], v[90:91], v[70:71] op_sel_hi:[0,1,1]
	s_set_vgpr_msb 1                        ;  msbs: dst=0 src0=1 src1=0 src2=0
	v_add3_u32 v247, v57 /*v313*/, v247, v255
	v_mul_i32_i24_e32 v90, v25 /*v281*/, v127
	v_mul_i32_i24_e32 v91, v94 /*v350*/, v126
	s_set_vgpr_msb 0x41                     ;  msbs: dst=1 src0=1 src1=0 src2=0
	v_mul_i32_i24_e32 v25 /*v281*/, v102 /*v358*/, v105
	s_set_vgpr_msb 1                        ;  msbs: dst=0 src0=1 src1=0 src2=0
	v_mul_i32_i24_e32 v255, v4 /*v260*/, v105
	s_set_vgpr_msb 20                       ;  msbs: dst=0 src0=0 src1=1 src2=1
	v_add3_u32 v247, v247, v61 /*v317*/, v60 /*v316*/
	s_set_vgpr_msb 0x41                     ;  msbs: dst=1 src0=1 src1=0 src2=0
	v_mul_i32_i24_e32 v4 /*v260*/, v99 /*v355*/, v93
	s_set_vgpr_msb 20                       ;  msbs: dst=0 src0=0 src1=1 src2=1
	s_delay_alu instid0(VALU_DEP_2) | instskip(SKIP_3) | instid1(VALU_DEP_2)
	v_add3_u32 v247, v247, v62 /*v318*/, v11 /*v267*/
	s_set_vgpr_msb 0x55                     ;  msbs: dst=1 src0=1 src1=1 src2=1
	v_add3_u32 v11 /*v267*/, v69 /*v325*/, v73 /*v329*/, v78 /*v334*/
	s_set_vgpr_msb 20                       ;  msbs: dst=0 src0=0 src1=1 src2=1
	v_add3_u32 v247, v247, v71 /*v327*/, v70 /*v326*/
	s_set_vgpr_msb 0x55                     ;  msbs: dst=1 src0=1 src1=1 src2=1
	s_delay_alu instid0(VALU_DEP_2) | instskip(SKIP_1) | instid1(VALU_DEP_2)
	v_add3_u32 v11 /*v267*/, v11 /*v267*/, v84 /*v340*/, v89 /*v345*/
	s_set_vgpr_msb 20                       ;  msbs: dst=0 src0=0 src1=1 src2=1
	v_add3_u32 v247, v247, v72 /*v328*/, v10 /*v266*/
	s_set_vgpr_msb 0x51                     ;  msbs: dst=1 src0=1 src1=0 src2=1
	v_mad_i32_i24 v10 /*v266*/, v63 /*v319*/, v99, v75 /*v331*/
	s_set_vgpr_msb 20                       ;  msbs: dst=0 src0=0 src1=1 src2=1
	s_delay_alu instid0(VALU_DEP_2) | instskip(SKIP_1) | instid1(VALU_DEP_2)
	v_add3_u32 v247, v247, v15 /*v271*/, v76 /*v332*/
	s_set_vgpr_msb 0x55                     ;  msbs: dst=1 src0=1 src1=1 src2=1
	v_add3_u32 v10 /*v266*/, v10 /*v266*/, v80 /*v336*/, v86 /*v342*/
	s_set_vgpr_msb 20                       ;  msbs: dst=0 src0=0 src1=1 src2=1
	s_delay_alu instid0(VALU_DEP_2)
	v_add3_u32 v247, v247, v77 /*v333*/, v9 /*v265*/
	s_set_vgpr_msb 0x51                     ;  msbs: dst=1 src0=1 src1=0 src2=1
	v_mad_i32_i24 v9 /*v265*/, v18 /*v274*/, v108, v74 /*v330*/
	s_set_vgpr_msb 0x55                     ;  msbs: dst=1 src0=1 src1=1 src2=1
	v_add3_u32 v10 /*v266*/, v10 /*v266*/, v91 /*v347*/, v13 /*v269*/
	s_set_vgpr_msb 20                       ;  msbs: dst=0 src0=0 src1=1 src2=1
	v_add3_u32 v247, v247, v82 /*v338*/, v81 /*v337*/
	s_set_vgpr_msb 0x55                     ;  msbs: dst=1 src0=1 src1=1 src2=1
	v_add3_u32 v9 /*v265*/, v9 /*v265*/, v79 /*v335*/, v85 /*v341*/
	s_set_vgpr_msb 17                       ;  msbs: dst=0 src0=1 src1=0 src2=1
	v_add3_u32 v91, v11 /*v267*/, v91, v10 /*v266*/
	s_set_vgpr_msb 20                       ;  msbs: dst=0 src0=0 src1=1 src2=1
	v_add3_u32 v247, v247, v83 /*v339*/, v8 /*v264*/
	s_set_vgpr_msb 0x55                     ;  msbs: dst=1 src0=1 src1=1 src2=1
	v_add3_u32 v9 /*v265*/, v9 /*v265*/, v90 /*v346*/, v12 /*v268*/
	s_set_vgpr_msb 0x41                     ;  msbs: dst=1 src0=1 src1=0 src2=0
	v_mul_i32_i24_e32 v8 /*v264*/, v19 /*v275*/, v128
	s_set_vgpr_msb 20                       ;  msbs: dst=0 src0=0 src1=1 src2=1
	v_add3_u32 v247, v247, v16 /*v272*/, v87 /*v343*/
	s_set_vgpr_msb 17                       ;  msbs: dst=0 src0=1 src1=0 src2=1
	v_add3_u32 v90, v14 /*v270*/, v90, v9 /*v265*/
	s_set_vgpr_msb 20                       ;  msbs: dst=0 src0=0 src1=1 src2=1
	s_delay_alu instid0(VALU_DEP_2)
	v_add3_u32 v247, v247, v88 /*v344*/, v7 /*v263*/
	s_set_vgpr_msb 0x41                     ;  msbs: dst=1 src0=1 src1=0 src2=0
	v_mul_i32_i24_e32 v7 /*v263*/, v103 /*v359*/, v129
	s_set_vgpr_msb 16                       ;  msbs: dst=0 src0=0 src1=0 src2=1
	v_add3_u32 v90, v90, v91, v8 /*v264*/
	s_set_vgpr_msb 17                       ;  msbs: dst=0 src0=1 src1=0 src2=1
	v_mad_i32_i24 v91, v101 /*v357*/, v107, v25 /*v281*/
	s_set_vgpr_msb 20                       ;  msbs: dst=0 src0=0 src1=1 src2=1
	v_add3_u32 v247, v247, v93 /*v349*/, v92 /*v348*/
	s_set_vgpr_msb 16                       ;  msbs: dst=0 src0=0 src1=0 src2=1
	s_delay_alu instid0(VALU_DEP_2) | instskip(SKIP_1) | instid1(VALU_DEP_2)
	v_add3_u32 v90, v90, v91, v7 /*v263*/
	s_set_vgpr_msb 20                       ;  msbs: dst=0 src0=0 src1=1 src2=1
	v_add3_u32 v247, v247, v5 /*v261*/, v6 /*v262*/
	s_set_vgpr_msb 0x41                     ;  msbs: dst=1 src0=1 src1=0 src2=0
	v_mul_i32_i24_e32 v5 /*v261*/, v100 /*v356*/, v92
	v_mul_i32_i24_e32 v6 /*v262*/, v24 /*v280*/, v81
	s_set_vgpr_msb 20                       ;  msbs: dst=0 src0=0 src1=1 src2=1
	v_add3_u32 v90, v90, v59 /*v315*/, v4 /*v260*/
	s_set_vgpr_msb 4                        ;  msbs: dst=0 src0=0 src1=1 src2=0
	v_add3_u32 v91, v247, v58 /*v314*/, v255
	s_set_vgpr_msb 20                       ;  msbs: dst=0 src0=0 src1=1 src2=1
	s_delay_alu instid0(VALU_DEP_2) | instskip(NEXT) | instid1(VALU_DEP_2)
	v_add3_u32 v90, v90, v5 /*v261*/, v6 /*v262*/
	v_add3_u32 v247, v91, v3 /*v259*/, v0 /*v256*/
	s_delay_alu instid0(VALU_DEP_2) | instskip(NEXT) | instid1(VALU_DEP_2)
	v_cvt_f32_i32_e32 v91, v90
	v_cvt_f32_i32_e32 v90, v247
	s_set_vgpr_msb 1                        ;  msbs: dst=0 src0=1 src1=0 src2=0
	s_delay_alu instid0(VALU_DEP_1) | instskip(SKIP_2) | instid1(VALU_DEP_2)
	v_pk_fma_f32 v[88:89], v[26:27] /*v[282:283]*/, v[90:91], v[88:89] neg_lo:[0,0,1] neg_hi:[0,0,1]
	v_add_nc_u32_e32 v90, 0x800, v85
	s_set_vgpr_msb 0                        ;  msbs: dst=0 src0=0 src1=0 src2=0
	v_pk_fma_f32 v[74:75], v[80:81], v[88:89], v[74:75] op_sel_hi:[0,1,1]
	v_add_nc_u32_e32 v88, 0x804, v85
	s_set_vgpr_msb 64                       ;  msbs: dst=1 src0=0 src1=0 src2=0
	ds_load_2addr_b32 v[4:5] /*v[260:261]*/, v88 offset1:1
	s_set_vgpr_msb 0                        ;  msbs: dst=0 src0=0 src1=0 src2=0
	v_add_nc_u32_e32 v88, 0x814, v85
	s_set_vgpr_msb 64                       ;  msbs: dst=1 src0=0 src1=0 src2=0
	ds_load_2addr_b32 v[6:7] /*v[262:263]*/, v88 offset1:1
	s_set_vgpr_msb 0                        ;  msbs: dst=0 src0=0 src1=0 src2=0
	ds_load_2addr_b32 v[88:89], v90 offset1:3
	s_set_vgpr_msb 64                       ;  msbs: dst=1 src0=0 src1=0 src2=0
	ds_load_2addr_b32 v[8:9] /*v[264:265]*/, v90 offset0:4 offset1:7
	s_set_vgpr_msb 0                        ;  msbs: dst=0 src0=0 src1=0 src2=0
	ds_load_2addr_b32 v[90:91], v83 offset0:64 offset1:96
	s_wait_dscnt 0x4
	s_set_vgpr_msb 0x41                     ;  msbs: dst=1 src0=1 src1=0 src2=0
	v_bfe_i32 v11 /*v267*/, v4 /*v260*/, 0, 8
	v_bfe_i32 v12 /*v268*/, v4 /*v260*/, 8, 8
	;; [unrolled: 1-line block ×3, first 2 shown]
	s_set_vgpr_msb 0x44                     ;  msbs: dst=1 src0=0 src1=1 src2=0
	v_ashrrev_i32_e32 v4 /*v260*/, 24, v4 /*v260*/
	s_set_vgpr_msb 0x41                     ;  msbs: dst=1 src0=1 src1=0 src2=0
	v_bfe_i32 v17 /*v273*/, v5 /*v261*/, 0, 8
	v_mul_i32_i24_e32 v33 /*v289*/, v11 /*v267*/, v226
	s_wait_dscnt 0x1
	v_bfe_i32 v3 /*v259*/, v8 /*v264*/, 8, 8
	v_bfe_i32 v0 /*v256*/, v8 /*v264*/, 0, 8
	;; [unrolled: 1-line block ×3, first 2 shown]
	s_set_vgpr_msb 0x44                     ;  msbs: dst=1 src0=0 src1=1 src2=0
	v_ashrrev_i32_e32 v8 /*v264*/, 24, v8 /*v264*/
	s_set_vgpr_msb 0x51                     ;  msbs: dst=1 src0=1 src1=0 src2=1
	v_bfe_i32 v14 /*v270*/, v6 /*v262*/, 0, 8
	v_mul_i32_i24_e32 v30 /*v286*/, v3 /*v259*/, v224
	v_bfe_i32 v15 /*v271*/, v6 /*v262*/, 8, 8
	v_mul_i32_i24_e32 v31 /*v287*/, v10 /*v266*/, v221
	v_mul_i32_i24_e32 v32 /*v288*/, v8 /*v264*/, v225
	v_bfe_i32 v16 /*v272*/, v6 /*v262*/, 16, 8
	v_mad_i32_i24 v30 /*v286*/, v0 /*v256*/, v218, v30 /*v286*/
	s_set_vgpr_msb 0x44                     ;  msbs: dst=1 src0=0 src1=1 src2=0
	v_ashrrev_i32_e32 v6 /*v262*/, 24, v6 /*v262*/
	s_set_vgpr_msb 0x41                     ;  msbs: dst=1 src0=1 src1=0 src2=0
	v_mul_i32_i24_e32 v34 /*v290*/, v12 /*v268*/, v227
	v_mul_i32_i24_e32 v36 /*v292*/, v4 /*v260*/, v229
	;; [unrolled: 1-line block ×3, first 2 shown]
	s_set_vgpr_msb 0x55                     ;  msbs: dst=1 src0=1 src1=1 src2=1
	v_add3_u32 v30 /*v286*/, v30 /*v286*/, v31 /*v287*/, v32 /*v288*/
	s_set_vgpr_msb 0x41                     ;  msbs: dst=1 src0=1 src1=0 src2=0
	v_mul_i32_i24_e32 v37 /*v293*/, v14 /*v270*/, v230
	v_mul_i32_i24_e32 v40 /*v296*/, v6 /*v262*/, v232
	;; [unrolled: 1-line block ×3, first 2 shown]
	v_bfe_i32 v18 /*v274*/, v5 /*v261*/, 8, 8
	s_set_vgpr_msb 0x55                     ;  msbs: dst=1 src0=1 src1=1 src2=1
	v_add3_u32 v30 /*v286*/, v30 /*v286*/, v36 /*v292*/, v34 /*v290*/
	v_bfe_i32 v19 /*v275*/, v5 /*v261*/, 16, 8
	v_ashrrev_i32_e32 v5 /*v261*/, 24, v5 /*v261*/
	s_set_vgpr_msb 0x41                     ;  msbs: dst=1 src0=1 src1=0 src2=0
	v_mul_i32_i24_e32 v38 /*v294*/, v15 /*v271*/, v231
	v_mul_i32_i24_e32 v39 /*v295*/, v16 /*v272*/, v223
	s_set_vgpr_msb 0x55                     ;  msbs: dst=1 src0=1 src1=1 src2=1
	v_add3_u32 v30 /*v286*/, v30 /*v286*/, v33 /*v289*/, v35 /*v291*/
	s_set_vgpr_msb 0x51                     ;  msbs: dst=1 src0=1 src1=0 src2=1
	v_mul_i32_i24_e32 v33 /*v289*/, v10 /*v266*/, v192
	v_mul_i32_i24_e32 v34 /*v290*/, v8 /*v264*/, v196
	v_mad_i32_i24 v32 /*v288*/, v0 /*v256*/, v191, v32 /*v288*/
	v_bfe_i32 v20 /*v276*/, v7 /*v263*/, 0, 8
	s_set_vgpr_msb 0x55                     ;  msbs: dst=1 src0=1 src1=1 src2=1
	v_add3_u32 v30 /*v286*/, v30 /*v286*/, v40 /*v296*/, v37 /*v293*/
	v_bfe_i32 v21 /*v277*/, v7 /*v263*/, 8, 8
	v_bfe_i32 v22 /*v278*/, v7 /*v263*/, 16, 8
	v_ashrrev_i32_e32 v7 /*v263*/, 24, v7 /*v263*/
	s_set_vgpr_msb 0x41                     ;  msbs: dst=1 src0=1 src1=0 src2=0
	v_mul_i32_i24_e32 v42 /*v298*/, v18 /*v274*/, v234
	v_mul_i32_i24_e32 v44 /*v300*/, v5 /*v261*/, v235
	s_set_vgpr_msb 0x55                     ;  msbs: dst=1 src0=1 src1=1 src2=1
	v_add3_u32 v30 /*v286*/, v30 /*v286*/, v38 /*v294*/, v39 /*v295*/
	s_set_vgpr_msb 0x41                     ;  msbs: dst=1 src0=1 src1=0 src2=0
	v_mul_i32_i24_e32 v36 /*v292*/, v12 /*v268*/, v198
	v_mul_i32_i24_e32 v38 /*v294*/, v4 /*v260*/, v200
	s_set_vgpr_msb 0x55                     ;  msbs: dst=1 src0=1 src1=1 src2=1
	v_add3_u32 v32 /*v288*/, v32 /*v288*/, v33 /*v289*/, v34 /*v290*/
	;; [unrolled: 5-line block ×6, first 2 shown]
	s_set_vgpr_msb 0x41                     ;  msbs: dst=1 src0=1 src1=0 src2=0
	v_mul_i32_i24_e32 v34 /*v290*/, v3 /*v259*/, v220
	s_set_vgpr_msb 0x44                     ;  msbs: dst=1 src0=0 src1=1 src2=0
	v_mul_i32_i24_e32 v3 /*v259*/, v109, v3 /*v259*/
	v_bfe_i32 v23 /*v279*/, v89, 0, 8
	v_bfe_i32 v24 /*v280*/, v89, 8, 8
	;; [unrolled: 1-line block ×3, first 2 shown]
	s_set_vgpr_msb 0                        ;  msbs: dst=0 src0=0 src1=0 src2=0
	v_ashrrev_i32_e32 v89, 24, v89
	s_set_vgpr_msb 0x41                     ;  msbs: dst=1 src0=1 src1=0 src2=0
	v_mul_i32_i24_e32 v46 /*v302*/, v21 /*v277*/, v238
	v_mul_i32_i24_e32 v47 /*v303*/, v22 /*v278*/, v240
	s_set_vgpr_msb 0x55                     ;  msbs: dst=1 src0=1 src1=1 src2=1
	v_add3_u32 v30 /*v286*/, v30 /*v286*/, v48 /*v304*/, v45 /*v301*/
	s_set_vgpr_msb 0x41                     ;  msbs: dst=1 src0=1 src1=0 src2=0
	v_mul_i32_i24_e32 v40 /*v296*/, v15 /*v271*/, v202
	v_mul_i32_i24_e32 v41 /*v297*/, v16 /*v272*/, v194
	s_set_vgpr_msb 0x55                     ;  msbs: dst=1 src0=1 src1=1 src2=1
	v_add3_u32 v32 /*v288*/, v32 /*v288*/, v42 /*v298*/, v39 /*v295*/
	s_set_vgpr_msb 0x51                     ;  msbs: dst=1 src0=1 src1=0 src2=1
	v_mul_i32_i24_e32 v35 /*v291*/, v10 /*v266*/, v219
	v_mul_i32_i24_e32 v36 /*v292*/, v8 /*v264*/, v132
	v_mad_i32_i24 v34 /*v290*/, v0 /*v256*/, v130, v34 /*v290*/
	s_set_vgpr_msb 0x54                     ;  msbs: dst=1 src0=0 src1=1 src2=1
	v_mul_i32_i24_e32 v10 /*v266*/, v108, v10 /*v266*/
	v_mul_i32_i24_e32 v8 /*v264*/, v99, v8 /*v264*/
	v_mad_i32_i24 v0 /*v256*/, v106, v0 /*v256*/, v3 /*v259*/
	s_set_vgpr_msb 0x41                     ;  msbs: dst=1 src0=1 src1=0 src2=0
	v_mul_i32_i24_e32 v50 /*v306*/, v24 /*v280*/, v242
	s_set_vgpr_msb 64                       ;  msbs: dst=1 src0=0 src1=0 src2=0
	v_mul_i32_i24_e32 v52 /*v308*/, v89, v243
	s_set_vgpr_msb 0x55                     ;  msbs: dst=1 src0=1 src1=1 src2=1
	v_add3_u32 v30 /*v286*/, v30 /*v286*/, v46 /*v302*/, v47 /*v303*/
	s_set_vgpr_msb 0x41                     ;  msbs: dst=1 src0=1 src1=0 src2=0
	v_mul_i32_i24_e32 v44 /*v300*/, v18 /*v274*/, v204
	v_mul_i32_i24_e32 v46 /*v302*/, v5 /*v261*/, v206
	s_set_vgpr_msb 0x55                     ;  msbs: dst=1 src0=1 src1=1 src2=1
	v_add3_u32 v32 /*v288*/, v32 /*v288*/, v40 /*v296*/, v41 /*v297*/
	s_set_vgpr_msb 0x41                     ;  msbs: dst=1 src0=1 src1=0 src2=0
	v_mul_i32_i24_e32 v38 /*v294*/, v12 /*v268*/, v134
	v_mul_i32_i24_e32 v40 /*v296*/, v4 /*v260*/, v136
	;; [unrolled: 1-line block ×4, first 2 shown]
	s_set_vgpr_msb 0x55                     ;  msbs: dst=1 src0=1 src1=1 src2=1
	v_add3_u32 v0 /*v256*/, v0 /*v256*/, v10 /*v266*/, v8 /*v264*/
	v_bfe_i32 v26 /*v282*/, v9 /*v265*/, 0, 8
	v_bfe_i32 v27 /*v283*/, v9 /*v265*/, 8, 8
	;; [unrolled: 1-line block ×3, first 2 shown]
	v_ashrrev_i32_e32 v9 /*v265*/, 24, v9 /*v265*/
	s_set_vgpr_msb 0x41                     ;  msbs: dst=1 src0=1 src1=0 src2=0
	v_mul_i32_i24_e32 v49 /*v305*/, v23 /*v279*/, v241
	v_mul_i32_i24_e32 v51 /*v307*/, v25 /*v281*/, v244
	s_set_vgpr_msb 0x55                     ;  msbs: dst=1 src0=1 src1=1 src2=1
	v_add3_u32 v30 /*v286*/, v30 /*v286*/, v52 /*v308*/, v50 /*v306*/
	s_set_vgpr_msb 0x41                     ;  msbs: dst=1 src0=1 src1=0 src2=0
	v_mul_i32_i24_e32 v43 /*v299*/, v17 /*v273*/, v205
	v_mul_i32_i24_e32 v45 /*v301*/, v19 /*v275*/, v207
	s_set_vgpr_msb 0x55                     ;  msbs: dst=1 src0=1 src1=1 src2=1
	v_add3_u32 v32 /*v288*/, v32 /*v288*/, v46 /*v302*/, v44 /*v300*/
	s_set_vgpr_msb 0x41                     ;  msbs: dst=1 src0=1 src1=0 src2=0
	v_mul_i32_i24_e32 v37 /*v293*/, v11 /*v267*/, v133
	v_mul_i32_i24_e32 v39 /*v295*/, v13 /*v269*/, v135
	;; [unrolled: 1-line block ×4, first 2 shown]
	s_set_vgpr_msb 0x55                     ;  msbs: dst=1 src0=1 src1=1 src2=1
	v_add3_u32 v0 /*v256*/, v0 /*v256*/, v4 /*v260*/, v12 /*v268*/
	s_set_vgpr_msb 0x41                     ;  msbs: dst=1 src0=1 src1=0 src2=0
	v_mul_i32_i24_e32 v53 /*v309*/, v26 /*v282*/, v245
	s_set_vgpr_msb 0x55                     ;  msbs: dst=1 src0=1 src1=1 src2=1
	v_mul_i32_i24_e32 v56 /*v312*/, v9 /*v265*/, v1 /*v257*/
	v_add3_u32 v30 /*v286*/, v30 /*v286*/, v49 /*v305*/, v51 /*v307*/
	s_set_vgpr_msb 0x41                     ;  msbs: dst=1 src0=1 src1=0 src2=0
	v_mul_i32_i24_e32 v47 /*v303*/, v20 /*v276*/, v208
	v_mul_i32_i24_e32 v50 /*v306*/, v7 /*v263*/, v210
	s_set_vgpr_msb 0x55                     ;  msbs: dst=1 src0=1 src1=1 src2=1
	v_add3_u32 v32 /*v288*/, v32 /*v288*/, v43 /*v299*/, v45 /*v301*/
	s_set_vgpr_msb 0x41                     ;  msbs: dst=1 src0=1 src1=0 src2=0
	v_mul_i32_i24_e32 v41 /*v297*/, v14 /*v270*/, v137
	v_mul_i32_i24_e32 v44 /*v300*/, v6 /*v262*/, v139
	;; [unrolled: 1-line block ×4, first 2 shown]
	s_set_vgpr_msb 0x55                     ;  msbs: dst=1 src0=1 src1=1 src2=1
	v_add3_u32 v0 /*v256*/, v0 /*v256*/, v11 /*v267*/, v13 /*v269*/
	s_set_vgpr_msb 0x41                     ;  msbs: dst=1 src0=1 src1=0 src2=0
	v_mul_i32_i24_e32 v54 /*v310*/, v27 /*v283*/, v246
	s_set_vgpr_msb 0x55                     ;  msbs: dst=1 src0=1 src1=1 src2=1
	v_mul_i32_i24_e32 v55 /*v311*/, v28 /*v284*/, v2 /*v258*/
	v_add3_u32 v30 /*v286*/, v30 /*v286*/, v56 /*v312*/, v53 /*v309*/
	s_set_vgpr_msb 0x41                     ;  msbs: dst=1 src0=1 src1=0 src2=0
	v_mul_i32_i24_e32 v48 /*v304*/, v21 /*v277*/, v209
	v_mul_i32_i24_e32 v49 /*v305*/, v22 /*v278*/, v211
	s_set_vgpr_msb 0x55                     ;  msbs: dst=1 src0=1 src1=1 src2=1
	v_add3_u32 v32 /*v288*/, v32 /*v288*/, v50 /*v306*/, v47 /*v303*/
	s_set_vgpr_msb 0x41                     ;  msbs: dst=1 src0=1 src1=0 src2=0
	v_mul_i32_i24_e32 v42 /*v298*/, v15 /*v271*/, v138
	v_mul_i32_i24_e32 v43 /*v299*/, v16 /*v272*/, v131
	;; [unrolled: 1-line block ×4, first 2 shown]
	s_set_vgpr_msb 0x55                     ;  msbs: dst=1 src0=1 src1=1 src2=1
	v_add3_u32 v0 /*v256*/, v0 /*v256*/, v6 /*v262*/, v14 /*v270*/
	v_add3_u32 v30 /*v286*/, v30 /*v286*/, v54 /*v310*/, v55 /*v311*/
	s_set_vgpr_msb 0x41                     ;  msbs: dst=1 src0=1 src1=0 src2=0
	v_mul_i32_i24_e32 v52 /*v308*/, v24 /*v280*/, v212
	s_set_vgpr_msb 64                       ;  msbs: dst=1 src0=0 src1=0 src2=0
	v_mul_i32_i24_e32 v54 /*v310*/, v89, v214
	s_set_vgpr_msb 0x55                     ;  msbs: dst=1 src0=1 src1=1 src2=1
	v_add3_u32 v32 /*v288*/, v32 /*v288*/, v48 /*v304*/, v49 /*v305*/
	s_set_vgpr_msb 0x41                     ;  msbs: dst=1 src0=1 src1=0 src2=0
	v_mul_i32_i24_e32 v46 /*v302*/, v18 /*v274*/, v140
	v_mul_i32_i24_e32 v48 /*v304*/, v5 /*v261*/, v142
	v_mul_i32_i24_e32 v18 /*v274*/, v18 /*v274*/, v118
	v_mul_i32_i24_e32 v5 /*v261*/, v5 /*v261*/, v103
	s_set_vgpr_msb 0x55                     ;  msbs: dst=1 src0=1 src1=1 src2=1
	v_add3_u32 v0 /*v256*/, v0 /*v256*/, v15 /*v271*/, v16 /*v272*/
	s_set_vgpr_msb 0x41                     ;  msbs: dst=1 src0=1 src1=0 src2=0
	v_mul_i32_i24_e32 v51 /*v307*/, v23 /*v279*/, v213
	v_mul_i32_i24_e32 v53 /*v309*/, v25 /*v281*/, v215
	s_set_vgpr_msb 0x55                     ;  msbs: dst=1 src0=1 src1=1 src2=1
	v_add3_u32 v32 /*v288*/, v32 /*v288*/, v54 /*v310*/, v52 /*v308*/
	s_set_vgpr_msb 0x41                     ;  msbs: dst=1 src0=1 src1=0 src2=0
	v_mul_i32_i24_e32 v45 /*v301*/, v17 /*v273*/, v141
	v_mul_i32_i24_e32 v47 /*v303*/, v19 /*v275*/, v143
	v_mul_i32_i24_e32 v17 /*v273*/, v17 /*v273*/, v119
	v_mul_i32_i24_e32 v19 /*v275*/, v19 /*v275*/, v116
	s_set_vgpr_msb 0x55                     ;  msbs: dst=1 src0=1 src1=1 src2=1
	v_add3_u32 v0 /*v256*/, v0 /*v256*/, v5 /*v261*/, v18 /*v274*/
	s_set_vgpr_msb 0x41                     ;  msbs: dst=1 src0=1 src1=0 src2=0
	v_mul_i32_i24_e32 v55 /*v311*/, v26 /*v282*/, v216
	v_mul_i32_i24_e32 v58 /*v314*/, v9 /*v265*/, v252
	;; [unrolled: 12-line block ×3, first 2 shown]
	s_set_vgpr_msb 0x55                     ;  msbs: dst=1 src0=1 src1=1 src2=1
	v_add3_u32 v32 /*v288*/, v32 /*v288*/, v58 /*v314*/, v55 /*v311*/
	s_set_vgpr_msb 0x41                     ;  msbs: dst=1 src0=1 src1=0 src2=0
	v_mul_i32_i24_e32 v50 /*v306*/, v21 /*v277*/, v145
	v_mul_i32_i24_e32 v51 /*v307*/, v22 /*v278*/, v147
	;; [unrolled: 1-line block ×4, first 2 shown]
	s_set_vgpr_msb 0x55                     ;  msbs: dst=1 src0=1 src1=1 src2=1
	v_add3_u32 v0 /*v256*/, v0 /*v256*/, v7 /*v263*/, v20 /*v276*/
	v_add3_u32 v32 /*v288*/, v32 /*v288*/, v56 /*v312*/, v57 /*v313*/
	s_set_vgpr_msb 0x41                     ;  msbs: dst=1 src0=1 src1=0 src2=0
	v_mul_i32_i24_e32 v54 /*v310*/, v24 /*v280*/, v148
	s_set_vgpr_msb 64                       ;  msbs: dst=1 src0=0 src1=0 src2=0
	v_mul_i32_i24_e32 v56 /*v312*/, v89, v150
	s_set_vgpr_msb 0x41                     ;  msbs: dst=1 src0=1 src1=0 src2=0
	v_mul_i32_i24_e32 v24 /*v280*/, v24 /*v280*/, v126
	s_set_vgpr_msb 0                        ;  msbs: dst=0 src0=0 src1=0 src2=0
	v_mul_i32_i24_e32 v89, v89, v102
	s_set_vgpr_msb 0x55                     ;  msbs: dst=1 src0=1 src1=1 src2=1
	v_add3_u32 v0 /*v256*/, v0 /*v256*/, v21 /*v277*/, v22 /*v278*/
	s_set_vgpr_msb 0x41                     ;  msbs: dst=1 src0=1 src1=0 src2=0
	v_mul_i32_i24_e32 v53 /*v309*/, v23 /*v279*/, v149
	v_mul_i32_i24_e32 v55 /*v311*/, v25 /*v281*/, v151
	;; [unrolled: 1-line block ×4, first 2 shown]
	s_set_vgpr_msb 17                       ;  msbs: dst=0 src0=1 src1=0 src2=1
	v_add3_u32 v89, v0 /*v256*/, v89, v24 /*v280*/
	s_set_vgpr_msb 0x41                     ;  msbs: dst=1 src0=1 src1=0 src2=0
	v_mul_i32_i24_e32 v57 /*v313*/, v26 /*v282*/, v153
	v_mul_i32_i24_e32 v60 /*v316*/, v9 /*v265*/, v154
	;; [unrolled: 1-line block ×4, first 2 shown]
	s_set_vgpr_msb 20                       ;  msbs: dst=0 src0=0 src1=1 src2=1
	v_add3_u32 v89, v89, v23 /*v279*/, v25 /*v281*/
	s_set_vgpr_msb 0x41                     ;  msbs: dst=1 src0=1 src1=0 src2=0
	v_mul_i32_i24_e32 v58 /*v314*/, v27 /*v283*/, v152
	v_mul_i32_i24_e32 v59 /*v315*/, v28 /*v284*/, v155
	;; [unrolled: 1-line block ×4, first 2 shown]
	s_set_vgpr_msb 20                       ;  msbs: dst=0 src0=0 src1=1 src2=1
	v_add3_u32 v89, v89, v9 /*v265*/, v26 /*v282*/
	s_set_vgpr_msb 0x55                     ;  msbs: dst=1 src0=1 src1=1 src2=1
	v_add3_u32 v34 /*v290*/, v34 /*v290*/, v35 /*v291*/, v36 /*v292*/
	s_set_vgpr_msb 0                        ;  msbs: dst=0 src0=0 src1=0 src2=0
	v_bfe_i32 v255, v88, 0, 8
	v_bfe_i32 v247, v88, 8, 8
	s_set_vgpr_msb 0x54                     ;  msbs: dst=1 src0=0 src1=1 src2=1
	v_add3_u32 v0 /*v256*/, v89, v27 /*v283*/, v28 /*v284*/
	s_set_vgpr_msb 0                        ;  msbs: dst=0 src0=0 src1=0 src2=0
	v_add_nc_u32_e32 v89, 0xc04, v85
	s_set_vgpr_msb 0x55                     ;  msbs: dst=1 src0=1 src1=1 src2=1
	v_add3_u32 v34 /*v290*/, v34 /*v290*/, v40 /*v296*/, v38 /*v294*/
	s_set_vgpr_msb 64                       ;  msbs: dst=1 src0=0 src1=0 src2=0
	v_mul_i32_i24_e32 v29 /*v285*/, v255, v222
	v_mul_i32_i24_e32 v31 /*v287*/, v255, v193
	;; [unrolled: 1-line block ×3, first 2 shown]
	ds_load_2addr_b32 v[4:5] /*v[260:261]*/, v89 offset1:1
	s_set_vgpr_msb 0                        ;  msbs: dst=0 src0=0 src1=0 src2=0
	v_add_nc_u32_e32 v89, 0xc14, v85
	s_set_vgpr_msb 0x55                     ;  msbs: dst=1 src0=1 src1=1 src2=1
	v_add3_u32 v34 /*v290*/, v34 /*v290*/, v37 /*v293*/, v39 /*v295*/
	s_set_vgpr_msb 0                        ;  msbs: dst=0 src0=0 src1=0 src2=0
	v_mul_i32_i24_e32 v255, v121, v255
	s_set_vgpr_msb 64                       ;  msbs: dst=1 src0=0 src1=0 src2=0
	ds_load_2addr_b32 v[6:7] /*v[262:263]*/, v89 offset1:1
	s_set_vgpr_msb 0                        ;  msbs: dst=0 src0=0 src1=0 src2=0
	v_add_nc_u32_e32 v89, 0xc00, v85
	s_set_vgpr_msb 64                       ;  msbs: dst=1 src0=0 src1=0 src2=0
	ds_load_2addr_b32 v[8:9] /*v[264:265]*/, v89 offset1:3
	ds_load_2addr_b32 v[10:11] /*v[266:267]*/, v89 offset0:4 offset1:7
	s_set_vgpr_msb 0x55                     ;  msbs: dst=1 src0=1 src1=1 src2=1
	v_add3_u32 v34 /*v290*/, v34 /*v290*/, v44 /*v300*/, v41 /*v297*/
	s_delay_alu instid0(VALU_DEP_1)
	v_add3_u32 v34 /*v290*/, v34 /*v290*/, v42 /*v298*/, v43 /*v299*/
	s_wait_dscnt 0x3
	v_bfe_i32 v17 /*v273*/, v4 /*v260*/, 8, 8
	v_ashrrev_i32_e32 v19 /*v275*/, 24, v4 /*v260*/
	v_bfe_i32 v23 /*v279*/, v5 /*v261*/, 0, 8
	v_add3_u32 v34 /*v290*/, v34 /*v290*/, v48 /*v304*/, v46 /*v302*/
	v_bfe_i32 v24 /*v280*/, v5 /*v261*/, 8, 8
	v_bfe_i32 v25 /*v281*/, v5 /*v261*/, 16, 8
	v_ashrrev_i32_e32 v26 /*v282*/, 24, v5 /*v261*/
	v_bfe_i32 v16 /*v272*/, v4 /*v260*/, 0, 8
	v_add3_u32 v34 /*v290*/, v34 /*v290*/, v45 /*v301*/, v47 /*v303*/
	v_bfe_i32 v18 /*v274*/, v4 /*v260*/, 16, 8
	s_wait_dscnt 0x2
	v_bfe_i32 v20 /*v276*/, v6 /*v262*/, 0, 8
	v_bfe_i32 v21 /*v277*/, v6 /*v262*/, 8, 8
	s_wait_dscnt 0x0
	v_bfe_i32 v14 /*v270*/, v10 /*v266*/, 8, 8
	v_bfe_i32 v13 /*v269*/, v10 /*v266*/, 0, 8
	v_bfe_i32 v15 /*v271*/, v10 /*v266*/, 16, 8
	v_ashrrev_i32_e32 v10 /*v266*/, 24, v10 /*v266*/
	v_bfe_i32 v22 /*v278*/, v6 /*v262*/, 16, 8
	s_set_vgpr_msb 1                        ;  msbs: dst=0 src0=1 src1=0 src2=0
	v_mul_i32_i24_e32 v89, v14 /*v270*/, v224
	s_set_vgpr_msb 0x44                     ;  msbs: dst=1 src0=0 src1=1 src2=0
	v_ashrrev_i32_e32 v6 /*v262*/, 24, v6 /*v262*/
	s_set_vgpr_msb 0x41                     ;  msbs: dst=1 src0=1 src1=0 src2=0
	v_mul_i32_i24_e32 v5 /*v261*/, v15 /*v271*/, v221
	v_mul_i32_i24_e32 v42 /*v298*/, v10 /*v266*/, v225
	v_mul_i32_i24_e32 v44 /*v300*/, v17 /*v273*/, v227
	s_set_vgpr_msb 1                        ;  msbs: dst=0 src0=1 src1=0 src2=0
	v_mad_i32_i24 v89, v13 /*v269*/, v218, v89
	s_set_vgpr_msb 0x41                     ;  msbs: dst=1 src0=1 src1=0 src2=0
	v_mul_i32_i24_e32 v46 /*v302*/, v19 /*v275*/, v229
	s_set_vgpr_msb 0x55                     ;  msbs: dst=1 src0=1 src1=1 src2=1
	v_add3_u32 v34 /*v290*/, v34 /*v290*/, v52 /*v308*/, v49 /*v305*/
	s_set_vgpr_msb 0x41                     ;  msbs: dst=1 src0=1 src1=0 src2=0
	v_mul_i32_i24_e32 v43 /*v299*/, v16 /*v272*/, v226
	v_mul_i32_i24_e32 v45 /*v301*/, v18 /*v274*/, v228
	s_set_vgpr_msb 20                       ;  msbs: dst=0 src0=0 src1=1 src2=1
	v_add3_u32 v89, v89, v5 /*v261*/, v42 /*v298*/
	s_set_vgpr_msb 0x41                     ;  msbs: dst=1 src0=1 src1=0 src2=0
	v_mul_i32_i24_e32 v47 /*v303*/, v20 /*v276*/, v230
	s_set_vgpr_msb 0x55                     ;  msbs: dst=1 src0=1 src1=1 src2=1
	v_add3_u32 v34 /*v290*/, v34 /*v290*/, v50 /*v306*/, v51 /*v307*/
	s_set_vgpr_msb 0x41                     ;  msbs: dst=1 src0=1 src1=0 src2=0
	v_mul_i32_i24_e32 v50 /*v306*/, v6 /*v262*/, v232
	v_mul_i32_i24_e32 v48 /*v304*/, v21 /*v277*/, v231
	s_set_vgpr_msb 20                       ;  msbs: dst=0 src0=0 src1=1 src2=1
	v_add3_u32 v89, v89, v46 /*v302*/, v44 /*v300*/
	s_set_vgpr_msb 0x41                     ;  msbs: dst=1 src0=1 src1=0 src2=0
	v_mul_i32_i24_e32 v49 /*v305*/, v22 /*v278*/, v223
	s_set_vgpr_msb 0x55                     ;  msbs: dst=1 src0=1 src1=1 src2=1
	v_add3_u32 v34 /*v290*/, v34 /*v290*/, v56 /*v312*/, v54 /*v310*/
	v_bfe_i32 v27 /*v283*/, v7 /*v263*/, 0, 8
	v_bfe_i32 v28 /*v284*/, v7 /*v263*/, 8, 8
	s_set_vgpr_msb 20                       ;  msbs: dst=0 src0=0 src1=1 src2=1
	v_add3_u32 v89, v89, v43 /*v299*/, v45 /*v301*/
	s_set_vgpr_msb 0x55                     ;  msbs: dst=1 src0=1 src1=1 src2=1
	v_bfe_i32 v35 /*v291*/, v7 /*v263*/, 16, 8
	v_add3_u32 v34 /*v290*/, v34 /*v290*/, v53 /*v309*/, v55 /*v311*/
	v_ashrrev_i32_e32 v7 /*v263*/, 24, v7 /*v263*/
	s_set_vgpr_msb 0x41                     ;  msbs: dst=1 src0=1 src1=0 src2=0
	v_mul_i32_i24_e32 v52 /*v308*/, v24 /*v280*/, v234
	s_set_vgpr_msb 20                       ;  msbs: dst=0 src0=0 src1=1 src2=1
	v_add3_u32 v89, v89, v50 /*v306*/, v47 /*v303*/
	s_set_vgpr_msb 0x41                     ;  msbs: dst=1 src0=1 src1=0 src2=0
	v_mul_i32_i24_e32 v54 /*v310*/, v26 /*v282*/, v235
	s_set_vgpr_msb 0x55                     ;  msbs: dst=1 src0=1 src1=1 src2=1
	v_add3_u32 v34 /*v290*/, v34 /*v290*/, v60 /*v316*/, v57 /*v313*/
	s_set_vgpr_msb 0x41                     ;  msbs: dst=1 src0=1 src1=0 src2=0
	v_mul_i32_i24_e32 v51 /*v307*/, v23 /*v279*/, v233
	v_mul_i32_i24_e32 v53 /*v309*/, v25 /*v281*/, v236
	s_set_vgpr_msb 20                       ;  msbs: dst=0 src0=0 src1=1 src2=1
	v_add3_u32 v89, v89, v48 /*v304*/, v49 /*v305*/
	s_set_vgpr_msb 0x41                     ;  msbs: dst=1 src0=1 src1=0 src2=0
	v_mul_i32_i24_e32 v55 /*v311*/, v27 /*v283*/, v237
	s_set_vgpr_msb 0x55                     ;  msbs: dst=1 src0=1 src1=1 src2=1
	v_add3_u32 v34 /*v290*/, v34 /*v290*/, v58 /*v314*/, v59 /*v315*/
	s_set_vgpr_msb 0x41                     ;  msbs: dst=1 src0=1 src1=0 src2=0
	v_mul_i32_i24_e32 v58 /*v314*/, v7 /*v263*/, v239
	v_bfe_i32 v36 /*v292*/, v9 /*v265*/, 0, 8
	s_set_vgpr_msb 20                       ;  msbs: dst=0 src0=0 src1=1 src2=1
	v_add3_u32 v89, v89, v54 /*v310*/, v52 /*v308*/
	s_set_vgpr_msb 0x41                     ;  msbs: dst=1 src0=1 src1=0 src2=0
	v_bfe_i32 v37 /*v293*/, v9 /*v265*/, 8, 8
	v_bfe_i32 v38 /*v294*/, v9 /*v265*/, 16, 8
	s_set_vgpr_msb 0x44                     ;  msbs: dst=1 src0=0 src1=1 src2=0
	v_ashrrev_i32_e32 v9 /*v265*/, 24, v9 /*v265*/
	s_set_vgpr_msb 0x41                     ;  msbs: dst=1 src0=1 src1=0 src2=0
	v_mul_i32_i24_e32 v56 /*v312*/, v28 /*v284*/, v238
	s_set_vgpr_msb 20                       ;  msbs: dst=0 src0=0 src1=1 src2=1
	v_add3_u32 v89, v89, v51 /*v307*/, v53 /*v309*/
	s_set_vgpr_msb 0x41                     ;  msbs: dst=1 src0=1 src1=0 src2=0
	v_mul_i32_i24_e32 v57 /*v313*/, v35 /*v291*/, v240
	v_bfe_i32 v39 /*v295*/, v11 /*v267*/, 0, 8
	v_bfe_i32 v40 /*v296*/, v11 /*v267*/, 8, 8
	;; [unrolled: 1-line block ×3, first 2 shown]
	s_set_vgpr_msb 20                       ;  msbs: dst=0 src0=0 src1=1 src2=1
	v_add3_u32 v89, v89, v58 /*v314*/, v55 /*v311*/
	s_set_vgpr_msb 0x44                     ;  msbs: dst=1 src0=0 src1=1 src2=0
	v_ashrrev_i32_e32 v11 /*v267*/, 24, v11 /*v267*/
	s_set_vgpr_msb 0x41                     ;  msbs: dst=1 src0=1 src1=0 src2=0
	v_mul_i32_i24_e32 v60 /*v316*/, v37 /*v293*/, v242
	v_mul_i32_i24_e32 v62 /*v318*/, v9 /*v265*/, v243
	;; [unrolled: 1-line block ×3, first 2 shown]
	s_set_vgpr_msb 20                       ;  msbs: dst=0 src0=0 src1=1 src2=1
	v_add3_u32 v89, v89, v56 /*v312*/, v57 /*v313*/
	s_set_vgpr_msb 0x41                     ;  msbs: dst=1 src0=1 src1=0 src2=0
	v_mul_i32_i24_e32 v61 /*v317*/, v38 /*v294*/, v244
	v_mul_i32_i24_e32 v63 /*v319*/, v39 /*v295*/, v245
	s_set_vgpr_msb 0x45                     ;  msbs: dst=1 src0=1 src1=1 src2=0
	v_mul_i32_i24_e32 v66 /*v322*/, v11 /*v267*/, v1 /*v257*/
	v_bfe_i32 v3 /*v259*/, v8 /*v264*/, 0, 8
	s_set_vgpr_msb 20                       ;  msbs: dst=0 src0=0 src1=1 src2=1
	v_add3_u32 v89, v89, v62 /*v318*/, v60 /*v316*/
	s_set_vgpr_msb 0x41                     ;  msbs: dst=1 src0=1 src1=0 src2=0
	v_bfe_i32 v12 /*v268*/, v8 /*v264*/, 8, 8
	v_mul_i32_i24_e32 v64 /*v320*/, v40 /*v296*/, v246
	s_set_vgpr_msb 0x45                     ;  msbs: dst=1 src0=1 src1=1 src2=0
	v_mul_i32_i24_e32 v65 /*v321*/, v41 /*v297*/, v2 /*v258*/
	s_set_vgpr_msb 0x41                     ;  msbs: dst=1 src0=1 src1=0 src2=0
	v_mul_i32_i24_e32 v4 /*v260*/, v3 /*v259*/, v222
	s_set_vgpr_msb 20                       ;  msbs: dst=0 src0=0 src1=1 src2=1
	v_add3_u32 v89, v89, v59 /*v315*/, v61 /*v317*/
	s_set_vgpr_msb 0x41                     ;  msbs: dst=1 src0=1 src1=0 src2=0
	v_bfe_i32 v42 /*v298*/, v8 /*v264*/, 16, 8
	s_set_vgpr_msb 0x44                     ;  msbs: dst=1 src0=0 src1=1 src2=0
	v_bfe_i32 v43 /*v299*/, v88, 16, 8
	v_ashrrev_i32_e32 v8 /*v264*/, 24, v8 /*v264*/
	s_set_vgpr_msb 64                       ;  msbs: dst=1 src0=0 src1=0 src2=0
	v_ashrrev_i32_e32 v44 /*v300*/, 24, v88
	s_set_vgpr_msb 20                       ;  msbs: dst=0 src0=0 src1=1 src2=1
	v_add3_u32 v89, v89, v66 /*v322*/, v63 /*v319*/
	s_set_vgpr_msb 64                       ;  msbs: dst=1 src0=0 src1=0 src2=0
	v_mul_i32_i24_e32 v45 /*v301*/, v247, v189
	s_set_vgpr_msb 0x41                     ;  msbs: dst=1 src0=1 src1=0 src2=0
	v_mul_i32_i24_e32 v46 /*v302*/, v12 /*v268*/, v189
	s_set_vgpr_msb 0                        ;  msbs: dst=0 src0=0 src1=0 src2=0
	v_cvt_f32_f16_e32 v88, v90
	v_lshrrev_b32_e32 v90, 16, v90
	s_set_vgpr_msb 0x54                     ;  msbs: dst=1 src0=0 src1=1 src2=1
	v_add3_u32 v5 /*v261*/, v89, v64 /*v320*/, v65 /*v321*/
	s_set_vgpr_msb 0                        ;  msbs: dst=0 src0=0 src1=0 src2=0
	v_cvt_f32_f16_e32 v89, v91
	v_lshrrev_b32_e32 v91, 16, v91
	s_set_vgpr_msb 0x44                     ;  msbs: dst=1 src0=0 src1=1 src2=0
	v_mul_i32_i24_e32 v47 /*v303*/, v254, v43 /*v299*/
	v_mul_i32_i24_e32 v48 /*v304*/, v254, v42 /*v298*/
	;; [unrolled: 1-line block ×4, first 2 shown]
	s_set_vgpr_msb 0x55                     ;  msbs: dst=1 src0=1 src1=1 src2=1
	v_add3_u32 v4 /*v260*/, v5 /*v261*/, v4 /*v260*/, v46 /*v302*/
	v_add3_u32 v5 /*v261*/, v30 /*v286*/, v29 /*v285*/, v45 /*v301*/
	s_set_vgpr_msb 0                        ;  msbs: dst=0 src0=0 src1=0 src2=0
	v_cvt_f32_f16_e32 v91, v91
	v_cvt_f32_f16_e32 v90, v90
	s_set_vgpr_msb 0x41                     ;  msbs: dst=1 src0=1 src1=0 src2=0
	v_mul_i32_i24_e32 v30 /*v286*/, v10 /*v266*/, v196
	s_set_vgpr_msb 0x55                     ;  msbs: dst=1 src0=1 src1=1 src2=1
	v_add3_u32 v4 /*v260*/, v4 /*v260*/, v48 /*v304*/, v50 /*v306*/
	v_add3_u32 v29 /*v285*/, v5 /*v261*/, v47 /*v303*/, v49 /*v305*/
	s_set_vgpr_msb 0x41                     ;  msbs: dst=1 src0=1 src1=0 src2=0
	v_mul_i32_i24_e32 v46 /*v302*/, v17 /*v273*/, v198
	s_set_vgpr_msb 0                        ;  msbs: dst=0 src0=0 src1=0 src2=0
	v_pk_mul_f32 v[90:91], v[90:91], s[12:13] op_sel_hi:[1,0]
	s_set_vgpr_msb 0x41                     ;  msbs: dst=1 src0=1 src1=0 src2=0
	v_mul_i32_i24_e32 v48 /*v304*/, v19 /*v275*/, v200
	v_cvt_f32_i32_e32 v5 /*v261*/, v4 /*v260*/
	v_cvt_f32_i32_e32 v4 /*v260*/, v29 /*v285*/
	v_mul_i32_i24_e32 v29 /*v285*/, v15 /*v271*/, v192
	v_mul_i32_i24_e32 v45 /*v301*/, v16 /*v272*/, v197
	;; [unrolled: 1-line block ×4, first 2 shown]
	s_set_vgpr_msb 0x44                     ;  msbs: dst=1 src0=0 src1=1 src2=0
	v_pk_fma_f32 v[4:5] /*v[260:261]*/, v[88:89], v[4:5] /*v[260:261]*/, v[90:91] neg_lo:[0,0,1] neg_hi:[0,0,1]
	s_set_vgpr_msb 0x41                     ;  msbs: dst=1 src0=1 src1=0 src2=0
	v_mul_i32_i24_e32 v52 /*v308*/, v6 /*v262*/, v203
	v_mul_i32_i24_e32 v50 /*v306*/, v21 /*v277*/, v202
	;; [unrolled: 1-line block ×4, first 2 shown]
	s_set_vgpr_msb 4                        ;  msbs: dst=0 src0=0 src1=1 src2=0
	v_pk_fma_f32 v[46:47], v[84:85], v[4:5] /*v[260:261]*/, v[46:47] op_sel_hi:[0,1,1]
	s_set_vgpr_msb 0x51                     ;  msbs: dst=1 src0=1 src1=0 src2=1
	v_mul_i32_i24_e32 v5 /*v261*/, v14 /*v270*/, v195
	v_mul_i32_i24_e32 v56 /*v312*/, v26 /*v282*/, v206
	;; [unrolled: 1-line block ×5, first 2 shown]
	v_mad_i32_i24 v5 /*v261*/, v13 /*v269*/, v191, v5 /*v261*/
	v_mul_i32_i24_e32 v60 /*v316*/, v7 /*v263*/, v210
	v_mul_i32_i24_e32 v58 /*v314*/, v28 /*v284*/, v209
	;; [unrolled: 1-line block ×4, first 2 shown]
	s_set_vgpr_msb 0x55                     ;  msbs: dst=1 src0=1 src1=1 src2=1
	v_add3_u32 v5 /*v261*/, v5 /*v261*/, v29 /*v285*/, v30 /*v286*/
	s_set_vgpr_msb 0x41                     ;  msbs: dst=1 src0=1 src1=0 src2=0
	v_mul_i32_i24_e32 v64 /*v320*/, v9 /*v265*/, v214
	v_mul_i32_i24_e32 v61 /*v317*/, v36 /*v292*/, v213
	;; [unrolled: 1-line block ×4, first 2 shown]
	s_set_vgpr_msb 0x55                     ;  msbs: dst=1 src0=1 src1=1 src2=1
	v_add3_u32 v5 /*v261*/, v5 /*v261*/, v48 /*v304*/, v46 /*v302*/
	s_set_vgpr_msb 0x41                     ;  msbs: dst=1 src0=1 src1=0 src2=0
	v_mul_i32_i24_e32 v68 /*v324*/, v11 /*v267*/, v252
	v_mul_i32_i24_e32 v66 /*v322*/, v40 /*v296*/, v217
	;; [unrolled: 1-line block ×4, first 2 shown]
	s_set_vgpr_msb 0x55                     ;  msbs: dst=1 src0=1 src1=1 src2=1
	v_add3_u32 v5 /*v261*/, v5 /*v261*/, v45 /*v301*/, v47 /*v303*/
	s_set_vgpr_msb 64                       ;  msbs: dst=1 src0=0 src1=0 src2=0
	v_mul_i32_i24_e32 v29 /*v285*/, v247, v190
	s_set_vgpr_msb 0x41                     ;  msbs: dst=1 src0=1 src1=0 src2=0
	v_mul_i32_i24_e32 v30 /*v286*/, v12 /*v268*/, v190
	s_set_vgpr_msb 0x44                     ;  msbs: dst=1 src0=0 src1=1 src2=0
	v_mul_i32_i24_e32 v45 /*v301*/, v249, v43 /*v299*/
	v_mul_i32_i24_e32 v46 /*v302*/, v249, v42 /*v298*/
	s_set_vgpr_msb 0x55                     ;  msbs: dst=1 src0=1 src1=1 src2=1
	v_add3_u32 v5 /*v261*/, v5 /*v261*/, v52 /*v308*/, v49 /*v305*/
	s_set_vgpr_msb 0x44                     ;  msbs: dst=1 src0=0 src1=1 src2=0
	v_mul_i32_i24_e32 v47 /*v303*/, v248, v44 /*v300*/
	v_mul_i32_i24_e32 v48 /*v304*/, v248, v8 /*v264*/
	s_set_vgpr_msb 0x41                     ;  msbs: dst=1 src0=1 src1=0 src2=0
	v_mul_i32_i24_e32 v49 /*v305*/, v22 /*v278*/, v131
	v_mul_i32_i24_e32 v52 /*v308*/, v24 /*v280*/, v140
	s_set_vgpr_msb 0x55                     ;  msbs: dst=1 src0=1 src1=1 src2=1
	v_add3_u32 v5 /*v261*/, v5 /*v261*/, v50 /*v306*/, v51 /*v307*/
	s_set_vgpr_msb 0x41                     ;  msbs: dst=1 src0=1 src1=0 src2=0
	v_mul_i32_i24_e32 v50 /*v306*/, v6 /*v262*/, v139
	v_mul_i32_i24_e32 v51 /*v307*/, v23 /*v279*/, v141
	;; [unrolled: 1-line block ×3, first 2 shown]
	s_set_vgpr_msb 0x55                     ;  msbs: dst=1 src0=1 src1=1 src2=1
	v_add3_u32 v5 /*v261*/, v5 /*v261*/, v56 /*v312*/, v54 /*v310*/
	s_set_vgpr_msb 0x41                     ;  msbs: dst=1 src0=1 src1=0 src2=0
	v_mul_i32_i24_e32 v54 /*v310*/, v26 /*v282*/, v142
	v_mul_i32_i24_e32 v56 /*v312*/, v28 /*v284*/, v145
	s_set_vgpr_msb 0x55                     ;  msbs: dst=1 src0=1 src1=1 src2=1
	v_add3_u32 v5 /*v261*/, v5 /*v261*/, v53 /*v309*/, v55 /*v311*/
	s_set_vgpr_msb 0x41                     ;  msbs: dst=1 src0=1 src1=0 src2=0
	v_mul_i32_i24_e32 v53 /*v309*/, v25 /*v281*/, v143
	v_mul_i32_i24_e32 v55 /*v311*/, v27 /*v283*/, v144
	;; [unrolled: 5-line block ×4, first 2 shown]
	v_mul_i32_i24_e32 v7 /*v263*/, v7 /*v263*/, v104
	s_set_vgpr_msb 0x55                     ;  msbs: dst=1 src0=1 src1=1 src2=1
	v_add3_u32 v5 /*v261*/, v5 /*v261*/, v64 /*v320*/, v62 /*v318*/
	s_set_vgpr_msb 0x41                     ;  msbs: dst=1 src0=1 src1=0 src2=0
	v_mul_i32_i24_e32 v62 /*v318*/, v9 /*v265*/, v150
	v_mul_i32_i24_e32 v64 /*v320*/, v40 /*v296*/, v152
	v_mul_i32_i24_e32 v9 /*v265*/, v9 /*v265*/, v102
	s_set_vgpr_msb 0x55                     ;  msbs: dst=1 src0=1 src1=1 src2=1
	v_add3_u32 v5 /*v261*/, v5 /*v261*/, v61 /*v317*/, v63 /*v319*/
	s_set_vgpr_msb 0x41                     ;  msbs: dst=1 src0=1 src1=0 src2=0
	v_mul_i32_i24_e32 v61 /*v317*/, v38 /*v294*/, v151
	v_mul_i32_i24_e32 v63 /*v319*/, v39 /*v295*/, v153
	s_set_vgpr_msb 0x55                     ;  msbs: dst=1 src0=1 src1=1 src2=1
	v_add3_u32 v5 /*v261*/, v5 /*v261*/, v68 /*v324*/, v65 /*v321*/
	s_set_vgpr_msb 0x41                     ;  msbs: dst=1 src0=1 src1=0 src2=0
	v_mul_i32_i24_e32 v65 /*v321*/, v41 /*v297*/, v155
	s_set_vgpr_msb 0x55                     ;  msbs: dst=1 src0=1 src1=1 src2=1
	s_delay_alu instid0(VALU_DEP_2)
	v_add3_u32 v5 /*v261*/, v5 /*v261*/, v66 /*v322*/, v67 /*v323*/
	s_set_vgpr_msb 0x41                     ;  msbs: dst=1 src0=1 src1=0 src2=0
	v_mul_i32_i24_e32 v66 /*v322*/, v11 /*v267*/, v154
	v_mul_i32_i24_e32 v11 /*v267*/, v11 /*v267*/, v128
	s_set_vgpr_msb 0x55                     ;  msbs: dst=1 src0=1 src1=1 src2=1
	v_add3_u32 v4 /*v260*/, v5 /*v261*/, v4 /*v260*/, v30 /*v286*/
	v_add3_u32 v5 /*v261*/, v32 /*v288*/, v31 /*v287*/, v29 /*v285*/
	s_set_vgpr_msb 0x41                     ;  msbs: dst=1 src0=1 src1=0 src2=0
	v_mul_i32_i24_e32 v30 /*v286*/, v10 /*v266*/, v132
	v_mul_i32_i24_e32 v32 /*v288*/, v17 /*v273*/, v134
	;; [unrolled: 1-line block ×3, first 2 shown]
	s_set_vgpr_msb 0x55                     ;  msbs: dst=1 src0=1 src1=1 src2=1
	v_add3_u32 v4 /*v260*/, v4 /*v260*/, v46 /*v302*/, v48 /*v304*/
	v_add3_u32 v29 /*v285*/, v5 /*v261*/, v45 /*v301*/, v47 /*v303*/
	s_set_vgpr_msb 0x41                     ;  msbs: dst=1 src0=1 src1=0 src2=0
	v_mul_i32_i24_e32 v46 /*v302*/, v19 /*v275*/, v136
	v_mul_i32_i24_e32 v45 /*v301*/, v18 /*v274*/, v135
	;; [unrolled: 1-line block ×3, first 2 shown]
	v_cvt_f32_i32_e32 v5 /*v261*/, v4 /*v260*/
	v_cvt_f32_i32_e32 v4 /*v260*/, v29 /*v285*/
	v_mul_i32_i24_e32 v29 /*v285*/, v15 /*v271*/, v219
	v_mul_i32_i24_e32 v48 /*v304*/, v21 /*v277*/, v138
	s_set_vgpr_msb 0x44                     ;  msbs: dst=1 src0=0 src1=1 src2=0
	v_mul_i32_i24_e32 v10 /*v266*/, v99, v10 /*v266*/
	v_pk_fma_f32 v[4:5] /*v[260:261]*/, v[88:89], v[4:5] /*v[260:261]*/, v[90:91] neg_lo:[0,0,1] neg_hi:[0,0,1]
	s_set_vgpr_msb 4                        ;  msbs: dst=0 src0=0 src1=1 src2=0
	s_delay_alu instid0(VALU_DEP_1)
	v_pk_fma_f32 v[58:59], v[86:87], v[4:5] /*v[260:261]*/, v[58:59] op_sel_hi:[0,1,1]
	s_set_vgpr_msb 0x41                     ;  msbs: dst=1 src0=1 src1=0 src2=0
	v_mul_i32_i24_e32 v5 /*v261*/, v14 /*v270*/, v220
	s_set_vgpr_msb 0x44                     ;  msbs: dst=1 src0=0 src1=1 src2=0
	v_mul_i32_i24_e32 v4 /*v260*/, v250, v3 /*v259*/
	v_mul_i32_i24_e32 v3 /*v259*/, v121, v3 /*v259*/
	s_set_vgpr_msb 0x51                     ;  msbs: dst=1 src0=1 src1=0 src2=1
	v_mad_i32_i24 v5 /*v261*/, v13 /*v269*/, v130, v5 /*v261*/
	s_set_vgpr_msb 0x55                     ;  msbs: dst=1 src0=1 src1=1 src2=1
	s_delay_alu instid0(VALU_DEP_1)
	v_add3_u32 v5 /*v261*/, v5 /*v261*/, v29 /*v285*/, v30 /*v286*/
	s_set_vgpr_msb 64                       ;  msbs: dst=1 src0=0 src1=0 src2=0
	v_mul_i32_i24_e32 v29 /*v285*/, v247, v98
	s_set_vgpr_msb 0x41                     ;  msbs: dst=1 src0=1 src1=0 src2=0
	v_mul_i32_i24_e32 v30 /*v286*/, v12 /*v268*/, v98
	s_set_vgpr_msb 0                        ;  msbs: dst=0 src0=0 src1=0 src2=0
	v_mul_i32_i24_e32 v247, v247, v93
	s_set_vgpr_msb 0x55                     ;  msbs: dst=1 src0=1 src1=1 src2=1
	v_add3_u32 v5 /*v261*/, v5 /*v261*/, v46 /*v302*/, v32 /*v288*/
	s_set_vgpr_msb 0x44                     ;  msbs: dst=1 src0=0 src1=1 src2=0
	v_mul_i32_i24_e32 v32 /*v288*/, v120, v42 /*v298*/
	v_mul_i32_i24_e32 v46 /*v302*/, v117, v8 /*v264*/
	;; [unrolled: 1-line block ×3, first 2 shown]
	s_set_vgpr_msb 1                        ;  msbs: dst=0 src0=1 src1=0 src2=0
	v_add3_u32 v247, v0 /*v256*/, v255, v247
	s_set_vgpr_msb 0x55                     ;  msbs: dst=1 src0=1 src1=1 src2=1
	v_add3_u32 v5 /*v261*/, v5 /*v261*/, v31 /*v287*/, v45 /*v301*/
	s_set_vgpr_msb 0x44                     ;  msbs: dst=1 src0=0 src1=1 src2=0
	v_mul_i32_i24_e32 v31 /*v287*/, v120, v43 /*v299*/
	v_mul_i32_i24_e32 v45 /*v301*/, v117, v44 /*v300*/
	s_set_vgpr_msb 0x55                     ;  msbs: dst=1 src0=1 src1=1 src2=1
	v_add3_u32 v5 /*v261*/, v5 /*v261*/, v50 /*v306*/, v47 /*v303*/
	s_delay_alu instid0(VALU_DEP_1) | instskip(NEXT) | instid1(VALU_DEP_1)
	v_add3_u32 v5 /*v261*/, v5 /*v261*/, v48 /*v304*/, v49 /*v305*/
	v_add3_u32 v5 /*v261*/, v5 /*v261*/, v54 /*v310*/, v52 /*v308*/
	s_delay_alu instid0(VALU_DEP_1) | instskip(NEXT) | instid1(VALU_DEP_1)
	v_add3_u32 v5 /*v261*/, v5 /*v261*/, v51 /*v307*/, v53 /*v309*/
	;; [unrolled: 3-line block ×5, first 2 shown]
	v_add3_u32 v4 /*v260*/, v5 /*v261*/, v4 /*v260*/, v30 /*v286*/
	v_add3_u32 v5 /*v261*/, v34 /*v290*/, v33 /*v289*/, v29 /*v285*/
	s_set_vgpr_msb 0x41                     ;  msbs: dst=1 src0=1 src1=0 src2=0
	v_mul_i32_i24_e32 v30 /*v286*/, v38 /*v294*/, v125
	v_mul_i32_i24_e32 v33 /*v289*/, v41 /*v297*/, v129
	s_set_vgpr_msb 0x55                     ;  msbs: dst=1 src0=1 src1=1 src2=1
	v_add3_u32 v4 /*v260*/, v4 /*v260*/, v32 /*v288*/, v46 /*v302*/
	v_add3_u32 v29 /*v285*/, v5 /*v261*/, v31 /*v287*/, v45 /*v301*/
	s_set_vgpr_msb 0x41                     ;  msbs: dst=1 src0=1 src1=0 src2=0
	v_mul_i32_i24_e32 v31 /*v287*/, v39 /*v295*/, v107
	v_mul_i32_i24_e32 v32 /*v288*/, v40 /*v296*/, v105
	v_cvt_f32_i32_e32 v5 /*v261*/, v4 /*v260*/
	v_cvt_f32_i32_e32 v4 /*v260*/, v29 /*v285*/
	v_mul_i32_i24_e32 v29 /*v285*/, v37 /*v293*/, v126
	s_set_vgpr_msb 0x44                     ;  msbs: dst=1 src0=0 src1=1 src2=0
	s_delay_alu instid0(VALU_DEP_2) | instskip(SKIP_1) | instid1(VALU_DEP_1)
	v_pk_fma_f32 v[4:5] /*v[260:261]*/, v[88:89], v[4:5] /*v[260:261]*/, v[90:91] neg_lo:[0,0,1] neg_hi:[0,0,1]
	s_set_vgpr_msb 4                        ;  msbs: dst=0 src0=0 src1=1 src2=0
	v_pk_fma_f32 v[66:67], v[82:83], v[4:5] /*v[260:261]*/, v[66:67] op_sel_hi:[0,1,1]
	s_set_vgpr_msb 0x44                     ;  msbs: dst=1 src0=0 src1=1 src2=0
	v_mul_i32_i24_e32 v4 /*v260*/, v109, v14 /*v270*/
	v_mul_i32_i24_e32 v5 /*v261*/, v108, v15 /*v271*/
	s_set_vgpr_msb 0x41                     ;  msbs: dst=1 src0=1 src1=0 src2=0
	v_mul_i32_i24_e32 v15 /*v271*/, v17 /*v273*/, v111
	v_mul_i32_i24_e32 v17 /*v273*/, v19 /*v275*/, v100
	;; [unrolled: 1-line block ×3, first 2 shown]
	s_set_vgpr_msb 0x54                     ;  msbs: dst=1 src0=0 src1=1 src2=1
	v_mad_i32_i24 v4 /*v260*/, v106, v13 /*v269*/, v4 /*v260*/
	s_set_vgpr_msb 0x41                     ;  msbs: dst=1 src0=1 src1=0 src2=0
	v_mul_i32_i24_e32 v16 /*v272*/, v18 /*v274*/, v110
	v_mul_i32_i24_e32 v18 /*v274*/, v20 /*v276*/, v115
	v_mul_i32_i24_e32 v19 /*v275*/, v21 /*v277*/, v114
	v_mul_i32_i24_e32 v20 /*v276*/, v22 /*v278*/, v113
	s_set_vgpr_msb 0x55                     ;  msbs: dst=1 src0=1 src1=1 src2=1
	v_add3_u32 v4 /*v260*/, v4 /*v260*/, v5 /*v261*/, v10 /*v266*/
	s_set_vgpr_msb 0x41                     ;  msbs: dst=1 src0=1 src1=0 src2=0
	v_mul_i32_i24_e32 v22 /*v278*/, v24 /*v280*/, v118
	v_mul_i32_i24_e32 v24 /*v280*/, v26 /*v282*/, v103
	v_mul_i32_i24_e32 v21 /*v277*/, v23 /*v279*/, v119
	v_mul_i32_i24_e32 v23 /*v279*/, v25 /*v281*/, v116
	s_set_vgpr_msb 0x55                     ;  msbs: dst=1 src0=1 src1=1 src2=1
	v_add3_u32 v4 /*v260*/, v4 /*v260*/, v17 /*v273*/, v15 /*v271*/
	;; [unrolled: 7-line block ×3, first 2 shown]
	s_set_vgpr_msb 0x41                     ;  msbs: dst=1 src0=1 src1=0 src2=0
	v_mul_i32_i24_e32 v5 /*v261*/, v12 /*v268*/, v93
	s_set_vgpr_msb 0x55                     ;  msbs: dst=1 src0=1 src1=1 src2=1
	s_delay_alu instid0(VALU_DEP_2) | instskip(SKIP_3) | instid1(VALU_DEP_2)
	v_add3_u32 v4 /*v260*/, v4 /*v260*/, v6 /*v262*/, v18 /*v274*/
	s_set_vgpr_msb 0x44                     ;  msbs: dst=1 src0=0 src1=1 src2=0
	v_mul_i32_i24_e32 v6 /*v262*/, v92, v43 /*v299*/
	s_set_vgpr_msb 0x55                     ;  msbs: dst=1 src0=1 src1=1 src2=1
	v_add3_u32 v4 /*v260*/, v4 /*v260*/, v19 /*v275*/, v20 /*v276*/
	s_delay_alu instid0(VALU_DEP_1) | instskip(NEXT) | instid1(VALU_DEP_1)
	v_add3_u32 v4 /*v260*/, v4 /*v260*/, v24 /*v280*/, v22 /*v278*/
	v_add3_u32 v4 /*v260*/, v4 /*v260*/, v21 /*v277*/, v23 /*v279*/
	s_delay_alu instid0(VALU_DEP_1) | instskip(SKIP_3) | instid1(VALU_DEP_2)
	v_add3_u32 v4 /*v260*/, v4 /*v260*/, v7 /*v263*/, v25 /*v281*/
	s_set_vgpr_msb 0x44                     ;  msbs: dst=1 src0=0 src1=1 src2=0
	v_mul_i32_i24_e32 v7 /*v263*/, v92, v42 /*v298*/
	s_set_vgpr_msb 0x55                     ;  msbs: dst=1 src0=1 src1=1 src2=1
	v_add3_u32 v4 /*v260*/, v4 /*v260*/, v26 /*v282*/, v27 /*v283*/
	s_delay_alu instid0(VALU_DEP_1) | instskip(SKIP_3) | instid1(VALU_DEP_2)
	v_add3_u32 v4 /*v260*/, v4 /*v260*/, v9 /*v265*/, v29 /*v285*/
	s_set_vgpr_msb 0x44                     ;  msbs: dst=1 src0=0 src1=1 src2=0
	v_mul_i32_i24_e32 v9 /*v265*/, v81, v44 /*v300*/
	s_set_vgpr_msb 0x55                     ;  msbs: dst=1 src0=1 src1=1 src2=1
	v_add3_u32 v4 /*v260*/, v4 /*v260*/, v28 /*v284*/, v30 /*v286*/
	s_set_vgpr_msb 20                       ;  msbs: dst=0 src0=0 src1=1 src2=1
	s_delay_alu instid0(VALU_DEP_2) | instskip(SKIP_1) | instid1(VALU_DEP_2)
	v_add3_u32 v247, v247, v6 /*v262*/, v9 /*v265*/
	s_set_vgpr_msb 0x55                     ;  msbs: dst=1 src0=1 src1=1 src2=1
	v_add3_u32 v4 /*v260*/, v4 /*v260*/, v11 /*v267*/, v31 /*v287*/
	s_delay_alu instid0(VALU_DEP_1) | instskip(NEXT) | instid1(VALU_DEP_1)
	v_add3_u32 v4 /*v260*/, v4 /*v260*/, v32 /*v288*/, v33 /*v289*/
	v_add3_u32 v3 /*v259*/, v4 /*v260*/, v3 /*v259*/, v5 /*v261*/
	s_set_vgpr_msb 64                       ;  msbs: dst=1 src0=0 src1=0 src2=0
	v_cvt_f32_i32_e32 v4 /*v260*/, v247
	s_set_vgpr_msb 21                       ;  msbs: dst=0 src0=1 src1=1 src2=1
	s_delay_alu instid0(VALU_DEP_2) | instskip(SKIP_1) | instid1(VALU_DEP_1)
	v_add3_u32 v255, v3 /*v259*/, v7 /*v263*/, v8 /*v264*/
	s_set_vgpr_msb 64                       ;  msbs: dst=1 src0=0 src1=0 src2=0
	v_cvt_f32_i32_e32 v5 /*v261*/, v255
	s_set_vgpr_msb 4                        ;  msbs: dst=0 src0=0 src1=1 src2=0
	s_delay_alu instid0(VALU_DEP_1) | instskip(SKIP_2) | instid1(VALU_DEP_2)
	v_pk_fma_f32 v[88:89], v[88:89], v[4:5] /*v[260:261]*/, v[90:91] neg_lo:[0,0,1] neg_hi:[0,0,1]
	s_set_vgpr_msb 0                        ;  msbs: dst=0 src0=0 src1=0 src2=0
	v_add_nc_u32_e32 v90, 0x1000, v85
	v_pk_fma_f32 v[72:73], v[80:81], v[88:89], v[72:73] op_sel_hi:[0,1,1]
	v_add_nc_u32_e32 v88, 0x1004, v85
	s_set_vgpr_msb 64                       ;  msbs: dst=1 src0=0 src1=0 src2=0
	ds_load_2addr_b32 v[4:5] /*v[260:261]*/, v88 offset1:1
	s_set_vgpr_msb 0                        ;  msbs: dst=0 src0=0 src1=0 src2=0
	v_add_nc_u32_e32 v88, 0x1014, v85
	s_set_vgpr_msb 64                       ;  msbs: dst=1 src0=0 src1=0 src2=0
	ds_load_2addr_b32 v[6:7] /*v[262:263]*/, v88 offset1:1
	s_set_vgpr_msb 0                        ;  msbs: dst=0 src0=0 src1=0 src2=0
	ds_load_2addr_b32 v[88:89], v90 offset1:3
	s_set_vgpr_msb 64                       ;  msbs: dst=1 src0=0 src1=0 src2=0
	ds_load_2addr_b32 v[8:9] /*v[264:265]*/, v90 offset0:4 offset1:7
	s_set_vgpr_msb 0                        ;  msbs: dst=0 src0=0 src1=0 src2=0
	ds_load_2addr_b32 v[90:91], v83 offset0:128 offset1:160
	s_wait_dscnt 0x4
	s_set_vgpr_msb 0x41                     ;  msbs: dst=1 src0=1 src1=0 src2=0
	v_bfe_i32 v11 /*v267*/, v4 /*v260*/, 0, 8
	v_bfe_i32 v12 /*v268*/, v4 /*v260*/, 8, 8
	;; [unrolled: 1-line block ×3, first 2 shown]
	s_set_vgpr_msb 0x44                     ;  msbs: dst=1 src0=0 src1=1 src2=0
	v_ashrrev_i32_e32 v4 /*v260*/, 24, v4 /*v260*/
	s_set_vgpr_msb 0x41                     ;  msbs: dst=1 src0=1 src1=0 src2=0
	v_bfe_i32 v17 /*v273*/, v5 /*v261*/, 0, 8
	v_bfe_i32 v18 /*v274*/, v5 /*v261*/, 8, 8
	s_wait_dscnt 0x1
	v_bfe_i32 v3 /*v259*/, v8 /*v264*/, 8, 8
	v_bfe_i32 v0 /*v256*/, v8 /*v264*/, 0, 8
	;; [unrolled: 1-line block ×3, first 2 shown]
	s_set_vgpr_msb 0x44                     ;  msbs: dst=1 src0=0 src1=1 src2=0
	v_ashrrev_i32_e32 v8 /*v264*/, 24, v8 /*v264*/
	s_set_vgpr_msb 0x41                     ;  msbs: dst=1 src0=1 src1=0 src2=0
	v_bfe_i32 v19 /*v275*/, v5 /*v261*/, 16, 8
	v_mul_i32_i24_e32 v30 /*v286*/, v3 /*v259*/, v224
	s_set_vgpr_msb 0x44                     ;  msbs: dst=1 src0=0 src1=1 src2=0
	v_ashrrev_i32_e32 v5 /*v261*/, 24, v5 /*v261*/
	s_set_vgpr_msb 0x51                     ;  msbs: dst=1 src0=1 src1=0 src2=1
	v_mul_i32_i24_e32 v31 /*v287*/, v10 /*v266*/, v221
	v_mul_i32_i24_e32 v32 /*v288*/, v8 /*v264*/, v225
	v_bfe_i32 v20 /*v276*/, v7 /*v263*/, 0, 8
	v_mad_i32_i24 v30 /*v286*/, v0 /*v256*/, v218, v30 /*v286*/
	v_bfe_i32 v21 /*v277*/, v7 /*v263*/, 8, 8
	v_bfe_i32 v22 /*v278*/, v7 /*v263*/, 16, 8
	s_set_vgpr_msb 0x44                     ;  msbs: dst=1 src0=0 src1=1 src2=0
	v_ashrrev_i32_e32 v7 /*v263*/, 24, v7 /*v263*/
	s_set_vgpr_msb 0x41                     ;  msbs: dst=1 src0=1 src1=0 src2=0
	v_mul_i32_i24_e32 v34 /*v290*/, v12 /*v268*/, v227
	v_mul_i32_i24_e32 v36 /*v292*/, v4 /*v260*/, v229
	s_set_vgpr_msb 0x55                     ;  msbs: dst=1 src0=1 src1=1 src2=1
	v_add3_u32 v30 /*v286*/, v30 /*v286*/, v31 /*v287*/, v32 /*v288*/
	v_bfe_i32 v14 /*v270*/, v6 /*v262*/, 0, 8
	v_bfe_i32 v15 /*v271*/, v6 /*v262*/, 8, 8
	;; [unrolled: 1-line block ×3, first 2 shown]
	v_ashrrev_i32_e32 v6 /*v262*/, 24, v6 /*v262*/
	s_set_vgpr_msb 0x41                     ;  msbs: dst=1 src0=1 src1=0 src2=0
	v_mul_i32_i24_e32 v33 /*v289*/, v11 /*v267*/, v226
	v_mul_i32_i24_e32 v35 /*v291*/, v13 /*v269*/, v228
	s_set_vgpr_msb 0x55                     ;  msbs: dst=1 src0=1 src1=1 src2=1
	v_add3_u32 v30 /*v286*/, v30 /*v286*/, v36 /*v292*/, v34 /*v290*/
	s_set_vgpr_msb 0x41                     ;  msbs: dst=1 src0=1 src1=0 src2=0
	v_mul_i32_i24_e32 v37 /*v293*/, v14 /*v270*/, v230
	v_mul_i32_i24_e32 v40 /*v296*/, v6 /*v262*/, v232
	;; [unrolled: 1-line block ×4, first 2 shown]
	s_set_vgpr_msb 0x55                     ;  msbs: dst=1 src0=1 src1=1 src2=1
	v_add3_u32 v30 /*v286*/, v30 /*v286*/, v33 /*v289*/, v35 /*v291*/
	s_set_vgpr_msb 0x51                     ;  msbs: dst=1 src0=1 src1=0 src2=1
	v_mul_i32_i24_e32 v39 /*v295*/, v16 /*v272*/, v223
	v_mul_i32_i24_e32 v33 /*v289*/, v10 /*v266*/, v192
	;; [unrolled: 1-line block ×3, first 2 shown]
	v_mad_i32_i24 v32 /*v288*/, v0 /*v256*/, v191, v32 /*v288*/
	s_set_vgpr_msb 0x55                     ;  msbs: dst=1 src0=1 src1=1 src2=1
	v_add3_u32 v30 /*v286*/, v30 /*v286*/, v40 /*v296*/, v37 /*v293*/
	s_set_vgpr_msb 0x41                     ;  msbs: dst=1 src0=1 src1=0 src2=0
	v_mul_i32_i24_e32 v42 /*v298*/, v18 /*v274*/, v234
	v_mul_i32_i24_e32 v44 /*v300*/, v5 /*v261*/, v235
	;; [unrolled: 1-line block ×3, first 2 shown]
	s_set_vgpr_msb 0x55                     ;  msbs: dst=1 src0=1 src1=1 src2=1
	v_add3_u32 v32 /*v288*/, v32 /*v288*/, v33 /*v289*/, v34 /*v290*/
	v_add3_u32 v30 /*v286*/, v30 /*v286*/, v38 /*v294*/, v39 /*v295*/
	s_set_vgpr_msb 0x41                     ;  msbs: dst=1 src0=1 src1=0 src2=0
	v_mul_i32_i24_e32 v38 /*v294*/, v4 /*v260*/, v200
	v_mul_i32_i24_e32 v41 /*v297*/, v17 /*v273*/, v233
	v_mul_i32_i24_e32 v43 /*v299*/, v19 /*v275*/, v236
	v_mul_i32_i24_e32 v35 /*v291*/, v11 /*v267*/, v197
	s_set_vgpr_msb 0x55                     ;  msbs: dst=1 src0=1 src1=1 src2=1
	v_add3_u32 v30 /*v286*/, v30 /*v286*/, v44 /*v300*/, v42 /*v298*/
	s_set_vgpr_msb 0x41                     ;  msbs: dst=1 src0=1 src1=0 src2=0
	v_mul_i32_i24_e32 v37 /*v293*/, v13 /*v269*/, v199
	s_set_vgpr_msb 0x55                     ;  msbs: dst=1 src0=1 src1=1 src2=1
	v_add3_u32 v32 /*v288*/, v32 /*v288*/, v38 /*v294*/, v36 /*v292*/
	s_set_vgpr_msb 0x41                     ;  msbs: dst=1 src0=1 src1=0 src2=0
	v_mul_i32_i24_e32 v45 /*v301*/, v20 /*v276*/, v237
	v_mul_i32_i24_e32 v48 /*v304*/, v7 /*v263*/, v239
	s_set_vgpr_msb 0x55                     ;  msbs: dst=1 src0=1 src1=1 src2=1
	v_add3_u32 v30 /*v286*/, v30 /*v286*/, v41 /*v297*/, v43 /*v299*/
	s_set_vgpr_msb 0x41                     ;  msbs: dst=1 src0=1 src1=0 src2=0
	v_mul_i32_i24_e32 v39 /*v295*/, v14 /*v270*/, v201
	;; [unrolled: 5-line block ×3, first 2 shown]
	s_set_vgpr_msb 0x44                     ;  msbs: dst=1 src0=0 src1=1 src2=0
	v_mul_i32_i24_e32 v3 /*v259*/, v109, v3 /*v259*/
	v_bfe_i32 v23 /*v279*/, v89, 0, 8
	v_bfe_i32 v24 /*v280*/, v89, 8, 8
	v_bfe_i32 v25 /*v281*/, v89, 16, 8
	s_set_vgpr_msb 0                        ;  msbs: dst=0 src0=0 src1=0 src2=0
	v_ashrrev_i32_e32 v89, 24, v89
	s_set_vgpr_msb 0x41                     ;  msbs: dst=1 src0=1 src1=0 src2=0
	v_mul_i32_i24_e32 v46 /*v302*/, v21 /*v277*/, v238
	v_mul_i32_i24_e32 v47 /*v303*/, v22 /*v278*/, v240
	s_set_vgpr_msb 0x55                     ;  msbs: dst=1 src0=1 src1=1 src2=1
	v_add3_u32 v30 /*v286*/, v30 /*v286*/, v48 /*v304*/, v45 /*v301*/
	s_set_vgpr_msb 0x41                     ;  msbs: dst=1 src0=1 src1=0 src2=0
	v_mul_i32_i24_e32 v40 /*v296*/, v15 /*v271*/, v202
	v_mul_i32_i24_e32 v41 /*v297*/, v16 /*v272*/, v194
	s_set_vgpr_msb 0x55                     ;  msbs: dst=1 src0=1 src1=1 src2=1
	v_add3_u32 v32 /*v288*/, v32 /*v288*/, v42 /*v298*/, v39 /*v295*/
	s_set_vgpr_msb 0x51                     ;  msbs: dst=1 src0=1 src1=0 src2=1
	v_mul_i32_i24_e32 v35 /*v291*/, v10 /*v266*/, v219
	v_mul_i32_i24_e32 v36 /*v292*/, v8 /*v264*/, v132
	v_mad_i32_i24 v34 /*v290*/, v0 /*v256*/, v130, v34 /*v290*/
	s_set_vgpr_msb 0x54                     ;  msbs: dst=1 src0=0 src1=1 src2=1
	v_mul_i32_i24_e32 v10 /*v266*/, v108, v10 /*v266*/
	v_mul_i32_i24_e32 v8 /*v264*/, v99, v8 /*v264*/
	v_mad_i32_i24 v0 /*v256*/, v106, v0 /*v256*/, v3 /*v259*/
	s_set_vgpr_msb 0x41                     ;  msbs: dst=1 src0=1 src1=0 src2=0
	v_mul_i32_i24_e32 v50 /*v306*/, v24 /*v280*/, v242
	s_set_vgpr_msb 64                       ;  msbs: dst=1 src0=0 src1=0 src2=0
	v_mul_i32_i24_e32 v52 /*v308*/, v89, v243
	s_set_vgpr_msb 0x55                     ;  msbs: dst=1 src0=1 src1=1 src2=1
	v_add3_u32 v30 /*v286*/, v30 /*v286*/, v46 /*v302*/, v47 /*v303*/
	s_set_vgpr_msb 0x41                     ;  msbs: dst=1 src0=1 src1=0 src2=0
	v_mul_i32_i24_e32 v44 /*v300*/, v18 /*v274*/, v204
	v_mul_i32_i24_e32 v46 /*v302*/, v5 /*v261*/, v206
	s_set_vgpr_msb 0x55                     ;  msbs: dst=1 src0=1 src1=1 src2=1
	v_add3_u32 v32 /*v288*/, v32 /*v288*/, v40 /*v296*/, v41 /*v297*/
	s_set_vgpr_msb 0x41                     ;  msbs: dst=1 src0=1 src1=0 src2=0
	v_mul_i32_i24_e32 v38 /*v294*/, v12 /*v268*/, v134
	v_mul_i32_i24_e32 v40 /*v296*/, v4 /*v260*/, v136
	;; [unrolled: 1-line block ×4, first 2 shown]
	s_set_vgpr_msb 0x55                     ;  msbs: dst=1 src0=1 src1=1 src2=1
	v_add3_u32 v0 /*v256*/, v0 /*v256*/, v10 /*v266*/, v8 /*v264*/
	v_bfe_i32 v26 /*v282*/, v9 /*v265*/, 0, 8
	v_bfe_i32 v27 /*v283*/, v9 /*v265*/, 8, 8
	;; [unrolled: 1-line block ×3, first 2 shown]
	v_ashrrev_i32_e32 v9 /*v265*/, 24, v9 /*v265*/
	s_set_vgpr_msb 0x41                     ;  msbs: dst=1 src0=1 src1=0 src2=0
	v_mul_i32_i24_e32 v49 /*v305*/, v23 /*v279*/, v241
	v_mul_i32_i24_e32 v51 /*v307*/, v25 /*v281*/, v244
	s_set_vgpr_msb 0x55                     ;  msbs: dst=1 src0=1 src1=1 src2=1
	v_add3_u32 v30 /*v286*/, v30 /*v286*/, v52 /*v308*/, v50 /*v306*/
	s_set_vgpr_msb 0x41                     ;  msbs: dst=1 src0=1 src1=0 src2=0
	v_mul_i32_i24_e32 v43 /*v299*/, v17 /*v273*/, v205
	v_mul_i32_i24_e32 v45 /*v301*/, v19 /*v275*/, v207
	s_set_vgpr_msb 0x55                     ;  msbs: dst=1 src0=1 src1=1 src2=1
	v_add3_u32 v32 /*v288*/, v32 /*v288*/, v46 /*v302*/, v44 /*v300*/
	s_set_vgpr_msb 0x41                     ;  msbs: dst=1 src0=1 src1=0 src2=0
	v_mul_i32_i24_e32 v37 /*v293*/, v11 /*v267*/, v133
	v_mul_i32_i24_e32 v39 /*v295*/, v13 /*v269*/, v135
	;; [unrolled: 1-line block ×4, first 2 shown]
	s_set_vgpr_msb 0x55                     ;  msbs: dst=1 src0=1 src1=1 src2=1
	v_add3_u32 v0 /*v256*/, v0 /*v256*/, v4 /*v260*/, v12 /*v268*/
	s_set_vgpr_msb 0x41                     ;  msbs: dst=1 src0=1 src1=0 src2=0
	v_mul_i32_i24_e32 v53 /*v309*/, v26 /*v282*/, v245
	s_set_vgpr_msb 0x55                     ;  msbs: dst=1 src0=1 src1=1 src2=1
	v_mul_i32_i24_e32 v56 /*v312*/, v9 /*v265*/, v1 /*v257*/
	v_add3_u32 v30 /*v286*/, v30 /*v286*/, v49 /*v305*/, v51 /*v307*/
	s_set_vgpr_msb 0x41                     ;  msbs: dst=1 src0=1 src1=0 src2=0
	v_mul_i32_i24_e32 v47 /*v303*/, v20 /*v276*/, v208
	v_mul_i32_i24_e32 v50 /*v306*/, v7 /*v263*/, v210
	s_set_vgpr_msb 0x55                     ;  msbs: dst=1 src0=1 src1=1 src2=1
	v_add3_u32 v32 /*v288*/, v32 /*v288*/, v43 /*v299*/, v45 /*v301*/
	s_set_vgpr_msb 0x41                     ;  msbs: dst=1 src0=1 src1=0 src2=0
	v_mul_i32_i24_e32 v41 /*v297*/, v14 /*v270*/, v137
	v_mul_i32_i24_e32 v44 /*v300*/, v6 /*v262*/, v139
	v_mul_i32_i24_e32 v14 /*v270*/, v14 /*v270*/, v115
	v_mul_i32_i24_e32 v6 /*v262*/, v6 /*v262*/, v101
	s_set_vgpr_msb 0x55                     ;  msbs: dst=1 src0=1 src1=1 src2=1
	v_add3_u32 v0 /*v256*/, v0 /*v256*/, v11 /*v267*/, v13 /*v269*/
	s_set_vgpr_msb 0x41                     ;  msbs: dst=1 src0=1 src1=0 src2=0
	v_mul_i32_i24_e32 v54 /*v310*/, v27 /*v283*/, v246
	s_set_vgpr_msb 0x55                     ;  msbs: dst=1 src0=1 src1=1 src2=1
	v_mul_i32_i24_e32 v55 /*v311*/, v28 /*v284*/, v2 /*v258*/
	v_add3_u32 v30 /*v286*/, v30 /*v286*/, v56 /*v312*/, v53 /*v309*/
	s_set_vgpr_msb 0x41                     ;  msbs: dst=1 src0=1 src1=0 src2=0
	v_mul_i32_i24_e32 v48 /*v304*/, v21 /*v277*/, v209
	v_mul_i32_i24_e32 v49 /*v305*/, v22 /*v278*/, v211
	s_set_vgpr_msb 0x55                     ;  msbs: dst=1 src0=1 src1=1 src2=1
	v_add3_u32 v32 /*v288*/, v32 /*v288*/, v50 /*v306*/, v47 /*v303*/
	s_set_vgpr_msb 0x41                     ;  msbs: dst=1 src0=1 src1=0 src2=0
	v_mul_i32_i24_e32 v42 /*v298*/, v15 /*v271*/, v138
	v_mul_i32_i24_e32 v43 /*v299*/, v16 /*v272*/, v131
	;; [unrolled: 1-line block ×4, first 2 shown]
	s_set_vgpr_msb 0x55                     ;  msbs: dst=1 src0=1 src1=1 src2=1
	v_add3_u32 v0 /*v256*/, v0 /*v256*/, v6 /*v262*/, v14 /*v270*/
	v_add3_u32 v30 /*v286*/, v30 /*v286*/, v54 /*v310*/, v55 /*v311*/
	s_set_vgpr_msb 0x41                     ;  msbs: dst=1 src0=1 src1=0 src2=0
	v_mul_i32_i24_e32 v52 /*v308*/, v24 /*v280*/, v212
	s_set_vgpr_msb 64                       ;  msbs: dst=1 src0=0 src1=0 src2=0
	v_mul_i32_i24_e32 v54 /*v310*/, v89, v214
	s_set_vgpr_msb 0x55                     ;  msbs: dst=1 src0=1 src1=1 src2=1
	v_add3_u32 v32 /*v288*/, v32 /*v288*/, v48 /*v304*/, v49 /*v305*/
	s_set_vgpr_msb 0x41                     ;  msbs: dst=1 src0=1 src1=0 src2=0
	v_mul_i32_i24_e32 v46 /*v302*/, v18 /*v274*/, v140
	v_mul_i32_i24_e32 v48 /*v304*/, v5 /*v261*/, v142
	v_mul_i32_i24_e32 v18 /*v274*/, v18 /*v274*/, v118
	v_mul_i32_i24_e32 v5 /*v261*/, v5 /*v261*/, v103
	s_set_vgpr_msb 0x55                     ;  msbs: dst=1 src0=1 src1=1 src2=1
	v_add3_u32 v0 /*v256*/, v0 /*v256*/, v15 /*v271*/, v16 /*v272*/
	s_set_vgpr_msb 0x41                     ;  msbs: dst=1 src0=1 src1=0 src2=0
	v_mul_i32_i24_e32 v51 /*v307*/, v23 /*v279*/, v213
	v_mul_i32_i24_e32 v53 /*v309*/, v25 /*v281*/, v215
	s_set_vgpr_msb 0x55                     ;  msbs: dst=1 src0=1 src1=1 src2=1
	v_add3_u32 v32 /*v288*/, v32 /*v288*/, v54 /*v310*/, v52 /*v308*/
	s_set_vgpr_msb 0x41                     ;  msbs: dst=1 src0=1 src1=0 src2=0
	v_mul_i32_i24_e32 v45 /*v301*/, v17 /*v273*/, v141
	v_mul_i32_i24_e32 v47 /*v303*/, v19 /*v275*/, v143
	v_mul_i32_i24_e32 v17 /*v273*/, v17 /*v273*/, v119
	v_mul_i32_i24_e32 v19 /*v275*/, v19 /*v275*/, v116
	s_set_vgpr_msb 0x55                     ;  msbs: dst=1 src0=1 src1=1 src2=1
	v_add3_u32 v0 /*v256*/, v0 /*v256*/, v5 /*v261*/, v18 /*v274*/
	s_set_vgpr_msb 0x41                     ;  msbs: dst=1 src0=1 src1=0 src2=0
	v_mul_i32_i24_e32 v55 /*v311*/, v26 /*v282*/, v216
	v_mul_i32_i24_e32 v58 /*v314*/, v9 /*v265*/, v252
	;; [unrolled: 12-line block ×3, first 2 shown]
	s_set_vgpr_msb 0x55                     ;  msbs: dst=1 src0=1 src1=1 src2=1
	v_add3_u32 v32 /*v288*/, v32 /*v288*/, v58 /*v314*/, v55 /*v311*/
	s_set_vgpr_msb 0x41                     ;  msbs: dst=1 src0=1 src1=0 src2=0
	v_mul_i32_i24_e32 v50 /*v306*/, v21 /*v277*/, v145
	v_mul_i32_i24_e32 v51 /*v307*/, v22 /*v278*/, v147
	;; [unrolled: 1-line block ×4, first 2 shown]
	s_set_vgpr_msb 0x55                     ;  msbs: dst=1 src0=1 src1=1 src2=1
	v_add3_u32 v0 /*v256*/, v0 /*v256*/, v7 /*v263*/, v20 /*v276*/
	v_add3_u32 v32 /*v288*/, v32 /*v288*/, v56 /*v312*/, v57 /*v313*/
	s_set_vgpr_msb 0x41                     ;  msbs: dst=1 src0=1 src1=0 src2=0
	v_mul_i32_i24_e32 v54 /*v310*/, v24 /*v280*/, v148
	s_set_vgpr_msb 64                       ;  msbs: dst=1 src0=0 src1=0 src2=0
	v_mul_i32_i24_e32 v56 /*v312*/, v89, v150
	s_set_vgpr_msb 0x41                     ;  msbs: dst=1 src0=1 src1=0 src2=0
	v_mul_i32_i24_e32 v24 /*v280*/, v24 /*v280*/, v126
	s_set_vgpr_msb 0                        ;  msbs: dst=0 src0=0 src1=0 src2=0
	v_mul_i32_i24_e32 v89, v89, v102
	s_set_vgpr_msb 0x55                     ;  msbs: dst=1 src0=1 src1=1 src2=1
	v_add3_u32 v0 /*v256*/, v0 /*v256*/, v21 /*v277*/, v22 /*v278*/
	s_set_vgpr_msb 0x41                     ;  msbs: dst=1 src0=1 src1=0 src2=0
	v_mul_i32_i24_e32 v53 /*v309*/, v23 /*v279*/, v149
	v_mul_i32_i24_e32 v55 /*v311*/, v25 /*v281*/, v151
	;; [unrolled: 1-line block ×4, first 2 shown]
	s_set_vgpr_msb 17                       ;  msbs: dst=0 src0=1 src1=0 src2=1
	v_add3_u32 v89, v0 /*v256*/, v89, v24 /*v280*/
	s_set_vgpr_msb 0x41                     ;  msbs: dst=1 src0=1 src1=0 src2=0
	v_mul_i32_i24_e32 v57 /*v313*/, v26 /*v282*/, v153
	v_mul_i32_i24_e32 v60 /*v316*/, v9 /*v265*/, v154
	;; [unrolled: 1-line block ×4, first 2 shown]
	s_set_vgpr_msb 20                       ;  msbs: dst=0 src0=0 src1=1 src2=1
	v_add3_u32 v89, v89, v23 /*v279*/, v25 /*v281*/
	s_set_vgpr_msb 0x41                     ;  msbs: dst=1 src0=1 src1=0 src2=0
	v_mul_i32_i24_e32 v58 /*v314*/, v27 /*v283*/, v152
	v_mul_i32_i24_e32 v59 /*v315*/, v28 /*v284*/, v155
	;; [unrolled: 1-line block ×4, first 2 shown]
	s_set_vgpr_msb 20                       ;  msbs: dst=0 src0=0 src1=1 src2=1
	v_add3_u32 v89, v89, v9 /*v265*/, v26 /*v282*/
	s_set_vgpr_msb 0x55                     ;  msbs: dst=1 src0=1 src1=1 src2=1
	v_add3_u32 v34 /*v290*/, v34 /*v290*/, v35 /*v291*/, v36 /*v292*/
	s_set_vgpr_msb 0                        ;  msbs: dst=0 src0=0 src1=0 src2=0
	v_bfe_i32 v255, v88, 0, 8
	v_bfe_i32 v247, v88, 8, 8
	s_set_vgpr_msb 0x54                     ;  msbs: dst=1 src0=0 src1=1 src2=1
	v_add3_u32 v0 /*v256*/, v89, v27 /*v283*/, v28 /*v284*/
	s_set_vgpr_msb 0                        ;  msbs: dst=0 src0=0 src1=0 src2=0
	v_add_nc_u32_e32 v89, 0x1404, v85
	s_set_vgpr_msb 0x55                     ;  msbs: dst=1 src0=1 src1=1 src2=1
	v_add3_u32 v34 /*v290*/, v34 /*v290*/, v40 /*v296*/, v38 /*v294*/
	s_set_vgpr_msb 64                       ;  msbs: dst=1 src0=0 src1=0 src2=0
	v_mul_i32_i24_e32 v29 /*v285*/, v255, v222
	v_mul_i32_i24_e32 v31 /*v287*/, v255, v193
	;; [unrolled: 1-line block ×3, first 2 shown]
	ds_load_2addr_b32 v[4:5] /*v[260:261]*/, v89 offset1:1
	s_set_vgpr_msb 0                        ;  msbs: dst=0 src0=0 src1=0 src2=0
	v_add_nc_u32_e32 v89, 0x1414, v85
	s_set_vgpr_msb 0x55                     ;  msbs: dst=1 src0=1 src1=1 src2=1
	v_add3_u32 v34 /*v290*/, v34 /*v290*/, v37 /*v293*/, v39 /*v295*/
	s_set_vgpr_msb 0                        ;  msbs: dst=0 src0=0 src1=0 src2=0
	v_mul_i32_i24_e32 v255, v121, v255
	s_set_vgpr_msb 64                       ;  msbs: dst=1 src0=0 src1=0 src2=0
	ds_load_2addr_b32 v[6:7] /*v[262:263]*/, v89 offset1:1
	s_set_vgpr_msb 0                        ;  msbs: dst=0 src0=0 src1=0 src2=0
	v_add_nc_u32_e32 v89, 0x1400, v85
	s_set_vgpr_msb 64                       ;  msbs: dst=1 src0=0 src1=0 src2=0
	ds_load_2addr_b32 v[8:9] /*v[264:265]*/, v89 offset1:3
	ds_load_2addr_b32 v[10:11] /*v[266:267]*/, v89 offset0:4 offset1:7
	s_set_vgpr_msb 0x55                     ;  msbs: dst=1 src0=1 src1=1 src2=1
	v_add3_u32 v34 /*v290*/, v34 /*v290*/, v44 /*v300*/, v41 /*v297*/
	s_delay_alu instid0(VALU_DEP_1)
	v_add3_u32 v34 /*v290*/, v34 /*v290*/, v42 /*v298*/, v43 /*v299*/
	s_wait_dscnt 0x3
	v_bfe_i32 v17 /*v273*/, v4 /*v260*/, 8, 8
	v_ashrrev_i32_e32 v19 /*v275*/, 24, v4 /*v260*/
	v_bfe_i32 v23 /*v279*/, v5 /*v261*/, 0, 8
	v_add3_u32 v34 /*v290*/, v34 /*v290*/, v48 /*v304*/, v46 /*v302*/
	v_bfe_i32 v24 /*v280*/, v5 /*v261*/, 8, 8
	v_bfe_i32 v25 /*v281*/, v5 /*v261*/, 16, 8
	v_ashrrev_i32_e32 v26 /*v282*/, 24, v5 /*v261*/
	v_bfe_i32 v16 /*v272*/, v4 /*v260*/, 0, 8
	v_add3_u32 v34 /*v290*/, v34 /*v290*/, v45 /*v301*/, v47 /*v303*/
	v_bfe_i32 v18 /*v274*/, v4 /*v260*/, 16, 8
	s_wait_dscnt 0x2
	v_bfe_i32 v20 /*v276*/, v6 /*v262*/, 0, 8
	v_bfe_i32 v21 /*v277*/, v6 /*v262*/, 8, 8
	s_wait_dscnt 0x0
	v_bfe_i32 v14 /*v270*/, v10 /*v266*/, 8, 8
	v_bfe_i32 v13 /*v269*/, v10 /*v266*/, 0, 8
	;; [unrolled: 1-line block ×3, first 2 shown]
	v_ashrrev_i32_e32 v10 /*v266*/, 24, v10 /*v266*/
	v_bfe_i32 v22 /*v278*/, v6 /*v262*/, 16, 8
	s_set_vgpr_msb 1                        ;  msbs: dst=0 src0=1 src1=0 src2=0
	v_mul_i32_i24_e32 v89, v14 /*v270*/, v224
	s_set_vgpr_msb 0x44                     ;  msbs: dst=1 src0=0 src1=1 src2=0
	v_ashrrev_i32_e32 v6 /*v262*/, 24, v6 /*v262*/
	s_set_vgpr_msb 0x41                     ;  msbs: dst=1 src0=1 src1=0 src2=0
	v_mul_i32_i24_e32 v5 /*v261*/, v15 /*v271*/, v221
	v_mul_i32_i24_e32 v42 /*v298*/, v10 /*v266*/, v225
	v_mul_i32_i24_e32 v44 /*v300*/, v17 /*v273*/, v227
	s_set_vgpr_msb 1                        ;  msbs: dst=0 src0=1 src1=0 src2=0
	v_mad_i32_i24 v89, v13 /*v269*/, v218, v89
	s_set_vgpr_msb 0x41                     ;  msbs: dst=1 src0=1 src1=0 src2=0
	v_mul_i32_i24_e32 v46 /*v302*/, v19 /*v275*/, v229
	s_set_vgpr_msb 0x55                     ;  msbs: dst=1 src0=1 src1=1 src2=1
	v_add3_u32 v34 /*v290*/, v34 /*v290*/, v52 /*v308*/, v49 /*v305*/
	s_set_vgpr_msb 0x41                     ;  msbs: dst=1 src0=1 src1=0 src2=0
	v_mul_i32_i24_e32 v43 /*v299*/, v16 /*v272*/, v226
	v_mul_i32_i24_e32 v45 /*v301*/, v18 /*v274*/, v228
	s_set_vgpr_msb 20                       ;  msbs: dst=0 src0=0 src1=1 src2=1
	v_add3_u32 v89, v89, v5 /*v261*/, v42 /*v298*/
	s_set_vgpr_msb 0x41                     ;  msbs: dst=1 src0=1 src1=0 src2=0
	v_mul_i32_i24_e32 v47 /*v303*/, v20 /*v276*/, v230
	s_set_vgpr_msb 0x55                     ;  msbs: dst=1 src0=1 src1=1 src2=1
	v_add3_u32 v34 /*v290*/, v34 /*v290*/, v50 /*v306*/, v51 /*v307*/
	s_set_vgpr_msb 0x41                     ;  msbs: dst=1 src0=1 src1=0 src2=0
	v_mul_i32_i24_e32 v50 /*v306*/, v6 /*v262*/, v232
	v_mul_i32_i24_e32 v48 /*v304*/, v21 /*v277*/, v231
	s_set_vgpr_msb 20                       ;  msbs: dst=0 src0=0 src1=1 src2=1
	v_add3_u32 v89, v89, v46 /*v302*/, v44 /*v300*/
	s_set_vgpr_msb 0x41                     ;  msbs: dst=1 src0=1 src1=0 src2=0
	v_mul_i32_i24_e32 v49 /*v305*/, v22 /*v278*/, v223
	s_set_vgpr_msb 0x55                     ;  msbs: dst=1 src0=1 src1=1 src2=1
	v_add3_u32 v34 /*v290*/, v34 /*v290*/, v56 /*v312*/, v54 /*v310*/
	v_bfe_i32 v27 /*v283*/, v7 /*v263*/, 0, 8
	v_bfe_i32 v28 /*v284*/, v7 /*v263*/, 8, 8
	s_set_vgpr_msb 20                       ;  msbs: dst=0 src0=0 src1=1 src2=1
	v_add3_u32 v89, v89, v43 /*v299*/, v45 /*v301*/
	s_set_vgpr_msb 0x55                     ;  msbs: dst=1 src0=1 src1=1 src2=1
	v_bfe_i32 v35 /*v291*/, v7 /*v263*/, 16, 8
	v_add3_u32 v34 /*v290*/, v34 /*v290*/, v53 /*v309*/, v55 /*v311*/
	v_ashrrev_i32_e32 v7 /*v263*/, 24, v7 /*v263*/
	s_set_vgpr_msb 0x41                     ;  msbs: dst=1 src0=1 src1=0 src2=0
	v_mul_i32_i24_e32 v52 /*v308*/, v24 /*v280*/, v234
	s_set_vgpr_msb 20                       ;  msbs: dst=0 src0=0 src1=1 src2=1
	v_add3_u32 v89, v89, v50 /*v306*/, v47 /*v303*/
	s_set_vgpr_msb 0x41                     ;  msbs: dst=1 src0=1 src1=0 src2=0
	v_mul_i32_i24_e32 v54 /*v310*/, v26 /*v282*/, v235
	s_set_vgpr_msb 0x55                     ;  msbs: dst=1 src0=1 src1=1 src2=1
	v_add3_u32 v34 /*v290*/, v34 /*v290*/, v60 /*v316*/, v57 /*v313*/
	s_set_vgpr_msb 0x41                     ;  msbs: dst=1 src0=1 src1=0 src2=0
	v_mul_i32_i24_e32 v51 /*v307*/, v23 /*v279*/, v233
	v_mul_i32_i24_e32 v53 /*v309*/, v25 /*v281*/, v236
	s_set_vgpr_msb 20                       ;  msbs: dst=0 src0=0 src1=1 src2=1
	v_add3_u32 v89, v89, v48 /*v304*/, v49 /*v305*/
	s_set_vgpr_msb 0x41                     ;  msbs: dst=1 src0=1 src1=0 src2=0
	v_mul_i32_i24_e32 v55 /*v311*/, v27 /*v283*/, v237
	s_set_vgpr_msb 0x55                     ;  msbs: dst=1 src0=1 src1=1 src2=1
	v_add3_u32 v34 /*v290*/, v34 /*v290*/, v58 /*v314*/, v59 /*v315*/
	s_set_vgpr_msb 0x41                     ;  msbs: dst=1 src0=1 src1=0 src2=0
	v_mul_i32_i24_e32 v58 /*v314*/, v7 /*v263*/, v239
	v_bfe_i32 v36 /*v292*/, v9 /*v265*/, 0, 8
	s_set_vgpr_msb 20                       ;  msbs: dst=0 src0=0 src1=1 src2=1
	v_add3_u32 v89, v89, v54 /*v310*/, v52 /*v308*/
	s_set_vgpr_msb 0x41                     ;  msbs: dst=1 src0=1 src1=0 src2=0
	v_bfe_i32 v37 /*v293*/, v9 /*v265*/, 8, 8
	v_bfe_i32 v38 /*v294*/, v9 /*v265*/, 16, 8
	s_set_vgpr_msb 0x44                     ;  msbs: dst=1 src0=0 src1=1 src2=0
	v_ashrrev_i32_e32 v9 /*v265*/, 24, v9 /*v265*/
	s_set_vgpr_msb 0x41                     ;  msbs: dst=1 src0=1 src1=0 src2=0
	v_mul_i32_i24_e32 v56 /*v312*/, v28 /*v284*/, v238
	s_set_vgpr_msb 20                       ;  msbs: dst=0 src0=0 src1=1 src2=1
	v_add3_u32 v89, v89, v51 /*v307*/, v53 /*v309*/
	s_set_vgpr_msb 0x41                     ;  msbs: dst=1 src0=1 src1=0 src2=0
	v_mul_i32_i24_e32 v57 /*v313*/, v35 /*v291*/, v240
	v_bfe_i32 v39 /*v295*/, v11 /*v267*/, 0, 8
	v_bfe_i32 v40 /*v296*/, v11 /*v267*/, 8, 8
	;; [unrolled: 1-line block ×3, first 2 shown]
	s_set_vgpr_msb 20                       ;  msbs: dst=0 src0=0 src1=1 src2=1
	v_add3_u32 v89, v89, v58 /*v314*/, v55 /*v311*/
	s_set_vgpr_msb 0x44                     ;  msbs: dst=1 src0=0 src1=1 src2=0
	v_ashrrev_i32_e32 v11 /*v267*/, 24, v11 /*v267*/
	s_set_vgpr_msb 0x41                     ;  msbs: dst=1 src0=1 src1=0 src2=0
	v_mul_i32_i24_e32 v60 /*v316*/, v37 /*v293*/, v242
	v_mul_i32_i24_e32 v62 /*v318*/, v9 /*v265*/, v243
	;; [unrolled: 1-line block ×3, first 2 shown]
	s_set_vgpr_msb 20                       ;  msbs: dst=0 src0=0 src1=1 src2=1
	v_add3_u32 v89, v89, v56 /*v312*/, v57 /*v313*/
	s_set_vgpr_msb 0x41                     ;  msbs: dst=1 src0=1 src1=0 src2=0
	v_mul_i32_i24_e32 v61 /*v317*/, v38 /*v294*/, v244
	v_mul_i32_i24_e32 v63 /*v319*/, v39 /*v295*/, v245
	s_set_vgpr_msb 0x45                     ;  msbs: dst=1 src0=1 src1=1 src2=0
	v_mul_i32_i24_e32 v66 /*v322*/, v11 /*v267*/, v1 /*v257*/
	v_bfe_i32 v3 /*v259*/, v8 /*v264*/, 0, 8
	s_set_vgpr_msb 20                       ;  msbs: dst=0 src0=0 src1=1 src2=1
	v_add3_u32 v89, v89, v62 /*v318*/, v60 /*v316*/
	s_set_vgpr_msb 0x41                     ;  msbs: dst=1 src0=1 src1=0 src2=0
	v_bfe_i32 v12 /*v268*/, v8 /*v264*/, 8, 8
	v_mul_i32_i24_e32 v64 /*v320*/, v40 /*v296*/, v246
	s_set_vgpr_msb 0x45                     ;  msbs: dst=1 src0=1 src1=1 src2=0
	v_mul_i32_i24_e32 v65 /*v321*/, v41 /*v297*/, v2 /*v258*/
	s_set_vgpr_msb 0x41                     ;  msbs: dst=1 src0=1 src1=0 src2=0
	v_mul_i32_i24_e32 v4 /*v260*/, v3 /*v259*/, v222
	s_set_vgpr_msb 20                       ;  msbs: dst=0 src0=0 src1=1 src2=1
	v_add3_u32 v89, v89, v59 /*v315*/, v61 /*v317*/
	s_set_vgpr_msb 0x41                     ;  msbs: dst=1 src0=1 src1=0 src2=0
	v_bfe_i32 v42 /*v298*/, v8 /*v264*/, 16, 8
	s_set_vgpr_msb 0x44                     ;  msbs: dst=1 src0=0 src1=1 src2=0
	v_bfe_i32 v43 /*v299*/, v88, 16, 8
	v_ashrrev_i32_e32 v8 /*v264*/, 24, v8 /*v264*/
	s_set_vgpr_msb 64                       ;  msbs: dst=1 src0=0 src1=0 src2=0
	v_ashrrev_i32_e32 v44 /*v300*/, 24, v88
	s_set_vgpr_msb 20                       ;  msbs: dst=0 src0=0 src1=1 src2=1
	v_add3_u32 v89, v89, v66 /*v322*/, v63 /*v319*/
	s_set_vgpr_msb 64                       ;  msbs: dst=1 src0=0 src1=0 src2=0
	v_mul_i32_i24_e32 v45 /*v301*/, v247, v189
	s_set_vgpr_msb 0x41                     ;  msbs: dst=1 src0=1 src1=0 src2=0
	v_mul_i32_i24_e32 v46 /*v302*/, v12 /*v268*/, v189
	s_set_vgpr_msb 0                        ;  msbs: dst=0 src0=0 src1=0 src2=0
	v_cvt_f32_f16_e32 v88, v90
	v_lshrrev_b32_e32 v90, 16, v90
	s_set_vgpr_msb 0x54                     ;  msbs: dst=1 src0=0 src1=1 src2=1
	v_add3_u32 v5 /*v261*/, v89, v64 /*v320*/, v65 /*v321*/
	s_set_vgpr_msb 0                        ;  msbs: dst=0 src0=0 src1=0 src2=0
	v_cvt_f32_f16_e32 v89, v91
	v_lshrrev_b32_e32 v91, 16, v91
	s_set_vgpr_msb 0x44                     ;  msbs: dst=1 src0=0 src1=1 src2=0
	v_mul_i32_i24_e32 v47 /*v303*/, v254, v43 /*v299*/
	v_mul_i32_i24_e32 v48 /*v304*/, v254, v42 /*v298*/
	;; [unrolled: 1-line block ×4, first 2 shown]
	s_set_vgpr_msb 0x55                     ;  msbs: dst=1 src0=1 src1=1 src2=1
	v_add3_u32 v4 /*v260*/, v5 /*v261*/, v4 /*v260*/, v46 /*v302*/
	v_add3_u32 v5 /*v261*/, v30 /*v286*/, v29 /*v285*/, v45 /*v301*/
	s_set_vgpr_msb 0                        ;  msbs: dst=0 src0=0 src1=0 src2=0
	v_cvt_f32_f16_e32 v91, v91
	v_cvt_f32_f16_e32 v90, v90
	s_set_vgpr_msb 0x41                     ;  msbs: dst=1 src0=1 src1=0 src2=0
	v_mul_i32_i24_e32 v30 /*v286*/, v10 /*v266*/, v196
	s_set_vgpr_msb 0x55                     ;  msbs: dst=1 src0=1 src1=1 src2=1
	v_add3_u32 v4 /*v260*/, v4 /*v260*/, v48 /*v304*/, v50 /*v306*/
	v_add3_u32 v29 /*v285*/, v5 /*v261*/, v47 /*v303*/, v49 /*v305*/
	s_set_vgpr_msb 0x41                     ;  msbs: dst=1 src0=1 src1=0 src2=0
	v_mul_i32_i24_e32 v46 /*v302*/, v17 /*v273*/, v198
	s_set_vgpr_msb 0                        ;  msbs: dst=0 src0=0 src1=0 src2=0
	v_pk_mul_f32 v[90:91], v[90:91], s[12:13] op_sel_hi:[1,0]
	s_set_vgpr_msb 0x41                     ;  msbs: dst=1 src0=1 src1=0 src2=0
	v_mul_i32_i24_e32 v48 /*v304*/, v19 /*v275*/, v200
	v_cvt_f32_i32_e32 v5 /*v261*/, v4 /*v260*/
	v_cvt_f32_i32_e32 v4 /*v260*/, v29 /*v285*/
	v_mul_i32_i24_e32 v29 /*v285*/, v15 /*v271*/, v192
	v_mul_i32_i24_e32 v45 /*v301*/, v16 /*v272*/, v197
	;; [unrolled: 1-line block ×4, first 2 shown]
	s_set_vgpr_msb 0x44                     ;  msbs: dst=1 src0=0 src1=1 src2=0
	v_pk_fma_f32 v[4:5] /*v[260:261]*/, v[88:89], v[4:5] /*v[260:261]*/, v[90:91] neg_lo:[0,0,1] neg_hi:[0,0,1]
	s_set_vgpr_msb 0x41                     ;  msbs: dst=1 src0=1 src1=0 src2=0
	v_mul_i32_i24_e32 v52 /*v308*/, v6 /*v262*/, v203
	v_mul_i32_i24_e32 v50 /*v306*/, v21 /*v277*/, v202
	;; [unrolled: 1-line block ×4, first 2 shown]
	s_set_vgpr_msb 4                        ;  msbs: dst=0 src0=0 src1=1 src2=0
	v_pk_fma_f32 v[40:41], v[84:85], v[4:5] /*v[260:261]*/, v[40:41] op_sel_hi:[0,1,1]
	s_set_vgpr_msb 0x51                     ;  msbs: dst=1 src0=1 src1=0 src2=1
	v_mul_i32_i24_e32 v5 /*v261*/, v14 /*v270*/, v195
	v_mul_i32_i24_e32 v56 /*v312*/, v26 /*v282*/, v206
	;; [unrolled: 1-line block ×5, first 2 shown]
	v_mad_i32_i24 v5 /*v261*/, v13 /*v269*/, v191, v5 /*v261*/
	v_mul_i32_i24_e32 v60 /*v316*/, v7 /*v263*/, v210
	v_mul_i32_i24_e32 v58 /*v314*/, v28 /*v284*/, v209
	;; [unrolled: 1-line block ×4, first 2 shown]
	s_set_vgpr_msb 0x55                     ;  msbs: dst=1 src0=1 src1=1 src2=1
	v_add3_u32 v5 /*v261*/, v5 /*v261*/, v29 /*v285*/, v30 /*v286*/
	s_set_vgpr_msb 0x41                     ;  msbs: dst=1 src0=1 src1=0 src2=0
	v_mul_i32_i24_e32 v64 /*v320*/, v9 /*v265*/, v214
	v_mul_i32_i24_e32 v61 /*v317*/, v36 /*v292*/, v213
	;; [unrolled: 1-line block ×4, first 2 shown]
	s_set_vgpr_msb 0x55                     ;  msbs: dst=1 src0=1 src1=1 src2=1
	v_add3_u32 v5 /*v261*/, v5 /*v261*/, v48 /*v304*/, v46 /*v302*/
	s_set_vgpr_msb 0x41                     ;  msbs: dst=1 src0=1 src1=0 src2=0
	v_mul_i32_i24_e32 v68 /*v324*/, v11 /*v267*/, v252
	v_mul_i32_i24_e32 v66 /*v322*/, v40 /*v296*/, v217
	;; [unrolled: 1-line block ×4, first 2 shown]
	s_set_vgpr_msb 0x55                     ;  msbs: dst=1 src0=1 src1=1 src2=1
	v_add3_u32 v5 /*v261*/, v5 /*v261*/, v45 /*v301*/, v47 /*v303*/
	s_set_vgpr_msb 64                       ;  msbs: dst=1 src0=0 src1=0 src2=0
	v_mul_i32_i24_e32 v29 /*v285*/, v247, v190
	s_set_vgpr_msb 0x41                     ;  msbs: dst=1 src0=1 src1=0 src2=0
	v_mul_i32_i24_e32 v30 /*v286*/, v12 /*v268*/, v190
	s_set_vgpr_msb 0x44                     ;  msbs: dst=1 src0=0 src1=1 src2=0
	v_mul_i32_i24_e32 v45 /*v301*/, v249, v43 /*v299*/
	v_mul_i32_i24_e32 v46 /*v302*/, v249, v42 /*v298*/
	s_set_vgpr_msb 0x55                     ;  msbs: dst=1 src0=1 src1=1 src2=1
	v_add3_u32 v5 /*v261*/, v5 /*v261*/, v52 /*v308*/, v49 /*v305*/
	s_set_vgpr_msb 0x44                     ;  msbs: dst=1 src0=0 src1=1 src2=0
	v_mul_i32_i24_e32 v47 /*v303*/, v248, v44 /*v300*/
	v_mul_i32_i24_e32 v48 /*v304*/, v248, v8 /*v264*/
	s_set_vgpr_msb 0x41                     ;  msbs: dst=1 src0=1 src1=0 src2=0
	v_mul_i32_i24_e32 v49 /*v305*/, v22 /*v278*/, v131
	v_mul_i32_i24_e32 v52 /*v308*/, v24 /*v280*/, v140
	s_set_vgpr_msb 0x55                     ;  msbs: dst=1 src0=1 src1=1 src2=1
	v_add3_u32 v5 /*v261*/, v5 /*v261*/, v50 /*v306*/, v51 /*v307*/
	s_set_vgpr_msb 0x41                     ;  msbs: dst=1 src0=1 src1=0 src2=0
	v_mul_i32_i24_e32 v50 /*v306*/, v6 /*v262*/, v139
	v_mul_i32_i24_e32 v51 /*v307*/, v23 /*v279*/, v141
	;; [unrolled: 1-line block ×3, first 2 shown]
	s_set_vgpr_msb 0x55                     ;  msbs: dst=1 src0=1 src1=1 src2=1
	v_add3_u32 v5 /*v261*/, v5 /*v261*/, v56 /*v312*/, v54 /*v310*/
	s_set_vgpr_msb 0x41                     ;  msbs: dst=1 src0=1 src1=0 src2=0
	v_mul_i32_i24_e32 v54 /*v310*/, v26 /*v282*/, v142
	v_mul_i32_i24_e32 v56 /*v312*/, v28 /*v284*/, v145
	s_set_vgpr_msb 0x55                     ;  msbs: dst=1 src0=1 src1=1 src2=1
	v_add3_u32 v5 /*v261*/, v5 /*v261*/, v53 /*v309*/, v55 /*v311*/
	s_set_vgpr_msb 0x41                     ;  msbs: dst=1 src0=1 src1=0 src2=0
	v_mul_i32_i24_e32 v53 /*v309*/, v25 /*v281*/, v143
	v_mul_i32_i24_e32 v55 /*v311*/, v27 /*v283*/, v144
	;; [unrolled: 5-line block ×4, first 2 shown]
	v_mul_i32_i24_e32 v7 /*v263*/, v7 /*v263*/, v104
	s_set_vgpr_msb 0x55                     ;  msbs: dst=1 src0=1 src1=1 src2=1
	v_add3_u32 v5 /*v261*/, v5 /*v261*/, v64 /*v320*/, v62 /*v318*/
	s_set_vgpr_msb 0x41                     ;  msbs: dst=1 src0=1 src1=0 src2=0
	v_mul_i32_i24_e32 v62 /*v318*/, v9 /*v265*/, v150
	v_mul_i32_i24_e32 v64 /*v320*/, v40 /*v296*/, v152
	;; [unrolled: 1-line block ×3, first 2 shown]
	s_set_vgpr_msb 0x55                     ;  msbs: dst=1 src0=1 src1=1 src2=1
	v_add3_u32 v5 /*v261*/, v5 /*v261*/, v61 /*v317*/, v63 /*v319*/
	s_set_vgpr_msb 0x41                     ;  msbs: dst=1 src0=1 src1=0 src2=0
	v_mul_i32_i24_e32 v61 /*v317*/, v38 /*v294*/, v151
	v_mul_i32_i24_e32 v63 /*v319*/, v39 /*v295*/, v153
	s_set_vgpr_msb 0x55                     ;  msbs: dst=1 src0=1 src1=1 src2=1
	v_add3_u32 v5 /*v261*/, v5 /*v261*/, v68 /*v324*/, v65 /*v321*/
	s_set_vgpr_msb 0x41                     ;  msbs: dst=1 src0=1 src1=0 src2=0
	v_mul_i32_i24_e32 v65 /*v321*/, v41 /*v297*/, v155
	s_set_vgpr_msb 0x55                     ;  msbs: dst=1 src0=1 src1=1 src2=1
	s_delay_alu instid0(VALU_DEP_2)
	v_add3_u32 v5 /*v261*/, v5 /*v261*/, v66 /*v322*/, v67 /*v323*/
	s_set_vgpr_msb 0x41                     ;  msbs: dst=1 src0=1 src1=0 src2=0
	v_mul_i32_i24_e32 v66 /*v322*/, v11 /*v267*/, v154
	v_mul_i32_i24_e32 v11 /*v267*/, v11 /*v267*/, v128
	s_set_vgpr_msb 0x55                     ;  msbs: dst=1 src0=1 src1=1 src2=1
	v_add3_u32 v4 /*v260*/, v5 /*v261*/, v4 /*v260*/, v30 /*v286*/
	v_add3_u32 v5 /*v261*/, v32 /*v288*/, v31 /*v287*/, v29 /*v285*/
	s_set_vgpr_msb 0x41                     ;  msbs: dst=1 src0=1 src1=0 src2=0
	v_mul_i32_i24_e32 v30 /*v286*/, v10 /*v266*/, v132
	v_mul_i32_i24_e32 v32 /*v288*/, v17 /*v273*/, v134
	;; [unrolled: 1-line block ×3, first 2 shown]
	s_set_vgpr_msb 0x55                     ;  msbs: dst=1 src0=1 src1=1 src2=1
	v_add3_u32 v4 /*v260*/, v4 /*v260*/, v46 /*v302*/, v48 /*v304*/
	v_add3_u32 v29 /*v285*/, v5 /*v261*/, v45 /*v301*/, v47 /*v303*/
	s_set_vgpr_msb 0x41                     ;  msbs: dst=1 src0=1 src1=0 src2=0
	v_mul_i32_i24_e32 v46 /*v302*/, v19 /*v275*/, v136
	v_mul_i32_i24_e32 v45 /*v301*/, v18 /*v274*/, v135
	;; [unrolled: 1-line block ×3, first 2 shown]
	v_cvt_f32_i32_e32 v5 /*v261*/, v4 /*v260*/
	v_cvt_f32_i32_e32 v4 /*v260*/, v29 /*v285*/
	v_mul_i32_i24_e32 v29 /*v285*/, v15 /*v271*/, v219
	v_mul_i32_i24_e32 v48 /*v304*/, v21 /*v277*/, v138
	s_set_vgpr_msb 0x44                     ;  msbs: dst=1 src0=0 src1=1 src2=0
	v_mul_i32_i24_e32 v10 /*v266*/, v99, v10 /*v266*/
	v_pk_fma_f32 v[4:5] /*v[260:261]*/, v[88:89], v[4:5] /*v[260:261]*/, v[90:91] neg_lo:[0,0,1] neg_hi:[0,0,1]
	s_set_vgpr_msb 4                        ;  msbs: dst=0 src0=0 src1=1 src2=0
	s_delay_alu instid0(VALU_DEP_1)
	v_pk_fma_f32 v[48:49], v[86:87], v[4:5] /*v[260:261]*/, v[48:49] op_sel_hi:[0,1,1]
	s_set_vgpr_msb 0x41                     ;  msbs: dst=1 src0=1 src1=0 src2=0
	v_mul_i32_i24_e32 v5 /*v261*/, v14 /*v270*/, v220
	s_set_vgpr_msb 0x44                     ;  msbs: dst=1 src0=0 src1=1 src2=0
	v_mul_i32_i24_e32 v4 /*v260*/, v250, v3 /*v259*/
	v_mul_i32_i24_e32 v3 /*v259*/, v121, v3 /*v259*/
	s_set_vgpr_msb 0x51                     ;  msbs: dst=1 src0=1 src1=0 src2=1
	v_mad_i32_i24 v5 /*v261*/, v13 /*v269*/, v130, v5 /*v261*/
	s_set_vgpr_msb 0x55                     ;  msbs: dst=1 src0=1 src1=1 src2=1
	s_delay_alu instid0(VALU_DEP_1)
	v_add3_u32 v5 /*v261*/, v5 /*v261*/, v29 /*v285*/, v30 /*v286*/
	s_set_vgpr_msb 64                       ;  msbs: dst=1 src0=0 src1=0 src2=0
	v_mul_i32_i24_e32 v29 /*v285*/, v247, v98
	s_set_vgpr_msb 0x41                     ;  msbs: dst=1 src0=1 src1=0 src2=0
	v_mul_i32_i24_e32 v30 /*v286*/, v12 /*v268*/, v98
	s_set_vgpr_msb 0                        ;  msbs: dst=0 src0=0 src1=0 src2=0
	v_mul_i32_i24_e32 v247, v247, v93
	s_set_vgpr_msb 0x55                     ;  msbs: dst=1 src0=1 src1=1 src2=1
	v_add3_u32 v5 /*v261*/, v5 /*v261*/, v46 /*v302*/, v32 /*v288*/
	s_set_vgpr_msb 0x44                     ;  msbs: dst=1 src0=0 src1=1 src2=0
	v_mul_i32_i24_e32 v32 /*v288*/, v120, v42 /*v298*/
	v_mul_i32_i24_e32 v46 /*v302*/, v117, v8 /*v264*/
	;; [unrolled: 1-line block ×3, first 2 shown]
	s_set_vgpr_msb 1                        ;  msbs: dst=0 src0=1 src1=0 src2=0
	v_add3_u32 v247, v0 /*v256*/, v255, v247
	s_set_vgpr_msb 0x55                     ;  msbs: dst=1 src0=1 src1=1 src2=1
	v_add3_u32 v5 /*v261*/, v5 /*v261*/, v31 /*v287*/, v45 /*v301*/
	s_set_vgpr_msb 0x44                     ;  msbs: dst=1 src0=0 src1=1 src2=0
	v_mul_i32_i24_e32 v31 /*v287*/, v120, v43 /*v299*/
	v_mul_i32_i24_e32 v45 /*v301*/, v117, v44 /*v300*/
	s_set_vgpr_msb 0x55                     ;  msbs: dst=1 src0=1 src1=1 src2=1
	v_add3_u32 v5 /*v261*/, v5 /*v261*/, v50 /*v306*/, v47 /*v303*/
	s_delay_alu instid0(VALU_DEP_1) | instskip(NEXT) | instid1(VALU_DEP_1)
	v_add3_u32 v5 /*v261*/, v5 /*v261*/, v48 /*v304*/, v49 /*v305*/
	v_add3_u32 v5 /*v261*/, v5 /*v261*/, v54 /*v310*/, v52 /*v308*/
	s_delay_alu instid0(VALU_DEP_1) | instskip(NEXT) | instid1(VALU_DEP_1)
	v_add3_u32 v5 /*v261*/, v5 /*v261*/, v51 /*v307*/, v53 /*v309*/
	;; [unrolled: 3-line block ×5, first 2 shown]
	v_add3_u32 v4 /*v260*/, v5 /*v261*/, v4 /*v260*/, v30 /*v286*/
	v_add3_u32 v5 /*v261*/, v34 /*v290*/, v33 /*v289*/, v29 /*v285*/
	s_set_vgpr_msb 0x41                     ;  msbs: dst=1 src0=1 src1=0 src2=0
	v_mul_i32_i24_e32 v30 /*v286*/, v38 /*v294*/, v125
	v_mul_i32_i24_e32 v33 /*v289*/, v41 /*v297*/, v129
	s_set_vgpr_msb 0x55                     ;  msbs: dst=1 src0=1 src1=1 src2=1
	v_add3_u32 v4 /*v260*/, v4 /*v260*/, v32 /*v288*/, v46 /*v302*/
	v_add3_u32 v29 /*v285*/, v5 /*v261*/, v31 /*v287*/, v45 /*v301*/
	s_set_vgpr_msb 0x41                     ;  msbs: dst=1 src0=1 src1=0 src2=0
	v_mul_i32_i24_e32 v31 /*v287*/, v39 /*v295*/, v107
	v_mul_i32_i24_e32 v32 /*v288*/, v40 /*v296*/, v105
	v_cvt_f32_i32_e32 v5 /*v261*/, v4 /*v260*/
	v_cvt_f32_i32_e32 v4 /*v260*/, v29 /*v285*/
	v_mul_i32_i24_e32 v29 /*v285*/, v37 /*v293*/, v126
	s_set_vgpr_msb 0x44                     ;  msbs: dst=1 src0=0 src1=1 src2=0
	s_delay_alu instid0(VALU_DEP_2) | instskip(SKIP_1) | instid1(VALU_DEP_1)
	v_pk_fma_f32 v[4:5] /*v[260:261]*/, v[88:89], v[4:5] /*v[260:261]*/, v[90:91] neg_lo:[0,0,1] neg_hi:[0,0,1]
	s_set_vgpr_msb 4                        ;  msbs: dst=0 src0=0 src1=1 src2=0
	v_pk_fma_f32 v[60:61], v[82:83], v[4:5] /*v[260:261]*/, v[60:61] op_sel_hi:[0,1,1]
	s_set_vgpr_msb 0x44                     ;  msbs: dst=1 src0=0 src1=1 src2=0
	v_mul_i32_i24_e32 v4 /*v260*/, v109, v14 /*v270*/
	v_mul_i32_i24_e32 v5 /*v261*/, v108, v15 /*v271*/
	s_set_vgpr_msb 0x41                     ;  msbs: dst=1 src0=1 src1=0 src2=0
	v_mul_i32_i24_e32 v15 /*v271*/, v17 /*v273*/, v111
	v_mul_i32_i24_e32 v17 /*v273*/, v19 /*v275*/, v100
	;; [unrolled: 1-line block ×3, first 2 shown]
	s_set_vgpr_msb 0x54                     ;  msbs: dst=1 src0=0 src1=1 src2=1
	v_mad_i32_i24 v4 /*v260*/, v106, v13 /*v269*/, v4 /*v260*/
	s_set_vgpr_msb 0x41                     ;  msbs: dst=1 src0=1 src1=0 src2=0
	v_mul_i32_i24_e32 v16 /*v272*/, v18 /*v274*/, v110
	v_mul_i32_i24_e32 v18 /*v274*/, v20 /*v276*/, v115
	v_mul_i32_i24_e32 v19 /*v275*/, v21 /*v277*/, v114
	v_mul_i32_i24_e32 v20 /*v276*/, v22 /*v278*/, v113
	s_set_vgpr_msb 0x55                     ;  msbs: dst=1 src0=1 src1=1 src2=1
	v_add3_u32 v4 /*v260*/, v4 /*v260*/, v5 /*v261*/, v10 /*v266*/
	s_set_vgpr_msb 0x41                     ;  msbs: dst=1 src0=1 src1=0 src2=0
	v_mul_i32_i24_e32 v22 /*v278*/, v24 /*v280*/, v118
	v_mul_i32_i24_e32 v24 /*v280*/, v26 /*v282*/, v103
	v_mul_i32_i24_e32 v21 /*v277*/, v23 /*v279*/, v119
	v_mul_i32_i24_e32 v23 /*v279*/, v25 /*v281*/, v116
	s_set_vgpr_msb 0x55                     ;  msbs: dst=1 src0=1 src1=1 src2=1
	v_add3_u32 v4 /*v260*/, v4 /*v260*/, v17 /*v273*/, v15 /*v271*/
	;; [unrolled: 7-line block ×3, first 2 shown]
	s_set_vgpr_msb 0x41                     ;  msbs: dst=1 src0=1 src1=0 src2=0
	v_mul_i32_i24_e32 v5 /*v261*/, v12 /*v268*/, v93
	s_set_vgpr_msb 0x55                     ;  msbs: dst=1 src0=1 src1=1 src2=1
	s_delay_alu instid0(VALU_DEP_2) | instskip(SKIP_3) | instid1(VALU_DEP_2)
	v_add3_u32 v4 /*v260*/, v4 /*v260*/, v6 /*v262*/, v18 /*v274*/
	s_set_vgpr_msb 0x44                     ;  msbs: dst=1 src0=0 src1=1 src2=0
	v_mul_i32_i24_e32 v6 /*v262*/, v92, v43 /*v299*/
	s_set_vgpr_msb 0x55                     ;  msbs: dst=1 src0=1 src1=1 src2=1
	v_add3_u32 v4 /*v260*/, v4 /*v260*/, v19 /*v275*/, v20 /*v276*/
	s_delay_alu instid0(VALU_DEP_1) | instskip(NEXT) | instid1(VALU_DEP_1)
	v_add3_u32 v4 /*v260*/, v4 /*v260*/, v24 /*v280*/, v22 /*v278*/
	v_add3_u32 v4 /*v260*/, v4 /*v260*/, v21 /*v277*/, v23 /*v279*/
	s_delay_alu instid0(VALU_DEP_1) | instskip(SKIP_3) | instid1(VALU_DEP_2)
	v_add3_u32 v4 /*v260*/, v4 /*v260*/, v7 /*v263*/, v25 /*v281*/
	s_set_vgpr_msb 0x44                     ;  msbs: dst=1 src0=0 src1=1 src2=0
	v_mul_i32_i24_e32 v7 /*v263*/, v92, v42 /*v298*/
	s_set_vgpr_msb 0x55                     ;  msbs: dst=1 src0=1 src1=1 src2=1
	v_add3_u32 v4 /*v260*/, v4 /*v260*/, v26 /*v282*/, v27 /*v283*/
	s_delay_alu instid0(VALU_DEP_1) | instskip(SKIP_3) | instid1(VALU_DEP_2)
	v_add3_u32 v4 /*v260*/, v4 /*v260*/, v9 /*v265*/, v29 /*v285*/
	s_set_vgpr_msb 0x44                     ;  msbs: dst=1 src0=0 src1=1 src2=0
	v_mul_i32_i24_e32 v9 /*v265*/, v81, v44 /*v300*/
	s_set_vgpr_msb 0x55                     ;  msbs: dst=1 src0=1 src1=1 src2=1
	v_add3_u32 v4 /*v260*/, v4 /*v260*/, v28 /*v284*/, v30 /*v286*/
	s_set_vgpr_msb 20                       ;  msbs: dst=0 src0=0 src1=1 src2=1
	s_delay_alu instid0(VALU_DEP_2) | instskip(SKIP_1) | instid1(VALU_DEP_2)
	v_add3_u32 v247, v247, v6 /*v262*/, v9 /*v265*/
	s_set_vgpr_msb 0x55                     ;  msbs: dst=1 src0=1 src1=1 src2=1
	v_add3_u32 v4 /*v260*/, v4 /*v260*/, v11 /*v267*/, v31 /*v287*/
	s_delay_alu instid0(VALU_DEP_1) | instskip(NEXT) | instid1(VALU_DEP_1)
	v_add3_u32 v4 /*v260*/, v4 /*v260*/, v32 /*v288*/, v33 /*v289*/
	v_add3_u32 v3 /*v259*/, v4 /*v260*/, v3 /*v259*/, v5 /*v261*/
	s_set_vgpr_msb 64                       ;  msbs: dst=1 src0=0 src1=0 src2=0
	v_cvt_f32_i32_e32 v4 /*v260*/, v247
	s_set_vgpr_msb 21                       ;  msbs: dst=0 src0=1 src1=1 src2=1
	s_delay_alu instid0(VALU_DEP_2) | instskip(SKIP_1) | instid1(VALU_DEP_1)
	v_add3_u32 v255, v3 /*v259*/, v7 /*v263*/, v8 /*v264*/
	s_set_vgpr_msb 64                       ;  msbs: dst=1 src0=0 src1=0 src2=0
	v_cvt_f32_i32_e32 v5 /*v261*/, v255
	s_set_vgpr_msb 4                        ;  msbs: dst=0 src0=0 src1=1 src2=0
	s_delay_alu instid0(VALU_DEP_1) | instskip(SKIP_2) | instid1(VALU_DEP_2)
	v_pk_fma_f32 v[88:89], v[88:89], v[4:5] /*v[260:261]*/, v[90:91] neg_lo:[0,0,1] neg_hi:[0,0,1]
	s_set_vgpr_msb 0                        ;  msbs: dst=0 src0=0 src1=0 src2=0
	v_add_nc_u32_e32 v90, 0x1800, v85
	v_pk_fma_f32 v[68:69], v[80:81], v[88:89], v[68:69] op_sel_hi:[0,1,1]
	v_add_nc_u32_e32 v88, 0x1804, v85
	s_set_vgpr_msb 64                       ;  msbs: dst=1 src0=0 src1=0 src2=0
	ds_load_2addr_b32 v[4:5] /*v[260:261]*/, v88 offset1:1
	s_set_vgpr_msb 0                        ;  msbs: dst=0 src0=0 src1=0 src2=0
	v_add_nc_u32_e32 v88, 0x1814, v85
	s_set_vgpr_msb 64                       ;  msbs: dst=1 src0=0 src1=0 src2=0
	ds_load_2addr_b32 v[6:7] /*v[262:263]*/, v88 offset1:1
	s_set_vgpr_msb 0                        ;  msbs: dst=0 src0=0 src1=0 src2=0
	ds_load_2addr_b32 v[88:89], v90 offset1:3
	s_set_vgpr_msb 64                       ;  msbs: dst=1 src0=0 src1=0 src2=0
	ds_load_2addr_b32 v[8:9] /*v[264:265]*/, v90 offset0:4 offset1:7
	s_set_vgpr_msb 0                        ;  msbs: dst=0 src0=0 src1=0 src2=0
	ds_load_2addr_b32 v[90:91], v83 offset0:192 offset1:224
	s_wait_dscnt 0x4
	s_set_vgpr_msb 0x41                     ;  msbs: dst=1 src0=1 src1=0 src2=0
	v_bfe_i32 v11 /*v267*/, v4 /*v260*/, 0, 8
	v_bfe_i32 v12 /*v268*/, v4 /*v260*/, 8, 8
	;; [unrolled: 1-line block ×3, first 2 shown]
	s_set_vgpr_msb 0x44                     ;  msbs: dst=1 src0=0 src1=1 src2=0
	v_ashrrev_i32_e32 v14 /*v270*/, 24, v4 /*v260*/
	s_set_vgpr_msb 0x41                     ;  msbs: dst=1 src0=1 src1=0 src2=0
	v_bfe_i32 v18 /*v274*/, v5 /*v261*/, 0, 8
	v_bfe_i32 v19 /*v275*/, v5 /*v261*/, 8, 8
	s_wait_dscnt 0x1
	v_bfe_i32 v3 /*v259*/, v8 /*v264*/, 8, 8
	v_bfe_i32 v0 /*v256*/, v8 /*v264*/, 0, 8
	;; [unrolled: 1-line block ×3, first 2 shown]
	s_set_vgpr_msb 0x44                     ;  msbs: dst=1 src0=0 src1=1 src2=0
	v_dual_ashrrev_i32 v8 /*v264*/, 24, v8 /*v264*/ :: v_dual_ashrrev_i32 v21 /*v277*/, 24, v5 /*v261*/
	s_set_vgpr_msb 0x51                     ;  msbs: dst=1 src0=1 src1=0 src2=1
	v_mul_i32_i24_e32 v4 /*v260*/, v3 /*v259*/, v224
	v_bfe_i32 v20 /*v276*/, v5 /*v261*/, 16, 8
	v_mul_i32_i24_e32 v5 /*v261*/, v10 /*v266*/, v221
	v_mul_i32_i24_e32 v31 /*v287*/, v8 /*v264*/, v225
	v_bfe_i32 v22 /*v278*/, v7 /*v263*/, 0, 8
	v_mad_i32_i24 v4 /*v260*/, v0 /*v256*/, v218, v4 /*v260*/
	v_bfe_i32 v23 /*v279*/, v7 /*v263*/, 8, 8
	v_bfe_i32 v24 /*v280*/, v7 /*v263*/, 16, 8
	s_set_vgpr_msb 0x44                     ;  msbs: dst=1 src0=0 src1=1 src2=0
	v_ashrrev_i32_e32 v7 /*v263*/, 24, v7 /*v263*/
	s_set_vgpr_msb 0x41                     ;  msbs: dst=1 src0=1 src1=0 src2=0
	v_mul_i32_i24_e32 v33 /*v289*/, v12 /*v268*/, v227
	v_mul_i32_i24_e32 v35 /*v291*/, v14 /*v270*/, v229
	s_set_vgpr_msb 0x55                     ;  msbs: dst=1 src0=1 src1=1 src2=1
	v_add3_u32 v4 /*v260*/, v4 /*v260*/, v5 /*v261*/, v31 /*v287*/
	v_bfe_i32 v15 /*v271*/, v6 /*v262*/, 0, 8
	v_bfe_i32 v16 /*v272*/, v6 /*v262*/, 8, 8
	;; [unrolled: 1-line block ×3, first 2 shown]
	v_ashrrev_i32_e32 v6 /*v262*/, 24, v6 /*v262*/
	s_set_vgpr_msb 0x41                     ;  msbs: dst=1 src0=1 src1=0 src2=0
	v_mul_i32_i24_e32 v32 /*v288*/, v11 /*v267*/, v226
	v_mul_i32_i24_e32 v34 /*v290*/, v13 /*v269*/, v228
	s_set_vgpr_msb 0x55                     ;  msbs: dst=1 src0=1 src1=1 src2=1
	v_add3_u32 v4 /*v260*/, v4 /*v260*/, v35 /*v291*/, v33 /*v289*/
	s_set_vgpr_msb 0x41                     ;  msbs: dst=1 src0=1 src1=0 src2=0
	v_mul_i32_i24_e32 v37 /*v293*/, v15 /*v271*/, v230
	v_mul_i32_i24_e32 v40 /*v296*/, v6 /*v262*/, v232
	v_mul_i32_i24_e32 v38 /*v294*/, v16 /*v272*/, v231
	v_mul_i32_i24_e32 v39 /*v295*/, v17 /*v273*/, v223
	s_set_vgpr_msb 0x55                     ;  msbs: dst=1 src0=1 src1=1 src2=1
	v_add3_u32 v4 /*v260*/, v4 /*v260*/, v32 /*v288*/, v34 /*v290*/
	s_set_vgpr_msb 0x41                     ;  msbs: dst=1 src0=1 src1=0 src2=0
	v_mul_i32_i24_e32 v42 /*v298*/, v19 /*v275*/, v234
	v_mul_i32_i24_e32 v44 /*v300*/, v21 /*v277*/, v235
	;; [unrolled: 7-line block ×3, first 2 shown]
	s_set_vgpr_msb 64                       ;  msbs: dst=1 src0=0 src1=0 src2=0
	v_bfe_i32 v25 /*v281*/, v89, 0, 8
	v_bfe_i32 v26 /*v282*/, v89, 8, 8
	s_set_vgpr_msb 0x55                     ;  msbs: dst=1 src0=1 src1=1 src2=1
	v_add3_u32 v4 /*v260*/, v4 /*v260*/, v38 /*v294*/, v39 /*v295*/
	s_set_vgpr_msb 64                       ;  msbs: dst=1 src0=0 src1=0 src2=0
	v_bfe_i32 v27 /*v283*/, v89, 16, 8
	s_set_vgpr_msb 0                        ;  msbs: dst=0 src0=0 src1=0 src2=0
	v_ashrrev_i32_e32 v89, 24, v89
	s_set_vgpr_msb 0x41                     ;  msbs: dst=1 src0=1 src1=0 src2=0
	v_mul_i32_i24_e32 v46 /*v302*/, v23 /*v279*/, v238
	v_mul_i32_i24_e32 v47 /*v303*/, v24 /*v280*/, v240
	s_set_vgpr_msb 0x55                     ;  msbs: dst=1 src0=1 src1=1 src2=1
	v_add3_u32 v4 /*v260*/, v4 /*v260*/, v44 /*v300*/, v42 /*v298*/
	s_set_vgpr_msb 0x41                     ;  msbs: dst=1 src0=1 src1=0 src2=0
	v_mul_i32_i24_e32 v50 /*v306*/, v26 /*v282*/, v242
	s_set_vgpr_msb 64                       ;  msbs: dst=1 src0=0 src1=0 src2=0
	v_mul_i32_i24_e32 v52 /*v308*/, v89, v243
	s_set_vgpr_msb 0x55                     ;  msbs: dst=1 src0=1 src1=1 src2=1
	v_bfe_i32 v28 /*v284*/, v9 /*v265*/, 0, 8
	v_bfe_i32 v29 /*v285*/, v9 /*v265*/, 8, 8
	v_add3_u32 v4 /*v260*/, v4 /*v260*/, v41 /*v297*/, v43 /*v299*/
	v_bfe_i32 v30 /*v286*/, v9 /*v265*/, 16, 8
	v_ashrrev_i32_e32 v9 /*v265*/, 24, v9 /*v265*/
	s_set_vgpr_msb 0x41                     ;  msbs: dst=1 src0=1 src1=0 src2=0
	v_mul_i32_i24_e32 v49 /*v305*/, v25 /*v281*/, v241
	v_mul_i32_i24_e32 v51 /*v307*/, v27 /*v283*/, v244
	s_set_vgpr_msb 0x55                     ;  msbs: dst=1 src0=1 src1=1 src2=1
	v_add3_u32 v4 /*v260*/, v4 /*v260*/, v48 /*v304*/, v45 /*v301*/
	s_set_vgpr_msb 0x41                     ;  msbs: dst=1 src0=1 src1=0 src2=0
	v_mul_i32_i24_e32 v53 /*v309*/, v28 /*v284*/, v245
	s_set_vgpr_msb 0x45                     ;  msbs: dst=1 src0=1 src1=1 src2=0
	v_mul_i32_i24_e32 v56 /*v312*/, v9 /*v265*/, v1 /*v257*/
	s_set_vgpr_msb 0x41                     ;  msbs: dst=1 src0=1 src1=0 src2=0
	v_mul_i32_i24_e32 v54 /*v310*/, v29 /*v285*/, v246
	s_set_vgpr_msb 0x55                     ;  msbs: dst=1 src0=1 src1=1 src2=1
	v_mul_i32_i24_e32 v55 /*v311*/, v30 /*v286*/, v2 /*v258*/
	v_add3_u32 v4 /*v260*/, v4 /*v260*/, v46 /*v302*/, v47 /*v303*/
	s_set_vgpr_msb 0x41                     ;  msbs: dst=1 src0=1 src1=0 src2=0
	v_mul_i32_i24_e32 v5 /*v261*/, v10 /*v266*/, v192
	v_mul_i32_i24_e32 v31 /*v287*/, v8 /*v264*/, v196
	v_mul_i32_i24_e32 v33 /*v289*/, v12 /*v268*/, v198
	v_mul_i32_i24_e32 v37 /*v293*/, v14 /*v270*/, v200
	s_set_vgpr_msb 0x55                     ;  msbs: dst=1 src0=1 src1=1 src2=1
	v_add3_u32 v4 /*v260*/, v4 /*v260*/, v52 /*v308*/, v50 /*v306*/
	s_set_vgpr_msb 0x41                     ;  msbs: dst=1 src0=1 src1=0 src2=0
	v_mul_i32_i24_e32 v32 /*v288*/, v11 /*v267*/, v197
	v_mul_i32_i24_e32 v34 /*v290*/, v13 /*v269*/, v199
	v_mul_i32_i24_e32 v39 /*v295*/, v15 /*v271*/, v201
	v_mul_i32_i24_e32 v42 /*v298*/, v6 /*v262*/, v203
	s_set_vgpr_msb 0x55                     ;  msbs: dst=1 src0=1 src1=1 src2=1
	;; [unrolled: 7-line block ×4, first 2 shown]
	v_add3_u32 v38 /*v294*/, v4 /*v260*/, v54 /*v310*/, v55 /*v311*/
	s_set_vgpr_msb 0x41                     ;  msbs: dst=1 src0=1 src1=0 src2=0
	v_mul_i32_i24_e32 v4 /*v260*/, v3 /*v259*/, v195
	v_mul_i32_i24_e32 v48 /*v304*/, v23 /*v279*/, v209
	;; [unrolled: 1-line block ×4, first 2 shown]
	s_set_vgpr_msb 64                       ;  msbs: dst=1 src0=0 src1=0 src2=0
	v_mul_i32_i24_e32 v54 /*v310*/, v89, v214
	s_set_vgpr_msb 0x51                     ;  msbs: dst=1 src0=1 src1=0 src2=1
	v_mad_i32_i24 v4 /*v260*/, v0 /*v256*/, v191, v4 /*v260*/
	v_mul_i32_i24_e32 v51 /*v307*/, v25 /*v281*/, v213
	v_mul_i32_i24_e32 v53 /*v309*/, v27 /*v283*/, v215
	;; [unrolled: 1-line block ×4, first 2 shown]
	s_set_vgpr_msb 0x55                     ;  msbs: dst=1 src0=1 src1=1 src2=1
	v_add3_u32 v4 /*v260*/, v4 /*v260*/, v5 /*v261*/, v31 /*v287*/
	s_set_vgpr_msb 0x41                     ;  msbs: dst=1 src0=1 src1=0 src2=0
	v_mul_i32_i24_e32 v5 /*v261*/, v3 /*v259*/, v220
	s_set_vgpr_msb 0x44                     ;  msbs: dst=1 src0=0 src1=1 src2=0
	v_mul_i32_i24_e32 v3 /*v259*/, v109, v3 /*v259*/
	s_set_vgpr_msb 0x41                     ;  msbs: dst=1 src0=1 src1=0 src2=0
	v_mul_i32_i24_e32 v31 /*v287*/, v10 /*v266*/, v219
	s_set_vgpr_msb 0x44                     ;  msbs: dst=1 src0=0 src1=1 src2=0
	v_mul_i32_i24_e32 v10 /*v266*/, v108, v10 /*v266*/
	s_set_vgpr_msb 0x55                     ;  msbs: dst=1 src0=1 src1=1 src2=1
	v_add3_u32 v4 /*v260*/, v4 /*v260*/, v37 /*v293*/, v33 /*v289*/
	s_set_vgpr_msb 0x51                     ;  msbs: dst=1 src0=1 src1=0 src2=1
	v_mad_i32_i24 v5 /*v261*/, v0 /*v256*/, v130, v5 /*v261*/
	s_set_vgpr_msb 0x54                     ;  msbs: dst=1 src0=0 src1=1 src2=1
	v_mad_i32_i24 v0 /*v256*/, v106, v0 /*v256*/, v3 /*v259*/
	s_set_vgpr_msb 0x41                     ;  msbs: dst=1 src0=1 src1=0 src2=0
	v_mul_i32_i24_e32 v33 /*v289*/, v11 /*v267*/, v133
	v_mul_i32_i24_e32 v11 /*v267*/, v11 /*v267*/, v112
	s_set_vgpr_msb 0x55                     ;  msbs: dst=1 src0=1 src1=1 src2=1
	v_add3_u32 v4 /*v260*/, v4 /*v260*/, v32 /*v288*/, v34 /*v290*/
	s_set_vgpr_msb 0x41                     ;  msbs: dst=1 src0=1 src1=0 src2=0
	v_mul_i32_i24_e32 v32 /*v288*/, v8 /*v264*/, v132
	s_set_vgpr_msb 0x44                     ;  msbs: dst=1 src0=0 src1=1 src2=0
	v_mul_i32_i24_e32 v8 /*v264*/, v99, v8 /*v264*/
	s_set_vgpr_msb 0x41                     ;  msbs: dst=1 src0=1 src1=0 src2=0
	v_mul_i32_i24_e32 v34 /*v290*/, v12 /*v268*/, v134
	v_mul_i32_i24_e32 v12 /*v268*/, v12 /*v268*/, v111
	s_set_vgpr_msb 0x55                     ;  msbs: dst=1 src0=1 src1=1 src2=1
	v_add3_u32 v4 /*v260*/, v4 /*v260*/, v42 /*v298*/, v39 /*v295*/
	s_set_vgpr_msb 0x41                     ;  msbs: dst=1 src0=1 src1=0 src2=0
	v_mul_i32_i24_e32 v39 /*v295*/, v13 /*v269*/, v135
	s_set_vgpr_msb 0x55                     ;  msbs: dst=1 src0=1 src1=1 src2=1
	v_add3_u32 v0 /*v256*/, v0 /*v256*/, v10 /*v266*/, v8 /*v264*/
	s_set_vgpr_msb 0x41                     ;  msbs: dst=1 src0=1 src1=0 src2=0
	v_mul_i32_i24_e32 v13 /*v269*/, v13 /*v269*/, v110
	v_mul_i32_i24_e32 v42 /*v298*/, v16 /*v272*/, v138
	s_set_vgpr_msb 0x55                     ;  msbs: dst=1 src0=1 src1=1 src2=1
	v_add3_u32 v4 /*v260*/, v4 /*v260*/, v40 /*v296*/, v41 /*v297*/
	s_set_vgpr_msb 0x41                     ;  msbs: dst=1 src0=1 src1=0 src2=0
	v_mul_i32_i24_e32 v40 /*v296*/, v14 /*v270*/, v136
	v_mul_i32_i24_e32 v14 /*v270*/, v14 /*v270*/, v100
	;; [unrolled: 1-line block ×4, first 2 shown]
	s_set_vgpr_msb 0x55                     ;  msbs: dst=1 src0=1 src1=1 src2=1
	v_add3_u32 v4 /*v260*/, v4 /*v260*/, v46 /*v302*/, v44 /*v300*/
	s_set_vgpr_msb 0x41                     ;  msbs: dst=1 src0=1 src1=0 src2=0
	v_mul_i32_i24_e32 v44 /*v300*/, v6 /*v262*/, v139
	s_set_vgpr_msb 0x55                     ;  msbs: dst=1 src0=1 src1=1 src2=1
	v_add3_u32 v0 /*v256*/, v0 /*v256*/, v14 /*v270*/, v12 /*v268*/
	s_set_vgpr_msb 0x41                     ;  msbs: dst=1 src0=1 src1=0 src2=0
	v_mul_i32_i24_e32 v6 /*v262*/, v6 /*v262*/, v101
	v_mul_i32_i24_e32 v16 /*v272*/, v16 /*v272*/, v114
	s_set_vgpr_msb 0x55                     ;  msbs: dst=1 src0=1 src1=1 src2=1
	v_add3_u32 v4 /*v260*/, v4 /*v260*/, v43 /*v299*/, v45 /*v301*/
	s_set_vgpr_msb 0x41                     ;  msbs: dst=1 src0=1 src1=0 src2=0
	v_mul_i32_i24_e32 v43 /*v299*/, v17 /*v273*/, v131
	s_set_vgpr_msb 0x55                     ;  msbs: dst=1 src0=1 src1=1 src2=1
	v_add3_u32 v0 /*v256*/, v0 /*v256*/, v11 /*v267*/, v13 /*v269*/
	s_set_vgpr_msb 0x41                     ;  msbs: dst=1 src0=1 src1=0 src2=0
	v_mul_i32_i24_e32 v17 /*v273*/, v17 /*v273*/, v113
	v_mul_i32_i24_e32 v46 /*v302*/, v19 /*v275*/, v140
	;; [unrolled: 9-line block ×3, first 2 shown]
	s_set_vgpr_msb 0x55                     ;  msbs: dst=1 src0=1 src1=1 src2=1
	v_add3_u32 v4 /*v260*/, v4 /*v260*/, v48 /*v304*/, v49 /*v305*/
	s_set_vgpr_msb 0x41                     ;  msbs: dst=1 src0=1 src1=0 src2=0
	v_mul_i32_i24_e32 v48 /*v304*/, v21 /*v277*/, v142
	v_mul_i32_i24_e32 v21 /*v277*/, v21 /*v277*/, v103
	s_set_vgpr_msb 0x55                     ;  msbs: dst=1 src0=1 src1=1 src2=1
	v_add3_u32 v0 /*v256*/, v0 /*v256*/, v16 /*v272*/, v17 /*v273*/
	s_set_vgpr_msb 0x41                     ;  msbs: dst=1 src0=1 src1=0 src2=0
	v_mul_i32_i24_e32 v18 /*v274*/, v18 /*v274*/, v119
	s_set_vgpr_msb 0x55                     ;  msbs: dst=1 src0=1 src1=1 src2=1
	v_add3_u32 v4 /*v260*/, v4 /*v260*/, v54 /*v310*/, v52 /*v308*/
	s_set_vgpr_msb 0x41                     ;  msbs: dst=1 src0=1 src1=0 src2=0
	v_mul_i32_i24_e32 v20 /*v276*/, v20 /*v276*/, v116
	v_mul_i32_i24_e32 v49 /*v305*/, v22 /*v278*/, v144
	s_set_vgpr_msb 0x55                     ;  msbs: dst=1 src0=1 src1=1 src2=1
	v_add3_u32 v0 /*v256*/, v0 /*v256*/, v21 /*v277*/, v19 /*v275*/
	s_set_vgpr_msb 0x41                     ;  msbs: dst=1 src0=1 src1=0 src2=0
	v_mul_i32_i24_e32 v52 /*v308*/, v7 /*v263*/, v146
	s_set_vgpr_msb 0x55                     ;  msbs: dst=1 src0=1 src1=1 src2=1
	v_add3_u32 v4 /*v260*/, v4 /*v260*/, v51 /*v307*/, v53 /*v309*/
	s_set_vgpr_msb 0x41                     ;  msbs: dst=1 src0=1 src1=0 src2=0
	v_mul_i32_i24_e32 v22 /*v278*/, v22 /*v278*/, v124
	v_mul_i32_i24_e32 v7 /*v263*/, v7 /*v263*/, v104
	s_set_vgpr_msb 0x55                     ;  msbs: dst=1 src0=1 src1=1 src2=1
	v_add3_u32 v0 /*v256*/, v0 /*v256*/, v18 /*v274*/, v20 /*v276*/
	s_set_vgpr_msb 0x41                     ;  msbs: dst=1 src0=1 src1=0 src2=0
	v_mul_i32_i24_e32 v56 /*v312*/, v29 /*v285*/, v217
	v_mul_i32_i24_e32 v57 /*v313*/, v30 /*v286*/, v253
	s_set_vgpr_msb 0x55                     ;  msbs: dst=1 src0=1 src1=1 src2=1
	v_add3_u32 v4 /*v260*/, v4 /*v260*/, v58 /*v314*/, v55 /*v311*/
	s_set_vgpr_msb 0x41                     ;  msbs: dst=1 src0=1 src1=0 src2=0
	v_mul_i32_i24_e32 v50 /*v306*/, v23 /*v279*/, v145
	v_mul_i32_i24_e32 v51 /*v307*/, v24 /*v280*/, v147
	;; [unrolled: 1-line block ×4, first 2 shown]
	s_set_vgpr_msb 0x55                     ;  msbs: dst=1 src0=1 src1=1 src2=1
	v_add3_u32 v0 /*v256*/, v0 /*v256*/, v7 /*v263*/, v22 /*v278*/
	v_add3_u32 v37 /*v293*/, v4 /*v260*/, v56 /*v312*/, v57 /*v313*/
	s_set_vgpr_msb 0x41                     ;  msbs: dst=1 src0=1 src1=0 src2=0
	v_mul_i32_i24_e32 v54 /*v310*/, v26 /*v282*/, v148
	s_set_vgpr_msb 64                       ;  msbs: dst=1 src0=0 src1=0 src2=0
	v_mul_i32_i24_e32 v56 /*v312*/, v89, v150
	s_set_vgpr_msb 0x41                     ;  msbs: dst=1 src0=1 src1=0 src2=0
	v_mul_i32_i24_e32 v26 /*v282*/, v26 /*v282*/, v126
	s_set_vgpr_msb 0                        ;  msbs: dst=0 src0=0 src1=0 src2=0
	v_mul_i32_i24_e32 v89, v89, v102
	s_set_vgpr_msb 0x55                     ;  msbs: dst=1 src0=1 src1=1 src2=1
	v_add3_u32 v0 /*v256*/, v0 /*v256*/, v23 /*v279*/, v24 /*v280*/
	s_set_vgpr_msb 0x41                     ;  msbs: dst=1 src0=1 src1=0 src2=0
	v_mul_i32_i24_e32 v53 /*v309*/, v25 /*v281*/, v149
	v_mul_i32_i24_e32 v55 /*v311*/, v27 /*v283*/, v151
	;; [unrolled: 1-line block ×4, first 2 shown]
	s_set_vgpr_msb 17                       ;  msbs: dst=0 src0=1 src1=0 src2=1
	v_add3_u32 v89, v0 /*v256*/, v89, v26 /*v282*/
	s_set_vgpr_msb 0x41                     ;  msbs: dst=1 src0=1 src1=0 src2=0
	v_mul_i32_i24_e32 v57 /*v313*/, v28 /*v284*/, v153
	v_mul_i32_i24_e32 v60 /*v316*/, v9 /*v265*/, v154
	v_mul_i32_i24_e32 v28 /*v284*/, v28 /*v284*/, v107
	v_mul_i32_i24_e32 v9 /*v265*/, v9 /*v265*/, v128
	s_set_vgpr_msb 20                       ;  msbs: dst=0 src0=0 src1=1 src2=1
	v_add3_u32 v89, v89, v25 /*v281*/, v27 /*v283*/
	s_set_vgpr_msb 0x41                     ;  msbs: dst=1 src0=1 src1=0 src2=0
	v_mul_i32_i24_e32 v58 /*v314*/, v29 /*v285*/, v152
	v_mul_i32_i24_e32 v59 /*v315*/, v30 /*v286*/, v155
	;; [unrolled: 1-line block ×4, first 2 shown]
	s_set_vgpr_msb 20                       ;  msbs: dst=0 src0=0 src1=1 src2=1
	v_add3_u32 v89, v89, v9 /*v265*/, v28 /*v284*/
	s_set_vgpr_msb 0x55                     ;  msbs: dst=1 src0=1 src1=1 src2=1
	v_add3_u32 v5 /*v261*/, v5 /*v261*/, v31 /*v287*/, v32 /*v288*/
	s_set_vgpr_msb 0                        ;  msbs: dst=0 src0=0 src1=0 src2=0
	v_bfe_i32 v255, v88, 0, 8
	v_bfe_i32 v247, v88, 8, 8
	s_set_vgpr_msb 0x54                     ;  msbs: dst=1 src0=0 src1=1 src2=1
	v_add3_u32 v0 /*v256*/, v89, v29 /*v285*/, v30 /*v286*/
	s_set_vgpr_msb 0                        ;  msbs: dst=0 src0=0 src1=0 src2=0
	v_add_nc_u32_e32 v89, 0x1c04, v85
	s_set_vgpr_msb 0x55                     ;  msbs: dst=1 src0=1 src1=1 src2=1
	v_add3_u32 v5 /*v261*/, v5 /*v261*/, v40 /*v296*/, v34 /*v290*/
	s_set_vgpr_msb 64                       ;  msbs: dst=1 src0=0 src1=0 src2=0
	v_mul_i32_i24_e32 v36 /*v292*/, v255, v222
	v_mul_i32_i24_e32 v35 /*v291*/, v255, v193
	;; [unrolled: 1-line block ×3, first 2 shown]
	ds_load_2addr_b32 v[20:21] /*v[276:277]*/, v89 offset1:1
	s_set_vgpr_msb 0                        ;  msbs: dst=0 src0=0 src1=0 src2=0
	v_add_nc_u32_e32 v89, 0x1c14, v85
	s_set_vgpr_msb 0x55                     ;  msbs: dst=1 src0=1 src1=1 src2=1
	v_add3_u32 v5 /*v261*/, v5 /*v261*/, v33 /*v289*/, v39 /*v295*/
	s_set_vgpr_msb 0                        ;  msbs: dst=0 src0=0 src1=0 src2=0
	v_mul_i32_i24_e32 v255, v121, v255
	s_set_vgpr_msb 64                       ;  msbs: dst=1 src0=0 src1=0 src2=0
	ds_load_2addr_b32 v[24:25] /*v[280:281]*/, v89 offset1:1
	s_set_vgpr_msb 0                        ;  msbs: dst=0 src0=0 src1=0 src2=0
	v_add_nc_u32_e32 v89, 0x1c00, v85
	s_set_vgpr_msb 0x55                     ;  msbs: dst=1 src0=1 src1=1 src2=1
	v_add3_u32 v5 /*v261*/, v5 /*v261*/, v44 /*v300*/, v41 /*v297*/
	s_set_vgpr_msb 64                       ;  msbs: dst=1 src0=0 src1=0 src2=0
	ds_load_2addr_b32 v[40:41] /*v[296:297]*/, v89 offset1:3
	ds_load_2addr_b32 v[32:33] /*v[288:289]*/, v89 offset0:4 offset1:7
	s_set_vgpr_msb 0x55                     ;  msbs: dst=1 src0=1 src1=1 src2=1
	v_add3_u32 v5 /*v261*/, v5 /*v261*/, v42 /*v298*/, v43 /*v299*/
	s_delay_alu instid0(VALU_DEP_1)
	v_add3_u32 v5 /*v261*/, v5 /*v261*/, v48 /*v304*/, v46 /*v302*/
	s_wait_dscnt 0x3
	v_bfe_i32 v10 /*v266*/, v20 /*v276*/, 0, 8
	v_bfe_i32 v11 /*v267*/, v20 /*v276*/, 8, 8
	;; [unrolled: 1-line block ×3, first 2 shown]
	v_ashrrev_i32_e32 v13 /*v269*/, 24, v20 /*v276*/
	v_bfe_i32 v18 /*v274*/, v21 /*v277*/, 0, 8
	v_bfe_i32 v19 /*v275*/, v21 /*v277*/, 8, 8
	v_bfe_i32 v20 /*v276*/, v21 /*v277*/, 16, 8
	v_ashrrev_i32_e32 v21 /*v277*/, 24, v21 /*v277*/
	s_wait_dscnt 0x2
	v_bfe_i32 v14 /*v270*/, v24 /*v280*/, 0, 8
	v_ashrrev_i32_e32 v17 /*v273*/, 24, v24 /*v280*/
	v_bfe_i32 v15 /*v271*/, v24 /*v280*/, 8, 8
	s_wait_dscnt 0x1
	v_bfe_i32 v34 /*v290*/, v40 /*v296*/, 0, 8
	s_wait_dscnt 0x0
	v_bfe_i32 v7 /*v263*/, v32 /*v288*/, 8, 8
	v_bfe_i32 v6 /*v262*/, v32 /*v288*/, 0, 8
	;; [unrolled: 1-line block ×3, first 2 shown]
	v_ashrrev_i32_e32 v9 /*v265*/, 24, v32 /*v288*/
	s_set_vgpr_msb 0x41                     ;  msbs: dst=1 src0=1 src1=0 src2=0
	v_mul_i32_i24_e32 v39 /*v295*/, v34 /*v290*/, v222
	s_set_vgpr_msb 1                        ;  msbs: dst=0 src0=1 src1=0 src2=0
	v_mul_i32_i24_e32 v89, v7 /*v263*/, v224
	v_mul_i32_i24_e32 v224, v10 /*v266*/, v226
	v_mul_i32_i24_e32 v221, v8 /*v264*/, v221
	v_mul_i32_i24_e32 v222, v9 /*v265*/, v225
	v_mul_i32_i24_e32 v225, v11 /*v267*/, v227
	v_mad_i32_i24 v89, v6 /*v262*/, v218, v89
	v_mul_i32_i24_e32 v227, v13 /*v269*/, v229
	v_mul_i32_i24_e32 v226, v12 /*v268*/, v228
	s_set_vgpr_msb 0x41                     ;  msbs: dst=1 src0=1 src1=0 src2=0
	v_bfe_i32 v16 /*v272*/, v24 /*v280*/, 16, 8
	v_bfe_i32 v22 /*v278*/, v25 /*v281*/, 0, 8
	s_set_vgpr_msb 0                        ;  msbs: dst=0 src0=0 src1=0 src2=0
	v_add3_u32 v89, v89, v221, v222
	s_set_vgpr_msb 0x41                     ;  msbs: dst=1 src0=1 src1=0 src2=0
	v_bfe_i32 v23 /*v279*/, v25 /*v281*/, 8, 8
	v_bfe_i32 v24 /*v280*/, v25 /*v281*/, 16, 8
	s_set_vgpr_msb 0x44                     ;  msbs: dst=1 src0=0 src1=1 src2=0
	v_ashrrev_i32_e32 v25 /*v281*/, 24, v25 /*v281*/
	s_set_vgpr_msb 1                        ;  msbs: dst=0 src0=1 src1=0 src2=0
	v_mul_i32_i24_e32 v228, v14 /*v270*/, v230
	s_set_vgpr_msb 0                        ;  msbs: dst=0 src0=0 src1=0 src2=0
	v_add3_u32 v89, v89, v227, v225
	s_set_vgpr_msb 1                        ;  msbs: dst=0 src0=1 src1=0 src2=0
	v_mul_i32_i24_e32 v230, v17 /*v273*/, v232
	v_mul_i32_i24_e32 v229, v15 /*v271*/, v231
	;; [unrolled: 1-line block ×4, first 2 shown]
	s_set_vgpr_msb 0                        ;  msbs: dst=0 src0=0 src1=0 src2=0
	v_add3_u32 v89, v89, v224, v226
	s_set_vgpr_msb 1                        ;  msbs: dst=0 src0=1 src1=0 src2=0
	v_mul_i32_i24_e32 v234, v21 /*v277*/, v235
	v_mul_i32_i24_e32 v231, v18 /*v274*/, v233
	;; [unrolled: 1-line block ×4, first 2 shown]
	s_set_vgpr_msb 0                        ;  msbs: dst=0 src0=0 src1=0 src2=0
	v_add3_u32 v89, v89, v230, v228
	s_set_vgpr_msb 1                        ;  msbs: dst=0 src0=1 src1=0 src2=0
	v_mul_i32_i24_e32 v236, v23 /*v279*/, v238
	v_mul_i32_i24_e32 v238, v25 /*v281*/, v239
	s_set_vgpr_msb 0x41                     ;  msbs: dst=1 src0=1 src1=0 src2=0
	v_bfe_i32 v27 /*v283*/, v41 /*v297*/, 8, 8
	s_set_vgpr_msb 0x44                     ;  msbs: dst=1 src0=0 src1=1 src2=0
	v_ashrrev_i32_e32 v29 /*v285*/, 24, v41 /*v297*/
	s_set_vgpr_msb 0                        ;  msbs: dst=0 src0=0 src1=0 src2=0
	v_add3_u32 v89, v89, v229, v223
	s_set_vgpr_msb 1                        ;  msbs: dst=0 src0=1 src1=0 src2=0
	v_mul_i32_i24_e32 v237, v24 /*v280*/, v240
	s_set_vgpr_msb 0x41                     ;  msbs: dst=1 src0=1 src1=0 src2=0
	v_bfe_i32 v26 /*v282*/, v41 /*v297*/, 0, 8
	v_bfe_i32 v28 /*v284*/, v41 /*v297*/, 16, 8
	s_set_vgpr_msb 1                        ;  msbs: dst=0 src0=1 src1=0 src2=0
	v_mul_i32_i24_e32 v240, v27 /*v283*/, v242
	s_set_vgpr_msb 0                        ;  msbs: dst=0 src0=0 src1=0 src2=0
	v_add3_u32 v89, v89, v234, v232
	s_set_vgpr_msb 1                        ;  msbs: dst=0 src0=1 src1=0 src2=0
	v_mul_i32_i24_e32 v242, v29 /*v285*/, v243
	s_set_vgpr_msb 0x41                     ;  msbs: dst=1 src0=1 src1=0 src2=0
	v_bfe_i32 v30 /*v286*/, v33 /*v289*/, 0, 8
	v_bfe_i32 v31 /*v287*/, v33 /*v289*/, 8, 8
	;; [unrolled: 1-line block ×3, first 2 shown]
	s_set_vgpr_msb 0                        ;  msbs: dst=0 src0=0 src1=0 src2=0
	v_add3_u32 v89, v89, v231, v233
	s_set_vgpr_msb 0x44                     ;  msbs: dst=1 src0=0 src1=1 src2=0
	v_ashrrev_i32_e32 v33 /*v289*/, 24, v33 /*v289*/
	s_set_vgpr_msb 1                        ;  msbs: dst=0 src0=1 src1=0 src2=0
	v_mul_i32_i24_e32 v239, v26 /*v282*/, v241
	v_mul_i32_i24_e32 v241, v28 /*v284*/, v244
	;; [unrolled: 1-line block ×3, first 2 shown]
	s_set_vgpr_msb 0                        ;  msbs: dst=0 src0=0 src1=0 src2=0
	v_add3_u32 v89, v89, v238, v235
	s_set_vgpr_msb 1                        ;  msbs: dst=0 src0=1 src1=0 src2=0
	v_mul_i32_i24_e32 v244, v31 /*v287*/, v246
	s_set_vgpr_msb 5                        ;  msbs: dst=0 src0=1 src1=1 src2=0
	v_mul_i32_i24_e32 v246, v33 /*v289*/, v1 /*v257*/
	s_set_vgpr_msb 0x41                     ;  msbs: dst=1 src0=1 src1=0 src2=0
	v_bfe_i32 v3 /*v259*/, v40 /*v296*/, 8, 8
	s_set_vgpr_msb 5                        ;  msbs: dst=0 src0=1 src1=1 src2=0
	v_mul_i32_i24_e32 v245, v32 /*v288*/, v2 /*v258*/
	s_set_vgpr_msb 0                        ;  msbs: dst=0 src0=0 src1=0 src2=0
	v_add3_u32 v89, v89, v236, v237
	s_set_vgpr_msb 1                        ;  msbs: dst=0 src0=1 src1=0 src2=0
	v_bfe_i32 v222, v40 /*v296*/, 16, 8
	s_set_vgpr_msb 4                        ;  msbs: dst=0 src0=0 src1=1 src2=0
	v_bfe_i32 v223, v88, 16, 8
	v_ashrrev_i32_e32 v218, 24, v40 /*v296*/
	s_set_vgpr_msb 0                        ;  msbs: dst=0 src0=0 src1=0 src2=0
	v_ashrrev_i32_e32 v221, 24, v88
	v_add3_u32 v89, v89, v242, v240
	v_mul_i32_i24_e32 v225, v247, v189
	s_set_vgpr_msb 1                        ;  msbs: dst=0 src0=1 src1=0 src2=0
	v_mul_i32_i24_e32 v189, v3 /*v259*/, v189
	s_set_vgpr_msb 0                        ;  msbs: dst=0 src0=0 src1=0 src2=0
	v_cvt_f32_f16_e32 v88, v90
	v_lshrrev_b32_e32 v90, 16, v90
	v_add3_u32 v89, v89, v239, v241
	v_mul_i32_i24_e32 v226, v254, v223
	v_mul_i32_i24_e32 v227, v254, v222
	;; [unrolled: 1-line block ×4, first 2 shown]
	v_add3_u32 v89, v89, v246, v243
	v_cvt_f32_f16_e32 v90, v90
	s_set_vgpr_msb 1                        ;  msbs: dst=0 src0=1 src1=0 src2=0
	v_mul_i32_i24_e32 v192, v8 /*v264*/, v192
	v_mul_i32_i24_e32 v194, v16 /*v272*/, v194
	;; [unrolled: 1-line block ×3, first 2 shown]
	s_set_vgpr_msb 0                        ;  msbs: dst=0 src0=0 src1=0 src2=0
	v_add3_u32 v224, v89, v244, v245
	v_cvt_f32_f16_e32 v89, v91
	v_lshrrev_b32_e32 v91, 16, v91
	s_set_vgpr_msb 1                        ;  msbs: dst=0 src0=1 src1=0 src2=0
	v_mul_i32_i24_e32 v142, v21 /*v277*/, v142
	s_set_vgpr_msb 0x55                     ;  msbs: dst=1 src0=1 src1=1 src2=1
	v_add3_u32 v5 /*v261*/, v5 /*v261*/, v45 /*v301*/, v47 /*v303*/
	s_set_vgpr_msb 4                        ;  msbs: dst=0 src0=0 src1=1 src2=0
	v_add3_u32 v189, v224, v39 /*v295*/, v189
	s_set_vgpr_msb 5                        ;  msbs: dst=0 src0=1 src1=1 src2=0
	v_add3_u32 v224, v38 /*v294*/, v36 /*v292*/, v225
	s_set_vgpr_msb 0                        ;  msbs: dst=0 src0=0 src1=0 src2=0
	v_cvt_f32_f16_e32 v91, v91
	s_set_vgpr_msb 1                        ;  msbs: dst=0 src0=1 src1=0 src2=0
	v_mul_i32_i24_e32 v150, v29 /*v285*/, v150
	s_set_vgpr_msb 0x55                     ;  msbs: dst=1 src0=1 src1=1 src2=1
	v_add3_u32 v5 /*v261*/, v5 /*v261*/, v52 /*v308*/, v49 /*v305*/
	s_set_vgpr_msb 0                        ;  msbs: dst=0 src0=0 src1=0 src2=0
	v_add3_u32 v189, v189, v227, v229
	v_add3_u32 v224, v224, v226, v228
	v_pk_mul_f32 v[90:91], v[90:91], s[12:13] op_sel_hi:[1,0]
	s_set_vgpr_msb 1                        ;  msbs: dst=0 src0=1 src1=0 src2=0
	v_mul_i32_i24_e32 v115, v14 /*v270*/, v115
	s_set_vgpr_msb 0x55                     ;  msbs: dst=1 src0=1 src1=1 src2=1
	v_add3_u32 v5 /*v261*/, v5 /*v261*/, v50 /*v306*/, v51 /*v307*/
	s_set_vgpr_msb 0                        ;  msbs: dst=0 src0=0 src1=0 src2=0
	v_cvt_f32_i32_e32 v225, v189
	v_cvt_f32_i32_e32 v224, v224
	s_set_vgpr_msb 1                        ;  msbs: dst=0 src0=1 src1=0 src2=0
	v_mul_i32_i24_e32 v189, v7 /*v263*/, v195
	v_mul_i32_i24_e32 v195, v10 /*v266*/, v197
	;; [unrolled: 1-line block ×4, first 2 shown]
	s_set_vgpr_msb 0                        ;  msbs: dst=0 src0=0 src1=0 src2=0
	v_pk_fma_f32 v[224:225], v[88:89], v[224:225], v[90:91] neg_lo:[0,0,1] neg_hi:[0,0,1]
	s_set_vgpr_msb 1                        ;  msbs: dst=0 src0=1 src1=0 src2=0
	v_mad_i32_i24 v189, v6 /*v262*/, v191, v189
	v_mul_i32_i24_e32 v201, v17 /*v273*/, v203
	v_mul_i32_i24_e32 v203, v19 /*v275*/, v204
	;; [unrolled: 1-line block ×3, first 2 shown]
	s_set_vgpr_msb 0                        ;  msbs: dst=0 src0=0 src1=0 src2=0
	v_pk_fma_f32 v[36:37], v[84:85], v[224:225], v[36:37] op_sel_hi:[0,1,1]
	s_set_vgpr_msb 1                        ;  msbs: dst=0 src0=1 src1=0 src2=0
	v_mul_i32_i24_e32 v84, v34 /*v290*/, v193
	v_mul_i32_i24_e32 v193, v9 /*v265*/, v196
	;; [unrolled: 1-line block ×6, first 2 shown]
	s_set_vgpr_msb 0                        ;  msbs: dst=0 src0=0 src1=0 src2=0
	v_add3_u32 v189, v189, v192, v193
	s_set_vgpr_msb 1                        ;  msbs: dst=0 src0=1 src1=0 src2=0
	v_mul_i32_i24_e32 v205, v21 /*v277*/, v206
	v_mul_i32_i24_e32 v206, v22 /*v278*/, v208
	v_mul_i32_i24_e32 v207, v23 /*v279*/, v209
	v_mul_i32_i24_e32 v209, v25 /*v281*/, v210
	s_set_vgpr_msb 0                        ;  msbs: dst=0 src0=0 src1=0 src2=0
	v_add3_u32 v189, v189, v198, v196
	s_set_vgpr_msb 1                        ;  msbs: dst=0 src0=1 src1=0 src2=0
	v_mul_i32_i24_e32 v208, v24 /*v280*/, v211
	v_mul_i32_i24_e32 v210, v26 /*v282*/, v213
	v_mul_i32_i24_e32 v211, v27 /*v283*/, v212
	v_mul_i32_i24_e32 v213, v29 /*v285*/, v214
	;; [unrolled: 7-line block ×3, first 2 shown]
	s_set_vgpr_msb 0                        ;  msbs: dst=0 src0=0 src1=0 src2=0
	v_add3_u32 v189, v189, v201, v199
	s_set_vgpr_msb 1                        ;  msbs: dst=0 src0=1 src1=0 src2=0
	v_mul_i32_i24_e32 v216, v32 /*v288*/, v253
	s_set_vgpr_msb 0                        ;  msbs: dst=0 src0=0 src1=0 src2=0
	v_mul_i32_i24_e32 v191, v247, v190
	s_set_vgpr_msb 1                        ;  msbs: dst=0 src0=1 src1=0 src2=0
	v_mul_i32_i24_e32 v190, v3 /*v259*/, v190
	s_set_vgpr_msb 0                        ;  msbs: dst=0 src0=0 src1=0 src2=0
	v_mul_i32_i24_e32 v192, v249, v223
	v_add3_u32 v189, v189, v200, v194
	v_mul_i32_i24_e32 v193, v249, v222
	v_mul_i32_i24_e32 v194, v248, v221
	;; [unrolled: 1-line block ×3, first 2 shown]
	s_set_vgpr_msb 0x55                     ;  msbs: dst=1 src0=1 src1=1 src2=1
	v_add3_u32 v5 /*v261*/, v5 /*v261*/, v56 /*v312*/, v54 /*v310*/
	s_set_vgpr_msb 0                        ;  msbs: dst=0 src0=0 src1=0 src2=0
	v_add3_u32 v189, v189, v205, v203
	s_set_vgpr_msb 1                        ;  msbs: dst=0 src0=1 src1=0 src2=0
	v_mul_i32_i24_e32 v114, v15 /*v271*/, v114
	v_mul_i32_i24_e32 v113, v16 /*v272*/, v113
	;; [unrolled: 1-line block ×3, first 2 shown]
	s_set_vgpr_msb 0x55                     ;  msbs: dst=1 src0=1 src1=1 src2=1
	v_add3_u32 v5 /*v261*/, v5 /*v261*/, v53 /*v309*/, v55 /*v311*/
	s_set_vgpr_msb 0                        ;  msbs: dst=0 src0=0 src1=0 src2=0
	v_add3_u32 v189, v189, v202, v204
	v_add_nc_u32_e32 v85, 32, v85
	s_add_co_i32 s13, s13, 4
	s_set_vgpr_msb 0x55                     ;  msbs: dst=1 src0=1 src1=1 src2=1
	v_add3_u32 v5 /*v261*/, v5 /*v261*/, v60 /*v316*/, v57 /*v313*/
	s_set_vgpr_msb 0                        ;  msbs: dst=0 src0=0 src1=0 src2=0
	v_add3_u32 v189, v189, v209, v206
	s_cmp_lt_u32 s13, 28
	s_set_vgpr_msb 0x55                     ;  msbs: dst=1 src0=1 src1=1 src2=1
	v_add3_u32 v5 /*v261*/, v5 /*v261*/, v58 /*v314*/, v59 /*v315*/
	s_set_vgpr_msb 0                        ;  msbs: dst=0 src0=0 src1=0 src2=0
	v_add3_u32 v189, v189, v207, v208
	s_delay_alu instid0(VALU_DEP_1) | instskip(NEXT) | instid1(VALU_DEP_1)
	v_add3_u32 v189, v189, v213, v211
	v_add3_u32 v189, v189, v210, v212
	s_delay_alu instid0(VALU_DEP_1) | instskip(NEXT) | instid1(VALU_DEP_1)
	v_add3_u32 v189, v189, v217, v214
	v_add3_u32 v189, v189, v215, v216
	s_delay_alu instid0(VALU_DEP_1) | instskip(SKIP_3) | instid1(VALU_DEP_2)
	v_add3_u32 v84, v189, v84, v190
	s_set_vgpr_msb 5                        ;  msbs: dst=0 src0=1 src1=1 src2=0
	v_add3_u32 v189, v37 /*v293*/, v35 /*v291*/, v191
	s_set_vgpr_msb 0                        ;  msbs: dst=0 src0=0 src1=0 src2=0
	v_add3_u32 v84, v84, v193, v195
	s_delay_alu instid0(VALU_DEP_2)
	v_add3_u32 v189, v189, v192, v194
	s_set_vgpr_msb 1                        ;  msbs: dst=0 src0=1 src1=0 src2=0
	v_mul_i32_i24_e32 v192, v13 /*v269*/, v136
	v_mul_i32_i24_e32 v136, v18 /*v274*/, v141
	;; [unrolled: 1-line block ×3, first 2 shown]
	s_set_vgpr_msb 0                        ;  msbs: dst=0 src0=0 src1=0 src2=0
	v_cvt_f32_i32_e32 v191, v84
	v_cvt_f32_i32_e32 v190, v189
	s_set_vgpr_msb 1                        ;  msbs: dst=0 src0=1 src1=0 src2=0
	v_mul_i32_i24_e32 v189, v8 /*v264*/, v219
	v_mul_i32_i24_e32 v145, v25 /*v281*/, v146
	;; [unrolled: 1-line block ×4, first 2 shown]
	s_set_vgpr_msb 0                        ;  msbs: dst=0 src0=0 src1=0 src2=0
	v_pk_fma_f32 v[190:191], v[88:89], v[190:191], v[90:91] neg_lo:[0,0,1] neg_hi:[0,0,1]
	s_set_vgpr_msb 4                        ;  msbs: dst=0 src0=0 src1=1 src2=0
	v_mul_i32_i24_e32 v84, v250, v34 /*v290*/
	s_set_vgpr_msb 0                        ;  msbs: dst=0 src0=0 src1=0 src2=0
	s_delay_alu instid0(VALU_DEP_2)
	v_pk_fma_f32 v[42:43], v[86:87], v[190:191], v[42:43] op_sel_hi:[0,1,1]
	s_set_vgpr_msb 1                        ;  msbs: dst=0 src0=1 src1=0 src2=0
	v_mul_i32_i24_e32 v86, v7 /*v263*/, v220
	v_mul_i32_i24_e32 v190, v9 /*v265*/, v132
	;; [unrolled: 1-line block ×5, first 2 shown]
	v_mad_i32_i24 v86, v6 /*v262*/, v130, v86
	v_mul_i32_i24_e32 v134, v14 /*v270*/, v137
	v_mul_i32_i24_e32 v137, v17 /*v273*/, v139
	;; [unrolled: 1-line block ×4, first 2 shown]
	s_set_vgpr_msb 0                        ;  msbs: dst=0 src0=0 src1=0 src2=0
	v_add3_u32 v86, v86, v189, v190
	s_set_vgpr_msb 1                        ;  msbs: dst=0 src0=1 src1=0 src2=0
	v_mul_i32_i24_e32 v139, v20 /*v276*/, v143
	v_mul_i32_i24_e32 v140, v22 /*v278*/, v144
	;; [unrolled: 1-line block ×4, first 2 shown]
	s_set_vgpr_msb 0                        ;  msbs: dst=0 src0=0 src1=0 src2=0
	v_add3_u32 v86, v86, v192, v191
	s_set_vgpr_msb 1                        ;  msbs: dst=0 src0=1 src1=0 src2=0
	v_mul_i32_i24_e32 v147, v28 /*v284*/, v151
	v_mul_i32_i24_e32 v149, v31 /*v287*/, v152
	;; [unrolled: 1-line block ×4, first 2 shown]
	s_set_vgpr_msb 0                        ;  msbs: dst=0 src0=0 src1=0 src2=0
	v_add3_u32 v86, v86, v132, v133
	v_mul_i32_i24_e32 v130, v247, v98
	s_set_vgpr_msb 1                        ;  msbs: dst=0 src0=1 src1=0 src2=0
	v_mul_i32_i24_e32 v98, v3 /*v259*/, v98
	s_set_vgpr_msb 0                        ;  msbs: dst=0 src0=0 src1=0 src2=0
	v_mul_i32_i24_e32 v132, v117, v221
	v_mul_i32_i24_e32 v117, v117, v218
	v_add3_u32 v86, v86, v137, v134
	s_set_vgpr_msb 1                        ;  msbs: dst=0 src0=1 src1=0 src2=0
	v_mul_i32_i24_e32 v133, v11 /*v267*/, v111
	v_mul_i32_i24_e32 v134, v13 /*v269*/, v100
	v_mul_i32_i24_e32 v100, v23 /*v279*/, v123
	v_mul_i32_i24_e32 v111, v29 /*v285*/, v102
	s_set_vgpr_msb 0                        ;  msbs: dst=0 src0=0 src1=0 src2=0
	v_add3_u32 v86, v86, v135, v131
	v_mul_i32_i24_e32 v131, v120, v223
	v_mul_i32_i24_e32 v120, v120, v222
	s_set_vgpr_msb 1                        ;  msbs: dst=0 src0=1 src1=0 src2=0
	v_mul_i32_i24_e32 v102, v30 /*v286*/, v107
	v_mul_i32_i24_e32 v107, v32 /*v288*/, v129
	s_set_vgpr_msb 0                        ;  msbs: dst=0 src0=0 src1=0 src2=0
	v_add3_u32 v86, v86, v142, v138
	v_add_nc_u32_e32 v87, 4, v87
	s_delay_alu instid0(VALU_DEP_2) | instskip(NEXT) | instid1(VALU_DEP_1)
	v_add3_u32 v86, v86, v136, v139
	v_add3_u32 v86, v86, v145, v140
	s_delay_alu instid0(VALU_DEP_1) | instskip(NEXT) | instid1(VALU_DEP_1)
	v_add3_u32 v86, v86, v141, v143
	v_add3_u32 v86, v86, v150, v146
	s_delay_alu instid0(VALU_DEP_1) | instskip(NEXT) | instid1(VALU_DEP_1)
	;; [unrolled: 3-line block ×3, first 2 shown]
	v_add3_u32 v86, v86, v149, v151
	v_add3_u32 v84, v86, v84, v98
	s_set_vgpr_msb 5                        ;  msbs: dst=0 src0=1 src1=1 src2=0
	v_add3_u32 v86, v5 /*v261*/, v4 /*v260*/, v130
	s_set_vgpr_msb 1                        ;  msbs: dst=0 src0=1 src1=0 src2=0
	v_mul_i32_i24_e32 v98, v20 /*v276*/, v116
	s_set_vgpr_msb 0                        ;  msbs: dst=0 src0=0 src1=0 src2=0
	v_add3_u32 v84, v84, v120, v117
	v_add3_u32 v86, v86, v131, v132
	s_set_vgpr_msb 4                        ;  msbs: dst=0 src0=0 src1=1 src2=0
	v_mul_i32_i24_e32 v132, v99, v9 /*v265*/
	s_set_vgpr_msb 1                        ;  msbs: dst=0 src0=1 src1=0 src2=0
	v_mul_i32_i24_e32 v120, v10 /*v266*/, v112
	v_mul_i32_i24_e32 v117, v17 /*v273*/, v101
	s_set_vgpr_msb 0                        ;  msbs: dst=0 src0=0 src1=0 src2=0
	v_cvt_f32_i32_e32 v131, v84
	v_cvt_f32_i32_e32 v130, v86
	s_set_vgpr_msb 1                        ;  msbs: dst=0 src0=1 src1=0 src2=0
	v_mul_i32_i24_e32 v86, v19 /*v275*/, v118
	v_mul_i32_i24_e32 v101, v21 /*v277*/, v103
	;; [unrolled: 1-line block ×4, first 2 shown]
	s_set_vgpr_msb 0                        ;  msbs: dst=0 src0=0 src1=0 src2=0
	v_pk_fma_f32 v[130:131], v[88:89], v[130:131], v[90:91] neg_lo:[0,0,1] neg_hi:[0,0,1]
	s_set_vgpr_msb 1                        ;  msbs: dst=0 src0=1 src1=0 src2=0
	v_mul_i32_i24_e32 v103, v24 /*v280*/, v122
	v_mul_i32_i24_e32 v112, v33 /*v289*/, v128
	s_set_vgpr_msb 0                        ;  msbs: dst=0 src0=0 src1=0 src2=0
	v_pk_fma_f32 v[50:51], v[82:83], v[130:131], v[50:51] op_sel_hi:[0,1,1]
	s_set_vgpr_msb 4                        ;  msbs: dst=0 src0=0 src1=1 src2=0
	v_mul_i32_i24_e32 v130, v109, v7 /*v263*/
	v_mul_i32_i24_e32 v131, v108, v8 /*v264*/
	v_mul_i32_i24_e32 v82, v121, v34 /*v290*/
	s_set_vgpr_msb 1                        ;  msbs: dst=0 src0=1 src1=0 src2=0
	v_mul_i32_i24_e32 v121, v12 /*v268*/, v110
	v_mul_i32_i24_e32 v108, v25 /*v281*/, v104
	s_set_vgpr_msb 4                        ;  msbs: dst=0 src0=0 src1=1 src2=0
	v_mad_i32_i24 v106, v106, v6 /*v262*/, v130
	s_set_vgpr_msb 1                        ;  msbs: dst=0 src0=1 src1=0 src2=0
	v_mul_i32_i24_e32 v109, v27 /*v283*/, v126
	v_mul_i32_i24_e32 v104, v26 /*v282*/, v127
	;; [unrolled: 1-line block ×3, first 2 shown]
	v_add_nc_u32_e32 v83, 4, v83
	s_set_vgpr_msb 0                        ;  msbs: dst=0 src0=0 src1=0 src2=0
	v_add3_u32 v106, v106, v131, v132
	s_delay_alu instid0(VALU_DEP_1) | instskip(NEXT) | instid1(VALU_DEP_1)
	v_add3_u32 v106, v106, v134, v133
	v_add3_u32 v106, v106, v120, v121
	s_delay_alu instid0(VALU_DEP_1) | instskip(NEXT) | instid1(VALU_DEP_1)
	v_add3_u32 v106, v106, v117, v115
	;; [unrolled: 3-line block ×3, first 2 shown]
	v_add3_u32 v84, v86, v84, v98
	v_mul_i32_i24_e32 v86, v247, v93
	s_set_vgpr_msb 1                        ;  msbs: dst=0 src0=1 src1=0 src2=0
	v_mul_i32_i24_e32 v93, v3 /*v259*/, v93
	s_set_vgpr_msb 0                        ;  msbs: dst=0 src0=0 src1=0 src2=0
	v_mul_i32_i24_e32 v98, v92, v223
	v_mul_i32_i24_e32 v92, v92, v222
	v_add3_u32 v84, v84, v108, v99
	v_mul_i32_i24_e32 v99, v81, v221
	v_mul_i32_i24_e32 v81, v81, v218
	s_delay_alu instid0(VALU_DEP_3) | instskip(NEXT) | instid1(VALU_DEP_1)
	v_add3_u32 v84, v84, v100, v103
	v_add3_u32 v84, v84, v111, v109
	s_delay_alu instid0(VALU_DEP_1) | instskip(NEXT) | instid1(VALU_DEP_1)
	v_add3_u32 v84, v84, v104, v110
	v_add3_u32 v84, v84, v112, v102
	s_delay_alu instid0(VALU_DEP_1) | instskip(NEXT) | instid1(VALU_DEP_1)
	v_add3_u32 v84, v84, v105, v107
	v_add3_u32 v82, v84, v82, v93
	s_set_vgpr_msb 1                        ;  msbs: dst=0 src0=1 src1=0 src2=0
	v_add3_u32 v84, v0 /*v256*/, v255, v86
	s_set_vgpr_msb 0                        ;  msbs: dst=0 src0=0 src1=0 src2=0
	s_delay_alu instid0(VALU_DEP_2) | instskip(NEXT) | instid1(VALU_DEP_2)
	v_add3_u32 v81, v82, v92, v81
	v_add3_u32 v84, v84, v98, v99
	s_delay_alu instid0(VALU_DEP_2) | instskip(NEXT) | instid1(VALU_DEP_2)
	v_cvt_f32_i32_e32 v93, v81
	v_cvt_f32_i32_e32 v92, v84
	s_delay_alu instid0(VALU_DEP_1) | instskip(NEXT) | instid1(VALU_DEP_1)
	v_pk_fma_f32 v[88:89], v[88:89], v[92:93], v[90:91] neg_lo:[0,0,1] neg_hi:[0,0,1]
	v_pk_fma_f32 v[62:63], v[80:81], v[88:89], v[62:63] op_sel_hi:[0,1,1]
	s_cbranch_scc1 .LBB137_11
; %bb.12:                               ;   in Loop: Header=BB137_6 Depth=1
	s_barrier_signal -1
	s_barrier_wait -1
	s_branch .LBB137_5
.LBB137_13:
	v_cvt_pk_f16_f32 v20, v54, v55
	v_cvt_pk_f16_f32 v19, v64, v65
	;; [unrolled: 1-line block ×16, first 2 shown]
	v_dual_mov_b32 v6, v1 :: v_dual_mov_b32 v21, v3
.LBB137_14:
	s_wait_xcnt 0x0
	s_mov_b32 s0, exec_lo
	v_cmpx_gt_u32_e64 s4, v7
	s_cbranch_execz .LBB137_65
; %bb.15:
	v_mul_lo_u32 v22, v7, s6
	v_add_nc_u32_e32 v0, s16, v21
	s_delay_alu instid0(VALU_DEP_1)
	v_cmp_gt_u32_e32 vcc_lo, s6, v0
	s_and_saveexec_b32 s0, vcc_lo
	s_cbranch_execz .LBB137_17
; %bb.16:
	s_delay_alu instid0(VALU_DEP_3)
	v_add_nc_u32_e32 v1, v0, v22
	s_wait_kmcnt 0x0
	global_store_b16 v1, v20, s[8:9] scale_offset
.LBB137_17:
	s_wait_xcnt 0x0
	s_or_b32 exec_lo, exec_lo, s0
	v_add_nc_u32_e32 v1, 32, v0
	s_delay_alu instid0(VALU_DEP_1)
	v_cmp_gt_u32_e64 s0, s6, v1
	s_and_saveexec_b32 s1, s0
	s_cbranch_execz .LBB137_19
; %bb.18:
	v_add_nc_u32_e32 v3, v1, v22
	s_wait_kmcnt 0x0
	global_store_b16 v3, v19, s[8:9] scale_offset
.LBB137_19:
	s_wait_xcnt 0x0
	s_or_b32 exec_lo, exec_lo, s1
	v_add_nc_u32_e32 v3, 64, v0
	s_delay_alu instid0(VALU_DEP_1)
	v_cmp_gt_u32_e64 s1, s6, v3
	s_and_saveexec_b32 s2, s1
	s_cbranch_execz .LBB137_21
; %bb.20:
	v_add_nc_u32_e32 v7, v3, v22
	s_wait_kmcnt 0x0
	global_store_b16 v7, v18, s[8:9] scale_offset
.LBB137_21:
	;; [unrolled: 12-line block ×3, first 2 shown]
	s_wait_xcnt 0x0
	s_or_b32 exec_lo, exec_lo, s3
	v_add3_u32 v21, v6, s7, 8
	s_delay_alu instid0(VALU_DEP_1)
	v_cmp_gt_u32_e64 s3, s4, v21
	s_and_b32 exec_lo, exec_lo, s3
	s_cbranch_execz .LBB137_65
; %bb.24:
	v_mul_lo_u32 v21, v21, s6
	s_and_saveexec_b32 s3, vcc_lo
	s_cbranch_execnz .LBB137_66
; %bb.25:
	s_or_b32 exec_lo, exec_lo, s3
	s_and_saveexec_b32 s3, s0
	s_cbranch_execnz .LBB137_67
.LBB137_26:
	s_or_b32 exec_lo, exec_lo, s3
	s_and_saveexec_b32 s3, s1
	s_cbranch_execnz .LBB137_68
.LBB137_27:
	s_or_b32 exec_lo, exec_lo, s3
	s_and_saveexec_b32 s3, s2
	s_cbranch_execz .LBB137_29
.LBB137_28:
	v_add_nc_u32_e32 v18, v21, v7
	s_wait_kmcnt 0x0
	global_store_d16_hi_b16 v18, v17, s[8:9] scale_offset
.LBB137_29:
	s_wait_xcnt 0x0
	s_or_b32 exec_lo, exec_lo, s3
	v_add3_u32 v17, v6, s7, 16
	s_delay_alu instid0(VALU_DEP_1)
	v_cmp_gt_u32_e64 s3, s4, v17
	s_and_b32 exec_lo, exec_lo, s3
	s_cbranch_execz .LBB137_65
; %bb.30:
	v_mul_lo_u32 v17, v17, s6
	s_and_saveexec_b32 s3, vcc_lo
	s_cbranch_execnz .LBB137_69
; %bb.31:
	s_or_b32 exec_lo, exec_lo, s3
	s_and_saveexec_b32 s3, s0
	s_cbranch_execnz .LBB137_70
.LBB137_32:
	s_or_b32 exec_lo, exec_lo, s3
	s_and_saveexec_b32 s3, s1
	s_cbranch_execnz .LBB137_71
.LBB137_33:
	s_or_b32 exec_lo, exec_lo, s3
	s_and_saveexec_b32 s3, s2
	s_cbranch_execz .LBB137_35
.LBB137_34:
	v_add_nc_u32_e32 v17, v17, v7
	s_wait_kmcnt 0x0
	global_store_b16 v17, v13, s[8:9] scale_offset
.LBB137_35:
	s_wait_xcnt 0x0
	s_or_b32 exec_lo, exec_lo, s3
	v_add3_u32 v17, v6, s7, 24
	s_delay_alu instid0(VALU_DEP_1)
	v_cmp_gt_u32_e64 s3, s4, v17
	s_and_b32 exec_lo, exec_lo, s3
	s_cbranch_execz .LBB137_65
; %bb.36:
	v_mul_lo_u32 v17, v17, s6
	s_and_saveexec_b32 s3, vcc_lo
	s_cbranch_execnz .LBB137_72
; %bb.37:
	s_or_b32 exec_lo, exec_lo, s3
	s_and_saveexec_b32 s3, s0
	s_cbranch_execnz .LBB137_73
.LBB137_38:
	s_or_b32 exec_lo, exec_lo, s3
	s_and_saveexec_b32 s3, s1
	s_cbranch_execnz .LBB137_74
.LBB137_39:
	s_or_b32 exec_lo, exec_lo, s3
	s_and_saveexec_b32 s3, s2
	s_cbranch_execz .LBB137_41
.LBB137_40:
	v_add_nc_u32_e32 v14, v17, v7
	s_wait_kmcnt 0x0
	global_store_d16_hi_b16 v14, v13, s[8:9] scale_offset
.LBB137_41:
	s_wait_xcnt 0x0
	s_or_b32 exec_lo, exec_lo, s3
	v_add3_u32 v13, v6, s7, 32
	s_delay_alu instid0(VALU_DEP_1)
	v_cmp_gt_u32_e64 s3, s4, v13
	s_and_b32 exec_lo, exec_lo, s3
	s_cbranch_execz .LBB137_65
; %bb.42:
	v_mul_lo_u32 v13, v13, s6
	s_and_saveexec_b32 s3, vcc_lo
	s_cbranch_execnz .LBB137_75
; %bb.43:
	s_or_b32 exec_lo, exec_lo, s3
	s_and_saveexec_b32 s3, s0
	s_cbranch_execnz .LBB137_76
.LBB137_44:
	s_or_b32 exec_lo, exec_lo, s3
	s_and_saveexec_b32 s3, s1
	s_cbranch_execnz .LBB137_77
.LBB137_45:
	s_or_b32 exec_lo, exec_lo, s3
	s_and_saveexec_b32 s3, s2
	s_cbranch_execz .LBB137_47
.LBB137_46:
	v_add_nc_u32_e32 v13, v13, v7
	s_wait_kmcnt 0x0
	global_store_b16 v13, v9, s[8:9] scale_offset
.LBB137_47:
	s_wait_xcnt 0x0
	s_or_b32 exec_lo, exec_lo, s3
	v_add3_u32 v13, v6, s7, 40
	s_delay_alu instid0(VALU_DEP_1)
	v_cmp_gt_u32_e64 s3, s4, v13
	s_and_b32 exec_lo, exec_lo, s3
	s_cbranch_execz .LBB137_65
; %bb.48:
	v_mul_lo_u32 v13, v13, s6
	s_and_saveexec_b32 s3, vcc_lo
	s_cbranch_execnz .LBB137_78
; %bb.49:
	s_or_b32 exec_lo, exec_lo, s3
	s_and_saveexec_b32 s3, s0
	s_cbranch_execnz .LBB137_79
.LBB137_50:
	s_or_b32 exec_lo, exec_lo, s3
	s_and_saveexec_b32 s3, s1
	s_cbranch_execnz .LBB137_80
.LBB137_51:
	s_or_b32 exec_lo, exec_lo, s3
	s_and_saveexec_b32 s3, s2
	s_cbranch_execz .LBB137_53
.LBB137_52:
	v_add_nc_u32_e32 v10, v13, v7
	s_wait_kmcnt 0x0
	global_store_d16_hi_b16 v10, v9, s[8:9] scale_offset
.LBB137_53:
	s_wait_xcnt 0x0
	s_or_b32 exec_lo, exec_lo, s3
	v_add3_u32 v9, v6, s7, 48
	s_delay_alu instid0(VALU_DEP_1)
	v_cmp_gt_u32_e64 s3, s4, v9
	s_and_b32 exec_lo, exec_lo, s3
	s_cbranch_execz .LBB137_65
; %bb.54:
	v_mul_lo_u32 v9, v9, s6
	s_and_saveexec_b32 s3, vcc_lo
	s_cbranch_execnz .LBB137_81
; %bb.55:
	s_or_b32 exec_lo, exec_lo, s3
	s_and_saveexec_b32 s3, s0
	s_cbranch_execnz .LBB137_82
.LBB137_56:
	s_or_b32 exec_lo, exec_lo, s3
	s_and_saveexec_b32 s3, s1
	s_cbranch_execnz .LBB137_83
.LBB137_57:
	s_or_b32 exec_lo, exec_lo, s3
	s_and_saveexec_b32 s3, s2
	s_cbranch_execz .LBB137_59
.LBB137_58:
	v_add_nc_u32_e32 v9, v9, v7
	s_wait_kmcnt 0x0
	global_store_b16 v9, v2, s[8:9] scale_offset
.LBB137_59:
	s_wait_xcnt 0x0
	s_or_b32 exec_lo, exec_lo, s3
	v_add3_u32 v6, v6, s7, 56
	s_delay_alu instid0(VALU_DEP_1)
	v_cmp_gt_u32_e64 s3, s4, v6
	s_and_b32 exec_lo, exec_lo, s3
	s_cbranch_execz .LBB137_65
; %bb.60:
	v_mul_lo_u32 v6, v6, s6
	s_and_saveexec_b32 s3, vcc_lo
	s_cbranch_execnz .LBB137_84
; %bb.61:
	s_or_b32 exec_lo, exec_lo, s3
	s_and_saveexec_b32 s3, s0
	s_cbranch_execnz .LBB137_85
.LBB137_62:
	s_or_b32 exec_lo, exec_lo, s3
	s_and_saveexec_b32 s0, s1
	s_cbranch_execnz .LBB137_86
.LBB137_63:
	s_or_b32 exec_lo, exec_lo, s0
	s_delay_alu instid0(SALU_CYCLE_1)
	s_and_b32 exec_lo, exec_lo, s2
	s_cbranch_execz .LBB137_65
.LBB137_64:
	v_add_nc_u32_e32 v0, v6, v7
	s_wait_kmcnt 0x0
	global_store_d16_hi_b16 v0, v2, s[8:9] scale_offset
.LBB137_65:
	s_sendmsg sendmsg(MSG_DEALLOC_VGPRS)
	s_endpgm
.LBB137_66:
	s_delay_alu instid0(VALU_DEP_1)
	v_add_nc_u32_e32 v22, v21, v0
	s_wait_kmcnt 0x0
	global_store_d16_hi_b16 v22, v20, s[8:9] scale_offset
	s_wait_xcnt 0x0
	s_or_b32 exec_lo, exec_lo, s3
	s_and_saveexec_b32 s3, s0
	s_cbranch_execz .LBB137_26
.LBB137_67:
	s_delay_alu instid0(VALU_DEP_1)
	v_add_nc_u32_e32 v20, v21, v1
	s_wait_kmcnt 0x0
	global_store_d16_hi_b16 v20, v19, s[8:9] scale_offset
	s_wait_xcnt 0x0
	s_or_b32 exec_lo, exec_lo, s3
	s_and_saveexec_b32 s3, s1
	s_cbranch_execz .LBB137_27
.LBB137_68:
	s_delay_alu instid0(VALU_DEP_1)
	v_add_nc_u32_e32 v19, v21, v3
	s_wait_kmcnt 0x0
	global_store_d16_hi_b16 v19, v18, s[8:9] scale_offset
	s_wait_xcnt 0x0
	s_or_b32 exec_lo, exec_lo, s3
	s_and_saveexec_b32 s3, s2
	s_cbranch_execnz .LBB137_28
	s_branch .LBB137_29
.LBB137_69:
	s_delay_alu instid0(VALU_DEP_1)
	v_add_nc_u32_e32 v18, v17, v0
	s_wait_kmcnt 0x0
	global_store_b16 v18, v16, s[8:9] scale_offset
	s_wait_xcnt 0x0
	s_or_b32 exec_lo, exec_lo, s3
	s_and_saveexec_b32 s3, s0
	s_cbranch_execz .LBB137_32
.LBB137_70:
	s_delay_alu instid0(VALU_DEP_1)
	v_add_nc_u32_e32 v18, v17, v1
	s_wait_kmcnt 0x0
	global_store_b16 v18, v15, s[8:9] scale_offset
	s_wait_xcnt 0x0
	s_or_b32 exec_lo, exec_lo, s3
	s_and_saveexec_b32 s3, s1
	s_cbranch_execz .LBB137_33
.LBB137_71:
	s_delay_alu instid0(VALU_DEP_1)
	v_add_nc_u32_e32 v18, v17, v3
	s_wait_kmcnt 0x0
	global_store_b16 v18, v14, s[8:9] scale_offset
	s_wait_xcnt 0x0
	s_or_b32 exec_lo, exec_lo, s3
	s_and_saveexec_b32 s3, s2
	s_cbranch_execnz .LBB137_34
	s_branch .LBB137_35
.LBB137_72:
	s_delay_alu instid0(VALU_DEP_1)
	v_add_nc_u32_e32 v18, v17, v0
	s_wait_kmcnt 0x0
	global_store_d16_hi_b16 v18, v16, s[8:9] scale_offset
	s_wait_xcnt 0x0
	s_or_b32 exec_lo, exec_lo, s3
	s_and_saveexec_b32 s3, s0
	s_cbranch_execz .LBB137_38
.LBB137_73:
	s_delay_alu instid0(VALU_DEP_1)
	v_add_nc_u32_e32 v16, v17, v1
	s_wait_kmcnt 0x0
	global_store_d16_hi_b16 v16, v15, s[8:9] scale_offset
	s_wait_xcnt 0x0
	s_or_b32 exec_lo, exec_lo, s3
	s_and_saveexec_b32 s3, s1
	s_cbranch_execz .LBB137_39
.LBB137_74:
	s_delay_alu instid0(VALU_DEP_1)
	v_add_nc_u32_e32 v15, v17, v3
	s_wait_kmcnt 0x0
	global_store_d16_hi_b16 v15, v14, s[8:9] scale_offset
	s_wait_xcnt 0x0
	s_or_b32 exec_lo, exec_lo, s3
	s_and_saveexec_b32 s3, s2
	s_cbranch_execnz .LBB137_40
	s_branch .LBB137_41
.LBB137_75:
	s_delay_alu instid0(VALU_DEP_1)
	v_add_nc_u32_e32 v14, v13, v0
	s_wait_kmcnt 0x0
	global_store_b16 v14, v12, s[8:9] scale_offset
	s_wait_xcnt 0x0
	s_or_b32 exec_lo, exec_lo, s3
	s_and_saveexec_b32 s3, s0
	s_cbranch_execz .LBB137_44
.LBB137_76:
	s_delay_alu instid0(VALU_DEP_1)
	v_add_nc_u32_e32 v14, v13, v1
	s_wait_kmcnt 0x0
	global_store_b16 v14, v11, s[8:9] scale_offset
	s_wait_xcnt 0x0
	s_or_b32 exec_lo, exec_lo, s3
	s_and_saveexec_b32 s3, s1
	s_cbranch_execz .LBB137_45
.LBB137_77:
	s_delay_alu instid0(VALU_DEP_1)
	v_add_nc_u32_e32 v14, v13, v3
	s_wait_kmcnt 0x0
	global_store_b16 v14, v10, s[8:9] scale_offset
	s_wait_xcnt 0x0
	s_or_b32 exec_lo, exec_lo, s3
	s_and_saveexec_b32 s3, s2
	s_cbranch_execnz .LBB137_46
	s_branch .LBB137_47
.LBB137_78:
	s_delay_alu instid0(VALU_DEP_1)
	v_add_nc_u32_e32 v14, v13, v0
	s_wait_kmcnt 0x0
	global_store_d16_hi_b16 v14, v12, s[8:9] scale_offset
	s_wait_xcnt 0x0
	s_or_b32 exec_lo, exec_lo, s3
	s_and_saveexec_b32 s3, s0
	s_cbranch_execz .LBB137_50
.LBB137_79:
	s_delay_alu instid0(VALU_DEP_1)
	v_add_nc_u32_e32 v12, v13, v1
	s_wait_kmcnt 0x0
	global_store_d16_hi_b16 v12, v11, s[8:9] scale_offset
	s_wait_xcnt 0x0
	s_or_b32 exec_lo, exec_lo, s3
	s_and_saveexec_b32 s3, s1
	s_cbranch_execz .LBB137_51
.LBB137_80:
	s_delay_alu instid0(VALU_DEP_1)
	v_add_nc_u32_e32 v11, v13, v3
	s_wait_kmcnt 0x0
	global_store_d16_hi_b16 v11, v10, s[8:9] scale_offset
	s_wait_xcnt 0x0
	s_or_b32 exec_lo, exec_lo, s3
	s_and_saveexec_b32 s3, s2
	s_cbranch_execnz .LBB137_52
	s_branch .LBB137_53
.LBB137_81:
	s_delay_alu instid0(VALU_DEP_1)
	v_add_nc_u32_e32 v10, v9, v0
	s_wait_kmcnt 0x0
	global_store_b16 v10, v8, s[8:9] scale_offset
	s_wait_xcnt 0x0
	s_or_b32 exec_lo, exec_lo, s3
	s_and_saveexec_b32 s3, s0
	s_cbranch_execz .LBB137_56
.LBB137_82:
	s_delay_alu instid0(VALU_DEP_1)
	v_add_nc_u32_e32 v10, v9, v1
	s_wait_kmcnt 0x0
	global_store_b16 v10, v5, s[8:9] scale_offset
	s_wait_xcnt 0x0
	s_or_b32 exec_lo, exec_lo, s3
	s_and_saveexec_b32 s3, s1
	s_cbranch_execz .LBB137_57
.LBB137_83:
	s_delay_alu instid0(VALU_DEP_1)
	v_add_nc_u32_e32 v10, v9, v3
	s_wait_kmcnt 0x0
	global_store_b16 v10, v4, s[8:9] scale_offset
	s_wait_xcnt 0x0
	s_or_b32 exec_lo, exec_lo, s3
	s_and_saveexec_b32 s3, s2
	s_cbranch_execnz .LBB137_58
	s_branch .LBB137_59
.LBB137_84:
	s_delay_alu instid0(VALU_DEP_1)
	v_add_nc_u32_e32 v0, v6, v0
	s_wait_kmcnt 0x0
	global_store_d16_hi_b16 v0, v8, s[8:9] scale_offset
	s_wait_xcnt 0x0
	s_or_b32 exec_lo, exec_lo, s3
	s_and_saveexec_b32 s3, s0
	s_cbranch_execz .LBB137_62
.LBB137_85:
	s_delay_alu instid0(VALU_DEP_1)
	v_add_nc_u32_e32 v0, v6, v1
	s_wait_kmcnt 0x0
	global_store_d16_hi_b16 v0, v5, s[8:9] scale_offset
	s_wait_xcnt 0x0
	s_or_b32 exec_lo, exec_lo, s3
	s_and_saveexec_b32 s0, s1
	s_cbranch_execz .LBB137_63
.LBB137_86:
	s_delay_alu instid0(VALU_DEP_1) | instskip(SKIP_4) | instid1(SALU_CYCLE_1)
	v_add_nc_u32_e32 v0, v6, v3
	s_wait_kmcnt 0x0
	global_store_d16_hi_b16 v0, v4, s[8:9] scale_offset
	s_wait_xcnt 0x0
	s_or_b32 exec_lo, exec_lo, s0
	s_and_b32 exec_lo, exec_lo, s2
	s_cbranch_execnz .LBB137_64
	s_branch .LBB137_65
	.section	.rodata,"a",@progbits
	.p2align	6, 0x0
	.amdhsa_kernel _ZL12mul_mat_q4_0IN3c104HalfELb0EEvPKvS3_PT_iiiii
		.amdhsa_group_segment_fixed_size 30336
		.amdhsa_private_segment_fixed_size 0
		.amdhsa_kernarg_size 44
		.amdhsa_user_sgpr_count 2
		.amdhsa_user_sgpr_dispatch_ptr 0
		.amdhsa_user_sgpr_queue_ptr 0
		.amdhsa_user_sgpr_kernarg_segment_ptr 1
		.amdhsa_user_sgpr_dispatch_id 0
		.amdhsa_user_sgpr_kernarg_preload_length 0
		.amdhsa_user_sgpr_kernarg_preload_offset 0
		.amdhsa_user_sgpr_private_segment_size 0
		.amdhsa_wavefront_size32 1
		.amdhsa_uses_dynamic_stack 0
		.amdhsa_enable_private_segment 0
		.amdhsa_system_sgpr_workgroup_id_x 1
		.amdhsa_system_sgpr_workgroup_id_y 1
		.amdhsa_system_sgpr_workgroup_id_z 0
		.amdhsa_system_sgpr_workgroup_info 0
		.amdhsa_system_vgpr_workitem_id 1
		.amdhsa_next_free_vgpr 463
		.amdhsa_next_free_sgpr 19
		.amdhsa_named_barrier_count 0
		.amdhsa_reserve_vcc 1
		.amdhsa_float_round_mode_32 0
		.amdhsa_float_round_mode_16_64 0
		.amdhsa_float_denorm_mode_32 3
		.amdhsa_float_denorm_mode_16_64 3
		.amdhsa_fp16_overflow 0
		.amdhsa_memory_ordered 1
		.amdhsa_forward_progress 1
		.amdhsa_inst_pref_size 255
		.amdhsa_round_robin_scheduling 0
		.amdhsa_exception_fp_ieee_invalid_op 0
		.amdhsa_exception_fp_denorm_src 0
		.amdhsa_exception_fp_ieee_div_zero 0
		.amdhsa_exception_fp_ieee_overflow 0
		.amdhsa_exception_fp_ieee_underflow 0
		.amdhsa_exception_fp_ieee_inexact 0
		.amdhsa_exception_int_div_zero 0
	.end_amdhsa_kernel
	.section	.text._ZL12mul_mat_q4_0IN3c104HalfELb0EEvPKvS3_PT_iiiii,"axG",@progbits,_ZL12mul_mat_q4_0IN3c104HalfELb0EEvPKvS3_PT_iiiii,comdat
.Lfunc_end137:
	.size	_ZL12mul_mat_q4_0IN3c104HalfELb0EEvPKvS3_PT_iiiii, .Lfunc_end137-_ZL12mul_mat_q4_0IN3c104HalfELb0EEvPKvS3_PT_iiiii
                                        ; -- End function
	.set _ZL12mul_mat_q4_0IN3c104HalfELb0EEvPKvS3_PT_iiiii.num_vgpr, 463
	.set _ZL12mul_mat_q4_0IN3c104HalfELb0EEvPKvS3_PT_iiiii.num_agpr, 0
	.set _ZL12mul_mat_q4_0IN3c104HalfELb0EEvPKvS3_PT_iiiii.numbered_sgpr, 19
	.set _ZL12mul_mat_q4_0IN3c104HalfELb0EEvPKvS3_PT_iiiii.num_named_barrier, 0
	.set _ZL12mul_mat_q4_0IN3c104HalfELb0EEvPKvS3_PT_iiiii.private_seg_size, 0
	.set _ZL12mul_mat_q4_0IN3c104HalfELb0EEvPKvS3_PT_iiiii.uses_vcc, 1
	.set _ZL12mul_mat_q4_0IN3c104HalfELb0EEvPKvS3_PT_iiiii.uses_flat_scratch, 0
	.set _ZL12mul_mat_q4_0IN3c104HalfELb0EEvPKvS3_PT_iiiii.has_dyn_sized_stack, 0
	.set _ZL12mul_mat_q4_0IN3c104HalfELb0EEvPKvS3_PT_iiiii.has_recursion, 0
	.set _ZL12mul_mat_q4_0IN3c104HalfELb0EEvPKvS3_PT_iiiii.has_indirect_call, 0
	.section	.AMDGPU.csdata,"",@progbits
; Kernel info:
; codeLenInByte = 38976
; TotalNumSgprs: 21
; NumVgprs: 463
; ScratchSize: 0
; MemoryBound: 0
; FloatMode: 240
; IeeeMode: 1
; LDSByteSize: 30336 bytes/workgroup (compile time only)
; SGPRBlocks: 0
; VGPRBlocks: 28
; NumSGPRsForWavesPerEU: 21
; NumVGPRsForWavesPerEU: 463
; NamedBarCnt: 0
; Occupancy: 2
; WaveLimiterHint : 0
; COMPUTE_PGM_RSRC2:SCRATCH_EN: 0
; COMPUTE_PGM_RSRC2:USER_SGPR: 2
; COMPUTE_PGM_RSRC2:TRAP_HANDLER: 0
; COMPUTE_PGM_RSRC2:TGID_X_EN: 1
; COMPUTE_PGM_RSRC2:TGID_Y_EN: 1
; COMPUTE_PGM_RSRC2:TGID_Z_EN: 0
; COMPUTE_PGM_RSRC2:TIDIG_COMP_CNT: 1
	.section	.text._ZL12mul_mat_q4_0IN3c104HalfELb1EEvPKvS3_PT_iiiii,"axG",@progbits,_ZL12mul_mat_q4_0IN3c104HalfELb1EEvPKvS3_PT_iiiii,comdat
	.globl	_ZL12mul_mat_q4_0IN3c104HalfELb1EEvPKvS3_PT_iiiii ; -- Begin function _ZL12mul_mat_q4_0IN3c104HalfELb1EEvPKvS3_PT_iiiii
	.p2align	8
	.type	_ZL12mul_mat_q4_0IN3c104HalfELb1EEvPKvS3_PT_iiiii,@function
_ZL12mul_mat_q4_0IN3c104HalfELb1EEvPKvS3_PT_iiiii: ; @_ZL12mul_mat_q4_0IN3c104HalfELb1EEvPKvS3_PT_iiiii
; %bb.0:
	s_clause 0x1
	s_load_b128 s[4:7], s[0:1], 0x18
	s_load_b32 s14, s[0:1], 0x28
	s_bfe_u32 s2, ttmp6, 0x4000c
	s_bfe_u32 s8, ttmp6, 0x40010
	s_add_co_i32 s2, s2, 1
	s_and_b32 s3, ttmp6, 15
	s_mul_i32 s2, ttmp9, s2
	s_add_co_i32 s8, s8, 1
	s_add_co_i32 s3, s3, s2
	s_mul_i32 s2, ttmp7, s8
	s_bfe_u32 s8, ttmp6, 0x40004
	s_getreg_b32 s9, hwreg(HW_REG_IB_STS2, 6, 4)
	s_add_co_i32 s8, s8, s2
	s_cmp_eq_u32 s9, 0
	v_bfe_u32 v3, v0, 10, 10
	s_cselect_b32 s8, ttmp7, s8
	v_and_b32_e32 v7, 0x3ff, v0
	s_cselect_b32 s2, ttmp9, s3
	s_lshl_b32 s15, s8, 6
	s_mov_b32 s3, 0
	s_wait_kmcnt 0x0
	s_cmp_gt_i32 s4, 31
	s_cbranch_scc1 .LBB138_2
; %bb.1:
	v_bfe_u32 v5, v0, 10, 10
	v_and_b32_e32 v21, 0x3ff, v0
	s_delay_alu instid0(VALU_DEP_2)
	v_add_nc_u32_e32 v9, s15, v5
	s_branch .LBB138_3
.LBB138_2:
	s_mov_b32 s3, -1
                                        ; implicit-def: $vgpr5
                                        ; implicit-def: $vgpr21
                                        ; implicit-def: $vgpr9
.LBB138_3:
	s_load_b64 s[8:9], s[0:1], 0x10
	v_dual_mov_b32 v1, 0 :: v_dual_mov_b32 v8, 0
	v_dual_mov_b32 v13, 0 :: v_dual_mov_b32 v17, 0
	;; [unrolled: 1-line block ×8, first 2 shown]
	s_lshl_b32 s16, s2, 7
	s_and_not1_b32 vcc_lo, exec_lo, s3
	s_mov_b32 s11, 0
	s_cbranch_vccnz .LBB138_14
; %bb.4:
	v_dual_mov_b32 v5, 0 :: v_dual_lshlrev_b32 v1, 2, v7
	v_bfe_u32 v11, v0, 3, 7
	s_ashr_i32 s10, s4, 31
	s_not_b32 s13, s16
	s_delay_alu instid0(VALU_DEP_2)
	v_dual_add_nc_u32 v9, s15, v3 :: v_dual_bitop2_b32 v4, 12, v1 bitop3:0x40
	s_lshr_b32 s10, s10, 27
	s_ashr_i32 s12, s7, 31
	s_add_co_i32 s4, s4, s10
	s_add_co_i32 s10, s5, s13
	v_lshl_add_u32 v16, v3, 2, v11
	v_add_nc_u32_e32 v6, 8, v9
	s_lshr_b32 s12, s12, 27
	s_ashr_i32 s5, s4, 5
	s_add_co_i32 s4, s7, s12
	s_add_co_i32 s7, s6, -1
	v_min_i32_e32 v44, s10, v16
	v_cvt_f64_i32_e32 v[22:23], s7
	v_cvt_f64_u32_e32 v[24:25], v9
	v_add_nc_u32_e32 v17, 16, v9
	v_cvt_f64_u32_e32 v[26:27], v6
	v_dual_add_nc_u32 v6, 24, v9 :: v_dual_add_nc_u32 v8, 8, v3
	v_dual_add_nc_u32 v19, 32, v9 :: v_dual_min_i32 v10, s10, v3
	v_add_nc_u32_e32 v21, 40, v9
	v_cvt_f64_u32_e32 v[28:29], v17
	v_add_nc_u32_e32 v17, 48, v9
	v_cvt_f64_u32_e32 v[30:31], v6
	v_dual_add_nc_u32 v6, 56, v9 :: v_dual_min_i32 v12, s10, v8
	v_add_nc_u32_e32 v14, 16, v3
	v_cvt_f64_u32_e32 v[32:33], v19
	v_cvt_f64_u32_e32 v[34:35], v21
	;; [unrolled: 1-line block ×4, first 2 shown]
	v_dual_add_nc_u32 v20, 24, v3 :: v_dual_min_i32 v18, s10, v14
	v_dual_add_nc_u32 v45, 32, v3 :: v_dual_add_nc_u32 v48, 40, v3
	v_add_nc_u32_e32 v50, 48, v3
	v_add_min_i32_e64 v54, v16, 32, s10
	s_delay_alu instid0(VALU_DEP_4) | instskip(NEXT) | instid1(VALU_DEP_4)
	v_min_i32_e32 v46, s10, v20
	v_dual_ashrrev_i32 v6, 31, v44 :: v_dual_min_i32 v47, s10, v45
	v_min_i32_e32 v52, s10, v48
	v_add_min_i32_e64 v57, v16, 64, s10
	v_add_min_i32_e64 v58, 0x60, v16, s10
	s_delay_alu instid0(VALU_DEP_4) | instskip(SKIP_2) | instid1(VALU_DEP_3)
	v_lshrrev_b32_e32 v6, 30, v6
	v_bfe_u32 v2, v0, 2, 8
	v_dual_add_nc_u32 v56, 56, v3 :: v_dual_min_i32 v55, s10, v50
	v_dual_ashrrev_i32 v53, 31, v57 :: v_dual_add_nc_u32 v40, v44, v6
	v_dual_ashrrev_i32 v41, 31, v54 :: v_dual_bitop2_b32 v6, 7, v0 bitop3:0x40
	s_delay_alu instid0(VALU_DEP_3) | instskip(SKIP_2) | instid1(VALU_DEP_2)
	v_min_i32_e32 v59, s10, v56
	s_wait_xcnt 0x0
	s_load_b128 s[0:3], s[0:1], 0x0
	v_dual_lshlrev_b32 v16, 2, v6 :: v_dual_bitop2_b32 v49, -4, v40 bitop3:0x40
	v_dual_min_num_f64 v[40:41], v[24:25], v[22:23] :: v_dual_lshrrev_b32 v51, 30, v41
	v_ashrrev_i32_e32 v24, 31, v58
	v_min_num_f64_e32 v[42:43], v[26:27], v[22:23]
	v_lshl_add_u32 v25, v3, 3, v2
	v_dual_min_num_f64 v[28:29], v[28:29], v[22:23] :: v_dual_lshrrev_b32 v26, 30, v53
	s_delay_alu instid0(VALU_DEP_4) | instskip(SKIP_3) | instid1(VALU_DEP_4)
	v_dual_min_num_f64 v[30:31], v[30:31], v[22:23] :: v_dual_lshrrev_b32 v24, 30, v24
	v_dual_min_num_f64 v[32:33], v[32:33], v[22:23] :: v_dual_bitop2_b32 v27, 3, v0 bitop3:0x40
	v_min_num_f64_e32 v[36:37], v[36:37], v[22:23]
	v_min_num_f64_e32 v[38:39], v[38:39], v[22:23]
	v_add_nc_u32_e32 v24, v58, v24
	v_min_num_f64_e32 v[34:35], v[34:35], v[22:23]
	v_dual_add_nc_u32 v22, v54, v51 :: v_dual_add_nc_u32 v23, v57, v26
	v_and_b32_e32 v51, 63, v25
	s_delay_alu instid0(VALU_DEP_4) | instskip(SKIP_1) | instid1(VALU_DEP_4)
	v_and_b32_e32 v24, -4, v24
	v_add3_u32 v26, v49, v16, 0x6200
	v_dual_lshlrev_b32 v53, 2, v27 :: v_dual_bitop2_b32 v22, -4, v22 bitop3:0x40
	s_delay_alu instid0(VALU_DEP_4) | instskip(SKIP_2) | instid1(VALU_DEP_4)
	v_or_b32_e32 v25, s15, v51
	v_dual_lshlrev_b32 v8, 7, v8 :: v_dual_bitop2_b32 v23, -4, v23 bitop3:0x40
	v_lshlrev_b32_e32 v14, 7, v14
	v_add3_u32 v22, v22, v16, 0x6200
	v_lshlrev_b32_e32 v20, 7, v20
	s_ashr_i32 s4, s4, 5
	v_add_min_i32_e64 v64, v3, 64, s10
	v_add_min_i32_e64 v65, 0x48, v3, s10
	;; [unrolled: 1-line block ×4, first 2 shown]
	v_cvt_i32_f64_e32 v40, v[40:41]
	v_dual_lshlrev_b32 v41, 5, v44 :: v_dual_min_i32 v25, s7, v25
	v_cvt_i32_f64_e32 v42, v[42:43]
	v_cvt_i32_f64_e32 v28, v[28:29]
	v_add_nc_u32_e32 v29, 0x60, v7
	v_lshlrev_b32_e32 v43, 5, v54
	v_cvt_i32_f64_e32 v30, v[30:31]
	v_add_nc_u32_e32 v31, 64, v7
	v_cvt_i32_f64_e32 v32, v[32:33]
	v_cvt_i32_f64_e32 v36, v[36:37]
	;; [unrolled: 1-line block ×3, first 2 shown]
	v_add_nc_u32_e32 v37, 32, v7
	v_cvt_i32_f64_e32 v34, v[34:35]
	v_lshlrev_b32_e32 v33, 5, v7
	v_and_b32_e32 v29, 0x1fc, v29
	v_and_b32_e32 v39, 0xfc, v0
	v_add3_u32 v49, v23, v16, 0x6200
	v_add3_u32 v16, v24, v16, 0x6200
	v_and_b32_e32 v31, 0x1fc, v31
	v_and_b32_e32 v35, 0x1fc, v37
	v_add_nc_u32_e32 v60, v33, v29
	v_dual_add_nc_u32 v29, v26, v41 :: v_dual_add_nc_u32 v63, v33, v39
	s_delay_alu instid0(VALU_DEP_3) | instskip(SKIP_2) | instid1(VALU_DEP_3)
	v_dual_lshlrev_b32 v26, 5, v58 :: v_dual_add_nc_u32 v62, v33, v35
	v_lshl_or_b32 v24, v51, 4, v53
	v_dual_add_nc_u32 v61, v33, v31 :: v_dual_lshlrev_b32 v33, 5, v57
	v_dual_add_nc_u32 v35, v16, v26 :: v_dual_bitop2_b32 v16, 31, v0 bitop3:0x40
	v_add_min_i32_e64 v68, 0x60, v3, s10
	v_add_min_i32_e64 v69, 0x68, v3, s10
	;; [unrolled: 1-line block ×4, first 2 shown]
	v_lshl_or_b32 v16, v16, 2, 0x4200
	v_dual_add_nc_u32 v31, v22, v43 :: v_dual_add_nc_u32 v33, v49, v33
	v_add_nc_u32_e32 v159, 0x7280, v24
	v_mul_lo_u32 v162, s4, v28
	v_dual_lshlrev_b32 v22, 7, v45 :: v_dual_lshlrev_b32 v24, 7, v48
	v_dual_lshlrev_b32 v26, 7, v50 :: v_dual_lshlrev_b32 v28, 7, v56
	v_dual_lshrrev_b32 v168, 3, v37 :: v_dual_add_nc_u32 v169, v16, v8
	v_dual_add_nc_u32 v170, v16, v14 :: v_dual_add_nc_u32 v171, v16, v20
	v_lshlrev_b32_e32 v8, 7, v3
	v_mad_u32 v13, 0x84, v10, v1
	v_mad_u32 v15, 0x84, v12, v1
	;; [unrolled: 1-line block ×17, first 2 shown]
	v_dual_mov_b32 v1, v5 :: v_dual_bitop2_b32 v0, 28, v1 bitop3:0x40
	v_mul_lo_u32 v160, s4, v40
	v_mul_lo_u32 v161, s4, v42
	v_mul_lo_u32 v163, s4, v30
	v_mul_lo_u32 v164, s4, v32
	v_mul_lo_u32 v165, s4, v34
	v_mul_lo_u32 v166, s4, v36
	v_mul_lo_u32 v167, s4, v38
	v_dual_add_nc_u32 v172, v16, v22 :: v_dual_add_nc_u32 v173, v16, v24
	v_dual_add_nc_u32 v174, v16, v26 :: v_dual_add_nc_u32 v175, v16, v28
	v_add_nc_u32_e32 v176, v16, v8
	v_add_nc_u32_e32 v177, 0x4200, v8
	v_mul_lo_u32 v8, v10, s5
	v_mul_lo_u32 v10, v12, s5
	;; [unrolled: 1-line block ×20, first 2 shown]
	s_mul_i32 s12, s5, s16
	s_wait_kmcnt 0x0
	v_add_nc_u64_e32 v[0:1], s[2:3], v[0:1]
	v_add_nc_u32_e32 v178, 0x6e00, v60
	v_add_nc_u32_e32 v179, 0x6e10, v60
	;; [unrolled: 1-line block ×8, first 2 shown]
	v_mov_b64_e32 v[60:61], 0
	v_mov_b64_e32 v[54:55], 0
	;; [unrolled: 1-line block ×16, first 2 shown]
	s_ashr_i32 s13, s12, 31
	v_mul_u32_u24_e32 v186, 0x84, v7
	v_lshl_add_u32 v187, v3, 4, 0x7280
	v_mad_u32_u24 v188, 0x84, v7, 64
	s_mul_u64 s[12:13], s[12:13], 18
	s_add_co_i32 s7, s5, 3
	s_add_nc_u64 s[0:1], s[0:1], s[12:13]
	s_mov_b32 s4, 0x41000000
	s_mov_b32 s10, s11
	s_branch .LBB138_6
.LBB138_5:                              ;   in Loop: Header=BB138_6 Depth=1
	s_add_co_i32 s10, s10, 8
	s_add_co_i32 s7, s7, -8
	s_cmp_ge_i32 s10, s5
	s_cbranch_scc1 .LBB138_13
.LBB138_6:                              ; =>This Loop Header: Depth=1
                                        ;     Child Loop BB138_8 Depth 2
                                        ;     Child Loop BB138_11 Depth 2
	s_mul_u64 s[12:13], s[10:11], 18
	s_cmp_gt_u32 s7, 3
	s_add_nc_u64 s[12:13], s[0:1], s[12:13]
	s_delay_alu instid0(SALU_CYCLE_1) | instskip(NEXT) | instid1(VALU_DEP_1)
	v_mad_nc_u64_u32 v[80:81], v2, 18, s[12:13]
	v_mad_nc_i64_i32 v[82:83], v8, 18, v[80:81]
	s_delay_alu instid0(VALU_DEP_1)
	v_add_nc_u64_e32 v[82:83], v[82:83], v[4:5]
	global_load_b32 v82, v[82:83], off offset:2
	s_wait_loadcnt 0x0
	ds_store_b32 v13, v82
	s_wait_xcnt 0x0
	v_mad_nc_i64_i32 v[82:83], v10, 18, v[80:81]
	s_delay_alu instid0(VALU_DEP_1)
	v_add_nc_u64_e32 v[82:83], v[82:83], v[4:5]
	global_load_b32 v82, v[82:83], off offset:2
	s_wait_loadcnt 0x0
	ds_store_b32 v15, v82
	s_wait_xcnt 0x0
	;; [unrolled: 7-line block ×14, first 2 shown]
	v_mad_nc_i64_i32 v[82:83], v38, 18, v[80:81]
	v_mad_nc_i64_i32 v[80:81], v40, 18, v[80:81]
	s_delay_alu instid0(VALU_DEP_2) | instskip(NEXT) | instid1(VALU_DEP_2)
	v_add_nc_u64_e32 v[82:83], v[82:83], v[4:5]
	v_add_nc_u64_e32 v[80:81], v[80:81], v[4:5]
	s_clause 0x1
	global_load_b32 v82, v[82:83], off offset:2
	global_load_b32 v80, v[80:81], off offset:2
	s_wait_loadcnt 0x1
	ds_store_b32 v157, v82
	s_wait_loadcnt 0x0
	ds_store_b32 v158, v80
	s_wait_xcnt 0x0
	v_mad_nc_u64_u32 v[80:81], v6, 18, s[12:13]
	s_delay_alu instid0(VALU_DEP_1)
	v_mad_nc_i64_i32 v[82:83], v42, 18, v[80:81]
	global_load_u16 v82, v[82:83], off
	s_wait_loadcnt 0x0
	s_wait_xcnt 0x0
	v_cvt_f32_f16_e32 v82, v82
	ds_store_b32 v29, v82
	v_mad_nc_i64_i32 v[82:83], v48, 18, v[80:81]
	global_load_u16 v82, v[82:83], off
	s_wait_loadcnt 0x0
	s_wait_xcnt 0x0
	v_cvt_f32_f16_e32 v82, v82
	ds_store_b32 v31, v82
	v_mad_nc_i64_i32 v[82:83], v50, 18, v[80:81]
	v_mad_nc_i64_i32 v[80:81], v52, 18, v[80:81]
	s_clause 0x1
	global_load_u16 v82, v[82:83], off
	global_load_u16 v80, v[80:81], off
	s_wait_loadcnt 0x1
	s_wait_xcnt 0x1
	v_cvt_f32_f16_e32 v82, v82
	s_wait_loadcnt 0x0
	s_wait_xcnt 0x0
	v_cvt_f32_f16_e32 v80, v80
	ds_store_b32 v33, v82
	ds_store_b32 v35, v80
	s_cbranch_scc0 .LBB138_5
; %bb.7:                                ;   in Loop: Header=BB138_6 Depth=1
	v_dual_add_nc_u32 v81, s10, v25 :: v_dual_add_nc_u32 v80, s10, v11
	v_dual_mov_b32 v191, v184 :: v_dual_mov_b32 v193, v180
	s_mov_b32 s12, -4
	s_delay_alu instid0(VALU_DEP_2) | instskip(SKIP_2) | instid1(VALU_DEP_3)
	v_dual_mov_b32 v189, v177 :: v_dual_add_nc_u32 v82, v80, v160
	v_dual_mov_b32 v190, v187 :: v_dual_mov_b32 v192, v182
	v_dual_mov_b32 v194, v178 :: v_dual_mov_b32 v195, v186
	v_mad_nc_i64_i32 v[82:83], v82, 36, v[0:1]
	global_load_b32 v82, v[82:83], off offset:4
	s_wait_loadcnt 0x0
	ds_store_b32 v176, v82
	v_add_nc_u32_e32 v82, v80, v161
	s_delay_alu instid0(VALU_DEP_1) | instskip(SKIP_4) | instid1(VALU_DEP_1)
	v_mad_nc_i64_i32 v[82:83], v82, 36, v[0:1]
	global_load_b32 v82, v[82:83], off offset:4
	s_wait_loadcnt 0x0
	ds_store_b32 v169, v82
	v_add_nc_u32_e32 v82, v80, v162
	v_mad_nc_i64_i32 v[82:83], v82, 36, v[0:1]
	global_load_b32 v82, v[82:83], off offset:4
	s_wait_loadcnt 0x0
	ds_store_b32 v170, v82
	v_add_nc_u32_e32 v82, v80, v163
	s_delay_alu instid0(VALU_DEP_1) | instskip(SKIP_4) | instid1(VALU_DEP_1)
	v_mad_nc_i64_i32 v[82:83], v82, 36, v[0:1]
	global_load_b32 v82, v[82:83], off offset:4
	s_wait_loadcnt 0x0
	ds_store_b32 v171, v82
	v_add_nc_u32_e32 v82, v80, v164
	v_mad_nc_i64_i32 v[82:83], v82, 36, v[0:1]
	global_load_b32 v82, v[82:83], off offset:4
	s_wait_loadcnt 0x0
	ds_store_b32 v172, v82
	v_add_nc_u32_e32 v82, v80, v165
	s_delay_alu instid0(VALU_DEP_1) | instskip(SKIP_4) | instid1(VALU_DEP_1)
	v_mad_nc_i64_i32 v[82:83], v82, 36, v[0:1]
	global_load_b32 v82, v[82:83], off offset:4
	s_wait_loadcnt 0x0
	ds_store_b32 v173, v82
	v_dual_add_nc_u32 v82, v80, v166 :: v_dual_add_nc_u32 v80, v80, v167
	v_mad_nc_i64_i32 v[82:83], v82, 36, v[0:1]
	global_load_b32 v82, v[82:83], off offset:4
	s_wait_loadcnt 0x0
	ds_store_b32 v174, v82
	v_mad_nc_i64_i32 v[82:83], v80, 36, v[0:1]
	global_load_b32 v80, v[82:83], off offset:4
	s_wait_xcnt 0x0
	v_mad_nc_u64_u32 v[82:83], v81, 36, s[2:3]
	s_wait_loadcnt 0x0
	ds_store_b32 v175, v80
	global_load_b32 v80, v[82:83], off
	s_wait_loadcnt 0x0
	ds_store_b32 v159, v80
	s_wait_dscnt 0x0
	s_barrier_signal -1
	s_barrier_wait -1
.LBB138_8:                              ;   Parent Loop BB138_6 Depth=1
                                        ; =>  This Inner Loop Header: Depth=2
	ds_load_2addr_b32 v[86:87], v189 offset1:3
	ds_load_2addr_b32 v[82:83], v189 offset0:4 offset1:7
	ds_load_2addr_b32 v[84:85], v195 offset1:1
	v_add_nc_u32_e32 v94, 0x1080, v195
	v_add_nc_u32_e32 v95, 0x1088, v195
	;; [unrolled: 1-line block ×22, first 2 shown]
	ds_load_2addr_b32 v[90:91], v195 offset0:2 offset1:3
	ds_load_b32 v80, v194
	v_add_nc_u32_e32 v196, 0xc00, v189
	v_add_nc_u32_e32 v197, 0x1000, v189
	;; [unrolled: 1-line block ×5, first 2 shown]
	ds_load_2addr_b32 v[92:93], v189 offset0:1 offset1:2
	ds_load_2addr_b32 v[88:89], v189 offset0:5 offset1:6
	ds_load_2addr_b32 v[148:149], v190 offset1:32
	ds_load_2addr_b32 v[204:205], v190 offset0:64 offset1:96
	ds_load_2addr_b32 v[224:225], v190 offset0:128 offset1:160
	;; [unrolled: 1-line block ×3, first 2 shown]
	ds_load_2addr_b32 v[150:151], v94 offset1:1
	ds_load_2addr_b32 v[106:107], v95 offset1:1
	;; [unrolled: 1-line block ×4, first 2 shown]
	ds_load_2addr_b32 v[154:155], v100 offset0:4 offset1:7
	ds_load_2addr_b32 v[234:235], v98 offset1:1
	ds_load_2addr_b32 v[242:243], v99 offset1:1
	;; [unrolled: 1-line block ×3, first 2 shown]
	s_set_vgpr_msb 64                       ;  msbs: dst=1 src0=0 src1=0 src2=0
	ds_load_2addr_b32 v[4:5] /*v[260:261]*/, v102 offset1:1
	s_set_vgpr_msb 0                        ;  msbs: dst=0 src0=0 src1=0 src2=0
	ds_load_2addr_b32 v[120:121], v103 offset0:4 offset1:7
	ds_load_2addr_b32 v[118:119], v196 offset0:4 offset1:7
	;; [unrolled: 1-line block ×6, first 2 shown]
	ds_load_2addr_b32 v[134:135], v100 offset1:3
	ds_load_2addr_b32 v[146:147], v104 offset1:1
	;; [unrolled: 1-line block ×19, first 2 shown]
	s_wait_dscnt 0x2a
	v_dual_ashrrev_i32 v244, 24, v86 :: v_dual_bitop2_b32 v238, 15, v84 bitop3:0x40
	v_lshrrev_b16 v208, 8, v86
	v_bfe_i32 v250, v86, 0, 8
	s_wait_dscnt 0x21
	v_and_b32_e32 v252, 15, v150
	v_lshrrev_b16 v198, 8, v82
	s_set_vgpr_msb 64                       ;  msbs: dst=1 src0=0 src1=0 src2=0
	v_bfe_u32 v80 /*v336*/, v84, 8, 4
	s_set_vgpr_msb 0                        ;  msbs: dst=0 src0=0 src1=0 src2=0
	v_bfe_u32 v237, v84, 16, 4
	s_set_vgpr_msb 64                       ;  msbs: dst=1 src0=0 src1=0 src2=0
	v_bfe_u32 v23 /*v279*/, v84, 24, 4
	s_set_vgpr_msb 0                        ;  msbs: dst=0 src0=0 src1=0 src2=0
	v_bfe_i32 v249, v86, 16, 8
	s_set_vgpr_msb 64                       ;  msbs: dst=1 src0=0 src1=0 src2=0
	v_bfe_u32 v84 /*v340*/, v150, 8, 4
	s_set_vgpr_msb 0                        ;  msbs: dst=0 src0=0 src1=0 src2=0
	v_bfe_u32 v239, v150, 16, 4
	s_set_vgpr_msb 64                       ;  msbs: dst=1 src0=0 src1=0 src2=0
	v_bfe_u32 v24 /*v280*/, v150, 24, 4
	s_wait_dscnt 0x1c
	v_dual_lshrrev_b32 v34 /*v290*/, 28, v234 :: v_dual_bitop2_b32 v1 /*v257*/, 15, v152 bitop3:0x40
	v_bfe_i32 v35 /*v291*/, v208, 0, 8
	v_mul_i32_i24_e32 v36 /*v292*/, v250, v238
	v_bfe_u32 v39 /*v295*/, v235, 24, 4
	v_dual_lshrrev_b32 v40 /*v296*/, 28, v235 :: v_dual_ashrrev_i32 v45 /*v301*/, 24, v154
	v_bfe_u32 v41 /*v297*/, v234, 20, 4
	v_bfe_i32 v47 /*v303*/, v154, 16, 8
	s_wait_dscnt 0x1a
	v_dual_ashrrev_i32 v50 /*v306*/, 24, v254 :: v_dual_bitop2_b32 v48 /*v304*/, 15, v235 bitop3:0x40
	v_bfe_u32 v49 /*v305*/, v235, 16, 4
	v_bfe_i32 v51 /*v307*/, v254, 16, 8
	s_set_vgpr_msb 0                        ;  msbs: dst=0 src0=0 src1=0 src2=0
	v_bfe_u32 v229, v235, 20, 4
	s_wait_dscnt 0x19
	s_set_vgpr_msb 0x44                     ;  msbs: dst=1 src0=0 src1=1 src2=0
	v_ashrrev_i32_e32 v54 /*v310*/, 24, v4 /*v260*/
	s_set_vgpr_msb 0x41                     ;  msbs: dst=1 src0=1 src1=0 src2=0
	v_bfe_i32 v55 /*v311*/, v4 /*v260*/, 16, 8
	s_wait_dscnt 0x18
	s_set_vgpr_msb 64                       ;  msbs: dst=1 src0=0 src1=0 src2=0
	v_bfe_i32 v60 /*v316*/, v120, 8, 8
	v_bfe_i32 v61 /*v317*/, v120, 0, 8
	;; [unrolled: 1-line block ×3, first 2 shown]
	s_set_vgpr_msb 0                        ;  msbs: dst=0 src0=0 src1=0 src2=0
	v_ashrrev_i32_e32 v120, 24, v120
	s_set_vgpr_msb 64                       ;  msbs: dst=1 src0=0 src1=0 src2=0
	v_mul_i32_i24_e32 v128 /*v384*/, v250, v252
	s_set_vgpr_msb 0                        ;  msbs: dst=0 src0=0 src1=0 src2=0
	v_bfe_u32 v236, v84, 4, 4
	v_bfe_u32 v240, v84, 12, 4
	v_bfe_i32 v253, v82, 16, 8
	s_set_vgpr_msb 64                       ;  msbs: dst=1 src0=0 src1=0 src2=0
	v_bfe_i32 v0 /*v256*/, v82, 0, 8
	v_bfe_i32 v10 /*v266*/, v92, 0, 8
	v_dual_ashrrev_i32 v16 /*v272*/, 24, v92 :: v_dual_bitop2_b32 v12 /*v268*/, 15, v85 bitop3:0x40
	v_bfe_i32 v13 /*v269*/, v92, 8, 8
	s_set_vgpr_msb 0                        ;  msbs: dst=0 src0=0 src1=0 src2=0
	v_dual_ashrrev_i32 v218, 24, v93 :: v_dual_ashrrev_i32 v196, 24, v87
	v_bfe_i32 v200, v83, 0, 8
	s_set_vgpr_msb 64                       ;  msbs: dst=1 src0=0 src1=0 src2=0
	v_bfe_i32 v107 /*v363*/, v83, 8, 8
	v_bfe_i32 v19 /*v275*/, v92, 16, 8
	s_set_vgpr_msb 0                        ;  msbs: dst=0 src0=0 src1=0 src2=0
	v_bfe_i32 v219, v93, 16, 8
	v_bfe_i32 v230, v93, 0, 8
	v_bfe_i32 v231, v93, 8, 8
	v_bfe_i32 v246, v83, 16, 8
	v_dual_ashrrev_i32 v248, 24, v83 :: v_dual_lshrrev_b32 v222, 28, v90
	v_dual_lshrrev_b32 v92, 16, v204 :: v_dual_lshrrev_b32 v93, 16, v205
	v_cvt_f32_f16_e64 v83, v205
	s_set_vgpr_msb 64                       ;  msbs: dst=1 src0=0 src1=0 src2=0
	v_bfe_u32 v85 /*v341*/, v152, 8, 4
	s_set_vgpr_msb 0                        ;  msbs: dst=0 src0=0 src1=0 src2=0
	v_bfe_u32 v241, v152, 16, 4
	s_set_vgpr_msb 64                       ;  msbs: dst=1 src0=0 src1=0 src2=0
	v_bfe_u32 v25 /*v281*/, v152, 24, 4
	v_mul_i32_i24_e32 v37 /*v293*/, v249, v237
	s_set_vgpr_msb 0x44                     ;  msbs: dst=1 src0=0 src1=1 src2=0
	v_mul_i32_i24_e32 v38 /*v294*/, v244, v23 /*v279*/
	v_bfe_u32 v42 /*v298*/, v234, 4, 4
	v_bfe_i32 v43 /*v299*/, v198, 0, 8
	v_bfe_i32 v46 /*v302*/, v154, 0, 8
	;; [unrolled: 1-line block ×3, first 2 shown]
	v_bfe_u32 v53 /*v309*/, v235, 4, 4
	s_set_vgpr_msb 0x41                     ;  msbs: dst=1 src0=1 src1=0 src2=0
	v_bfe_i32 v56 /*v312*/, v4 /*v260*/, 0, 8
	s_set_vgpr_msb 0                        ;  msbs: dst=0 src0=0 src1=0 src2=0
	v_bfe_u32 v214, v242, 16, 4
	s_set_vgpr_msb 64                       ;  msbs: dst=1 src0=0 src1=0 src2=0
	v_bfe_i32 v59 /*v315*/, v255, 16, 8
	s_set_vgpr_msb 0                        ;  msbs: dst=0 src0=0 src1=0 src2=0
	v_bfe_u32 v205, v242, 20, 4
	s_set_vgpr_msb 1                        ;  msbs: dst=0 src0=1 src1=0 src2=0
	v_bfe_i32 v220, v5 /*v261*/, 16, 8
	s_set_vgpr_msb 64                       ;  msbs: dst=1 src0=0 src1=0 src2=0
	v_bfe_u32 v67 /*v323*/, v152, 12, 4
	s_set_vgpr_msb 0x55                     ;  msbs: dst=1 src0=1 src1=1 src2=1
	v_mad_i32_i24 v36 /*v292*/, v35 /*v291*/, v80 /*v336*/, v36 /*v292*/
	v_mul_i32_i24_e32 v120 /*v376*/, v45 /*v301*/, v34 /*v290*/
	v_mul_i32_i24_e32 v121 /*v377*/, v50 /*v306*/, v39 /*v295*/
	;; [unrolled: 1-line block ×5, first 2 shown]
	s_set_vgpr_msb 0x41                     ;  msbs: dst=1 src0=1 src1=0 src2=0
	v_mul_i32_i24_e32 v125 /*v381*/, v55 /*v311*/, v229
	s_set_vgpr_msb 64                       ;  msbs: dst=1 src0=0 src1=0 src2=0
	v_mul_i32_i24_e32 v129 /*v385*/, v249, v239
	s_set_vgpr_msb 0x44                     ;  msbs: dst=1 src0=0 src1=1 src2=0
	v_mul_i32_i24_e32 v130 /*v386*/, v244, v24 /*v280*/
	v_mul_i32_i24_e32 v131 /*v387*/, v250, v1 /*v257*/
	s_set_vgpr_msb 0x55                     ;  msbs: dst=1 src0=1 src1=1 src2=1
	v_mad_i32_i24 v128 /*v384*/, v35 /*v291*/, v84 /*v340*/, v128 /*v384*/
	s_set_vgpr_msb 64                       ;  msbs: dst=1 src0=0 src1=0 src2=0
	v_bfe_u32 v3 /*v259*/, v84, 20, 4
	v_dual_lshrrev_b32 v6 /*v262*/, 28, v84 :: v_dual_ashrrev_i32 v7 /*v263*/, 24, v82
	v_bfe_u32 v28 /*v284*/, v234, 16, 4
	s_set_vgpr_msb 0                        ;  msbs: dst=0 src0=0 src1=0 src2=0
	v_and_b32_e32 v247, 15, v234
	s_set_vgpr_msb 0x41                     ;  msbs: dst=1 src0=1 src1=0 src2=0
	v_mul_i32_i24_e32 v44 /*v300*/, v0 /*v256*/, v236
	s_set_vgpr_msb 64                       ;  msbs: dst=1 src0=0 src1=0 src2=0
	v_bfe_u32 v63 /*v319*/, v150, 12, 4
	v_bfe_u32 v68 /*v324*/, v152, 4, 4
	;; [unrolled: 1-line block ×3, first 2 shown]
	s_wait_dscnt 0x15
	v_dual_lshrrev_b32 v70 /*v326*/, 28, v152 :: v_dual_ashrrev_i32 v81 /*v337*/, 24, v114
	v_bfe_i32 v71 /*v327*/, v118, 8, 8
	v_bfe_i32 v74 /*v330*/, v116, 8, 8
	s_set_vgpr_msb 0x45                     ;  msbs: dst=1 src0=1 src1=1 src2=0
	v_mul_i32_i24_e32 v119 /*v375*/, v46 /*v302*/, v42 /*v298*/
	v_mul_i32_i24_e32 v126 /*v382*/, v52 /*v308*/, v48 /*v304*/
	;; [unrolled: 1-line block ×3, first 2 shown]
	s_set_vgpr_msb 64                       ;  msbs: dst=1 src0=0 src1=0 src2=0
	v_mul_i32_i24_e32 v132 /*v388*/, v249, v241
	s_set_vgpr_msb 0x44                     ;  msbs: dst=1 src0=0 src1=1 src2=0
	v_mul_i32_i24_e32 v133 /*v389*/, v244, v25 /*v281*/
	s_set_vgpr_msb 0x41                     ;  msbs: dst=1 src0=1 src1=0 src2=0
	v_mul_i32_i24_e32 v134 /*v390*/, v43 /*v299*/, v240
	v_mul_i32_i24_e32 v135 /*v391*/, v41 /*v297*/, v253
	s_set_vgpr_msb 0x55                     ;  msbs: dst=1 src0=1 src1=1 src2=1
	v_add3_u32 v36 /*v292*/, v36 /*v292*/, v37 /*v293*/, v38 /*v294*/
	s_set_vgpr_msb 0x41                     ;  msbs: dst=1 src0=1 src1=0 src2=0
	v_mul_i32_i24_e32 v38 /*v294*/, v59 /*v315*/, v214
	s_set_vgpr_msb 0x55                     ;  msbs: dst=1 src0=1 src1=1 src2=1
	v_add3_u32 v120 /*v376*/, v120 /*v376*/, v121 /*v377*/, v122 /*v378*/
	s_set_vgpr_msb 64                       ;  msbs: dst=1 src0=0 src1=0 src2=0
	v_mul_i32_i24_e32 v121 /*v377*/, v220, v205
	s_set_vgpr_msb 0x41                     ;  msbs: dst=1 src0=1 src1=0 src2=0
	v_mul_i32_i24_e32 v122 /*v378*/, v60 /*v316*/, v240
	s_set_vgpr_msb 0x55                     ;  msbs: dst=1 src0=1 src1=1 src2=1
	v_add3_u32 v123 /*v379*/, v123 /*v379*/, v124 /*v380*/, v125 /*v381*/
	v_add3_u32 v128 /*v384*/, v128 /*v384*/, v129 /*v385*/, v130 /*v386*/
	v_mul_i32_i24_e32 v130 /*v386*/, v60 /*v316*/, v67 /*v323*/
	v_mad_i32_i24 v131 /*v387*/, v35 /*v291*/, v85 /*v341*/, v131 /*v387*/
	s_set_vgpr_msb 64                       ;  msbs: dst=1 src0=0 src1=0 src2=0
	v_bfe_u32 v8 /*v264*/, v85, 8, 4
	v_bfe_u32 v9 /*v265*/, v85, 24, 4
	;; [unrolled: 1-line block ×3, first 2 shown]
	v_dual_ashrrev_i32 v20 /*v276*/, 24, v88 :: v_dual_lshrrev_b32 v22 /*v278*/, 28, v85
	s_set_vgpr_msb 0                        ;  msbs: dst=0 src0=0 src1=0 src2=0
	v_bfe_i32 v199, v87, 0, 8
	v_bfe_i32 v201, v87, 8, 8
	;; [unrolled: 1-line block ×3, first 2 shown]
	s_set_vgpr_msb 64                       ;  msbs: dst=1 src0=0 src1=0 src2=0
	v_bfe_u32 v21 /*v277*/, v85, 4, 4
	v_bfe_u32 v26 /*v282*/, v85, 12, 4
	;; [unrolled: 1-line block ×3, first 2 shown]
	s_set_vgpr_msb 0                        ;  msbs: dst=0 src0=0 src1=0 src2=0
	v_cvt_f32_f16_e64 v85, v225
	v_cvt_f32_f16_e64 v84, v224
	v_dual_lshrrev_b32 v223, 16, v224 :: v_dual_lshrrev_b32 v224, 16, v225
	v_cvt_f32_f16_e64 v87, v227
	v_cvt_f32_f16_e64 v86, v226
	v_dual_lshrrev_b32 v225, 16, v226 :: v_dual_lshrrev_b32 v226, 16, v227
	v_bfe_u32 v217, v242, 24, 4
	v_lshrrev_b32_e32 v208, 28, v242
	s_set_vgpr_msb 64                       ;  msbs: dst=1 src0=0 src1=0 src2=0
	v_dual_ashrrev_i32 v57 /*v313*/, 24, v255 :: v_dual_lshrrev_b32 v66 /*v322*/, 28, v150
	s_set_vgpr_msb 4                        ;  msbs: dst=0 src0=0 src1=1 src2=0
	v_ashrrev_i32_e32 v227, 24, v5 /*v261*/
	s_set_vgpr_msb 64                       ;  msbs: dst=1 src0=0 src1=0 src2=0
	v_bfe_u32 v64 /*v320*/, v150, 4, 4
	v_bfe_u32 v65 /*v321*/, v150, 20, 4
	v_bfe_i32 v72 /*v328*/, v118, 0, 8
	v_bfe_i32 v73 /*v329*/, v118, 16, 8
	s_set_vgpr_msb 0                        ;  msbs: dst=0 src0=0 src1=0 src2=0
	v_ashrrev_i32_e32 v118, 24, v118
	s_set_vgpr_msb 64                       ;  msbs: dst=1 src0=0 src1=0 src2=0
	v_bfe_i32 v75 /*v331*/, v116, 0, 8
	v_bfe_i32 v76 /*v332*/, v116, 16, 8
	s_set_vgpr_msb 0                        ;  msbs: dst=0 src0=0 src1=0 src2=0
	v_ashrrev_i32_e32 v116, 24, v116
	v_mul_i32_i24_e32 v250, v247, v250
	s_set_vgpr_msb 0x45                     ;  msbs: dst=1 src0=1 src1=1 src2=0
	v_mul_i32_i24_e32 v136 /*v392*/, v42 /*v298*/, v0 /*v256*/
	v_mul_i32_i24_e32 v124 /*v380*/, v62 /*v318*/, v3 /*v259*/
	s_set_vgpr_msb 0x44                     ;  msbs: dst=1 src0=0 src1=1 src2=0
	v_mul_i32_i24_e32 v125 /*v381*/, v120, v6 /*v262*/
	s_set_vgpr_msb 0x55                     ;  msbs: dst=1 src0=1 src1=1 src2=1
	v_add3_u32 v119 /*v375*/, v119 /*v375*/, v126 /*v382*/, v127 /*v383*/
	v_mul_i32_i24_e32 v126 /*v382*/, v60 /*v316*/, v63 /*v319*/
	v_add3_u32 v131 /*v387*/, v131 /*v387*/, v132 /*v388*/, v133 /*v389*/
	v_mul_i32_i24_e32 v132 /*v388*/, v62 /*v318*/, v69 /*v325*/
	s_set_vgpr_msb 0x44                     ;  msbs: dst=1 src0=0 src1=1 src2=0
	v_mul_i32_i24_e32 v133 /*v389*/, v120, v70 /*v326*/
	s_set_vgpr_msb 0x55                     ;  msbs: dst=1 src0=1 src1=1 src2=1
	v_add3_u32 v36 /*v292*/, v36 /*v292*/, v134 /*v390*/, v44 /*v300*/
	s_set_vgpr_msb 0x41                     ;  msbs: dst=1 src0=1 src1=0 src2=0
	v_mul_i32_i24_e32 v44 /*v300*/, v71 /*v327*/, v240
	s_set_vgpr_msb 17                       ;  msbs: dst=0 src0=1 src1=0 src2=1
	v_mad_i32_i24 v249, v28 /*v284*/, v249, v135 /*v391*/
	s_set_vgpr_msb 0x55                     ;  msbs: dst=1 src0=1 src1=1 src2=1
	v_add3_u32 v38 /*v294*/, v123 /*v379*/, v38 /*v294*/, v121 /*v377*/
	s_set_vgpr_msb 0x51                     ;  msbs: dst=1 src0=1 src1=0 src2=1
	v_mul_i32_i24_e32 v121 /*v377*/, v74 /*v330*/, v240
	v_mad_i32_i24 v122 /*v378*/, v61 /*v317*/, v236, v122 /*v378*/
	s_set_vgpr_msb 0x55                     ;  msbs: dst=1 src0=1 src1=1 src2=1
	v_mad_i32_i24 v130 /*v386*/, v61 /*v317*/, v68 /*v324*/, v130 /*v386*/
	s_set_vgpr_msb 64                       ;  msbs: dst=1 src0=0 src1=0 src2=0
	v_bfe_i32 v14 /*v270*/, v88, 16, 8
	v_bfe_i32 v15 /*v271*/, v88, 8, 8
	;; [unrolled: 1-line block ×3, first 2 shown]
	s_set_vgpr_msb 0                        ;  msbs: dst=0 src0=0 src1=0 src2=0
	v_bfe_i32 v207, v89, 16, 8
	v_bfe_i32 v212, v89, 8, 8
	;; [unrolled: 1-line block ×3, first 2 shown]
	v_dual_ashrrev_i32 v209, 24, v89 :: v_dual_bitop2_b32 v232, 15, v90 bitop3:0x40
	s_set_vgpr_msb 64                       ;  msbs: dst=1 src0=0 src1=0 src2=0
	v_bfe_u32 v29 /*v285*/, v90, 8, 4
	v_bfe_u32 v30 /*v286*/, v90, 24, 4
	s_set_vgpr_msb 0                        ;  msbs: dst=0 src0=0 src1=0 src2=0
	v_bfe_u32 v233, v90, 16, 4
	v_bfe_u32 v221, v90, 4, 4
	;; [unrolled: 1-line block ×6, first 2 shown]
	v_and_b32_e32 v203, 15, v91
	v_cvt_f32_f16_e64 v89, v149
	v_cvt_f32_f16_e64 v88, v148
	s_set_vgpr_msb 64                       ;  msbs: dst=1 src0=0 src1=0 src2=0
	v_dual_lshrrev_b32 v31 /*v287*/, 16, v149 :: v_dual_lshrrev_b32 v33 /*v289*/, 16, v148
	s_set_vgpr_msb 0                        ;  msbs: dst=0 src0=0 src1=0 src2=0
	v_bfe_u32 v206, v91, 16, 4
	v_bfe_u32 v148, v91, 4, 4
	v_lshrrev_b32_e32 v149, 28, v91
	s_set_vgpr_msb 64                       ;  msbs: dst=1 src0=0 src1=0 src2=0
	v_bfe_u32 v110 /*v366*/, v91, 12, 4
	s_set_vgpr_msb 0                        ;  msbs: dst=0 src0=0 src1=0 src2=0
	v_bfe_u32 v202, v91, 20, 4
	v_and_b32_e32 v91, 15, v242
	s_set_vgpr_msb 64                       ;  msbs: dst=1 src0=0 src1=0 src2=0
	v_bfe_i32 v58 /*v314*/, v255, 0, 8
	s_set_vgpr_msb 0                        ;  msbs: dst=0 src0=0 src1=0 src2=0
	v_bfe_u32 v210, v242, 4, 4
	s_set_vgpr_msb 1                        ;  msbs: dst=0 src0=1 src1=0 src2=0
	v_bfe_i32 v228, v5 /*v261*/, 0, 8
	s_set_vgpr_msb 64                       ;  msbs: dst=1 src0=0 src1=0 src2=0
	v_bfe_i32 v77 /*v333*/, v114, 8, 8
	v_bfe_i32 v78 /*v334*/, v114, 0, 8
	;; [unrolled: 1-line block ×3, first 2 shown]
	s_wait_dscnt 0x12
	s_set_vgpr_msb 0                        ;  msbs: dst=0 src0=0 src1=0 src2=0
	v_ashrrev_i32_e32 v114, 24, v135
	s_set_vgpr_msb 0x41                     ;  msbs: dst=1 src0=1 src1=0 src2=0
	v_mul_i32_i24_e32 v137 /*v393*/, v57 /*v313*/, v217
	s_set_vgpr_msb 64                       ;  msbs: dst=1 src0=0 src1=0 src2=0
	v_mul_i32_i24_e32 v138 /*v394*/, v227, v208
	s_set_vgpr_msb 0x45                     ;  msbs: dst=1 src0=1 src1=1 src2=0
	v_mul_i32_i24_e32 v127 /*v383*/, v62 /*v318*/, v65 /*v321*/
	s_set_vgpr_msb 0x44                     ;  msbs: dst=1 src0=0 src1=1 src2=0
	v_mul_i32_i24_e32 v129 /*v385*/, v120, v66 /*v322*/
	s_set_vgpr_msb 0x45                     ;  msbs: dst=1 src0=1 src1=1 src2=0
	v_mul_i32_i24_e32 v134 /*v390*/, v73 /*v329*/, v3 /*v259*/
	s_set_vgpr_msb 0x44                     ;  msbs: dst=1 src0=0 src1=1 src2=0
	v_mul_i32_i24_e32 v135 /*v391*/, v118, v6 /*v262*/
	s_set_vgpr_msb 4                        ;  msbs: dst=0 src0=0 src1=1 src2=0
	v_add3_u32 v249, v250, v136 /*v392*/, v249
	s_set_vgpr_msb 5                        ;  msbs: dst=0 src0=1 src1=1 src2=0
	v_mul_i32_i24_e32 v250, v71 /*v327*/, v63 /*v319*/
	s_set_vgpr_msb 0x55                     ;  msbs: dst=1 src0=1 src1=1 src2=1
	v_mul_i32_i24_e32 v123 /*v379*/, v76 /*v332*/, v3 /*v259*/
	v_add3_u32 v122 /*v378*/, v122 /*v378*/, v124 /*v380*/, v125 /*v381*/
	s_set_vgpr_msb 0x44                     ;  msbs: dst=1 src0=0 src1=1 src2=0
	v_mul_i32_i24_e32 v124 /*v380*/, v116, v6 /*v262*/
	s_set_vgpr_msb 0x55                     ;  msbs: dst=1 src0=1 src1=1 src2=1
	v_mul_i32_i24_e32 v125 /*v381*/, v74 /*v330*/, v63 /*v319*/
	v_mad_i32_i24 v126 /*v382*/, v61 /*v317*/, v64 /*v320*/, v126 /*v382*/
	v_add3_u32 v130 /*v386*/, v130 /*v386*/, v132 /*v388*/, v133 /*v389*/
	v_mul_i32_i24_e32 v132 /*v388*/, v74 /*v330*/, v67 /*v323*/
	s_set_vgpr_msb 0x51                     ;  msbs: dst=1 src0=1 src1=0 src2=1
	v_mad_i32_i24 v44 /*v300*/, v72 /*v328*/, v236, v44 /*v300*/
	v_mad_i32_i24 v121 /*v377*/, v75 /*v331*/, v236, v121 /*v377*/
	s_set_vgpr_msb 64                       ;  msbs: dst=1 src0=0 src1=0 src2=0
	v_bfe_i32 v82 /*v338*/, v112, 8, 8
	s_set_vgpr_msb 0x41                     ;  msbs: dst=1 src0=1 src1=0 src2=0
	v_mul_i32_i24_e32 v139 /*v395*/, v58 /*v314*/, v91
	s_set_vgpr_msb 64                       ;  msbs: dst=1 src0=0 src1=0 src2=0
	v_mul_i32_i24_e32 v37 /*v293*/, v228, v210
	s_set_vgpr_msb 0x55                     ;  msbs: dst=1 src0=1 src1=1 src2=1
	v_mul_i32_i24_e32 v136 /*v392*/, v73 /*v329*/, v65 /*v321*/
	v_add3_u32 v120 /*v376*/, v120 /*v376*/, v137 /*v393*/, v138 /*v394*/
	s_set_vgpr_msb 0x44                     ;  msbs: dst=1 src0=0 src1=1 src2=0
	v_mul_i32_i24_e32 v137 /*v393*/, v118, v66 /*v322*/
	s_set_vgpr_msb 0x55                     ;  msbs: dst=1 src0=1 src1=1 src2=1
	v_mul_i32_i24_e32 v138 /*v394*/, v71 /*v327*/, v67 /*v323*/
	v_add3_u32 v126 /*v382*/, v126 /*v382*/, v127 /*v383*/, v129 /*v385*/
	v_mul_i32_i24_e32 v127 /*v383*/, v76 /*v332*/, v65 /*v321*/
	s_set_vgpr_msb 0x44                     ;  msbs: dst=1 src0=0 src1=1 src2=0
	v_mul_i32_i24_e32 v129 /*v385*/, v116, v66 /*v322*/
	s_set_vgpr_msb 0x55                     ;  msbs: dst=1 src0=1 src1=1 src2=1
	v_mul_i32_i24_e32 v133 /*v389*/, v76 /*v332*/, v69 /*v325*/
	v_add3_u32 v44 /*v300*/, v44 /*v300*/, v134 /*v390*/, v135 /*v391*/
	s_set_vgpr_msb 0x44                     ;  msbs: dst=1 src0=0 src1=1 src2=0
	v_mul_i32_i24_e32 v134 /*v390*/, v116, v70 /*v326*/
	s_set_vgpr_msb 0x41                     ;  msbs: dst=1 src0=1 src1=0 src2=0
	v_mul_i32_i24_e32 v135 /*v391*/, v77 /*v333*/, v240
	s_set_vgpr_msb 5                        ;  msbs: dst=0 src0=1 src1=1 src2=0
	v_mad_i32_i24 v250, v72 /*v328*/, v64 /*v320*/, v250
	s_set_vgpr_msb 0x55                     ;  msbs: dst=1 src0=1 src1=1 src2=1
	v_add3_u32 v121 /*v377*/, v121 /*v377*/, v123 /*v379*/, v124 /*v380*/
	v_mul_i32_i24_e32 v124 /*v380*/, v77 /*v333*/, v67 /*v323*/
	v_mad_i32_i24 v125 /*v381*/, v75 /*v331*/, v64 /*v320*/, v125 /*v381*/
	v_mad_i32_i24 v132 /*v388*/, v75 /*v331*/, v68 /*v324*/, v132 /*v388*/
	s_set_vgpr_msb 64                       ;  msbs: dst=1 src0=0 src1=0 src2=0
	v_bfe_i32 v83 /*v339*/, v112, 0, 8
	v_bfe_i32 v86 /*v342*/, v112, 16, 8
	v_dual_ashrrev_i32 v89 /*v345*/, 24, v112 :: v_dual_ashrrev_i32 v92 /*v348*/, 24, v110
	s_set_vgpr_msb 0x55                     ;  msbs: dst=1 src0=1 src1=1 src2=1
	v_add3_u32 v37 /*v293*/, v119 /*v375*/, v139 /*v395*/, v37 /*v293*/
	v_mul_i32_i24_e32 v119 /*v375*/, v73 /*v329*/, v69 /*v325*/
	s_set_vgpr_msb 0x44                     ;  msbs: dst=1 src0=0 src1=1 src2=0
	v_mul_i32_i24_e32 v139 /*v395*/, v118, v70 /*v326*/
	s_set_vgpr_msb 20                       ;  msbs: dst=0 src0=0 src1=1 src2=1
	v_add3_u32 v250, v250, v136 /*v392*/, v137 /*v393*/
	s_set_vgpr_msb 0x55                     ;  msbs: dst=1 src0=1 src1=1 src2=1
	v_mul_i32_i24_e32 v136 /*v392*/, v79 /*v335*/, v3 /*v259*/
	v_mul_i32_i24_e32 v137 /*v393*/, v81 /*v337*/, v6 /*v262*/
	v_mad_i32_i24 v138 /*v394*/, v72 /*v328*/, v68 /*v324*/, v138 /*v394*/
	v_add3_u32 v125 /*v381*/, v125 /*v381*/, v127 /*v383*/, v129 /*v385*/
	v_mul_i32_i24_e32 v127 /*v383*/, v79 /*v335*/, v69 /*v325*/
	v_mul_i32_i24_e32 v129 /*v385*/, v81 /*v337*/, v70 /*v326*/
	v_add3_u32 v132 /*v388*/, v132 /*v388*/, v133 /*v389*/, v134 /*v390*/
	s_set_vgpr_msb 0x51                     ;  msbs: dst=1 src0=1 src1=0 src2=1
	v_mul_i32_i24_e32 v133 /*v389*/, v82 /*v338*/, v240
	v_mad_i32_i24 v135 /*v391*/, v78 /*v334*/, v236, v135 /*v391*/
	s_set_vgpr_msb 0x55                     ;  msbs: dst=1 src0=1 src1=1 src2=1
	v_mad_i32_i24 v124 /*v380*/, v78 /*v334*/, v68 /*v324*/, v124 /*v380*/
	s_set_vgpr_msb 0                        ;  msbs: dst=0 src0=0 src1=0 src2=0
	v_lshrrev_b16 v154, 8, v154
	s_set_vgpr_msb 0x55                     ;  msbs: dst=1 src0=1 src1=1 src2=1
	v_add3_u32 v119 /*v375*/, v138 /*v394*/, v119 /*v375*/, v139 /*v395*/
	v_mul_i32_i24_e32 v138 /*v394*/, v77 /*v333*/, v63 /*v319*/
	v_mul_i32_i24_e32 v134 /*v390*/, v86 /*v342*/, v3 /*v259*/
	v_add3_u32 v135 /*v391*/, v135 /*v391*/, v136 /*v392*/, v137 /*v393*/
	v_mul_i32_i24_e32 v136 /*v392*/, v89 /*v345*/, v6 /*v262*/
	v_add3_u32 v124 /*v380*/, v124 /*v380*/, v127 /*v383*/, v129 /*v385*/
	v_mul_i32_i24_e32 v127 /*v383*/, v82 /*v338*/, v67 /*v323*/
	s_set_vgpr_msb 0x51                     ;  msbs: dst=1 src0=1 src1=0 src2=1
	v_mad_i32_i24 v133 /*v389*/, v83 /*v339*/, v236, v133 /*v389*/
	s_set_vgpr_msb 0x44                     ;  msbs: dst=1 src0=0 src1=1 src2=0
	v_bfe_i32 v88 /*v344*/, v110, 8, 8
	v_mul_i32_i24_e32 v93 /*v349*/, v253, v3 /*v259*/
	s_set_vgpr_msb 0x55                     ;  msbs: dst=1 src0=1 src1=1 src2=1
	v_mul_i32_i24_e32 v94 /*v350*/, v7 /*v263*/, v6 /*v262*/
	v_mul_i32_i24_e32 v139 /*v395*/, v79 /*v335*/, v65 /*v321*/
	;; [unrolled: 1-line block ×4, first 2 shown]
	v_mad_i32_i24 v138 /*v394*/, v78 /*v334*/, v64 /*v320*/, v138 /*v394*/
	v_mul_i32_i24_e32 v129 /*v385*/, v86 /*v342*/, v69 /*v325*/
	v_add3_u32 v133 /*v389*/, v133 /*v389*/, v134 /*v390*/, v136 /*v392*/
	v_mul_i32_i24_e32 v134 /*v390*/, v89 /*v345*/, v70 /*v326*/
	v_mad_i32_i24 v127 /*v383*/, v83 /*v339*/, v68 /*v324*/, v127 /*v383*/
	s_set_vgpr_msb 0                        ;  msbs: dst=0 src0=0 src1=0 src2=0
	v_bfe_i32 v154, v154, 0, 8
	s_set_vgpr_msb 64                       ;  msbs: dst=1 src0=0 src1=0 src2=0
	v_bfe_i32 v90 /*v346*/, v110, 0, 8
	v_bfe_i32 v91 /*v347*/, v110, 16, 8
	s_set_vgpr_msb 0x55                     ;  msbs: dst=1 src0=1 src1=1 src2=1
	v_add3_u32 v123 /*v379*/, v138 /*v394*/, v139 /*v395*/, v123 /*v379*/
	v_mul_i32_i24_e32 v138 /*v394*/, v86 /*v342*/, v65 /*v321*/
	v_mul_i32_i24_e32 v139 /*v395*/, v89 /*v345*/, v66 /*v322*/
	s_set_vgpr_msb 0x41                     ;  msbs: dst=1 src0=1 src1=0 src2=0
	v_mul_i32_i24_e32 v136 /*v392*/, v88 /*v344*/, v240
	s_set_vgpr_msb 0x55                     ;  msbs: dst=1 src0=1 src1=1 src2=1
	v_mad_i32_i24 v137 /*v393*/, v83 /*v339*/, v64 /*v320*/, v137 /*v393*/
	v_add3_u32 v127 /*v383*/, v127 /*v383*/, v129 /*v385*/, v134 /*v390*/
	v_mul_i32_i24_e32 v129 /*v385*/, v88 /*v344*/, v63 /*v319*/
	v_add3_u32 v36 /*v292*/, v36 /*v292*/, v93 /*v349*/, v94 /*v350*/
	v_mul_i32_i24_e32 v94 /*v350*/, v43 /*v299*/, v63 /*v319*/
	s_set_vgpr_msb 0                        ;  msbs: dst=0 src0=0 src1=0 src2=0
	v_mul_i32_i24_e32 v240, v154, v240
	s_set_vgpr_msb 0x44                     ;  msbs: dst=1 src0=0 src1=1 src2=0
	v_mul_i32_i24_e32 v63 /*v319*/, v154, v63 /*v319*/
	s_set_vgpr_msb 0x55                     ;  msbs: dst=1 src0=1 src1=1 src2=1
	v_add3_u32 v137 /*v393*/, v137 /*v393*/, v138 /*v394*/, v139 /*v395*/
	v_mul_i32_i24_e32 v138 /*v394*/, v91 /*v347*/, v3 /*v259*/
	v_mul_i32_i24_e32 v139 /*v395*/, v92 /*v348*/, v6 /*v262*/
	s_set_vgpr_msb 0x51                     ;  msbs: dst=1 src0=1 src1=0 src2=1
	v_mad_i32_i24 v136 /*v392*/, v90 /*v346*/, v236, v136 /*v392*/
	s_set_vgpr_msb 0x55                     ;  msbs: dst=1 src0=1 src1=1 src2=1
	v_mad_i32_i24 v129 /*v385*/, v90 /*v346*/, v64 /*v320*/, v129 /*v385*/
	v_mul_i32_i24_e32 v93 /*v349*/, v0 /*v256*/, v64 /*v320*/
	s_set_vgpr_msb 1                        ;  msbs: dst=0 src0=1 src1=0 src2=0
	v_mad_i32_i24 v236, v46 /*v302*/, v236, v240
	s_set_vgpr_msb 0x55                     ;  msbs: dst=1 src0=1 src1=1 src2=1
	v_mad_i32_i24 v63 /*v319*/, v46 /*v302*/, v64 /*v320*/, v63 /*v319*/
	s_set_vgpr_msb 0x44                     ;  msbs: dst=1 src0=0 src1=1 src2=0
	v_mul_i32_i24_e32 v64 /*v320*/, v154, v67 /*v323*/
	s_set_vgpr_msb 0x45                     ;  msbs: dst=1 src0=1 src1=1 src2=0
	v_mul_i32_i24_e32 v3 /*v259*/, v47 /*v303*/, v3 /*v259*/
	v_mul_i32_i24_e32 v6 /*v262*/, v45 /*v301*/, v6 /*v262*/
	s_set_vgpr_msb 0                        ;  msbs: dst=0 src0=0 src1=0 src2=0
	v_bfe_u32 v198, v243, 24, 4
	s_wait_dscnt 0x11
	s_set_vgpr_msb 64                       ;  msbs: dst=1 src0=0 src1=0 src2=0
	v_dual_lshrrev_b32 v2 /*v258*/, 28, v243 :: v_dual_ashrrev_i32 v96 /*v352*/, 24, v146
	s_set_vgpr_msb 0                        ;  msbs: dst=0 src0=0 src1=0 src2=0
	v_ashrrev_i32_e32 v150, 24, v155
	s_set_vgpr_msb 0x55                     ;  msbs: dst=1 src0=1 src1=1 src2=1
	v_mad_i32_i24 v46 /*v302*/, v46 /*v302*/, v68 /*v324*/, v64 /*v320*/
	s_set_vgpr_msb 20                       ;  msbs: dst=0 src0=0 src1=1 src2=1
	v_add3_u32 v236, v236, v3 /*v259*/, v6 /*v262*/
	s_set_vgpr_msb 0x45                     ;  msbs: dst=1 src0=1 src1=1 src2=0
	v_mul_i32_i24_e32 v3 /*v259*/, v47 /*v303*/, v65 /*v321*/
	v_mul_i32_i24_e32 v6 /*v262*/, v45 /*v301*/, v66 /*v322*/
	;; [unrolled: 1-line block ×4, first 2 shown]
	s_set_vgpr_msb 0                        ;  msbs: dst=0 src0=0 src1=0 src2=0
	v_cvt_f32_f16_e64 v82, v204
	v_bfe_u32 v251, v243, 16, 4
	v_bfe_i32 v110, v135, 16, 8
	s_set_vgpr_msb 64                       ;  msbs: dst=1 src0=0 src1=0 src2=0
	v_bfe_u32 v32 /*v288*/, v243, 20, 4
	s_set_vgpr_msb 0                        ;  msbs: dst=0 src0=0 src1=0 src2=0
	v_bfe_i32 v204, v155, 16, 8
	s_set_vgpr_msb 0x55                     ;  msbs: dst=1 src0=1 src1=1 src2=1
	v_add3_u32 v45 /*v301*/, v46 /*v302*/, v47 /*v303*/, v45 /*v301*/
	s_set_vgpr_msb 64                       ;  msbs: dst=1 src0=0 src1=0 src2=0
	v_mul_i32_i24_e32 v46 /*v302*/, v114, v198
	s_set_vgpr_msb 0x44                     ;  msbs: dst=1 src0=0 src1=1 src2=0
	v_mul_i32_i24_e32 v47 /*v303*/, v150, v2 /*v258*/
	s_set_vgpr_msb 0                        ;  msbs: dst=0 src0=0 src1=0 src2=0
	v_and_b32_e32 v245, 15, v243
	v_bfe_i32 v112, v135, 0, 8
	s_set_vgpr_msb 64                       ;  msbs: dst=1 src0=0 src1=0 src2=0
	v_bfe_u32 v11 /*v267*/, v243, 4, 4
	s_set_vgpr_msb 0                        ;  msbs: dst=0 src0=0 src1=0 src2=0
	v_bfe_i32 v152, v155, 0, 8
	s_set_vgpr_msb 0x55                     ;  msbs: dst=1 src0=1 src1=1 src2=1
	v_add3_u32 v3 /*v259*/, v63 /*v319*/, v3 /*v259*/, v6 /*v262*/
	v_add3_u32 v46 /*v302*/, v120 /*v376*/, v46 /*v302*/, v47 /*v303*/
	s_set_vgpr_msb 64                       ;  msbs: dst=1 src0=0 src1=0 src2=0
	v_mul_i32_i24_e32 v47 /*v303*/, v110, v251
	s_set_vgpr_msb 0x44                     ;  msbs: dst=1 src0=0 src1=1 src2=0
	v_mul_i32_i24_e32 v63 /*v319*/, v204, v32 /*v288*/
	v_bfe_i32 v95 /*v351*/, v146, 8, 8
	s_wait_dscnt 0x3
	v_bfe_i32 v169 /*v425*/, v100, 0, 8
	v_bfe_i32 v170 /*v426*/, v100, 8, 8
	;; [unrolled: 1-line block ×3, first 2 shown]
	s_set_vgpr_msb 0x55                     ;  msbs: dst=1 src0=1 src1=1 src2=1
	v_add3_u32 v38 /*v294*/, v38 /*v294*/, v47 /*v303*/, v63 /*v319*/
	s_set_vgpr_msb 0x44                     ;  msbs: dst=1 src0=0 src1=1 src2=0
	v_mul_i32_i24_e32 v63 /*v319*/, v152, v11 /*v267*/
	s_set_vgpr_msb 0                        ;  msbs: dst=0 src0=0 src1=0 src2=0
	v_ashrrev_i32_e32 v100, 24, v100
	s_set_vgpr_msb 64                       ;  msbs: dst=1 src0=0 src1=0 src2=0
	v_mul_i32_i24_e32 v47 /*v303*/, v112, v245
	v_bfe_u32 v97 /*v353*/, v151, 8, 4
	v_bfe_u32 v98 /*v354*/, v151, 24, 4
	;; [unrolled: 1-line block ×4, first 2 shown]
	s_set_vgpr_msb 0x55                     ;  msbs: dst=1 src0=1 src1=1 src2=1
	v_add3_u32 v37 /*v293*/, v37 /*v293*/, v47 /*v303*/, v63 /*v319*/
	v_mul_i32_i24_e32 v47 /*v303*/, v95 /*v351*/, v8 /*v264*/
	v_mul_i32_i24_e32 v63 /*v319*/, v96 /*v352*/, v9 /*v265*/
	;; [unrolled: 1-line block ×3, first 2 shown]
	s_set_vgpr_msb 64                       ;  msbs: dst=1 src0=0 src1=0 src2=0
	v_bfe_i32 v101 /*v357*/, v136, 8, 8
	v_dual_ashrrev_i32 v102 /*v358*/, 24, v136 :: v_dual_ashrrev_i32 v104 /*v360*/, 24, v138
	s_set_vgpr_msb 0x55                     ;  msbs: dst=1 src0=1 src1=1 src2=1
	v_add3_u32 v47 /*v303*/, v122 /*v378*/, v63 /*v319*/, v47 /*v303*/
	v_mul_i32_i24_e32 v63 /*v319*/, v95 /*v351*/, v97 /*v353*/
	v_mul_i32_i24_e32 v122 /*v378*/, v96 /*v352*/, v100 /*v356*/
	s_set_vgpr_msb 64                       ;  msbs: dst=1 src0=0 src1=0 src2=0
	v_bfe_i32 v103 /*v359*/, v138, 8, 8
	v_bfe_i32 v105 /*v361*/, v140, 8, 8
	v_dual_ashrrev_i32 v106 /*v362*/, 24, v140 :: v_dual_ashrrev_i32 v109 /*v365*/, 24, v142
	s_set_vgpr_msb 0x55                     ;  msbs: dst=1 src0=1 src1=1 src2=1
	v_add3_u32 v63 /*v319*/, v126 /*v382*/, v120 /*v376*/, v63 /*v319*/
	v_mul_i32_i24_e32 v120 /*v376*/, v95 /*v351*/, v99 /*v355*/
	v_mul_i32_i24_e32 v126 /*v382*/, v102 /*v358*/, v9 /*v265*/
	v_add3_u32 v93 /*v349*/, v128 /*v384*/, v94 /*v350*/, v93 /*v349*/
	v_mul_i32_i24_e32 v128 /*v384*/, v106 /*v362*/, v9 /*v265*/
	s_set_vgpr_msb 64                       ;  msbs: dst=1 src0=0 src1=0 src2=0
	v_bfe_i32 v108 /*v364*/, v142, 8, 8
	s_set_vgpr_msb 0x55                     ;  msbs: dst=1 src0=1 src1=1 src2=1
	v_add3_u32 v120 /*v376*/, v130 /*v386*/, v122 /*v378*/, v120 /*v376*/
	v_mul_i32_i24_e32 v122 /*v378*/, v101 /*v357*/, v8 /*v264*/
	v_mul_i32_i24_e32 v130 /*v386*/, v106 /*v362*/, v98 /*v354*/
	v_add3_u32 v136 /*v392*/, v136 /*v392*/, v138 /*v394*/, v139 /*v395*/
	v_mul_i32_i24_e32 v139 /*v395*/, v88 /*v344*/, v67 /*v323*/
	v_mul_i32_i24_e32 v0 /*v256*/, v0 /*v256*/, v68 /*v324*/
	;; [unrolled: 3-line block ×3, first 2 shown]
	v_mul_i32_i24_e32 v67 /*v323*/, v43 /*v299*/, v67 /*v323*/
	s_set_vgpr_msb 64                       ;  msbs: dst=1 src0=0 src1=0 src2=0
	v_bfe_i32 v111 /*v367*/, v144, 8, 8
	v_dual_ashrrev_i32 v112 /*v368*/, 24, v144 :: v_dual_lshrrev_b32 v115 /*v371*/, 4, v234
	s_set_vgpr_msb 20                       ;  msbs: dst=0 src0=0 src1=1 src2=1
	v_add3_u32 v250, v250, v126 /*v382*/, v122 /*v378*/
	s_set_vgpr_msb 0x55                     ;  msbs: dst=1 src0=1 src1=1 src2=1
	v_mul_i32_i24_e32 v122 /*v378*/, v101 /*v357*/, v99 /*v355*/
	v_mul_i32_i24_e32 v126 /*v382*/, v102 /*v358*/, v100 /*v356*/
	v_add3_u32 v0 /*v256*/, v131 /*v387*/, v67 /*v323*/, v0 /*v256*/
	v_mul_i32_i24_e32 v131 /*v387*/, v109 /*v365*/, v98 /*v354*/
	s_set_vgpr_msb 0                        ;  msbs: dst=0 src0=0 src1=0 src2=0
	v_bfe_i32 v254, v254, 8, 8
	s_set_vgpr_msb 0x55                     ;  msbs: dst=1 src0=1 src1=1 src2=1
	v_mul_i32_i24_e32 v134 /*v390*/, v91 /*v347*/, v65 /*v321*/
	v_add3_u32 v119 /*v375*/, v119 /*v375*/, v126 /*v382*/, v122 /*v378*/
	v_mul_i32_i24_e32 v122 /*v378*/, v103 /*v359*/, v8 /*v264*/
	v_mul_i32_i24_e32 v126 /*v382*/, v104 /*v360*/, v9 /*v265*/
	;; [unrolled: 1-line block ×3, first 2 shown]
	s_set_vgpr_msb 0x44                     ;  msbs: dst=1 src0=0 src1=1 src2=0
	v_mul_i32_i24_e32 v65 /*v321*/, v253, v65 /*v321*/
	s_set_vgpr_msb 0x55                     ;  msbs: dst=1 src0=1 src1=1 src2=1
	v_mul_i32_i24_e32 v66 /*v322*/, v7 /*v263*/, v66 /*v322*/
	v_mul_i32_i24_e32 v114 /*v370*/, v13 /*v269*/, v8 /*v264*/
	v_add3_u32 v121 /*v377*/, v121 /*v377*/, v126 /*v382*/, v122 /*v378*/
	v_mul_i32_i24_e32 v122 /*v378*/, v103 /*v359*/, v97 /*v353*/
	v_mul_i32_i24_e32 v126 /*v382*/, v104 /*v360*/, v98 /*v354*/
	s_set_vgpr_msb 64                       ;  msbs: dst=1 src0=0 src1=0 src2=0
	v_bfe_u32 v87 /*v343*/, v234, 24, 4
	s_set_vgpr_msb 0                        ;  msbs: dst=0 src0=0 src1=0 src2=0
	v_and_b32_e32 v234, 0xf0f0f0f, v234
	s_set_vgpr_msb 64                       ;  msbs: dst=1 src0=0 src1=0 src2=0
	v_dual_lshrrev_b32 v116 /*v372*/, 4, v235 :: v_dual_lshrrev_b32 v117 /*v373*/, 4, v242
	s_set_vgpr_msb 0x55                     ;  msbs: dst=1 src0=1 src1=1 src2=1
	v_add3_u32 v122 /*v378*/, v125 /*v381*/, v126 /*v382*/, v122 /*v378*/
	v_mul_i32_i24_e32 v125 /*v381*/, v103 /*v359*/, v99 /*v355*/
	v_mul_i32_i24_e32 v126 /*v382*/, v104 /*v360*/, v100 /*v356*/
	v_add3_u32 v129 /*v385*/, v129 /*v385*/, v134 /*v390*/, v138 /*v394*/
	v_mul_i32_i24_e32 v134 /*v390*/, v91 /*v347*/, v69 /*v325*/
	v_mul_i32_i24_e32 v138 /*v394*/, v92 /*v348*/, v70 /*v326*/
	v_add3_u32 v65 /*v321*/, v93 /*v349*/, v65 /*v321*/, v66 /*v322*/
	v_add3_u32 v125 /*v381*/, v132 /*v388*/, v126 /*v382*/, v125 /*v381*/
	v_mul_i32_i24_e32 v126 /*v382*/, v105 /*v361*/, v8 /*v264*/
	v_mul_i32_i24_e32 v132 /*v388*/, v109 /*v365*/, v100 /*v356*/
	;; [unrolled: 1-line block ×3, first 2 shown]
	s_set_vgpr_msb 4                        ;  msbs: dst=0 src0=0 src1=1 src2=0
	v_mul_i32_i24_e32 v253, v253, v69 /*v325*/
	s_set_vgpr_msb 0x55                     ;  msbs: dst=1 src0=1 src1=1 src2=1
	v_mul_i32_i24_e32 v69 /*v325*/, v7 /*v263*/, v70 /*v326*/
	v_add3_u32 v126 /*v382*/, v135 /*v391*/, v128 /*v384*/, v126 /*v382*/
	v_mul_i32_i24_e32 v128 /*v384*/, v105 /*v361*/, v97 /*v353*/
	v_lshrrev_b16 v70 /*v326*/, 8, v115 /*v371*/
	s_set_vgpr_msb 0                        ;  msbs: dst=0 src0=0 src1=0 src2=0
	v_lshrrev_b16 v234, 8, v234
	s_set_vgpr_msb 0x44                     ;  msbs: dst=1 src0=0 src1=1 src2=0
	v_lshrrev_b16 v116 /*v372*/, 8, v116 /*v372*/
	s_set_vgpr_msb 0                        ;  msbs: dst=0 src0=0 src1=0 src2=0
	v_and_b32_e32 v235, 0xf0f0f0f, v235
	s_set_vgpr_msb 0x55                     ;  msbs: dst=1 src0=1 src1=1 src2=1
	v_add3_u32 v123 /*v379*/, v123 /*v379*/, v130 /*v386*/, v128 /*v384*/
	v_mul_i32_i24_e32 v128 /*v384*/, v105 /*v361*/, v99 /*v355*/
	v_mul_i32_i24_e32 v130 /*v386*/, v106 /*v362*/, v100 /*v356*/
	v_and_b32_e32 v70 /*v326*/, 15, v70 /*v326*/
	v_mul_i32_i24_e32 v7 /*v263*/, v34 /*v290*/, v7 /*v263*/
	v_lshrrev_b16 v117 /*v373*/, 8, v117 /*v373*/
	s_set_vgpr_msb 64                       ;  msbs: dst=1 src0=0 src1=0 src2=0
	v_and_b32_e32 v115 /*v371*/, 0xffff, v234
	s_set_vgpr_msb 0x55                     ;  msbs: dst=1 src0=1 src1=1 src2=1
	v_add3_u32 v124 /*v380*/, v124 /*v380*/, v130 /*v386*/, v128 /*v384*/
	v_mul_i32_i24_e32 v128 /*v384*/, v108 /*v364*/, v8 /*v264*/
	v_mul_i32_i24_e32 v130 /*v386*/, v109 /*v365*/, v9 /*v265*/
	s_set_vgpr_msb 4                        ;  msbs: dst=0 src0=0 src1=1 src2=0
	v_and_b32_e32 v234, 0xffff, v70 /*v326*/
	s_set_vgpr_msb 0x44                     ;  msbs: dst=1 src0=0 src1=1 src2=0
	v_and_b32_e32 v70 /*v326*/, 15, v116 /*v372*/
	s_set_vgpr_msb 17                       ;  msbs: dst=0 src0=1 src1=0 src2=1
	v_and_b32_e32 v242, 0xf0f0f0f, v242
	v_mad_i32_i24 v244, v87 /*v343*/, v244, v7 /*v263*/
	s_set_vgpr_msb 0x55                     ;  msbs: dst=1 src0=1 src1=1 src2=1
	v_add3_u32 v128 /*v384*/, v133 /*v389*/, v130 /*v386*/, v128 /*v384*/
	v_mul_i32_i24_e32 v130 /*v386*/, v108 /*v364*/, v97 /*v353*/
	v_mul_i32_i24_e32 v35 /*v291*/, v115 /*v371*/, v35 /*v291*/
	s_set_vgpr_msb 0x44                     ;  msbs: dst=1 src0=0 src1=1 src2=0
	v_mul_i32_i24_e32 v43 /*v299*/, v234, v43 /*v299*/
	v_and_b32_e32 v70 /*v326*/, 0xffff, v70 /*v326*/
	v_and_b32_e32 v116 /*v372*/, 15, v117 /*v373*/
	s_set_vgpr_msb 0x55                     ;  msbs: dst=1 src0=1 src1=1 src2=1
	v_add3_u32 v130 /*v386*/, v137 /*v393*/, v131 /*v387*/, v130 /*v386*/
	v_mul_i32_i24_e32 v131 /*v387*/, v108 /*v364*/, v99 /*v355*/
	s_set_vgpr_msb 0                        ;  msbs: dst=0 src0=0 src1=0 src2=0
	v_lshrrev_b16 v235, 8, v235
	s_set_vgpr_msb 64                       ;  msbs: dst=1 src0=0 src1=0 src2=0
	v_dual_lshrrev_b32 v118 /*v374*/, 4, v243 :: v_dual_bitop2_b32 v64 /*v320*/, 15, v153 bitop3:0x40
	s_set_vgpr_msb 0x55                     ;  msbs: dst=1 src0=1 src1=1 src2=1
	v_mul_i32_i24_e32 v7 /*v263*/, v17 /*v273*/, v53 /*v309*/
	v_add3_u32 v127 /*v383*/, v127 /*v383*/, v132 /*v388*/, v131 /*v387*/
	v_mul_i32_i24_e32 v131 /*v387*/, v111 /*v367*/, v8 /*v264*/
	v_mul_i32_i24_e32 v132 /*v388*/, v112 /*v368*/, v9 /*v265*/
	s_set_vgpr_msb 0x44                     ;  msbs: dst=1 src0=0 src1=1 src2=0
	v_mul_i32_i24_e32 v8 /*v264*/, v254, v8 /*v264*/
	s_set_vgpr_msb 0x45                     ;  msbs: dst=1 src0=1 src1=1 src2=0
	v_mul_i32_i24_e32 v9 /*v265*/, v50 /*v306*/, v9 /*v265*/
	s_set_vgpr_msb 5                        ;  msbs: dst=0 src0=1 src1=1 src2=0
	v_add3_u32 v244, v35 /*v291*/, v43 /*v299*/, v244
	s_set_vgpr_msb 64                       ;  msbs: dst=1 src0=0 src1=0 src2=0
	v_mul_i32_i24_e32 v35 /*v291*/, v207, v205
	s_set_vgpr_msb 0x44                     ;  msbs: dst=1 src0=0 src1=1 src2=0
	v_and_b32_e32 v116 /*v372*/, 0xffff, v116 /*v372*/
	s_set_vgpr_msb 0                        ;  msbs: dst=0 src0=0 src1=0 src2=0
	v_lshrrev_b16 v242, 8, v242
	s_set_vgpr_msb 20                       ;  msbs: dst=0 src0=0 src1=1 src2=1
	v_add3_u32 v236, v236, v9 /*v265*/, v8 /*v264*/
	s_set_vgpr_msb 0x44                     ;  msbs: dst=1 src0=0 src1=1 src2=0
	v_mul_i32_i24_e32 v8 /*v264*/, v254, v97 /*v353*/
	s_set_vgpr_msb 0x45                     ;  msbs: dst=1 src0=1 src1=1 src2=0
	v_mul_i32_i24_e32 v9 /*v265*/, v50 /*v306*/, v98 /*v354*/
	s_set_vgpr_msb 0                        ;  msbs: dst=0 src0=0 src1=0 src2=0
	v_and_b32_e32 v235, 0xffff, v235
	v_bfe_i32 v255, v255, 8, 8
	s_set_vgpr_msb 0x55                     ;  msbs: dst=1 src0=1 src1=1 src2=1
	v_mad_i32_i24 v139 /*v395*/, v90 /*v346*/, v68 /*v324*/, v139 /*v395*/
	v_bfe_i32 v4 /*v260*/, v4 /*v260*/, 8, 8
	v_add3_u32 v3 /*v259*/, v3 /*v259*/, v9 /*v265*/, v8 /*v264*/
	v_mul_i32_i24_e32 v9 /*v265*/, v50 /*v306*/, v100 /*v356*/
	s_set_vgpr_msb 0x44                     ;  msbs: dst=1 src0=0 src1=1 src2=0
	v_mul_i32_i24_e32 v50 /*v306*/, v254, v99 /*v355*/
	s_set_vgpr_msb 64                       ;  msbs: dst=1 src0=0 src1=0 src2=0
	v_mul_i32_i24_e32 v43 /*v299*/, v218, v217
	s_set_vgpr_msb 0x54                     ;  msbs: dst=1 src0=0 src1=1 src2=1
	v_mad_i32_i24 v35 /*v291*/, v212, v116 /*v372*/, v35 /*v291*/
	s_set_vgpr_msb 0                        ;  msbs: dst=0 src0=0 src1=0 src2=0
	v_and_b32_e32 v242, 0xffff, v242
	v_mul_i32_i24_e32 v254, v254, v235
	s_set_vgpr_msb 0x55                     ;  msbs: dst=1 src0=1 src1=1 src2=1
	v_add3_u32 v9 /*v265*/, v45 /*v301*/, v9 /*v265*/, v50 /*v306*/
	s_set_vgpr_msb 0x41                     ;  msbs: dst=1 src0=1 src1=0 src2=0
	v_mul_i32_i24_e32 v45 /*v301*/, v14 /*v270*/, v229
	s_set_vgpr_msb 0x55                     ;  msbs: dst=1 src0=1 src1=1 src2=1
	v_mul_i32_i24_e32 v50 /*v306*/, v16 /*v272*/, v39 /*v295*/
	v_add3_u32 v134 /*v390*/, v139 /*v395*/, v134 /*v390*/, v138 /*v394*/
	s_set_vgpr_msb 64                       ;  msbs: dst=1 src0=0 src1=0 src2=0
	v_bfe_i32 v138 /*v394*/, v146, 0, 8
	s_set_vgpr_msb 0                        ;  msbs: dst=0 src0=0 src1=0 src2=0
	v_bfe_i32 v146, v146, 16, 8
	s_set_vgpr_msb 0x55                     ;  msbs: dst=1 src0=1 src1=1 src2=1
	v_mad_i32_i24 v45 /*v301*/, v15 /*v271*/, v70 /*v326*/, v45 /*v301*/
	s_set_vgpr_msb 0                        ;  msbs: dst=0 src0=0 src1=0 src2=0
	v_mad_i32_i24 v154, v154, v234, v254
	s_set_vgpr_msb 5                        ;  msbs: dst=0 src0=1 src1=1 src2=0
	v_mul_i32_i24_e32 v254, v4 /*v260*/, v70 /*v326*/
	s_set_vgpr_msb 64                       ;  msbs: dst=1 src0=0 src1=0 src2=0
	v_and_b32_e32 v94 /*v350*/, 15, v151
	s_set_vgpr_msb 0                        ;  msbs: dst=0 src0=0 src1=0 src2=0
	v_bfe_u32 v240, v151, 16, 4
	s_set_vgpr_msb 0x55                     ;  msbs: dst=1 src0=1 src1=1 src2=1
	v_add3_u32 v7 /*v263*/, v50 /*v306*/, v7 /*v263*/, v45 /*v301*/
	s_set_vgpr_msb 64                       ;  msbs: dst=1 src0=0 src1=0 src2=0
	v_mul_i32_i24_e32 v45 /*v301*/, v213, v210
	s_set_vgpr_msb 0x44                     ;  msbs: dst=1 src0=0 src1=1 src2=0
	v_lshrrev_b16 v50 /*v306*/, 8, v118 /*v374*/
	v_bfe_u32 v68 /*v324*/, v153, 16, 4
	s_set_vgpr_msb 17                       ;  msbs: dst=0 src0=1 src1=0 src2=1
	v_add3_u32 v253, v0 /*v256*/, v253, v69 /*v325*/
	s_set_vgpr_msb 64                       ;  msbs: dst=1 src0=0 src1=0 src2=0
	v_ashrrev_i32_e32 v69 /*v325*/, 24, v132
	s_set_vgpr_msb 0x55                     ;  msbs: dst=1 src0=1 src1=1 src2=1
	v_add3_u32 v35 /*v291*/, v43 /*v299*/, v45 /*v301*/, v35 /*v291*/
	v_and_b32_e32 v45 /*v301*/, 15, v50 /*v306*/
	s_set_vgpr_msb 64                       ;  msbs: dst=1 src0=0 src1=0 src2=0
	v_mul_i32_i24_e32 v50 /*v306*/, v255, v242
	v_bfe_i32 v67 /*v323*/, v136, 0, 8
	s_set_vgpr_msb 0                        ;  msbs: dst=0 src0=0 src1=0 src2=0
	v_bfe_i32 v136, v136, 16, 8
	s_set_vgpr_msb 0x44                     ;  msbs: dst=1 src0=0 src1=1 src2=0
	v_bfe_i32 v6 /*v262*/, v138, 0, 8
	v_and_b32_e32 v141 /*v397*/, 0xffff, v45 /*v301*/
	s_set_vgpr_msb 16                       ;  msbs: dst=0 src0=0 src1=0 src2=1
	v_add3_u32 v154, v154, v254, v50 /*v306*/
	s_set_vgpr_msb 5                        ;  msbs: dst=0 src0=1 src1=1 src2=0
	v_mul_i32_i24_e32 v254, v138 /*v394*/, v12 /*v268*/
	s_set_vgpr_msb 0x44                     ;  msbs: dst=1 src0=0 src1=1 src2=0
	v_mul_i32_i24_e32 v50 /*v306*/, v146, v18 /*v274*/
	v_mul_i32_i24_e32 v117 /*v373*/, v136, v18 /*v274*/
	s_set_vgpr_msb 0                        ;  msbs: dst=0 src0=0 src1=0 src2=0
	v_bfe_i32 v138, v138, 16, 8
	s_set_vgpr_msb 64                       ;  msbs: dst=1 src0=0 src1=0 src2=0
	v_mul_i32_i24_e32 v118 /*v374*/, v196, v198
	s_set_vgpr_msb 0x44                     ;  msbs: dst=1 src0=0 src1=1 src2=0
	v_mul_i32_i24_e32 v43 /*v299*/, v200, v11 /*v267*/
	s_set_vgpr_msb 17                       ;  msbs: dst=0 src0=1 src1=0 src2=1
	v_add3_u32 v254, v47 /*v303*/, v254, v50 /*v306*/
	s_set_vgpr_msb 0x45                     ;  msbs: dst=1 src0=1 src1=1 src2=0
	v_mul_i32_i24_e32 v47 /*v303*/, v138 /*v394*/, v94 /*v350*/
	s_set_vgpr_msb 64                       ;  msbs: dst=1 src0=0 src1=0 src2=0
	v_mul_i32_i24_e32 v50 /*v306*/, v146, v240
	s_set_vgpr_msb 0x55                     ;  msbs: dst=1 src0=1 src1=1 src2=1
	v_mul_i32_i24_e32 v45 /*v301*/, v107 /*v363*/, v141 /*v397*/
	v_add3_u32 v131 /*v387*/, v136 /*v392*/, v132 /*v388*/, v131 /*v387*/
	v_mul_i32_i24_e32 v132 /*v388*/, v111 /*v367*/, v97 /*v353*/
	v_mul_i32_i24_e32 v133 /*v389*/, v112 /*v368*/, v98 /*v354*/
	v_add3_u32 v47 /*v303*/, v63 /*v319*/, v47 /*v303*/, v50 /*v306*/
	v_mul_i32_i24_e32 v50 /*v306*/, v138 /*v394*/, v64 /*v320*/
	s_set_vgpr_msb 0x44                     ;  msbs: dst=1 src0=0 src1=1 src2=0
	v_mul_i32_i24_e32 v63 /*v319*/, v146, v68 /*v324*/
	s_set_vgpr_msb 0x55                     ;  msbs: dst=1 src0=1 src1=1 src2=1
	v_add3_u32 v43 /*v299*/, v118 /*v374*/, v43 /*v299*/, v45 /*v301*/
	s_set_vgpr_msb 0x44                     ;  msbs: dst=1 src0=0 src1=1 src2=0
	v_mul_i32_i24_e32 v118 /*v374*/, v138, v18 /*v274*/
	s_set_vgpr_msb 0x55                     ;  msbs: dst=1 src0=1 src1=1 src2=1
	v_add3_u32 v129 /*v385*/, v129 /*v385*/, v133 /*v389*/, v132 /*v388*/
	v_mul_i32_i24_e32 v132 /*v388*/, v111 /*v367*/, v99 /*v355*/
	v_add3_u32 v50 /*v306*/, v120 /*v376*/, v50 /*v306*/, v63 /*v319*/
	v_mul_i32_i24_e32 v63 /*v319*/, v67 /*v323*/, v12 /*v268*/
	v_mul_i32_i24_e32 v133 /*v389*/, v112 /*v368*/, v100 /*v356*/
	s_set_vgpr_msb 0x44                     ;  msbs: dst=1 src0=0 src1=1 src2=0
	v_mul_i32_i24_e32 v120 /*v376*/, v138, v68 /*v324*/
	s_set_vgpr_msb 0x45                     ;  msbs: dst=1 src0=1 src1=1 src2=0
	v_mul_i32_i24_e32 v113 /*v369*/, v10 /*v266*/, v12 /*v268*/
	s_set_vgpr_msb 0x44                     ;  msbs: dst=1 src0=0 src1=1 src2=0
	v_mul_i32_i24_e32 v60 /*v316*/, v234, v60 /*v316*/
	s_set_vgpr_msb 0x55                     ;  msbs: dst=1 src0=1 src1=1 src2=1
	v_add3_u32 v44 /*v300*/, v44 /*v300*/, v63 /*v319*/, v117 /*v373*/
	v_mul_i32_i24_e32 v63 /*v319*/, v67 /*v323*/, v94 /*v350*/
	s_set_vgpr_msb 64                       ;  msbs: dst=1 src0=0 src1=0 src2=0
	v_mul_i32_i24_e32 v117 /*v373*/, v136, v240
	s_set_vgpr_msb 0x55                     ;  msbs: dst=1 src0=1 src1=1 src2=1
	v_add3_u32 v132 /*v388*/, v134 /*v390*/, v133 /*v389*/, v132 /*v388*/
	s_set_vgpr_msb 64                       ;  msbs: dst=1 src0=0 src1=0 src2=0
	v_bfe_i32 v133 /*v389*/, v140, 0, 8
	s_set_vgpr_msb 0                        ;  msbs: dst=0 src0=0 src1=0 src2=0
	v_bfe_i32 v140, v140, 16, 8
	s_set_vgpr_msb 0x55                     ;  msbs: dst=1 src0=1 src1=1 src2=1
	v_add3_u32 v36 /*v292*/, v36 /*v292*/, v114 /*v370*/, v113 /*v369*/
	s_set_vgpr_msb 20                       ;  msbs: dst=0 src0=0 src1=1 src2=1
	v_add3_u32 v250, v250, v63 /*v319*/, v117 /*v373*/
	s_set_vgpr_msb 0x45                     ;  msbs: dst=1 src0=1 src1=1 src2=0
	v_mul_i32_i24_e32 v63 /*v319*/, v67 /*v323*/, v64 /*v320*/
	s_set_vgpr_msb 0x44                     ;  msbs: dst=1 src0=0 src1=1 src2=0
	v_mul_i32_i24_e32 v117 /*v373*/, v136, v68 /*v324*/
	v_bfe_i32 v113 /*v369*/, v142, 0, 8
	s_set_vgpr_msb 0                        ;  msbs: dst=0 src0=0 src1=0 src2=0
	v_bfe_i32 v142, v142, 16, 8
	s_set_vgpr_msb 0x44                     ;  msbs: dst=1 src0=0 src1=1 src2=0
	v_mul_i32_i24_e32 v71 /*v327*/, v234, v71 /*v327*/
	v_mul_i32_i24_e32 v74 /*v330*/, v234, v74 /*v330*/
	s_set_vgpr_msb 0x55                     ;  msbs: dst=1 src0=1 src1=1 src2=1
	v_add3_u32 v63 /*v319*/, v119 /*v375*/, v63 /*v319*/, v117 /*v373*/
	v_mul_i32_i24_e32 v117 /*v373*/, v6 /*v262*/, v12 /*v268*/
	s_set_vgpr_msb 64                       ;  msbs: dst=1 src0=0 src1=0 src2=0
	v_mul_i32_i24_e32 v119 /*v375*/, v138, v240
	s_set_vgpr_msb 0x44                     ;  msbs: dst=1 src0=0 src1=1 src2=0
	v_mul_i32_i24_e32 v77 /*v333*/, v234, v77 /*v333*/
	v_mul_i32_i24_e32 v82 /*v338*/, v234, v82 /*v338*/
	s_set_vgpr_msb 4                        ;  msbs: dst=0 src0=0 src1=1 src2=0
	v_mul_i32_i24_e32 v234, v234, v88 /*v344*/
	s_set_vgpr_msb 0x55                     ;  msbs: dst=1 src0=1 src1=1 src2=1
	v_add3_u32 v118 /*v374*/, v121 /*v377*/, v117 /*v373*/, v118 /*v374*/
	v_mul_i32_i24_e32 v117 /*v373*/, v6 /*v262*/, v94 /*v350*/
	s_set_vgpr_msb 0x44                     ;  msbs: dst=1 src0=0 src1=1 src2=0
	v_mul_i32_i24_e32 v121 /*v377*/, v140, v18 /*v274*/
	s_set_vgpr_msb 0x45                     ;  msbs: dst=1 src0=1 src1=1 src2=0
	v_mul_i32_i24_e32 v88 /*v344*/, v13 /*v269*/, v97 /*v353*/
	s_set_vgpr_msb 5                        ;  msbs: dst=0 src0=1 src1=1 src2=0
	v_mad_i32_i24 v234, v42 /*v298*/, v90 /*v346*/, v234
	s_set_vgpr_msb 0x55                     ;  msbs: dst=1 src0=1 src1=1 src2=1
	v_mul_i32_i24_e32 v90 /*v346*/, v10 /*v266*/, v94 /*v350*/
	v_add3_u32 v119 /*v375*/, v122 /*v378*/, v117 /*v373*/, v119 /*v375*/
	v_mul_i32_i24_e32 v117 /*v373*/, v6 /*v262*/, v64 /*v320*/
	s_set_vgpr_msb 64                       ;  msbs: dst=1 src0=0 src1=0 src2=0
	v_mul_i32_i24_e32 v122 /*v378*/, v140, v240
	v_bfe_i32 v66 /*v322*/, v144, 0, 8
	s_set_vgpr_msb 0                        ;  msbs: dst=0 src0=0 src1=0 src2=0
	v_bfe_i32 v144, v144, 16, 8
	s_set_vgpr_msb 0x55                     ;  msbs: dst=1 src0=1 src1=1 src2=1
	v_add3_u32 v65 /*v321*/, v65 /*v321*/, v88 /*v344*/, v90 /*v346*/
	v_add3_u32 v120 /*v376*/, v125 /*v381*/, v117 /*v373*/, v120 /*v376*/
	v_mul_i32_i24_e32 v117 /*v373*/, v133 /*v389*/, v12 /*v268*/
	s_set_vgpr_msb 64                       ;  msbs: dst=1 src0=0 src1=0 src2=0
	v_mul_i32_i24_e32 v125 /*v381*/, v142, v240
	s_set_vgpr_msb 0x45                     ;  msbs: dst=1 src0=1 src1=1 src2=0
	v_mul_i32_i24_e32 v88 /*v344*/, v13 /*v269*/, v99 /*v355*/
	s_set_vgpr_msb 0x41                     ;  msbs: dst=1 src0=1 src1=0 src2=0
	v_mul_i32_i24_e32 v13 /*v269*/, v13 /*v269*/, v235
	s_set_vgpr_msb 0                        ;  msbs: dst=0 src0=0 src1=0 src2=0
	v_and_b32_e32 v243, 0xf0f0f0f, v243
	s_set_vgpr_msb 0x55                     ;  msbs: dst=1 src0=1 src1=1 src2=1
	v_add3_u32 v121 /*v377*/, v126 /*v382*/, v117 /*v373*/, v121 /*v377*/
	v_mul_i32_i24_e32 v117 /*v373*/, v133 /*v389*/, v94 /*v350*/
	s_set_vgpr_msb 0x44                     ;  msbs: dst=1 src0=0 src1=1 src2=0
	v_mul_i32_i24_e32 v126 /*v382*/, v142, v68 /*v324*/
	s_set_vgpr_msb 0x45                     ;  msbs: dst=1 src0=1 src1=1 src2=0
	v_mul_i32_i24_e32 v90 /*v346*/, v10 /*v266*/, v64 /*v320*/
	s_set_vgpr_msb 16                       ;  msbs: dst=0 src0=0 src1=0 src2=1
	v_add3_u32 v244, v249, v244, v13 /*v269*/
	v_mul_i32_i24_e32 v249, v219, v214
	s_set_vgpr_msb 0x55                     ;  msbs: dst=1 src0=1 src1=1 src2=1
	v_add3_u32 v122 /*v378*/, v123 /*v379*/, v117 /*v373*/, v122 /*v378*/
	v_mul_i32_i24_e32 v117 /*v373*/, v133 /*v389*/, v64 /*v320*/
	s_set_vgpr_msb 0x44                     ;  msbs: dst=1 src0=0 src1=1 src2=0
	v_mul_i32_i24_e32 v123 /*v379*/, v140, v68 /*v324*/
	s_set_vgpr_msb 64                       ;  msbs: dst=1 src0=0 src1=0 src2=0
	v_mul_i32_i24_e32 v13 /*v269*/, v231, v242
	s_set_vgpr_msb 20                       ;  msbs: dst=0 src0=0 src1=1 src2=1
	v_add3_u32 v253, v253, v88 /*v344*/, v90 /*v346*/
	s_set_vgpr_msb 0x45                     ;  msbs: dst=1 src0=1 src1=1 src2=0
	v_mul_i32_i24_e32 v88 /*v344*/, v52 /*v308*/, v94 /*v350*/
	s_set_vgpr_msb 0                        ;  msbs: dst=0 src0=0 src1=0 src2=0
	v_lshrrev_b16 v243, 8, v243
	s_set_vgpr_msb 0x55                     ;  msbs: dst=1 src0=1 src1=1 src2=1
	v_add3_u32 v123 /*v379*/, v124 /*v380*/, v117 /*v373*/, v123 /*v379*/
	v_mul_i32_i24_e32 v117 /*v373*/, v113 /*v369*/, v12 /*v268*/
	s_set_vgpr_msb 0x44                     ;  msbs: dst=1 src0=0 src1=1 src2=0
	v_mul_i32_i24_e32 v124 /*v380*/, v142, v18 /*v274*/
	s_set_vgpr_msb 0                        ;  msbs: dst=0 src0=0 src1=0 src2=0
	v_mad_i32_i24 v249, v230, v91, v249
	s_set_vgpr_msb 0x55                     ;  msbs: dst=1 src0=1 src1=1 src2=1
	v_mad_i32_i24 v13 /*v269*/, v20 /*v276*/, v40 /*v296*/, v13 /*v269*/
	v_bfe_i32 v5 /*v261*/, v5 /*v261*/, 8, 8
	s_set_vgpr_msb 0                        ;  msbs: dst=0 src0=0 src1=0 src2=0
	v_bfe_i32 v135, v135, 8, 8
	s_set_vgpr_msb 0x55                     ;  msbs: dst=1 src0=1 src1=1 src2=1
	v_add3_u32 v124 /*v380*/, v128 /*v384*/, v117 /*v373*/, v124 /*v380*/
	v_mul_i32_i24_e32 v117 /*v373*/, v113 /*v369*/, v94 /*v350*/
	s_set_vgpr_msb 17                       ;  msbs: dst=0 src0=1 src1=0 src2=1
	v_add3_u32 v249, v13 /*v269*/, v249, v35 /*v291*/
	s_set_vgpr_msb 64                       ;  msbs: dst=1 src0=0 src1=0 src2=0
	v_mul_i32_i24_e32 v13 /*v269*/, v197, v251
	v_bfe_i32 v0 /*v256*/, v132, 0, 8
	v_mul_i32_i24_e32 v128 /*v384*/, v144, v240
	s_set_vgpr_msb 0x55                     ;  msbs: dst=1 src0=1 src1=1 src2=1
	v_add3_u32 v125 /*v381*/, v130 /*v386*/, v117 /*v373*/, v125 /*v381*/
	v_mul_i32_i24_e32 v117 /*v373*/, v113 /*v369*/, v64 /*v320*/
	v_mul_i32_i24_e32 v35 /*v291*/, v5 /*v261*/, v116 /*v372*/
	;; [unrolled: 1-line block ×3, first 2 shown]
	s_set_vgpr_msb 64                       ;  msbs: dst=1 src0=0 src1=0 src2=0
	v_bfe_u32 v8 /*v264*/, v151, 4, 4
	v_lshrrev_b32_e32 v45 /*v301*/, 28, v151
	s_set_vgpr_msb 0x55                     ;  msbs: dst=1 src0=1 src1=1 src2=1
	v_add3_u32 v126 /*v382*/, v127 /*v383*/, v117 /*v373*/, v126 /*v382*/
	v_mul_i32_i24_e32 v117 /*v373*/, v66 /*v322*/, v12 /*v268*/
	s_set_vgpr_msb 0x44                     ;  msbs: dst=1 src0=0 src1=1 src2=0
	v_mul_i32_i24_e32 v127 /*v383*/, v144, v18 /*v274*/
	v_bfe_u32 v130 /*v386*/, v153, 4, 4
	s_set_vgpr_msb 0x55                     ;  msbs: dst=1 src0=1 src1=1 src2=1
	v_mad_i32_i24 v60 /*v316*/, v42 /*v298*/, v61 /*v317*/, v60 /*v316*/
	s_set_vgpr_msb 64                       ;  msbs: dst=1 src0=0 src1=0 src2=0
	v_ashrrev_i32_e32 v61 /*v317*/, 24, v122
	s_set_vgpr_msb 0x55                     ;  msbs: dst=1 src0=1 src1=1 src2=1
	v_add3_u32 v36 /*v292*/, v36 /*v292*/, v114 /*v370*/, v93 /*v349*/
	v_add3_u32 v127 /*v383*/, v131 /*v387*/, v117 /*v373*/, v127 /*v383*/
	v_mul_i32_i24_e32 v117 /*v373*/, v66 /*v322*/, v94 /*v350*/
	s_set_vgpr_msb 0x41                     ;  msbs: dst=1 src0=1 src1=0 src2=0
	v_mul_i32_i24_e32 v94 /*v350*/, v51 /*v307*/, v240
	v_lshrrev_b32_e32 v131 /*v387*/, 28, v153
	s_set_vgpr_msb 0x45                     ;  msbs: dst=1 src0=1 src1=1 src2=0
	v_mul_i32_i24_e32 v18 /*v274*/, v51 /*v307*/, v18 /*v274*/
	s_set_vgpr_msb 64                       ;  msbs: dst=1 src0=0 src1=0 src2=0
	v_bfe_i32 v114 /*v370*/, v122, 16, 8
	s_set_vgpr_msb 0x55                     ;  msbs: dst=1 src0=1 src1=1 src2=1
	v_add3_u32 v128 /*v384*/, v129 /*v385*/, v117 /*v373*/, v128 /*v384*/
	v_add3_u32 v3 /*v259*/, v3 /*v259*/, v88 /*v344*/, v94 /*v350*/
	s_set_vgpr_msb 64                       ;  msbs: dst=1 src0=0 src1=0 src2=0
	v_and_b32_e32 v88 /*v344*/, 0xffff, v243
	s_set_vgpr_msb 16                       ;  msbs: dst=0 src0=0 src1=0 src2=1
	v_mad_i32_i24 v243, v199, v245, v13 /*v269*/
	s_set_vgpr_msb 0x45                     ;  msbs: dst=1 src0=1 src1=1 src2=0
	v_mul_i32_i24_e32 v117 /*v373*/, v66 /*v322*/, v64 /*v320*/
	s_set_vgpr_msb 0x44                     ;  msbs: dst=1 src0=0 src1=1 src2=0
	v_mul_i32_i24_e32 v129 /*v385*/, v144, v68 /*v324*/
	v_bfe_i32 v94 /*v350*/, v122, 8, 8
	v_mul_i32_i24_e32 v13 /*v269*/, v201, v88 /*v344*/
	s_set_vgpr_msb 0x55                     ;  msbs: dst=1 src0=1 src1=1 src2=1
	v_mul_i32_i24_e32 v51 /*v307*/, v51 /*v307*/, v68 /*v324*/
	v_mad_i32_i24 v71 /*v327*/, v42 /*v298*/, v72 /*v328*/, v71 /*v327*/
	v_add3_u32 v129 /*v385*/, v132 /*v388*/, v117 /*v373*/, v129 /*v385*/
	s_set_vgpr_msb 0x50                     ;  msbs: dst=1 src0=0 src1=0 src2=1
	v_bfe_i32 v132 /*v388*/, v122, 0, 8
	v_mad_i32_i24 v13 /*v269*/, v209, v208, v13 /*v269*/
	s_set_vgpr_msb 5                        ;  msbs: dst=0 src0=1 src1=1 src2=0
	v_mul_i32_i24_e32 v122, v52 /*v308*/, v64 /*v320*/
	s_set_vgpr_msb 64                       ;  msbs: dst=1 src0=0 src1=0 src2=0
	v_bfe_i32 v72 /*v328*/, v124, 0, 8
	s_set_vgpr_msb 0x55                     ;  msbs: dst=1 src0=1 src1=1 src2=1
	v_mad_i32_i24 v74 /*v330*/, v42 /*v298*/, v75 /*v331*/, v74 /*v330*/
	s_set_vgpr_msb 64                       ;  msbs: dst=1 src0=0 src1=0 src2=0
	v_ashrrev_i32_e32 v75 /*v331*/, 24, v124
	s_set_vgpr_msb 17                       ;  msbs: dst=0 src0=1 src1=0 src2=1
	v_add3_u32 v243, v13 /*v269*/, v243, v43 /*v299*/
	s_set_vgpr_msb 0x44                     ;  msbs: dst=1 src0=0 src1=1 src2=0
	v_mul_i32_i24_e32 v13 /*v269*/, v135, v88 /*v344*/
	s_set_vgpr_msb 0x55                     ;  msbs: dst=1 src0=1 src1=1 src2=1
	v_mad_i32_i24 v77 /*v333*/, v42 /*v298*/, v78 /*v334*/, v77 /*v333*/
	v_mad_i32_i24 v82 /*v338*/, v42 /*v298*/, v83 /*v339*/, v82 /*v338*/
	s_set_vgpr_msb 64                       ;  msbs: dst=1 src0=0 src1=0 src2=0
	v_dual_ashrrev_i32 v83 /*v339*/, 24, v126 :: v_dual_ashrrev_i32 v134 /*v390*/, 24, v128
	s_set_vgpr_msb 20                       ;  msbs: dst=0 src0=0 src1=1 src2=1
	v_add3_u32 v154, v154, v35 /*v291*/, v13 /*v269*/
	s_set_vgpr_msb 0x45                     ;  msbs: dst=1 src0=1 src1=1 src2=0
	v_mul_i32_i24_e32 v13 /*v269*/, v0 /*v256*/, v21 /*v277*/
	v_mul_i32_i24_e32 v35 /*v291*/, v69 /*v325*/, v22 /*v278*/
	s_set_vgpr_msb 64                       ;  msbs: dst=1 src0=0 src1=0 src2=0
	v_bfe_i32 v42 /*v298*/, v128, 0, 8
	s_set_vgpr_msb 17                       ;  msbs: dst=0 src0=1 src1=0 src2=1
	v_add3_u32 v122, v9 /*v265*/, v122, v51 /*v307*/
	s_set_vgpr_msb 0x45                     ;  msbs: dst=1 src0=1 src1=1 src2=0
	v_mul_i32_i24_e32 v43 /*v299*/, v69 /*v325*/, v131 /*v387*/
	s_set_vgpr_msb 1                        ;  msbs: dst=0 src0=1 src1=0 src2=0
	v_mul_i32_i24_e32 v120, v34 /*v290*/, v120
	s_set_vgpr_msb 20                       ;  msbs: dst=0 src0=0 src1=1 src2=1
	v_add3_u32 v254, v254, v35 /*v291*/, v13 /*v269*/
	s_set_vgpr_msb 0x45                     ;  msbs: dst=1 src0=1 src1=1 src2=0
	v_mul_i32_i24_e32 v13 /*v269*/, v0 /*v256*/, v8 /*v264*/
	v_mul_i32_i24_e32 v35 /*v291*/, v69 /*v325*/, v45 /*v301*/
	;; [unrolled: 1-line block ×3, first 2 shown]
	s_set_vgpr_msb 1                        ;  msbs: dst=0 src0=1 src1=0 src2=0
	v_mul_i32_i24_e32 v118, v34 /*v290*/, v118
	s_set_vgpr_msb 0x55                     ;  msbs: dst=1 src0=1 src1=1 src2=1
	v_mul_i32_i24_e32 v79 /*v335*/, v41 /*v297*/, v79 /*v335*/
	v_mul_i32_i24_e32 v81 /*v337*/, v34 /*v290*/, v81 /*v337*/
	v_add3_u32 v13 /*v269*/, v47 /*v303*/, v35 /*v291*/, v13 /*v269*/
	v_mul_i32_i24_e32 v35 /*v291*/, v0 /*v256*/, v130 /*v386*/
	v_mul_i32_i24_e32 v47 /*v303*/, v41 /*v297*/, v62 /*v318*/
	s_set_vgpr_msb 5                        ;  msbs: dst=0 src0=1 src1=1 src2=0
	v_add3_u32 v118, v71 /*v327*/, v51 /*v307*/, v118
	s_set_vgpr_msb 0x55                     ;  msbs: dst=1 src0=1 src1=1 src2=1
	v_mul_i32_i24_e32 v51 /*v307*/, v72 /*v328*/, v21 /*v277*/
	v_add3_u32 v77 /*v333*/, v77 /*v333*/, v79 /*v335*/, v81 /*v337*/
	v_add3_u32 v35 /*v291*/, v50 /*v306*/, v43 /*v299*/, v35 /*v291*/
	s_set_vgpr_msb 5                        ;  msbs: dst=0 src0=1 src1=1 src2=0
	v_add3_u32 v120, v60 /*v316*/, v47 /*v303*/, v120
	s_set_vgpr_msb 0x45                     ;  msbs: dst=1 src0=1 src1=1 src2=0
	v_mul_i32_i24_e32 v47 /*v303*/, v132 /*v388*/, v21 /*v277*/
	v_mul_i32_i24_e32 v50 /*v306*/, v61 /*v317*/, v22 /*v278*/
	;; [unrolled: 1-line block ×5, first 2 shown]
	s_set_vgpr_msb 64                       ;  msbs: dst=1 src0=0 src1=0 src2=0
	v_bfe_i32 v78 /*v334*/, v126, 0, 8
	s_set_vgpr_msb 0x55                     ;  msbs: dst=1 src0=1 src1=1 src2=1
	v_add3_u32 v44 /*v300*/, v44 /*v300*/, v50 /*v306*/, v47 /*v303*/
	v_mul_i32_i24_e32 v47 /*v303*/, v132 /*v388*/, v8 /*v264*/
	v_mul_i32_i24_e32 v50 /*v306*/, v61 /*v317*/, v45 /*v301*/
	v_add3_u32 v51 /*v307*/, v118 /*v374*/, v60 /*v316*/, v51 /*v307*/
	v_mul_i32_i24_e32 v60 /*v316*/, v72 /*v328*/, v8 /*v264*/
	v_mul_i32_i24_e32 v62 /*v318*/, v75 /*v331*/, v45 /*v301*/
	;; [unrolled: 1-line block ×3, first 2 shown]
	s_set_vgpr_msb 1                        ;  msbs: dst=0 src0=1 src1=0 src2=0
	v_mul_i32_i24_e32 v116, v34 /*v290*/, v116
	s_set_vgpr_msb 0x55                     ;  msbs: dst=1 src0=1 src1=1 src2=1
	v_add3_u32 v79 /*v335*/, v124 /*v380*/, v81 /*v337*/, v79 /*v335*/
	v_mul_i32_i24_e32 v81 /*v337*/, v42 /*v298*/, v8 /*v264*/
	v_mul_i32_i24_e32 v118 /*v374*/, v134 /*v390*/, v45 /*v301*/
	s_set_vgpr_msb 64                       ;  msbs: dst=1 src0=0 src1=0 src2=0
	v_bfe_i32 v93 /*v349*/, v130, 0, 8
	v_ashrrev_i32_e32 v97 /*v353*/, 24, v130
	s_set_vgpr_msb 20                       ;  msbs: dst=0 src0=0 src1=1 src2=1
	v_add3_u32 v250, v250, v50 /*v306*/, v47 /*v303*/
	s_set_vgpr_msb 0x55                     ;  msbs: dst=1 src0=1 src1=1 src2=1
	v_mul_i32_i24_e32 v47 /*v303*/, v132 /*v388*/, v130 /*v386*/
	v_mul_i32_i24_e32 v50 /*v306*/, v61 /*v317*/, v131 /*v387*/
	v_add3_u32 v60 /*v316*/, v119 /*v375*/, v62 /*v318*/, v60 /*v316*/
	s_set_vgpr_msb 5                        ;  msbs: dst=0 src0=1 src1=1 src2=0
	v_add3_u32 v116, v74 /*v330*/, v64 /*v320*/, v116
	s_set_vgpr_msb 0x55                     ;  msbs: dst=1 src0=1 src1=1 src2=1
	v_mul_i32_i24_e32 v64 /*v320*/, v78 /*v334*/, v21 /*v277*/
	v_mul_i32_i24_e32 v71 /*v327*/, v83 /*v339*/, v22 /*v278*/
	v_add3_u32 v81 /*v337*/, v125 /*v381*/, v118 /*v374*/, v81 /*v337*/
	v_mul_i32_i24_e32 v118 /*v374*/, v42 /*v298*/, v130 /*v386*/
	v_mul_i32_i24_e32 v119 /*v375*/, v134 /*v390*/, v131 /*v387*/
	v_mul_i32_i24_e32 v86 /*v342*/, v41 /*v297*/, v86 /*v342*/
	v_mul_i32_i24_e32 v89 /*v345*/, v34 /*v290*/, v89 /*v345*/
	s_set_vgpr_msb 1                        ;  msbs: dst=0 src0=1 src1=0 src2=0
	v_mul_i32_i24_e32 v240, v19 /*v275*/, v240
	s_set_vgpr_msb 0x45                     ;  msbs: dst=1 src0=1 src1=1 src2=0
	v_mul_i32_i24_e32 v68 /*v324*/, v19 /*v275*/, v68 /*v324*/
	v_mul_i32_i24_e32 v19 /*v275*/, v19 /*v275*/, v49 /*v305*/
	s_set_vgpr_msb 64                       ;  msbs: dst=1 src0=0 src1=0 src2=0
	v_bfe_i32 v117 /*v373*/, v155, 8, 8
	s_set_vgpr_msb 0x45                     ;  msbs: dst=1 src0=1 src1=1 src2=0
	v_mul_i32_i24_e32 v12 /*v268*/, v52 /*v308*/, v12 /*v268*/
	s_set_vgpr_msb 64                       ;  msbs: dst=1 src0=0 src1=0 src2=0
	v_bfe_i32 v43 /*v299*/, v128, 8, 8
	s_set_vgpr_msb 0x55                     ;  msbs: dst=1 src0=1 src1=1 src2=1
	v_add3_u32 v47 /*v303*/, v63 /*v319*/, v50 /*v306*/, v47 /*v303*/
	s_set_vgpr_msb 0                        ;  msbs: dst=0 src0=0 src1=0 src2=0
	v_bfe_i32 v128, v128, 16, 8
	s_set_vgpr_msb 64                       ;  msbs: dst=1 src0=0 src1=0 src2=0
	v_bfe_i32 v50 /*v306*/, v130, 8, 8
	s_set_vgpr_msb 0x45                     ;  msbs: dst=1 src0=1 src1=1 src2=0
	v_mul_i32_i24_e32 v62 /*v318*/, v72 /*v328*/, v130 /*v386*/
	v_mul_i32_i24_e32 v63 /*v319*/, v75 /*v331*/, v131 /*v387*/
	s_set_vgpr_msb 0                        ;  msbs: dst=0 src0=0 src1=0 src2=0
	v_bfe_i32 v130, v130, 16, 8
	s_set_vgpr_msb 0x55                     ;  msbs: dst=1 src0=1 src1=1 src2=1
	v_add3_u32 v64 /*v320*/, v121 /*v377*/, v71 /*v327*/, v64 /*v320*/
	v_mul_i32_i24_e32 v71 /*v327*/, v78 /*v334*/, v8 /*v264*/
	v_mul_i32_i24_e32 v73 /*v329*/, v83 /*v339*/, v45 /*v301*/
	v_add3_u32 v118 /*v374*/, v126 /*v382*/, v119 /*v375*/, v118 /*v374*/
	s_set_vgpr_msb 64                       ;  msbs: dst=1 src0=0 src1=0 src2=0
	v_ashrrev_i32_e32 v119 /*v375*/, 24, v147
	s_set_vgpr_msb 0x55                     ;  msbs: dst=1 src0=1 src1=1 src2=1
	v_add3_u32 v82 /*v338*/, v82 /*v338*/, v86 /*v342*/, v89 /*v345*/
	v_mul_i32_i24_e32 v86 /*v342*/, v93 /*v349*/, v21 /*v277*/
	v_mul_i32_i24_e32 v89 /*v345*/, v97 /*v353*/, v22 /*v278*/
	v_mad_i32_i24 v10 /*v266*/, v10 /*v266*/, v48 /*v304*/, v19 /*v275*/
	v_mul_i32_i24_e32 v106 /*v362*/, v106 /*v362*/, v39 /*v295*/
	s_set_vgpr_msb 0x41                     ;  msbs: dst=1 src0=1 src1=0 src2=0
	v_mul_i32_i24_e32 v105 /*v361*/, v105 /*v361*/, v235
	s_set_vgpr_msb 0x45                     ;  msbs: dst=1 src0=1 src1=1 src2=0
	v_mul_i32_i24_e32 v109 /*v365*/, v109 /*v365*/, v39 /*v295*/
	s_set_vgpr_msb 0x41                     ;  msbs: dst=1 src0=1 src1=0 src2=0
	v_mul_i32_i24_e32 v108 /*v364*/, v108 /*v364*/, v235
	s_set_vgpr_msb 0x45                     ;  msbs: dst=1 src0=1 src1=1 src2=0
	v_mul_i32_i24_e32 v90 /*v346*/, v17 /*v273*/, v21 /*v277*/
	v_mul_i32_i24_e32 v99 /*v355*/, v15 /*v271*/, v26 /*v282*/
	s_set_vgpr_msb 20                       ;  msbs: dst=0 src0=0 src1=1 src2=1
	v_bfe_i32 v155, v132, 8, 8
	v_add3_u32 v236, v236, v12 /*v268*/, v18 /*v274*/
	v_bfe_i32 v132, v132, 16, 8
	s_set_vgpr_msb 64                       ;  msbs: dst=1 src0=0 src1=0 src2=0
	v_bfe_u32 v12 /*v268*/, v151, 12, 4
	s_set_vgpr_msb 0                        ;  msbs: dst=0 src0=0 src1=0 src2=0
	v_bfe_u32 v151, v151, 20, 4
	s_set_vgpr_msb 64                       ;  msbs: dst=1 src0=0 src1=0 src2=0
	v_bfe_i32 v52 /*v308*/, v124, 8, 8
	s_set_vgpr_msb 0                        ;  msbs: dst=0 src0=0 src1=0 src2=0
	v_bfe_i32 v124, v124, 16, 8
	s_set_vgpr_msb 64                       ;  msbs: dst=1 src0=0 src1=0 src2=0
	v_bfe_i32 v9 /*v265*/, v126, 8, 8
	s_set_vgpr_msb 0                        ;  msbs: dst=0 src0=0 src1=0 src2=0
	v_bfe_i32 v126, v126, 16, 8
	s_set_vgpr_msb 0x55                     ;  msbs: dst=1 src0=1 src1=1 src2=1
	v_add3_u32 v62 /*v318*/, v120 /*v376*/, v63 /*v319*/, v62 /*v318*/
	v_mul_i32_i24_e32 v63 /*v319*/, v20 /*v276*/, v22 /*v278*/
	v_add3_u32 v71 /*v327*/, v122 /*v378*/, v73 /*v329*/, v71 /*v327*/
	v_mul_i32_i24_e32 v73 /*v329*/, v78 /*v334*/, v130 /*v386*/
	v_mul_i32_i24_e32 v74 /*v330*/, v83 /*v339*/, v131 /*v387*/
	v_add3_u32 v86 /*v342*/, v127 /*v383*/, v89 /*v345*/, v86 /*v342*/
	v_mul_i32_i24_e32 v89 /*v345*/, v93 /*v349*/, v8 /*v264*/
	v_mul_i32_i24_e32 v121 /*v377*/, v97 /*v353*/, v45 /*v301*/
	v_mul_i32_i24_e32 v21 /*v277*/, v56 /*v312*/, v21 /*v277*/
	v_mul_i32_i24_e32 v22 /*v278*/, v54 /*v310*/, v22 /*v278*/
	s_set_vgpr_msb 20                       ;  msbs: dst=0 src0=0 src1=1 src2=1
	v_add3_u32 v244, v244, v10 /*v266*/, v7 /*v263*/
	s_set_vgpr_msb 0x45                     ;  msbs: dst=1 src0=1 src1=1 src2=0
	v_mul_i32_i24_e32 v10 /*v266*/, v117 /*v373*/, v141 /*v397*/
	v_mul_i32_i24_e32 v96 /*v352*/, v96 /*v352*/, v39 /*v295*/
	s_set_vgpr_msb 0x41                     ;  msbs: dst=1 src0=1 src1=0 src2=0
	v_mul_i32_i24_e32 v95 /*v351*/, v95 /*v351*/, v235
	s_set_vgpr_msb 0x45                     ;  msbs: dst=1 src0=1 src1=1 src2=0
	v_mul_i32_i24_e32 v102 /*v358*/, v102 /*v358*/, v39 /*v295*/
	s_set_vgpr_msb 0x41                     ;  msbs: dst=1 src0=1 src1=0 src2=0
	v_mul_i32_i24_e32 v101 /*v357*/, v101 /*v357*/, v235
	s_set_vgpr_msb 0x45                     ;  msbs: dst=1 src0=1 src1=1 src2=0
	v_mul_i32_i24_e32 v104 /*v360*/, v104 /*v360*/, v39 /*v295*/
	s_set_vgpr_msb 0x41                     ;  msbs: dst=1 src0=1 src1=0 src2=0
	v_mul_i32_i24_e32 v103 /*v359*/, v103 /*v359*/, v235
	s_set_vgpr_msb 0x55                     ;  msbs: dst=1 src0=1 src1=1 src2=1
	v_add3_u32 v77 /*v333*/, v77 /*v333*/, v106 /*v362*/, v105 /*v361*/
	v_mul_i32_i24_e32 v105 /*v361*/, v43 /*v299*/, v26 /*v282*/
	s_set_vgpr_msb 0x44                     ;  msbs: dst=1 src0=0 src1=1 src2=0
	v_mul_i32_i24_e32 v106 /*v362*/, v128, v27 /*v283*/
	s_set_vgpr_msb 0x55                     ;  msbs: dst=1 src0=1 src1=1 src2=1
	v_add3_u32 v82 /*v338*/, v82 /*v338*/, v109 /*v365*/, v108 /*v364*/
	v_mul_i32_i24_e32 v108 /*v364*/, v50 /*v306*/, v26 /*v282*/
	s_set_vgpr_msb 0x44                     ;  msbs: dst=1 src0=0 src1=1 src2=0
	v_mul_i32_i24_e32 v109 /*v365*/, v130, v27 /*v283*/
	v_bfe_u32 v18 /*v274*/, v153, 12, 4
	s_set_vgpr_msb 0                        ;  msbs: dst=0 src0=0 src1=0 src2=0
	v_bfe_u32 v153, v153, 20, 4
	s_set_vgpr_msb 0x55                     ;  msbs: dst=1 src0=1 src1=1 src2=1
	v_add3_u32 v73 /*v329*/, v123 /*v379*/, v74 /*v330*/, v73 /*v329*/
	v_mul_i32_i24_e32 v74 /*v330*/, v14 /*v270*/, v27 /*v283*/
	v_add3_u32 v89 /*v345*/, v128 /*v384*/, v121 /*v377*/, v89 /*v345*/
	v_mul_i32_i24_e32 v121 /*v377*/, v93 /*v349*/, v130 /*v386*/
	v_mul_i32_i24_e32 v122 /*v378*/, v97 /*v353*/, v131 /*v387*/
	v_add3_u32 v36 /*v292*/, v36 /*v292*/, v90 /*v346*/, v99 /*v355*/
	s_set_vgpr_msb 20                       ;  msbs: dst=0 src0=0 src1=1 src2=1
	v_add3_u32 v236, v236, v22 /*v278*/, v21 /*v277*/
	s_set_vgpr_msb 0x45                     ;  msbs: dst=1 src0=1 src1=1 src2=0
	v_mul_i32_i24_e32 v21 /*v277*/, v56 /*v312*/, v8 /*v264*/
	v_mul_i32_i24_e32 v22 /*v278*/, v54 /*v310*/, v45 /*v301*/
	s_set_vgpr_msb 20                       ;  msbs: dst=0 src0=0 src1=1 src2=1
	v_add3_u32 v154, v154, v10 /*v266*/, v46 /*v302*/
	s_set_vgpr_msb 0x44                     ;  msbs: dst=1 src0=0 src1=1 src2=0
	v_mul_i32_i24_e32 v10 /*v266*/, v155, v26 /*v282*/
	v_mul_i32_i24_e32 v46 /*v302*/, v132, v27 /*v283*/
	s_set_vgpr_msb 20                       ;  msbs: dst=0 src0=0 src1=1 src2=1
	v_add3_u32 v120, v120, v96 /*v352*/, v95 /*v351*/
	s_set_vgpr_msb 0x45                     ;  msbs: dst=1 src0=1 src1=1 src2=0
	v_mul_i32_i24_e32 v95 /*v351*/, v94 /*v350*/, v26 /*v282*/
	v_mul_i32_i24_e32 v96 /*v352*/, v114 /*v370*/, v27 /*v283*/
	s_set_vgpr_msb 20                       ;  msbs: dst=0 src0=0 src1=1 src2=1
	v_add3_u32 v118, v118, v102 /*v358*/, v101 /*v357*/
	s_set_vgpr_msb 0x45                     ;  msbs: dst=1 src0=1 src1=1 src2=0
	v_mul_i32_i24_e32 v101 /*v357*/, v52 /*v308*/, v26 /*v282*/
	s_set_vgpr_msb 0x44                     ;  msbs: dst=1 src0=0 src1=1 src2=0
	v_mul_i32_i24_e32 v102 /*v358*/, v124, v27 /*v283*/
	s_set_vgpr_msb 20                       ;  msbs: dst=0 src0=0 src1=1 src2=1
	v_add3_u32 v116, v116, v104 /*v360*/, v103 /*v359*/
	s_set_vgpr_msb 0x45                     ;  msbs: dst=1 src0=1 src1=1 src2=0
	v_mul_i32_i24_e32 v103 /*v359*/, v9 /*v265*/, v26 /*v282*/
	s_set_vgpr_msb 0x44                     ;  msbs: dst=1 src0=0 src1=1 src2=0
	v_mul_i32_i24_e32 v104 /*v360*/, v126, v27 /*v283*/
	s_set_vgpr_msb 0x55                     ;  msbs: dst=1 src0=1 src1=1 src2=1
	v_add3_u32 v79 /*v335*/, v79 /*v335*/, v105 /*v361*/, v106 /*v362*/
	v_mul_i32_i24_e32 v105 /*v361*/, v43 /*v299*/, v12 /*v268*/
	s_set_vgpr_msb 64                       ;  msbs: dst=1 src0=0 src1=0 src2=0
	v_mul_i32_i24_e32 v106 /*v362*/, v128, v151
	s_set_vgpr_msb 0x55                     ;  msbs: dst=1 src0=1 src1=1 src2=1
	v_add3_u32 v86 /*v342*/, v86 /*v342*/, v108 /*v364*/, v109 /*v365*/
	v_mul_i32_i24_e32 v108 /*v364*/, v50 /*v306*/, v12 /*v268*/
	s_set_vgpr_msb 64                       ;  msbs: dst=1 src0=0 src1=0 src2=0
	v_mul_i32_i24_e32 v109 /*v365*/, v130, v151
	s_set_vgpr_msb 0x55                     ;  msbs: dst=1 src0=1 src1=1 src2=1
	v_mul_i32_i24_e32 v26 /*v282*/, v4 /*v260*/, v26 /*v282*/
	v_mul_i32_i24_e32 v27 /*v283*/, v55 /*v311*/, v27 /*v283*/
	v_add3_u32 v121 /*v377*/, v129 /*v385*/, v122 /*v378*/, v121 /*v377*/
	v_add3_u32 v3 /*v259*/, v3 /*v259*/, v22 /*v278*/, v21 /*v277*/
	v_mul_i32_i24_e32 v56 /*v312*/, v56 /*v312*/, v130 /*v386*/
	v_mul_i32_i24_e32 v54 /*v310*/, v54 /*v310*/, v131 /*v387*/
	s_set_vgpr_msb 20                       ;  msbs: dst=0 src0=0 src1=1 src2=1
	v_add3_u32 v254, v254, v10 /*v266*/, v46 /*v302*/
	s_set_vgpr_msb 0x44                     ;  msbs: dst=1 src0=0 src1=1 src2=0
	v_mul_i32_i24_e32 v10 /*v266*/, v155, v12 /*v268*/
	s_set_vgpr_msb 0x55                     ;  msbs: dst=1 src0=1 src1=1 src2=1
	v_add3_u32 v44 /*v300*/, v44 /*v300*/, v95 /*v351*/, v96 /*v352*/
	v_mul_i32_i24_e32 v95 /*v351*/, v94 /*v350*/, v12 /*v268*/
	v_add3_u32 v51 /*v307*/, v51 /*v307*/, v101 /*v357*/, v102 /*v358*/
	v_mul_i32_i24_e32 v101 /*v357*/, v52 /*v308*/, v12 /*v268*/
	;; [unrolled: 2-line block ×4, first 2 shown]
	s_set_vgpr_msb 64                       ;  msbs: dst=1 src0=0 src1=0 src2=0
	v_mul_i32_i24_e32 v106 /*v362*/, v128, v153
	s_set_vgpr_msb 0x55                     ;  msbs: dst=1 src0=1 src1=1 src2=1
	v_add3_u32 v89 /*v345*/, v89 /*v345*/, v108 /*v364*/, v109 /*v365*/
	v_mul_i32_i24_e32 v108 /*v364*/, v50 /*v306*/, v18 /*v274*/
	s_set_vgpr_msb 64                       ;  msbs: dst=1 src0=0 src1=0 src2=0
	v_mul_i32_i24_e32 v109 /*v365*/, v130, v153
	s_set_vgpr_msb 0x55                     ;  msbs: dst=1 src0=1 src1=1 src2=1
	v_add3_u32 v36 /*v292*/, v36 /*v292*/, v74 /*v330*/, v63 /*v319*/
	v_mul_i32_i24_e32 v74 /*v330*/, v15 /*v271*/, v12 /*v268*/
	s_set_vgpr_msb 20                       ;  msbs: dst=0 src0=0 src1=1 src2=1
	v_add3_u32 v236, v236, v26 /*v282*/, v27 /*v283*/
	s_set_vgpr_msb 0x45                     ;  msbs: dst=1 src0=1 src1=1 src2=0
	v_mul_i32_i24_e32 v12 /*v268*/, v4 /*v260*/, v12 /*v268*/
	s_set_vgpr_msb 0x41                     ;  msbs: dst=1 src0=1 src1=0 src2=0
	v_mul_i32_i24_e32 v27 /*v283*/, v55 /*v311*/, v151
	s_set_vgpr_msb 64                       ;  msbs: dst=1 src0=0 src1=0 src2=0
	v_bfe_i32 v76 /*v332*/, v147, 8, 8
	s_set_vgpr_msb 20                       ;  msbs: dst=0 src0=0 src1=1 src2=1
	v_add3_u32 v122, v122, v54 /*v310*/, v56 /*v312*/
	s_set_vgpr_msb 0x55                     ;  msbs: dst=1 src0=1 src1=1 src2=1
	v_add3_u32 v105 /*v361*/, v118 /*v374*/, v105 /*v361*/, v106 /*v362*/
	s_set_vgpr_msb 64                       ;  msbs: dst=1 src0=0 src1=0 src2=0
	v_lshrrev_b32_e32 v118 /*v374*/, 28, v108
	s_set_vgpr_msb 0x55                     ;  msbs: dst=1 src0=1 src1=1 src2=1
	v_add3_u32 v108 /*v364*/, v121 /*v377*/, v108 /*v364*/, v109 /*v365*/
	s_set_vgpr_msb 64                       ;  msbs: dst=1 src0=0 src1=0 src2=0
	v_bfe_i32 v109 /*v365*/, v123, 0, 8
	v_ashrrev_i32_e32 v121 /*v377*/, 24, v123
	s_set_vgpr_msb 0x55                     ;  msbs: dst=1 src0=1 src1=1 src2=1
	v_add3_u32 v3 /*v259*/, v3 /*v259*/, v12 /*v268*/, v27 /*v283*/
	s_set_vgpr_msb 64                       ;  msbs: dst=1 src0=0 src1=0 src2=0
	v_bfe_i32 v12 /*v268*/, v123, 8, 8
	v_bfe_i32 v27 /*v283*/, v123, 16, 8
	s_set_vgpr_msb 5                        ;  msbs: dst=0 src0=1 src1=1 src2=0
	v_mul_i32_i24_e32 v123, v4 /*v260*/, v18 /*v274*/
	s_set_vgpr_msb 0x41                     ;  msbs: dst=1 src0=1 src1=0 src2=0
	v_mul_i32_i24_e32 v4 /*v260*/, v55 /*v311*/, v153
	s_set_vgpr_msb 0x50                     ;  msbs: dst=1 src0=0 src1=0 src2=1
	v_bfe_u32 v120 /*v376*/, v106, 8, 4
	v_bfe_u32 v122 /*v378*/, v106, 24, 4
	v_mul_i32_i24_e32 v46 /*v302*/, v132, v151
	v_bfe_u32 v123 /*v379*/, v108, 8, 4
	v_add3_u32 v4 /*v260*/, v122, v123, v4 /*v260*/
	s_set_vgpr_msb 5                        ;  msbs: dst=0 src0=1 src1=1 src2=0
	v_mul_i32_i24_e32 v122, v76 /*v332*/, v29 /*v285*/
	v_mul_i32_i24_e32 v123, v119 /*v375*/, v30 /*v286*/
	s_set_vgpr_msb 0x45                     ;  msbs: dst=1 src0=1 src1=1 src2=0
	v_mul_i32_i24_e32 v41 /*v297*/, v41 /*v297*/, v91 /*v347*/
	s_set_vgpr_msb 64                       ;  msbs: dst=1 src0=0 src1=0 src2=0
	v_bfe_u32 v91 /*v347*/, v108, 24, 4
	s_set_vgpr_msb 0x55                     ;  msbs: dst=1 src0=1 src1=1 src2=1
	v_add3_u32 v10 /*v266*/, v13 /*v269*/, v10 /*v266*/, v46 /*v302*/
	s_set_vgpr_msb 0x44                     ;  msbs: dst=1 src0=0 src1=1 src2=0
	v_mul_i32_i24_e32 v13 /*v269*/, v155, v18 /*v274*/
	s_set_vgpr_msb 64                       ;  msbs: dst=1 src0=0 src1=0 src2=0
	v_mul_i32_i24_e32 v46 /*v302*/, v132, v153
	s_set_vgpr_msb 0                        ;  msbs: dst=0 src0=0 src1=0 src2=0
	v_add3_u32 v243, v244, v249, v243
	v_add3_u32 v249, v254, v123, v122
	s_set_vgpr_msb 5                        ;  msbs: dst=0 src0=1 src1=1 src2=0
	v_mul_i32_i24_e32 v122, v76 /*v332*/, v120 /*v376*/
	v_mul_i32_i24_e32 v123, v119 /*v375*/, v122 /*v378*/
	s_set_vgpr_msb 0x55                     ;  msbs: dst=1 src0=1 src1=1 src2=1
	v_mul_i32_i24_e32 v34 /*v290*/, v34 /*v290*/, v92 /*v348*/
	v_add3_u32 v13 /*v269*/, v35 /*v291*/, v13 /*v269*/, v46 /*v302*/
	s_set_vgpr_msb 64                       ;  msbs: dst=1 src0=0 src1=0 src2=0
	v_bfe_i32 v92 /*v348*/, v137, 8, 8
	v_ashrrev_i32_e32 v99 /*v355*/, 24, v139
	s_set_vgpr_msb 1                        ;  msbs: dst=0 src0=1 src1=0 src2=0
	v_add3_u32 v254, v10 /*v266*/, v123, v122
	s_set_vgpr_msb 5                        ;  msbs: dst=0 src0=1 src1=1 src2=0
	v_mul_i32_i24_e32 v122, v76 /*v332*/, v123 /*v379*/
	v_mul_i32_i24_e32 v123, v119 /*v375*/, v91 /*v347*/
	s_set_vgpr_msb 20                       ;  msbs: dst=0 src0=0 src1=1 src2=1
	v_add3_u32 v234, v234, v41 /*v297*/, v34 /*v290*/
	s_set_vgpr_msb 0x41                     ;  msbs: dst=1 src0=1 src1=0 src2=0
	v_ashrrev_i32_e32 v34 /*v290*/, 24, v137
	v_mul_i32_i24_e32 v96 /*v352*/, v114 /*v370*/, v151
	s_set_vgpr_msb 64                       ;  msbs: dst=1 src0=0 src1=0 src2=0
	v_bfe_i32 v41 /*v297*/, v139, 8, 8
	s_set_vgpr_msb 0x41                     ;  msbs: dst=1 src0=1 src1=0 src2=0
	v_add3_u32 v10 /*v266*/, v13 /*v269*/, v123, v122
	s_set_vgpr_msb 5                        ;  msbs: dst=0 src0=1 src1=1 src2=0
	v_mul_i32_i24_e32 v122, v138 /*v394*/, v48 /*v304*/
	s_set_vgpr_msb 20                       ;  msbs: dst=0 src0=0 src1=1 src2=1
	v_mul_i32_i24_e32 v123, v146, v49 /*v305*/
	v_add3_u32 v250, v250, v95 /*v351*/, v96 /*v352*/
	s_set_vgpr_msb 0x45                     ;  msbs: dst=1 src0=1 src1=1 src2=0
	v_mul_i32_i24_e32 v95 /*v351*/, v94 /*v350*/, v18 /*v274*/
	s_set_vgpr_msb 0x41                     ;  msbs: dst=1 src0=1 src1=0 src2=0
	v_mul_i32_i24_e32 v96 /*v352*/, v114 /*v370*/, v153
	s_set_vgpr_msb 5                        ;  msbs: dst=0 src0=1 src1=1 src2=0
	v_add3_u32 v154, v37 /*v293*/, v38 /*v294*/, v154
	s_set_vgpr_msb 0                        ;  msbs: dst=0 src0=0 src1=0 src2=0
	v_add3_u32 v120, v120, v122, v123
	s_set_vgpr_msb 5                        ;  msbs: dst=0 src0=1 src1=1 src2=0
	v_mul_i32_i24_e32 v122, v92 /*v348*/, v29 /*v285*/
	v_mul_i32_i24_e32 v123, v34 /*v290*/, v30 /*v286*/
	s_set_vgpr_msb 0x55                     ;  msbs: dst=1 src0=1 src1=1 src2=1
	v_add3_u32 v47 /*v303*/, v47 /*v303*/, v95 /*v351*/, v96 /*v352*/
	s_set_vgpr_msb 64                       ;  msbs: dst=1 src0=0 src1=0 src2=0
	v_mul_i32_i24_e32 v102 /*v358*/, v124, v151
	s_set_vgpr_msb 0x45                     ;  msbs: dst=1 src0=1 src1=1 src2=0
	v_mul_i32_i24_e32 v90 /*v346*/, v16 /*v272*/, v98 /*v354*/
	s_set_vgpr_msb 64                       ;  msbs: dst=1 src0=0 src1=0 src2=0
	v_bfe_i32 v124 /*v380*/, v141, 8, 8
	s_set_vgpr_msb 1                        ;  msbs: dst=0 src0=1 src1=0 src2=0
	v_add3_u32 v146, v44 /*v300*/, v123, v122
	s_set_vgpr_msb 5                        ;  msbs: dst=0 src0=1 src1=1 src2=0
	v_mul_i32_i24_e32 v122, v92 /*v348*/, v120 /*v376*/
	v_mul_i32_i24_e32 v123, v34 /*v290*/, v122 /*v378*/
	s_set_vgpr_msb 0x55                     ;  msbs: dst=1 src0=1 src1=1 src2=1
	v_add3_u32 v60 /*v316*/, v60 /*v316*/, v101 /*v357*/, v102 /*v358*/
	v_mul_i32_i24_e32 v101 /*v357*/, v52 /*v308*/, v18 /*v274*/
	s_set_vgpr_msb 64                       ;  msbs: dst=1 src0=0 src1=0 src2=0
	v_mul_i32_i24_e32 v102 /*v358*/, v124, v153
	s_set_vgpr_msb 17                       ;  msbs: dst=0 src0=1 src1=0 src2=1
	v_add3_u32 v240, v65 /*v321*/, v240, v90 /*v346*/
	s_set_vgpr_msb 0                        ;  msbs: dst=0 src0=0 src1=0 src2=0
	v_add3_u32 v250, v250, v123, v122
	s_set_vgpr_msb 5                        ;  msbs: dst=0 src0=1 src1=1 src2=0
	v_mul_i32_i24_e32 v122, v92 /*v348*/, v123 /*v379*/
	v_mul_i32_i24_e32 v123, v34 /*v290*/, v91 /*v347*/
	s_set_vgpr_msb 0x55                     ;  msbs: dst=1 src0=1 src1=1 src2=1
	v_add3_u32 v62 /*v318*/, v62 /*v318*/, v101 /*v357*/, v102 /*v358*/
	s_set_vgpr_msb 64                       ;  msbs: dst=1 src0=0 src1=0 src2=0
	v_ashrrev_i32_e32 v65 /*v321*/, 24, v141
	s_set_vgpr_msb 0x45                     ;  msbs: dst=1 src0=1 src1=1 src2=0
	v_mul_i32_i24_e32 v16 /*v272*/, v16 /*v272*/, v100 /*v356*/
	s_set_vgpr_msb 0x41                     ;  msbs: dst=1 src0=1 src1=0 src2=0
	v_ashrrev_i32_e32 v100 /*v356*/, 24, v143
	v_add3_u32 v38 /*v294*/, v47 /*v303*/, v123, v122
	s_set_vgpr_msb 5                        ;  msbs: dst=0 src0=1 src1=1 src2=0
	v_mul_i32_i24_e32 v122, v67 /*v323*/, v48 /*v304*/
	s_set_vgpr_msb 4                        ;  msbs: dst=0 src0=0 src1=1 src2=0
	v_mul_i32_i24_e32 v123, v136, v49 /*v305*/
	s_set_vgpr_msb 64                       ;  msbs: dst=1 src0=0 src1=0 src2=0
	v_mul_i32_i24_e32 v104 /*v360*/, v126, v151
	v_bfe_i32 v98 /*v354*/, v143, 8, 8
	s_set_vgpr_msb 20                       ;  msbs: dst=0 src0=0 src1=1 src2=1
	v_add3_u32 v253, v253, v68 /*v324*/, v16 /*v272*/
	s_set_vgpr_msb 64                       ;  msbs: dst=1 src0=0 src1=0 src2=0
	v_mul_i32_i24_e32 v21 /*v277*/, v230, v232
	s_set_vgpr_msb 0                        ;  msbs: dst=0 src0=0 src1=0 src2=0
	v_add3_u32 v118, v118, v122, v123
	s_set_vgpr_msb 5                        ;  msbs: dst=0 src0=1 src1=1 src2=0
	v_mul_i32_i24_e32 v122, v41 /*v297*/, v29 /*v285*/
	v_mul_i32_i24_e32 v123, v99 /*v355*/, v30 /*v286*/
	s_set_vgpr_msb 0x55                     ;  msbs: dst=1 src0=1 src1=1 src2=1
	v_add3_u32 v71 /*v327*/, v71 /*v327*/, v103 /*v359*/, v104 /*v360*/
	v_mul_i32_i24_e32 v103 /*v359*/, v9 /*v265*/, v18 /*v274*/
	s_set_vgpr_msb 64                       ;  msbs: dst=1 src0=0 src1=0 src2=0
	v_mul_i32_i24_e32 v104 /*v360*/, v126, v153
	s_set_vgpr_msb 0x44                     ;  msbs: dst=1 src0=0 src1=1 src2=0
	v_mul_i32_i24_e32 v22 /*v278*/, v231, v29 /*v285*/
	s_set_vgpr_msb 1                        ;  msbs: dst=0 src0=1 src1=0 src2=0
	v_add3_u32 v136, v51 /*v307*/, v123, v122
	s_set_vgpr_msb 5                        ;  msbs: dst=0 src0=1 src1=1 src2=0
	v_mul_i32_i24_e32 v122, v41 /*v297*/, v120 /*v376*/
	v_mul_i32_i24_e32 v123, v99 /*v355*/, v122 /*v378*/
	s_set_vgpr_msb 0x55                     ;  msbs: dst=1 src0=1 src1=1 src2=1
	v_add3_u32 v73 /*v329*/, v73 /*v329*/, v103 /*v359*/, v104 /*v360*/
	v_mul_i32_i24_e32 v8 /*v264*/, v17 /*v273*/, v8 /*v264*/
	v_mul_i32_i24_e32 v17 /*v273*/, v17 /*v273*/, v130 /*v386*/
	;; [unrolled: 1-line block ×3, first 2 shown]
	s_set_vgpr_msb 0x41                     ;  msbs: dst=1 src0=1 src1=0 src2=0
	v_add3_u32 v51 /*v307*/, v60 /*v316*/, v123, v122
	s_set_vgpr_msb 5                        ;  msbs: dst=0 src0=1 src1=1 src2=0
	v_mul_i32_i24_e32 v122, v41 /*v297*/, v123 /*v379*/
	v_mul_i32_i24_e32 v123, v99 /*v355*/, v91 /*v347*/
	s_set_vgpr_msb 64                       ;  msbs: dst=1 src0=0 src1=0 src2=0
	v_bfe_i32 v16 /*v272*/, v145, 8, 8
	s_set_vgpr_msb 20                       ;  msbs: dst=0 src0=0 src1=1 src2=1
	v_add3_u32 v253, v253, v17 /*v273*/, v15 /*v271*/
	s_set_vgpr_msb 64                       ;  msbs: dst=1 src0=0 src1=0 src2=0
	v_bfe_i32 v149 /*v405*/, v105, 8, 8
	s_set_vgpr_msb 0                        ;  msbs: dst=0 src0=0 src1=0 src2=0
	v_ashrrev_i32_e32 v244, 24, v105
	s_set_vgpr_msb 0x41                     ;  msbs: dst=1 src0=1 src1=0 src2=0
	v_add3_u32 v60 /*v316*/, v62 /*v318*/, v123, v122
	s_set_vgpr_msb 5                        ;  msbs: dst=0 src0=1 src1=1 src2=0
	v_mul_i32_i24_e32 v122, v6 /*v262*/, v48 /*v304*/
	s_set_vgpr_msb 4                        ;  msbs: dst=0 src0=0 src1=1 src2=0
	v_mul_i32_i24_e32 v123, v138, v49 /*v305*/
	s_set_vgpr_msb 0x55                     ;  msbs: dst=1 src0=1 src1=1 src2=1
	v_add3_u32 v21 /*v277*/, v36 /*v292*/, v22 /*v278*/, v21 /*v277*/
	s_set_vgpr_msb 64                       ;  msbs: dst=1 src0=0 src1=0 src2=0
	v_bfe_i32 v22 /*v278*/, v105, 0, 8
	v_bfe_i32 v36 /*v292*/, v105, 16, 8
	s_set_vgpr_msb 1                        ;  msbs: dst=0 src0=1 src1=0 src2=0
	v_mul_i32_i24_e32 v105, v14 /*v270*/, v151
	s_set_vgpr_msb 0                        ;  msbs: dst=0 src0=0 src1=0 src2=0
	v_add3_u32 v116, v116, v122, v123
	s_set_vgpr_msb 5                        ;  msbs: dst=0 src0=1 src1=1 src2=0
	v_mul_i32_i24_e32 v122, v124 /*v380*/, v29 /*v285*/
	v_mul_i32_i24_e32 v123, v65 /*v321*/, v30 /*v286*/
	;; [unrolled: 1-line block ×3, first 2 shown]
	s_set_vgpr_msb 1                        ;  msbs: dst=0 src0=1 src1=0 src2=0
	v_mul_i32_i24_e32 v153, v14 /*v270*/, v153
	s_set_vgpr_msb 0x45                     ;  msbs: dst=1 src0=1 src1=1 src2=0
	v_mul_i32_i24_e32 v20 /*v276*/, v20 /*v276*/, v131 /*v387*/
	s_set_vgpr_msb 64                       ;  msbs: dst=1 src0=0 src1=0 src2=0
	v_bfe_i32 v150 /*v406*/, v103, 8, 8
	s_set_vgpr_msb 1                        ;  msbs: dst=0 src0=1 src1=0 src2=0
	v_add3_u32 v138, v64 /*v320*/, v123, v122
	s_set_vgpr_msb 5                        ;  msbs: dst=0 src0=1 src1=1 src2=0
	v_mul_i32_i24_e32 v122, v124 /*v380*/, v120 /*v376*/
	v_mul_i32_i24_e32 v123, v65 /*v321*/, v122 /*v378*/
	s_set_vgpr_msb 64                       ;  msbs: dst=1 src0=0 src1=0 src2=0
	v_dual_ashrrev_i32 v62 /*v318*/, 24, v103 :: v_dual_ashrrev_i32 v67 /*v323*/, 24, v101
	s_set_vgpr_msb 16                       ;  msbs: dst=0 src0=0 src1=0 src2=1
	v_add3_u32 v153, v253, v153, v20 /*v276*/
	v_bfe_i32 v253, v103, 0, 8
	s_set_vgpr_msb 0x41                     ;  msbs: dst=1 src0=1 src1=0 src2=0
	v_add3_u32 v6 /*v262*/, v71 /*v327*/, v123, v122
	s_set_vgpr_msb 5                        ;  msbs: dst=0 src0=1 src1=1 src2=0
	v_mul_i32_i24_e32 v122, v124 /*v380*/, v123 /*v379*/
	v_mul_i32_i24_e32 v123, v65 /*v321*/, v91 /*v347*/
	s_set_vgpr_msb 64                       ;  msbs: dst=1 src0=0 src1=0 src2=0
	v_bfe_i32 v20 /*v276*/, v103, 16, 8
	s_set_vgpr_msb 4                        ;  msbs: dst=0 src0=0 src1=1 src2=0
	v_mul_i32_i24_e32 v103, v255, v29 /*v285*/
	s_set_vgpr_msb 0x41                     ;  msbs: dst=1 src0=1 src1=0 src2=0
	v_dual_ashrrev_i32 v68 /*v324*/, 24, v145 :: v_dual_bitop2_b32 v19 /*v275*/, 15, v106 bitop3:0x40
	v_add3_u32 v64 /*v320*/, v73 /*v329*/, v123, v122
	s_set_vgpr_msb 5                        ;  msbs: dst=0 src0=1 src1=1 src2=0
	v_mul_i32_i24_e32 v122, v133 /*v389*/, v48 /*v304*/
	s_set_vgpr_msb 4                        ;  msbs: dst=0 src0=0 src1=1 src2=0
	v_mul_i32_i24_e32 v123, v140, v49 /*v305*/
	s_set_vgpr_msb 0x44                     ;  msbs: dst=1 src0=0 src1=1 src2=0
	v_bfe_i32 v54 /*v310*/, v134, 0, 8
	v_bfe_i32 v90 /*v346*/, v134, 8, 8
	v_mul_i32_i24_e32 v95 /*v351*/, v218, v30 /*v286*/
	v_bfe_i32 v151 /*v407*/, v101, 8, 8
	s_set_vgpr_msb 1                        ;  msbs: dst=0 src0=1 src1=0 src2=0
	v_add3_u32 v140, v77 /*v333*/, v122, v123
	s_set_vgpr_msb 5                        ;  msbs: dst=0 src0=1 src1=1 src2=0
	v_mul_i32_i24_e32 v122, v98 /*v354*/, v29 /*v285*/
	v_mul_i32_i24_e32 v123, v100 /*v356*/, v30 /*v286*/
	s_set_vgpr_msb 64                       ;  msbs: dst=1 src0=0 src1=0 src2=0
	v_bfe_i32 v56 /*v312*/, v147, 0, 8
	s_set_vgpr_msb 0                        ;  msbs: dst=0 src0=0 src1=0 src2=0
	v_bfe_i32 v147, v147, 16, 8
	s_set_vgpr_msb 64                       ;  msbs: dst=1 src0=0 src1=0 src2=0
	v_bfe_u32 v7 /*v263*/, v106, 16, 4
	v_dual_ashrrev_i32 v135 /*v391*/, 24, v134 :: v_dual_bitop2_b32 v35 /*v291*/, 15, v108 bitop3:0x40
	s_set_vgpr_msb 0x41                     ;  msbs: dst=1 src0=1 src1=0 src2=0
	v_add3_u32 v71 /*v327*/, v79 /*v335*/, v123, v122
	s_set_vgpr_msb 5                        ;  msbs: dst=0 src0=1 src1=1 src2=0
	v_mul_i32_i24_e32 v122, v98 /*v354*/, v120 /*v376*/
	v_mul_i32_i24_e32 v123, v100 /*v356*/, v122 /*v378*/
	s_set_vgpr_msb 64                       ;  msbs: dst=1 src0=0 src1=0 src2=0
	v_bfe_u32 v129 /*v385*/, v108, 16, 4
	v_bfe_i32 v46 /*v302*/, v137, 0, 8
	s_set_vgpr_msb 0                        ;  msbs: dst=0 src0=0 src1=0 src2=0
	v_bfe_i32 v137, v137, 16, 8
	s_wait_dscnt 0x2
	s_set_vgpr_msb 64                       ;  msbs: dst=1 src0=0 src1=0 src2=0
	v_bfe_i32 v133 /*v389*/, v99, 8, 8
	s_set_vgpr_msb 0x41                     ;  msbs: dst=1 src0=1 src1=0 src2=0
	v_add3_u32 v73 /*v329*/, v81 /*v337*/, v123, v122
	s_set_vgpr_msb 5                        ;  msbs: dst=0 src0=1 src1=1 src2=0
	v_mul_i32_i24_e32 v122, v98 /*v354*/, v123 /*v379*/
	v_mul_i32_i24_e32 v123, v100 /*v356*/, v91 /*v347*/
	s_set_vgpr_msb 64                       ;  msbs: dst=1 src0=0 src1=0 src2=0
	v_ashrrev_i32_e32 v79 /*v335*/, 24, v99
	v_bfe_i32 v125 /*v381*/, v139, 0, 8
	s_set_vgpr_msb 0                        ;  msbs: dst=0 src0=0 src1=0 src2=0
	v_bfe_i32 v139, v139, 16, 8
	s_wait_dscnt 0x1
	s_set_vgpr_msb 64                       ;  msbs: dst=1 src0=0 src1=0 src2=0
	v_bfe_i32 v152 /*v408*/, v97, 8, 8
	s_set_vgpr_msb 0x41                     ;  msbs: dst=1 src0=1 src1=0 src2=0
	v_add3_u32 v77 /*v333*/, v105 /*v361*/, v123, v122
	s_set_vgpr_msb 5                        ;  msbs: dst=0 src0=1 src1=1 src2=0
	v_mul_i32_i24_e32 v122, v113 /*v369*/, v48 /*v304*/
	s_set_vgpr_msb 4                        ;  msbs: dst=0 src0=0 src1=1 src2=0
	v_mul_i32_i24_e32 v123, v142, v49 /*v305*/
	s_set_vgpr_msb 64                       ;  msbs: dst=1 src0=0 src1=0 src2=0
	v_bfe_i32 v45 /*v301*/, v97, 16, 8
	v_bfe_i32 v126 /*v382*/, v141, 0, 8
	s_set_vgpr_msb 0                        ;  msbs: dst=0 src0=0 src1=0 src2=0
	v_bfe_i32 v141, v141, 16, 8
	s_wait_dscnt 0x0
	s_set_vgpr_msb 64                       ;  msbs: dst=1 src0=0 src1=0 src2=0
	v_bfe_i32 v153 /*v409*/, v95, 8, 8
	s_set_vgpr_msb 1                        ;  msbs: dst=0 src0=1 src1=0 src2=0
	v_add3_u32 v142, v82 /*v338*/, v122, v123
	s_set_vgpr_msb 5                        ;  msbs: dst=0 src0=1 src1=1 src2=0
	v_mul_i32_i24_e32 v122, v16 /*v272*/, v29 /*v285*/
	s_set_vgpr_msb 0x45                     ;  msbs: dst=1 src0=1 src1=1 src2=0
	v_mul_i32_i24_e32 v29 /*v285*/, v57 /*v313*/, v30 /*v286*/
	s_set_vgpr_msb 5                        ;  msbs: dst=0 src0=1 src1=1 src2=0
	v_mul_i32_i24_e32 v123, v68 /*v324*/, v30 /*v286*/
	s_set_vgpr_msb 64                       ;  msbs: dst=1 src0=0 src1=0 src2=0
	v_bfe_i32 v30 /*v286*/, v101, 16, 8
	v_bfe_i32 v127 /*v383*/, v143, 0, 8
	s_set_vgpr_msb 4                        ;  msbs: dst=0 src0=0 src1=1 src2=0
	v_bfe_i32 v143, v143, 16, 8
	v_add3_u32 v103, v236, v29 /*v285*/, v103
	v_mul_i32_i24_e32 v236, v255, v120 /*v376*/
	s_set_vgpr_msb 0x45                     ;  msbs: dst=1 src0=1 src1=1 src2=0
	v_mul_i32_i24_e32 v29 /*v285*/, v57 /*v313*/, v122 /*v378*/
	s_set_vgpr_msb 0x41                     ;  msbs: dst=1 src0=1 src1=0 src2=0
	v_add3_u32 v81 /*v337*/, v86 /*v342*/, v123, v122
	s_set_vgpr_msb 5                        ;  msbs: dst=0 src0=1 src1=1 src2=0
	v_mul_i32_i24_e32 v122, v16 /*v272*/, v120 /*v376*/
	v_mul_i32_i24_e32 v123, v68 /*v324*/, v122 /*v378*/
	s_set_vgpr_msb 64                       ;  msbs: dst=1 src0=0 src1=0 src2=0
	v_bfe_i32 v128 /*v384*/, v145, 0, 8
	s_set_vgpr_msb 5                        ;  msbs: dst=0 src0=1 src1=1 src2=0
	v_add3_u32 v236, v3 /*v259*/, v29 /*v285*/, v236
	s_set_vgpr_msb 64                       ;  msbs: dst=1 src0=0 src1=0 src2=0
	v_bfe_i32 v3 /*v259*/, v101, 0, 8
	s_set_vgpr_msb 4                        ;  msbs: dst=0 src0=0 src1=1 src2=0
	v_mul_i32_i24_e32 v101, v255, v123 /*v379*/
	s_set_vgpr_msb 5                        ;  msbs: dst=0 src0=1 src1=1 src2=0
	v_mul_i32_i24_e32 v255, v57 /*v313*/, v91 /*v347*/
	s_set_vgpr_msb 0x41                     ;  msbs: dst=1 src0=1 src1=0 src2=0
	v_add3_u32 v82 /*v338*/, v89 /*v345*/, v123, v122
	v_ashrrev_i32_e32 v89 /*v345*/, 24, v97
	s_set_vgpr_msb 5                        ;  msbs: dst=0 src0=1 src1=1 src2=0
	v_mul_i32_i24_e32 v122, v16 /*v272*/, v123 /*v379*/
	v_mul_i32_i24_e32 v123, v68 /*v324*/, v91 /*v347*/
	s_set_vgpr_msb 1                        ;  msbs: dst=0 src0=1 src1=0 src2=0
	v_add3_u32 v101, v4 /*v260*/, v255, v101
	s_set_vgpr_msb 4                        ;  msbs: dst=0 src0=0 src1=1 src2=0
	v_mul_i32_i24_e32 v255, v247, v54 /*v310*/
	s_set_vgpr_msb 0x45                     ;  msbs: dst=1 src0=1 src1=1 src2=0
	v_mul_i32_i24_e32 v4 /*v260*/, v115 /*v371*/, v90 /*v346*/
	s_set_vgpr_msb 0x44                     ;  msbs: dst=1 src0=0 src1=1 src2=0
	v_mul_i32_i24_e32 v29 /*v285*/, v139, v129 /*v385*/
	s_set_vgpr_msb 0x41                     ;  msbs: dst=1 src0=1 src1=0 src2=0
	v_add3_u32 v86 /*v342*/, v108 /*v364*/, v123, v122
	s_set_vgpr_msb 5                        ;  msbs: dst=0 src0=1 src1=1 src2=0
	v_mul_i32_i24_e32 v122, v66 /*v322*/, v48 /*v304*/
	s_set_vgpr_msb 4                        ;  msbs: dst=0 src0=0 src1=1 src2=0
	v_mul_i32_i24_e32 v123, v144, v49 /*v305*/
	s_set_vgpr_msb 16                       ;  msbs: dst=0 src0=0 src1=0 src2=1
	v_add3_u32 v154, v154, v255, v4 /*v260*/
	s_set_vgpr_msb 4                        ;  msbs: dst=0 src0=0 src1=1 src2=0
	v_mul_i32_i24_e32 v255, v246, v32 /*v288*/
	s_set_vgpr_msb 0x44                     ;  msbs: dst=1 src0=0 src1=1 src2=0
	v_mul_i32_i24_e32 v4 /*v260*/, v248, v2 /*v258*/
	s_set_vgpr_msb 64                       ;  msbs: dst=1 src0=0 src1=0 src2=0
	v_dual_ashrrev_i32 v48 /*v304*/, 24, v95 :: v_dual_bitop2_b32 v14 /*v270*/, 15, v109 bitop3:0x40
	v_bfe_i32 v49 /*v305*/, v95, 0, 8
	s_set_vgpr_msb 0x44                     ;  msbs: dst=1 src0=0 src1=1 src2=0
	v_mul_i32_i24_e32 v66 /*v322*/, v143, v129 /*v385*/
	s_set_vgpr_msb 16                       ;  msbs: dst=0 src0=0 src1=0 src2=1
	v_add3_u32 v243, v243, v255, v4 /*v260*/
	s_set_vgpr_msb 1                        ;  msbs: dst=0 src0=1 src1=0 src2=0
	v_mul_i32_i24_e32 v255, v56 /*v312*/, v232
	s_set_vgpr_msb 64                       ;  msbs: dst=1 src0=0 src1=0 src2=0
	v_mul_i32_i24_e32 v4 /*v260*/, v147, v233
	s_set_vgpr_msb 0                        ;  msbs: dst=0 src0=0 src1=0 src2=0
	v_bfe_i32 v145, v145, 16, 8
	s_set_vgpr_msb 0x45                     ;  msbs: dst=1 src0=1 src1=1 src2=0
	v_mul_i32_i24_e32 v39 /*v295*/, v112 /*v368*/, v39 /*v295*/
	s_set_vgpr_msb 1                        ;  msbs: dst=0 src0=1 src1=0 src2=0
	v_mul_i32_i24_e32 v235, v111 /*v367*/, v235
	s_set_vgpr_msb 64                       ;  msbs: dst=1 src0=0 src1=0 src2=0
	v_bfe_i32 v96 /*v352*/, v134, 16, 8
	s_set_vgpr_msb 16                       ;  msbs: dst=0 src0=0 src1=0 src2=1
	v_add3_u32 v249, v249, v255, v4 /*v260*/
	s_set_vgpr_msb 5                        ;  msbs: dst=0 src0=1 src1=1 src2=0
	v_mul_i32_i24_e32 v255, v56 /*v312*/, v19 /*v275*/
	s_set_vgpr_msb 0x44                     ;  msbs: dst=1 src0=0 src1=1 src2=0
	v_mul_i32_i24_e32 v4 /*v260*/, v147, v7 /*v263*/
	s_set_vgpr_msb 4                        ;  msbs: dst=0 src0=0 src1=1 src2=0
	v_add3_u32 v234, v234, v39 /*v295*/, v235
	s_set_vgpr_msb 0                        ;  msbs: dst=0 src0=0 src1=0 src2=0
	v_mul_i32_i24_e32 v134, v219, v233
	s_set_vgpr_msb 20                       ;  msbs: dst=0 src0=0 src1=1 src2=1
	v_add3_u32 v240, v240, v8 /*v264*/, v74 /*v330*/
	s_set_vgpr_msb 64                       ;  msbs: dst=1 src0=0 src1=0 src2=0
	v_bfe_u32 v13 /*v269*/, v107, 8, 4
	s_set_vgpr_msb 16                       ;  msbs: dst=0 src0=0 src1=0 src2=1
	v_add3_u32 v254, v254, v255, v4 /*v260*/
	s_set_vgpr_msb 5                        ;  msbs: dst=0 src0=1 src1=1 src2=0
	v_mul_i32_i24_e32 v255, v56 /*v312*/, v35 /*v291*/
	s_set_vgpr_msb 0x44                     ;  msbs: dst=1 src0=0 src1=1 src2=0
	v_mul_i32_i24_e32 v4 /*v260*/, v147, v129 /*v385*/
	s_set_vgpr_msb 0                        ;  msbs: dst=0 src0=0 src1=0 src2=0
	v_add3_u32 v144, v234, v122, v123
	v_add3_u32 v105, v240, v105, v151
	s_set_vgpr_msb 17                       ;  msbs: dst=0 src0=1 src1=0 src2=1
	v_add3_u32 v134, v21 /*v277*/, v134, v95 /*v351*/
	s_set_vgpr_msb 0x44                     ;  msbs: dst=1 src0=0 src1=1 src2=0
	v_mul_i32_i24_e32 v21 /*v277*/, v230, v19 /*v275*/
	s_set_vgpr_msb 17                       ;  msbs: dst=0 src0=1 src1=0 src2=1
	v_add3_u32 v255, v10 /*v266*/, v255, v4 /*v260*/
	s_set_vgpr_msb 64                       ;  msbs: dst=1 src0=0 src1=0 src2=0
	v_bfe_i32 v4 /*v260*/, v99, 0, 8
	v_bfe_i32 v10 /*v266*/, v99, 16, 8
	s_set_vgpr_msb 5                        ;  msbs: dst=0 src0=1 src1=1 src2=0
	v_mul_i32_i24_e32 v99, v0 /*v256*/, v53 /*v309*/
	s_set_vgpr_msb 0x45                     ;  msbs: dst=1 src0=1 src1=1 src2=0
	v_mul_i32_i24_e32 v0 /*v256*/, v69 /*v325*/, v40 /*v296*/
	s_set_vgpr_msb 4                        ;  msbs: dst=0 src0=0 src1=1 src2=0
	v_mul_i32_i24_e32 v230, v230, v35 /*v291*/
	s_set_vgpr_msb 64                       ;  msbs: dst=1 src0=0 src1=0 src2=0
	v_bfe_u32 v37 /*v293*/, v107, 24, 4
	s_set_vgpr_msb 0                        ;  msbs: dst=0 src0=0 src1=0 src2=0
	v_dual_add_nc_u32 v194, 4, v194 :: v_dual_bitop2_b32 v151, 15, v107 bitop3:0x40
	s_set_vgpr_msb 4                        ;  msbs: dst=0 src0=0 src1=1 src2=0
	v_add3_u32 v120, v120, v0 /*v256*/, v99
	s_set_vgpr_msb 1                        ;  msbs: dst=0 src0=1 src1=0 src2=0
	v_mul_i32_i24_e32 v99, v46 /*v302*/, v232
	s_set_vgpr_msb 64                       ;  msbs: dst=1 src0=0 src1=0 src2=0
	v_mul_i32_i24_e32 v0 /*v256*/, v137, v233
	s_set_vgpr_msb 0                        ;  msbs: dst=0 src0=0 src1=0 src2=0
	v_bfe_u32 v240, v107, 16, 4
	s_set_vgpr_msb 64                       ;  msbs: dst=1 src0=0 src1=0 src2=0
	v_bfe_u32 v155 /*v411*/, v107, 12, 4
	v_bfe_i32 v101 /*v357*/, v133, 0, 8
	v_dual_ashrrev_i32 v102 /*v358*/, 24, v133 :: v_dual_lshrrev_b32 v104 /*v360*/, 28, v106
	s_set_vgpr_msb 16                       ;  msbs: dst=0 src0=0 src1=0 src2=1
	v_add3_u32 v146, v146, v99, v0 /*v256*/
	s_set_vgpr_msb 5                        ;  msbs: dst=0 src0=1 src1=1 src2=0
	v_mul_i32_i24_e32 v99, v46 /*v302*/, v19 /*v275*/
	s_set_vgpr_msb 0x44                     ;  msbs: dst=1 src0=0 src1=1 src2=0
	v_mul_i32_i24_e32 v0 /*v256*/, v137, v7 /*v263*/
	v_bfe_u32 v103 /*v359*/, v106, 4, 4
	v_bfe_u32 v44 /*v300*/, v109, 8, 4
	;; [unrolled: 1-line block ×3, first 2 shown]
	s_set_vgpr_msb 1                        ;  msbs: dst=0 src0=1 src1=0 src2=0
	v_cvt_f32_f16_e64 v122, v33 /*v289*/
	s_set_vgpr_msb 16                       ;  msbs: dst=0 src0=0 src1=0 src2=1
	v_add3_u32 v250, v250, v99, v0 /*v256*/
	s_set_vgpr_msb 5                        ;  msbs: dst=0 src0=1 src1=1 src2=0
	v_mul_i32_i24_e32 v99, v46 /*v302*/, v35 /*v291*/
	s_set_vgpr_msb 0x44                     ;  msbs: dst=1 src0=0 src1=1 src2=0
	v_mul_i32_i24_e32 v0 /*v256*/, v137, v129 /*v385*/
	v_bfe_u32 v33 /*v289*/, v109, 16, 4
	v_bfe_u32 v156 /*v412*/, v109, 12, 4
	;; [unrolled: 1-line block ×3, first 2 shown]
	s_set_vgpr_msb 0x51                     ;  msbs: dst=1 src0=1 src1=0 src2=1
	v_ashrrev_i32_e32 v131 /*v387*/, 24, v111
	v_add3_u32 v0 /*v256*/, v38 /*v294*/, v99, v0 /*v256*/
	s_set_vgpr_msb 64                       ;  msbs: dst=1 src0=0 src1=0 src2=0
	v_bfe_i32 v38 /*v294*/, v97, 0, 8
	s_set_vgpr_msb 5                        ;  msbs: dst=0 src0=1 src1=1 src2=0
	v_mul_i32_i24_e32 v97, v132 /*v388*/, v53 /*v309*/
	v_mul_i32_i24_e32 v99, v61 /*v317*/, v40 /*v296*/
	s_set_vgpr_msb 0x45                     ;  msbs: dst=1 src0=1 src1=1 src2=0
	v_mul_i32_i24_e32 v61 /*v317*/, v83 /*v339*/, v40 /*v296*/
	s_set_vgpr_msb 64                       ;  msbs: dst=1 src0=0 src1=0 src2=0
	v_bfe_i32 v163 /*v419*/, v111, 8, 8
	v_bfe_i32 v164 /*v420*/, v111, 16, 8
	;; [unrolled: 1-line block ×3, first 2 shown]
	s_set_vgpr_msb 0                        ;  msbs: dst=0 src0=0 src1=0 src2=0
	v_add3_u32 v97, v118, v99, v97
	s_set_vgpr_msb 1                        ;  msbs: dst=0 src0=1 src1=0 src2=0
	v_mul_i32_i24_e32 v99, v125 /*v381*/, v232
	s_set_vgpr_msb 0                        ;  msbs: dst=0 src0=0 src1=0 src2=0
	v_mul_i32_i24_e32 v118, v139, v233
	s_set_vgpr_msb 64                       ;  msbs: dst=1 src0=0 src1=0 src2=0
	v_bfe_i32 v162 /*v418*/, v113, 16, 8
	v_ashrrev_i32_e32 v95 /*v351*/, 24, v115
	v_bfe_i32 v159 /*v415*/, v115, 8, 8
	v_bfe_i32 v160 /*v416*/, v115, 16, 8
	s_set_vgpr_msb 0                        ;  msbs: dst=0 src0=0 src1=0 src2=0
	v_add3_u32 v118, v136, v99, v118
	s_set_vgpr_msb 5                        ;  msbs: dst=0 src0=1 src1=1 src2=0
	v_mul_i32_i24_e32 v99, v125 /*v381*/, v19 /*v275*/
	s_set_vgpr_msb 4                        ;  msbs: dst=0 src0=0 src1=1 src2=0
	v_mul_i32_i24_e32 v136, v139, v7 /*v263*/
	s_set_vgpr_msb 64                       ;  msbs: dst=1 src0=0 src1=0 src2=0
	v_bfe_i32 v83 /*v339*/, v117, 0, 8
	v_bfe_i32 v158 /*v414*/, v117, 8, 8
	;; [unrolled: 1-line block ×4, first 2 shown]
	s_set_vgpr_msb 1                        ;  msbs: dst=0 src0=1 src1=0 src2=0
	v_add3_u32 v136, v51 /*v307*/, v99, v136
	s_set_vgpr_msb 5                        ;  msbs: dst=0 src0=1 src1=1 src2=0
	v_mul_i32_i24_e32 v99, v125 /*v381*/, v35 /*v291*/
	s_set_vgpr_msb 64                       ;  msbs: dst=1 src0=0 src1=0 src2=0
	v_bfe_i32 v51 /*v307*/, v95, 16, 8
	s_set_vgpr_msb 5                        ;  msbs: dst=0 src0=1 src1=1 src2=0
	v_mul_i32_i24_e32 v95, v72 /*v328*/, v53 /*v309*/
	s_set_vgpr_msb 64                       ;  msbs: dst=1 src0=0 src1=0 src2=0
	v_ashrrev_i32_e32 v72 /*v328*/, 24, v121
	v_bfe_i32 v112 /*v368*/, v125, 0, 8
	s_set_vgpr_msb 0x51                     ;  msbs: dst=1 src0=1 src1=0 src2=1
	v_add3_u32 v29 /*v285*/, v60 /*v316*/, v99, v29 /*v285*/
	s_set_vgpr_msb 5                        ;  msbs: dst=0 src0=1 src1=1 src2=0
	v_mul_i32_i24_e32 v99, v75 /*v331*/, v40 /*v296*/
	s_set_vgpr_msb 64                       ;  msbs: dst=1 src0=0 src1=0 src2=0
	v_bfe_u32 v75 /*v331*/, v107, 4, 4
	v_dual_ashrrev_i32 v111 /*v367*/, 24, v125 :: v_dual_ashrrev_i32 v39 /*v295*/, 24, v127
	v_bfe_i32 v69 /*v325*/, v121, 0, 8
	s_set_vgpr_msb 0                        ;  msbs: dst=0 src0=0 src1=0 src2=0
	v_add3_u32 v95, v116, v99, v95
	s_set_vgpr_msb 1                        ;  msbs: dst=0 src0=1 src1=0 src2=0
	v_mul_i32_i24_e32 v99, v126 /*v382*/, v232
	s_set_vgpr_msb 0                        ;  msbs: dst=0 src0=0 src1=0 src2=0
	v_mul_i32_i24_e32 v116, v141, v233
	s_set_vgpr_msb 64                       ;  msbs: dst=1 src0=0 src1=0 src2=0
	v_bfe_i32 v154 /*v410*/, v121, 8, 8
	v_bfe_i32 v132 /*v388*/, v121, 16, 8
	s_set_vgpr_msb 0                        ;  msbs: dst=0 src0=0 src1=0 src2=0
	v_bfe_i32 v235, v127, 0, 8
	s_set_vgpr_msb 64                       ;  msbs: dst=1 src0=0 src1=0 src2=0
	v_bfe_i32 v63 /*v319*/, v129, 0, 8
	s_set_vgpr_msb 0                        ;  msbs: dst=0 src0=0 src1=0 src2=0
	v_add3_u32 v116, v138, v99, v116
	s_set_vgpr_msb 5                        ;  msbs: dst=0 src0=1 src1=1 src2=0
	v_mul_i32_i24_e32 v99, v126 /*v382*/, v19 /*v275*/
	s_set_vgpr_msb 4                        ;  msbs: dst=0 src0=0 src1=1 src2=0
	v_mul_i32_i24_e32 v138, v141, v7 /*v263*/
	s_set_vgpr_msb 64                       ;  msbs: dst=1 src0=0 src1=0 src2=0
	v_dual_ashrrev_i32 v8 /*v264*/, 24, v129 :: v_dual_ashrrev_i32 v130 /*v386*/, 24, v131
	v_bfe_i32 v74 /*v330*/, v131, 0, 8
	v_bfe_i32 v17 /*v273*/, v133, 8, 8
	s_set_vgpr_msb 1                        ;  msbs: dst=0 src0=1 src1=0 src2=0
	v_add3_u32 v138, v6 /*v262*/, v99, v138
	s_set_vgpr_msb 5                        ;  msbs: dst=0 src0=1 src1=1 src2=0
	v_mul_i32_i24_e32 v99, v126 /*v382*/, v35 /*v291*/
	s_set_vgpr_msb 0x44                     ;  msbs: dst=1 src0=0 src1=1 src2=0
	v_mul_i32_i24_e32 v6 /*v262*/, v141, v129 /*v385*/
	s_set_vgpr_msb 0                        ;  msbs: dst=0 src0=0 src1=0 src2=0
	v_bfe_i32 v133, v133, 16, 8
	s_set_vgpr_msb 64                       ;  msbs: dst=1 src0=0 src1=0 src2=0
	v_mul_i32_i24_e32 v136 /*v392*/, v213, v221
	v_bfe_u32 v26 /*v282*/, v106, 12, 4
	s_set_vgpr_msb 0                        ;  msbs: dst=0 src0=0 src1=0 src2=0
	v_bfe_u32 v106, v106, 20, 4
	s_set_vgpr_msb 0x51                     ;  msbs: dst=1 src0=1 src1=0 src2=1
	v_add3_u32 v6 /*v262*/, v64 /*v320*/, v99, v6 /*v262*/
	s_set_vgpr_msb 5                        ;  msbs: dst=0 src0=1 src1=1 src2=0
	v_mul_i32_i24_e32 v99, v78 /*v334*/, v53 /*v309*/
	s_set_vgpr_msb 0x44                     ;  msbs: dst=1 src0=0 src1=1 src2=0
	v_mul_i32_i24_e32 v64 /*v320*/, v143, v7 /*v263*/
	s_set_vgpr_msb 64                       ;  msbs: dst=1 src0=0 src1=0 src2=0
	v_lshrrev_b32_e32 v78 /*v334*/, 28, v107
	v_mul_i32_i24_e32 v18 /*v274*/, v209, v222
	v_bfe_i32 v171 /*v427*/, v98, 8, 8
	s_set_vgpr_msb 4                        ;  msbs: dst=0 src0=0 src1=1 src2=0
	v_add3_u32 v140, v140, v61 /*v317*/, v99
	s_set_vgpr_msb 1                        ;  msbs: dst=0 src0=1 src1=0 src2=0
	v_mul_i32_i24_e32 v99, v127 /*v383*/, v232
	s_set_vgpr_msb 64                       ;  msbs: dst=1 src0=0 src1=0 src2=0
	v_mul_i32_i24_e32 v61 /*v317*/, v143, v233
	v_bfe_i32 v180 /*v436*/, v98, 16, 8
	v_dual_ashrrev_i32 v181 /*v437*/, 24, v98 :: v_dual_ashrrev_i32 v183 /*v439*/, 24, v96
	v_bfe_i32 v137 /*v393*/, v125, 8, 8
	s_set_vgpr_msb 0x51                     ;  msbs: dst=1 src0=1 src1=0 src2=1
	v_add3_u32 v61 /*v317*/, v71 /*v327*/, v99, v61 /*v317*/
	s_set_vgpr_msb 5                        ;  msbs: dst=0 src0=1 src1=1 src2=0
	v_mul_i32_i24_e32 v99, v127 /*v383*/, v19 /*v275*/
	s_set_vgpr_msb 0x44                     ;  msbs: dst=1 src0=0 src1=1 src2=0
	v_mul_i32_i24_e32 v71 /*v327*/, v145, v7 /*v263*/
	s_set_vgpr_msb 0                        ;  msbs: dst=0 src0=0 src1=0 src2=0
	v_bfe_i32 v125, v125, 16, 8
	s_set_vgpr_msb 64                       ;  msbs: dst=1 src0=0 src1=0 src2=0
	v_bfe_i32 v140 /*v396*/, v129, 8, 8
	s_set_vgpr_msb 0                        ;  msbs: dst=0 src0=0 src1=0 src2=0
	v_bfe_i32 v129, v129, 16, 8
	s_set_vgpr_msb 0x51                     ;  msbs: dst=1 src0=1 src1=0 src2=1
	v_add3_u32 v64 /*v320*/, v73 /*v329*/, v99, v64 /*v320*/
	s_set_vgpr_msb 5                        ;  msbs: dst=0 src0=1 src1=1 src2=0
	v_mul_i32_i24_e32 v99, v127 /*v383*/, v35 /*v291*/
	s_set_vgpr_msb 0x44                     ;  msbs: dst=1 src0=0 src1=1 src2=0
	v_mul_i32_i24_e32 v73 /*v329*/, v145, v129 /*v385*/
	v_bfe_u32 v143 /*v399*/, v108, 12, 4
	s_set_vgpr_msb 0                        ;  msbs: dst=0 src0=0 src1=0 src2=0
	v_bfe_u32 v108, v108, 20, 4
	s_set_vgpr_msb 64                       ;  msbs: dst=1 src0=0 src1=0 src2=0
	v_bfe_i32 v165 /*v421*/, v104, 0, 8
	s_set_vgpr_msb 0x51                     ;  msbs: dst=1 src0=1 src1=0 src2=1
	v_add3_u32 v66 /*v322*/, v77 /*v333*/, v99, v66 /*v322*/
	s_set_vgpr_msb 5                        ;  msbs: dst=0 src0=1 src1=1 src2=0
	v_mul_i32_i24_e32 v99, v42 /*v298*/, v53 /*v309*/
	s_set_vgpr_msb 0x45                     ;  msbs: dst=1 src0=1 src1=1 src2=0
	v_mul_i32_i24_e32 v42 /*v298*/, v134 /*v390*/, v40 /*v296*/
	v_mul_i32_i24_e32 v40 /*v296*/, v97 /*v353*/, v40 /*v296*/
	s_set_vgpr_msb 64                       ;  msbs: dst=1 src0=0 src1=0 src2=0
	v_bfe_i32 v97 /*v353*/, v113, 0, 8
	v_bfe_i32 v134 /*v390*/, v119, 16, 8
	;; [unrolled: 1-line block ×3, first 2 shown]
	s_set_vgpr_msb 4                        ;  msbs: dst=0 src0=0 src1=1 src2=0
	v_add3_u32 v142, v142, v42 /*v298*/, v99
	s_set_vgpr_msb 1                        ;  msbs: dst=0 src0=1 src1=0 src2=0
	v_mul_i32_i24_e32 v99, v128 /*v384*/, v232
	s_set_vgpr_msb 64                       ;  msbs: dst=1 src0=0 src1=0 src2=0
	v_mul_i32_i24_e32 v42 /*v298*/, v145, v233
	v_bfe_i32 v172 /*v428*/, v96, 0, 8
	v_bfe_i32 v173 /*v429*/, v96, 8, 8
	;; [unrolled: 1-line block ×4, first 2 shown]
	s_set_vgpr_msb 0x51                     ;  msbs: dst=1 src0=1 src1=0 src2=1
	v_add3_u32 v42 /*v298*/, v81 /*v337*/, v99, v42 /*v298*/
	s_set_vgpr_msb 5                        ;  msbs: dst=0 src0=1 src1=1 src2=0
	v_mul_i32_i24_e32 v99, v128 /*v384*/, v19 /*v275*/
	s_set_vgpr_msb 64                       ;  msbs: dst=1 src0=0 src1=0 src2=0
	v_dual_lshrrev_b32 v81 /*v337*/, 28, v109 :: v_dual_ashrrev_i32 v176 /*v432*/, 24, v104
	v_ashrrev_i32_e32 v178 /*v434*/, 24, v102
	v_bfe_i32 v182 /*v438*/, v96, 16, 8
	s_set_vgpr_msb 0x51                     ;  msbs: dst=1 src0=1 src1=0 src2=1
	v_add3_u32 v71 /*v327*/, v82 /*v338*/, v99, v71 /*v327*/
	s_set_vgpr_msb 5                        ;  msbs: dst=0 src0=1 src1=1 src2=0
	v_mul_i32_i24_e32 v99, v128 /*v384*/, v35 /*v291*/
	s_set_vgpr_msb 64                       ;  msbs: dst=1 src0=0 src1=0 src2=0
	v_ashrrev_i32_e32 v82 /*v338*/, 24, v119
	v_bfe_i32 v184 /*v440*/, v94, 16, 8
	v_ashrrev_i32_e32 v185 /*v441*/, 24, v94
	s_set_vgpr_msb 0                        ;  msbs: dst=0 src0=0 src1=0 src2=0
	v_cvt_f32_f16_e64 v96, v225
	s_set_vgpr_msb 0x51                     ;  msbs: dst=1 src0=1 src1=0 src2=1
	v_add3_u32 v73 /*v329*/, v86 /*v342*/, v99, v73 /*v329*/
	s_set_vgpr_msb 5                        ;  msbs: dst=0 src0=1 src1=1 src2=0
	v_mul_i32_i24_e32 v99, v93 /*v349*/, v53 /*v309*/
	s_set_vgpr_msb 64                       ;  msbs: dst=1 src0=0 src1=0 src2=0
	v_bfe_u32 v53 /*v309*/, v109, 4, 4
	v_ashrrev_i32_e32 v86 /*v342*/, 24, v117
	v_bfe_i32 v93 /*v349*/, v115, 0, 8
	s_set_vgpr_msb 4                        ;  msbs: dst=0 src0=0 src1=1 src2=0
	v_mul_i32_i24_e32 v104, v218, v122 /*v378*/
	v_add3_u32 v144, v144, v40 /*v296*/, v99
	v_mul_i32_i24_e32 v99, v231, v120 /*v376*/
	s_set_vgpr_msb 64                       ;  msbs: dst=1 src0=0 src1=0 src2=0
	v_ashrrev_i32_e32 v120 /*v376*/, 24, v113
	v_bfe_i32 v40 /*v296*/, v119, 0, 8
	s_set_vgpr_msb 4                        ;  msbs: dst=0 src0=0 src1=1 src2=0
	v_mul_i32_i24_e32 v225, v227, v104 /*v360*/
	s_set_vgpr_msb 64                       ;  msbs: dst=1 src0=0 src1=0 src2=0
	v_mul_i32_i24_e32 v15 /*v271*/, v212, v215
	s_set_vgpr_msb 16                       ;  msbs: dst=0 src0=0 src1=0 src2=1
	v_add3_u32 v105, v105, v99, v21 /*v277*/
	s_set_vgpr_msb 4                        ;  msbs: dst=0 src0=0 src1=1 src2=0
	v_mul_i32_i24_e32 v99, v231, v123 /*v379*/
	s_set_vgpr_msb 64                       ;  msbs: dst=1 src0=0 src1=0 src2=0
	v_bfe_u32 v21 /*v277*/, v109, 20, 4
	v_bfe_i32 v123 /*v379*/, v111, 0, 8
	v_bfe_i32 v139 /*v395*/, v127, 8, 8
	s_set_vgpr_msb 0                        ;  msbs: dst=0 src0=0 src1=0 src2=0
	v_bfe_i32 v127, v127, 16, 8
	v_add3_u32 v153, v153, v99, v230
	s_set_vgpr_msb 1                        ;  msbs: dst=0 src0=1 src1=0 src2=0
	v_mul_i32_i24_e32 v99, v58 /*v314*/, v232
	v_mul_i32_i24_e32 v230, v59 /*v315*/, v233
	s_set_vgpr_msb 64                       ;  msbs: dst=1 src0=0 src1=0 src2=0
	v_bfe_i32 v142 /*v398*/, v131, 8, 8
	s_set_vgpr_msb 0                        ;  msbs: dst=0 src0=0 src1=0 src2=0
	v_bfe_i32 v131, v131, 16, 8
	s_set_vgpr_msb 64                       ;  msbs: dst=1 src0=0 src1=0 src2=0
	v_mul_i32_i24_e32 v55 /*v311*/, v207, v216
	s_set_vgpr_msb 20                       ;  msbs: dst=0 src0=0 src1=1 src2=1
	v_add3_u32 v134, v134, v136 /*v392*/, v15 /*v271*/
	s_set_vgpr_msb 0                        ;  msbs: dst=0 src0=0 src1=0 src2=0
	v_add3_u32 v230, v103, v99, v230
	s_set_vgpr_msb 5                        ;  msbs: dst=0 src0=1 src1=1 src2=0
	v_mul_i32_i24_e32 v99, v58 /*v314*/, v19 /*v275*/
	v_mul_i32_i24_e32 v103, v59 /*v315*/, v7 /*v263*/
	s_set_vgpr_msb 64                       ;  msbs: dst=1 src0=0 src1=0 src2=0
	v_bfe_u32 v19 /*v275*/, v107, 20, 4
	s_set_vgpr_msb 5                        ;  msbs: dst=0 src0=1 src1=1 src2=0
	v_mul_i32_i24_e32 v107, v59 /*v315*/, v129 /*v385*/
	s_set_vgpr_msb 0x44                     ;  msbs: dst=1 src0=0 src1=1 src2=0
	v_mul_i32_i24_e32 v15 /*v271*/, v212, v26 /*v282*/
	s_set_vgpr_msb 1                        ;  msbs: dst=0 src0=1 src1=0 src2=0
	v_cvt_f32_f16_e64 v123, v31 /*v287*/
	s_set_vgpr_msb 0                        ;  msbs: dst=0 src0=0 src1=0 src2=0
	v_add3_u32 v231, v236, v99, v103
	s_set_vgpr_msb 5                        ;  msbs: dst=0 src0=1 src1=1 src2=0
	v_mul_i32_i24_e32 v103, v58 /*v314*/, v35 /*v291*/
	s_set_vgpr_msb 0x41                     ;  msbs: dst=1 src0=1 src1=0 src2=0
	v_mul_i32_i24_e32 v35 /*v291*/, v41 /*v297*/, v242
	s_set_vgpr_msb 4                        ;  msbs: dst=0 src0=0 src1=1 src2=0
	v_mul_i32_i24_e32 v212, v212, v143 /*v399*/
	s_set_vgpr_msb 0                        ;  msbs: dst=0 src0=0 src1=0 src2=0
	v_mul_i32_i24_e32 v147, v147, v214
	s_set_vgpr_msb 0x41                     ;  msbs: dst=1 src0=1 src1=0 src2=0
	v_mul_i32_i24_e32 v41 /*v297*/, v150 /*v406*/, v90
	s_set_vgpr_msb 0                        ;  msbs: dst=0 src0=0 src1=0 src2=0
	v_add3_u32 v107, v101, v103, v107
	s_set_vgpr_msb 5                        ;  msbs: dst=0 src0=1 src1=1 src2=0
	v_mul_i32_i24_e32 v101, v28 /*v284*/, v96 /*v352*/
	v_mul_i32_i24_e32 v103, v135 /*v391*/, v87 /*v343*/
	s_set_vgpr_msb 0                        ;  msbs: dst=0 src0=0 src1=0 src2=0
	v_mul_i32_i24_e32 v137, v137, v214
	s_set_vgpr_msb 20                       ;  msbs: dst=0 src0=0 src1=1 src2=1
	v_add3_u32 v134, v134, v55 /*v311*/, v18 /*v274*/
	s_set_vgpr_msb 0x45                     ;  msbs: dst=1 src0=1 src1=1 src2=0
	v_mul_i32_i24_e32 v18 /*v274*/, v152 /*v408*/, v44 /*v300*/
	v_mul_i32_i24_e32 v55 /*v311*/, v89 /*v345*/, v47 /*v303*/
	s_set_vgpr_msb 0                        ;  msbs: dst=0 src0=0 src1=0 src2=0
	v_add3_u32 v109, v154, v101, v103
	s_set_vgpr_msb 1                        ;  msbs: dst=0 src0=1 src1=0 src2=0
	v_mul_i32_i24_e32 v101, v101 /*v357*/, v221
	v_mul_i32_i24_e32 v103, v102 /*v358*/, v222
	s_set_vgpr_msb 0                        ;  msbs: dst=0 src0=0 src1=0 src2=0
	v_mul_i32_i24_e32 v143, v143, v214
	v_mul_i32_i24_e32 v234, v199, v203
	s_set_vgpr_msb 64                       ;  msbs: dst=1 src0=0 src1=0 src2=0
	v_mul_i32_i24_e32 v31 /*v287*/, v201, v90
	v_mul_i32_i24_e32 v57 /*v313*/, v196, v211
	s_set_vgpr_msb 0                        ;  msbs: dst=0 src0=0 src1=0 src2=0
	v_add3_u32 v111, v249, v103, v101
	s_set_vgpr_msb 5                        ;  msbs: dst=0 src0=1 src1=1 src2=0
	v_mul_i32_i24_e32 v101, v101 /*v357*/, v103 /*v359*/
	v_mul_i32_i24_e32 v103, v102 /*v358*/, v104 /*v360*/
	s_set_vgpr_msb 1                        ;  msbs: dst=0 src0=1 src1=0 src2=0
	v_mul_i32_i24_e32 v249, v119 /*v375*/, v217
	s_set_vgpr_msb 64                       ;  msbs: dst=1 src0=0 src1=0 src2=0
	v_bfe_i32 v167 /*v423*/, v102, 0, 8
	s_set_vgpr_msb 0                        ;  msbs: dst=0 src0=0 src1=0 src2=0
	v_mul_i32_i24_e32 v141, v141, v214
	s_set_vgpr_msb 0x41                     ;  msbs: dst=1 src0=1 src1=0 src2=0
	v_mul_i32_i24_e32 v58 /*v314*/, v128 /*v384*/, v91
	s_set_vgpr_msb 0                        ;  msbs: dst=0 src0=0 src1=0 src2=0
	v_add3_u32 v113, v254, v103, v101
	s_set_vgpr_msb 5                        ;  msbs: dst=0 src0=1 src1=1 src2=0
	v_mul_i32_i24_e32 v101, v101 /*v357*/, v106 /*v362*/
	v_mul_i32_i24_e32 v103, v102 /*v358*/, v118 /*v374*/
	s_set_vgpr_msb 1                        ;  msbs: dst=0 src0=1 src1=0 src2=0
	v_mul_i32_i24_e32 v254, v99 /*v355*/, v217
	s_set_vgpr_msb 0                        ;  msbs: dst=0 src0=0 src1=0 src2=0
	v_mul_i32_i24_e32 v145, v145, v214
	s_set_vgpr_msb 0x41                     ;  msbs: dst=1 src0=1 src1=0 src2=0
	v_mul_i32_i24_e32 v77 /*v333*/, v121 /*v377*/, v208
	v_mul_i32_i24_e32 v113 /*v369*/, v130 /*v386*/, v208
	s_set_vgpr_msb 0                        ;  msbs: dst=0 src0=0 src1=0 src2=0
	v_add3_u32 v115, v255, v103, v101
	v_mul_i32_i24_e32 v101, v132, v229
	s_set_vgpr_msb 4                        ;  msbs: dst=0 src0=0 src1=1 src2=0
	v_mul_i32_i24_e32 v103, v155, v70 /*v326*/
	s_set_vgpr_msb 1                        ;  msbs: dst=0 src0=1 src1=0 src2=0
	v_mul_i32_i24_e32 v255, v76 /*v332*/, v242
	s_set_vgpr_msb 0x41                     ;  msbs: dst=1 src0=1 src1=0 src2=0
	v_mul_i32_i24_e32 v76 /*v332*/, v109 /*v365*/, v210
	s_set_vgpr_msb 64                       ;  msbs: dst=1 src0=0 src1=0 src2=0
	v_mul_i32_i24_e32 v119 /*v375*/, v199, v151
	s_set_vgpr_msb 0                        ;  msbs: dst=0 src0=0 src1=0 src2=0
	v_mul_i32_i24_e32 v139, v139, v214
	v_add3_u32 v117, v120, v103, v101
	s_set_vgpr_msb 1                        ;  msbs: dst=0 src0=1 src1=0 src2=0
	v_mul_i32_i24_e32 v101, v109 /*v365*/, v221
	v_mul_i32_i24_e32 v103, v121 /*v377*/, v222
	s_set_vgpr_msb 0x45                     ;  msbs: dst=1 src0=1 src1=1 src2=0
	v_mul_i32_i24_e32 v59 /*v315*/, v153 /*v409*/, v13 /*v269*/
	s_set_vgpr_msb 0x41                     ;  msbs: dst=1 src0=1 src1=0 src2=0
	v_mul_i32_i24_e32 v99 /*v355*/, v112 /*v368*/, v210
	s_set_vgpr_msb 0                        ;  msbs: dst=0 src0=0 src1=0 src2=0
	v_add3_u32 v117, v117, v249, v255
	s_set_vgpr_msb 5                        ;  msbs: dst=0 src0=1 src1=1 src2=0
	v_mul_i32_i24_e32 v249, v139 /*v395*/, v26 /*v282*/
	s_set_vgpr_msb 0                        ;  msbs: dst=0 src0=0 src1=0 src2=0
	v_add3_u32 v119, v146, v103, v101
	s_set_vgpr_msb 5                        ;  msbs: dst=0 src0=1 src1=1 src2=0
	v_mul_i32_i24_e32 v101, v109 /*v365*/, v103 /*v359*/
	v_mul_i32_i24_e32 v103, v121 /*v377*/, v104 /*v360*/
	s_set_vgpr_msb 0                        ;  msbs: dst=0 src0=0 src1=0 src2=0
	v_mul_i32_i24_e32 v255, v127, v106
	s_set_vgpr_msb 0x45                     ;  msbs: dst=1 src0=1 src1=1 src2=0
	v_mul_i32_i24_e32 v108 /*v364*/, v45 /*v301*/, v33 /*v289*/
	s_set_vgpr_msb 64                       ;  msbs: dst=1 src0=0 src1=0 src2=0
	v_mul_i32_i24_e32 v122 /*v378*/, v112, v203
	v_mul_i32_i24_e32 v187 /*v443*/, v133, v205
	s_set_vgpr_msb 0                        ;  msbs: dst=0 src0=0 src1=0 src2=0
	v_add3_u32 v120, v250, v103, v101
	s_set_vgpr_msb 5                        ;  msbs: dst=0 src0=1 src1=1 src2=0
	v_mul_i32_i24_e32 v101, v109 /*v365*/, v106 /*v362*/
	v_mul_i32_i24_e32 v103, v121 /*v377*/, v118 /*v374*/
	s_set_vgpr_msb 1                        ;  msbs: dst=0 src0=1 src1=0 src2=0
	v_mul_i32_i24_e32 v250, v34 /*v290*/, v217
	s_set_vgpr_msb 0x41                     ;  msbs: dst=1 src0=1 src1=0 src2=0
	v_mul_i32_i24_e32 v34 /*v290*/, v149 /*v405*/, v90
	v_mul_i32_i24_e32 v109 /*v365*/, v51 /*v307*/, v206
	s_set_vgpr_msb 0x44                     ;  msbs: dst=1 src0=0 src1=1 src2=0
	v_mul_i32_i24_e32 v121 /*v377*/, v199, v14 /*v270*/
	s_set_vgpr_msb 1                        ;  msbs: dst=0 src0=1 src1=0 src2=0
	v_add3_u32 v121, v0 /*v256*/, v103, v101
	v_mul_i32_i24_e32 v101, v114 /*v370*/, v229
	s_set_vgpr_msb 5                        ;  msbs: dst=0 src0=1 src1=1 src2=0
	v_mul_i32_i24_e32 v103, v94 /*v350*/, v70 /*v326*/
	s_set_vgpr_msb 64                       ;  msbs: dst=1 src0=0 src1=0 src2=0
	v_bfe_i32 v94 /*v350*/, v98, 0, 8
	s_set_vgpr_msb 0                        ;  msbs: dst=0 src0=0 src1=0 src2=0
	v_mul_i32_i24_e32 v98, v130, v229
	s_set_vgpr_msb 4                        ;  msbs: dst=0 src0=0 src1=1 src2=0
	v_mul_i32_i24_e32 v130, v218, v91 /*v347*/
	v_mul_i32_i24_e32 v218, v219, v7 /*v263*/
	s_set_vgpr_msb 0                        ;  msbs: dst=0 src0=0 src1=0 src2=0
	v_add3_u32 v132, v97, v103, v101
	s_set_vgpr_msb 1                        ;  msbs: dst=0 src0=1 src1=0 src2=0
	v_mul_i32_i24_e32 v97, v112 /*v368*/, v221
	v_mul_i32_i24_e32 v101, v111 /*v367*/, v222
	s_set_vgpr_msb 4                        ;  msbs: dst=0 src0=0 src1=1 src2=0
	v_mul_i32_i24_e32 v219, v219, v129 /*v385*/
	s_set_vgpr_msb 0                        ;  msbs: dst=0 src0=0 src1=0 src2=0
	v_add3_u32 v104, v105, v218, v104
	s_set_vgpr_msb 5                        ;  msbs: dst=0 src0=1 src1=1 src2=0
	v_mul_i32_i24_e32 v105, v17 /*v273*/, v143 /*v399*/
	s_set_vgpr_msb 0                        ;  msbs: dst=0 src0=0 src1=0 src2=0
	v_mul_i32_i24_e32 v218, v133, v108
	v_add3_u32 v118, v118, v101, v97
	s_set_vgpr_msb 5                        ;  msbs: dst=0 src0=1 src1=1 src2=0
	v_mul_i32_i24_e32 v97, v112 /*v368*/, v103 /*v359*/
	v_mul_i32_i24_e32 v101, v111 /*v367*/, v104 /*v360*/
	s_set_vgpr_msb 0                        ;  msbs: dst=0 src0=0 src1=0 src2=0
	v_add3_u32 v130, v153, v219, v130
	s_set_vgpr_msb 1                        ;  msbs: dst=0 src0=1 src1=0 src2=0
	v_mul_i32_i24_e32 v153, v12 /*v268*/, v215
	v_mul_i32_i24_e32 v219, v27 /*v283*/, v216
	s_set_vgpr_msb 0                        ;  msbs: dst=0 src0=0 src1=0 src2=0
	v_add3_u32 v105, v115, v105, v218
	v_add3_u32 v136, v136, v101, v97
	s_set_vgpr_msb 5                        ;  msbs: dst=0 src0=1 src1=1 src2=0
	v_mul_i32_i24_e32 v97, v112 /*v368*/, v106 /*v362*/
	v_mul_i32_i24_e32 v101, v111 /*v367*/, v118 /*v374*/
	s_set_vgpr_msb 1                        ;  msbs: dst=0 src0=1 src1=0 src2=0
	v_mul_i32_i24_e32 v115, v139 /*v395*/, v215
	s_set_vgpr_msb 0                        ;  msbs: dst=0 src0=0 src1=0 src2=0
	v_mul_i32_i24_e32 v218, v127, v216
	v_add3_u32 v119, v119, v153, v219
	s_set_vgpr_msb 5                        ;  msbs: dst=0 src0=1 src1=1 src2=0
	v_mul_i32_i24_e32 v153, v139 /*v395*/, v143 /*v399*/
	s_set_vgpr_msb 1                        ;  msbs: dst=0 src0=1 src1=0 src2=0
	v_add3_u32 v146, v29 /*v285*/, v101, v97
	s_set_vgpr_msb 0                        ;  msbs: dst=0 src0=0 src1=0 src2=0
	v_mul_i32_i24_e32 v97, v124, v229
	s_set_vgpr_msb 5                        ;  msbs: dst=0 src0=1 src1=1 src2=0
	v_mul_i32_i24_e32 v101, v52 /*v308*/, v70 /*v326*/
	s_set_vgpr_msb 0                        ;  msbs: dst=0 src0=0 src1=0 src2=0
	v_mul_i32_i24_e32 v219, v127, v108
	s_set_vgpr_msb 0x41                     ;  msbs: dst=1 src0=1 src1=0 src2=0
	v_mul_i32_i24_e32 v0 /*v256*/, v65 /*v321*/, v217
	v_mul_i32_i24_e32 v7 /*v263*/, v100 /*v356*/, v217
	s_set_vgpr_msb 1                        ;  msbs: dst=0 src0=1 src1=0 src2=0
	v_mul_i32_i24_e32 v217, v68 /*v324*/, v217
	s_set_vgpr_msb 0                        ;  msbs: dst=0 src0=0 src1=0 src2=0
	v_add3_u32 v124, v95, v101, v97
	v_mul_i32_i24_e32 v95, v235, v221
	s_set_vgpr_msb 1                        ;  msbs: dst=0 src0=1 src1=0 src2=0
	v_mul_i32_i24_e32 v97, v39 /*v295*/, v222
	s_set_vgpr_msb 64                       ;  msbs: dst=1 src0=0 src1=0 src2=0
	v_mul_i32_i24_e32 v29 /*v285*/, v220, v106
	s_set_vgpr_msb 0x41                     ;  msbs: dst=1 src0=1 src1=0 src2=0
	v_mul_i32_i24_e32 v52 /*v308*/, v152 /*v408*/, v90
	s_set_vgpr_msb 16                       ;  msbs: dst=0 src0=0 src1=0 src2=1
	v_add3_u32 v124, v124, v254, v35 /*v291*/
	v_mul_i32_i24_e32 v254, v244, v211
	s_set_vgpr_msb 0                        ;  msbs: dst=0 src0=0 src1=0 src2=0
	v_add3_u32 v116, v116, v97, v95
	s_set_vgpr_msb 4                        ;  msbs: dst=0 src0=0 src1=1 src2=0
	v_mul_i32_i24_e32 v95, v235, v103 /*v359*/
	s_set_vgpr_msb 5                        ;  msbs: dst=0 src0=1 src1=1 src2=0
	v_mul_i32_i24_e32 v97, v39 /*v295*/, v104 /*v360*/
	s_set_vgpr_msb 0x45                     ;  msbs: dst=1 src0=1 src1=1 src2=0
	v_mul_i32_i24_e32 v35 /*v291*/, v149 /*v405*/, v13 /*v269*/
	s_set_vgpr_msb 0x41                     ;  msbs: dst=1 src0=1 src1=0 src2=0
	v_mul_i32_i24_e32 v100 /*v356*/, v111 /*v367*/, v208
	s_set_vgpr_msb 0                        ;  msbs: dst=0 src0=0 src1=0 src2=0
	v_add3_u32 v115, v116, v115, v218
	s_set_vgpr_msb 4                        ;  msbs: dst=0 src0=0 src1=1 src2=0
	v_mul_i32_i24_e32 v116, v244, v37 /*v293*/
	s_set_vgpr_msb 0                        ;  msbs: dst=0 src0=0 src1=0 src2=0
	v_add3_u32 v138, v138, v97, v95
	s_set_vgpr_msb 4                        ;  msbs: dst=0 src0=0 src1=1 src2=0
	v_mul_i32_i24_e32 v95, v235, v106 /*v362*/
	s_set_vgpr_msb 5                        ;  msbs: dst=0 src0=1 src1=1 src2=0
	v_mul_i32_i24_e32 v97, v39 /*v295*/, v118 /*v374*/
	v_mul_i32_i24_e32 v218, v149 /*v405*/, v44 /*v300*/
	s_set_vgpr_msb 0x41                     ;  msbs: dst=1 src0=1 src1=0 src2=0
	v_mul_i32_i24_e32 v39 /*v295*/, v39 /*v295*/, v208
	s_set_vgpr_msb 0                        ;  msbs: dst=0 src0=0 src1=0 src2=0
	v_add3_u32 v138, v138, v249, v255
	s_set_vgpr_msb 1                        ;  msbs: dst=0 src0=1 src1=0 src2=0
	v_mul_i32_i24_e32 v255, v56 /*v312*/, v91
	v_add3_u32 v154, v6 /*v262*/, v97, v95
	s_set_vgpr_msb 0                        ;  msbs: dst=0 src0=0 src1=0 src2=0
	v_mul_i32_i24_e32 v95, v126, v229
	s_set_vgpr_msb 5                        ;  msbs: dst=0 src0=1 src1=1 src2=0
	v_mul_i32_i24_e32 v97, v9 /*v265*/, v70 /*v326*/
	s_set_vgpr_msb 0x41                     ;  msbs: dst=1 src0=1 src1=0 src2=0
	v_mul_i32_i24_e32 v6 /*v262*/, v92 /*v348*/, v242
	s_set_vgpr_msb 0x44                     ;  msbs: dst=1 src0=0 src1=1 src2=0
	v_mul_i32_i24_e32 v9 /*v265*/, v213, v103 /*v359*/
	s_set_vgpr_msb 4                        ;  msbs: dst=0 src0=0 src1=1 src2=0
	v_mul_i32_i24_e32 v213, v213, v106 /*v362*/
	s_set_vgpr_msb 0                        ;  msbs: dst=0 src0=0 src1=0 src2=0
	v_add3_u32 v153, v154, v153, v219
	v_add3_u32 v126, v140, v97, v95
	s_set_vgpr_msb 1                        ;  msbs: dst=0 src0=1 src1=0 src2=0
	v_mul_i32_i24_e32 v95, v63 /*v319*/, v221
	v_mul_i32_i24_e32 v97, v8 /*v264*/, v222
	s_set_vgpr_msb 16                       ;  msbs: dst=0 src0=0 src1=0 src2=1
	v_add3_u32 v132, v132, v250, v6 /*v262*/
	s_set_vgpr_msb 5                        ;  msbs: dst=0 src0=1 src1=1 src2=0
	v_mul_i32_i24_e32 v250, v140 /*v396*/, v143 /*v399*/
	s_set_vgpr_msb 64                       ;  msbs: dst=1 src0=0 src1=0 src2=0
	v_mul_i32_i24_e32 v6 /*v262*/, v129, v108
	s_set_vgpr_msb 1                        ;  msbs: dst=0 src0=1 src1=0 src2=0
	v_mul_i32_i24_e32 v154, v62 /*v318*/, v211
	v_add3_u32 v140, v61 /*v317*/, v97, v95
	s_set_vgpr_msb 5                        ;  msbs: dst=0 src0=1 src1=1 src2=0
	v_mul_i32_i24_e32 v95, v63 /*v319*/, v103 /*v359*/
	v_mul_i32_i24_e32 v97, v8 /*v264*/, v104 /*v360*/
	s_set_vgpr_msb 64                       ;  msbs: dst=1 src0=0 src1=0 src2=0
	v_bfe_i32 v61 /*v317*/, v94, 0, 8
	s_set_vgpr_msb 4                        ;  msbs: dst=0 src0=0 src1=1 src2=0
	v_cvt_f32_f16_e64 v94, v223
	v_mul_i32_i24_e32 v223, v228, v103 /*v359*/
	s_set_vgpr_msb 0x41                     ;  msbs: dst=1 src0=1 src1=0 src2=0
	v_mul_i32_i24_e32 v56 /*v312*/, v127 /*v383*/, v91
	s_set_vgpr_msb 1                        ;  msbs: dst=0 src0=1 src1=0 src2=0
	v_add3_u32 v155, v64 /*v320*/, v97, v95
	s_set_vgpr_msb 5                        ;  msbs: dst=0 src0=1 src1=1 src2=0
	v_mul_i32_i24_e32 v95, v63 /*v319*/, v106 /*v362*/
	v_mul_i32_i24_e32 v97, v8 /*v264*/, v118 /*v374*/
	s_set_vgpr_msb 0                        ;  msbs: dst=0 src0=0 src1=0 src2=0
	v_add3_u32 v223, v231, v225, v223
	s_set_vgpr_msb 5                        ;  msbs: dst=0 src0=1 src1=1 src2=0
	v_mul_i32_i24_e32 v225, v12 /*v268*/, v143 /*v399*/
	s_set_vgpr_msb 1                        ;  msbs: dst=0 src0=1 src1=0 src2=0
	v_mul_i32_i24_e32 v231, v27 /*v283*/, v108
	s_set_vgpr_msb 20                       ;  msbs: dst=0 src0=0 src1=1 src2=1
	v_add3_u32 v104, v104, v9 /*v265*/, v15 /*v271*/
	s_set_vgpr_msb 1                        ;  msbs: dst=0 src0=1 src1=0 src2=0
	v_add3_u32 v232, v66 /*v322*/, v97, v95
	s_set_vgpr_msb 0                        ;  msbs: dst=0 src0=0 src1=0 src2=0
	v_mul_i32_i24_e32 v95, v128, v229
	s_set_vgpr_msb 5                        ;  msbs: dst=0 src0=1 src1=1 src2=0
	v_mul_i32_i24_e32 v97, v43 /*v299*/, v70 /*v326*/
	s_set_vgpr_msb 0                        ;  msbs: dst=0 src0=0 src1=0 src2=0
	v_mul_i32_i24_e32 v229, v133, v106
	v_add3_u32 v121, v121, v225, v231
	s_set_vgpr_msb 5                        ;  msbs: dst=0 src0=1 src1=1 src2=0
	v_mul_i32_i24_e32 v225, v140 /*v396*/, v26 /*v282*/
	s_set_vgpr_msb 0                        ;  msbs: dst=0 src0=0 src1=0 src2=0
	v_mul_i32_i24_e32 v231, v129, v106
	v_add3_u32 v128, v142, v97, v95
	s_set_vgpr_msb 1                        ;  msbs: dst=0 src0=1 src1=0 src2=0
	v_mul_i32_i24_e32 v95, v74 /*v330*/, v221
	v_mul_i32_i24_e32 v97, v130 /*v386*/, v222
	s_set_vgpr_msb 0                        ;  msbs: dst=0 src0=0 src1=0 src2=0
	v_mul_i32_i24_e32 v221, v228, v221
	v_mul_i32_i24_e32 v222, v227, v222
	s_set_vgpr_msb 4                        ;  msbs: dst=0 src0=0 src1=1 src2=0
	v_mul_i32_i24_e32 v227, v227, v118 /*v374*/
	s_set_vgpr_msb 0                        ;  msbs: dst=0 src0=0 src1=0 src2=0
	v_add3_u32 v155, v155, v225, v231
	s_set_vgpr_msb 1                        ;  msbs: dst=0 src0=1 src1=0 src2=0
	v_add3_u32 v142, v42 /*v298*/, v97, v95
	s_set_vgpr_msb 5                        ;  msbs: dst=0 src0=1 src1=1 src2=0
	v_mul_i32_i24_e32 v95, v74 /*v330*/, v103 /*v359*/
	v_mul_i32_i24_e32 v97, v130 /*v386*/, v104 /*v360*/
	s_set_vgpr_msb 0                        ;  msbs: dst=0 src0=0 src1=0 src2=0
	v_add3_u32 v221, v230, v222, v221
	s_set_vgpr_msb 5                        ;  msbs: dst=0 src0=1 src1=1 src2=0
	v_mul_i32_i24_e32 v222, v12 /*v268*/, v26 /*v282*/
	s_set_vgpr_msb 1                        ;  msbs: dst=0 src0=1 src1=0 src2=0
	v_mul_i32_i24_e32 v230, v27 /*v283*/, v106
	s_set_vgpr_msb 0x41                     ;  msbs: dst=1 src0=1 src1=0 src2=0
	v_mul_i32_i24_e32 v42 /*v298*/, v124 /*v380*/, v242
	s_set_vgpr_msb 1                        ;  msbs: dst=0 src0=1 src1=0 src2=0
	v_add3_u32 v233, v71 /*v327*/, v97, v95
	s_set_vgpr_msb 5                        ;  msbs: dst=0 src0=1 src1=1 src2=0
	v_mul_i32_i24_e32 v95, v74 /*v330*/, v106 /*v362*/
	v_mul_i32_i24_e32 v97, v130 /*v386*/, v118 /*v374*/
	s_set_vgpr_msb 0                        ;  msbs: dst=0 src0=0 src1=0 src2=0
	v_add3_u32 v120, v120, v222, v230
	s_set_vgpr_msb 1                        ;  msbs: dst=0 src0=1 src1=0 src2=0
	v_mul_i32_i24_e32 v222, v140 /*v396*/, v215
	s_set_vgpr_msb 0                        ;  msbs: dst=0 src0=0 src1=0 src2=0
	v_mul_i32_i24_e32 v230, v129, v216
	s_set_vgpr_msb 5                        ;  msbs: dst=0 src0=1 src1=1 src2=0
	v_mul_i32_i24_e32 v231, v151 /*v407*/, v13 /*v269*/
	s_set_vgpr_msb 1                        ;  msbs: dst=0 src0=1 src1=0 src2=0
	v_add3_u32 v236, v73 /*v329*/, v97, v95
	s_set_vgpr_msb 0                        ;  msbs: dst=0 src0=0 src1=0 src2=0
	v_cvt_f32_f16_e64 v95, v224
	s_set_vgpr_msb 5                        ;  msbs: dst=0 src0=1 src1=1 src2=0
	v_mul_i32_i24_e32 v224, v50 /*v306*/, v70 /*v326*/
	s_set_vgpr_msb 4                        ;  msbs: dst=0 src0=0 src1=1 src2=0
	v_cvt_f32_f16_e64 v97, v226
	v_mul_i32_i24_e32 v226, v228, v106 /*v362*/
	s_set_vgpr_msb 5                        ;  msbs: dst=0 src0=1 src1=1 src2=0
	v_mul_i32_i24_e32 v228, v17 /*v273*/, v26 /*v282*/
	s_set_vgpr_msb 0                        ;  msbs: dst=0 src0=0 src1=0 src2=0
	v_add3_u32 v140, v140, v222, v230
	v_add3_u32 v98, v144, v224, v98
	s_set_vgpr_msb 1                        ;  msbs: dst=0 src0=1 src1=0 src2=0
	v_mul_i32_i24_e32 v144, v17 /*v273*/, v215
	s_set_vgpr_msb 0                        ;  msbs: dst=0 src0=0 src1=0 src2=0
	v_mul_i32_i24_e32 v224, v133, v216
	v_add3_u32 v107, v107, v227, v226
	s_set_vgpr_msb 1                        ;  msbs: dst=0 src0=1 src1=0 src2=0
	v_mul_i32_i24_e32 v226, v137 /*v393*/, v215
	s_set_vgpr_msb 0                        ;  msbs: dst=0 src0=0 src1=0 src2=0
	v_mul_i32_i24_e32 v227, v125, v216
	v_add3_u32 v113, v113, v228, v229
	v_add3_u32 v111, v111, v144, v224
	s_set_vgpr_msb 5                        ;  msbs: dst=0 src0=1 src1=1 src2=0
	v_mul_i32_i24_e32 v144, v137 /*v393*/, v26 /*v282*/
	s_set_vgpr_msb 0                        ;  msbs: dst=0 src0=0 src1=0 src2=0
	v_mul_i32_i24_e32 v224, v125, v106
	s_set_vgpr_msb 5                        ;  msbs: dst=0 src0=1 src1=1 src2=0
	v_mul_i32_i24_e32 v228, v137 /*v393*/, v143 /*v399*/
	s_set_vgpr_msb 0                        ;  msbs: dst=0 src0=0 src1=0 src2=0
	v_mul_i32_i24_e32 v229, v125, v108
	v_add3_u32 v118, v118, v226, v227
	s_set_vgpr_msb 1                        ;  msbs: dst=0 src0=1 src1=0 src2=0
	v_mul_i32_i24_e32 v226, v142 /*v398*/, v215
	s_set_vgpr_msb 0                        ;  msbs: dst=0 src0=0 src1=0 src2=0
	v_mul_i32_i24_e32 v227, v131, v216
	v_add3_u32 v136, v136, v144, v224
	s_set_vgpr_msb 5                        ;  msbs: dst=0 src0=1 src1=1 src2=0
	v_mul_i32_i24_e32 v144, v142 /*v398*/, v26 /*v282*/
	s_set_vgpr_msb 0                        ;  msbs: dst=0 src0=0 src1=0 src2=0
	v_mul_i32_i24_e32 v224, v131, v106
	v_add3_u32 v146, v146, v228, v229
	s_set_vgpr_msb 5                        ;  msbs: dst=0 src0=1 src1=1 src2=0
	v_mul_i32_i24_e32 v228, v142 /*v398*/, v143 /*v399*/
	s_set_vgpr_msb 0                        ;  msbs: dst=0 src0=0 src1=0 src2=0
	v_mul_i32_i24_e32 v229, v131, v108
	s_set_vgpr_msb 1                        ;  msbs: dst=0 src0=1 src1=0 src2=0
	v_mul_i32_i24_e32 v230, v46 /*v302*/, v91
	s_set_vgpr_msb 0x41                     ;  msbs: dst=1 src0=1 src1=0 src2=0
	v_mul_i32_i24_e32 v46 /*v302*/, v98 /*v354*/, v242
	s_set_vgpr_msb 1                        ;  msbs: dst=0 src0=1 src1=0 src2=0
	v_mul_i32_i24_e32 v242, v16 /*v272*/, v242
	v_mul_i32_i24_e32 v215, v5 /*v261*/, v215
	s_set_vgpr_msb 0                        ;  msbs: dst=0 src0=0 src1=0 src2=0
	v_mul_i32_i24_e32 v216, v220, v216
	s_set_vgpr_msb 0x45                     ;  msbs: dst=1 src0=1 src1=1 src2=0
	v_mul_i32_i24_e32 v26 /*v282*/, v5 /*v261*/, v26 /*v282*/
	s_set_vgpr_msb 16                       ;  msbs: dst=0 src0=0 src1=0 src2=1
	v_add3_u32 v232, v232, v250, v6 /*v262*/
	s_set_vgpr_msb 5                        ;  msbs: dst=0 src0=1 src1=1 src2=0
	v_mul_i32_i24_e32 v250, v67 /*v323*/, v37 /*v293*/
	s_set_vgpr_msb 0x45                     ;  msbs: dst=1 src0=1 src1=1 src2=0
	v_mul_i32_i24_e32 v6 /*v262*/, v151 /*v407*/, v44 /*v300*/
	s_set_vgpr_msb 20                       ;  msbs: dst=0 src0=0 src1=1 src2=1
	v_add3_u32 v128, v128, v7 /*v263*/, v46 /*v302*/
	s_set_vgpr_msb 0x45                     ;  msbs: dst=1 src0=1 src1=1 src2=0
	v_mul_i32_i24_e32 v7 /*v263*/, v67 /*v323*/, v47 /*v303*/
	s_set_vgpr_msb 0x41                     ;  msbs: dst=1 src0=1 src1=0 src2=0
	v_mul_i32_i24_e32 v50 /*v306*/, v133 /*v389*/, v90
	s_set_vgpr_msb 0                        ;  msbs: dst=0 src0=0 src1=0 src2=0
	v_add3_u32 v142, v142, v226, v227
	s_set_vgpr_msb 1                        ;  msbs: dst=0 src0=1 src1=0 src2=0
	v_mul_i32_i24_e32 v226, v79 /*v335*/, v211
	s_set_vgpr_msb 5                        ;  msbs: dst=0 src0=1 src1=1 src2=0
	v_mul_i32_i24_e32 v227, v133 /*v389*/, v13 /*v269*/
	s_set_vgpr_msb 0                        ;  msbs: dst=0 src0=0 src1=0 src2=0
	v_add3_u32 v144, v233, v144, v224
	s_set_vgpr_msb 5                        ;  msbs: dst=0 src0=1 src1=1 src2=0
	v_mul_i32_i24_e32 v224, v79 /*v335*/, v37 /*v293*/
	v_mul_i32_i24_e32 v233, v133 /*v389*/, v44 /*v300*/
	s_set_vgpr_msb 0                        ;  msbs: dst=0 src0=0 src1=0 src2=0
	v_add3_u32 v228, v236, v228, v229
	s_set_vgpr_msb 5                        ;  msbs: dst=0 src0=1 src1=1 src2=0
	v_mul_i32_i24_e32 v229, v79 /*v335*/, v47 /*v303*/
	s_set_vgpr_msb 0                        ;  msbs: dst=0 src0=0 src1=0 src2=0
	v_add3_u32 v98, v98, v217, v242
	s_set_vgpr_msb 5                        ;  msbs: dst=0 src0=1 src1=1 src2=0
	v_mul_i32_i24_e32 v217, v152 /*v408*/, v13 /*v269*/
	v_mul_i32_i24_e32 v242, v89 /*v345*/, v37 /*v293*/
	s_set_vgpr_msb 0x41                     ;  msbs: dst=1 src0=1 src1=0 src2=0
	v_mul_i32_i24_e32 v9 /*v265*/, v153 /*v409*/, v90
	v_mul_i32_i24_e32 v15 /*v271*/, v48 /*v304*/, v211
	s_set_vgpr_msb 0x45                     ;  msbs: dst=1 src0=1 src1=1 src2=0
	v_mul_i32_i24_e32 v5 /*v261*/, v5 /*v261*/, v143 /*v399*/
	s_set_vgpr_msb 0                        ;  msbs: dst=0 src0=0 src1=0 src2=0
	v_mul_i32_i24_e32 v220, v220, v108
	s_set_vgpr_msb 4                        ;  msbs: dst=0 src0=0 src1=1 src2=0
	v_mul_i32_i24_e32 v249, v244, v47 /*v303*/
	s_set_vgpr_msb 5                        ;  msbs: dst=0 src0=1 src1=1 src2=0
	v_mul_i32_i24_e32 v219, v150 /*v406*/, v13 /*v269*/
	s_set_vgpr_msb 20                       ;  msbs: dst=0 src0=0 src1=1 src2=1
	v_add3_u32 v126, v126, v0 /*v256*/, v42 /*v298*/
	s_set_vgpr_msb 0x45                     ;  msbs: dst=1 src0=1 src1=1 src2=0
	v_mul_i32_i24_e32 v0 /*v256*/, v62 /*v318*/, v37 /*v293*/
	v_mul_i32_i24_e32 v42 /*v298*/, v150 /*v406*/, v44 /*v300*/
	s_set_vgpr_msb 5                        ;  msbs: dst=0 src0=1 src1=1 src2=0
	v_mul_i32_i24_e32 v222, v62 /*v318*/, v47 /*v303*/
	s_set_vgpr_msb 0x41                     ;  msbs: dst=1 src0=1 src1=0 src2=0
	v_mul_i32_i24_e32 v43 /*v299*/, v151 /*v407*/, v90
	s_set_vgpr_msb 1                        ;  msbs: dst=0 src0=1 src1=0 src2=0
	v_mul_i32_i24_e32 v225, v67 /*v323*/, v211
	s_set_vgpr_msb 0x41                     ;  msbs: dst=1 src0=1 src1=0 src2=0
	v_mul_i32_i24_e32 v46 /*v302*/, v125 /*v381*/, v91
	s_set_vgpr_msb 1                        ;  msbs: dst=0 src0=1 src1=0 src2=0
	v_mul_i32_i24_e32 v236, v126 /*v382*/, v91
	s_set_vgpr_msb 0x41                     ;  msbs: dst=1 src0=1 src1=0 src2=0
	v_mul_i32_i24_e32 v16 /*v272*/, v89 /*v345*/, v211
	s_set_vgpr_msb 0x44                     ;  msbs: dst=1 src0=0 src1=1 src2=0
	v_mul_i32_i24_e32 v64 /*v320*/, v209, v104 /*v360*/
	s_set_vgpr_msb 4                        ;  msbs: dst=0 src0=0 src1=1 src2=0
	v_mul_i32_i24_e32 v209, v209, v118 /*v374*/
	s_set_vgpr_msb 0                        ;  msbs: dst=0 src0=0 src1=0 src2=0
	v_mul_i32_i24_e32 v106, v207, v106
	v_mul_i32_i24_e32 v108, v207, v108
	s_set_vgpr_msb 64                       ;  msbs: dst=1 src0=0 src1=0 src2=0
	v_mul_i32_i24_e32 v66 /*v322*/, v135, v90
	s_set_vgpr_msb 0                        ;  msbs: dst=0 src0=0 src1=0 src2=0
	v_mul_i32_i24_e32 v211, v114, v211
	v_add3_u32 v130, v130, v213, v212
	s_set_vgpr_msb 4                        ;  msbs: dst=0 src0=0 src1=1 src2=0
	v_mul_i32_i24_e32 v212, v135, v13 /*v269*/
	v_mul_i32_i24_e32 v213, v114, v37 /*v293*/
	v_pk_mul_f32 v[90:91], v[122:123], s[4:5] op_sel_hi:[1,0]
	s_set_vgpr_msb 0                        ;  msbs: dst=0 src0=0 src1=0 src2=0
	v_add3_u32 v122, v221, v215, v216
	s_set_vgpr_msb 20                       ;  msbs: dst=0 src0=0 src1=1 src2=1
	v_add3_u32 v216, v223, v26 /*v282*/, v29 /*v285*/
	s_set_vgpr_msb 0x41                     ;  msbs: dst=1 src0=1 src1=0 src2=0
	v_mul_i32_i24_e32 v26 /*v282*/, v101 /*v357*/, v210
	v_mul_i32_i24_e32 v29 /*v285*/, v102 /*v358*/, v208
	s_set_vgpr_msb 0                        ;  msbs: dst=0 src0=0 src1=0 src2=0
	v_add3_u32 v147, v117, v255, v147
	s_set_vgpr_msb 16                       ;  msbs: dst=0 src0=0 src1=0 src2=1
	v_add3_u32 v154, v119, v154, v41 /*v297*/
	s_set_vgpr_msb 0x41                     ;  msbs: dst=1 src0=1 src1=0 src2=0
	v_mul_i32_i24_e32 v41 /*v297*/, v3 /*v259*/, v151
	v_mul_i32_i24_e32 v92 /*v348*/, v30 /*v286*/, v240
	s_set_vgpr_msb 0                        ;  msbs: dst=0 src0=0 src1=0 src2=0
	v_add3_u32 v230, v132, v230, v137
	s_set_vgpr_msb 0x41                     ;  msbs: dst=1 src0=1 src1=0 src2=0
	v_mul_i32_i24_e32 v102 /*v358*/, v4 /*v260*/, v151
	v_mul_i32_i24_e32 v103 /*v359*/, v10 /*v266*/, v240
	s_set_vgpr_msb 0                        ;  msbs: dst=0 src0=0 src1=0 src2=0
	v_add3_u32 v231, v136, v250, v231
	s_set_vgpr_msb 20                       ;  msbs: dst=0 src0=0 src1=1 src2=1
	v_add3_u32 v146, v146, v7 /*v263*/, v6 /*v262*/
	s_set_vgpr_msb 0x41                     ;  msbs: dst=1 src0=1 src1=0 src2=0
	v_mul_i32_i24_e32 v6 /*v262*/, v38 /*v294*/, v151
	v_mul_i32_i24_e32 v7 /*v263*/, v45 /*v301*/, v240
	;; [unrolled: 1-line block ×4, first 2 shown]
	s_set_vgpr_msb 16                       ;  msbs: dst=0 src0=0 src1=0 src2=1
	v_add3_u32 v226, v115, v226, v50 /*v306*/
	s_set_vgpr_msb 0x41                     ;  msbs: dst=1 src0=1 src1=0 src2=0
	v_mul_i32_i24_e32 v50 /*v306*/, v49 /*v305*/, v203
	s_set_vgpr_msb 0                        ;  msbs: dst=0 src0=0 src1=0 src2=0
	v_add3_u32 v224, v138, v224, v227
	v_add3_u32 v199, v153, v229, v233
	;; [unrolled: 1-line block ×3, first 2 shown]
	s_set_vgpr_msb 20                       ;  msbs: dst=0 src0=0 src1=1 src2=1
	v_add3_u32 v217, v232, v55 /*v311*/, v18 /*v274*/
	s_set_vgpr_msb 4                        ;  msbs: dst=0 src0=0 src1=1 src2=0
	v_add3_u32 v229, v128, v56 /*v312*/, v143
	s_set_vgpr_msb 20                       ;  msbs: dst=0 src0=0 src1=1 src2=1
	v_add3_u32 v232, v142, v15 /*v271*/, v9 /*v265*/
	s_set_vgpr_msb 1                        ;  msbs: dst=0 src0=1 src1=0 src2=0
	v_mul_i32_i24_e32 v123, v22 /*v278*/, v203
	s_set_vgpr_msb 4                        ;  msbs: dst=0 src0=0 src1=1 src2=0
	v_add3_u32 v107, v107, v5 /*v261*/, v220
	s_set_vgpr_msb 5                        ;  msbs: dst=0 src0=1 src1=1 src2=0
	v_mul_i32_i24_e32 v220, v22 /*v278*/, v14 /*v270*/
	s_set_vgpr_msb 0x45                     ;  msbs: dst=1 src0=1 src1=1 src2=0
	v_mul_i32_i24_e32 v5 /*v261*/, v36 /*v292*/, v33 /*v289*/
	s_set_vgpr_msb 16                       ;  msbs: dst=0 src0=0 src1=0 src2=1
	v_add3_u32 v254, v111, v254, v34 /*v290*/
	s_set_vgpr_msb 0x50                     ;  msbs: dst=1 src0=0 src1=0 src2=1
	v_mul_i32_i24_e32 v34 /*v290*/, v253, v203
	v_add3_u32 v35 /*v291*/, v113, v116, v35 /*v291*/
	s_set_vgpr_msb 0                        ;  msbs: dst=0 src0=0 src1=0 src2=0
	v_add3_u32 v218, v105, v249, v218
	s_set_vgpr_msb 4                        ;  msbs: dst=0 src0=0 src1=1 src2=0
	v_mul_i32_i24_e32 v249, v253, v14 /*v270*/
	s_set_vgpr_msb 0x45                     ;  msbs: dst=1 src0=1 src1=1 src2=0
	v_mul_i32_i24_e32 v73 /*v329*/, v20 /*v276*/, v33 /*v289*/
	s_set_vgpr_msb 1                        ;  msbs: dst=0 src0=1 src1=0 src2=0
	v_mul_i32_i24_e32 v255, v3 /*v259*/, v203
	s_set_vgpr_msb 4                        ;  msbs: dst=0 src0=0 src1=1 src2=0
	v_add3_u32 v219, v120, v0 /*v256*/, v219
	s_set_vgpr_msb 0x45                     ;  msbs: dst=1 src0=1 src1=1 src2=0
	v_mul_i32_i24_e32 v0 /*v256*/, v3 /*v259*/, v14 /*v270*/
	v_mul_i32_i24_e32 v98 /*v354*/, v30 /*v286*/, v33 /*v289*/
	s_set_vgpr_msb 16                       ;  msbs: dst=0 src0=0 src1=0 src2=1
	v_add3_u32 v222, v121, v222, v42 /*v298*/
	s_set_vgpr_msb 0x41                     ;  msbs: dst=1 src0=1 src1=0 src2=0
	v_mul_i32_i24_e32 v42 /*v298*/, v4 /*v260*/, v203
	s_set_vgpr_msb 16                       ;  msbs: dst=0 src0=0 src1=0 src2=1
	v_add3_u32 v225, v118, v225, v43 /*v299*/
	s_set_vgpr_msb 0x45                     ;  msbs: dst=1 src0=1 src1=1 src2=0
	v_mul_i32_i24_e32 v43 /*v299*/, v4 /*v260*/, v14 /*v270*/
	v_mul_i32_i24_e32 v104 /*v360*/, v10 /*v266*/, v33 /*v289*/
	s_set_vgpr_msb 1                        ;  msbs: dst=0 src0=1 src1=0 src2=0
	v_mul_i32_i24_e32 v250, v38 /*v294*/, v203
	s_set_vgpr_msb 0x45                     ;  msbs: dst=1 src0=1 src1=1 src2=0
	v_mul_i32_i24_e32 v106 /*v362*/, v38 /*v294*/, v14 /*v270*/
	v_mul_i32_i24_e32 v112 /*v368*/, v49 /*v305*/, v14 /*v270*/
	;; [unrolled: 1-line block ×3, first 2 shown]
	s_set_vgpr_msb 0x44                     ;  msbs: dst=1 src0=0 src1=1 src2=0
	v_mul_i32_i24_e32 v13 /*v269*/, v201, v13 /*v269*/
	v_mul_i32_i24_e32 v118 /*v374*/, v201, v44 /*v300*/
	s_set_vgpr_msb 64                       ;  msbs: dst=1 src0=0 src1=0 src2=0
	v_mul_i32_i24_e32 v125 /*v381*/, v112, v151
	s_set_vgpr_msb 0x44                     ;  msbs: dst=1 src0=0 src1=1 src2=0
	v_mul_i32_i24_e32 v14 /*v270*/, v112, v14 /*v270*/
	v_mul_i32_i24_e32 v127 /*v383*/, v110, v33 /*v289*/
	s_set_vgpr_msb 0                        ;  msbs: dst=0 src0=0 src1=0 src2=0
	v_add3_u32 v201, v126, v236, v141
	s_set_vgpr_msb 20                       ;  msbs: dst=0 src0=0 src1=1 src2=1
	v_add3_u32 v203, v140, v16 /*v272*/, v52 /*v308*/
	s_set_vgpr_msb 0x41                     ;  msbs: dst=1 src0=1 src1=0 src2=0
	v_mul_i32_i24_e32 v193 /*v449*/, v27 /*v283*/, v205
	s_set_vgpr_msb 64                       ;  msbs: dst=1 src0=0 src1=0 src2=0
	v_mul_i32_i24_e32 v198 /*v454*/, v125, v205
	s_set_vgpr_msb 4                        ;  msbs: dst=0 src0=0 src1=1 src2=0
	v_add3_u32 v236, v98, v58 /*v314*/, v145
	s_set_vgpr_msb 16                       ;  msbs: dst=0 src0=0 src1=0 src2=1
	v_add3_u32 v242, v104, v106, v64 /*v320*/
	s_set_vgpr_msb 64                       ;  msbs: dst=1 src0=0 src1=0 src2=0
	v_mul_i32_i24_e32 v205 /*v461*/, v127, v205
	v_add3_u32 v9 /*v265*/, v130, v108, v209
	s_set_vgpr_msb 0x50                     ;  msbs: dst=1 src0=0 src1=0 src2=1
	v_add3_u32 v15 /*v271*/, v122, v211, v66 /*v322*/
	s_set_vgpr_msb 64                       ;  msbs: dst=1 src0=0 src1=0 src2=0
	v_add3_u32 v16 /*v272*/, v216, v213, v212
	s_set_vgpr_msb 0                        ;  msbs: dst=0 src0=0 src1=0 src2=0
	v_mul_i32_i24_e32 v106, v129, v205
	v_mul_i32_i24_e32 v112, v131, v205
	s_set_vgpr_msb 4                        ;  msbs: dst=0 src0=0 src1=1 src2=0
	v_mul_i32_i24_e32 v116, v197, v33 /*v289*/
	s_set_vgpr_msb 0x54                     ;  msbs: dst=1 src0=0 src1=1 src2=1
	v_add3_u32 v26 /*v282*/, v147, v29 /*v285*/, v26 /*v282*/
	s_set_vgpr_msb 0                        ;  msbs: dst=0 src0=0 src1=0 src2=0
	v_mul_i32_i24_e32 v130, v244, v198
	s_set_vgpr_msb 0x54                     ;  msbs: dst=1 src0=0 src1=1 src2=1
	v_add3_u32 v58 /*v314*/, v230, v77 /*v333*/, v76 /*v332*/
	v_add3_u32 v66 /*v322*/, v231, v41 /*v297*/, v92 /*v348*/
	;; [unrolled: 1-line block ×3, first 2 shown]
	s_set_vgpr_msb 1                        ;  msbs: dst=0 src0=1 src1=0 src2=0
	v_mul_i32_i24_e32 v205, v165 /*v421*/, v238
	s_set_vgpr_msb 0x54                     ;  msbs: dst=1 src0=0 src1=1 src2=1
	v_add3_u32 v148 /*v404*/, v208, v6 /*v262*/, v7 /*v263*/
	v_add3_u32 v33 /*v289*/, v229, v8 /*v264*/, v63 /*v319*/
	s_set_vgpr_msb 1                        ;  msbs: dst=0 src0=1 src1=0 src2=0
	v_mul_i32_i24_e32 v216, v167 /*v423*/, v238
	s_set_vgpr_msb 0x54                     ;  msbs: dst=1 src0=0 src1=1 src2=1
	v_add3_u32 v41 /*v297*/, v232, v50 /*v306*/, v109 /*v365*/
	s_set_vgpr_msb 1                        ;  msbs: dst=0 src0=1 src1=0 src2=0
	v_mul_i32_i24_e32 v224, v169 /*v425*/, v238
	v_mul_i32_i24_e32 v232, v94 /*v350*/, v238
	;; [unrolled: 1-line block ×3, first 2 shown]
	s_set_vgpr_msb 0x41                     ;  msbs: dst=1 src0=1 src1=0 src2=0
	v_mul_i32_i24_e32 v8 /*v264*/, v61 /*v317*/, v238
	v_mul_i32_i24_e32 v6 /*v262*/, v54 /*v310*/, v238
	s_set_vgpr_msb 5                        ;  msbs: dst=0 src0=1 src1=1 src2=0
	v_mul_i32_i24_e32 v238, v17 /*v273*/, v116 /*v372*/
	v_mul_i32_i24_e32 v214, v48 /*v304*/, v37 /*v293*/
	s_set_vgpr_msb 0x45                     ;  msbs: dst=1 src0=1 src1=1 src2=0
	v_mul_i32_i24_e32 v65 /*v321*/, v153 /*v409*/, v44 /*v300*/
	s_set_vgpr_msb 5                        ;  msbs: dst=0 src0=1 src1=1 src2=0
	v_mul_i32_i24_e32 v207, v48 /*v304*/, v47 /*v303*/
	s_set_vgpr_msb 4                        ;  msbs: dst=0 src0=0 src1=1 src2=0
	v_mul_i32_i24_e32 v135, v135, v44 /*v300*/
	v_mul_i32_i24_e32 v114, v114, v47 /*v303*/
	s_set_vgpr_msb 1                        ;  msbs: dst=0 src0=1 src1=0 src2=0
	v_mul_i32_i24_e32 v215, v36 /*v292*/, v206
	v_mul_i32_i24_e32 v221, v22 /*v278*/, v151
	;; [unrolled: 1-line block ×3, first 2 shown]
	s_set_vgpr_msb 0x41                     ;  msbs: dst=1 src0=1 src1=0 src2=0
	v_mul_i32_i24_e32 v68 /*v324*/, v20 /*v276*/, v206
	s_set_vgpr_msb 64                       ;  msbs: dst=1 src0=0 src1=0 src2=0
	v_mul_i32_i24_e32 v70 /*v326*/, v253, v151
	s_set_vgpr_msb 0x41                     ;  msbs: dst=1 src0=1 src1=0 src2=0
	v_mul_i32_i24_e32 v71 /*v327*/, v20 /*v276*/, v240
	v_mul_i32_i24_e32 v91 /*v347*/, v30 /*v286*/, v206
	;; [unrolled: 1-line block ×3, first 2 shown]
	s_set_vgpr_msb 0x44                     ;  msbs: dst=1 src0=0 src1=1 src2=0
	v_add3_u32 v46 /*v302*/, v124, v46 /*v302*/, v139
	s_set_vgpr_msb 64                       ;  msbs: dst=1 src0=0 src1=0 src2=0
	v_mul_i32_i24_e32 v124 /*v380*/, v110, v206
	v_mul_i32_i24_e32 v126 /*v382*/, v110, v240
	s_set_vgpr_msb 0                        ;  msbs: dst=0 src0=0 src1=0 src2=0
	v_cvt_f32_i32_e32 v110, v243
	v_cvt_f32_i32_e32 v111, v109
	s_set_vgpr_msb 0x51                     ;  msbs: dst=1 src0=1 src1=0 src2=1
	v_add3_u32 v102 /*v358*/, v26 /*v282*/, v238, v187 /*v443*/
	s_set_vgpr_msb 5                        ;  msbs: dst=0 src0=1 src1=1 src2=0
	v_mul_i32_i24_e32 v238, v12 /*v268*/, v116 /*v372*/
	s_set_vgpr_msb 64                       ;  msbs: dst=1 src0=0 src1=0 src2=0
	v_mul_i32_i24_e32 v60 /*v316*/, v197, v206
	v_bfe_i32 v177 /*v433*/, v102, 16, 8
	s_set_vgpr_msb 0                        ;  msbs: dst=0 src0=0 src1=0 src2=0
	v_mul_i32_i24_e32 v235, v235, v210
	s_set_vgpr_msb 0x41                     ;  msbs: dst=1 src0=1 src1=0 src2=0
	v_mul_i32_i24_e32 v105 /*v361*/, v45 /*v301*/, v206
	s_set_vgpr_msb 1                        ;  msbs: dst=0 src0=1 src1=0 src2=0
	v_mul_i32_i24_e32 v227, v49 /*v305*/, v151
	s_set_vgpr_msb 0x41                     ;  msbs: dst=1 src0=1 src1=0 src2=0
	v_mul_i32_i24_e32 v111 /*v367*/, v51 /*v307*/, v240
	v_mul_i32_i24_e32 v74 /*v330*/, v74 /*v330*/, v210
	;; [unrolled: 1-line block ×4, first 2 shown]
	s_set_vgpr_msb 0x45                     ;  msbs: dst=1 src0=1 src1=1 src2=0
	v_mul_i32_i24_e32 v143 /*v399*/, v69 /*v325*/, v53 /*v309*/
	v_mul_i32_i24_e32 v186 /*v442*/, v72 /*v328*/, v81 /*v337*/
	s_set_vgpr_msb 0x41                     ;  msbs: dst=1 src0=1 src1=0 src2=0
	v_mul_i32_i24_e32 v188 /*v444*/, v40 /*v296*/, v148
	v_mul_i32_i24_e32 v189 /*v445*/, v82 /*v338*/, v149
	;; [unrolled: 1-line block ×4, first 2 shown]
	s_set_vgpr_msb 16                       ;  msbs: dst=0 src0=0 src1=0 src2=1
	v_add3_u32 v233, v144, v214, v59 /*v315*/
	s_set_vgpr_msb 0x45                     ;  msbs: dst=1 src0=1 src1=1 src2=0
	v_mul_i32_i24_e32 v59 /*v315*/, v83 /*v339*/, v75 /*v331*/
	v_mul_i32_i24_e32 v196 /*v452*/, v86 /*v342*/, v78 /*v334*/
	s_set_vgpr_msb 16                       ;  msbs: dst=0 src0=0 src1=0 src2=1
	v_add3_u32 v228, v228, v207, v65 /*v321*/
	s_set_vgpr_msb 0x45                     ;  msbs: dst=1 src0=1 src1=1 src2=0
	v_mul_i32_i24_e32 v65 /*v321*/, v83 /*v339*/, v53 /*v309*/
	v_mul_i32_i24_e32 v197 /*v453*/, v86 /*v342*/, v81 /*v337*/
	s_set_vgpr_msb 0x41                     ;  msbs: dst=1 src0=1 src1=0 src2=0
	v_mul_i32_i24_e32 v199 /*v455*/, v93 /*v349*/, v148
	v_mul_i32_i24_e32 v200 /*v456*/, v95 /*v351*/, v149
	s_set_vgpr_msb 4                        ;  msbs: dst=0 src0=0 src1=1 src2=0
	v_add3_u32 v234, v134, v31 /*v287*/, v234
	s_set_vgpr_msb 64                       ;  msbs: dst=1 src0=0 src1=0 src2=0
	v_add3_u32 v18 /*v274*/, v107, v114, v135
	s_set_vgpr_msb 0                        ;  msbs: dst=0 src0=0 src1=0 src2=0
	v_pk_fma_f32 v[110:111], v[88:89], v[110:111], v[90:91] neg_lo:[0,0,1] neg_hi:[0,0,1]
	s_set_vgpr_msb 4                        ;  msbs: dst=0 src0=0 src1=1 src2=0
	v_mul_i32_i24_e32 v109, v196, v37 /*v293*/
	s_set_vgpr_msb 0                        ;  msbs: dst=0 src0=0 src1=0 src2=0
	v_add3_u32 v254, v254, v123, v215
	s_set_vgpr_msb 0x41                     ;  msbs: dst=1 src0=1 src1=0 src2=0
	v_add3_u32 v27 /*v283*/, v35 /*v291*/, v221, v223
	s_set_vgpr_msb 0x50                     ;  msbs: dst=1 src0=0 src1=0 src2=1
	v_add3_u32 v31 /*v287*/, v218, v220, v5 /*v261*/
	s_set_vgpr_msb 0x54                     ;  msbs: dst=1 src0=0 src1=1 src2=1
	v_add3_u32 v34 /*v290*/, v154, v34 /*v290*/, v68 /*v324*/
	v_add3_u32 v35 /*v291*/, v219, v70 /*v326*/, v71 /*v327*/
	s_set_vgpr_msb 0x50                     ;  msbs: dst=1 src0=0 src1=0 src2=1
	v_add3_u32 v37 /*v293*/, v222, v249, v73 /*v329*/
	v_add3_u32 v64 /*v320*/, v225, v255, v91 /*v347*/
	s_set_vgpr_msb 0x54                     ;  msbs: dst=1 src0=0 src1=1 src2=1
	v_add3_u32 v68 /*v324*/, v146, v0 /*v256*/, v98 /*v354*/
	s_set_vgpr_msb 0x55                     ;  msbs: dst=1 src0=1 src1=1 src2=1
	v_add3_u32 v70 /*v326*/, v46 /*v302*/, v100 /*v356*/, v99 /*v355*/
	s_set_vgpr_msb 0x54                     ;  msbs: dst=1 src0=0 src1=1 src2=1
	v_add3_u32 v73 /*v329*/, v226, v42 /*v298*/, v101 /*v357*/
	v_add3_u32 v29 /*v285*/, v217, v106 /*v362*/, v108 /*v364*/
	s_set_vgpr_msb 0x51                     ;  msbs: dst=1 src0=1 src1=0 src2=1
	v_add3_u32 v108 /*v364*/, v58 /*v314*/, v238, v193 /*v449*/
	s_set_vgpr_msb 5                        ;  msbs: dst=0 src0=1 src1=1 src2=0
	v_mul_i32_i24_e32 v238, v137 /*v393*/, v116 /*v372*/
	s_set_vgpr_msb 64                       ;  msbs: dst=1 src0=0 src1=0 src2=0
	v_bfe_i32 v168 /*v424*/, v102, 8, 8
	s_set_vgpr_msb 0                        ;  msbs: dst=0 src0=0 src1=0 src2=0
	v_mul_i32_i24_e32 v103, v200, v148
	v_mul_i32_i24_e32 v101, v246, v202
	;; [unrolled: 1-line block ×3, first 2 shown]
	s_set_vgpr_msb 0x45                     ;  msbs: dst=1 src0=1 src1=1 src2=0
	v_mul_i32_i24_e32 v130 /*v386*/, v69 /*v325*/, v75 /*v331*/
	v_mul_i32_i24_e32 v136 /*v392*/, v72 /*v328*/, v78 /*v334*/
	;; [unrolled: 1-line block ×10, first 2 shown]
	s_set_vgpr_msb 1                        ;  msbs: dst=0 src0=1 src1=0 src2=0
	v_mul_i32_i24_e32 v98, v97 /*v353*/, v148
	s_set_vgpr_msb 0x41                     ;  msbs: dst=1 src0=1 src1=0 src2=0
	v_mul_i32_i24_e32 v145 /*v401*/, v120 /*v376*/, v149
	s_set_vgpr_msb 0x45                     ;  msbs: dst=1 src0=1 src1=1 src2=0
	v_mul_i32_i24_e32 v146 /*v402*/, v120 /*v376*/, v78 /*v334*/
	s_set_vgpr_msb 5                        ;  msbs: dst=0 src0=1 src1=1 src2=0
	v_mul_i32_i24_e32 v104, v97 /*v353*/, v53 /*v309*/
	v_mul_i32_i24_e32 v105, v120 /*v376*/, v81 /*v337*/
	s_set_vgpr_msb 1                        ;  msbs: dst=0 src0=1 src1=0 src2=0
	v_mul_i32_i24_e32 v107, v123 /*v379*/, v148
	v_mul_i32_i24_e32 v108, v131 /*v387*/, v149
	s_set_vgpr_msb 0                        ;  msbs: dst=0 src0=0 src1=0 src2=0
	v_pk_fma_f32 v[78:79], v[80:81], v[110:111], v[78:79] op_sel_hi:[0,1,1]
	s_set_vgpr_msb 5                        ;  msbs: dst=0 src0=1 src1=1 src2=0
	v_mul_i32_i24_e32 v111, v123 /*v379*/, v75 /*v331*/
	v_mul_i32_i24_e32 v113, v131 /*v387*/, v78 /*v334*/
	;; [unrolled: 1-line block ×3, first 2 shown]
	s_set_vgpr_msb 4                        ;  msbs: dst=0 src0=0 src1=1 src2=0
	v_mul_i32_i24_e32 v110, v196, v47 /*v303*/
	s_set_vgpr_msb 5                        ;  msbs: dst=0 src0=1 src1=1 src2=0
	v_mul_i32_i24_e32 v120, v131 /*v387*/, v81 /*v337*/
	s_set_vgpr_msb 0                        ;  msbs: dst=0 src0=0 src1=0 src2=0
	v_mul_i32_i24_e32 v115, v197, v240
	v_mul_i32_i24_e32 v118, v150, v149
	s_set_vgpr_msb 4                        ;  msbs: dst=0 src0=0 src1=1 src2=0
	v_mul_i32_i24_e32 v121, v150, v78 /*v334*/
	v_mul_i32_i24_e32 v122, v152, v53 /*v309*/
	;; [unrolled: 1-line block ×3, first 2 shown]
	s_set_vgpr_msb 1                        ;  msbs: dst=0 src0=1 src1=0 src2=0
	v_mul_i32_i24_e32 v125, v132 /*v388*/, v202
	s_set_vgpr_msb 5                        ;  msbs: dst=0 src0=1 src1=1 src2=0
	v_mul_i32_i24_e32 v129, v132 /*v388*/, v21 /*v277*/
	s_set_vgpr_msb 1                        ;  msbs: dst=0 src0=1 src1=0 src2=0
	v_mul_i32_i24_e32 v132, v134 /*v390*/, v202
	s_set_vgpr_msb 5                        ;  msbs: dst=0 src0=1 src1=1 src2=0
	v_mul_i32_i24_e32 v136, v134 /*v390*/, v21 /*v277*/
	s_set_vgpr_msb 1                        ;  msbs: dst=0 src0=1 src1=0 src2=0
	v_mul_i32_i24_e32 v137, v62 /*v318*/, v198
	v_mul_i32_i24_e32 v139, v138 /*v394*/, v202
	s_set_vgpr_msb 5                        ;  msbs: dst=0 src0=1 src1=1 src2=0
	v_mul_i32_i24_e32 v143, v138 /*v394*/, v21 /*v277*/
	s_set_vgpr_msb 1                        ;  msbs: dst=0 src0=1 src1=0 src2=0
	v_mul_i32_i24_e32 v144, v67 /*v323*/, v198
	;; [unrolled: 5-line block ×3, first 2 shown]
	v_mul_i32_i24_e32 v153, v162 /*v418*/, v202
	s_set_vgpr_msb 0x54                     ;  msbs: dst=1 src0=0 src1=1 src2=1
	v_add3_u32 v91 /*v347*/, v199, v43 /*v299*/, v104 /*v360*/
	s_set_vgpr_msb 5                        ;  msbs: dst=0 src0=1 src1=1 src2=0
	v_mul_i32_i24_e32 v196, v162 /*v418*/, v21 /*v277*/
	s_set_vgpr_msb 1                        ;  msbs: dst=0 src0=1 src1=0 src2=0
	v_mul_i32_i24_e32 v197, v89 /*v345*/, v198
	s_set_vgpr_msb 0x44                     ;  msbs: dst=1 src0=0 src1=1 src2=0
	v_add3_u32 v206 /*v462*/, v201, v39 /*v295*/, v235
	s_set_vgpr_msb 1                        ;  msbs: dst=0 src0=1 src1=0 src2=0
	v_mul_i32_i24_e32 v206, v164 /*v420*/, v202
	v_mul_i32_i24_e32 v198, v48 /*v304*/, v198
	s_set_vgpr_msb 4                        ;  msbs: dst=0 src0=0 src1=1 src2=0
	v_mul_i32_i24_e32 v199, v200, v75 /*v331*/
	v_mul_i32_i24_e32 v200, v200, v53 /*v309*/
	s_set_vgpr_msb 5                        ;  msbs: dst=0 src0=1 src1=1 src2=0
	v_mul_i32_i24_e32 v210, v164 /*v420*/, v21 /*v277*/
	s_set_vgpr_msb 0                        ;  msbs: dst=0 src0=0 src1=0 src2=0
	v_mul_i32_i24_e32 v202, v204, v202
	s_set_vgpr_msb 0x50                     ;  msbs: dst=1 src0=0 src1=0 src2=1
	v_add3_u32 v147 /*v403*/, v203, v250, v105 /*v361*/
	s_set_vgpr_msb 4                        ;  msbs: dst=0 src0=0 src1=1 src2=0
	v_mul_i32_i24_e32 v203, v204, v19 /*v275*/
	v_mul_i32_i24_e32 v204, v204, v21 /*v277*/
	s_set_vgpr_msb 1                        ;  msbs: dst=0 src0=1 src1=0 src2=0
	v_mul_i32_i24_e32 v209, v165 /*v421*/, v252
	s_set_vgpr_msb 5                        ;  msbs: dst=0 src0=1 src1=1 src2=0
	v_mul_i32_i24_e32 v212, v165 /*v421*/, v1 /*v257*/
	s_set_vgpr_msb 1                        ;  msbs: dst=0 src0=1 src1=0 src2=0
	v_mul_i32_i24_e32 v215, v36 /*v292*/, v251
	v_mul_i32_i24_e32 v218, v167 /*v423*/, v252
	s_set_vgpr_msb 0x50                     ;  msbs: dst=1 src0=0 src1=0 src2=1
	v_add3_u32 v44 /*v300*/, v233, v227, v111 /*v367*/
	s_set_vgpr_msb 5                        ;  msbs: dst=0 src0=1 src1=1 src2=0
	v_mul_i32_i24_e32 v220, v167 /*v423*/, v1 /*v257*/
	s_set_vgpr_msb 0x54                     ;  msbs: dst=1 src0=0 src1=1 src2=1
	v_add3_u32 v47 /*v303*/, v228, v112 /*v368*/, v114 /*v370*/
	s_set_vgpr_msb 1                        ;  msbs: dst=0 src0=1 src1=0 src2=0
	v_mul_i32_i24_e32 v223, v20 /*v276*/, v251
	s_set_vgpr_msb 0x54                     ;  msbs: dst=1 src0=0 src1=1 src2=1
	v_add3_u32 v52 /*v308*/, v236, v113 /*v369*/, v74 /*v330*/
	s_set_vgpr_msb 1                        ;  msbs: dst=0 src0=1 src1=0 src2=0
	v_mul_i32_i24_e32 v226, v169 /*v425*/, v252
	s_set_vgpr_msb 0x54                     ;  msbs: dst=1 src0=0 src1=1 src2=1
	v_add3_u32 v53 /*v309*/, v234, v60 /*v316*/, v57 /*v313*/
	s_set_vgpr_msb 5                        ;  msbs: dst=0 src0=1 src1=1 src2=0
	v_mul_i32_i24_e32 v228, v169 /*v425*/, v1 /*v257*/
	s_set_vgpr_msb 0x54                     ;  msbs: dst=1 src0=0 src1=1 src2=1
	v_add3_u32 v56 /*v312*/, v242, v13 /*v269*/, v119 /*v375*/
	s_set_vgpr_msb 1                        ;  msbs: dst=0 src0=1 src1=0 src2=0
	v_mul_i32_i24_e32 v230, v3 /*v259*/, v245
	v_mul_i32_i24_e32 v231, v30 /*v286*/, v251
	s_set_vgpr_msb 0x55                     ;  msbs: dst=1 src0=1 src1=1 src2=1
	v_add3_u32 v62 /*v318*/, v9 /*v265*/, v118 /*v374*/, v121 /*v377*/
	s_set_vgpr_msb 1                        ;  msbs: dst=0 src0=1 src1=0 src2=0
	v_mul_i32_i24_e32 v234, v94 /*v350*/, v252
	s_set_vgpr_msb 0x55                     ;  msbs: dst=1 src0=1 src1=1 src2=1
	v_add3_u32 v67 /*v323*/, v15 /*v271*/, v122 /*v378*/, v124 /*v380*/
	s_set_vgpr_msb 5                        ;  msbs: dst=0 src0=1 src1=1 src2=0
	v_mul_i32_i24_e32 v236, v94 /*v350*/, v1 /*v257*/
	s_set_vgpr_msb 0x55                     ;  msbs: dst=1 src0=1 src1=1 src2=1
	v_add3_u32 v71 /*v327*/, v16 /*v272*/, v125 /*v381*/, v126 /*v382*/
	s_set_vgpr_msb 1                        ;  msbs: dst=0 src0=1 src1=0 src2=0
	v_mul_i32_i24_e32 v243, v10 /*v266*/, v251
	s_set_vgpr_msb 0x55                     ;  msbs: dst=1 src0=1 src1=1 src2=1
	v_add3_u32 v77 /*v333*/, v18 /*v274*/, v14 /*v270*/, v127 /*v383*/
	s_set_vgpr_msb 1                        ;  msbs: dst=0 src0=1 src1=0 src2=0
	v_mul_i32_i24_e32 v250, v172 /*v428*/, v252
	s_set_vgpr_msb 0x54                     ;  msbs: dst=1 src0=0 src1=1 src2=1
	v_add3_u32 v79 /*v335*/, v254, v129 /*v385*/, v128 /*v384*/
	s_set_vgpr_msb 5                        ;  msbs: dst=0 src0=1 src1=1 src2=0
	v_mul_i32_i24_e32 v254, v172 /*v428*/, v1 /*v257*/
	s_set_vgpr_msb 1                        ;  msbs: dst=0 src0=1 src1=0 src2=0
	v_mul_i32_i24_e32 v255, v38 /*v294*/, v245
	s_set_vgpr_msb 0x41                     ;  msbs: dst=1 src0=1 src1=0 src2=0
	v_mul_i32_i24_e32 v5 /*v261*/, v45 /*v301*/, v251
	v_mul_i32_i24_e32 v0 /*v256*/, v51 /*v307*/, v251
	s_set_vgpr_msb 4                        ;  msbs: dst=0 src0=0 src1=1 src2=0
	v_mul_i32_i24_e32 v251, v246, v19 /*v275*/
	v_mul_i32_i24_e32 v246, v246, v21 /*v277*/
	s_set_vgpr_msb 0x41                     ;  msbs: dst=1 src0=1 src1=0 src2=0
	v_mul_i32_i24_e32 v16 /*v272*/, v61 /*v317*/, v252
	v_mul_i32_i24_e32 v7 /*v263*/, v54 /*v310*/, v252
	s_set_vgpr_msb 0x45                     ;  msbs: dst=1 src0=1 src1=1 src2=0
	v_mul_i32_i24_e32 v3 /*v259*/, v54 /*v310*/, v1 /*v257*/
	v_mul_i32_i24_e32 v20 /*v276*/, v61 /*v317*/, v1 /*v257*/
	s_set_vgpr_msb 0x44                     ;  msbs: dst=1 src0=0 src1=1 src2=0
	v_mul_i32_i24_e32 v13 /*v269*/, v248, v78 /*v334*/
	v_mul_i32_i24_e32 v9 /*v265*/, v248, v81 /*v337*/
	s_set_vgpr_msb 0x45                     ;  msbs: dst=1 src0=1 src1=1 src2=0
	v_mul_i32_i24_e32 v10 /*v266*/, v69 /*v325*/, v11 /*v267*/
	v_mul_i32_i24_e32 v15 /*v271*/, v72 /*v328*/, v2 /*v258*/
	s_set_vgpr_msb 0x41                     ;  msbs: dst=1 src0=1 src1=0 src2=0
	v_mul_i32_i24_e32 v14 /*v270*/, v175 /*v431*/, v237
	v_mul_i32_i24_e32 v18 /*v274*/, v177 /*v433*/, v237
	s_set_vgpr_msb 0x55                     ;  msbs: dst=1 src0=1 src1=1 src2=1
	v_add3_u32 v100 /*v356*/, v31 /*v287*/, v186 /*v442*/, v143 /*v399*/
	s_set_vgpr_msb 0x41                     ;  msbs: dst=1 src0=1 src1=0 src2=0
	v_mul_i32_i24_e32 v21 /*v277*/, v175 /*v431*/, v239
	v_mul_i32_i24_e32 v26 /*v282*/, v177 /*v433*/, v239
	s_set_vgpr_msb 0x55                     ;  msbs: dst=1 src0=1 src1=1 src2=1
	v_add3_u32 v104 /*v360*/, v34 /*v290*/, v189 /*v445*/, v188 /*v444*/
	s_set_vgpr_msb 0x41                     ;  msbs: dst=1 src0=1 src1=0 src2=0
	v_mul_i32_i24_e32 v30 /*v286*/, v175 /*v431*/, v241
	v_mul_i32_i24_e32 v34 /*v290*/, v177 /*v433*/, v241
	s_set_vgpr_msb 0x45                     ;  msbs: dst=1 src0=1 src1=1 src2=0
	v_mul_i32_i24_e32 v38 /*v294*/, v40 /*v296*/, v11 /*v267*/
	v_mul_i32_i24_e32 v39 /*v295*/, v82 /*v338*/, v2 /*v258*/
	;; [unrolled: 1-line block ×4, first 2 shown]
	s_set_vgpr_msb 0x41                     ;  msbs: dst=1 src0=1 src1=0 src2=0
	v_mul_i32_i24_e32 v42 /*v298*/, v179 /*v435*/, v237
	s_set_vgpr_msb 0x44                     ;  msbs: dst=1 src0=0 src1=1 src2=0
	v_mul_i32_i24_e32 v46 /*v302*/, v100, v23 /*v279*/
	s_set_vgpr_msb 0x41                     ;  msbs: dst=1 src0=1 src1=0 src2=0
	v_mul_i32_i24_e32 v45 /*v301*/, v180 /*v436*/, v237
	s_set_vgpr_msb 0x55                     ;  msbs: dst=1 src0=1 src1=1 src2=1
	v_add3_u32 v109 /*v365*/, v64 /*v320*/, v195 /*v451*/, v194 /*v450*/
	s_set_vgpr_msb 0x41                     ;  msbs: dst=1 src0=1 src1=0 src2=0
	v_mul_i32_i24_e32 v48 /*v304*/, v179 /*v435*/, v239
	s_set_vgpr_msb 0x55                     ;  msbs: dst=1 src0=1 src1=1 src2=1
	v_add3_u32 v111 /*v367*/, v66 /*v322*/, v196 /*v452*/, v59 /*v315*/
	s_set_vgpr_msb 0x44                     ;  msbs: dst=1 src0=0 src1=1 src2=0
	v_mul_i32_i24_e32 v51 /*v307*/, v100, v24 /*v280*/
	s_set_vgpr_msb 0x41                     ;  msbs: dst=1 src0=1 src1=0 src2=0
	v_mul_i32_i24_e32 v50 /*v306*/, v180 /*v436*/, v239
	s_set_vgpr_msb 0x55                     ;  msbs: dst=1 src0=1 src1=1 src2=1
	v_add3_u32 v112 /*v368*/, v68 /*v324*/, v197 /*v453*/, v65 /*v321*/
	s_set_vgpr_msb 0x51                     ;  msbs: dst=1 src0=1 src1=0 src2=1
	v_mul_i32_i24_e32 v54 /*v310*/, v179 /*v435*/, v241
	v_add3_u32 v113 /*v369*/, v70 /*v326*/, v238, v198 /*v454*/
	s_set_vgpr_msb 0x44                     ;  msbs: dst=1 src0=0 src1=1 src2=0
	v_mul_i32_i24_e32 v58 /*v314*/, v100, v25 /*v281*/
	s_set_vgpr_msb 0x41                     ;  msbs: dst=1 src0=1 src1=0 src2=0
	v_mul_i32_i24_e32 v57 /*v313*/, v180 /*v436*/, v241
	s_set_vgpr_msb 0x55                     ;  msbs: dst=1 src0=1 src1=1 src2=1
	v_add3_u32 v114 /*v370*/, v73 /*v329*/, v200 /*v456*/, v199 /*v455*/
	v_mul_i32_i24_e32 v60 /*v316*/, v93 /*v349*/, v11 /*v267*/
	v_mul_i32_i24_e32 v63 /*v319*/, v95 /*v351*/, v2 /*v258*/
	;; [unrolled: 1-line block ×4, first 2 shown]
	s_set_vgpr_msb 0x41                     ;  msbs: dst=1 src0=1 src1=0 src2=0
	v_mul_i32_i24_e32 v65 /*v321*/, v182 /*v438*/, v237
	v_mul_i32_i24_e32 v69 /*v325*/, v184 /*v440*/, v237
	;; [unrolled: 1-line block ×3, first 2 shown]
	s_set_vgpr_msb 0x45                     ;  msbs: dst=1 src0=1 src1=1 src2=0
	v_mul_i32_i24_e32 v68 /*v324*/, v123 /*v379*/, v11 /*v267*/
	v_mul_i32_i24_e32 v72 /*v328*/, v131 /*v387*/, v2 /*v258*/
	s_set_vgpr_msb 0x41                     ;  msbs: dst=1 src0=1 src1=0 src2=0
	v_mul_i32_i24_e32 v78 /*v334*/, v184 /*v440*/, v239
	s_set_vgpr_msb 0x44                     ;  msbs: dst=1 src0=0 src1=1 src2=0
	v_mul_i32_i24_e32 v17 /*v273*/, v247, v165 /*v421*/
	v_mul_i32_i24_e32 v11 /*v267*/, v247, v167 /*v423*/
	;; [unrolled: 1-line block ×5, first 2 shown]
	s_set_vgpr_msb 4                        ;  msbs: dst=0 src0=0 src1=1 src2=0
	v_mul_i32_i24_e32 v252, v247, v61 /*v317*/
	s_set_vgpr_msb 0x41                     ;  msbs: dst=1 src0=1 src1=0 src2=0
	v_mul_i32_i24_e32 v86 /*v342*/, v182 /*v438*/, v241
	v_mul_i32_i24_e32 v81 /*v337*/, v96 /*v352*/, v237
	;; [unrolled: 1-line block ×5, first 2 shown]
	s_set_vgpr_msb 5                        ;  msbs: dst=0 src0=1 src1=1 src2=0
	v_mul_i32_i24_e32 v247, v28 /*v284*/, v175 /*v431*/
	v_mul_i32_i24_e32 v248, v28 /*v284*/, v177 /*v433*/
	;; [unrolled: 1-line block ×6, first 2 shown]
	s_set_vgpr_msb 0x44                     ;  msbs: dst=1 src0=0 src1=1 src2=0
	v_mul_i32_i24_e32 v28 /*v284*/, v100, v87 /*v343*/
	s_set_vgpr_msb 5                        ;  msbs: dst=0 src0=1 src1=1 src2=0
	v_mul_i32_i24_e32 v100, v139 /*v395*/, v116 /*v372*/
	s_set_vgpr_msb 0x45                     ;  msbs: dst=1 src0=1 src1=1 src2=0
	v_mul_i32_i24_e32 v143 /*v399*/, v140 /*v396*/, v116 /*v372*/
	v_mul_i32_i24_e32 v142 /*v398*/, v142 /*v398*/, v116 /*v372*/
	s_set_vgpr_msb 5                        ;  msbs: dst=0 src0=1 src1=1 src2=0
	v_mul_i32_i24_e32 v99, v107 /*v363*/, v110 /*v366*/
	s_set_vgpr_msb 0x45                     ;  msbs: dst=1 src0=1 src1=1 src2=0
	v_mul_i32_i24_e32 v144 /*v400*/, v97 /*v353*/, v75 /*v331*/
	s_set_vgpr_msb 0                        ;  msbs: dst=0 src0=0 src1=0 src2=0
	v_mul_i32_i24_e32 v117, v152, v148
	s_set_vgpr_msb 4                        ;  msbs: dst=0 src0=0 src1=1 src2=0
	v_mul_i32_i24_e32 v119, v152, v75 /*v331*/
	s_set_vgpr_msb 5                        ;  msbs: dst=0 src0=1 src1=1 src2=0
	v_mul_i32_i24_e32 v124, v154 /*v410*/, v110 /*v366*/
	v_mul_i32_i24_e32 v126, v154 /*v410*/, v155 /*v411*/
	;; [unrolled: 1-line block ×23, first 2 shown]
	s_set_vgpr_msb 1                        ;  msbs: dst=0 src0=1 src1=0 src2=0
	v_mul_i32_i24_e32 v214, v22 /*v278*/, v245
	s_set_vgpr_msb 5                        ;  msbs: dst=0 src0=1 src1=1 src2=0
	v_mul_i32_i24_e32 v217, v168 /*v424*/, v80 /*v336*/
	v_mul_i32_i24_e32 v219, v168 /*v424*/, v84 /*v340*/
	;; [unrolled: 1-line block ×3, first 2 shown]
	s_set_vgpr_msb 0                        ;  msbs: dst=0 src0=0 src1=0 src2=0
	v_mul_i32_i24_e32 v222, v253, v245
	s_set_vgpr_msb 5                        ;  msbs: dst=0 src0=1 src1=1 src2=0
	v_mul_i32_i24_e32 v225, v170 /*v426*/, v80 /*v336*/
	v_mul_i32_i24_e32 v227, v170 /*v426*/, v84 /*v340*/
	;; [unrolled: 1-line block ×6, first 2 shown]
	s_set_vgpr_msb 1                        ;  msbs: dst=0 src0=1 src1=0 src2=0
	v_mul_i32_i24_e32 v242, v4 /*v260*/, v245
	s_set_vgpr_msb 5                        ;  msbs: dst=0 src0=1 src1=1 src2=0
	v_mul_i32_i24_e32 v249, v173 /*v429*/, v80 /*v336*/
	v_mul_i32_i24_e32 v253, v173 /*v429*/, v84 /*v340*/
	s_set_vgpr_msb 1                        ;  msbs: dst=0 src0=1 src1=0 src2=0
	v_mul_i32_i24_e32 v245, v49 /*v305*/, v245
	s_set_vgpr_msb 0x55                     ;  msbs: dst=1 src0=1 src1=1 src2=1
	v_mul_i32_i24_e32 v4 /*v260*/, v173 /*v429*/, v85 /*v341*/
	v_add3_u32 v99 /*v355*/, v27 /*v283*/, v136 /*v392*/, v130 /*v386*/
	v_mul_i32_i24_e32 v19 /*v275*/, v176 /*v432*/, v23 /*v279*/
	v_mul_i32_i24_e32 v22 /*v278*/, v178 /*v434*/, v23 /*v279*/
	;; [unrolled: 1-line block ×4, first 2 shown]
	v_add3_u32 v105 /*v361*/, v35 /*v291*/, v190 /*v446*/, v55 /*v311*/
	v_mul_i32_i24_e32 v35 /*v291*/, v176 /*v432*/, v25 /*v281*/
	v_add3_u32 v106 /*v362*/, v37 /*v293*/, v192 /*v448*/, v191 /*v447*/
	v_mul_i32_i24_e32 v37 /*v293*/, v178 /*v434*/, v25 /*v281*/
	v_mul_i32_i24_e32 v49 /*v305*/, v181 /*v437*/, v23 /*v279*/
	;; [unrolled: 1-line block ×4, first 2 shown]
	v_add3_u32 v118 /*v374*/, v76 /*v332*/, v202 /*v458*/, v201 /*v457*/
	v_mul_i32_i24_e32 v70 /*v326*/, v183 /*v439*/, v23 /*v279*/
	v_add3_u32 v120 /*v376*/, v91 /*v347*/, v204 /*v460*/, v203 /*v459*/
	v_mul_i32_i24_e32 v75 /*v331*/, v185 /*v441*/, v23 /*v279*/
	v_mul_i32_i24_e32 v76 /*v332*/, v183 /*v439*/, v24 /*v280*/
	;; [unrolled: 1-line block ×48, first 2 shown]
	s_set_vgpr_msb 0x51                     ;  msbs: dst=1 src0=1 src1=0 src2=1
	v_add3_u32 v141 /*v397*/, v206 /*v462*/, v100, v205 /*v461*/
	s_set_vgpr_msb 0x45                     ;  msbs: dst=1 src0=1 src1=1 src2=0
	v_add3_u32 v145 /*v401*/, v147 /*v403*/, v145 /*v401*/, v98
	s_set_vgpr_msb 1                        ;  msbs: dst=0 src0=1 src1=0 src2=0
	v_add3_u32 v104, v29 /*v285*/, v105, v104
	s_set_vgpr_msb 5                        ;  msbs: dst=0 src0=1 src1=1 src2=0
	v_add3_u32 v105, v33 /*v289*/, v143 /*v399*/, v106
	s_set_vgpr_msb 1                        ;  msbs: dst=0 src0=1 src1=0 src2=0
	v_add3_u32 v106, v41 /*v297*/, v108, v107
	v_add3_u32 v107, v44 /*v300*/, v113, v111
	s_set_vgpr_msb 5                        ;  msbs: dst=0 src0=1 src1=1 src2=0
	v_add3_u32 v111, v52 /*v308*/, v142 /*v398*/, v112
	v_mul_i32_i24_e32 v154, v161 /*v417*/, v155 /*v411*/
	s_set_vgpr_msb 0x55                     ;  msbs: dst=1 src0=1 src1=1 src2=1
	v_mul_i32_i24_e32 v134 /*v390*/, v163 /*v419*/, v155 /*v411*/
	v_mul_i32_i24_e32 v139 /*v395*/, v163 /*v419*/, v156 /*v412*/
	v_add3_u32 v144 /*v400*/, v148 /*v404*/, v146 /*v402*/, v144 /*v400*/
	s_set_vgpr_msb 1                        ;  msbs: dst=0 src0=1 src1=0 src2=0
	v_add3_u32 v108, v47 /*v303*/, v120, v114
	v_add3_u32 v99, v53 /*v309*/, v103, v99
	;; [unrolled: 1-line block ×10, first 2 shown]
	s_set_vgpr_msb 17                       ;  msbs: dst=0 src0=1 src1=0 src2=1
	v_add3_u32 v117, v102 /*v358*/, v130, v138 /*v394*/
	s_set_vgpr_msb 1                        ;  msbs: dst=0 src0=1 src1=0 src2=0
	v_add3_u32 v118, v104 /*v360*/, v131, v132
	v_add3_u32 v119, v105 /*v361*/, v133, v134
	v_add3_u32 v120, v106 /*v362*/, v135, v136
	s_set_vgpr_msb 17                       ;  msbs: dst=0 src0=1 src1=0 src2=1
	v_add3_u32 v121, v108 /*v364*/, v137, v131 /*v387*/
	s_set_vgpr_msb 1                        ;  msbs: dst=0 src0=1 src1=0 src2=0
	v_add3_u32 v122, v109 /*v365*/, v138, v139
	v_add3_u32 v123, v111 /*v367*/, v140, v141
	v_add3_u32 v124, v112 /*v368*/, v142, v143
	;; [unrolled: 6-line block ×3, first 2 shown]
	s_set_vgpr_msb 17                       ;  msbs: dst=0 src0=1 src1=0 src2=1
	v_add3_u32 v129, v141 /*v397*/, v151, v129 /*v385*/
	s_set_vgpr_msb 1                        ;  msbs: dst=0 src0=1 src1=0 src2=0
	v_add3_u32 v130, v145 /*v401*/, v152, v153
	s_set_vgpr_msb 16                       ;  msbs: dst=0 src0=0 src1=0 src2=1
	v_add3_u32 v105, v105, v197, v128 /*v384*/
	v_add3_u32 v111, v111, v198, v127 /*v383*/
	s_set_vgpr_msb 0x45                     ;  msbs: dst=1 src0=1 src1=1 src2=0
	v_mul_i32_i24_e32 v140 /*v396*/, v161 /*v417*/, v156 /*v412*/
	s_set_vgpr_msb 0                        ;  msbs: dst=0 src0=0 src1=0 src2=0
	ds_load_b32 v100, v191
	ds_load_b32 v98, v192
	s_set_vgpr_msb 64                       ;  msbs: dst=1 src0=0 src1=0 src2=0
	ds_load_b32 v146 /*v402*/, v193
	s_set_vgpr_msb 1                        ;  msbs: dst=0 src0=1 src1=0 src2=0
	v_add3_u32 v131, v144 /*v400*/, v154, v155
	s_set_vgpr_msb 0                        ;  msbs: dst=0 src0=0 src1=0 src2=0
	v_add3_u32 v106, v106, v201, v206
	s_set_vgpr_msb 4                        ;  msbs: dst=0 src0=0 src1=1 src2=0
	v_add3_u32 v107, v107, v134 /*v390*/, v207
	v_add3_u32 v108, v108, v139 /*v395*/, v210
	s_set_vgpr_msb 16                       ;  msbs: dst=0 src0=0 src1=0 src2=1
	v_add3_u32 v109, v109, v200, v136 /*v392*/
	s_set_vgpr_msb 4                        ;  msbs: dst=0 src0=0 src1=1 src2=0
	v_add3_u32 v110, v110, v137 /*v393*/, v202
	s_set_vgpr_msb 0                        ;  msbs: dst=0 src0=0 src1=0 src2=0
	v_add3_u32 v99, v99, v101, v102
	s_set_vgpr_msb 4                        ;  msbs: dst=0 src0=0 src1=1 src2=0
	v_add3_u32 v101, v112, v132 /*v388*/, v203
	v_add3_u32 v102, v113, v133 /*v389*/, v204
	s_set_vgpr_msb 0                        ;  msbs: dst=0 src0=0 src1=0 src2=0
	v_add3_u32 v112, v114, v205, v208
	v_add3_u32 v113, v115, v209, v211
	;; [unrolled: 1-line block ×17, first 2 shown]
	s_set_vgpr_msb 16                       ;  msbs: dst=0 src0=0 src1=0 src2=1
	v_add3_u32 v105, v105, v255, v5 /*v261*/
	v_add3_u32 v111, v111, v245, v0 /*v256*/
	v_cvt_f32_f16_e32 v93, v93
	v_cvt_f32_f16_e32 v92, v92
	s_set_vgpr_msb 4                        ;  msbs: dst=0 src0=0 src1=1 src2=0
	v_add3_u32 v104, v104, v140 /*v396*/, v196
	s_set_vgpr_msb 16                       ;  msbs: dst=0 src0=0 src1=0 src2=1
	v_add3_u32 v103, v103, v199, v135 /*v391*/
	s_set_vgpr_msb 0                        ;  msbs: dst=0 src0=0 src1=0 src2=0
	v_add3_u32 v129, v131, v250, v253
	s_set_vgpr_msb 20                       ;  msbs: dst=0 src0=0 src1=1 src2=1
	v_add3_u32 v106, v106, v8 /*v264*/, v121 /*v377*/
	v_add3_u32 v107, v107, v16 /*v272*/, v125 /*v381*/
	;; [unrolled: 1-line block ×6, first 2 shown]
	s_set_vgpr_msb 16                       ;  msbs: dst=0 src0=0 src1=0 src2=1
	v_add3_u32 v131, v109, v246, v9 /*v265*/
	s_set_vgpr_msb 20                       ;  msbs: dst=0 src0=0 src1=1 src2=1
	v_add3_u32 v109, v115, v15 /*v271*/, v10 /*v266*/
	v_add3_u32 v112, v112, v14 /*v270*/, v19 /*v275*/
	;; [unrolled: 1-line block ×18, first 2 shown]
	v_pk_mul_f32 v[92:93], v[92:93], s[4:5] op_sel_hi:[1,0]
	v_pk_mul_f32 v[94:95], v[94:95], s[4:5] op_sel_hi:[1,0]
	s_set_vgpr_msb 16                       ;  msbs: dst=0 src0=0 src1=0 src2=1
	v_add3_u32 v104, v104, v254, v4 /*v260*/
	v_add3_u32 v103, v103, v251, v13 /*v269*/
	s_set_vgpr_msb 20                       ;  msbs: dst=0 src0=0 src1=1 src2=1
	v_add3_u32 v122, v122, v54 /*v310*/, v58 /*v314*/
	v_add3_u32 v128, v106, v69 /*v325*/, v75 /*v331*/
	;; [unrolled: 1-line block ×5, first 2 shown]
	v_cvt_f32_i32_e32 v102, v99
	v_add3_u32 v99, v110, v81 /*v337*/, v96 /*v352*/
	v_add3_u32 v101, v101, v82 /*v338*/, v97 /*v353*/
	;; [unrolled: 1-line block ×7, first 2 shown]
	v_cvt_f32_i32_e32 v107, v115
	v_cvt_f32_i32_e32 v106, v112
	;; [unrolled: 1-line block ×10, first 2 shown]
	v_add3_u32 v131, v105, v110 /*v366*/, v74 /*v330*/
	v_cvt_f32_i32_e32 v120, v127
	v_add3_u32 v127, v135, v107 /*v363*/, v61 /*v317*/
	v_add3_u32 v133, v104, v86 /*v342*/, v101 /*v357*/
	v_cvt_f32_i32_e32 v104, v103
	v_cvt_f32_i32_e32 v116, v122
	;; [unrolled: 1-line block ×7, first 2 shown]
	v_add3_u32 v99, v136, v17 /*v273*/, v90 /*v346*/
	s_set_vgpr_msb 0                        ;  msbs: dst=0 src0=0 src1=0 src2=0
	v_pk_fma_f32 v[106:107], v[82:83], v[106:107], v[92:93] neg_lo:[0,0,1] neg_hi:[0,0,1]
	v_pk_fma_f32 v[108:109], v[82:83], v[108:109], v[92:93] neg_lo:[0,0,1] neg_hi:[0,0,1]
	s_set_vgpr_msb 20                       ;  msbs: dst=0 src0=0 src1=1 src2=1
	v_add3_u32 v101, v137, v11 /*v267*/, v87 /*v343*/
	v_add3_u32 v128, v138, v12 /*v268*/, v88 /*v344*/
	s_set_vgpr_msb 0                        ;  msbs: dst=0 src0=0 src1=0 src2=0
	v_pk_fma_f32 v[112:113], v[84:85], v[112:113], v[94:95] neg_lo:[0,0,1] neg_hi:[0,0,1]
	v_pk_fma_f32 v[114:115], v[84:85], v[114:115], v[94:95] neg_lo:[0,0,1] neg_hi:[0,0,1]
	s_set_vgpr_msb 20                       ;  msbs: dst=0 src0=0 src1=1 src2=1
	v_add3_u32 v126, v126, v1 /*v257*/, v84 /*v340*/
	v_add3_u32 v129, v131, v2 /*v258*/, v85 /*v341*/
	s_set_vgpr_msb 16                       ;  msbs: dst=0 src0=0 src1=0 src2=1
	v_add3_u32 v127, v127, v252, v80 /*v336*/
	s_set_vgpr_msb 0                        ;  msbs: dst=0 src0=0 src1=0 src2=0
	v_pk_fma_f32 v[102:103], v[88:89], v[102:103], v[90:91] neg_lo:[0,0,1] neg_hi:[0,0,1]
	v_pk_fma_f32 v[104:105], v[88:89], v[104:105], v[90:91] neg_lo:[0,0,1] neg_hi:[0,0,1]
	v_pk_fma_f32 v[88:89], v[88:89], v[118:119], v[90:91] neg_lo:[0,0,1] neg_hi:[0,0,1]
	s_wait_dscnt 0x2
	v_pk_fma_f32 v[54:55], v[100:101], v[106:107], v[54:55] op_sel_hi:[0,1,1]
	s_wait_dscnt 0x1
	v_pk_fma_f32 v[62:63], v[98:99], v[108:109], v[62:63] op_sel_hi:[0,1,1]
	s_set_vgpr_msb 16                       ;  msbs: dst=0 src0=0 src1=0 src2=1
	v_add3_u32 v90, v99, v247, v36 /*v292*/
	v_add3_u32 v91, v101, v248, v32 /*v288*/
	s_set_vgpr_msb 0                        ;  msbs: dst=0 src0=0 src1=0 src2=0
	v_pk_fma_f32 v[44:45], v[100:101], v[112:113], v[44:45] op_sel_hi:[0,1,1]
	v_pk_fma_f32 v[56:57], v[98:99], v[114:115], v[56:57] op_sel_hi:[0,1,1]
	s_set_vgpr_msb 16                       ;  msbs: dst=0 src0=0 src1=0 src2=1
	v_add3_u32 v99, v128, v239, v28 /*v284*/
	v_add3_u32 v101, v126, v241, v24 /*v280*/
	v_add3_u32 v108, v129, v237, v25 /*v281*/
	v_add3_u32 v109, v127, v238, v23 /*v279*/
	v_pk_mul_f32 v[96:97], v[96:97], s[4:5] op_sel_hi:[1,0]
	v_cvt_f32_i32_e32 v111, v117
	v_cvt_f32_i32_e32 v117, v125
	;; [unrolled: 1-line block ×11, first 2 shown]
	s_set_vgpr_msb 0                        ;  msbs: dst=0 src0=0 src1=0 src2=0
	v_pk_fma_f32 v[110:111], v[82:83], v[110:111], v[92:93] neg_lo:[0,0,1] neg_hi:[0,0,1]
	v_pk_fma_f32 v[116:117], v[84:85], v[116:117], v[94:95] neg_lo:[0,0,1] neg_hi:[0,0,1]
	;; [unrolled: 1-line block ×8, first 2 shown]
	v_dual_add_nc_u32 v195, 16, v195 :: v_dual_add_nc_u32 v193, 4, v193
	v_dual_add_nc_u32 v192, 4, v192 :: v_dual_add_nc_u32 v191, 4, v191
	;; [unrolled: 1-line block ×3, first 2 shown]
	s_wait_dscnt 0x0
	s_set_vgpr_msb 1                        ;  msbs: dst=0 src0=1 src1=0 src2=0
	v_pk_fma_f32 v[70:71], v[146:147] /*v[402:403]*/, v[110:111], v[70:71] op_sel_hi:[0,1,1]
	v_pk_fma_f32 v[64:65], v[146:147] /*v[402:403]*/, v[116:117], v[64:65] op_sel_hi:[0,1,1]
	s_set_vgpr_msb 0                        ;  msbs: dst=0 src0=0 src1=0 src2=0
	v_pk_fma_f32 v[36:37], v[100:101], v[120:121], v[36:37] op_sel_hi:[0,1,1]
	v_pk_fma_f32 v[46:47], v[98:99], v[122:123], v[46:47] op_sel_hi:[0,1,1]
	s_set_vgpr_msb 1                        ;  msbs: dst=0 src0=1 src1=0 src2=0
	v_pk_fma_f32 v[58:59], v[146:147] /*v[402:403]*/, v[124:125], v[58:59] op_sel_hi:[0,1,1]
	s_set_vgpr_msb 0                        ;  msbs: dst=0 src0=0 src1=0 src2=0
	v_pk_fma_f32 v[60:61], v[100:101], v[102:103], v[60:61] op_sel_hi:[0,1,1]
	v_pk_fma_f32 v[68:69], v[98:99], v[104:105], v[68:69] op_sel_hi:[0,1,1]
	s_set_vgpr_msb 1                        ;  msbs: dst=0 src0=1 src1=0 src2=0
	v_pk_fma_f32 v[74:75], v[146:147] /*v[402:403]*/, v[88:89], v[74:75] op_sel_hi:[0,1,1]
	s_set_vgpr_msb 0                        ;  msbs: dst=0 src0=0 src1=0 src2=0
	v_pk_fma_f32 v[76:77], v[80:81], v[82:83], v[76:77] op_sel_hi:[0,1,1]
	v_pk_fma_f32 v[72:73], v[80:81], v[84:85], v[72:73] op_sel_hi:[0,1,1]
	;; [unrolled: 1-line block ×3, first 2 shown]
	s_add_co_i32 s12, s12, 4
	s_delay_alu instid0(SALU_CYCLE_1)
	s_cmp_lt_u32 s12, 12
	s_cbranch_scc1 .LBB138_8
; %bb.9:                                ;   in Loop: Header=BB138_6 Depth=1
	s_and_b32 s12, s7, -4
	s_delay_alu instid0(SALU_CYCLE_1)
	s_cmp_eq_u32 s12, 4
	s_barrier_signal -1
	s_barrier_wait -1
	s_cbranch_scc1 .LBB138_5
; %bb.10:                               ;   in Loop: Header=BB138_6 Depth=1
	v_dual_add_nc_u32 v80, s10, v168 :: v_dual_add_nc_u32 v96, 4, v81
	s_mov_b32 s12, 12
	s_delay_alu instid0(VALU_DEP_1) | instskip(SKIP_3) | instid1(VALU_DEP_4)
	v_dual_add_nc_u32 v86, v80, v162 :: v_dual_add_nc_u32 v81, v80, v167
	v_dual_add_nc_u32 v82, v80, v160 :: v_dual_add_nc_u32 v84, v80, v161
	;; [unrolled: 1-line block ×4, first 2 shown]
	v_mad_nc_i64_i32 v[80:81], v81, 36, v[0:1]
	s_delay_alu instid0(VALU_DEP_4)
	v_mad_nc_i64_i32 v[82:83], v82, 36, v[0:1]
	v_mad_nc_i64_i32 v[84:85], v84, 36, v[0:1]
	;; [unrolled: 1-line block ×7, first 2 shown]
	v_mad_nc_u64_u32 v[96:97], v96, 36, s[2:3]
	s_clause 0x8
	global_load_b32 v98, v[80:81], off offset:4
	global_load_b32 v99, v[82:83], off offset:4
	;; [unrolled: 1-line block ×8, first 2 shown]
	global_load_b32 v106, v[96:97], off
	s_wait_xcnt 0x6
	v_dual_mov_b32 v83, v187 :: v_dual_mov_b32 v85, v177
	s_wait_xcnt 0x1
	v_dual_mov_b32 v87, v185 :: v_dual_mov_b32 v94, v183
	;; [unrolled: 2-line block ×3, first 2 shown]
	v_mov_b32_e32 v97, v188
	s_wait_loadcnt 0x8
	ds_store_b32 v175, v98
	s_wait_loadcnt 0x7
	ds_store_b32 v176, v99
	;; [unrolled: 2-line block ×9, first 2 shown]
	s_wait_dscnt 0x0
	s_barrier_signal -1
	s_barrier_wait -1
.LBB138_11:                             ;   Parent Loop BB138_6 Depth=1
                                        ; =>  This Inner Loop Header: Depth=2
	ds_load_2addr_b32 v[80:81], v85 offset0:1 offset1:2
	ds_load_2addr_b32 v[90:91], v85 offset0:5 offset1:6
	ds_load_2addr_b32 v[92:93], v85 offset1:3
	ds_load_2addr_b32 v[98:99], v85 offset0:4 offset1:7
	ds_load_2addr_b32 v[88:89], v83 offset1:32
	v_add_nc_u32_e32 v251, 0x404, v85
	s_add_co_i32 s12, s12, 4
	s_delay_alu instid0(SALU_CYCLE_1)
	s_cmp_lt_u32 s12, 28
	s_wait_dscnt 0x4
	v_bfe_i32 v113, v80, 0, 8
	s_wait_dscnt 0x3
	v_bfe_i32 v116, v90, 0, 8
	v_bfe_i32 v118, v90, 8, 8
	v_bfe_i32 v119, v90, 16, 8
	s_set_vgpr_msb 64                       ;  msbs: dst=1 src0=0 src1=0 src2=0
	v_dual_ashrrev_i32 v9 /*v265*/, 24, v90 :: v_dual_ashrrev_i32 v8 /*v264*/, 24, v81
	s_set_vgpr_msb 0                        ;  msbs: dst=0 src0=0 src1=0 src2=0
	v_bfe_i32 v125, v91, 0, 8
	v_bfe_i32 v126, v91, 8, 8
	;; [unrolled: 1-line block ×3, first 2 shown]
	s_wait_dscnt 0x2
	s_set_vgpr_msb 64                       ;  msbs: dst=1 src0=0 src1=0 src2=0
	v_dual_ashrrev_i32 v7 /*v263*/, 24, v91 :: v_dual_ashrrev_i32 v6 /*v262*/, 24, v93
	s_set_vgpr_msb 0                        ;  msbs: dst=0 src0=0 src1=0 src2=0
	ds_load_b32 v84, v87
	ds_load_2addr_b32 v[90:91], v97 offset1:1
	v_bfe_i32 v106, v92, 0, 8
	v_ashrrev_i32_e32 v255, 24, v92
	v_bfe_i32 v108, v92, 8, 8
	s_wait_dscnt 0x3
	s_set_vgpr_msb 64                       ;  msbs: dst=1 src0=0 src1=0 src2=0
	v_dual_ashrrev_i32 v11 /*v267*/, 24, v98 :: v_dual_ashrrev_i32 v10 /*v266*/, 24, v80
	s_set_vgpr_msb 0                        ;  msbs: dst=0 src0=0 src1=0 src2=0
	v_bfe_i32 v114, v80, 8, 8
	v_bfe_i32 v115, v80, 16, 8
	;; [unrolled: 1-line block ×8, first 2 shown]
	s_set_vgpr_msb 64                       ;  msbs: dst=1 src0=0 src1=0 src2=0
	v_bfe_i32 v5 /*v261*/, v93, 16, 8
	s_set_vgpr_msb 0                        ;  msbs: dst=0 src0=0 src1=0 src2=0
	v_bfe_i32 v109, v99, 0, 8
	s_set_vgpr_msb 64                       ;  msbs: dst=1 src0=0 src1=0 src2=0
	v_bfe_i32 v4 /*v260*/, v99, 8, 8
	v_bfe_i32 v3 /*v259*/, v99, 16, 8
	s_set_vgpr_msb 0                        ;  msbs: dst=0 src0=0 src1=0 src2=0
	v_bfe_i32 v110, v98, 0, 8
	v_bfe_i32 v111, v98, 8, 8
	s_wait_dscnt 0x0
	v_and_b32_e32 v222, 15, v90
	v_bfe_u32 v189, v90, 8, 4
	v_bfe_u32 v254, v90, 16, 4
	;; [unrolled: 1-line block ×4, first 2 shown]
	v_mul_i32_i24_e32 v80, v222, v106
	v_bfe_u32 v224, v90, 12, 4
	v_dual_lshrrev_b32 v225, 28, v90 :: v_dual_bitop2_b32 v226, 15, v91 bitop3:0x40
	v_bfe_i32 v112, v98, 16, 8
	s_delay_alu instid0(VALU_DEP_4)
	v_mad_i32_i24 v107, v189, v108, v80
	ds_load_2addr_b32 v[80:81], v97 offset0:2 offset1:3
	v_lshrrev_b32_e32 v232, 28, v91
	v_mul_i32_i24_e32 v117, v218, v110
	v_mul_i32_i24_e32 v153, v224, v111
	v_mul_i32_i24_e32 v248, v221, v112
	s_set_vgpr_msb 4                        ;  msbs: dst=0 src0=0 src1=1 src2=0
	v_mul_i32_i24_e32 v249, v225, v11 /*v267*/
	v_bfe_u32 v227, v91, 8, 4
	s_set_vgpr_msb 0                        ;  msbs: dst=0 src0=0 src1=0 src2=0
	v_mul_i32_i24_e32 v250, v113, v226
	v_bfe_u32 v228, v91, 16, 4
	v_bfe_u32 v229, v91, 24, 4
	;; [unrolled: 1-line block ×3, first 2 shown]
	v_mul_i32_i24_e32 v252, v114, v227
	v_bfe_u32 v231, v91, 12, 4
	v_mul_i32_i24_e32 v253, v115, v228
	s_set_vgpr_msb 0x41                     ;  msbs: dst=1 src0=1 src1=0 src2=0
	v_mul_i32_i24_e32 v26 /*v282*/, v10 /*v266*/, v229
	s_set_vgpr_msb 64                       ;  msbs: dst=1 src0=0 src1=0 src2=0
	v_mul_i32_i24_e32 v27 /*v283*/, v116, v230
	s_set_vgpr_msb 0                        ;  msbs: dst=0 src0=0 src1=0 src2=0
	v_bfe_u32 v223, v91, 20, 4
	s_set_vgpr_msb 64                       ;  msbs: dst=1 src0=0 src1=0 src2=0
	v_mul_i32_i24_e32 v28 /*v284*/, v118, v231
	s_wait_dscnt 0x0
	s_set_vgpr_msb 0                        ;  msbs: dst=0 src0=0 src1=0 src2=0
	v_and_b32_e32 v233, 15, v80
	v_bfe_u32 v234, v80, 8, 4
	v_bfe_u32 v235, v80, 24, 4
	;; [unrolled: 1-line block ×5, first 2 shown]
	v_dual_lshrrev_b32 v239, 28, v80 :: v_dual_bitop2_b32 v241, 15, v81 bitop3:0x40
	v_bfe_u32 v240, v80, 20, 4
	v_add_nc_u32_e32 v80, 0x1080, v97
	ds_load_b32 v86, v94
	ds_load_2addr_b32 v[92:93], v80 offset1:1
	v_bfe_u32 v242, v81, 8, 4
	v_bfe_u32 v243, v81, 24, 4
	;; [unrolled: 1-line block ×5, first 2 shown]
	s_set_vgpr_msb 64                       ;  msbs: dst=1 src0=0 src1=0 src2=0
	v_bfe_u32 v2 /*v258*/, v81, 20, 4
	v_mul_i32_i24_e32 v29 /*v285*/, v119, v223
	v_mul_i32_i24_e32 v31 /*v287*/, v122, v233
	s_set_vgpr_msb 0                        ;  msbs: dst=0 src0=0 src1=0 src2=0
	v_mul_i32_i24_e32 v91, v109, v245
	s_set_vgpr_msb 64                       ;  msbs: dst=1 src0=0 src1=0 src2=0
	v_mul_i32_i24_e32 v34 /*v290*/, v124, v236
	v_mul_i32_i24_e32 v32 /*v288*/, v123, v234
	s_set_vgpr_msb 0x41                     ;  msbs: dst=1 src0=1 src1=0 src2=0
	v_mul_i32_i24_e32 v30 /*v286*/, v9 /*v265*/, v232
	s_set_vgpr_msb 64                       ;  msbs: dst=1 src0=0 src1=0 src2=0
	v_mul_i32_i24_e32 v35 /*v291*/, v126, v238
	v_mul_i32_i24_e32 v36 /*v292*/, v125, v237
	;; [unrolled: 1-line block ×3, first 2 shown]
	s_set_vgpr_msb 0x41                     ;  msbs: dst=1 src0=1 src1=0 src2=0
	v_mul_i32_i24_e32 v33 /*v289*/, v8 /*v264*/, v235
	s_set_vgpr_msb 64                       ;  msbs: dst=1 src0=0 src1=0 src2=0
	v_mul_i32_i24_e32 v39 /*v295*/, v128, v241
	s_set_vgpr_msb 0x41                     ;  msbs: dst=1 src0=1 src1=0 src2=0
	v_mul_i32_i24_e32 v37 /*v293*/, v7 /*v263*/, v239
	s_set_vgpr_msb 64                       ;  msbs: dst=1 src0=0 src1=0 src2=0
	v_mul_i32_i24_e32 v40 /*v296*/, v129, v242
	s_wait_dscnt 0x0
	s_set_vgpr_msb 0                        ;  msbs: dst=0 src0=0 src1=0 src2=0
	v_dual_lshrrev_b32 v196, 28, v92 :: v_dual_bitop2_b32 v193, 15, v92 bitop3:0x40
	v_bfe_u32 v190, v92, 8, 4
	v_bfe_u32 v194, v93, 20, 4
	v_dual_lshrrev_b32 v203, 28, v93 :: v_dual_bitop2_b32 v197, 15, v93 bitop3:0x40
	s_delay_alu instid0(VALU_DEP_4)
	v_mul_i32_i24_e32 v80, v193, v106
	v_bfe_u32 v198, v93, 8, 4
	v_bfe_u32 v199, v93, 16, 4
	;; [unrolled: 1-line block ×4, first 2 shown]
	s_set_vgpr_msb 64                       ;  msbs: dst=1 src0=0 src1=0 src2=0
	v_mad_i32_i24 v43 /*v299*/, v190, v108, v80
	s_set_vgpr_msb 0                        ;  msbs: dst=0 src0=0 src1=0 src2=0
	v_add_nc_u32_e32 v80, 0x1088, v97
	v_bfe_u32 v202, v93, 12, 4
	v_add_nc_u32_e32 v93, 0x3180, v97
	v_bfe_u32 v192, v92, 20, 4
	v_bfe_u32 v191, v92, 4, 4
	ds_load_2addr_b32 v[120:121], v80 offset1:1
	v_add_nc_u32_e32 v80, 0x2100, v97
	ds_load_b32 v82, v95
	s_set_vgpr_msb 64                       ;  msbs: dst=1 src0=0 src1=0 src2=0
	ds_load_2addr_b32 v[12:13] /*v[268:269]*/, v80 offset1:1
	s_set_vgpr_msb 0                        ;  msbs: dst=0 src0=0 src1=0 src2=0
	v_add_nc_u32_e32 v80, 0x2108, v97
	v_bfe_u32 v195, v92, 12, 4
	s_set_vgpr_msb 64                       ;  msbs: dst=1 src0=0 src1=0 src2=0
	v_mul_i32_i24_e32 v44 /*v300*/, v191, v110
	v_mul_i32_i24_e32 v46 /*v302*/, v192, v112
	s_set_vgpr_msb 0x44                     ;  msbs: dst=1 src0=0 src1=1 src2=0
	v_mul_i32_i24_e32 v47 /*v303*/, v196, v11 /*v267*/
	s_set_vgpr_msb 0                        ;  msbs: dst=0 src0=0 src1=0 src2=0
	ds_load_2addr_b32 v[154:155], v80 offset1:1
	ds_load_b32 v80, v96
	s_set_vgpr_msb 64                       ;  msbs: dst=1 src0=0 src1=0 src2=0
	ds_load_2addr_b32 v[14:15] /*v[270:271]*/, v93 offset1:1
	v_mul_i32_i24_e32 v45 /*v301*/, v195, v111
	v_mul_i32_i24_e32 v48 /*v304*/, v113, v197
	;; [unrolled: 1-line block ×4, first 2 shown]
	s_set_vgpr_msb 0x41                     ;  msbs: dst=1 src0=1 src1=0 src2=0
	v_mul_i32_i24_e32 v51 /*v307*/, v10 /*v266*/, v200
	s_set_vgpr_msb 64                       ;  msbs: dst=1 src0=0 src1=0 src2=0
	v_mul_i32_i24_e32 v52 /*v308*/, v116, v201
	v_mul_i32_i24_e32 v53 /*v309*/, v118, v202
	s_wait_dscnt 0x5
	s_set_vgpr_msb 0                        ;  msbs: dst=0 src0=0 src1=0 src2=0
	v_and_b32_e32 v213, 15, v121
	s_set_vgpr_msb 64                       ;  msbs: dst=1 src0=0 src1=0 src2=0
	v_mul_i32_i24_e32 v54 /*v310*/, v119, v194
	v_lshrrev_b32_e32 v1 /*v257*/, 28, v81
	s_set_vgpr_msb 0                        ;  msbs: dst=0 src0=0 src1=0 src2=0
	v_mul_i32_i24_e32 v81, v254, v247
	s_set_vgpr_msb 0x41                     ;  msbs: dst=1 src0=1 src1=0 src2=0
	v_mul_i32_i24_e32 v55 /*v311*/, v9 /*v265*/, v203
	s_wait_dscnt 0x3
	s_set_vgpr_msb 4                        ;  msbs: dst=0 src0=0 src1=1 src2=0
	v_lshrrev_b32_e32 v139, 28, v13 /*v269*/
	v_bfe_u32 v204, v120, 8, 4
	s_set_vgpr_msb 64                       ;  msbs: dst=1 src0=0 src1=0 src2=0
	ds_load_2addr_b32 v[20:21] /*v[276:277]*/, v251 offset1:1
	s_set_vgpr_msb 0                        ;  msbs: dst=0 src0=0 src1=0 src2=0
	v_add_nc_u32_e32 v251, 0x414, v85
	v_dual_lshrrev_b32 v210, 28, v120 :: v_dual_bitop2_b32 v205, 15, v120 bitop3:0x40
	s_wait_dscnt 0x3
	v_bfe_u32 v140, v154, 8, 4
	s_wait_dscnt 0x1
	s_set_vgpr_msb 4                        ;  msbs: dst=0 src0=0 src1=1 src2=0
	v_dual_lshrrev_b32 v93, 4, v14 /*v270*/ :: v_dual_lshrrev_b32 v102, 4, v15 /*v271*/
	s_set_vgpr_msb 0                        ;  msbs: dst=0 src0=0 src1=0 src2=0
	v_and_b32_e32 v141, 15, v154
	v_bfe_u32 v142, v154, 24, 4
	v_bfe_u32 v143, v154, 16, 4
	v_lshrrev_b16 v93, 8, v93
	s_set_vgpr_msb 64                       ;  msbs: dst=1 src0=0 src1=0 src2=0
	v_ashrrev_i32_e32 v0 /*v256*/, 24, v99
	s_set_vgpr_msb 4                        ;  msbs: dst=0 src0=0 src1=1 src2=0
	v_lshrrev_b32_e32 v99, 28, v14 /*v270*/
	s_set_vgpr_msb 0                        ;  msbs: dst=0 src0=0 src1=0 src2=0
	v_lshrrev_b16 v102, 8, v102
	v_bfe_u32 v144, v154, 4, 4
	v_bfe_u32 v145, v154, 12, 4
	v_lshrrev_b32_e32 v146, 28, v154
	v_bfe_u32 v147, v154, 20, 4
	s_set_vgpr_msb 64                       ;  msbs: dst=1 src0=0 src1=0 src2=0
	v_and_b32_e32 v93 /*v349*/, 15, v102
	s_set_vgpr_msb 0                        ;  msbs: dst=0 src0=0 src1=0 src2=0
	v_add_nc_u32_e32 v102, 0x3188, v97
	v_add_nc_u32_e32 v154, 0x400, v85
	s_set_vgpr_msb 64                       ;  msbs: dst=1 src0=0 src1=0 src2=0
	v_mul_i32_i24_e32 v56 /*v312*/, v122, v205
	v_mul_i32_i24_e32 v57 /*v313*/, v123, v204
	s_set_vgpr_msb 0                        ;  msbs: dst=0 src0=0 src1=0 src2=0
	v_bfe_u32 v206, v120, 24, 4
	s_set_vgpr_msb 64                       ;  msbs: dst=1 src0=0 src1=0 src2=0
	ds_load_2addr_b32 v[16:17] /*v[272:273]*/, v102 offset1:1
	ds_load_2addr_b32 v[18:19] /*v[274:275]*/, v154 offset0:4 offset1:7
	ds_load_2addr_b32 v[22:23] /*v[278:279]*/, v251 offset1:1
	ds_load_2addr_b32 v[24:25] /*v[280:281]*/, v154 offset1:3
	s_set_vgpr_msb 0                        ;  msbs: dst=0 src0=0 src1=0 src2=0
	v_bfe_u32 v251, v90, 24, 4
	v_bfe_u32 v207, v120, 16, 4
	s_set_vgpr_msb 0x41                     ;  msbs: dst=1 src0=1 src1=0 src2=0
	v_mul_i32_i24_e32 v58 /*v314*/, v8 /*v264*/, v206
	s_set_vgpr_msb 0                        ;  msbs: dst=0 src0=0 src1=0 src2=0
	v_bfe_u32 v208, v120, 4, 4
	v_bfe_u32 v209, v120, 12, 4
	v_mul_i32_i24_e32 v90, v251, v255
	s_set_vgpr_msb 64                       ;  msbs: dst=1 src0=0 src1=0 src2=0
	v_mul_i32_i24_e32 v59 /*v315*/, v124, v207
	s_set_vgpr_msb 0                        ;  msbs: dst=0 src0=0 src1=0 src2=0
	v_bfe_u32 v211, v120, 20, 4
	s_set_vgpr_msb 64                       ;  msbs: dst=1 src0=0 src1=0 src2=0
	v_mul_i32_i24_e32 v61 /*v317*/, v125, v208
	v_mul_i32_i24_e32 v60 /*v316*/, v126, v209
	s_set_vgpr_msb 0                        ;  msbs: dst=0 src0=0 src1=0 src2=0
	v_add3_u32 v81, v107, v81, v90
	s_set_vgpr_msb 1                        ;  msbs: dst=0 src0=1 src1=0 src2=0
	v_mul_i32_i24_e32 v120, v7 /*v263*/, v210
	s_set_vgpr_msb 64                       ;  msbs: dst=1 src0=0 src1=0 src2=0
	v_mul_i32_i24_e32 v62 /*v318*/, v127, v211
	s_set_vgpr_msb 1                        ;  msbs: dst=0 src0=1 src1=0 src2=0
	v_bfe_u32 v98, v12 /*v268*/, 8, 4
	s_set_vgpr_msb 0                        ;  msbs: dst=0 src0=0 src1=0 src2=0
	v_bfe_u32 v212, v121, 8, 4
	v_add3_u32 v81, v81, v153, v117
	s_set_vgpr_msb 1                        ;  msbs: dst=0 src0=1 src1=0 src2=0
	v_bfe_u32 v117, v12 /*v268*/, 24, 4
	s_set_vgpr_msb 0                        ;  msbs: dst=0 src0=0 src1=0 src2=0
	v_bfe_u32 v214, v121, 24, 4
	v_bfe_u32 v215, v121, 16, 4
	;; [unrolled: 1-line block ×3, first 2 shown]
	v_add3_u32 v81, v81, v248, v249
	v_bfe_u32 v248, v92, 24, 4
	v_bfe_u32 v249, v92, 16, 4
	;; [unrolled: 1-line block ×3, first 2 shown]
	s_set_vgpr_msb 1                        ;  msbs: dst=0 src0=1 src1=0 src2=0
	v_bfe_u32 v219, v12 /*v268*/, 20, 4
	s_set_vgpr_msb 0                        ;  msbs: dst=0 src0=0 src1=0 src2=0
	v_add3_u32 v81, v81, v252, v250
	v_mul_i32_i24_e32 v107, v248, v255
	v_mul_i32_i24_e32 v92, v249, v247
	s_set_vgpr_msb 4                        ;  msbs: dst=0 src0=0 src1=1 src2=0
	v_and_b32_e32 v250, 15, v12 /*v268*/
	s_set_vgpr_msb 1                        ;  msbs: dst=0 src0=1 src1=0 src2=0
	v_bfe_u32 v130, v12 /*v268*/, 4, 4
	v_bfe_u32 v220, v12 /*v268*/, 12, 4
	s_set_vgpr_msb 4                        ;  msbs: dst=0 src0=0 src1=1 src2=0
	v_dual_lshrrev_b32 v132, 28, v12 /*v268*/ :: v_dual_bitop2_b32 v133, 15, v13 /*v269*/ bitop3:0x40
	s_set_vgpr_msb 1                        ;  msbs: dst=0 src0=1 src1=0 src2=0
	v_add3_u32 v92, v43 /*v299*/, v92, v107
	s_set_vgpr_msb 16                       ;  msbs: dst=0 src0=0 src1=0 src2=1
	v_mul_i32_i24_e32 v107, v250, v106
	v_add3_u32 v81, v81, v253, v26 /*v282*/
	v_dual_lshrrev_b32 v252, 28, v121 :: v_dual_lshrrev_b32 v154, 28, v155
	s_set_vgpr_msb 20                       ;  msbs: dst=0 src0=0 src1=1 src2=1
	v_add3_u32 v92, v92, v45 /*v301*/, v44 /*v300*/
	v_bfe_u32 v253, v121, 20, 4
	s_set_vgpr_msb 0                        ;  msbs: dst=0 src0=0 src1=0 src2=0
	v_mad_i32_i24 v107, v98, v108, v107
	s_set_vgpr_msb 64                       ;  msbs: dst=1 src0=0 src1=0 src2=0
	v_mul_i32_i24_e32 v68 /*v324*/, v130, v110
	v_mul_i32_i24_e32 v69 /*v325*/, v220, v111
	s_set_vgpr_msb 20                       ;  msbs: dst=0 src0=0 src1=1 src2=1
	v_add3_u32 v92, v92, v46 /*v302*/, v47 /*v303*/
	s_set_vgpr_msb 64                       ;  msbs: dst=1 src0=0 src1=0 src2=0
	v_mul_i32_i24_e32 v70 /*v326*/, v219, v112
	s_set_vgpr_msb 0x44                     ;  msbs: dst=1 src0=0 src1=1 src2=0
	v_mul_i32_i24_e32 v71 /*v327*/, v132, v11 /*v267*/
	s_set_vgpr_msb 1                        ;  msbs: dst=0 src0=1 src1=0 src2=0
	v_bfe_u32 v134, v13 /*v269*/, 8, 4
	s_set_vgpr_msb 64                       ;  msbs: dst=1 src0=0 src1=0 src2=0
	v_mul_i32_i24_e32 v72 /*v328*/, v113, v133
	s_set_vgpr_msb 20                       ;  msbs: dst=0 src0=0 src1=1 src2=1
	v_add3_u32 v92, v92, v49 /*v305*/, v48 /*v304*/
	s_set_vgpr_msb 1                        ;  msbs: dst=0 src0=1 src1=0 src2=0
	v_bfe_u32 v135, v13 /*v269*/, 16, 4
	v_bfe_u32 v136, v13 /*v269*/, 24, 4
	s_set_vgpr_msb 64                       ;  msbs: dst=1 src0=0 src1=0 src2=0
	v_mul_i32_i24_e32 v73 /*v329*/, v114, v134
	s_set_vgpr_msb 1                        ;  msbs: dst=0 src0=1 src1=0 src2=0
	v_bfe_u32 v137, v13 /*v269*/, 4, 4
	s_set_vgpr_msb 20                       ;  msbs: dst=0 src0=0 src1=1 src2=1
	v_add3_u32 v92, v92, v50 /*v306*/, v51 /*v307*/
	s_set_vgpr_msb 64                       ;  msbs: dst=1 src0=0 src1=0 src2=0
	v_mul_i32_i24_e32 v74 /*v330*/, v115, v135
	s_set_vgpr_msb 0x41                     ;  msbs: dst=1 src0=1 src1=0 src2=0
	v_mul_i32_i24_e32 v75 /*v331*/, v10 /*v266*/, v136
	s_set_vgpr_msb 1                        ;  msbs: dst=0 src0=1 src1=0 src2=0
	v_bfe_u32 v138, v13 /*v269*/, 12, 4
	v_bfe_u32 v131, v13 /*v269*/, 20, 4
	s_set_vgpr_msb 20                       ;  msbs: dst=0 src0=0 src1=1 src2=1
	v_add3_u32 v92, v92, v52 /*v308*/, v53 /*v309*/
	s_set_vgpr_msb 64                       ;  msbs: dst=1 src0=0 src1=0 src2=0
	v_mul_i32_i24_e32 v76 /*v332*/, v116, v137
	s_set_vgpr_msb 0x41                     ;  msbs: dst=1 src0=1 src1=0 src2=0
	v_mul_i32_i24_e32 v13 /*v269*/, v9 /*v265*/, v139
	s_set_vgpr_msb 64                       ;  msbs: dst=1 src0=0 src1=0 src2=0
	v_mul_i32_i24_e32 v77 /*v333*/, v118, v138
	v_mul_i32_i24_e32 v78 /*v334*/, v119, v131
	s_set_vgpr_msb 20                       ;  msbs: dst=0 src0=0 src1=1 src2=1
	v_add3_u32 v92, v92, v54 /*v310*/, v55 /*v311*/
	s_set_vgpr_msb 64                       ;  msbs: dst=1 src0=0 src1=0 src2=0
	v_mul_i32_i24_e32 v80 /*v336*/, v123, v140
	s_set_vgpr_msb 20                       ;  msbs: dst=0 src0=0 src1=1 src2=1
	v_add3_u32 v81, v81, v27 /*v283*/, v28 /*v284*/
	s_set_vgpr_msb 64                       ;  msbs: dst=1 src0=0 src1=0 src2=0
	v_cvt_f32_f16_e64 v27 /*v283*/, v89
	s_set_vgpr_msb 0                        ;  msbs: dst=0 src0=0 src1=0 src2=0
	v_lshrrev_b32_e32 v89, 16, v89
	s_set_vgpr_msb 20                       ;  msbs: dst=0 src0=0 src1=1 src2=1
	v_add3_u32 v92, v92, v57 /*v313*/, v56 /*v312*/
	s_set_vgpr_msb 64                       ;  msbs: dst=1 src0=0 src1=0 src2=0
	v_mul_i32_i24_e32 v79 /*v335*/, v122, v141
	s_set_vgpr_msb 0x41                     ;  msbs: dst=1 src0=1 src1=0 src2=0
	v_mul_i32_i24_e32 v81 /*v337*/, v8 /*v264*/, v142
	s_set_vgpr_msb 64                       ;  msbs: dst=1 src0=0 src1=0 src2=0
	v_mul_i32_i24_e32 v82 /*v338*/, v124, v143
	v_mul_i32_i24_e32 v83 /*v339*/, v126, v145
	s_set_vgpr_msb 20                       ;  msbs: dst=0 src0=0 src1=1 src2=1
	v_add3_u32 v92, v92, v59 /*v315*/, v58 /*v314*/
	s_set_vgpr_msb 64                       ;  msbs: dst=1 src0=0 src1=0 src2=0
	v_mul_i32_i24_e32 v84 /*v340*/, v125, v144
	s_set_vgpr_msb 0x41                     ;  msbs: dst=1 src0=1 src1=0 src2=0
	v_mul_i32_i24_e32 v85 /*v341*/, v7 /*v263*/, v146
	s_set_vgpr_msb 64                       ;  msbs: dst=1 src0=0 src1=0 src2=0
	v_mul_i32_i24_e32 v86 /*v342*/, v127, v147
	s_set_vgpr_msb 20                       ;  msbs: dst=0 src0=0 src1=1 src2=1
	v_bfe_u32 v148, v155, 8, 4
	v_add3_u32 v92, v92, v61 /*v317*/, v60 /*v316*/
	s_set_vgpr_msb 0                        ;  msbs: dst=0 src0=0 src1=0 src2=0
	v_and_b32_e32 v149, 15, v155
	v_bfe_u32 v150, v155, 24, 4
	v_bfe_u32 v151, v155, 16, 4
	s_set_vgpr_msb 64                       ;  msbs: dst=1 src0=0 src1=0 src2=0
	v_mul_i32_i24_e32 v88 /*v344*/, v129, v148
	s_set_vgpr_msb 4                        ;  msbs: dst=0 src0=0 src1=1 src2=0
	v_add3_u32 v92, v92, v62 /*v318*/, v120
	s_set_vgpr_msb 1                        ;  msbs: dst=0 src0=1 src1=0 src2=0
	v_bfe_u32 v120, v12 /*v268*/, 16, 4
	s_set_vgpr_msb 64                       ;  msbs: dst=1 src0=0 src1=0 src2=0
	v_mul_i32_i24_e32 v12 /*v268*/, v117, v255
	s_wait_dscnt 0x3
	s_set_vgpr_msb 4                        ;  msbs: dst=0 src0=0 src1=1 src2=0
	v_lshrrev_b32_e32 v104, 28, v16 /*v272*/
	s_set_vgpr_msb 64                       ;  msbs: dst=1 src0=0 src1=0 src2=0
	v_cvt_f32_f16_e64 v26 /*v282*/, v88
	s_set_vgpr_msb 0                        ;  msbs: dst=0 src0=0 src1=0 src2=0
	v_lshrrev_b32_e32 v88, 16, v88
	v_mul_i32_i24_e32 v121, v120, v247
	s_set_vgpr_msb 64                       ;  msbs: dst=1 src0=0 src1=0 src2=0
	v_mul_i32_i24_e32 v87 /*v343*/, v128, v149
	s_set_vgpr_msb 0x41                     ;  msbs: dst=1 src0=1 src1=0 src2=0
	v_mul_i32_i24_e32 v89 /*v345*/, v6 /*v262*/, v150
	v_mul_i32_i24_e32 v90 /*v346*/, v5 /*v261*/, v151
	v_and_b32_e32 v91 /*v347*/, 15, v93
	s_set_vgpr_msb 16                       ;  msbs: dst=0 src0=0 src1=0 src2=1
	v_add3_u32 v107, v107, v121, v12 /*v268*/
	s_set_vgpr_msb 4                        ;  msbs: dst=0 src0=0 src1=1 src2=0
	v_and_b32_e32 v121, 15, v14 /*v270*/
	s_set_vgpr_msb 1                        ;  msbs: dst=0 src0=1 src1=0 src2=0
	v_bfe_u32 v93, v14 /*v270*/, 8, 4
	s_wait_dscnt 0x2
	s_set_vgpr_msb 0x44                     ;  msbs: dst=1 src0=0 src1=1 src2=0
	v_lshrrev_b16 v97 /*v353*/, 8, v18 /*v274*/
	s_set_vgpr_msb 20                       ;  msbs: dst=0 src0=0 src1=1 src2=1
	v_bfe_u32 v153, v155, 4, 4
	v_add3_u32 v107, v107, v69 /*v325*/, v68 /*v324*/
	s_set_vgpr_msb 0                        ;  msbs: dst=0 src0=0 src1=0 src2=0
	v_mul_i32_i24_e32 v106, v121, v106
	s_set_vgpr_msb 64                       ;  msbs: dst=1 src0=0 src1=0 src2=0
	v_mul_i32_i24_e32 v63 /*v319*/, v128, v213
	v_mul_i32_i24_e32 v64 /*v320*/, v129, v212
	;; [unrolled: 1-line block ×3, first 2 shown]
	s_set_vgpr_msb 20                       ;  msbs: dst=0 src0=0 src1=1 src2=1
	v_add3_u32 v107, v107, v70 /*v326*/, v71 /*v327*/
	s_set_vgpr_msb 64                       ;  msbs: dst=1 src0=0 src1=0 src2=0
	v_mad_i32_i24 v57 /*v313*/, v93, v108, v106
	s_set_vgpr_msb 1                        ;  msbs: dst=0 src0=1 src1=0 src2=0
	v_bfe_u32 v106, v14 /*v270*/, 4, 4
	s_set_vgpr_msb 64                       ;  msbs: dst=1 src0=0 src1=0 src2=0
	v_mul_i32_i24_e32 v47 /*v303*/, v109, v153
	s_set_vgpr_msb 1                        ;  msbs: dst=0 src0=1 src1=0 src2=0
	v_bfe_u32 v108, v14 /*v270*/, 20, 4
	s_set_vgpr_msb 20                       ;  msbs: dst=0 src0=0 src1=1 src2=1
	v_add3_u32 v107, v107, v73 /*v329*/, v72 /*v328*/
	s_set_vgpr_msb 0x41                     ;  msbs: dst=1 src0=1 src1=0 src2=0
	v_mul_i32_i24_e32 v65 /*v321*/, v6 /*v262*/, v214
	s_set_vgpr_msb 64                       ;  msbs: dst=1 src0=0 src1=0 src2=0
	v_mul_i32_i24_e32 v60 /*v316*/, v106, v110
	s_set_vgpr_msb 1                        ;  msbs: dst=0 src0=1 src1=0 src2=0
	v_bfe_i32 v110, v97 /*v353*/, 0, 8
	s_set_vgpr_msb 0x41                     ;  msbs: dst=1 src0=1 src1=0 src2=0
	v_mul_i32_i24_e32 v66 /*v322*/, v5 /*v261*/, v215
	s_set_vgpr_msb 20                       ;  msbs: dst=0 src0=0 src1=1 src2=1
	v_add3_u32 v107, v107, v74 /*v330*/, v75 /*v331*/
	v_add3_u32 v92, v92, v64 /*v320*/, v63 /*v319*/
	s_set_vgpr_msb 64                       ;  msbs: dst=1 src0=0 src1=0 src2=0
	v_mul_i32_i24_e32 v62 /*v318*/, v108, v112
	s_set_vgpr_msb 0x44                     ;  msbs: dst=1 src0=0 src1=1 src2=0
	v_ashrrev_i32_e32 v63 /*v319*/, 24, v18 /*v274*/
	s_set_vgpr_msb 0                        ;  msbs: dst=0 src0=0 src1=0 src2=0
	v_mul_i32_i24_e32 v112, v110, v224
	s_set_vgpr_msb 20                       ;  msbs: dst=0 src0=0 src1=1 src2=1
	v_add3_u32 v107, v107, v76 /*v332*/, v77 /*v333*/
	v_add3_u32 v92, v92, v66 /*v322*/, v65 /*v321*/
	v_and_b32_e32 v101, 0xf0f0f0f, v15 /*v271*/
	s_set_vgpr_msb 0x41                     ;  msbs: dst=1 src0=1 src1=0 src2=0
	v_mul_i32_i24_e32 v65 /*v321*/, v63 /*v319*/, v225
	v_mul_i32_i24_e32 v66 /*v322*/, v63 /*v319*/, v196
	s_set_vgpr_msb 20                       ;  msbs: dst=0 src0=0 src1=1 src2=1
	v_add3_u32 v107, v107, v78 /*v334*/, v13 /*v269*/
	s_set_vgpr_msb 0x41                     ;  msbs: dst=1 src0=1 src1=0 src2=0
	v_mul_i32_i24_e32 v68 /*v324*/, v63 /*v319*/, v132
	v_lshrrev_b16 v92 /*v348*/, 8, v101
	s_set_vgpr_msb 1                        ;  msbs: dst=0 src0=1 src1=0 src2=0
	v_bfe_u32 v100, v15 /*v271*/, 24, 4
	s_set_vgpr_msb 20                       ;  msbs: dst=0 src0=0 src1=1 src2=1
	v_lshrrev_b32_e32 v101, 28, v15 /*v271*/
	v_add3_u32 v107, v107, v80 /*v336*/, v79 /*v335*/
	v_and_b32_e32 v102, 0xf0f0f0f, v16 /*v272*/
	s_set_vgpr_msb 1                        ;  msbs: dst=0 src0=1 src1=0 src2=0
	v_bfe_u32 v103, v16 /*v272*/, 24, 4
	s_set_vgpr_msb 20                       ;  msbs: dst=0 src0=0 src1=1 src2=1
	v_add3_u32 v81, v81, v29 /*v285*/, v30 /*v286*/
	v_and_b32_e32 v105, 0xf0f0f0f, v17 /*v273*/
	v_add3_u32 v107, v107, v82 /*v338*/, v81 /*v337*/
	s_set_vgpr_msb 64                       ;  msbs: dst=1 src0=0 src1=0 src2=0
	v_lshrrev_b16 v94 /*v350*/, 8, v102
	s_set_vgpr_msb 20                       ;  msbs: dst=0 src0=0 src1=1 src2=1
	v_lshrrev_b32_e32 v102, 4, v16 /*v272*/
	v_add3_u32 v81, v81, v32 /*v288*/, v31 /*v287*/
	s_set_vgpr_msb 64                       ;  msbs: dst=1 src0=0 src1=0 src2=0
	v_lshrrev_b16 v96 /*v352*/, 8, v105
	s_set_vgpr_msb 20                       ;  msbs: dst=0 src0=0 src1=1 src2=1
	v_add3_u32 v107, v107, v84 /*v340*/, v83 /*v339*/
	s_wait_dscnt 0x0
	s_set_vgpr_msb 0x41                     ;  msbs: dst=1 src0=1 src1=0 src2=0
	v_bfe_i32 v98 /*v354*/, v24 /*v280*/, 0, 8
	s_set_vgpr_msb 0                        ;  msbs: dst=0 src0=0 src1=0 src2=0
	v_lshrrev_b16 v102, 8, v102
	s_set_vgpr_msb 20                       ;  msbs: dst=0 src0=0 src1=1 src2=1
	v_add3_u32 v81, v81, v34 /*v290*/, v33 /*v289*/
	s_set_vgpr_msb 0x41                     ;  msbs: dst=1 src0=1 src1=0 src2=0
	v_bfe_i32 v99 /*v355*/, v24 /*v280*/, 8, 8
	s_set_vgpr_msb 20                       ;  msbs: dst=0 src0=0 src1=1 src2=1
	v_add3_u32 v107, v107, v86 /*v342*/, v85 /*v341*/
	s_set_vgpr_msb 0x41                     ;  msbs: dst=1 src0=1 src1=0 src2=0
	v_mul_i32_i24_e32 v104 /*v360*/, v98 /*v354*/, v222
	v_and_b32_e32 v95 /*v351*/, 15, v102
	s_set_vgpr_msb 20                       ;  msbs: dst=0 src0=0 src1=1 src2=1
	v_add3_u32 v81, v81, v36 /*v292*/, v35 /*v291*/
	s_set_vgpr_msb 0x41                     ;  msbs: dst=1 src0=1 src1=0 src2=0
	v_mul_i32_i24_e32 v35 /*v291*/, v98 /*v354*/, v193
	s_set_vgpr_msb 20                       ;  msbs: dst=0 src0=0 src1=1 src2=1
	v_add3_u32 v107, v107, v88 /*v344*/, v87 /*v343*/
	s_set_vgpr_msb 0x41                     ;  msbs: dst=1 src0=1 src1=0 src2=0
	v_mul_i32_i24_e32 v59 /*v315*/, v98 /*v354*/, v121
	v_bfe_i32 v100 /*v356*/, v24 /*v280*/, 16, 8
	s_set_vgpr_msb 0x44                     ;  msbs: dst=1 src0=0 src1=1 src2=0
	v_ashrrev_i32_e32 v24 /*v280*/, 24, v24 /*v280*/
	s_set_vgpr_msb 0x41                     ;  msbs: dst=1 src0=1 src1=0 src2=0
	v_bfe_i32 v101 /*v357*/, v19 /*v275*/, 0, 8
	s_set_vgpr_msb 0x54                     ;  msbs: dst=1 src0=0 src1=1 src2=1
	v_add3_u32 v12 /*v268*/, v107, v90 /*v346*/, v89 /*v345*/
	s_set_vgpr_msb 1                        ;  msbs: dst=0 src0=1 src1=0 src2=0
	v_bfe_u32 v107, v17 /*v273*/, 4, 4
	s_set_vgpr_msb 0x41                     ;  msbs: dst=1 src0=1 src1=0 src2=0
	v_bfe_i32 v102 /*v358*/, v19 /*v275*/, 8, 8
	v_bfe_i32 v103 /*v359*/, v19 /*v275*/, 16, 8
	s_set_vgpr_msb 0x44                     ;  msbs: dst=1 src0=0 src1=1 src2=0
	v_ashrrev_i32_e32 v19 /*v275*/, 24, v19 /*v275*/
	s_set_vgpr_msb 20                       ;  msbs: dst=0 src0=0 src1=1 src2=1
	v_add3_u32 v81, v81, v38 /*v294*/, v37 /*v293*/
	s_set_vgpr_msb 64                       ;  msbs: dst=1 src0=0 src1=0 src2=0
	v_mul_i32_i24_e32 v58 /*v314*/, v109, v107
	s_set_vgpr_msb 4                        ;  msbs: dst=0 src0=0 src1=1 src2=0
	v_and_b32_e32 v109, 0xffff, v91 /*v347*/
	s_set_vgpr_msb 0x41                     ;  msbs: dst=1 src0=1 src1=0 src2=0
	v_mul_i32_i24_e32 v41 /*v297*/, v6 /*v262*/, v243
	v_mul_i32_i24_e32 v42 /*v298*/, v5 /*v261*/, v244
	;; [unrolled: 1-line block ×3, first 2 shown]
	s_set_vgpr_msb 20                       ;  msbs: dst=0 src0=0 src1=1 src2=1
	v_add3_u32 v81, v81, v40 /*v296*/, v39 /*v295*/
	s_set_vgpr_msb 64                       ;  msbs: dst=1 src0=0 src1=0 src2=0
	v_mul_i32_i24_e32 v61 /*v317*/, v109, v111
	s_set_vgpr_msb 1                        ;  msbs: dst=0 src0=1 src1=0 src2=0
	v_bfe_i32 v111, v18 /*v274*/, 0, 8
	s_set_vgpr_msb 0x41                     ;  msbs: dst=1 src0=1 src1=0 src2=0
	v_bfe_i32 v18 /*v274*/, v18 /*v274*/, 16, 8
	s_set_vgpr_msb 64                       ;  msbs: dst=1 src0=0 src1=0 src2=0
	v_mul_i32_i24_e32 v69 /*v325*/, v110, v109
	s_set_vgpr_msb 0x45                     ;  msbs: dst=1 src0=1 src1=1 src2=0
	v_mul_i32_i24_e32 v34 /*v290*/, v19 /*v275*/, v1 /*v257*/
	s_set_vgpr_msb 0x41                     ;  msbs: dst=1 src0=1 src1=0 src2=0
	v_mul_i32_i24_e32 v106 /*v362*/, v102 /*v358*/, v246
	s_set_vgpr_msb 0                        ;  msbs: dst=0 src0=0 src1=0 src2=0
	v_mad_i32_i24 v112, v111, v218, v112
	s_set_vgpr_msb 0x41                     ;  msbs: dst=1 src0=1 src1=0 src2=0
	v_mul_i32_i24_e32 v64 /*v320*/, v18 /*v274*/, v221
	s_set_vgpr_msb 20                       ;  msbs: dst=0 src0=0 src1=1 src2=1
	v_add3_u32 v81, v81, v42 /*v298*/, v41 /*v297*/
	s_set_vgpr_msb 0x41                     ;  msbs: dst=1 src0=1 src1=0 src2=0
	v_mul_i32_i24_e32 v28 /*v284*/, v4 /*v260*/, v246
	s_set_vgpr_msb 0x45                     ;  msbs: dst=1 src0=1 src1=1 src2=0
	v_mul_i32_i24_e32 v33 /*v289*/, v103 /*v359*/, v2 /*v258*/
	s_set_vgpr_msb 1                        ;  msbs: dst=0 src0=1 src1=0 src2=0
	v_mul_i32_i24_e32 v90, v99 /*v355*/, v189
	s_set_vgpr_msb 0x54                     ;  msbs: dst=1 src0=0 src1=1 src2=1
	v_add3_u32 v64 /*v320*/, v112, v64 /*v320*/, v65 /*v321*/
	s_set_vgpr_msb 0                        ;  msbs: dst=0 src0=0 src1=0 src2=0
	v_mul_i32_i24_e32 v112, v110, v195
	s_set_vgpr_msb 0x41                     ;  msbs: dst=1 src0=1 src1=0 src2=0
	v_mul_i32_i24_e32 v65 /*v321*/, v18 /*v274*/, v192
	s_set_vgpr_msb 0x45                     ;  msbs: dst=1 src0=1 src1=1 src2=0
	v_mul_i32_i24_e32 v29 /*v285*/, v3 /*v259*/, v2 /*v258*/
	v_mul_i32_i24_e32 v31 /*v287*/, v0 /*v256*/, v1 /*v257*/
	s_set_vgpr_msb 16                       ;  msbs: dst=0 src0=0 src1=0 src2=1
	v_add3_u32 v81, v81, v91, v28 /*v284*/
	s_set_vgpr_msb 0                        ;  msbs: dst=0 src0=0 src1=0 src2=0
	v_mad_i32_i24 v112, v111, v191, v112
	s_set_vgpr_msb 0x41                     ;  msbs: dst=1 src0=1 src1=0 src2=0
	v_mul_i32_i24_e32 v30 /*v286*/, v100 /*v356*/, v254
	v_mul_i32_i24_e32 v32 /*v288*/, v24 /*v280*/, v251
	;; [unrolled: 1-line block ×3, first 2 shown]
	s_set_vgpr_msb 20                       ;  msbs: dst=0 src0=0 src1=1 src2=1
	v_add3_u32 v81, v81, v29 /*v285*/, v31 /*v287*/
	s_set_vgpr_msb 0x54                     ;  msbs: dst=1 src0=0 src1=1 src2=1
	v_add3_u32 v65 /*v321*/, v112, v65 /*v321*/, v66 /*v322*/
	s_set_vgpr_msb 0                        ;  msbs: dst=0 src0=0 src1=0 src2=0
	v_mul_i32_i24_e32 v112, v110, v220
	s_set_vgpr_msb 0x41                     ;  msbs: dst=1 src0=1 src1=0 src2=0
	v_mul_i32_i24_e32 v66 /*v322*/, v18 /*v274*/, v219
	s_set_vgpr_msb 1                        ;  msbs: dst=0 src0=1 src1=0 src2=0
	v_bfe_u32 v110, v15 /*v271*/, 16, 4
	s_set_vgpr_msb 0x41                     ;  msbs: dst=1 src0=1 src1=0 src2=0
	v_mul_i32_i24_e32 v45 /*v301*/, v19 /*v275*/, v252
	v_mul_i32_i24_e32 v37 /*v293*/, v102 /*v358*/, v217
	s_set_vgpr_msb 0                        ;  msbs: dst=0 src0=0 src1=0 src2=0
	v_mad_i32_i24 v112, v111, v130, v112
	s_set_vgpr_msb 0x41                     ;  msbs: dst=1 src0=1 src1=0 src2=0
	v_mul_i32_i24_e32 v44 /*v300*/, v103 /*v359*/, v253
	s_set_vgpr_msb 64                       ;  msbs: dst=1 src0=0 src1=0 src2=0
	v_mul_i32_i24_e32 v72 /*v328*/, v115, v110
	s_set_vgpr_msb 1                        ;  msbs: dst=0 src0=1 src1=0 src2=0
	v_bfe_i32 v115, v20 /*v276*/, 8, 8
	s_set_vgpr_msb 0                        ;  msbs: dst=0 src0=0 src1=0 src2=0
	v_cvt_f32_f16_e32 v89, v89
	s_set_vgpr_msb 0x54                     ;  msbs: dst=1 src0=0 src1=1 src2=1
	v_add3_u32 v66 /*v322*/, v112, v66 /*v322*/, v68 /*v324*/
	s_set_vgpr_msb 4                        ;  msbs: dst=0 src0=0 src1=1 src2=0
	v_and_b32_e32 v112, 15, v15 /*v271*/
	s_set_vgpr_msb 64                       ;  msbs: dst=1 src0=0 src1=0 src2=0
	v_mul_i32_i24_e32 v68 /*v324*/, v111, v106
	s_set_vgpr_msb 4                        ;  msbs: dst=0 src0=0 src1=1 src2=0
	v_and_b32_e32 v111, 0xffff, v92 /*v348*/
	s_set_vgpr_msb 64                       ;  msbs: dst=1 src0=0 src1=0 src2=0
	v_mul_i32_i24_e32 v74 /*v330*/, v115, v227
	v_mul_i32_i24_e32 v78 /*v334*/, v115, v198
	;; [unrolled: 1-line block ×3, first 2 shown]
	s_set_vgpr_msb 4                        ;  msbs: dst=0 src0=0 src1=1 src2=0
	v_ashrrev_i32_e32 v113, 24, v20 /*v276*/
	s_set_vgpr_msb 64                       ;  msbs: dst=1 src0=0 src1=0 src2=0
	v_mul_i32_i24_e32 v71 /*v327*/, v114, v111
	s_set_vgpr_msb 1                        ;  msbs: dst=0 src0=1 src1=0 src2=0
	v_bfe_i32 v114, v20 /*v276*/, 16, 8
	s_set_vgpr_msb 0x41                     ;  msbs: dst=1 src0=1 src1=0 src2=0
	v_bfe_i32 v20 /*v276*/, v20 /*v276*/, 0, 8
	s_set_vgpr_msb 64                       ;  msbs: dst=1 src0=0 src1=0 src2=0
	v_mul_i32_i24_e32 v82 /*v338*/, v115, v134
	v_mul_i32_i24_e32 v76 /*v332*/, v113, v229
	;; [unrolled: 1-line block ×4, first 2 shown]
	s_set_vgpr_msb 0x41                     ;  msbs: dst=1 src0=1 src1=0 src2=0
	v_mul_i32_i24_e32 v73 /*v329*/, v20 /*v276*/, v226
	v_mul_i32_i24_e32 v77 /*v333*/, v20 /*v276*/, v197
	s_set_vgpr_msb 0x55                     ;  msbs: dst=1 src0=1 src1=1 src2=1
	v_add3_u32 v64 /*v320*/, v64 /*v320*/, v76 /*v332*/, v74 /*v330*/
	s_set_vgpr_msb 64                       ;  msbs: dst=1 src0=0 src1=0 src2=0
	v_mul_i32_i24_e32 v79 /*v335*/, v114, v199
	v_mul_i32_i24_e32 v83 /*v339*/, v114, v135
	;; [unrolled: 1-line block ×3, first 2 shown]
	s_set_vgpr_msb 0x55                     ;  msbs: dst=1 src0=1 src1=1 src2=1
	v_add3_u32 v65 /*v321*/, v65 /*v321*/, v80 /*v336*/, v78 /*v334*/
	v_add3_u32 v64 /*v320*/, v64 /*v320*/, v73 /*v329*/, v75 /*v331*/
	s_set_vgpr_msb 64                       ;  msbs: dst=1 src0=0 src1=0 src2=0
	v_mul_i32_i24_e32 v73 /*v329*/, v115, v111
	v_mul_i32_i24_e32 v74 /*v330*/, v114, v110
	;; [unrolled: 1-line block ×3, first 2 shown]
	s_set_vgpr_msb 1                        ;  msbs: dst=0 src0=1 src1=0 src2=0
	v_bfe_u32 v113, v15 /*v271*/, 20, 4
	s_set_vgpr_msb 4                        ;  msbs: dst=0 src0=0 src1=1 src2=0
	v_and_b32_e32 v114, 0xffff, v93 /*v349*/
	s_set_vgpr_msb 1                        ;  msbs: dst=0 src0=1 src1=0 src2=0
	v_bfe_u32 v115, v15 /*v271*/, 4, 4
	s_set_vgpr_msb 0x41                     ;  msbs: dst=1 src0=1 src1=0 src2=0
	v_mul_i32_i24_e32 v81 /*v337*/, v20 /*v276*/, v133
	s_set_vgpr_msb 0x55                     ;  msbs: dst=1 src0=1 src1=1 src2=1
	v_add3_u32 v65 /*v321*/, v65 /*v321*/, v77 /*v333*/, v79 /*v335*/
	v_add3_u32 v66 /*v322*/, v66 /*v322*/, v84 /*v340*/, v82 /*v338*/
	s_set_vgpr_msb 64                       ;  msbs: dst=1 src0=0 src1=0 src2=0
	v_mul_i32_i24_e32 v76 /*v332*/, v118, v114
	v_mul_i32_i24_e32 v15 /*v271*/, v116, v115
	;; [unrolled: 1-line block ×3, first 2 shown]
	s_set_vgpr_msb 4                        ;  msbs: dst=0 src0=0 src1=1 src2=0
	v_ashrrev_i32_e32 v116, 24, v22 /*v278*/
	s_set_vgpr_msb 1                        ;  msbs: dst=0 src0=1 src1=0 src2=0
	v_bfe_i32 v118, v22 /*v278*/, 16, 8
	v_bfe_i32 v119, v22 /*v278*/, 8, 8
	s_set_vgpr_msb 0x55                     ;  msbs: dst=1 src0=1 src1=1 src2=1
	v_bfe_i32 v22 /*v278*/, v22 /*v278*/, 0, 8
	v_add3_u32 v66 /*v322*/, v66 /*v322*/, v81 /*v337*/, v83 /*v339*/
	s_set_vgpr_msb 64                       ;  msbs: dst=1 src0=0 src1=0 src2=0
	v_mul_i32_i24_e32 v81 /*v337*/, v116, v232
	v_mul_i32_i24_e32 v80 /*v336*/, v118, v223
	;; [unrolled: 1-line block ×3, first 2 shown]
	s_set_vgpr_msb 0x41                     ;  msbs: dst=1 src0=1 src1=0 src2=0
	v_mul_i32_i24_e32 v78 /*v334*/, v22 /*v278*/, v230
	v_mul_i32_i24_e32 v82 /*v338*/, v22 /*v278*/, v201
	s_set_vgpr_msb 64                       ;  msbs: dst=1 src0=0 src1=0 src2=0
	v_mul_i32_i24_e32 v85 /*v341*/, v116, v203
	v_mul_i32_i24_e32 v83 /*v339*/, v119, v202
	;; [unrolled: 1-line block ×3, first 2 shown]
	s_set_vgpr_msb 0x55                     ;  msbs: dst=1 src0=1 src1=1 src2=1
	v_add3_u32 v64 /*v320*/, v64 /*v320*/, v81 /*v337*/, v78 /*v334*/
	s_set_vgpr_msb 0x41                     ;  msbs: dst=1 src0=1 src1=0 src2=0
	v_mul_i32_i24_e32 v86 /*v342*/, v22 /*v278*/, v137
	s_set_vgpr_msb 64                       ;  msbs: dst=1 src0=0 src1=0 src2=0
	v_mul_i32_i24_e32 v87 /*v343*/, v119, v138
	v_mul_i32_i24_e32 v89 /*v345*/, v116, v139
	s_set_vgpr_msb 0x55                     ;  msbs: dst=1 src0=1 src1=1 src2=1
	v_add3_u32 v65 /*v321*/, v65 /*v321*/, v85 /*v341*/, v82 /*v338*/
	v_add3_u32 v64 /*v320*/, v64 /*v320*/, v79 /*v335*/, v80 /*v336*/
	s_set_vgpr_msb 64                       ;  msbs: dst=1 src0=0 src1=0 src2=0
	v_mul_i32_i24_e32 v78 /*v334*/, v119, v114
	v_mul_i32_i24_e32 v80 /*v336*/, v116, v101
	s_set_vgpr_msb 1                        ;  msbs: dst=0 src0=1 src1=0 src2=0
	v_bfe_u32 v116, v16 /*v272*/, 16, 4
	s_set_vgpr_msb 4                        ;  msbs: dst=0 src0=0 src1=1 src2=0
	v_and_b32_e32 v119, 15, v16 /*v272*/
	s_set_vgpr_msb 64                       ;  msbs: dst=1 src0=0 src1=0 src2=0
	v_mul_i32_i24_e32 v88 /*v344*/, v118, v131
	s_set_vgpr_msb 0x55                     ;  msbs: dst=1 src0=1 src1=1 src2=1
	v_add3_u32 v65 /*v321*/, v65 /*v321*/, v83 /*v339*/, v84 /*v340*/
	v_add3_u32 v66 /*v322*/, v66 /*v322*/, v89 /*v345*/, v86 /*v342*/
	s_set_vgpr_msb 64                       ;  msbs: dst=1 src0=0 src1=0 src2=0
	v_mul_i32_i24_e32 v79 /*v335*/, v118, v113
	s_set_vgpr_msb 4                        ;  msbs: dst=0 src0=0 src1=1 src2=0
	v_and_b32_e32 v118, 0xffff, v94 /*v350*/
	s_set_vgpr_msb 64                       ;  msbs: dst=1 src0=0 src1=0 src2=0
	v_mul_i32_i24_e32 v81 /*v337*/, v122, v119
	v_mul_i32_i24_e32 v83 /*v339*/, v124, v116
	s_set_vgpr_msb 4                        ;  msbs: dst=0 src0=0 src1=1 src2=0
	v_ashrrev_i32_e32 v122, 24, v21 /*v277*/
	s_set_vgpr_msb 1                        ;  msbs: dst=0 src0=1 src1=0 src2=0
	v_bfe_i32 v124, v21 /*v277*/, 8, 8
	s_set_vgpr_msb 0x55                     ;  msbs: dst=1 src0=1 src1=1 src2=1
	v_add3_u32 v66 /*v322*/, v66 /*v322*/, v87 /*v343*/, v88 /*v344*/
	s_set_vgpr_msb 64                       ;  msbs: dst=1 src0=0 src1=0 src2=0
	v_mul_i32_i24_e32 v82 /*v338*/, v123, v118
	s_set_vgpr_msb 1                        ;  msbs: dst=0 src0=1 src1=0 src2=0
	v_bfe_i32 v123, v21 /*v277*/, 16, 8
	s_set_vgpr_msb 0x41                     ;  msbs: dst=1 src0=1 src1=0 src2=0
	v_bfe_i32 v21 /*v277*/, v21 /*v277*/, 0, 8
	s_set_vgpr_msb 64                       ;  msbs: dst=1 src0=0 src1=0 src2=0
	v_mul_i32_i24_e32 v85 /*v341*/, v124, v234
	v_mul_i32_i24_e32 v87 /*v343*/, v122, v235
	;; [unrolled: 1-line block ×4, first 2 shown]
	s_set_vgpr_msb 0x41                     ;  msbs: dst=1 src0=1 src1=0 src2=0
	v_mul_i32_i24_e32 v84 /*v340*/, v21 /*v277*/, v233
	s_set_vgpr_msb 64                       ;  msbs: dst=1 src0=0 src1=0 src2=0
	v_mul_i32_i24_e32 v91 /*v347*/, v122, v206
	s_set_vgpr_msb 0x55                     ;  msbs: dst=1 src0=1 src1=1 src2=1
	v_add3_u32 v64 /*v320*/, v64 /*v320*/, v87 /*v343*/, v85 /*v341*/
	s_set_vgpr_msb 0x41                     ;  msbs: dst=1 src0=1 src1=0 src2=0
	v_mul_i32_i24_e32 v88 /*v344*/, v21 /*v277*/, v205
	s_set_vgpr_msb 64                       ;  msbs: dst=1 src0=0 src1=0 src2=0
	v_mul_i32_i24_e32 v90 /*v346*/, v123, v207
	v_mul_i32_i24_e32 v93 /*v349*/, v124, v140
	;; [unrolled: 1-line block ×4, first 2 shown]
	s_set_vgpr_msb 0x55                     ;  msbs: dst=1 src0=1 src1=1 src2=1
	v_add3_u32 v64 /*v320*/, v64 /*v320*/, v84 /*v340*/, v86 /*v342*/
	v_add3_u32 v65 /*v321*/, v65 /*v321*/, v91 /*v347*/, v89 /*v345*/
	s_set_vgpr_msb 64                       ;  msbs: dst=1 src0=0 src1=0 src2=0
	v_mul_i32_i24_e32 v84 /*v340*/, v124, v118
	v_mul_i32_i24_e32 v85 /*v341*/, v123, v116
	;; [unrolled: 1-line block ×3, first 2 shown]
	s_set_vgpr_msb 1                        ;  msbs: dst=0 src0=1 src1=0 src2=0
	v_bfe_u32 v122, v16 /*v272*/, 20, 4
	s_set_vgpr_msb 4                        ;  msbs: dst=0 src0=0 src1=1 src2=0
	v_and_b32_e32 v123, 0xffff, v95 /*v351*/
	s_set_vgpr_msb 1                        ;  msbs: dst=0 src0=1 src1=0 src2=0
	v_bfe_u32 v124, v16 /*v272*/, 4, 4
	s_set_vgpr_msb 0x41                     ;  msbs: dst=1 src0=1 src1=0 src2=0
	v_mul_i32_i24_e32 v92 /*v348*/, v21 /*v277*/, v141
	s_set_vgpr_msb 0x55                     ;  msbs: dst=1 src0=1 src1=1 src2=1
	v_add3_u32 v65 /*v321*/, v65 /*v321*/, v88 /*v344*/, v90 /*v346*/
	v_add3_u32 v66 /*v322*/, v66 /*v322*/, v97 /*v353*/, v93 /*v349*/
	s_set_vgpr_msb 64                       ;  msbs: dst=1 src0=0 src1=0 src2=0
	v_mul_i32_i24_e32 v87 /*v343*/, v126, v123
	v_mul_i32_i24_e32 v16 /*v272*/, v125, v124
	;; [unrolled: 1-line block ×3, first 2 shown]
	s_set_vgpr_msb 4                        ;  msbs: dst=0 src0=0 src1=1 src2=0
	v_ashrrev_i32_e32 v125, 24, v23 /*v279*/
	s_set_vgpr_msb 1                        ;  msbs: dst=0 src0=1 src1=0 src2=0
	v_bfe_i32 v126, v23 /*v279*/, 16, 8
	v_bfe_i32 v127, v23 /*v279*/, 8, 8
	s_set_vgpr_msb 0x55                     ;  msbs: dst=1 src0=1 src1=1 src2=1
	v_bfe_i32 v23 /*v279*/, v23 /*v279*/, 0, 8
	v_add3_u32 v66 /*v322*/, v66 /*v322*/, v92 /*v348*/, v94 /*v350*/
	s_set_vgpr_msb 64                       ;  msbs: dst=1 src0=0 src1=0 src2=0
	v_mul_i32_i24_e32 v92 /*v348*/, v125, v239
	v_mul_i32_i24_e32 v91 /*v347*/, v126, v240
	;; [unrolled: 1-line block ×3, first 2 shown]
	s_set_vgpr_msb 0x41                     ;  msbs: dst=1 src0=1 src1=0 src2=0
	v_mul_i32_i24_e32 v89 /*v345*/, v23 /*v279*/, v237
	v_mul_i32_i24_e32 v93 /*v349*/, v23 /*v279*/, v208
	s_set_vgpr_msb 64                       ;  msbs: dst=1 src0=0 src1=0 src2=0
	v_mul_i32_i24_e32 v94 /*v350*/, v127, v209
	v_mul_i32_i24_e32 v107 /*v363*/, v127, v145
	;; [unrolled: 1-line block ×3, first 2 shown]
	s_set_vgpr_msb 0x55                     ;  msbs: dst=1 src0=1 src1=1 src2=1
	v_add3_u32 v64 /*v320*/, v64 /*v320*/, v92 /*v348*/, v89 /*v345*/
	s_set_vgpr_msb 64                       ;  msbs: dst=1 src0=0 src1=0 src2=0
	v_mul_i32_i24_e32 v89 /*v345*/, v127, v123
	s_set_vgpr_msb 4                        ;  msbs: dst=0 src0=0 src1=1 src2=0
	v_and_b32_e32 v127, 15, v17 /*v273*/
	s_set_vgpr_msb 64                       ;  msbs: dst=1 src0=0 src1=0 src2=0
	v_mul_i32_i24_e32 v97 /*v353*/, v125, v210
	s_set_vgpr_msb 0x41                     ;  msbs: dst=1 src0=1 src1=0 src2=0
	v_mul_i32_i24_e32 v46 /*v302*/, v98 /*v354*/, v250
	v_mul_i32_i24_e32 v98 /*v354*/, v23 /*v279*/, v144
	s_set_vgpr_msb 64                       ;  msbs: dst=1 src0=0 src1=0 src2=0
	v_mul_i32_i24_e32 v108 /*v364*/, v126, v147
	v_mul_i32_i24_e32 v109 /*v365*/, v125, v146
	s_set_vgpr_msb 0x55                     ;  msbs: dst=1 src0=1 src1=1 src2=1
	v_add3_u32 v65 /*v321*/, v65 /*v321*/, v97 /*v353*/, v93 /*v349*/
	v_add3_u32 v64 /*v320*/, v64 /*v320*/, v90 /*v346*/, v91 /*v347*/
	s_set_vgpr_msb 64                       ;  msbs: dst=1 src0=0 src1=0 src2=0
	v_mul_i32_i24_e32 v90 /*v346*/, v126, v122
	s_set_vgpr_msb 4                        ;  msbs: dst=0 src0=0 src1=1 src2=0
	v_and_b32_e32 v126, 0xffff, v96 /*v352*/
	s_set_vgpr_msb 64                       ;  msbs: dst=1 src0=0 src1=0 src2=0
	v_mul_i32_i24_e32 v92 /*v348*/, v128, v127
	s_set_vgpr_msb 0x55                     ;  msbs: dst=1 src0=1 src1=1 src2=1
	v_add3_u32 v65 /*v321*/, v65 /*v321*/, v94 /*v350*/, v95 /*v351*/
	s_set_vgpr_msb 4                        ;  msbs: dst=0 src0=0 src1=1 src2=0
	v_ashrrev_i32_e32 v128, 24, v25 /*v281*/
	s_set_vgpr_msb 0x55                     ;  msbs: dst=1 src0=1 src1=1 src2=1
	v_bfe_i32 v94 /*v350*/, v25 /*v281*/, 8, 8
	v_add3_u32 v66 /*v322*/, v66 /*v322*/, v109 /*v365*/, v98 /*v354*/
	s_set_vgpr_msb 64                       ;  msbs: dst=1 src0=0 src1=0 src2=0
	v_mul_i32_i24_e32 v93 /*v349*/, v129, v126
	s_set_vgpr_msb 1                        ;  msbs: dst=0 src0=1 src1=0 src2=0
	v_bfe_i32 v129, v25 /*v281*/, 16, 8
	s_set_vgpr_msb 0x41                     ;  msbs: dst=1 src0=1 src1=0 src2=0
	v_bfe_i32 v25 /*v281*/, v25 /*v281*/, 0, 8
	v_mul_i32_i24_e32 v96 /*v352*/, v94 /*v350*/, v242
	s_set_vgpr_msb 64                       ;  msbs: dst=1 src0=0 src1=0 src2=0
	v_mul_i32_i24_e32 v98 /*v354*/, v128, v243
	s_set_vgpr_msb 0x55                     ;  msbs: dst=1 src0=1 src1=1 src2=1
	v_add3_u32 v66 /*v322*/, v66 /*v322*/, v107 /*v363*/, v108 /*v364*/
	s_set_vgpr_msb 64                       ;  msbs: dst=1 src0=0 src1=0 src2=0
	v_mul_i32_i24_e32 v97 /*v353*/, v129, v244
	s_set_vgpr_msb 0x41                     ;  msbs: dst=1 src0=1 src1=0 src2=0
	v_mul_i32_i24_e32 v95 /*v351*/, v25 /*v281*/, v241
	v_mul_i32_i24_e32 v108 /*v364*/, v94 /*v350*/, v212
	s_set_vgpr_msb 0x55                     ;  msbs: dst=1 src0=1 src1=1 src2=1
	v_add3_u32 v64 /*v320*/, v64 /*v320*/, v98 /*v354*/, v96 /*v352*/
	s_set_vgpr_msb 64                       ;  msbs: dst=1 src0=0 src1=0 src2=0
	v_mul_i32_i24_e32 v110 /*v366*/, v128, v214
	s_set_vgpr_msb 0x41                     ;  msbs: dst=1 src0=1 src1=0 src2=0
	v_mul_i32_i24_e32 v107 /*v363*/, v25 /*v281*/, v213
	s_set_vgpr_msb 64                       ;  msbs: dst=1 src0=0 src1=0 src2=0
	v_mul_i32_i24_e32 v109 /*v365*/, v129, v215
	s_set_vgpr_msb 0                        ;  msbs: dst=0 src0=0 src1=0 src2=0
	v_cvt_f32_f16_e32 v88, v88
	s_set_vgpr_msb 0x55                     ;  msbs: dst=1 src0=1 src1=1 src2=1
	v_add3_u32 v64 /*v320*/, v64 /*v320*/, v95 /*v351*/, v97 /*v353*/
	s_set_vgpr_msb 0x41                     ;  msbs: dst=1 src0=1 src1=0 src2=0
	v_mul_i32_i24_e32 v38 /*v294*/, v99 /*v355*/, v190
	v_mul_i32_i24_e32 v41 /*v297*/, v100 /*v356*/, v249
	v_mul_i32_i24_e32 v43 /*v299*/, v24 /*v280*/, v248
	s_set_vgpr_msb 0                        ;  msbs: dst=0 src0=0 src1=0 src2=0
	v_pk_mul_f32 v[88:89], v[88:89], s[4:5] op_sel_hi:[1,0]
	s_set_vgpr_msb 0x55                     ;  msbs: dst=1 src0=1 src1=1 src2=1
	v_add3_u32 v34 /*v290*/, v64 /*v320*/, v34 /*v290*/, v105 /*v361*/
	s_set_vgpr_msb 0x41                     ;  msbs: dst=1 src0=1 src1=0 src2=0
	v_mul_i32_i24_e32 v112 /*v368*/, v94 /*v350*/, v148
	s_set_vgpr_msb 64                       ;  msbs: dst=1 src0=0 src1=0 src2=0
	v_mul_i32_i24_e32 v114 /*v370*/, v128, v150
	s_set_vgpr_msb 0x41                     ;  msbs: dst=1 src0=1 src1=0 src2=0
	v_mul_i32_i24_e32 v111 /*v367*/, v25 /*v281*/, v149
	s_set_vgpr_msb 64                       ;  msbs: dst=1 src0=0 src1=0 src2=0
	v_mul_i32_i24_e32 v113 /*v369*/, v129, v151
	s_set_vgpr_msb 0x55                     ;  msbs: dst=1 src0=1 src1=1 src2=1
	v_add3_u32 v33 /*v289*/, v34 /*v290*/, v106 /*v362*/, v33 /*v289*/
	s_set_vgpr_msb 0                        ;  msbs: dst=0 src0=0 src1=0 src2=0
	v_bfe_u32 v152, v155, 12, 4
	s_set_vgpr_msb 0x41                     ;  msbs: dst=1 src0=1 src1=0 src2=0
	v_mul_i32_i24_e32 v39 /*v295*/, v4 /*v260*/, v217
	v_mul_i32_i24_e32 v48 /*v304*/, v101 /*v357*/, v153
	s_set_vgpr_msb 0                        ;  msbs: dst=0 src0=0 src1=0 src2=0
	v_bfe_u32 v155, v155, 20, 4
	s_set_vgpr_msb 5                        ;  msbs: dst=0 src0=1 src1=1 src2=0
	v_add3_u32 v90, v33 /*v289*/, v104 /*v360*/, v90
	s_set_vgpr_msb 0x41                     ;  msbs: dst=1 src0=1 src1=0 src2=0
	v_mul_i32_i24_e32 v56 /*v312*/, v19 /*v275*/, v154
	v_mul_i32_i24_e32 v40 /*v296*/, v3 /*v259*/, v253
	;; [unrolled: 1-line block ×4, first 2 shown]
	s_set_vgpr_msb 20                       ;  msbs: dst=0 src0=0 src1=1 src2=1
	v_add3_u32 v91, v90, v30 /*v286*/, v32 /*v288*/
	v_cvt_f32_i32_e32 v90, v81
	s_set_vgpr_msb 21                       ;  msbs: dst=0 src0=1 src1=1 src2=1
	v_add3_u32 v81, v65 /*v321*/, v110 /*v366*/, v108 /*v364*/
	s_set_vgpr_msb 0x41                     ;  msbs: dst=1 src0=1 src1=0 src2=0
	v_mul_i32_i24_e32 v55 /*v311*/, v103 /*v359*/, v155
	v_mul_i32_i24_e32 v13 /*v269*/, v99 /*v355*/, v98
	s_set_vgpr_msb 0                        ;  msbs: dst=0 src0=0 src1=0 src2=0
	v_cvt_f32_i32_e32 v91, v91
	s_set_vgpr_msb 0x41                     ;  msbs: dst=1 src0=1 src1=0 src2=0
	v_mul_i32_i24_e32 v52 /*v308*/, v100 /*v356*/, v120
	s_set_vgpr_msb 20                       ;  msbs: dst=0 src0=0 src1=1 src2=1
	v_add3_u32 v81, v81, v107 /*v363*/, v109 /*v365*/
	s_set_vgpr_msb 0x41                     ;  msbs: dst=1 src0=1 src1=0 src2=0
	v_mul_i32_i24_e32 v54 /*v310*/, v24 /*v280*/, v117
	s_set_vgpr_msb 0x44                     ;  msbs: dst=1 src0=0 src1=1 src2=0
	v_mul_i32_i24_e32 v11 /*v267*/, v99, v11 /*v267*/
	s_set_vgpr_msb 1                        ;  msbs: dst=0 src0=1 src1=0 src2=0
	v_pk_fma_f32 v[90:91], v[26:27] /*v[282:283]*/, v[90:91], v[88:89] neg_lo:[0,0,1] neg_hi:[0,0,1]
	s_set_vgpr_msb 0x41                     ;  msbs: dst=1 src0=1 src1=0 src2=0
	v_mul_i32_i24_e32 v10 /*v266*/, v10 /*v266*/, v100
	s_set_vgpr_msb 20                       ;  msbs: dst=0 src0=0 src1=1 src2=1
	v_add3_u32 v81, v81, v45 /*v301*/, v36 /*v292*/
	s_set_vgpr_msb 0x41                     ;  msbs: dst=1 src0=1 src1=0 src2=0
	v_mul_i32_i24_e32 v50 /*v306*/, v4 /*v260*/, v152
	v_mul_i32_i24_e32 v51 /*v307*/, v3 /*v259*/, v155
	s_set_vgpr_msb 0                        ;  msbs: dst=0 src0=0 src1=0 src2=0
	v_pk_fma_f32 v[60:61], v[84:85], v[90:91], v[60:61] op_sel_hi:[0,1,1]
	s_set_vgpr_msb 20                       ;  msbs: dst=0 src0=0 src1=1 src2=1
	v_add3_u32 v90, v92, v67 /*v323*/, v39 /*v295*/
	v_add3_u32 v81, v81, v37 /*v293*/, v44 /*v300*/
	s_set_vgpr_msb 1                        ;  msbs: dst=0 src0=1 src1=0 src2=0
	v_bfe_u32 v92, v14 /*v270*/, 16, 4
	s_set_vgpr_msb 0x41                     ;  msbs: dst=1 src0=1 src1=0 src2=0
	v_mul_i32_i24_e32 v53 /*v309*/, v0 /*v256*/, v154
	v_mul_i32_i24_e32 v9 /*v265*/, v9 /*v265*/, v101
	s_set_vgpr_msb 20                       ;  msbs: dst=0 src0=0 src1=1 src2=1
	v_add3_u32 v90, v90, v40 /*v296*/, v42 /*v298*/
	v_add3_u32 v81, v81, v35 /*v291*/, v38 /*v294*/
	s_set_vgpr_msb 0                        ;  msbs: dst=0 src0=0 src1=0 src2=0
	v_mul_i32_i24_e32 v247, v92, v247
	s_set_vgpr_msb 1                        ;  msbs: dst=0 src0=1 src1=0 src2=0
	v_bfe_u32 v102, v17 /*v273*/, 24, 4
	s_set_vgpr_msb 0x41                     ;  msbs: dst=1 src0=1 src1=0 src2=0
	v_mul_i32_i24_e32 v20 /*v276*/, v20 /*v276*/, v112
	s_set_vgpr_msb 20                       ;  msbs: dst=0 src0=0 src1=1 src2=1
	v_cvt_f32_i32_e32 v90, v90
	v_add3_u32 v81, v81, v41 /*v297*/, v43 /*v299*/
	s_set_vgpr_msb 0x41                     ;  msbs: dst=1 src0=1 src1=0 src2=0
	v_mul_i32_i24_e32 v22 /*v278*/, v22 /*v278*/, v115
	v_mul_i32_i24_e32 v8 /*v264*/, v8 /*v264*/, v103
	s_set_vgpr_msb 64                       ;  msbs: dst=1 src0=0 src1=0 src2=0
	v_mul_i32_i24_e32 v91 /*v347*/, v125, v104
	s_set_vgpr_msb 1                        ;  msbs: dst=0 src0=1 src1=0 src2=0
	v_bfe_u32 v125, v17 /*v273*/, 16, 4
	s_set_vgpr_msb 0                        ;  msbs: dst=0 src0=0 src1=0 src2=0
	v_cvt_f32_i32_e32 v91, v81
	s_set_vgpr_msb 21                       ;  msbs: dst=0 src0=1 src1=1 src2=1
	v_add3_u32 v81, v66 /*v322*/, v114 /*v370*/, v112 /*v368*/
	s_set_vgpr_msb 0x41                     ;  msbs: dst=1 src0=1 src1=0 src2=0
	v_mul_i32_i24_e32 v21 /*v277*/, v21 /*v277*/, v119
	v_mul_i32_i24_e32 v23 /*v279*/, v23 /*v279*/, v124
	s_set_vgpr_msb 1                        ;  msbs: dst=0 src0=1 src1=0 src2=0
	v_bfe_u32 v105, v17 /*v273*/, 12, 4
	v_pk_fma_f32 v[90:91], v[26:27] /*v[282:283]*/, v[90:91], v[88:89] neg_lo:[0,0,1] neg_hi:[0,0,1]
	s_set_vgpr_msb 20                       ;  msbs: dst=0 src0=0 src1=1 src2=1
	v_add3_u32 v81, v81, v111 /*v367*/, v113 /*v369*/
	s_set_vgpr_msb 0x41                     ;  msbs: dst=1 src0=1 src1=0 src2=0
	v_mul_i32_i24_e32 v7 /*v263*/, v7 /*v263*/, v104
	v_mul_i32_i24_e32 v5 /*v261*/, v5 /*v261*/, v125
	;; [unrolled: 1-line block ×3, first 2 shown]
	s_set_vgpr_msb 0                        ;  msbs: dst=0 src0=0 src1=0 src2=0
	v_pk_fma_f32 v[68:69], v[86:87], v[90:91], v[68:69] op_sel_hi:[0,1,1]
	s_set_vgpr_msb 20                       ;  msbs: dst=0 src0=0 src1=1 src2=1
	v_add3_u32 v81, v81, v56 /*v312*/, v48 /*v304*/
	s_set_vgpr_msb 21                       ;  msbs: dst=0 src0=1 src1=1 src2=1
	v_add3_u32 v90, v12 /*v268*/, v47 /*v303*/, v50 /*v306*/
	s_set_vgpr_msb 64                       ;  msbs: dst=1 src0=0 src1=0 src2=0
	v_mul_i32_i24_e32 v12 /*v268*/, v129, v125
	s_set_vgpr_msb 1                        ;  msbs: dst=0 src0=1 src1=0 src2=0
	v_bfe_u32 v129, v17 /*v273*/, 20, 4
	v_dual_add_nc_u32 v97, 16, v97 :: v_dual_add_nc_u32 v96, 4, v96
	s_set_vgpr_msb 20                       ;  msbs: dst=0 src0=0 src1=1 src2=1
	v_add3_u32 v81, v81, v49 /*v305*/, v55 /*v311*/
	v_add3_u32 v90, v90, v51 /*v307*/, v53 /*v309*/
	s_set_vgpr_msb 0x41                     ;  msbs: dst=1 src0=1 src1=0 src2=0
	v_mul_i32_i24_e32 v3 /*v259*/, v3 /*v259*/, v129
	s_set_vgpr_msb 0                        ;  msbs: dst=0 src0=0 src1=0 src2=0
	v_dual_add_nc_u32 v95, 4, v95 :: v_dual_add_nc_u32 v94, 4, v94
	s_set_vgpr_msb 20                       ;  msbs: dst=0 src0=0 src1=1 src2=1
	v_add3_u32 v81, v81, v46 /*v302*/, v13 /*v269*/
	v_cvt_f32_i32_e32 v90, v90
	s_set_vgpr_msb 64                       ;  msbs: dst=1 src0=0 src1=0 src2=0
	v_mul_i32_i24_e32 v13 /*v269*/, v128, v102
	s_set_vgpr_msb 20                       ;  msbs: dst=0 src0=0 src1=1 src2=1
	v_lshrrev_b32_e32 v128, 28, v17 /*v273*/
	v_add3_u32 v81, v81, v52 /*v308*/, v54 /*v310*/
	s_set_vgpr_msb 0x41                     ;  msbs: dst=1 src0=1 src1=0 src2=0
	s_delay_alu instid0(VALU_DEP_2) | instskip(SKIP_1) | instid1(VALU_DEP_2)
	v_mul_i32_i24_e32 v0 /*v256*/, v0 /*v256*/, v128
	s_set_vgpr_msb 0                        ;  msbs: dst=0 src0=0 src1=0 src2=0
	v_cvt_f32_i32_e32 v91, v81
	s_set_vgpr_msb 1                        ;  msbs: dst=0 src0=1 src1=0 src2=0
	v_bfe_u32 v81, v14 /*v270*/, 24, 4
	s_set_vgpr_msb 0x55                     ;  msbs: dst=1 src0=1 src1=1 src2=1
	v_add3_u32 v14 /*v270*/, v68 /*v324*/, v20 /*v276*/, v22 /*v278*/
	s_set_vgpr_msb 1                        ;  msbs: dst=0 src0=1 src1=0 src2=0
	v_pk_fma_f32 v[90:91], v[26:27] /*v[282:283]*/, v[90:91], v[88:89] neg_lo:[0,0,1] neg_hi:[0,0,1]
	s_set_vgpr_msb 0                        ;  msbs: dst=0 src0=0 src1=0 src2=0
	v_mul_i32_i24_e32 v255, v81, v255
	s_set_vgpr_msb 0x55                     ;  msbs: dst=1 src0=1 src1=1 src2=1
	v_add3_u32 v14 /*v270*/, v14 /*v270*/, v21 /*v277*/, v23 /*v279*/
	s_set_vgpr_msb 0                        ;  msbs: dst=0 src0=0 src1=0 src2=0
	v_pk_fma_f32 v[74:75], v[82:83], v[90:91], v[74:75] op_sel_hi:[0,1,1]
	s_set_vgpr_msb 1                        ;  msbs: dst=0 src0=1 src1=0 src2=0
	v_add3_u32 v247, v57 /*v313*/, v247, v255
	v_mul_i32_i24_e32 v90, v25 /*v281*/, v127
	v_mul_i32_i24_e32 v91, v94 /*v350*/, v126
	s_set_vgpr_msb 0x41                     ;  msbs: dst=1 src0=1 src1=0 src2=0
	v_mul_i32_i24_e32 v25 /*v281*/, v102 /*v358*/, v105
	s_set_vgpr_msb 1                        ;  msbs: dst=0 src0=1 src1=0 src2=0
	v_mul_i32_i24_e32 v255, v4 /*v260*/, v105
	s_set_vgpr_msb 20                       ;  msbs: dst=0 src0=0 src1=1 src2=1
	v_add3_u32 v247, v247, v61 /*v317*/, v60 /*v316*/
	s_set_vgpr_msb 0x41                     ;  msbs: dst=1 src0=1 src1=0 src2=0
	v_mul_i32_i24_e32 v4 /*v260*/, v99 /*v355*/, v93
	s_set_vgpr_msb 20                       ;  msbs: dst=0 src0=0 src1=1 src2=1
	s_delay_alu instid0(VALU_DEP_2) | instskip(SKIP_3) | instid1(VALU_DEP_2)
	v_add3_u32 v247, v247, v62 /*v318*/, v11 /*v267*/
	s_set_vgpr_msb 0x55                     ;  msbs: dst=1 src0=1 src1=1 src2=1
	v_add3_u32 v11 /*v267*/, v69 /*v325*/, v73 /*v329*/, v78 /*v334*/
	s_set_vgpr_msb 20                       ;  msbs: dst=0 src0=0 src1=1 src2=1
	v_add3_u32 v247, v247, v71 /*v327*/, v70 /*v326*/
	s_set_vgpr_msb 0x55                     ;  msbs: dst=1 src0=1 src1=1 src2=1
	s_delay_alu instid0(VALU_DEP_2) | instskip(SKIP_1) | instid1(VALU_DEP_2)
	v_add3_u32 v11 /*v267*/, v11 /*v267*/, v84 /*v340*/, v89 /*v345*/
	s_set_vgpr_msb 20                       ;  msbs: dst=0 src0=0 src1=1 src2=1
	v_add3_u32 v247, v247, v72 /*v328*/, v10 /*v266*/
	s_set_vgpr_msb 0x51                     ;  msbs: dst=1 src0=1 src1=0 src2=1
	v_mad_i32_i24 v10 /*v266*/, v63 /*v319*/, v99, v75 /*v331*/
	s_set_vgpr_msb 20                       ;  msbs: dst=0 src0=0 src1=1 src2=1
	s_delay_alu instid0(VALU_DEP_2) | instskip(SKIP_1) | instid1(VALU_DEP_2)
	v_add3_u32 v247, v247, v15 /*v271*/, v76 /*v332*/
	s_set_vgpr_msb 0x55                     ;  msbs: dst=1 src0=1 src1=1 src2=1
	v_add3_u32 v10 /*v266*/, v10 /*v266*/, v80 /*v336*/, v86 /*v342*/
	s_set_vgpr_msb 20                       ;  msbs: dst=0 src0=0 src1=1 src2=1
	s_delay_alu instid0(VALU_DEP_2)
	v_add3_u32 v247, v247, v77 /*v333*/, v9 /*v265*/
	s_set_vgpr_msb 0x51                     ;  msbs: dst=1 src0=1 src1=0 src2=1
	v_mad_i32_i24 v9 /*v265*/, v18 /*v274*/, v108, v74 /*v330*/
	s_set_vgpr_msb 0x55                     ;  msbs: dst=1 src0=1 src1=1 src2=1
	v_add3_u32 v10 /*v266*/, v10 /*v266*/, v91 /*v347*/, v13 /*v269*/
	s_set_vgpr_msb 20                       ;  msbs: dst=0 src0=0 src1=1 src2=1
	v_add3_u32 v247, v247, v82 /*v338*/, v81 /*v337*/
	s_set_vgpr_msb 0x55                     ;  msbs: dst=1 src0=1 src1=1 src2=1
	v_add3_u32 v9 /*v265*/, v9 /*v265*/, v79 /*v335*/, v85 /*v341*/
	s_set_vgpr_msb 17                       ;  msbs: dst=0 src0=1 src1=0 src2=1
	v_add3_u32 v91, v11 /*v267*/, v91, v10 /*v266*/
	s_set_vgpr_msb 20                       ;  msbs: dst=0 src0=0 src1=1 src2=1
	v_add3_u32 v247, v247, v83 /*v339*/, v8 /*v264*/
	s_set_vgpr_msb 0x55                     ;  msbs: dst=1 src0=1 src1=1 src2=1
	v_add3_u32 v9 /*v265*/, v9 /*v265*/, v90 /*v346*/, v12 /*v268*/
	s_set_vgpr_msb 0x41                     ;  msbs: dst=1 src0=1 src1=0 src2=0
	v_mul_i32_i24_e32 v8 /*v264*/, v19 /*v275*/, v128
	s_set_vgpr_msb 20                       ;  msbs: dst=0 src0=0 src1=1 src2=1
	v_add3_u32 v247, v247, v16 /*v272*/, v87 /*v343*/
	s_set_vgpr_msb 17                       ;  msbs: dst=0 src0=1 src1=0 src2=1
	v_add3_u32 v90, v14 /*v270*/, v90, v9 /*v265*/
	s_set_vgpr_msb 20                       ;  msbs: dst=0 src0=0 src1=1 src2=1
	s_delay_alu instid0(VALU_DEP_2)
	v_add3_u32 v247, v247, v88 /*v344*/, v7 /*v263*/
	s_set_vgpr_msb 0x41                     ;  msbs: dst=1 src0=1 src1=0 src2=0
	v_mul_i32_i24_e32 v7 /*v263*/, v103 /*v359*/, v129
	s_set_vgpr_msb 16                       ;  msbs: dst=0 src0=0 src1=0 src2=1
	v_add3_u32 v90, v90, v91, v8 /*v264*/
	s_set_vgpr_msb 17                       ;  msbs: dst=0 src0=1 src1=0 src2=1
	v_mad_i32_i24 v91, v101 /*v357*/, v107, v25 /*v281*/
	s_set_vgpr_msb 20                       ;  msbs: dst=0 src0=0 src1=1 src2=1
	v_add3_u32 v247, v247, v93 /*v349*/, v92 /*v348*/
	s_set_vgpr_msb 16                       ;  msbs: dst=0 src0=0 src1=0 src2=1
	s_delay_alu instid0(VALU_DEP_2) | instskip(SKIP_1) | instid1(VALU_DEP_2)
	v_add3_u32 v90, v90, v91, v7 /*v263*/
	s_set_vgpr_msb 20                       ;  msbs: dst=0 src0=0 src1=1 src2=1
	v_add3_u32 v247, v247, v5 /*v261*/, v6 /*v262*/
	s_set_vgpr_msb 0x41                     ;  msbs: dst=1 src0=1 src1=0 src2=0
	v_mul_i32_i24_e32 v5 /*v261*/, v100 /*v356*/, v92
	v_mul_i32_i24_e32 v6 /*v262*/, v24 /*v280*/, v81
	s_set_vgpr_msb 20                       ;  msbs: dst=0 src0=0 src1=1 src2=1
	v_add3_u32 v90, v90, v59 /*v315*/, v4 /*v260*/
	s_set_vgpr_msb 4                        ;  msbs: dst=0 src0=0 src1=1 src2=0
	v_add3_u32 v91, v247, v58 /*v314*/, v255
	s_set_vgpr_msb 20                       ;  msbs: dst=0 src0=0 src1=1 src2=1
	s_delay_alu instid0(VALU_DEP_2) | instskip(NEXT) | instid1(VALU_DEP_2)
	v_add3_u32 v90, v90, v5 /*v261*/, v6 /*v262*/
	v_add3_u32 v247, v91, v3 /*v259*/, v0 /*v256*/
	s_delay_alu instid0(VALU_DEP_2) | instskip(NEXT) | instid1(VALU_DEP_2)
	v_cvt_f32_i32_e32 v91, v90
	v_cvt_f32_i32_e32 v90, v247
	s_set_vgpr_msb 1                        ;  msbs: dst=0 src0=1 src1=0 src2=0
	s_delay_alu instid0(VALU_DEP_1) | instskip(SKIP_2) | instid1(VALU_DEP_2)
	v_pk_fma_f32 v[88:89], v[26:27] /*v[282:283]*/, v[90:91], v[88:89] neg_lo:[0,0,1] neg_hi:[0,0,1]
	v_add_nc_u32_e32 v90, 0x800, v85
	s_set_vgpr_msb 0                        ;  msbs: dst=0 src0=0 src1=0 src2=0
	v_pk_fma_f32 v[78:79], v[80:81], v[88:89], v[78:79] op_sel_hi:[0,1,1]
	v_add_nc_u32_e32 v88, 0x804, v85
	s_set_vgpr_msb 64                       ;  msbs: dst=1 src0=0 src1=0 src2=0
	ds_load_2addr_b32 v[4:5] /*v[260:261]*/, v88 offset1:1
	s_set_vgpr_msb 0                        ;  msbs: dst=0 src0=0 src1=0 src2=0
	v_add_nc_u32_e32 v88, 0x814, v85
	s_set_vgpr_msb 64                       ;  msbs: dst=1 src0=0 src1=0 src2=0
	ds_load_2addr_b32 v[6:7] /*v[262:263]*/, v88 offset1:1
	s_set_vgpr_msb 0                        ;  msbs: dst=0 src0=0 src1=0 src2=0
	ds_load_2addr_b32 v[88:89], v90 offset1:3
	s_set_vgpr_msb 64                       ;  msbs: dst=1 src0=0 src1=0 src2=0
	ds_load_2addr_b32 v[8:9] /*v[264:265]*/, v90 offset0:4 offset1:7
	s_set_vgpr_msb 0                        ;  msbs: dst=0 src0=0 src1=0 src2=0
	ds_load_2addr_b32 v[90:91], v83 offset0:64 offset1:96
	s_wait_dscnt 0x4
	s_set_vgpr_msb 0x41                     ;  msbs: dst=1 src0=1 src1=0 src2=0
	v_bfe_i32 v11 /*v267*/, v4 /*v260*/, 0, 8
	v_bfe_i32 v12 /*v268*/, v4 /*v260*/, 8, 8
	;; [unrolled: 1-line block ×3, first 2 shown]
	s_set_vgpr_msb 0x44                     ;  msbs: dst=1 src0=0 src1=1 src2=0
	v_ashrrev_i32_e32 v4 /*v260*/, 24, v4 /*v260*/
	s_set_vgpr_msb 0x41                     ;  msbs: dst=1 src0=1 src1=0 src2=0
	v_bfe_i32 v17 /*v273*/, v5 /*v261*/, 0, 8
	v_mul_i32_i24_e32 v33 /*v289*/, v11 /*v267*/, v226
	s_wait_dscnt 0x1
	v_bfe_i32 v3 /*v259*/, v8 /*v264*/, 8, 8
	v_bfe_i32 v0 /*v256*/, v8 /*v264*/, 0, 8
	;; [unrolled: 1-line block ×3, first 2 shown]
	s_set_vgpr_msb 0x44                     ;  msbs: dst=1 src0=0 src1=1 src2=0
	v_ashrrev_i32_e32 v8 /*v264*/, 24, v8 /*v264*/
	s_set_vgpr_msb 0x51                     ;  msbs: dst=1 src0=1 src1=0 src2=1
	v_bfe_i32 v14 /*v270*/, v6 /*v262*/, 0, 8
	v_mul_i32_i24_e32 v30 /*v286*/, v3 /*v259*/, v224
	v_bfe_i32 v15 /*v271*/, v6 /*v262*/, 8, 8
	v_mul_i32_i24_e32 v31 /*v287*/, v10 /*v266*/, v221
	v_mul_i32_i24_e32 v32 /*v288*/, v8 /*v264*/, v225
	v_bfe_i32 v16 /*v272*/, v6 /*v262*/, 16, 8
	v_mad_i32_i24 v30 /*v286*/, v0 /*v256*/, v218, v30 /*v286*/
	s_set_vgpr_msb 0x44                     ;  msbs: dst=1 src0=0 src1=1 src2=0
	v_ashrrev_i32_e32 v6 /*v262*/, 24, v6 /*v262*/
	s_set_vgpr_msb 0x41                     ;  msbs: dst=1 src0=1 src1=0 src2=0
	v_mul_i32_i24_e32 v34 /*v290*/, v12 /*v268*/, v227
	v_mul_i32_i24_e32 v36 /*v292*/, v4 /*v260*/, v229
	;; [unrolled: 1-line block ×3, first 2 shown]
	s_set_vgpr_msb 0x55                     ;  msbs: dst=1 src0=1 src1=1 src2=1
	v_add3_u32 v30 /*v286*/, v30 /*v286*/, v31 /*v287*/, v32 /*v288*/
	s_set_vgpr_msb 0x41                     ;  msbs: dst=1 src0=1 src1=0 src2=0
	v_mul_i32_i24_e32 v37 /*v293*/, v14 /*v270*/, v230
	v_mul_i32_i24_e32 v40 /*v296*/, v6 /*v262*/, v232
	;; [unrolled: 1-line block ×3, first 2 shown]
	v_bfe_i32 v18 /*v274*/, v5 /*v261*/, 8, 8
	s_set_vgpr_msb 0x55                     ;  msbs: dst=1 src0=1 src1=1 src2=1
	v_add3_u32 v30 /*v286*/, v30 /*v286*/, v36 /*v292*/, v34 /*v290*/
	v_bfe_i32 v19 /*v275*/, v5 /*v261*/, 16, 8
	v_ashrrev_i32_e32 v5 /*v261*/, 24, v5 /*v261*/
	s_set_vgpr_msb 0x41                     ;  msbs: dst=1 src0=1 src1=0 src2=0
	v_mul_i32_i24_e32 v38 /*v294*/, v15 /*v271*/, v231
	v_mul_i32_i24_e32 v39 /*v295*/, v16 /*v272*/, v223
	s_set_vgpr_msb 0x55                     ;  msbs: dst=1 src0=1 src1=1 src2=1
	v_add3_u32 v30 /*v286*/, v30 /*v286*/, v33 /*v289*/, v35 /*v291*/
	s_set_vgpr_msb 0x51                     ;  msbs: dst=1 src0=1 src1=0 src2=1
	v_mul_i32_i24_e32 v33 /*v289*/, v10 /*v266*/, v192
	v_mul_i32_i24_e32 v34 /*v290*/, v8 /*v264*/, v196
	v_mad_i32_i24 v32 /*v288*/, v0 /*v256*/, v191, v32 /*v288*/
	v_bfe_i32 v20 /*v276*/, v7 /*v263*/, 0, 8
	s_set_vgpr_msb 0x55                     ;  msbs: dst=1 src0=1 src1=1 src2=1
	v_add3_u32 v30 /*v286*/, v30 /*v286*/, v40 /*v296*/, v37 /*v293*/
	v_bfe_i32 v21 /*v277*/, v7 /*v263*/, 8, 8
	v_bfe_i32 v22 /*v278*/, v7 /*v263*/, 16, 8
	v_ashrrev_i32_e32 v7 /*v263*/, 24, v7 /*v263*/
	s_set_vgpr_msb 0x41                     ;  msbs: dst=1 src0=1 src1=0 src2=0
	v_mul_i32_i24_e32 v42 /*v298*/, v18 /*v274*/, v234
	v_mul_i32_i24_e32 v44 /*v300*/, v5 /*v261*/, v235
	s_set_vgpr_msb 0x55                     ;  msbs: dst=1 src0=1 src1=1 src2=1
	v_add3_u32 v30 /*v286*/, v30 /*v286*/, v38 /*v294*/, v39 /*v295*/
	s_set_vgpr_msb 0x41                     ;  msbs: dst=1 src0=1 src1=0 src2=0
	v_mul_i32_i24_e32 v36 /*v292*/, v12 /*v268*/, v198
	v_mul_i32_i24_e32 v38 /*v294*/, v4 /*v260*/, v200
	s_set_vgpr_msb 0x55                     ;  msbs: dst=1 src0=1 src1=1 src2=1
	v_add3_u32 v32 /*v288*/, v32 /*v288*/, v33 /*v289*/, v34 /*v290*/
	;; [unrolled: 5-line block ×6, first 2 shown]
	s_set_vgpr_msb 0x41                     ;  msbs: dst=1 src0=1 src1=0 src2=0
	v_mul_i32_i24_e32 v34 /*v290*/, v3 /*v259*/, v220
	s_set_vgpr_msb 0x44                     ;  msbs: dst=1 src0=0 src1=1 src2=0
	v_mul_i32_i24_e32 v3 /*v259*/, v109, v3 /*v259*/
	v_bfe_i32 v23 /*v279*/, v89, 0, 8
	v_bfe_i32 v24 /*v280*/, v89, 8, 8
	;; [unrolled: 1-line block ×3, first 2 shown]
	s_set_vgpr_msb 0                        ;  msbs: dst=0 src0=0 src1=0 src2=0
	v_ashrrev_i32_e32 v89, 24, v89
	s_set_vgpr_msb 0x41                     ;  msbs: dst=1 src0=1 src1=0 src2=0
	v_mul_i32_i24_e32 v46 /*v302*/, v21 /*v277*/, v238
	v_mul_i32_i24_e32 v47 /*v303*/, v22 /*v278*/, v240
	s_set_vgpr_msb 0x55                     ;  msbs: dst=1 src0=1 src1=1 src2=1
	v_add3_u32 v30 /*v286*/, v30 /*v286*/, v48 /*v304*/, v45 /*v301*/
	s_set_vgpr_msb 0x41                     ;  msbs: dst=1 src0=1 src1=0 src2=0
	v_mul_i32_i24_e32 v40 /*v296*/, v15 /*v271*/, v202
	v_mul_i32_i24_e32 v41 /*v297*/, v16 /*v272*/, v194
	s_set_vgpr_msb 0x55                     ;  msbs: dst=1 src0=1 src1=1 src2=1
	v_add3_u32 v32 /*v288*/, v32 /*v288*/, v42 /*v298*/, v39 /*v295*/
	s_set_vgpr_msb 0x51                     ;  msbs: dst=1 src0=1 src1=0 src2=1
	v_mul_i32_i24_e32 v35 /*v291*/, v10 /*v266*/, v219
	v_mul_i32_i24_e32 v36 /*v292*/, v8 /*v264*/, v132
	v_mad_i32_i24 v34 /*v290*/, v0 /*v256*/, v130, v34 /*v290*/
	s_set_vgpr_msb 0x54                     ;  msbs: dst=1 src0=0 src1=1 src2=1
	v_mul_i32_i24_e32 v10 /*v266*/, v108, v10 /*v266*/
	v_mul_i32_i24_e32 v8 /*v264*/, v99, v8 /*v264*/
	v_mad_i32_i24 v0 /*v256*/, v106, v0 /*v256*/, v3 /*v259*/
	s_set_vgpr_msb 0x41                     ;  msbs: dst=1 src0=1 src1=0 src2=0
	v_mul_i32_i24_e32 v50 /*v306*/, v24 /*v280*/, v242
	s_set_vgpr_msb 64                       ;  msbs: dst=1 src0=0 src1=0 src2=0
	v_mul_i32_i24_e32 v52 /*v308*/, v89, v243
	s_set_vgpr_msb 0x55                     ;  msbs: dst=1 src0=1 src1=1 src2=1
	v_add3_u32 v30 /*v286*/, v30 /*v286*/, v46 /*v302*/, v47 /*v303*/
	s_set_vgpr_msb 0x41                     ;  msbs: dst=1 src0=1 src1=0 src2=0
	v_mul_i32_i24_e32 v44 /*v300*/, v18 /*v274*/, v204
	v_mul_i32_i24_e32 v46 /*v302*/, v5 /*v261*/, v206
	s_set_vgpr_msb 0x55                     ;  msbs: dst=1 src0=1 src1=1 src2=1
	v_add3_u32 v32 /*v288*/, v32 /*v288*/, v40 /*v296*/, v41 /*v297*/
	s_set_vgpr_msb 0x41                     ;  msbs: dst=1 src0=1 src1=0 src2=0
	v_mul_i32_i24_e32 v38 /*v294*/, v12 /*v268*/, v134
	v_mul_i32_i24_e32 v40 /*v296*/, v4 /*v260*/, v136
	;; [unrolled: 1-line block ×4, first 2 shown]
	s_set_vgpr_msb 0x55                     ;  msbs: dst=1 src0=1 src1=1 src2=1
	v_add3_u32 v0 /*v256*/, v0 /*v256*/, v10 /*v266*/, v8 /*v264*/
	v_bfe_i32 v26 /*v282*/, v9 /*v265*/, 0, 8
	v_bfe_i32 v27 /*v283*/, v9 /*v265*/, 8, 8
	;; [unrolled: 1-line block ×3, first 2 shown]
	v_ashrrev_i32_e32 v9 /*v265*/, 24, v9 /*v265*/
	s_set_vgpr_msb 0x41                     ;  msbs: dst=1 src0=1 src1=0 src2=0
	v_mul_i32_i24_e32 v49 /*v305*/, v23 /*v279*/, v241
	v_mul_i32_i24_e32 v51 /*v307*/, v25 /*v281*/, v244
	s_set_vgpr_msb 0x55                     ;  msbs: dst=1 src0=1 src1=1 src2=1
	v_add3_u32 v30 /*v286*/, v30 /*v286*/, v52 /*v308*/, v50 /*v306*/
	s_set_vgpr_msb 0x41                     ;  msbs: dst=1 src0=1 src1=0 src2=0
	v_mul_i32_i24_e32 v43 /*v299*/, v17 /*v273*/, v205
	v_mul_i32_i24_e32 v45 /*v301*/, v19 /*v275*/, v207
	s_set_vgpr_msb 0x55                     ;  msbs: dst=1 src0=1 src1=1 src2=1
	v_add3_u32 v32 /*v288*/, v32 /*v288*/, v46 /*v302*/, v44 /*v300*/
	s_set_vgpr_msb 0x41                     ;  msbs: dst=1 src0=1 src1=0 src2=0
	v_mul_i32_i24_e32 v37 /*v293*/, v11 /*v267*/, v133
	v_mul_i32_i24_e32 v39 /*v295*/, v13 /*v269*/, v135
	;; [unrolled: 1-line block ×4, first 2 shown]
	s_set_vgpr_msb 0x55                     ;  msbs: dst=1 src0=1 src1=1 src2=1
	v_add3_u32 v0 /*v256*/, v0 /*v256*/, v4 /*v260*/, v12 /*v268*/
	s_set_vgpr_msb 0x41                     ;  msbs: dst=1 src0=1 src1=0 src2=0
	v_mul_i32_i24_e32 v53 /*v309*/, v26 /*v282*/, v245
	s_set_vgpr_msb 0x55                     ;  msbs: dst=1 src0=1 src1=1 src2=1
	v_mul_i32_i24_e32 v56 /*v312*/, v9 /*v265*/, v1 /*v257*/
	v_add3_u32 v30 /*v286*/, v30 /*v286*/, v49 /*v305*/, v51 /*v307*/
	s_set_vgpr_msb 0x41                     ;  msbs: dst=1 src0=1 src1=0 src2=0
	v_mul_i32_i24_e32 v47 /*v303*/, v20 /*v276*/, v208
	v_mul_i32_i24_e32 v50 /*v306*/, v7 /*v263*/, v210
	s_set_vgpr_msb 0x55                     ;  msbs: dst=1 src0=1 src1=1 src2=1
	v_add3_u32 v32 /*v288*/, v32 /*v288*/, v43 /*v299*/, v45 /*v301*/
	s_set_vgpr_msb 0x41                     ;  msbs: dst=1 src0=1 src1=0 src2=0
	v_mul_i32_i24_e32 v41 /*v297*/, v14 /*v270*/, v137
	v_mul_i32_i24_e32 v44 /*v300*/, v6 /*v262*/, v139
	;; [unrolled: 1-line block ×4, first 2 shown]
	s_set_vgpr_msb 0x55                     ;  msbs: dst=1 src0=1 src1=1 src2=1
	v_add3_u32 v0 /*v256*/, v0 /*v256*/, v11 /*v267*/, v13 /*v269*/
	s_set_vgpr_msb 0x41                     ;  msbs: dst=1 src0=1 src1=0 src2=0
	v_mul_i32_i24_e32 v54 /*v310*/, v27 /*v283*/, v246
	s_set_vgpr_msb 0x55                     ;  msbs: dst=1 src0=1 src1=1 src2=1
	v_mul_i32_i24_e32 v55 /*v311*/, v28 /*v284*/, v2 /*v258*/
	v_add3_u32 v30 /*v286*/, v30 /*v286*/, v56 /*v312*/, v53 /*v309*/
	s_set_vgpr_msb 0x41                     ;  msbs: dst=1 src0=1 src1=0 src2=0
	v_mul_i32_i24_e32 v48 /*v304*/, v21 /*v277*/, v209
	v_mul_i32_i24_e32 v49 /*v305*/, v22 /*v278*/, v211
	s_set_vgpr_msb 0x55                     ;  msbs: dst=1 src0=1 src1=1 src2=1
	v_add3_u32 v32 /*v288*/, v32 /*v288*/, v50 /*v306*/, v47 /*v303*/
	s_set_vgpr_msb 0x41                     ;  msbs: dst=1 src0=1 src1=0 src2=0
	v_mul_i32_i24_e32 v42 /*v298*/, v15 /*v271*/, v138
	v_mul_i32_i24_e32 v43 /*v299*/, v16 /*v272*/, v131
	;; [unrolled: 1-line block ×4, first 2 shown]
	s_set_vgpr_msb 0x55                     ;  msbs: dst=1 src0=1 src1=1 src2=1
	v_add3_u32 v0 /*v256*/, v0 /*v256*/, v6 /*v262*/, v14 /*v270*/
	v_add3_u32 v30 /*v286*/, v30 /*v286*/, v54 /*v310*/, v55 /*v311*/
	s_set_vgpr_msb 0x41                     ;  msbs: dst=1 src0=1 src1=0 src2=0
	v_mul_i32_i24_e32 v52 /*v308*/, v24 /*v280*/, v212
	s_set_vgpr_msb 64                       ;  msbs: dst=1 src0=0 src1=0 src2=0
	v_mul_i32_i24_e32 v54 /*v310*/, v89, v214
	s_set_vgpr_msb 0x55                     ;  msbs: dst=1 src0=1 src1=1 src2=1
	v_add3_u32 v32 /*v288*/, v32 /*v288*/, v48 /*v304*/, v49 /*v305*/
	s_set_vgpr_msb 0x41                     ;  msbs: dst=1 src0=1 src1=0 src2=0
	v_mul_i32_i24_e32 v46 /*v302*/, v18 /*v274*/, v140
	v_mul_i32_i24_e32 v48 /*v304*/, v5 /*v261*/, v142
	v_mul_i32_i24_e32 v18 /*v274*/, v18 /*v274*/, v118
	v_mul_i32_i24_e32 v5 /*v261*/, v5 /*v261*/, v103
	s_set_vgpr_msb 0x55                     ;  msbs: dst=1 src0=1 src1=1 src2=1
	v_add3_u32 v0 /*v256*/, v0 /*v256*/, v15 /*v271*/, v16 /*v272*/
	s_set_vgpr_msb 0x41                     ;  msbs: dst=1 src0=1 src1=0 src2=0
	v_mul_i32_i24_e32 v51 /*v307*/, v23 /*v279*/, v213
	v_mul_i32_i24_e32 v53 /*v309*/, v25 /*v281*/, v215
	s_set_vgpr_msb 0x55                     ;  msbs: dst=1 src0=1 src1=1 src2=1
	v_add3_u32 v32 /*v288*/, v32 /*v288*/, v54 /*v310*/, v52 /*v308*/
	s_set_vgpr_msb 0x41                     ;  msbs: dst=1 src0=1 src1=0 src2=0
	v_mul_i32_i24_e32 v45 /*v301*/, v17 /*v273*/, v141
	v_mul_i32_i24_e32 v47 /*v303*/, v19 /*v275*/, v143
	v_mul_i32_i24_e32 v17 /*v273*/, v17 /*v273*/, v119
	v_mul_i32_i24_e32 v19 /*v275*/, v19 /*v275*/, v116
	s_set_vgpr_msb 0x55                     ;  msbs: dst=1 src0=1 src1=1 src2=1
	v_add3_u32 v0 /*v256*/, v0 /*v256*/, v5 /*v261*/, v18 /*v274*/
	s_set_vgpr_msb 0x41                     ;  msbs: dst=1 src0=1 src1=0 src2=0
	v_mul_i32_i24_e32 v55 /*v311*/, v26 /*v282*/, v216
	v_mul_i32_i24_e32 v58 /*v314*/, v9 /*v265*/, v252
	;; [unrolled: 12-line block ×3, first 2 shown]
	s_set_vgpr_msb 0x55                     ;  msbs: dst=1 src0=1 src1=1 src2=1
	v_add3_u32 v32 /*v288*/, v32 /*v288*/, v58 /*v314*/, v55 /*v311*/
	s_set_vgpr_msb 0x41                     ;  msbs: dst=1 src0=1 src1=0 src2=0
	v_mul_i32_i24_e32 v50 /*v306*/, v21 /*v277*/, v145
	v_mul_i32_i24_e32 v51 /*v307*/, v22 /*v278*/, v147
	;; [unrolled: 1-line block ×4, first 2 shown]
	s_set_vgpr_msb 0x55                     ;  msbs: dst=1 src0=1 src1=1 src2=1
	v_add3_u32 v0 /*v256*/, v0 /*v256*/, v7 /*v263*/, v20 /*v276*/
	v_add3_u32 v32 /*v288*/, v32 /*v288*/, v56 /*v312*/, v57 /*v313*/
	s_set_vgpr_msb 0x41                     ;  msbs: dst=1 src0=1 src1=0 src2=0
	v_mul_i32_i24_e32 v54 /*v310*/, v24 /*v280*/, v148
	s_set_vgpr_msb 64                       ;  msbs: dst=1 src0=0 src1=0 src2=0
	v_mul_i32_i24_e32 v56 /*v312*/, v89, v150
	s_set_vgpr_msb 0x41                     ;  msbs: dst=1 src0=1 src1=0 src2=0
	v_mul_i32_i24_e32 v24 /*v280*/, v24 /*v280*/, v126
	s_set_vgpr_msb 0                        ;  msbs: dst=0 src0=0 src1=0 src2=0
	v_mul_i32_i24_e32 v89, v89, v102
	s_set_vgpr_msb 0x55                     ;  msbs: dst=1 src0=1 src1=1 src2=1
	v_add3_u32 v0 /*v256*/, v0 /*v256*/, v21 /*v277*/, v22 /*v278*/
	s_set_vgpr_msb 0x41                     ;  msbs: dst=1 src0=1 src1=0 src2=0
	v_mul_i32_i24_e32 v53 /*v309*/, v23 /*v279*/, v149
	v_mul_i32_i24_e32 v55 /*v311*/, v25 /*v281*/, v151
	;; [unrolled: 1-line block ×4, first 2 shown]
	s_set_vgpr_msb 17                       ;  msbs: dst=0 src0=1 src1=0 src2=1
	v_add3_u32 v89, v0 /*v256*/, v89, v24 /*v280*/
	s_set_vgpr_msb 0x41                     ;  msbs: dst=1 src0=1 src1=0 src2=0
	v_mul_i32_i24_e32 v57 /*v313*/, v26 /*v282*/, v153
	v_mul_i32_i24_e32 v60 /*v316*/, v9 /*v265*/, v154
	;; [unrolled: 1-line block ×4, first 2 shown]
	s_set_vgpr_msb 20                       ;  msbs: dst=0 src0=0 src1=1 src2=1
	v_add3_u32 v89, v89, v23 /*v279*/, v25 /*v281*/
	s_set_vgpr_msb 0x41                     ;  msbs: dst=1 src0=1 src1=0 src2=0
	v_mul_i32_i24_e32 v58 /*v314*/, v27 /*v283*/, v152
	v_mul_i32_i24_e32 v59 /*v315*/, v28 /*v284*/, v155
	;; [unrolled: 1-line block ×4, first 2 shown]
	s_set_vgpr_msb 20                       ;  msbs: dst=0 src0=0 src1=1 src2=1
	v_add3_u32 v89, v89, v9 /*v265*/, v26 /*v282*/
	s_set_vgpr_msb 0x55                     ;  msbs: dst=1 src0=1 src1=1 src2=1
	v_add3_u32 v34 /*v290*/, v34 /*v290*/, v35 /*v291*/, v36 /*v292*/
	s_set_vgpr_msb 0                        ;  msbs: dst=0 src0=0 src1=0 src2=0
	v_bfe_i32 v255, v88, 0, 8
	v_bfe_i32 v247, v88, 8, 8
	s_set_vgpr_msb 0x54                     ;  msbs: dst=1 src0=0 src1=1 src2=1
	v_add3_u32 v0 /*v256*/, v89, v27 /*v283*/, v28 /*v284*/
	s_set_vgpr_msb 0                        ;  msbs: dst=0 src0=0 src1=0 src2=0
	v_add_nc_u32_e32 v89, 0xc04, v85
	s_set_vgpr_msb 0x55                     ;  msbs: dst=1 src0=1 src1=1 src2=1
	v_add3_u32 v34 /*v290*/, v34 /*v290*/, v40 /*v296*/, v38 /*v294*/
	s_set_vgpr_msb 64                       ;  msbs: dst=1 src0=0 src1=0 src2=0
	v_mul_i32_i24_e32 v29 /*v285*/, v255, v222
	v_mul_i32_i24_e32 v31 /*v287*/, v255, v193
	;; [unrolled: 1-line block ×3, first 2 shown]
	ds_load_2addr_b32 v[4:5] /*v[260:261]*/, v89 offset1:1
	s_set_vgpr_msb 0                        ;  msbs: dst=0 src0=0 src1=0 src2=0
	v_add_nc_u32_e32 v89, 0xc14, v85
	s_set_vgpr_msb 0x55                     ;  msbs: dst=1 src0=1 src1=1 src2=1
	v_add3_u32 v34 /*v290*/, v34 /*v290*/, v37 /*v293*/, v39 /*v295*/
	s_set_vgpr_msb 0                        ;  msbs: dst=0 src0=0 src1=0 src2=0
	v_mul_i32_i24_e32 v255, v121, v255
	s_set_vgpr_msb 64                       ;  msbs: dst=1 src0=0 src1=0 src2=0
	ds_load_2addr_b32 v[6:7] /*v[262:263]*/, v89 offset1:1
	s_set_vgpr_msb 0                        ;  msbs: dst=0 src0=0 src1=0 src2=0
	v_add_nc_u32_e32 v89, 0xc00, v85
	s_set_vgpr_msb 64                       ;  msbs: dst=1 src0=0 src1=0 src2=0
	ds_load_2addr_b32 v[8:9] /*v[264:265]*/, v89 offset1:3
	ds_load_2addr_b32 v[10:11] /*v[266:267]*/, v89 offset0:4 offset1:7
	s_set_vgpr_msb 0x55                     ;  msbs: dst=1 src0=1 src1=1 src2=1
	v_add3_u32 v34 /*v290*/, v34 /*v290*/, v44 /*v300*/, v41 /*v297*/
	s_delay_alu instid0(VALU_DEP_1)
	v_add3_u32 v34 /*v290*/, v34 /*v290*/, v42 /*v298*/, v43 /*v299*/
	s_wait_dscnt 0x3
	v_bfe_i32 v17 /*v273*/, v4 /*v260*/, 8, 8
	v_ashrrev_i32_e32 v19 /*v275*/, 24, v4 /*v260*/
	v_bfe_i32 v23 /*v279*/, v5 /*v261*/, 0, 8
	v_add3_u32 v34 /*v290*/, v34 /*v290*/, v48 /*v304*/, v46 /*v302*/
	v_bfe_i32 v24 /*v280*/, v5 /*v261*/, 8, 8
	v_bfe_i32 v25 /*v281*/, v5 /*v261*/, 16, 8
	v_ashrrev_i32_e32 v26 /*v282*/, 24, v5 /*v261*/
	v_bfe_i32 v16 /*v272*/, v4 /*v260*/, 0, 8
	v_add3_u32 v34 /*v290*/, v34 /*v290*/, v45 /*v301*/, v47 /*v303*/
	v_bfe_i32 v18 /*v274*/, v4 /*v260*/, 16, 8
	s_wait_dscnt 0x2
	v_bfe_i32 v20 /*v276*/, v6 /*v262*/, 0, 8
	v_bfe_i32 v21 /*v277*/, v6 /*v262*/, 8, 8
	s_wait_dscnt 0x0
	v_bfe_i32 v14 /*v270*/, v10 /*v266*/, 8, 8
	v_bfe_i32 v13 /*v269*/, v10 /*v266*/, 0, 8
	;; [unrolled: 1-line block ×3, first 2 shown]
	v_ashrrev_i32_e32 v10 /*v266*/, 24, v10 /*v266*/
	v_bfe_i32 v22 /*v278*/, v6 /*v262*/, 16, 8
	s_set_vgpr_msb 1                        ;  msbs: dst=0 src0=1 src1=0 src2=0
	v_mul_i32_i24_e32 v89, v14 /*v270*/, v224
	s_set_vgpr_msb 0x44                     ;  msbs: dst=1 src0=0 src1=1 src2=0
	v_ashrrev_i32_e32 v6 /*v262*/, 24, v6 /*v262*/
	s_set_vgpr_msb 0x41                     ;  msbs: dst=1 src0=1 src1=0 src2=0
	v_mul_i32_i24_e32 v5 /*v261*/, v15 /*v271*/, v221
	v_mul_i32_i24_e32 v42 /*v298*/, v10 /*v266*/, v225
	;; [unrolled: 1-line block ×3, first 2 shown]
	s_set_vgpr_msb 1                        ;  msbs: dst=0 src0=1 src1=0 src2=0
	v_mad_i32_i24 v89, v13 /*v269*/, v218, v89
	s_set_vgpr_msb 0x41                     ;  msbs: dst=1 src0=1 src1=0 src2=0
	v_mul_i32_i24_e32 v46 /*v302*/, v19 /*v275*/, v229
	s_set_vgpr_msb 0x55                     ;  msbs: dst=1 src0=1 src1=1 src2=1
	v_add3_u32 v34 /*v290*/, v34 /*v290*/, v52 /*v308*/, v49 /*v305*/
	s_set_vgpr_msb 0x41                     ;  msbs: dst=1 src0=1 src1=0 src2=0
	v_mul_i32_i24_e32 v43 /*v299*/, v16 /*v272*/, v226
	v_mul_i32_i24_e32 v45 /*v301*/, v18 /*v274*/, v228
	s_set_vgpr_msb 20                       ;  msbs: dst=0 src0=0 src1=1 src2=1
	v_add3_u32 v89, v89, v5 /*v261*/, v42 /*v298*/
	s_set_vgpr_msb 0x41                     ;  msbs: dst=1 src0=1 src1=0 src2=0
	v_mul_i32_i24_e32 v47 /*v303*/, v20 /*v276*/, v230
	s_set_vgpr_msb 0x55                     ;  msbs: dst=1 src0=1 src1=1 src2=1
	v_add3_u32 v34 /*v290*/, v34 /*v290*/, v50 /*v306*/, v51 /*v307*/
	s_set_vgpr_msb 0x41                     ;  msbs: dst=1 src0=1 src1=0 src2=0
	v_mul_i32_i24_e32 v50 /*v306*/, v6 /*v262*/, v232
	v_mul_i32_i24_e32 v48 /*v304*/, v21 /*v277*/, v231
	s_set_vgpr_msb 20                       ;  msbs: dst=0 src0=0 src1=1 src2=1
	v_add3_u32 v89, v89, v46 /*v302*/, v44 /*v300*/
	s_set_vgpr_msb 0x41                     ;  msbs: dst=1 src0=1 src1=0 src2=0
	v_mul_i32_i24_e32 v49 /*v305*/, v22 /*v278*/, v223
	s_set_vgpr_msb 0x55                     ;  msbs: dst=1 src0=1 src1=1 src2=1
	v_add3_u32 v34 /*v290*/, v34 /*v290*/, v56 /*v312*/, v54 /*v310*/
	v_bfe_i32 v27 /*v283*/, v7 /*v263*/, 0, 8
	v_bfe_i32 v28 /*v284*/, v7 /*v263*/, 8, 8
	s_set_vgpr_msb 20                       ;  msbs: dst=0 src0=0 src1=1 src2=1
	v_add3_u32 v89, v89, v43 /*v299*/, v45 /*v301*/
	s_set_vgpr_msb 0x55                     ;  msbs: dst=1 src0=1 src1=1 src2=1
	v_bfe_i32 v35 /*v291*/, v7 /*v263*/, 16, 8
	v_add3_u32 v34 /*v290*/, v34 /*v290*/, v53 /*v309*/, v55 /*v311*/
	v_ashrrev_i32_e32 v7 /*v263*/, 24, v7 /*v263*/
	s_set_vgpr_msb 0x41                     ;  msbs: dst=1 src0=1 src1=0 src2=0
	v_mul_i32_i24_e32 v52 /*v308*/, v24 /*v280*/, v234
	s_set_vgpr_msb 20                       ;  msbs: dst=0 src0=0 src1=1 src2=1
	v_add3_u32 v89, v89, v50 /*v306*/, v47 /*v303*/
	s_set_vgpr_msb 0x41                     ;  msbs: dst=1 src0=1 src1=0 src2=0
	v_mul_i32_i24_e32 v54 /*v310*/, v26 /*v282*/, v235
	s_set_vgpr_msb 0x55                     ;  msbs: dst=1 src0=1 src1=1 src2=1
	v_add3_u32 v34 /*v290*/, v34 /*v290*/, v60 /*v316*/, v57 /*v313*/
	s_set_vgpr_msb 0x41                     ;  msbs: dst=1 src0=1 src1=0 src2=0
	v_mul_i32_i24_e32 v51 /*v307*/, v23 /*v279*/, v233
	v_mul_i32_i24_e32 v53 /*v309*/, v25 /*v281*/, v236
	s_set_vgpr_msb 20                       ;  msbs: dst=0 src0=0 src1=1 src2=1
	v_add3_u32 v89, v89, v48 /*v304*/, v49 /*v305*/
	s_set_vgpr_msb 0x41                     ;  msbs: dst=1 src0=1 src1=0 src2=0
	v_mul_i32_i24_e32 v55 /*v311*/, v27 /*v283*/, v237
	s_set_vgpr_msb 0x55                     ;  msbs: dst=1 src0=1 src1=1 src2=1
	v_add3_u32 v34 /*v290*/, v34 /*v290*/, v58 /*v314*/, v59 /*v315*/
	s_set_vgpr_msb 0x41                     ;  msbs: dst=1 src0=1 src1=0 src2=0
	v_mul_i32_i24_e32 v58 /*v314*/, v7 /*v263*/, v239
	v_bfe_i32 v36 /*v292*/, v9 /*v265*/, 0, 8
	s_set_vgpr_msb 20                       ;  msbs: dst=0 src0=0 src1=1 src2=1
	v_add3_u32 v89, v89, v54 /*v310*/, v52 /*v308*/
	s_set_vgpr_msb 0x41                     ;  msbs: dst=1 src0=1 src1=0 src2=0
	v_bfe_i32 v37 /*v293*/, v9 /*v265*/, 8, 8
	v_bfe_i32 v38 /*v294*/, v9 /*v265*/, 16, 8
	s_set_vgpr_msb 0x44                     ;  msbs: dst=1 src0=0 src1=1 src2=0
	v_ashrrev_i32_e32 v9 /*v265*/, 24, v9 /*v265*/
	s_set_vgpr_msb 0x41                     ;  msbs: dst=1 src0=1 src1=0 src2=0
	v_mul_i32_i24_e32 v56 /*v312*/, v28 /*v284*/, v238
	s_set_vgpr_msb 20                       ;  msbs: dst=0 src0=0 src1=1 src2=1
	v_add3_u32 v89, v89, v51 /*v307*/, v53 /*v309*/
	s_set_vgpr_msb 0x41                     ;  msbs: dst=1 src0=1 src1=0 src2=0
	v_mul_i32_i24_e32 v57 /*v313*/, v35 /*v291*/, v240
	v_bfe_i32 v39 /*v295*/, v11 /*v267*/, 0, 8
	v_bfe_i32 v40 /*v296*/, v11 /*v267*/, 8, 8
	;; [unrolled: 1-line block ×3, first 2 shown]
	s_set_vgpr_msb 20                       ;  msbs: dst=0 src0=0 src1=1 src2=1
	v_add3_u32 v89, v89, v58 /*v314*/, v55 /*v311*/
	s_set_vgpr_msb 0x44                     ;  msbs: dst=1 src0=0 src1=1 src2=0
	v_ashrrev_i32_e32 v11 /*v267*/, 24, v11 /*v267*/
	s_set_vgpr_msb 0x41                     ;  msbs: dst=1 src0=1 src1=0 src2=0
	v_mul_i32_i24_e32 v60 /*v316*/, v37 /*v293*/, v242
	v_mul_i32_i24_e32 v62 /*v318*/, v9 /*v265*/, v243
	;; [unrolled: 1-line block ×3, first 2 shown]
	s_set_vgpr_msb 20                       ;  msbs: dst=0 src0=0 src1=1 src2=1
	v_add3_u32 v89, v89, v56 /*v312*/, v57 /*v313*/
	s_set_vgpr_msb 0x41                     ;  msbs: dst=1 src0=1 src1=0 src2=0
	v_mul_i32_i24_e32 v61 /*v317*/, v38 /*v294*/, v244
	v_mul_i32_i24_e32 v63 /*v319*/, v39 /*v295*/, v245
	s_set_vgpr_msb 0x45                     ;  msbs: dst=1 src0=1 src1=1 src2=0
	v_mul_i32_i24_e32 v66 /*v322*/, v11 /*v267*/, v1 /*v257*/
	v_bfe_i32 v3 /*v259*/, v8 /*v264*/, 0, 8
	s_set_vgpr_msb 20                       ;  msbs: dst=0 src0=0 src1=1 src2=1
	v_add3_u32 v89, v89, v62 /*v318*/, v60 /*v316*/
	s_set_vgpr_msb 0x41                     ;  msbs: dst=1 src0=1 src1=0 src2=0
	v_bfe_i32 v12 /*v268*/, v8 /*v264*/, 8, 8
	v_mul_i32_i24_e32 v64 /*v320*/, v40 /*v296*/, v246
	s_set_vgpr_msb 0x45                     ;  msbs: dst=1 src0=1 src1=1 src2=0
	v_mul_i32_i24_e32 v65 /*v321*/, v41 /*v297*/, v2 /*v258*/
	s_set_vgpr_msb 0x41                     ;  msbs: dst=1 src0=1 src1=0 src2=0
	v_mul_i32_i24_e32 v4 /*v260*/, v3 /*v259*/, v222
	s_set_vgpr_msb 20                       ;  msbs: dst=0 src0=0 src1=1 src2=1
	v_add3_u32 v89, v89, v59 /*v315*/, v61 /*v317*/
	s_set_vgpr_msb 0x41                     ;  msbs: dst=1 src0=1 src1=0 src2=0
	v_bfe_i32 v42 /*v298*/, v8 /*v264*/, 16, 8
	s_set_vgpr_msb 0x44                     ;  msbs: dst=1 src0=0 src1=1 src2=0
	v_bfe_i32 v43 /*v299*/, v88, 16, 8
	v_ashrrev_i32_e32 v8 /*v264*/, 24, v8 /*v264*/
	s_set_vgpr_msb 64                       ;  msbs: dst=1 src0=0 src1=0 src2=0
	v_ashrrev_i32_e32 v44 /*v300*/, 24, v88
	s_set_vgpr_msb 20                       ;  msbs: dst=0 src0=0 src1=1 src2=1
	v_add3_u32 v89, v89, v66 /*v322*/, v63 /*v319*/
	s_set_vgpr_msb 64                       ;  msbs: dst=1 src0=0 src1=0 src2=0
	v_mul_i32_i24_e32 v45 /*v301*/, v247, v189
	s_set_vgpr_msb 0x41                     ;  msbs: dst=1 src0=1 src1=0 src2=0
	v_mul_i32_i24_e32 v46 /*v302*/, v12 /*v268*/, v189
	s_set_vgpr_msb 0                        ;  msbs: dst=0 src0=0 src1=0 src2=0
	v_cvt_f32_f16_e32 v88, v90
	v_lshrrev_b32_e32 v90, 16, v90
	s_set_vgpr_msb 0x54                     ;  msbs: dst=1 src0=0 src1=1 src2=1
	v_add3_u32 v5 /*v261*/, v89, v64 /*v320*/, v65 /*v321*/
	s_set_vgpr_msb 0                        ;  msbs: dst=0 src0=0 src1=0 src2=0
	v_cvt_f32_f16_e32 v89, v91
	v_lshrrev_b32_e32 v91, 16, v91
	s_set_vgpr_msb 0x44                     ;  msbs: dst=1 src0=0 src1=1 src2=0
	v_mul_i32_i24_e32 v47 /*v303*/, v254, v43 /*v299*/
	v_mul_i32_i24_e32 v48 /*v304*/, v254, v42 /*v298*/
	;; [unrolled: 1-line block ×4, first 2 shown]
	s_set_vgpr_msb 0x55                     ;  msbs: dst=1 src0=1 src1=1 src2=1
	v_add3_u32 v4 /*v260*/, v5 /*v261*/, v4 /*v260*/, v46 /*v302*/
	v_add3_u32 v5 /*v261*/, v30 /*v286*/, v29 /*v285*/, v45 /*v301*/
	s_set_vgpr_msb 0                        ;  msbs: dst=0 src0=0 src1=0 src2=0
	v_cvt_f32_f16_e32 v91, v91
	v_cvt_f32_f16_e32 v90, v90
	s_set_vgpr_msb 0x41                     ;  msbs: dst=1 src0=1 src1=0 src2=0
	v_mul_i32_i24_e32 v30 /*v286*/, v10 /*v266*/, v196
	s_set_vgpr_msb 0x55                     ;  msbs: dst=1 src0=1 src1=1 src2=1
	v_add3_u32 v4 /*v260*/, v4 /*v260*/, v48 /*v304*/, v50 /*v306*/
	v_add3_u32 v29 /*v285*/, v5 /*v261*/, v47 /*v303*/, v49 /*v305*/
	s_set_vgpr_msb 0x41                     ;  msbs: dst=1 src0=1 src1=0 src2=0
	v_mul_i32_i24_e32 v46 /*v302*/, v17 /*v273*/, v198
	s_set_vgpr_msb 0                        ;  msbs: dst=0 src0=0 src1=0 src2=0
	v_pk_mul_f32 v[90:91], v[90:91], s[4:5] op_sel_hi:[1,0]
	s_set_vgpr_msb 0x41                     ;  msbs: dst=1 src0=1 src1=0 src2=0
	v_mul_i32_i24_e32 v48 /*v304*/, v19 /*v275*/, v200
	v_cvt_f32_i32_e32 v5 /*v261*/, v4 /*v260*/
	v_cvt_f32_i32_e32 v4 /*v260*/, v29 /*v285*/
	v_mul_i32_i24_e32 v29 /*v285*/, v15 /*v271*/, v192
	v_mul_i32_i24_e32 v45 /*v301*/, v16 /*v272*/, v197
	;; [unrolled: 1-line block ×4, first 2 shown]
	s_set_vgpr_msb 0x44                     ;  msbs: dst=1 src0=0 src1=1 src2=0
	v_pk_fma_f32 v[4:5] /*v[260:261]*/, v[88:89], v[4:5] /*v[260:261]*/, v[90:91] neg_lo:[0,0,1] neg_hi:[0,0,1]
	s_set_vgpr_msb 0x41                     ;  msbs: dst=1 src0=1 src1=0 src2=0
	v_mul_i32_i24_e32 v52 /*v308*/, v6 /*v262*/, v203
	v_mul_i32_i24_e32 v50 /*v306*/, v21 /*v277*/, v202
	;; [unrolled: 1-line block ×4, first 2 shown]
	s_set_vgpr_msb 4                        ;  msbs: dst=0 src0=0 src1=1 src2=0
	v_pk_fma_f32 v[54:55], v[84:85], v[4:5] /*v[260:261]*/, v[54:55] op_sel_hi:[0,1,1]
	s_set_vgpr_msb 0x51                     ;  msbs: dst=1 src0=1 src1=0 src2=1
	v_mul_i32_i24_e32 v5 /*v261*/, v14 /*v270*/, v195
	v_mul_i32_i24_e32 v56 /*v312*/, v26 /*v282*/, v206
	;; [unrolled: 1-line block ×5, first 2 shown]
	v_mad_i32_i24 v5 /*v261*/, v13 /*v269*/, v191, v5 /*v261*/
	v_mul_i32_i24_e32 v60 /*v316*/, v7 /*v263*/, v210
	v_mul_i32_i24_e32 v58 /*v314*/, v28 /*v284*/, v209
	;; [unrolled: 1-line block ×4, first 2 shown]
	s_set_vgpr_msb 0x55                     ;  msbs: dst=1 src0=1 src1=1 src2=1
	v_add3_u32 v5 /*v261*/, v5 /*v261*/, v29 /*v285*/, v30 /*v286*/
	s_set_vgpr_msb 0x41                     ;  msbs: dst=1 src0=1 src1=0 src2=0
	v_mul_i32_i24_e32 v64 /*v320*/, v9 /*v265*/, v214
	v_mul_i32_i24_e32 v61 /*v317*/, v36 /*v292*/, v213
	;; [unrolled: 1-line block ×4, first 2 shown]
	s_set_vgpr_msb 0x55                     ;  msbs: dst=1 src0=1 src1=1 src2=1
	v_add3_u32 v5 /*v261*/, v5 /*v261*/, v48 /*v304*/, v46 /*v302*/
	s_set_vgpr_msb 0x41                     ;  msbs: dst=1 src0=1 src1=0 src2=0
	v_mul_i32_i24_e32 v68 /*v324*/, v11 /*v267*/, v252
	v_mul_i32_i24_e32 v66 /*v322*/, v40 /*v296*/, v217
	;; [unrolled: 1-line block ×4, first 2 shown]
	s_set_vgpr_msb 0x55                     ;  msbs: dst=1 src0=1 src1=1 src2=1
	v_add3_u32 v5 /*v261*/, v5 /*v261*/, v45 /*v301*/, v47 /*v303*/
	s_set_vgpr_msb 64                       ;  msbs: dst=1 src0=0 src1=0 src2=0
	v_mul_i32_i24_e32 v29 /*v285*/, v247, v190
	s_set_vgpr_msb 0x41                     ;  msbs: dst=1 src0=1 src1=0 src2=0
	v_mul_i32_i24_e32 v30 /*v286*/, v12 /*v268*/, v190
	s_set_vgpr_msb 0x44                     ;  msbs: dst=1 src0=0 src1=1 src2=0
	v_mul_i32_i24_e32 v45 /*v301*/, v249, v43 /*v299*/
	v_mul_i32_i24_e32 v46 /*v302*/, v249, v42 /*v298*/
	s_set_vgpr_msb 0x55                     ;  msbs: dst=1 src0=1 src1=1 src2=1
	v_add3_u32 v5 /*v261*/, v5 /*v261*/, v52 /*v308*/, v49 /*v305*/
	s_set_vgpr_msb 0x44                     ;  msbs: dst=1 src0=0 src1=1 src2=0
	v_mul_i32_i24_e32 v47 /*v303*/, v248, v44 /*v300*/
	v_mul_i32_i24_e32 v48 /*v304*/, v248, v8 /*v264*/
	s_set_vgpr_msb 0x41                     ;  msbs: dst=1 src0=1 src1=0 src2=0
	v_mul_i32_i24_e32 v49 /*v305*/, v22 /*v278*/, v131
	v_mul_i32_i24_e32 v52 /*v308*/, v24 /*v280*/, v140
	s_set_vgpr_msb 0x55                     ;  msbs: dst=1 src0=1 src1=1 src2=1
	v_add3_u32 v5 /*v261*/, v5 /*v261*/, v50 /*v306*/, v51 /*v307*/
	s_set_vgpr_msb 0x41                     ;  msbs: dst=1 src0=1 src1=0 src2=0
	v_mul_i32_i24_e32 v50 /*v306*/, v6 /*v262*/, v139
	v_mul_i32_i24_e32 v51 /*v307*/, v23 /*v279*/, v141
	;; [unrolled: 1-line block ×3, first 2 shown]
	s_set_vgpr_msb 0x55                     ;  msbs: dst=1 src0=1 src1=1 src2=1
	v_add3_u32 v5 /*v261*/, v5 /*v261*/, v56 /*v312*/, v54 /*v310*/
	s_set_vgpr_msb 0x41                     ;  msbs: dst=1 src0=1 src1=0 src2=0
	v_mul_i32_i24_e32 v54 /*v310*/, v26 /*v282*/, v142
	v_mul_i32_i24_e32 v56 /*v312*/, v28 /*v284*/, v145
	s_set_vgpr_msb 0x55                     ;  msbs: dst=1 src0=1 src1=1 src2=1
	v_add3_u32 v5 /*v261*/, v5 /*v261*/, v53 /*v309*/, v55 /*v311*/
	s_set_vgpr_msb 0x41                     ;  msbs: dst=1 src0=1 src1=0 src2=0
	v_mul_i32_i24_e32 v53 /*v309*/, v25 /*v281*/, v143
	v_mul_i32_i24_e32 v55 /*v311*/, v27 /*v283*/, v144
	;; [unrolled: 5-line block ×4, first 2 shown]
	v_mul_i32_i24_e32 v7 /*v263*/, v7 /*v263*/, v104
	s_set_vgpr_msb 0x55                     ;  msbs: dst=1 src0=1 src1=1 src2=1
	v_add3_u32 v5 /*v261*/, v5 /*v261*/, v64 /*v320*/, v62 /*v318*/
	s_set_vgpr_msb 0x41                     ;  msbs: dst=1 src0=1 src1=0 src2=0
	v_mul_i32_i24_e32 v62 /*v318*/, v9 /*v265*/, v150
	v_mul_i32_i24_e32 v64 /*v320*/, v40 /*v296*/, v152
	;; [unrolled: 1-line block ×3, first 2 shown]
	s_set_vgpr_msb 0x55                     ;  msbs: dst=1 src0=1 src1=1 src2=1
	v_add3_u32 v5 /*v261*/, v5 /*v261*/, v61 /*v317*/, v63 /*v319*/
	s_set_vgpr_msb 0x41                     ;  msbs: dst=1 src0=1 src1=0 src2=0
	v_mul_i32_i24_e32 v61 /*v317*/, v38 /*v294*/, v151
	v_mul_i32_i24_e32 v63 /*v319*/, v39 /*v295*/, v153
	s_set_vgpr_msb 0x55                     ;  msbs: dst=1 src0=1 src1=1 src2=1
	v_add3_u32 v5 /*v261*/, v5 /*v261*/, v68 /*v324*/, v65 /*v321*/
	s_set_vgpr_msb 0x41                     ;  msbs: dst=1 src0=1 src1=0 src2=0
	v_mul_i32_i24_e32 v65 /*v321*/, v41 /*v297*/, v155
	s_set_vgpr_msb 0x55                     ;  msbs: dst=1 src0=1 src1=1 src2=1
	s_delay_alu instid0(VALU_DEP_2)
	v_add3_u32 v5 /*v261*/, v5 /*v261*/, v66 /*v322*/, v67 /*v323*/
	s_set_vgpr_msb 0x41                     ;  msbs: dst=1 src0=1 src1=0 src2=0
	v_mul_i32_i24_e32 v66 /*v322*/, v11 /*v267*/, v154
	v_mul_i32_i24_e32 v11 /*v267*/, v11 /*v267*/, v128
	s_set_vgpr_msb 0x55                     ;  msbs: dst=1 src0=1 src1=1 src2=1
	v_add3_u32 v4 /*v260*/, v5 /*v261*/, v4 /*v260*/, v30 /*v286*/
	v_add3_u32 v5 /*v261*/, v32 /*v288*/, v31 /*v287*/, v29 /*v285*/
	s_set_vgpr_msb 0x41                     ;  msbs: dst=1 src0=1 src1=0 src2=0
	v_mul_i32_i24_e32 v30 /*v286*/, v10 /*v266*/, v132
	v_mul_i32_i24_e32 v32 /*v288*/, v17 /*v273*/, v134
	;; [unrolled: 1-line block ×3, first 2 shown]
	s_set_vgpr_msb 0x55                     ;  msbs: dst=1 src0=1 src1=1 src2=1
	v_add3_u32 v4 /*v260*/, v4 /*v260*/, v46 /*v302*/, v48 /*v304*/
	v_add3_u32 v29 /*v285*/, v5 /*v261*/, v45 /*v301*/, v47 /*v303*/
	s_set_vgpr_msb 0x41                     ;  msbs: dst=1 src0=1 src1=0 src2=0
	v_mul_i32_i24_e32 v46 /*v302*/, v19 /*v275*/, v136
	v_mul_i32_i24_e32 v45 /*v301*/, v18 /*v274*/, v135
	;; [unrolled: 1-line block ×3, first 2 shown]
	v_cvt_f32_i32_e32 v5 /*v261*/, v4 /*v260*/
	v_cvt_f32_i32_e32 v4 /*v260*/, v29 /*v285*/
	v_mul_i32_i24_e32 v29 /*v285*/, v15 /*v271*/, v219
	v_mul_i32_i24_e32 v48 /*v304*/, v21 /*v277*/, v138
	s_set_vgpr_msb 0x44                     ;  msbs: dst=1 src0=0 src1=1 src2=0
	v_mul_i32_i24_e32 v10 /*v266*/, v99, v10 /*v266*/
	v_pk_fma_f32 v[4:5] /*v[260:261]*/, v[88:89], v[4:5] /*v[260:261]*/, v[90:91] neg_lo:[0,0,1] neg_hi:[0,0,1]
	s_set_vgpr_msb 4                        ;  msbs: dst=0 src0=0 src1=1 src2=0
	s_delay_alu instid0(VALU_DEP_1)
	v_pk_fma_f32 v[62:63], v[86:87], v[4:5] /*v[260:261]*/, v[62:63] op_sel_hi:[0,1,1]
	s_set_vgpr_msb 0x41                     ;  msbs: dst=1 src0=1 src1=0 src2=0
	v_mul_i32_i24_e32 v5 /*v261*/, v14 /*v270*/, v220
	s_set_vgpr_msb 0x44                     ;  msbs: dst=1 src0=0 src1=1 src2=0
	v_mul_i32_i24_e32 v4 /*v260*/, v250, v3 /*v259*/
	v_mul_i32_i24_e32 v3 /*v259*/, v121, v3 /*v259*/
	s_set_vgpr_msb 0x51                     ;  msbs: dst=1 src0=1 src1=0 src2=1
	v_mad_i32_i24 v5 /*v261*/, v13 /*v269*/, v130, v5 /*v261*/
	s_set_vgpr_msb 0x55                     ;  msbs: dst=1 src0=1 src1=1 src2=1
	s_delay_alu instid0(VALU_DEP_1)
	v_add3_u32 v5 /*v261*/, v5 /*v261*/, v29 /*v285*/, v30 /*v286*/
	s_set_vgpr_msb 64                       ;  msbs: dst=1 src0=0 src1=0 src2=0
	v_mul_i32_i24_e32 v29 /*v285*/, v247, v98
	s_set_vgpr_msb 0x41                     ;  msbs: dst=1 src0=1 src1=0 src2=0
	v_mul_i32_i24_e32 v30 /*v286*/, v12 /*v268*/, v98
	s_set_vgpr_msb 0                        ;  msbs: dst=0 src0=0 src1=0 src2=0
	v_mul_i32_i24_e32 v247, v247, v93
	s_set_vgpr_msb 0x55                     ;  msbs: dst=1 src0=1 src1=1 src2=1
	v_add3_u32 v5 /*v261*/, v5 /*v261*/, v46 /*v302*/, v32 /*v288*/
	s_set_vgpr_msb 0x44                     ;  msbs: dst=1 src0=0 src1=1 src2=0
	v_mul_i32_i24_e32 v32 /*v288*/, v120, v42 /*v298*/
	v_mul_i32_i24_e32 v46 /*v302*/, v117, v8 /*v264*/
	v_mul_i32_i24_e32 v8 /*v264*/, v81, v8 /*v264*/
	s_set_vgpr_msb 1                        ;  msbs: dst=0 src0=1 src1=0 src2=0
	v_add3_u32 v247, v0 /*v256*/, v255, v247
	s_set_vgpr_msb 0x55                     ;  msbs: dst=1 src0=1 src1=1 src2=1
	v_add3_u32 v5 /*v261*/, v5 /*v261*/, v31 /*v287*/, v45 /*v301*/
	s_set_vgpr_msb 0x44                     ;  msbs: dst=1 src0=0 src1=1 src2=0
	v_mul_i32_i24_e32 v31 /*v287*/, v120, v43 /*v299*/
	v_mul_i32_i24_e32 v45 /*v301*/, v117, v44 /*v300*/
	s_set_vgpr_msb 0x55                     ;  msbs: dst=1 src0=1 src1=1 src2=1
	v_add3_u32 v5 /*v261*/, v5 /*v261*/, v50 /*v306*/, v47 /*v303*/
	s_delay_alu instid0(VALU_DEP_1) | instskip(NEXT) | instid1(VALU_DEP_1)
	v_add3_u32 v5 /*v261*/, v5 /*v261*/, v48 /*v304*/, v49 /*v305*/
	v_add3_u32 v5 /*v261*/, v5 /*v261*/, v54 /*v310*/, v52 /*v308*/
	s_delay_alu instid0(VALU_DEP_1) | instskip(NEXT) | instid1(VALU_DEP_1)
	v_add3_u32 v5 /*v261*/, v5 /*v261*/, v51 /*v307*/, v53 /*v309*/
	;; [unrolled: 3-line block ×5, first 2 shown]
	v_add3_u32 v4 /*v260*/, v5 /*v261*/, v4 /*v260*/, v30 /*v286*/
	v_add3_u32 v5 /*v261*/, v34 /*v290*/, v33 /*v289*/, v29 /*v285*/
	s_set_vgpr_msb 0x41                     ;  msbs: dst=1 src0=1 src1=0 src2=0
	v_mul_i32_i24_e32 v30 /*v286*/, v38 /*v294*/, v125
	v_mul_i32_i24_e32 v33 /*v289*/, v41 /*v297*/, v129
	s_set_vgpr_msb 0x55                     ;  msbs: dst=1 src0=1 src1=1 src2=1
	v_add3_u32 v4 /*v260*/, v4 /*v260*/, v32 /*v288*/, v46 /*v302*/
	v_add3_u32 v29 /*v285*/, v5 /*v261*/, v31 /*v287*/, v45 /*v301*/
	s_set_vgpr_msb 0x41                     ;  msbs: dst=1 src0=1 src1=0 src2=0
	v_mul_i32_i24_e32 v31 /*v287*/, v39 /*v295*/, v107
	v_mul_i32_i24_e32 v32 /*v288*/, v40 /*v296*/, v105
	v_cvt_f32_i32_e32 v5 /*v261*/, v4 /*v260*/
	v_cvt_f32_i32_e32 v4 /*v260*/, v29 /*v285*/
	v_mul_i32_i24_e32 v29 /*v285*/, v37 /*v293*/, v126
	s_set_vgpr_msb 0x44                     ;  msbs: dst=1 src0=0 src1=1 src2=0
	s_delay_alu instid0(VALU_DEP_2) | instskip(SKIP_1) | instid1(VALU_DEP_1)
	v_pk_fma_f32 v[4:5] /*v[260:261]*/, v[88:89], v[4:5] /*v[260:261]*/, v[90:91] neg_lo:[0,0,1] neg_hi:[0,0,1]
	s_set_vgpr_msb 4                        ;  msbs: dst=0 src0=0 src1=1 src2=0
	v_pk_fma_f32 v[70:71], v[82:83], v[4:5] /*v[260:261]*/, v[70:71] op_sel_hi:[0,1,1]
	s_set_vgpr_msb 0x44                     ;  msbs: dst=1 src0=0 src1=1 src2=0
	v_mul_i32_i24_e32 v4 /*v260*/, v109, v14 /*v270*/
	v_mul_i32_i24_e32 v5 /*v261*/, v108, v15 /*v271*/
	s_set_vgpr_msb 0x41                     ;  msbs: dst=1 src0=1 src1=0 src2=0
	v_mul_i32_i24_e32 v15 /*v271*/, v17 /*v273*/, v111
	v_mul_i32_i24_e32 v17 /*v273*/, v19 /*v275*/, v100
	;; [unrolled: 1-line block ×3, first 2 shown]
	s_set_vgpr_msb 0x54                     ;  msbs: dst=1 src0=0 src1=1 src2=1
	v_mad_i32_i24 v4 /*v260*/, v106, v13 /*v269*/, v4 /*v260*/
	s_set_vgpr_msb 0x41                     ;  msbs: dst=1 src0=1 src1=0 src2=0
	v_mul_i32_i24_e32 v16 /*v272*/, v18 /*v274*/, v110
	v_mul_i32_i24_e32 v18 /*v274*/, v20 /*v276*/, v115
	v_mul_i32_i24_e32 v19 /*v275*/, v21 /*v277*/, v114
	v_mul_i32_i24_e32 v20 /*v276*/, v22 /*v278*/, v113
	s_set_vgpr_msb 0x55                     ;  msbs: dst=1 src0=1 src1=1 src2=1
	v_add3_u32 v4 /*v260*/, v4 /*v260*/, v5 /*v261*/, v10 /*v266*/
	s_set_vgpr_msb 0x41                     ;  msbs: dst=1 src0=1 src1=0 src2=0
	v_mul_i32_i24_e32 v22 /*v278*/, v24 /*v280*/, v118
	v_mul_i32_i24_e32 v24 /*v280*/, v26 /*v282*/, v103
	v_mul_i32_i24_e32 v21 /*v277*/, v23 /*v279*/, v119
	v_mul_i32_i24_e32 v23 /*v279*/, v25 /*v281*/, v116
	s_set_vgpr_msb 0x55                     ;  msbs: dst=1 src0=1 src1=1 src2=1
	v_add3_u32 v4 /*v260*/, v4 /*v260*/, v17 /*v273*/, v15 /*v271*/
	;; [unrolled: 7-line block ×3, first 2 shown]
	s_set_vgpr_msb 0x41                     ;  msbs: dst=1 src0=1 src1=0 src2=0
	v_mul_i32_i24_e32 v5 /*v261*/, v12 /*v268*/, v93
	s_set_vgpr_msb 0x55                     ;  msbs: dst=1 src0=1 src1=1 src2=1
	s_delay_alu instid0(VALU_DEP_2) | instskip(SKIP_3) | instid1(VALU_DEP_2)
	v_add3_u32 v4 /*v260*/, v4 /*v260*/, v6 /*v262*/, v18 /*v274*/
	s_set_vgpr_msb 0x44                     ;  msbs: dst=1 src0=0 src1=1 src2=0
	v_mul_i32_i24_e32 v6 /*v262*/, v92, v43 /*v299*/
	s_set_vgpr_msb 0x55                     ;  msbs: dst=1 src0=1 src1=1 src2=1
	v_add3_u32 v4 /*v260*/, v4 /*v260*/, v19 /*v275*/, v20 /*v276*/
	s_delay_alu instid0(VALU_DEP_1) | instskip(NEXT) | instid1(VALU_DEP_1)
	v_add3_u32 v4 /*v260*/, v4 /*v260*/, v24 /*v280*/, v22 /*v278*/
	v_add3_u32 v4 /*v260*/, v4 /*v260*/, v21 /*v277*/, v23 /*v279*/
	s_delay_alu instid0(VALU_DEP_1) | instskip(SKIP_3) | instid1(VALU_DEP_2)
	v_add3_u32 v4 /*v260*/, v4 /*v260*/, v7 /*v263*/, v25 /*v281*/
	s_set_vgpr_msb 0x44                     ;  msbs: dst=1 src0=0 src1=1 src2=0
	v_mul_i32_i24_e32 v7 /*v263*/, v92, v42 /*v298*/
	s_set_vgpr_msb 0x55                     ;  msbs: dst=1 src0=1 src1=1 src2=1
	v_add3_u32 v4 /*v260*/, v4 /*v260*/, v26 /*v282*/, v27 /*v283*/
	s_delay_alu instid0(VALU_DEP_1) | instskip(SKIP_3) | instid1(VALU_DEP_2)
	v_add3_u32 v4 /*v260*/, v4 /*v260*/, v9 /*v265*/, v29 /*v285*/
	s_set_vgpr_msb 0x44                     ;  msbs: dst=1 src0=0 src1=1 src2=0
	v_mul_i32_i24_e32 v9 /*v265*/, v81, v44 /*v300*/
	s_set_vgpr_msb 0x55                     ;  msbs: dst=1 src0=1 src1=1 src2=1
	v_add3_u32 v4 /*v260*/, v4 /*v260*/, v28 /*v284*/, v30 /*v286*/
	s_set_vgpr_msb 20                       ;  msbs: dst=0 src0=0 src1=1 src2=1
	s_delay_alu instid0(VALU_DEP_2) | instskip(SKIP_1) | instid1(VALU_DEP_2)
	v_add3_u32 v247, v247, v6 /*v262*/, v9 /*v265*/
	s_set_vgpr_msb 0x55                     ;  msbs: dst=1 src0=1 src1=1 src2=1
	v_add3_u32 v4 /*v260*/, v4 /*v260*/, v11 /*v267*/, v31 /*v287*/
	s_delay_alu instid0(VALU_DEP_1) | instskip(NEXT) | instid1(VALU_DEP_1)
	v_add3_u32 v4 /*v260*/, v4 /*v260*/, v32 /*v288*/, v33 /*v289*/
	v_add3_u32 v3 /*v259*/, v4 /*v260*/, v3 /*v259*/, v5 /*v261*/
	s_set_vgpr_msb 64                       ;  msbs: dst=1 src0=0 src1=0 src2=0
	v_cvt_f32_i32_e32 v4 /*v260*/, v247
	s_set_vgpr_msb 21                       ;  msbs: dst=0 src0=1 src1=1 src2=1
	s_delay_alu instid0(VALU_DEP_2) | instskip(SKIP_1) | instid1(VALU_DEP_1)
	v_add3_u32 v255, v3 /*v259*/, v7 /*v263*/, v8 /*v264*/
	s_set_vgpr_msb 64                       ;  msbs: dst=1 src0=0 src1=0 src2=0
	v_cvt_f32_i32_e32 v5 /*v261*/, v255
	s_set_vgpr_msb 4                        ;  msbs: dst=0 src0=0 src1=1 src2=0
	s_delay_alu instid0(VALU_DEP_1) | instskip(SKIP_2) | instid1(VALU_DEP_2)
	v_pk_fma_f32 v[88:89], v[88:89], v[4:5] /*v[260:261]*/, v[90:91] neg_lo:[0,0,1] neg_hi:[0,0,1]
	s_set_vgpr_msb 0                        ;  msbs: dst=0 src0=0 src1=0 src2=0
	v_add_nc_u32_e32 v90, 0x1000, v85
	v_pk_fma_f32 v[76:77], v[80:81], v[88:89], v[76:77] op_sel_hi:[0,1,1]
	v_add_nc_u32_e32 v88, 0x1004, v85
	s_set_vgpr_msb 64                       ;  msbs: dst=1 src0=0 src1=0 src2=0
	ds_load_2addr_b32 v[4:5] /*v[260:261]*/, v88 offset1:1
	s_set_vgpr_msb 0                        ;  msbs: dst=0 src0=0 src1=0 src2=0
	v_add_nc_u32_e32 v88, 0x1014, v85
	s_set_vgpr_msb 64                       ;  msbs: dst=1 src0=0 src1=0 src2=0
	ds_load_2addr_b32 v[6:7] /*v[262:263]*/, v88 offset1:1
	s_set_vgpr_msb 0                        ;  msbs: dst=0 src0=0 src1=0 src2=0
	ds_load_2addr_b32 v[88:89], v90 offset1:3
	s_set_vgpr_msb 64                       ;  msbs: dst=1 src0=0 src1=0 src2=0
	ds_load_2addr_b32 v[8:9] /*v[264:265]*/, v90 offset0:4 offset1:7
	s_set_vgpr_msb 0                        ;  msbs: dst=0 src0=0 src1=0 src2=0
	ds_load_2addr_b32 v[90:91], v83 offset0:128 offset1:160
	s_wait_dscnt 0x4
	s_set_vgpr_msb 0x41                     ;  msbs: dst=1 src0=1 src1=0 src2=0
	v_bfe_i32 v11 /*v267*/, v4 /*v260*/, 0, 8
	v_bfe_i32 v12 /*v268*/, v4 /*v260*/, 8, 8
	;; [unrolled: 1-line block ×3, first 2 shown]
	s_set_vgpr_msb 0x44                     ;  msbs: dst=1 src0=0 src1=1 src2=0
	v_ashrrev_i32_e32 v4 /*v260*/, 24, v4 /*v260*/
	s_set_vgpr_msb 0x41                     ;  msbs: dst=1 src0=1 src1=0 src2=0
	v_bfe_i32 v17 /*v273*/, v5 /*v261*/, 0, 8
	v_bfe_i32 v18 /*v274*/, v5 /*v261*/, 8, 8
	s_wait_dscnt 0x1
	v_bfe_i32 v3 /*v259*/, v8 /*v264*/, 8, 8
	v_bfe_i32 v0 /*v256*/, v8 /*v264*/, 0, 8
	;; [unrolled: 1-line block ×3, first 2 shown]
	s_set_vgpr_msb 0x44                     ;  msbs: dst=1 src0=0 src1=1 src2=0
	v_ashrrev_i32_e32 v8 /*v264*/, 24, v8 /*v264*/
	s_set_vgpr_msb 0x41                     ;  msbs: dst=1 src0=1 src1=0 src2=0
	v_bfe_i32 v19 /*v275*/, v5 /*v261*/, 16, 8
	v_mul_i32_i24_e32 v30 /*v286*/, v3 /*v259*/, v224
	s_set_vgpr_msb 0x44                     ;  msbs: dst=1 src0=0 src1=1 src2=0
	v_ashrrev_i32_e32 v5 /*v261*/, 24, v5 /*v261*/
	s_set_vgpr_msb 0x51                     ;  msbs: dst=1 src0=1 src1=0 src2=1
	v_mul_i32_i24_e32 v31 /*v287*/, v10 /*v266*/, v221
	v_mul_i32_i24_e32 v32 /*v288*/, v8 /*v264*/, v225
	v_bfe_i32 v20 /*v276*/, v7 /*v263*/, 0, 8
	v_mad_i32_i24 v30 /*v286*/, v0 /*v256*/, v218, v30 /*v286*/
	v_bfe_i32 v21 /*v277*/, v7 /*v263*/, 8, 8
	v_bfe_i32 v22 /*v278*/, v7 /*v263*/, 16, 8
	s_set_vgpr_msb 0x44                     ;  msbs: dst=1 src0=0 src1=1 src2=0
	v_ashrrev_i32_e32 v7 /*v263*/, 24, v7 /*v263*/
	s_set_vgpr_msb 0x41                     ;  msbs: dst=1 src0=1 src1=0 src2=0
	v_mul_i32_i24_e32 v34 /*v290*/, v12 /*v268*/, v227
	v_mul_i32_i24_e32 v36 /*v292*/, v4 /*v260*/, v229
	s_set_vgpr_msb 0x55                     ;  msbs: dst=1 src0=1 src1=1 src2=1
	v_add3_u32 v30 /*v286*/, v30 /*v286*/, v31 /*v287*/, v32 /*v288*/
	v_bfe_i32 v14 /*v270*/, v6 /*v262*/, 0, 8
	v_bfe_i32 v15 /*v271*/, v6 /*v262*/, 8, 8
	;; [unrolled: 1-line block ×3, first 2 shown]
	v_ashrrev_i32_e32 v6 /*v262*/, 24, v6 /*v262*/
	s_set_vgpr_msb 0x41                     ;  msbs: dst=1 src0=1 src1=0 src2=0
	v_mul_i32_i24_e32 v33 /*v289*/, v11 /*v267*/, v226
	v_mul_i32_i24_e32 v35 /*v291*/, v13 /*v269*/, v228
	s_set_vgpr_msb 0x55                     ;  msbs: dst=1 src0=1 src1=1 src2=1
	v_add3_u32 v30 /*v286*/, v30 /*v286*/, v36 /*v292*/, v34 /*v290*/
	s_set_vgpr_msb 0x41                     ;  msbs: dst=1 src0=1 src1=0 src2=0
	v_mul_i32_i24_e32 v37 /*v293*/, v14 /*v270*/, v230
	v_mul_i32_i24_e32 v40 /*v296*/, v6 /*v262*/, v232
	;; [unrolled: 1-line block ×4, first 2 shown]
	s_set_vgpr_msb 0x55                     ;  msbs: dst=1 src0=1 src1=1 src2=1
	v_add3_u32 v30 /*v286*/, v30 /*v286*/, v33 /*v289*/, v35 /*v291*/
	s_set_vgpr_msb 0x51                     ;  msbs: dst=1 src0=1 src1=0 src2=1
	v_mul_i32_i24_e32 v39 /*v295*/, v16 /*v272*/, v223
	v_mul_i32_i24_e32 v33 /*v289*/, v10 /*v266*/, v192
	;; [unrolled: 1-line block ×3, first 2 shown]
	v_mad_i32_i24 v32 /*v288*/, v0 /*v256*/, v191, v32 /*v288*/
	s_set_vgpr_msb 0x55                     ;  msbs: dst=1 src0=1 src1=1 src2=1
	v_add3_u32 v30 /*v286*/, v30 /*v286*/, v40 /*v296*/, v37 /*v293*/
	s_set_vgpr_msb 0x41                     ;  msbs: dst=1 src0=1 src1=0 src2=0
	v_mul_i32_i24_e32 v42 /*v298*/, v18 /*v274*/, v234
	v_mul_i32_i24_e32 v44 /*v300*/, v5 /*v261*/, v235
	;; [unrolled: 1-line block ×3, first 2 shown]
	s_set_vgpr_msb 0x55                     ;  msbs: dst=1 src0=1 src1=1 src2=1
	v_add3_u32 v32 /*v288*/, v32 /*v288*/, v33 /*v289*/, v34 /*v290*/
	v_add3_u32 v30 /*v286*/, v30 /*v286*/, v38 /*v294*/, v39 /*v295*/
	s_set_vgpr_msb 0x41                     ;  msbs: dst=1 src0=1 src1=0 src2=0
	v_mul_i32_i24_e32 v38 /*v294*/, v4 /*v260*/, v200
	v_mul_i32_i24_e32 v41 /*v297*/, v17 /*v273*/, v233
	;; [unrolled: 1-line block ×4, first 2 shown]
	s_set_vgpr_msb 0x55                     ;  msbs: dst=1 src0=1 src1=1 src2=1
	v_add3_u32 v30 /*v286*/, v30 /*v286*/, v44 /*v300*/, v42 /*v298*/
	s_set_vgpr_msb 0x41                     ;  msbs: dst=1 src0=1 src1=0 src2=0
	v_mul_i32_i24_e32 v37 /*v293*/, v13 /*v269*/, v199
	s_set_vgpr_msb 0x55                     ;  msbs: dst=1 src0=1 src1=1 src2=1
	v_add3_u32 v32 /*v288*/, v32 /*v288*/, v38 /*v294*/, v36 /*v292*/
	s_set_vgpr_msb 0x41                     ;  msbs: dst=1 src0=1 src1=0 src2=0
	v_mul_i32_i24_e32 v45 /*v301*/, v20 /*v276*/, v237
	v_mul_i32_i24_e32 v48 /*v304*/, v7 /*v263*/, v239
	s_set_vgpr_msb 0x55                     ;  msbs: dst=1 src0=1 src1=1 src2=1
	v_add3_u32 v30 /*v286*/, v30 /*v286*/, v41 /*v297*/, v43 /*v299*/
	s_set_vgpr_msb 0x41                     ;  msbs: dst=1 src0=1 src1=0 src2=0
	v_mul_i32_i24_e32 v39 /*v295*/, v14 /*v270*/, v201
	;; [unrolled: 5-line block ×3, first 2 shown]
	s_set_vgpr_msb 0x44                     ;  msbs: dst=1 src0=0 src1=1 src2=0
	v_mul_i32_i24_e32 v3 /*v259*/, v109, v3 /*v259*/
	v_bfe_i32 v23 /*v279*/, v89, 0, 8
	v_bfe_i32 v24 /*v280*/, v89, 8, 8
	;; [unrolled: 1-line block ×3, first 2 shown]
	s_set_vgpr_msb 0                        ;  msbs: dst=0 src0=0 src1=0 src2=0
	v_ashrrev_i32_e32 v89, 24, v89
	s_set_vgpr_msb 0x41                     ;  msbs: dst=1 src0=1 src1=0 src2=0
	v_mul_i32_i24_e32 v46 /*v302*/, v21 /*v277*/, v238
	v_mul_i32_i24_e32 v47 /*v303*/, v22 /*v278*/, v240
	s_set_vgpr_msb 0x55                     ;  msbs: dst=1 src0=1 src1=1 src2=1
	v_add3_u32 v30 /*v286*/, v30 /*v286*/, v48 /*v304*/, v45 /*v301*/
	s_set_vgpr_msb 0x41                     ;  msbs: dst=1 src0=1 src1=0 src2=0
	v_mul_i32_i24_e32 v40 /*v296*/, v15 /*v271*/, v202
	v_mul_i32_i24_e32 v41 /*v297*/, v16 /*v272*/, v194
	s_set_vgpr_msb 0x55                     ;  msbs: dst=1 src0=1 src1=1 src2=1
	v_add3_u32 v32 /*v288*/, v32 /*v288*/, v42 /*v298*/, v39 /*v295*/
	s_set_vgpr_msb 0x51                     ;  msbs: dst=1 src0=1 src1=0 src2=1
	v_mul_i32_i24_e32 v35 /*v291*/, v10 /*v266*/, v219
	v_mul_i32_i24_e32 v36 /*v292*/, v8 /*v264*/, v132
	v_mad_i32_i24 v34 /*v290*/, v0 /*v256*/, v130, v34 /*v290*/
	s_set_vgpr_msb 0x54                     ;  msbs: dst=1 src0=0 src1=1 src2=1
	v_mul_i32_i24_e32 v10 /*v266*/, v108, v10 /*v266*/
	v_mul_i32_i24_e32 v8 /*v264*/, v99, v8 /*v264*/
	v_mad_i32_i24 v0 /*v256*/, v106, v0 /*v256*/, v3 /*v259*/
	s_set_vgpr_msb 0x41                     ;  msbs: dst=1 src0=1 src1=0 src2=0
	v_mul_i32_i24_e32 v50 /*v306*/, v24 /*v280*/, v242
	s_set_vgpr_msb 64                       ;  msbs: dst=1 src0=0 src1=0 src2=0
	v_mul_i32_i24_e32 v52 /*v308*/, v89, v243
	s_set_vgpr_msb 0x55                     ;  msbs: dst=1 src0=1 src1=1 src2=1
	v_add3_u32 v30 /*v286*/, v30 /*v286*/, v46 /*v302*/, v47 /*v303*/
	s_set_vgpr_msb 0x41                     ;  msbs: dst=1 src0=1 src1=0 src2=0
	v_mul_i32_i24_e32 v44 /*v300*/, v18 /*v274*/, v204
	v_mul_i32_i24_e32 v46 /*v302*/, v5 /*v261*/, v206
	s_set_vgpr_msb 0x55                     ;  msbs: dst=1 src0=1 src1=1 src2=1
	v_add3_u32 v32 /*v288*/, v32 /*v288*/, v40 /*v296*/, v41 /*v297*/
	s_set_vgpr_msb 0x41                     ;  msbs: dst=1 src0=1 src1=0 src2=0
	v_mul_i32_i24_e32 v38 /*v294*/, v12 /*v268*/, v134
	v_mul_i32_i24_e32 v40 /*v296*/, v4 /*v260*/, v136
	;; [unrolled: 1-line block ×4, first 2 shown]
	s_set_vgpr_msb 0x55                     ;  msbs: dst=1 src0=1 src1=1 src2=1
	v_add3_u32 v0 /*v256*/, v0 /*v256*/, v10 /*v266*/, v8 /*v264*/
	v_bfe_i32 v26 /*v282*/, v9 /*v265*/, 0, 8
	v_bfe_i32 v27 /*v283*/, v9 /*v265*/, 8, 8
	;; [unrolled: 1-line block ×3, first 2 shown]
	v_ashrrev_i32_e32 v9 /*v265*/, 24, v9 /*v265*/
	s_set_vgpr_msb 0x41                     ;  msbs: dst=1 src0=1 src1=0 src2=0
	v_mul_i32_i24_e32 v49 /*v305*/, v23 /*v279*/, v241
	v_mul_i32_i24_e32 v51 /*v307*/, v25 /*v281*/, v244
	s_set_vgpr_msb 0x55                     ;  msbs: dst=1 src0=1 src1=1 src2=1
	v_add3_u32 v30 /*v286*/, v30 /*v286*/, v52 /*v308*/, v50 /*v306*/
	s_set_vgpr_msb 0x41                     ;  msbs: dst=1 src0=1 src1=0 src2=0
	v_mul_i32_i24_e32 v43 /*v299*/, v17 /*v273*/, v205
	v_mul_i32_i24_e32 v45 /*v301*/, v19 /*v275*/, v207
	s_set_vgpr_msb 0x55                     ;  msbs: dst=1 src0=1 src1=1 src2=1
	v_add3_u32 v32 /*v288*/, v32 /*v288*/, v46 /*v302*/, v44 /*v300*/
	s_set_vgpr_msb 0x41                     ;  msbs: dst=1 src0=1 src1=0 src2=0
	v_mul_i32_i24_e32 v37 /*v293*/, v11 /*v267*/, v133
	v_mul_i32_i24_e32 v39 /*v295*/, v13 /*v269*/, v135
	;; [unrolled: 1-line block ×4, first 2 shown]
	s_set_vgpr_msb 0x55                     ;  msbs: dst=1 src0=1 src1=1 src2=1
	v_add3_u32 v0 /*v256*/, v0 /*v256*/, v4 /*v260*/, v12 /*v268*/
	s_set_vgpr_msb 0x41                     ;  msbs: dst=1 src0=1 src1=0 src2=0
	v_mul_i32_i24_e32 v53 /*v309*/, v26 /*v282*/, v245
	s_set_vgpr_msb 0x55                     ;  msbs: dst=1 src0=1 src1=1 src2=1
	v_mul_i32_i24_e32 v56 /*v312*/, v9 /*v265*/, v1 /*v257*/
	v_add3_u32 v30 /*v286*/, v30 /*v286*/, v49 /*v305*/, v51 /*v307*/
	s_set_vgpr_msb 0x41                     ;  msbs: dst=1 src0=1 src1=0 src2=0
	v_mul_i32_i24_e32 v47 /*v303*/, v20 /*v276*/, v208
	v_mul_i32_i24_e32 v50 /*v306*/, v7 /*v263*/, v210
	s_set_vgpr_msb 0x55                     ;  msbs: dst=1 src0=1 src1=1 src2=1
	v_add3_u32 v32 /*v288*/, v32 /*v288*/, v43 /*v299*/, v45 /*v301*/
	s_set_vgpr_msb 0x41                     ;  msbs: dst=1 src0=1 src1=0 src2=0
	v_mul_i32_i24_e32 v41 /*v297*/, v14 /*v270*/, v137
	v_mul_i32_i24_e32 v44 /*v300*/, v6 /*v262*/, v139
	;; [unrolled: 1-line block ×4, first 2 shown]
	s_set_vgpr_msb 0x55                     ;  msbs: dst=1 src0=1 src1=1 src2=1
	v_add3_u32 v0 /*v256*/, v0 /*v256*/, v11 /*v267*/, v13 /*v269*/
	s_set_vgpr_msb 0x41                     ;  msbs: dst=1 src0=1 src1=0 src2=0
	v_mul_i32_i24_e32 v54 /*v310*/, v27 /*v283*/, v246
	s_set_vgpr_msb 0x55                     ;  msbs: dst=1 src0=1 src1=1 src2=1
	v_mul_i32_i24_e32 v55 /*v311*/, v28 /*v284*/, v2 /*v258*/
	v_add3_u32 v30 /*v286*/, v30 /*v286*/, v56 /*v312*/, v53 /*v309*/
	s_set_vgpr_msb 0x41                     ;  msbs: dst=1 src0=1 src1=0 src2=0
	v_mul_i32_i24_e32 v48 /*v304*/, v21 /*v277*/, v209
	v_mul_i32_i24_e32 v49 /*v305*/, v22 /*v278*/, v211
	s_set_vgpr_msb 0x55                     ;  msbs: dst=1 src0=1 src1=1 src2=1
	v_add3_u32 v32 /*v288*/, v32 /*v288*/, v50 /*v306*/, v47 /*v303*/
	s_set_vgpr_msb 0x41                     ;  msbs: dst=1 src0=1 src1=0 src2=0
	v_mul_i32_i24_e32 v42 /*v298*/, v15 /*v271*/, v138
	v_mul_i32_i24_e32 v43 /*v299*/, v16 /*v272*/, v131
	;; [unrolled: 1-line block ×4, first 2 shown]
	s_set_vgpr_msb 0x55                     ;  msbs: dst=1 src0=1 src1=1 src2=1
	v_add3_u32 v0 /*v256*/, v0 /*v256*/, v6 /*v262*/, v14 /*v270*/
	v_add3_u32 v30 /*v286*/, v30 /*v286*/, v54 /*v310*/, v55 /*v311*/
	s_set_vgpr_msb 0x41                     ;  msbs: dst=1 src0=1 src1=0 src2=0
	v_mul_i32_i24_e32 v52 /*v308*/, v24 /*v280*/, v212
	s_set_vgpr_msb 64                       ;  msbs: dst=1 src0=0 src1=0 src2=0
	v_mul_i32_i24_e32 v54 /*v310*/, v89, v214
	s_set_vgpr_msb 0x55                     ;  msbs: dst=1 src0=1 src1=1 src2=1
	v_add3_u32 v32 /*v288*/, v32 /*v288*/, v48 /*v304*/, v49 /*v305*/
	s_set_vgpr_msb 0x41                     ;  msbs: dst=1 src0=1 src1=0 src2=0
	v_mul_i32_i24_e32 v46 /*v302*/, v18 /*v274*/, v140
	v_mul_i32_i24_e32 v48 /*v304*/, v5 /*v261*/, v142
	v_mul_i32_i24_e32 v18 /*v274*/, v18 /*v274*/, v118
	v_mul_i32_i24_e32 v5 /*v261*/, v5 /*v261*/, v103
	s_set_vgpr_msb 0x55                     ;  msbs: dst=1 src0=1 src1=1 src2=1
	v_add3_u32 v0 /*v256*/, v0 /*v256*/, v15 /*v271*/, v16 /*v272*/
	s_set_vgpr_msb 0x41                     ;  msbs: dst=1 src0=1 src1=0 src2=0
	v_mul_i32_i24_e32 v51 /*v307*/, v23 /*v279*/, v213
	v_mul_i32_i24_e32 v53 /*v309*/, v25 /*v281*/, v215
	s_set_vgpr_msb 0x55                     ;  msbs: dst=1 src0=1 src1=1 src2=1
	v_add3_u32 v32 /*v288*/, v32 /*v288*/, v54 /*v310*/, v52 /*v308*/
	s_set_vgpr_msb 0x41                     ;  msbs: dst=1 src0=1 src1=0 src2=0
	v_mul_i32_i24_e32 v45 /*v301*/, v17 /*v273*/, v141
	v_mul_i32_i24_e32 v47 /*v303*/, v19 /*v275*/, v143
	v_mul_i32_i24_e32 v17 /*v273*/, v17 /*v273*/, v119
	v_mul_i32_i24_e32 v19 /*v275*/, v19 /*v275*/, v116
	s_set_vgpr_msb 0x55                     ;  msbs: dst=1 src0=1 src1=1 src2=1
	v_add3_u32 v0 /*v256*/, v0 /*v256*/, v5 /*v261*/, v18 /*v274*/
	s_set_vgpr_msb 0x41                     ;  msbs: dst=1 src0=1 src1=0 src2=0
	v_mul_i32_i24_e32 v55 /*v311*/, v26 /*v282*/, v216
	v_mul_i32_i24_e32 v58 /*v314*/, v9 /*v265*/, v252
	;; [unrolled: 12-line block ×3, first 2 shown]
	s_set_vgpr_msb 0x55                     ;  msbs: dst=1 src0=1 src1=1 src2=1
	v_add3_u32 v32 /*v288*/, v32 /*v288*/, v58 /*v314*/, v55 /*v311*/
	s_set_vgpr_msb 0x41                     ;  msbs: dst=1 src0=1 src1=0 src2=0
	v_mul_i32_i24_e32 v50 /*v306*/, v21 /*v277*/, v145
	v_mul_i32_i24_e32 v51 /*v307*/, v22 /*v278*/, v147
	;; [unrolled: 1-line block ×4, first 2 shown]
	s_set_vgpr_msb 0x55                     ;  msbs: dst=1 src0=1 src1=1 src2=1
	v_add3_u32 v0 /*v256*/, v0 /*v256*/, v7 /*v263*/, v20 /*v276*/
	v_add3_u32 v32 /*v288*/, v32 /*v288*/, v56 /*v312*/, v57 /*v313*/
	s_set_vgpr_msb 0x41                     ;  msbs: dst=1 src0=1 src1=0 src2=0
	v_mul_i32_i24_e32 v54 /*v310*/, v24 /*v280*/, v148
	s_set_vgpr_msb 64                       ;  msbs: dst=1 src0=0 src1=0 src2=0
	v_mul_i32_i24_e32 v56 /*v312*/, v89, v150
	s_set_vgpr_msb 0x41                     ;  msbs: dst=1 src0=1 src1=0 src2=0
	v_mul_i32_i24_e32 v24 /*v280*/, v24 /*v280*/, v126
	s_set_vgpr_msb 0                        ;  msbs: dst=0 src0=0 src1=0 src2=0
	v_mul_i32_i24_e32 v89, v89, v102
	s_set_vgpr_msb 0x55                     ;  msbs: dst=1 src0=1 src1=1 src2=1
	v_add3_u32 v0 /*v256*/, v0 /*v256*/, v21 /*v277*/, v22 /*v278*/
	s_set_vgpr_msb 0x41                     ;  msbs: dst=1 src0=1 src1=0 src2=0
	v_mul_i32_i24_e32 v53 /*v309*/, v23 /*v279*/, v149
	v_mul_i32_i24_e32 v55 /*v311*/, v25 /*v281*/, v151
	v_mul_i32_i24_e32 v23 /*v279*/, v23 /*v279*/, v127
	v_mul_i32_i24_e32 v25 /*v281*/, v25 /*v281*/, v125
	s_set_vgpr_msb 17                       ;  msbs: dst=0 src0=1 src1=0 src2=1
	v_add3_u32 v89, v0 /*v256*/, v89, v24 /*v280*/
	s_set_vgpr_msb 0x41                     ;  msbs: dst=1 src0=1 src1=0 src2=0
	v_mul_i32_i24_e32 v57 /*v313*/, v26 /*v282*/, v153
	v_mul_i32_i24_e32 v60 /*v316*/, v9 /*v265*/, v154
	v_mul_i32_i24_e32 v26 /*v282*/, v26 /*v282*/, v107
	v_mul_i32_i24_e32 v9 /*v265*/, v9 /*v265*/, v128
	s_set_vgpr_msb 20                       ;  msbs: dst=0 src0=0 src1=1 src2=1
	v_add3_u32 v89, v89, v23 /*v279*/, v25 /*v281*/
	s_set_vgpr_msb 0x41                     ;  msbs: dst=1 src0=1 src1=0 src2=0
	v_mul_i32_i24_e32 v58 /*v314*/, v27 /*v283*/, v152
	v_mul_i32_i24_e32 v59 /*v315*/, v28 /*v284*/, v155
	v_mul_i32_i24_e32 v27 /*v283*/, v27 /*v283*/, v105
	v_mul_i32_i24_e32 v28 /*v284*/, v28 /*v284*/, v129
	s_set_vgpr_msb 20                       ;  msbs: dst=0 src0=0 src1=1 src2=1
	v_add3_u32 v89, v89, v9 /*v265*/, v26 /*v282*/
	s_set_vgpr_msb 0x55                     ;  msbs: dst=1 src0=1 src1=1 src2=1
	v_add3_u32 v34 /*v290*/, v34 /*v290*/, v35 /*v291*/, v36 /*v292*/
	s_set_vgpr_msb 0                        ;  msbs: dst=0 src0=0 src1=0 src2=0
	v_bfe_i32 v255, v88, 0, 8
	v_bfe_i32 v247, v88, 8, 8
	s_set_vgpr_msb 0x54                     ;  msbs: dst=1 src0=0 src1=1 src2=1
	v_add3_u32 v0 /*v256*/, v89, v27 /*v283*/, v28 /*v284*/
	s_set_vgpr_msb 0                        ;  msbs: dst=0 src0=0 src1=0 src2=0
	v_add_nc_u32_e32 v89, 0x1404, v85
	s_set_vgpr_msb 0x55                     ;  msbs: dst=1 src0=1 src1=1 src2=1
	v_add3_u32 v34 /*v290*/, v34 /*v290*/, v40 /*v296*/, v38 /*v294*/
	s_set_vgpr_msb 64                       ;  msbs: dst=1 src0=0 src1=0 src2=0
	v_mul_i32_i24_e32 v29 /*v285*/, v255, v222
	v_mul_i32_i24_e32 v31 /*v287*/, v255, v193
	;; [unrolled: 1-line block ×3, first 2 shown]
	ds_load_2addr_b32 v[4:5] /*v[260:261]*/, v89 offset1:1
	s_set_vgpr_msb 0                        ;  msbs: dst=0 src0=0 src1=0 src2=0
	v_add_nc_u32_e32 v89, 0x1414, v85
	s_set_vgpr_msb 0x55                     ;  msbs: dst=1 src0=1 src1=1 src2=1
	v_add3_u32 v34 /*v290*/, v34 /*v290*/, v37 /*v293*/, v39 /*v295*/
	s_set_vgpr_msb 0                        ;  msbs: dst=0 src0=0 src1=0 src2=0
	v_mul_i32_i24_e32 v255, v121, v255
	s_set_vgpr_msb 64                       ;  msbs: dst=1 src0=0 src1=0 src2=0
	ds_load_2addr_b32 v[6:7] /*v[262:263]*/, v89 offset1:1
	s_set_vgpr_msb 0                        ;  msbs: dst=0 src0=0 src1=0 src2=0
	v_add_nc_u32_e32 v89, 0x1400, v85
	s_set_vgpr_msb 64                       ;  msbs: dst=1 src0=0 src1=0 src2=0
	ds_load_2addr_b32 v[8:9] /*v[264:265]*/, v89 offset1:3
	ds_load_2addr_b32 v[10:11] /*v[266:267]*/, v89 offset0:4 offset1:7
	s_set_vgpr_msb 0x55                     ;  msbs: dst=1 src0=1 src1=1 src2=1
	v_add3_u32 v34 /*v290*/, v34 /*v290*/, v44 /*v300*/, v41 /*v297*/
	s_delay_alu instid0(VALU_DEP_1)
	v_add3_u32 v34 /*v290*/, v34 /*v290*/, v42 /*v298*/, v43 /*v299*/
	s_wait_dscnt 0x3
	v_bfe_i32 v17 /*v273*/, v4 /*v260*/, 8, 8
	v_ashrrev_i32_e32 v19 /*v275*/, 24, v4 /*v260*/
	v_bfe_i32 v23 /*v279*/, v5 /*v261*/, 0, 8
	v_add3_u32 v34 /*v290*/, v34 /*v290*/, v48 /*v304*/, v46 /*v302*/
	v_bfe_i32 v24 /*v280*/, v5 /*v261*/, 8, 8
	v_bfe_i32 v25 /*v281*/, v5 /*v261*/, 16, 8
	v_ashrrev_i32_e32 v26 /*v282*/, 24, v5 /*v261*/
	v_bfe_i32 v16 /*v272*/, v4 /*v260*/, 0, 8
	v_add3_u32 v34 /*v290*/, v34 /*v290*/, v45 /*v301*/, v47 /*v303*/
	v_bfe_i32 v18 /*v274*/, v4 /*v260*/, 16, 8
	s_wait_dscnt 0x2
	v_bfe_i32 v20 /*v276*/, v6 /*v262*/, 0, 8
	v_bfe_i32 v21 /*v277*/, v6 /*v262*/, 8, 8
	s_wait_dscnt 0x0
	v_bfe_i32 v14 /*v270*/, v10 /*v266*/, 8, 8
	v_bfe_i32 v13 /*v269*/, v10 /*v266*/, 0, 8
	;; [unrolled: 1-line block ×3, first 2 shown]
	v_ashrrev_i32_e32 v10 /*v266*/, 24, v10 /*v266*/
	v_bfe_i32 v22 /*v278*/, v6 /*v262*/, 16, 8
	s_set_vgpr_msb 1                        ;  msbs: dst=0 src0=1 src1=0 src2=0
	v_mul_i32_i24_e32 v89, v14 /*v270*/, v224
	s_set_vgpr_msb 0x44                     ;  msbs: dst=1 src0=0 src1=1 src2=0
	v_ashrrev_i32_e32 v6 /*v262*/, 24, v6 /*v262*/
	s_set_vgpr_msb 0x41                     ;  msbs: dst=1 src0=1 src1=0 src2=0
	v_mul_i32_i24_e32 v5 /*v261*/, v15 /*v271*/, v221
	v_mul_i32_i24_e32 v42 /*v298*/, v10 /*v266*/, v225
	;; [unrolled: 1-line block ×3, first 2 shown]
	s_set_vgpr_msb 1                        ;  msbs: dst=0 src0=1 src1=0 src2=0
	v_mad_i32_i24 v89, v13 /*v269*/, v218, v89
	s_set_vgpr_msb 0x41                     ;  msbs: dst=1 src0=1 src1=0 src2=0
	v_mul_i32_i24_e32 v46 /*v302*/, v19 /*v275*/, v229
	s_set_vgpr_msb 0x55                     ;  msbs: dst=1 src0=1 src1=1 src2=1
	v_add3_u32 v34 /*v290*/, v34 /*v290*/, v52 /*v308*/, v49 /*v305*/
	s_set_vgpr_msb 0x41                     ;  msbs: dst=1 src0=1 src1=0 src2=0
	v_mul_i32_i24_e32 v43 /*v299*/, v16 /*v272*/, v226
	v_mul_i32_i24_e32 v45 /*v301*/, v18 /*v274*/, v228
	s_set_vgpr_msb 20                       ;  msbs: dst=0 src0=0 src1=1 src2=1
	v_add3_u32 v89, v89, v5 /*v261*/, v42 /*v298*/
	s_set_vgpr_msb 0x41                     ;  msbs: dst=1 src0=1 src1=0 src2=0
	v_mul_i32_i24_e32 v47 /*v303*/, v20 /*v276*/, v230
	s_set_vgpr_msb 0x55                     ;  msbs: dst=1 src0=1 src1=1 src2=1
	v_add3_u32 v34 /*v290*/, v34 /*v290*/, v50 /*v306*/, v51 /*v307*/
	s_set_vgpr_msb 0x41                     ;  msbs: dst=1 src0=1 src1=0 src2=0
	v_mul_i32_i24_e32 v50 /*v306*/, v6 /*v262*/, v232
	v_mul_i32_i24_e32 v48 /*v304*/, v21 /*v277*/, v231
	s_set_vgpr_msb 20                       ;  msbs: dst=0 src0=0 src1=1 src2=1
	v_add3_u32 v89, v89, v46 /*v302*/, v44 /*v300*/
	s_set_vgpr_msb 0x41                     ;  msbs: dst=1 src0=1 src1=0 src2=0
	v_mul_i32_i24_e32 v49 /*v305*/, v22 /*v278*/, v223
	s_set_vgpr_msb 0x55                     ;  msbs: dst=1 src0=1 src1=1 src2=1
	v_add3_u32 v34 /*v290*/, v34 /*v290*/, v56 /*v312*/, v54 /*v310*/
	v_bfe_i32 v27 /*v283*/, v7 /*v263*/, 0, 8
	v_bfe_i32 v28 /*v284*/, v7 /*v263*/, 8, 8
	s_set_vgpr_msb 20                       ;  msbs: dst=0 src0=0 src1=1 src2=1
	v_add3_u32 v89, v89, v43 /*v299*/, v45 /*v301*/
	s_set_vgpr_msb 0x55                     ;  msbs: dst=1 src0=1 src1=1 src2=1
	v_bfe_i32 v35 /*v291*/, v7 /*v263*/, 16, 8
	v_add3_u32 v34 /*v290*/, v34 /*v290*/, v53 /*v309*/, v55 /*v311*/
	v_ashrrev_i32_e32 v7 /*v263*/, 24, v7 /*v263*/
	s_set_vgpr_msb 0x41                     ;  msbs: dst=1 src0=1 src1=0 src2=0
	v_mul_i32_i24_e32 v52 /*v308*/, v24 /*v280*/, v234
	s_set_vgpr_msb 20                       ;  msbs: dst=0 src0=0 src1=1 src2=1
	v_add3_u32 v89, v89, v50 /*v306*/, v47 /*v303*/
	s_set_vgpr_msb 0x41                     ;  msbs: dst=1 src0=1 src1=0 src2=0
	v_mul_i32_i24_e32 v54 /*v310*/, v26 /*v282*/, v235
	s_set_vgpr_msb 0x55                     ;  msbs: dst=1 src0=1 src1=1 src2=1
	v_add3_u32 v34 /*v290*/, v34 /*v290*/, v60 /*v316*/, v57 /*v313*/
	s_set_vgpr_msb 0x41                     ;  msbs: dst=1 src0=1 src1=0 src2=0
	v_mul_i32_i24_e32 v51 /*v307*/, v23 /*v279*/, v233
	v_mul_i32_i24_e32 v53 /*v309*/, v25 /*v281*/, v236
	s_set_vgpr_msb 20                       ;  msbs: dst=0 src0=0 src1=1 src2=1
	v_add3_u32 v89, v89, v48 /*v304*/, v49 /*v305*/
	s_set_vgpr_msb 0x41                     ;  msbs: dst=1 src0=1 src1=0 src2=0
	v_mul_i32_i24_e32 v55 /*v311*/, v27 /*v283*/, v237
	s_set_vgpr_msb 0x55                     ;  msbs: dst=1 src0=1 src1=1 src2=1
	v_add3_u32 v34 /*v290*/, v34 /*v290*/, v58 /*v314*/, v59 /*v315*/
	s_set_vgpr_msb 0x41                     ;  msbs: dst=1 src0=1 src1=0 src2=0
	v_mul_i32_i24_e32 v58 /*v314*/, v7 /*v263*/, v239
	v_bfe_i32 v36 /*v292*/, v9 /*v265*/, 0, 8
	s_set_vgpr_msb 20                       ;  msbs: dst=0 src0=0 src1=1 src2=1
	v_add3_u32 v89, v89, v54 /*v310*/, v52 /*v308*/
	s_set_vgpr_msb 0x41                     ;  msbs: dst=1 src0=1 src1=0 src2=0
	v_bfe_i32 v37 /*v293*/, v9 /*v265*/, 8, 8
	v_bfe_i32 v38 /*v294*/, v9 /*v265*/, 16, 8
	s_set_vgpr_msb 0x44                     ;  msbs: dst=1 src0=0 src1=1 src2=0
	v_ashrrev_i32_e32 v9 /*v265*/, 24, v9 /*v265*/
	s_set_vgpr_msb 0x41                     ;  msbs: dst=1 src0=1 src1=0 src2=0
	v_mul_i32_i24_e32 v56 /*v312*/, v28 /*v284*/, v238
	s_set_vgpr_msb 20                       ;  msbs: dst=0 src0=0 src1=1 src2=1
	v_add3_u32 v89, v89, v51 /*v307*/, v53 /*v309*/
	s_set_vgpr_msb 0x41                     ;  msbs: dst=1 src0=1 src1=0 src2=0
	v_mul_i32_i24_e32 v57 /*v313*/, v35 /*v291*/, v240
	v_bfe_i32 v39 /*v295*/, v11 /*v267*/, 0, 8
	v_bfe_i32 v40 /*v296*/, v11 /*v267*/, 8, 8
	;; [unrolled: 1-line block ×3, first 2 shown]
	s_set_vgpr_msb 20                       ;  msbs: dst=0 src0=0 src1=1 src2=1
	v_add3_u32 v89, v89, v58 /*v314*/, v55 /*v311*/
	s_set_vgpr_msb 0x44                     ;  msbs: dst=1 src0=0 src1=1 src2=0
	v_ashrrev_i32_e32 v11 /*v267*/, 24, v11 /*v267*/
	s_set_vgpr_msb 0x41                     ;  msbs: dst=1 src0=1 src1=0 src2=0
	v_mul_i32_i24_e32 v60 /*v316*/, v37 /*v293*/, v242
	v_mul_i32_i24_e32 v62 /*v318*/, v9 /*v265*/, v243
	;; [unrolled: 1-line block ×3, first 2 shown]
	s_set_vgpr_msb 20                       ;  msbs: dst=0 src0=0 src1=1 src2=1
	v_add3_u32 v89, v89, v56 /*v312*/, v57 /*v313*/
	s_set_vgpr_msb 0x41                     ;  msbs: dst=1 src0=1 src1=0 src2=0
	v_mul_i32_i24_e32 v61 /*v317*/, v38 /*v294*/, v244
	v_mul_i32_i24_e32 v63 /*v319*/, v39 /*v295*/, v245
	s_set_vgpr_msb 0x45                     ;  msbs: dst=1 src0=1 src1=1 src2=0
	v_mul_i32_i24_e32 v66 /*v322*/, v11 /*v267*/, v1 /*v257*/
	v_bfe_i32 v3 /*v259*/, v8 /*v264*/, 0, 8
	s_set_vgpr_msb 20                       ;  msbs: dst=0 src0=0 src1=1 src2=1
	v_add3_u32 v89, v89, v62 /*v318*/, v60 /*v316*/
	s_set_vgpr_msb 0x41                     ;  msbs: dst=1 src0=1 src1=0 src2=0
	v_bfe_i32 v12 /*v268*/, v8 /*v264*/, 8, 8
	v_mul_i32_i24_e32 v64 /*v320*/, v40 /*v296*/, v246
	s_set_vgpr_msb 0x45                     ;  msbs: dst=1 src0=1 src1=1 src2=0
	v_mul_i32_i24_e32 v65 /*v321*/, v41 /*v297*/, v2 /*v258*/
	s_set_vgpr_msb 0x41                     ;  msbs: dst=1 src0=1 src1=0 src2=0
	v_mul_i32_i24_e32 v4 /*v260*/, v3 /*v259*/, v222
	s_set_vgpr_msb 20                       ;  msbs: dst=0 src0=0 src1=1 src2=1
	v_add3_u32 v89, v89, v59 /*v315*/, v61 /*v317*/
	s_set_vgpr_msb 0x41                     ;  msbs: dst=1 src0=1 src1=0 src2=0
	v_bfe_i32 v42 /*v298*/, v8 /*v264*/, 16, 8
	s_set_vgpr_msb 0x44                     ;  msbs: dst=1 src0=0 src1=1 src2=0
	v_bfe_i32 v43 /*v299*/, v88, 16, 8
	v_ashrrev_i32_e32 v8 /*v264*/, 24, v8 /*v264*/
	s_set_vgpr_msb 64                       ;  msbs: dst=1 src0=0 src1=0 src2=0
	v_ashrrev_i32_e32 v44 /*v300*/, 24, v88
	s_set_vgpr_msb 20                       ;  msbs: dst=0 src0=0 src1=1 src2=1
	v_add3_u32 v89, v89, v66 /*v322*/, v63 /*v319*/
	s_set_vgpr_msb 64                       ;  msbs: dst=1 src0=0 src1=0 src2=0
	v_mul_i32_i24_e32 v45 /*v301*/, v247, v189
	s_set_vgpr_msb 0x41                     ;  msbs: dst=1 src0=1 src1=0 src2=0
	v_mul_i32_i24_e32 v46 /*v302*/, v12 /*v268*/, v189
	s_set_vgpr_msb 0                        ;  msbs: dst=0 src0=0 src1=0 src2=0
	v_cvt_f32_f16_e32 v88, v90
	v_lshrrev_b32_e32 v90, 16, v90
	s_set_vgpr_msb 0x54                     ;  msbs: dst=1 src0=0 src1=1 src2=1
	v_add3_u32 v5 /*v261*/, v89, v64 /*v320*/, v65 /*v321*/
	s_set_vgpr_msb 0                        ;  msbs: dst=0 src0=0 src1=0 src2=0
	v_cvt_f32_f16_e32 v89, v91
	v_lshrrev_b32_e32 v91, 16, v91
	s_set_vgpr_msb 0x44                     ;  msbs: dst=1 src0=0 src1=1 src2=0
	v_mul_i32_i24_e32 v47 /*v303*/, v254, v43 /*v299*/
	v_mul_i32_i24_e32 v48 /*v304*/, v254, v42 /*v298*/
	;; [unrolled: 1-line block ×4, first 2 shown]
	s_set_vgpr_msb 0x55                     ;  msbs: dst=1 src0=1 src1=1 src2=1
	v_add3_u32 v4 /*v260*/, v5 /*v261*/, v4 /*v260*/, v46 /*v302*/
	v_add3_u32 v5 /*v261*/, v30 /*v286*/, v29 /*v285*/, v45 /*v301*/
	s_set_vgpr_msb 0                        ;  msbs: dst=0 src0=0 src1=0 src2=0
	v_cvt_f32_f16_e32 v91, v91
	v_cvt_f32_f16_e32 v90, v90
	s_set_vgpr_msb 0x41                     ;  msbs: dst=1 src0=1 src1=0 src2=0
	v_mul_i32_i24_e32 v30 /*v286*/, v10 /*v266*/, v196
	s_set_vgpr_msb 0x55                     ;  msbs: dst=1 src0=1 src1=1 src2=1
	v_add3_u32 v4 /*v260*/, v4 /*v260*/, v48 /*v304*/, v50 /*v306*/
	v_add3_u32 v29 /*v285*/, v5 /*v261*/, v47 /*v303*/, v49 /*v305*/
	s_set_vgpr_msb 0x41                     ;  msbs: dst=1 src0=1 src1=0 src2=0
	v_mul_i32_i24_e32 v46 /*v302*/, v17 /*v273*/, v198
	s_set_vgpr_msb 0                        ;  msbs: dst=0 src0=0 src1=0 src2=0
	v_pk_mul_f32 v[90:91], v[90:91], s[4:5] op_sel_hi:[1,0]
	s_set_vgpr_msb 0x41                     ;  msbs: dst=1 src0=1 src1=0 src2=0
	v_mul_i32_i24_e32 v48 /*v304*/, v19 /*v275*/, v200
	v_cvt_f32_i32_e32 v5 /*v261*/, v4 /*v260*/
	v_cvt_f32_i32_e32 v4 /*v260*/, v29 /*v285*/
	v_mul_i32_i24_e32 v29 /*v285*/, v15 /*v271*/, v192
	v_mul_i32_i24_e32 v45 /*v301*/, v16 /*v272*/, v197
	v_mul_i32_i24_e32 v47 /*v303*/, v18 /*v274*/, v199
	v_mul_i32_i24_e32 v49 /*v305*/, v20 /*v276*/, v201
	s_set_vgpr_msb 0x44                     ;  msbs: dst=1 src0=0 src1=1 src2=0
	v_pk_fma_f32 v[4:5] /*v[260:261]*/, v[88:89], v[4:5] /*v[260:261]*/, v[90:91] neg_lo:[0,0,1] neg_hi:[0,0,1]
	s_set_vgpr_msb 0x41                     ;  msbs: dst=1 src0=1 src1=0 src2=0
	v_mul_i32_i24_e32 v52 /*v308*/, v6 /*v262*/, v203
	v_mul_i32_i24_e32 v50 /*v306*/, v21 /*v277*/, v202
	;; [unrolled: 1-line block ×4, first 2 shown]
	s_set_vgpr_msb 4                        ;  msbs: dst=0 src0=0 src1=1 src2=0
	v_pk_fma_f32 v[44:45], v[84:85], v[4:5] /*v[260:261]*/, v[44:45] op_sel_hi:[0,1,1]
	s_set_vgpr_msb 0x51                     ;  msbs: dst=1 src0=1 src1=0 src2=1
	v_mul_i32_i24_e32 v5 /*v261*/, v14 /*v270*/, v195
	v_mul_i32_i24_e32 v56 /*v312*/, v26 /*v282*/, v206
	;; [unrolled: 1-line block ×5, first 2 shown]
	v_mad_i32_i24 v5 /*v261*/, v13 /*v269*/, v191, v5 /*v261*/
	v_mul_i32_i24_e32 v60 /*v316*/, v7 /*v263*/, v210
	v_mul_i32_i24_e32 v58 /*v314*/, v28 /*v284*/, v209
	;; [unrolled: 1-line block ×4, first 2 shown]
	s_set_vgpr_msb 0x55                     ;  msbs: dst=1 src0=1 src1=1 src2=1
	v_add3_u32 v5 /*v261*/, v5 /*v261*/, v29 /*v285*/, v30 /*v286*/
	s_set_vgpr_msb 0x41                     ;  msbs: dst=1 src0=1 src1=0 src2=0
	v_mul_i32_i24_e32 v64 /*v320*/, v9 /*v265*/, v214
	v_mul_i32_i24_e32 v61 /*v317*/, v36 /*v292*/, v213
	;; [unrolled: 1-line block ×4, first 2 shown]
	s_set_vgpr_msb 0x55                     ;  msbs: dst=1 src0=1 src1=1 src2=1
	v_add3_u32 v5 /*v261*/, v5 /*v261*/, v48 /*v304*/, v46 /*v302*/
	s_set_vgpr_msb 0x41                     ;  msbs: dst=1 src0=1 src1=0 src2=0
	v_mul_i32_i24_e32 v68 /*v324*/, v11 /*v267*/, v252
	v_mul_i32_i24_e32 v66 /*v322*/, v40 /*v296*/, v217
	;; [unrolled: 1-line block ×4, first 2 shown]
	s_set_vgpr_msb 0x55                     ;  msbs: dst=1 src0=1 src1=1 src2=1
	v_add3_u32 v5 /*v261*/, v5 /*v261*/, v45 /*v301*/, v47 /*v303*/
	s_set_vgpr_msb 64                       ;  msbs: dst=1 src0=0 src1=0 src2=0
	v_mul_i32_i24_e32 v29 /*v285*/, v247, v190
	s_set_vgpr_msb 0x41                     ;  msbs: dst=1 src0=1 src1=0 src2=0
	v_mul_i32_i24_e32 v30 /*v286*/, v12 /*v268*/, v190
	s_set_vgpr_msb 0x44                     ;  msbs: dst=1 src0=0 src1=1 src2=0
	v_mul_i32_i24_e32 v45 /*v301*/, v249, v43 /*v299*/
	v_mul_i32_i24_e32 v46 /*v302*/, v249, v42 /*v298*/
	s_set_vgpr_msb 0x55                     ;  msbs: dst=1 src0=1 src1=1 src2=1
	v_add3_u32 v5 /*v261*/, v5 /*v261*/, v52 /*v308*/, v49 /*v305*/
	s_set_vgpr_msb 0x44                     ;  msbs: dst=1 src0=0 src1=1 src2=0
	v_mul_i32_i24_e32 v47 /*v303*/, v248, v44 /*v300*/
	v_mul_i32_i24_e32 v48 /*v304*/, v248, v8 /*v264*/
	s_set_vgpr_msb 0x41                     ;  msbs: dst=1 src0=1 src1=0 src2=0
	v_mul_i32_i24_e32 v49 /*v305*/, v22 /*v278*/, v131
	v_mul_i32_i24_e32 v52 /*v308*/, v24 /*v280*/, v140
	s_set_vgpr_msb 0x55                     ;  msbs: dst=1 src0=1 src1=1 src2=1
	v_add3_u32 v5 /*v261*/, v5 /*v261*/, v50 /*v306*/, v51 /*v307*/
	s_set_vgpr_msb 0x41                     ;  msbs: dst=1 src0=1 src1=0 src2=0
	v_mul_i32_i24_e32 v50 /*v306*/, v6 /*v262*/, v139
	v_mul_i32_i24_e32 v51 /*v307*/, v23 /*v279*/, v141
	;; [unrolled: 1-line block ×3, first 2 shown]
	s_set_vgpr_msb 0x55                     ;  msbs: dst=1 src0=1 src1=1 src2=1
	v_add3_u32 v5 /*v261*/, v5 /*v261*/, v56 /*v312*/, v54 /*v310*/
	s_set_vgpr_msb 0x41                     ;  msbs: dst=1 src0=1 src1=0 src2=0
	v_mul_i32_i24_e32 v54 /*v310*/, v26 /*v282*/, v142
	v_mul_i32_i24_e32 v56 /*v312*/, v28 /*v284*/, v145
	s_set_vgpr_msb 0x55                     ;  msbs: dst=1 src0=1 src1=1 src2=1
	v_add3_u32 v5 /*v261*/, v5 /*v261*/, v53 /*v309*/, v55 /*v311*/
	s_set_vgpr_msb 0x41                     ;  msbs: dst=1 src0=1 src1=0 src2=0
	v_mul_i32_i24_e32 v53 /*v309*/, v25 /*v281*/, v143
	v_mul_i32_i24_e32 v55 /*v311*/, v27 /*v283*/, v144
	;; [unrolled: 5-line block ×4, first 2 shown]
	v_mul_i32_i24_e32 v7 /*v263*/, v7 /*v263*/, v104
	s_set_vgpr_msb 0x55                     ;  msbs: dst=1 src0=1 src1=1 src2=1
	v_add3_u32 v5 /*v261*/, v5 /*v261*/, v64 /*v320*/, v62 /*v318*/
	s_set_vgpr_msb 0x41                     ;  msbs: dst=1 src0=1 src1=0 src2=0
	v_mul_i32_i24_e32 v62 /*v318*/, v9 /*v265*/, v150
	v_mul_i32_i24_e32 v64 /*v320*/, v40 /*v296*/, v152
	;; [unrolled: 1-line block ×3, first 2 shown]
	s_set_vgpr_msb 0x55                     ;  msbs: dst=1 src0=1 src1=1 src2=1
	v_add3_u32 v5 /*v261*/, v5 /*v261*/, v61 /*v317*/, v63 /*v319*/
	s_set_vgpr_msb 0x41                     ;  msbs: dst=1 src0=1 src1=0 src2=0
	v_mul_i32_i24_e32 v61 /*v317*/, v38 /*v294*/, v151
	v_mul_i32_i24_e32 v63 /*v319*/, v39 /*v295*/, v153
	s_set_vgpr_msb 0x55                     ;  msbs: dst=1 src0=1 src1=1 src2=1
	v_add3_u32 v5 /*v261*/, v5 /*v261*/, v68 /*v324*/, v65 /*v321*/
	s_set_vgpr_msb 0x41                     ;  msbs: dst=1 src0=1 src1=0 src2=0
	v_mul_i32_i24_e32 v65 /*v321*/, v41 /*v297*/, v155
	s_set_vgpr_msb 0x55                     ;  msbs: dst=1 src0=1 src1=1 src2=1
	s_delay_alu instid0(VALU_DEP_2)
	v_add3_u32 v5 /*v261*/, v5 /*v261*/, v66 /*v322*/, v67 /*v323*/
	s_set_vgpr_msb 0x41                     ;  msbs: dst=1 src0=1 src1=0 src2=0
	v_mul_i32_i24_e32 v66 /*v322*/, v11 /*v267*/, v154
	v_mul_i32_i24_e32 v11 /*v267*/, v11 /*v267*/, v128
	s_set_vgpr_msb 0x55                     ;  msbs: dst=1 src0=1 src1=1 src2=1
	v_add3_u32 v4 /*v260*/, v5 /*v261*/, v4 /*v260*/, v30 /*v286*/
	v_add3_u32 v5 /*v261*/, v32 /*v288*/, v31 /*v287*/, v29 /*v285*/
	s_set_vgpr_msb 0x41                     ;  msbs: dst=1 src0=1 src1=0 src2=0
	v_mul_i32_i24_e32 v30 /*v286*/, v10 /*v266*/, v132
	v_mul_i32_i24_e32 v32 /*v288*/, v17 /*v273*/, v134
	;; [unrolled: 1-line block ×3, first 2 shown]
	s_set_vgpr_msb 0x55                     ;  msbs: dst=1 src0=1 src1=1 src2=1
	v_add3_u32 v4 /*v260*/, v4 /*v260*/, v46 /*v302*/, v48 /*v304*/
	v_add3_u32 v29 /*v285*/, v5 /*v261*/, v45 /*v301*/, v47 /*v303*/
	s_set_vgpr_msb 0x41                     ;  msbs: dst=1 src0=1 src1=0 src2=0
	v_mul_i32_i24_e32 v46 /*v302*/, v19 /*v275*/, v136
	v_mul_i32_i24_e32 v45 /*v301*/, v18 /*v274*/, v135
	;; [unrolled: 1-line block ×3, first 2 shown]
	v_cvt_f32_i32_e32 v5 /*v261*/, v4 /*v260*/
	v_cvt_f32_i32_e32 v4 /*v260*/, v29 /*v285*/
	v_mul_i32_i24_e32 v29 /*v285*/, v15 /*v271*/, v219
	v_mul_i32_i24_e32 v48 /*v304*/, v21 /*v277*/, v138
	s_set_vgpr_msb 0x44                     ;  msbs: dst=1 src0=0 src1=1 src2=0
	v_mul_i32_i24_e32 v10 /*v266*/, v99, v10 /*v266*/
	v_pk_fma_f32 v[4:5] /*v[260:261]*/, v[88:89], v[4:5] /*v[260:261]*/, v[90:91] neg_lo:[0,0,1] neg_hi:[0,0,1]
	s_set_vgpr_msb 4                        ;  msbs: dst=0 src0=0 src1=1 src2=0
	s_delay_alu instid0(VALU_DEP_1)
	v_pk_fma_f32 v[56:57], v[86:87], v[4:5] /*v[260:261]*/, v[56:57] op_sel_hi:[0,1,1]
	s_set_vgpr_msb 0x41                     ;  msbs: dst=1 src0=1 src1=0 src2=0
	v_mul_i32_i24_e32 v5 /*v261*/, v14 /*v270*/, v220
	s_set_vgpr_msb 0x44                     ;  msbs: dst=1 src0=0 src1=1 src2=0
	v_mul_i32_i24_e32 v4 /*v260*/, v250, v3 /*v259*/
	v_mul_i32_i24_e32 v3 /*v259*/, v121, v3 /*v259*/
	s_set_vgpr_msb 0x51                     ;  msbs: dst=1 src0=1 src1=0 src2=1
	v_mad_i32_i24 v5 /*v261*/, v13 /*v269*/, v130, v5 /*v261*/
	s_set_vgpr_msb 0x55                     ;  msbs: dst=1 src0=1 src1=1 src2=1
	s_delay_alu instid0(VALU_DEP_1)
	v_add3_u32 v5 /*v261*/, v5 /*v261*/, v29 /*v285*/, v30 /*v286*/
	s_set_vgpr_msb 64                       ;  msbs: dst=1 src0=0 src1=0 src2=0
	v_mul_i32_i24_e32 v29 /*v285*/, v247, v98
	s_set_vgpr_msb 0x41                     ;  msbs: dst=1 src0=1 src1=0 src2=0
	v_mul_i32_i24_e32 v30 /*v286*/, v12 /*v268*/, v98
	s_set_vgpr_msb 0                        ;  msbs: dst=0 src0=0 src1=0 src2=0
	v_mul_i32_i24_e32 v247, v247, v93
	s_set_vgpr_msb 0x55                     ;  msbs: dst=1 src0=1 src1=1 src2=1
	v_add3_u32 v5 /*v261*/, v5 /*v261*/, v46 /*v302*/, v32 /*v288*/
	s_set_vgpr_msb 0x44                     ;  msbs: dst=1 src0=0 src1=1 src2=0
	v_mul_i32_i24_e32 v32 /*v288*/, v120, v42 /*v298*/
	v_mul_i32_i24_e32 v46 /*v302*/, v117, v8 /*v264*/
	;; [unrolled: 1-line block ×3, first 2 shown]
	s_set_vgpr_msb 1                        ;  msbs: dst=0 src0=1 src1=0 src2=0
	v_add3_u32 v247, v0 /*v256*/, v255, v247
	s_set_vgpr_msb 0x55                     ;  msbs: dst=1 src0=1 src1=1 src2=1
	v_add3_u32 v5 /*v261*/, v5 /*v261*/, v31 /*v287*/, v45 /*v301*/
	s_set_vgpr_msb 0x44                     ;  msbs: dst=1 src0=0 src1=1 src2=0
	v_mul_i32_i24_e32 v31 /*v287*/, v120, v43 /*v299*/
	v_mul_i32_i24_e32 v45 /*v301*/, v117, v44 /*v300*/
	s_set_vgpr_msb 0x55                     ;  msbs: dst=1 src0=1 src1=1 src2=1
	v_add3_u32 v5 /*v261*/, v5 /*v261*/, v50 /*v306*/, v47 /*v303*/
	s_delay_alu instid0(VALU_DEP_1) | instskip(NEXT) | instid1(VALU_DEP_1)
	v_add3_u32 v5 /*v261*/, v5 /*v261*/, v48 /*v304*/, v49 /*v305*/
	v_add3_u32 v5 /*v261*/, v5 /*v261*/, v54 /*v310*/, v52 /*v308*/
	s_delay_alu instid0(VALU_DEP_1) | instskip(NEXT) | instid1(VALU_DEP_1)
	v_add3_u32 v5 /*v261*/, v5 /*v261*/, v51 /*v307*/, v53 /*v309*/
	;; [unrolled: 3-line block ×5, first 2 shown]
	v_add3_u32 v4 /*v260*/, v5 /*v261*/, v4 /*v260*/, v30 /*v286*/
	v_add3_u32 v5 /*v261*/, v34 /*v290*/, v33 /*v289*/, v29 /*v285*/
	s_set_vgpr_msb 0x41                     ;  msbs: dst=1 src0=1 src1=0 src2=0
	v_mul_i32_i24_e32 v30 /*v286*/, v38 /*v294*/, v125
	v_mul_i32_i24_e32 v33 /*v289*/, v41 /*v297*/, v129
	s_set_vgpr_msb 0x55                     ;  msbs: dst=1 src0=1 src1=1 src2=1
	v_add3_u32 v4 /*v260*/, v4 /*v260*/, v32 /*v288*/, v46 /*v302*/
	v_add3_u32 v29 /*v285*/, v5 /*v261*/, v31 /*v287*/, v45 /*v301*/
	s_set_vgpr_msb 0x41                     ;  msbs: dst=1 src0=1 src1=0 src2=0
	v_mul_i32_i24_e32 v31 /*v287*/, v39 /*v295*/, v107
	v_mul_i32_i24_e32 v32 /*v288*/, v40 /*v296*/, v105
	v_cvt_f32_i32_e32 v5 /*v261*/, v4 /*v260*/
	v_cvt_f32_i32_e32 v4 /*v260*/, v29 /*v285*/
	v_mul_i32_i24_e32 v29 /*v285*/, v37 /*v293*/, v126
	s_set_vgpr_msb 0x44                     ;  msbs: dst=1 src0=0 src1=1 src2=0
	s_delay_alu instid0(VALU_DEP_2) | instskip(SKIP_1) | instid1(VALU_DEP_1)
	v_pk_fma_f32 v[4:5] /*v[260:261]*/, v[88:89], v[4:5] /*v[260:261]*/, v[90:91] neg_lo:[0,0,1] neg_hi:[0,0,1]
	s_set_vgpr_msb 4                        ;  msbs: dst=0 src0=0 src1=1 src2=0
	v_pk_fma_f32 v[64:65], v[82:83], v[4:5] /*v[260:261]*/, v[64:65] op_sel_hi:[0,1,1]
	s_set_vgpr_msb 0x44                     ;  msbs: dst=1 src0=0 src1=1 src2=0
	v_mul_i32_i24_e32 v4 /*v260*/, v109, v14 /*v270*/
	v_mul_i32_i24_e32 v5 /*v261*/, v108, v15 /*v271*/
	s_set_vgpr_msb 0x41                     ;  msbs: dst=1 src0=1 src1=0 src2=0
	v_mul_i32_i24_e32 v15 /*v271*/, v17 /*v273*/, v111
	v_mul_i32_i24_e32 v17 /*v273*/, v19 /*v275*/, v100
	;; [unrolled: 1-line block ×3, first 2 shown]
	s_set_vgpr_msb 0x54                     ;  msbs: dst=1 src0=0 src1=1 src2=1
	v_mad_i32_i24 v4 /*v260*/, v106, v13 /*v269*/, v4 /*v260*/
	s_set_vgpr_msb 0x41                     ;  msbs: dst=1 src0=1 src1=0 src2=0
	v_mul_i32_i24_e32 v16 /*v272*/, v18 /*v274*/, v110
	v_mul_i32_i24_e32 v18 /*v274*/, v20 /*v276*/, v115
	v_mul_i32_i24_e32 v19 /*v275*/, v21 /*v277*/, v114
	v_mul_i32_i24_e32 v20 /*v276*/, v22 /*v278*/, v113
	s_set_vgpr_msb 0x55                     ;  msbs: dst=1 src0=1 src1=1 src2=1
	v_add3_u32 v4 /*v260*/, v4 /*v260*/, v5 /*v261*/, v10 /*v266*/
	s_set_vgpr_msb 0x41                     ;  msbs: dst=1 src0=1 src1=0 src2=0
	v_mul_i32_i24_e32 v22 /*v278*/, v24 /*v280*/, v118
	v_mul_i32_i24_e32 v24 /*v280*/, v26 /*v282*/, v103
	v_mul_i32_i24_e32 v21 /*v277*/, v23 /*v279*/, v119
	v_mul_i32_i24_e32 v23 /*v279*/, v25 /*v281*/, v116
	s_set_vgpr_msb 0x55                     ;  msbs: dst=1 src0=1 src1=1 src2=1
	v_add3_u32 v4 /*v260*/, v4 /*v260*/, v17 /*v273*/, v15 /*v271*/
	;; [unrolled: 7-line block ×3, first 2 shown]
	s_set_vgpr_msb 0x41                     ;  msbs: dst=1 src0=1 src1=0 src2=0
	v_mul_i32_i24_e32 v5 /*v261*/, v12 /*v268*/, v93
	s_set_vgpr_msb 0x55                     ;  msbs: dst=1 src0=1 src1=1 src2=1
	s_delay_alu instid0(VALU_DEP_2) | instskip(SKIP_3) | instid1(VALU_DEP_2)
	v_add3_u32 v4 /*v260*/, v4 /*v260*/, v6 /*v262*/, v18 /*v274*/
	s_set_vgpr_msb 0x44                     ;  msbs: dst=1 src0=0 src1=1 src2=0
	v_mul_i32_i24_e32 v6 /*v262*/, v92, v43 /*v299*/
	s_set_vgpr_msb 0x55                     ;  msbs: dst=1 src0=1 src1=1 src2=1
	v_add3_u32 v4 /*v260*/, v4 /*v260*/, v19 /*v275*/, v20 /*v276*/
	s_delay_alu instid0(VALU_DEP_1) | instskip(NEXT) | instid1(VALU_DEP_1)
	v_add3_u32 v4 /*v260*/, v4 /*v260*/, v24 /*v280*/, v22 /*v278*/
	v_add3_u32 v4 /*v260*/, v4 /*v260*/, v21 /*v277*/, v23 /*v279*/
	s_delay_alu instid0(VALU_DEP_1) | instskip(SKIP_3) | instid1(VALU_DEP_2)
	v_add3_u32 v4 /*v260*/, v4 /*v260*/, v7 /*v263*/, v25 /*v281*/
	s_set_vgpr_msb 0x44                     ;  msbs: dst=1 src0=0 src1=1 src2=0
	v_mul_i32_i24_e32 v7 /*v263*/, v92, v42 /*v298*/
	s_set_vgpr_msb 0x55                     ;  msbs: dst=1 src0=1 src1=1 src2=1
	v_add3_u32 v4 /*v260*/, v4 /*v260*/, v26 /*v282*/, v27 /*v283*/
	s_delay_alu instid0(VALU_DEP_1) | instskip(SKIP_3) | instid1(VALU_DEP_2)
	v_add3_u32 v4 /*v260*/, v4 /*v260*/, v9 /*v265*/, v29 /*v285*/
	s_set_vgpr_msb 0x44                     ;  msbs: dst=1 src0=0 src1=1 src2=0
	v_mul_i32_i24_e32 v9 /*v265*/, v81, v44 /*v300*/
	s_set_vgpr_msb 0x55                     ;  msbs: dst=1 src0=1 src1=1 src2=1
	v_add3_u32 v4 /*v260*/, v4 /*v260*/, v28 /*v284*/, v30 /*v286*/
	s_set_vgpr_msb 20                       ;  msbs: dst=0 src0=0 src1=1 src2=1
	s_delay_alu instid0(VALU_DEP_2) | instskip(SKIP_1) | instid1(VALU_DEP_2)
	v_add3_u32 v247, v247, v6 /*v262*/, v9 /*v265*/
	s_set_vgpr_msb 0x55                     ;  msbs: dst=1 src0=1 src1=1 src2=1
	v_add3_u32 v4 /*v260*/, v4 /*v260*/, v11 /*v267*/, v31 /*v287*/
	s_delay_alu instid0(VALU_DEP_1) | instskip(NEXT) | instid1(VALU_DEP_1)
	v_add3_u32 v4 /*v260*/, v4 /*v260*/, v32 /*v288*/, v33 /*v289*/
	v_add3_u32 v3 /*v259*/, v4 /*v260*/, v3 /*v259*/, v5 /*v261*/
	s_set_vgpr_msb 64                       ;  msbs: dst=1 src0=0 src1=0 src2=0
	v_cvt_f32_i32_e32 v4 /*v260*/, v247
	s_set_vgpr_msb 21                       ;  msbs: dst=0 src0=1 src1=1 src2=1
	s_delay_alu instid0(VALU_DEP_2) | instskip(SKIP_1) | instid1(VALU_DEP_1)
	v_add3_u32 v255, v3 /*v259*/, v7 /*v263*/, v8 /*v264*/
	s_set_vgpr_msb 64                       ;  msbs: dst=1 src0=0 src1=0 src2=0
	v_cvt_f32_i32_e32 v5 /*v261*/, v255
	s_set_vgpr_msb 4                        ;  msbs: dst=0 src0=0 src1=1 src2=0
	s_delay_alu instid0(VALU_DEP_1) | instskip(SKIP_2) | instid1(VALU_DEP_2)
	v_pk_fma_f32 v[88:89], v[88:89], v[4:5] /*v[260:261]*/, v[90:91] neg_lo:[0,0,1] neg_hi:[0,0,1]
	s_set_vgpr_msb 0                        ;  msbs: dst=0 src0=0 src1=0 src2=0
	v_add_nc_u32_e32 v90, 0x1800, v85
	v_pk_fma_f32 v[72:73], v[80:81], v[88:89], v[72:73] op_sel_hi:[0,1,1]
	v_add_nc_u32_e32 v88, 0x1804, v85
	s_set_vgpr_msb 64                       ;  msbs: dst=1 src0=0 src1=0 src2=0
	ds_load_2addr_b32 v[4:5] /*v[260:261]*/, v88 offset1:1
	s_set_vgpr_msb 0                        ;  msbs: dst=0 src0=0 src1=0 src2=0
	v_add_nc_u32_e32 v88, 0x1814, v85
	s_set_vgpr_msb 64                       ;  msbs: dst=1 src0=0 src1=0 src2=0
	ds_load_2addr_b32 v[6:7] /*v[262:263]*/, v88 offset1:1
	s_set_vgpr_msb 0                        ;  msbs: dst=0 src0=0 src1=0 src2=0
	ds_load_2addr_b32 v[88:89], v90 offset1:3
	s_set_vgpr_msb 64                       ;  msbs: dst=1 src0=0 src1=0 src2=0
	ds_load_2addr_b32 v[8:9] /*v[264:265]*/, v90 offset0:4 offset1:7
	s_set_vgpr_msb 0                        ;  msbs: dst=0 src0=0 src1=0 src2=0
	ds_load_2addr_b32 v[90:91], v83 offset0:192 offset1:224
	s_wait_dscnt 0x4
	s_set_vgpr_msb 0x41                     ;  msbs: dst=1 src0=1 src1=0 src2=0
	v_bfe_i32 v11 /*v267*/, v4 /*v260*/, 0, 8
	v_bfe_i32 v12 /*v268*/, v4 /*v260*/, 8, 8
	;; [unrolled: 1-line block ×3, first 2 shown]
	s_set_vgpr_msb 0x44                     ;  msbs: dst=1 src0=0 src1=1 src2=0
	v_ashrrev_i32_e32 v14 /*v270*/, 24, v4 /*v260*/
	s_set_vgpr_msb 0x41                     ;  msbs: dst=1 src0=1 src1=0 src2=0
	v_bfe_i32 v18 /*v274*/, v5 /*v261*/, 0, 8
	v_bfe_i32 v19 /*v275*/, v5 /*v261*/, 8, 8
	s_wait_dscnt 0x1
	v_bfe_i32 v3 /*v259*/, v8 /*v264*/, 8, 8
	v_bfe_i32 v0 /*v256*/, v8 /*v264*/, 0, 8
	;; [unrolled: 1-line block ×3, first 2 shown]
	s_set_vgpr_msb 0x44                     ;  msbs: dst=1 src0=0 src1=1 src2=0
	v_dual_ashrrev_i32 v8 /*v264*/, 24, v8 /*v264*/ :: v_dual_ashrrev_i32 v21 /*v277*/, 24, v5 /*v261*/
	s_set_vgpr_msb 0x51                     ;  msbs: dst=1 src0=1 src1=0 src2=1
	v_mul_i32_i24_e32 v4 /*v260*/, v3 /*v259*/, v224
	v_bfe_i32 v20 /*v276*/, v5 /*v261*/, 16, 8
	v_mul_i32_i24_e32 v5 /*v261*/, v10 /*v266*/, v221
	v_mul_i32_i24_e32 v31 /*v287*/, v8 /*v264*/, v225
	v_bfe_i32 v22 /*v278*/, v7 /*v263*/, 0, 8
	v_mad_i32_i24 v4 /*v260*/, v0 /*v256*/, v218, v4 /*v260*/
	v_bfe_i32 v23 /*v279*/, v7 /*v263*/, 8, 8
	v_bfe_i32 v24 /*v280*/, v7 /*v263*/, 16, 8
	s_set_vgpr_msb 0x44                     ;  msbs: dst=1 src0=0 src1=1 src2=0
	v_ashrrev_i32_e32 v7 /*v263*/, 24, v7 /*v263*/
	s_set_vgpr_msb 0x41                     ;  msbs: dst=1 src0=1 src1=0 src2=0
	v_mul_i32_i24_e32 v33 /*v289*/, v12 /*v268*/, v227
	v_mul_i32_i24_e32 v35 /*v291*/, v14 /*v270*/, v229
	s_set_vgpr_msb 0x55                     ;  msbs: dst=1 src0=1 src1=1 src2=1
	v_add3_u32 v4 /*v260*/, v4 /*v260*/, v5 /*v261*/, v31 /*v287*/
	v_bfe_i32 v15 /*v271*/, v6 /*v262*/, 0, 8
	v_bfe_i32 v16 /*v272*/, v6 /*v262*/, 8, 8
	;; [unrolled: 1-line block ×3, first 2 shown]
	v_ashrrev_i32_e32 v6 /*v262*/, 24, v6 /*v262*/
	s_set_vgpr_msb 0x41                     ;  msbs: dst=1 src0=1 src1=0 src2=0
	v_mul_i32_i24_e32 v32 /*v288*/, v11 /*v267*/, v226
	v_mul_i32_i24_e32 v34 /*v290*/, v13 /*v269*/, v228
	s_set_vgpr_msb 0x55                     ;  msbs: dst=1 src0=1 src1=1 src2=1
	v_add3_u32 v4 /*v260*/, v4 /*v260*/, v35 /*v291*/, v33 /*v289*/
	s_set_vgpr_msb 0x41                     ;  msbs: dst=1 src0=1 src1=0 src2=0
	v_mul_i32_i24_e32 v37 /*v293*/, v15 /*v271*/, v230
	v_mul_i32_i24_e32 v40 /*v296*/, v6 /*v262*/, v232
	v_mul_i32_i24_e32 v38 /*v294*/, v16 /*v272*/, v231
	v_mul_i32_i24_e32 v39 /*v295*/, v17 /*v273*/, v223
	s_set_vgpr_msb 0x55                     ;  msbs: dst=1 src0=1 src1=1 src2=1
	v_add3_u32 v4 /*v260*/, v4 /*v260*/, v32 /*v288*/, v34 /*v290*/
	s_set_vgpr_msb 0x41                     ;  msbs: dst=1 src0=1 src1=0 src2=0
	v_mul_i32_i24_e32 v42 /*v298*/, v19 /*v275*/, v234
	v_mul_i32_i24_e32 v44 /*v300*/, v21 /*v277*/, v235
	;; [unrolled: 7-line block ×3, first 2 shown]
	s_set_vgpr_msb 64                       ;  msbs: dst=1 src0=0 src1=0 src2=0
	v_bfe_i32 v25 /*v281*/, v89, 0, 8
	v_bfe_i32 v26 /*v282*/, v89, 8, 8
	s_set_vgpr_msb 0x55                     ;  msbs: dst=1 src0=1 src1=1 src2=1
	v_add3_u32 v4 /*v260*/, v4 /*v260*/, v38 /*v294*/, v39 /*v295*/
	s_set_vgpr_msb 64                       ;  msbs: dst=1 src0=0 src1=0 src2=0
	v_bfe_i32 v27 /*v283*/, v89, 16, 8
	s_set_vgpr_msb 0                        ;  msbs: dst=0 src0=0 src1=0 src2=0
	v_ashrrev_i32_e32 v89, 24, v89
	s_set_vgpr_msb 0x41                     ;  msbs: dst=1 src0=1 src1=0 src2=0
	v_mul_i32_i24_e32 v46 /*v302*/, v23 /*v279*/, v238
	v_mul_i32_i24_e32 v47 /*v303*/, v24 /*v280*/, v240
	s_set_vgpr_msb 0x55                     ;  msbs: dst=1 src0=1 src1=1 src2=1
	v_add3_u32 v4 /*v260*/, v4 /*v260*/, v44 /*v300*/, v42 /*v298*/
	s_set_vgpr_msb 0x41                     ;  msbs: dst=1 src0=1 src1=0 src2=0
	v_mul_i32_i24_e32 v50 /*v306*/, v26 /*v282*/, v242
	s_set_vgpr_msb 64                       ;  msbs: dst=1 src0=0 src1=0 src2=0
	v_mul_i32_i24_e32 v52 /*v308*/, v89, v243
	s_set_vgpr_msb 0x55                     ;  msbs: dst=1 src0=1 src1=1 src2=1
	v_bfe_i32 v28 /*v284*/, v9 /*v265*/, 0, 8
	v_bfe_i32 v29 /*v285*/, v9 /*v265*/, 8, 8
	v_add3_u32 v4 /*v260*/, v4 /*v260*/, v41 /*v297*/, v43 /*v299*/
	v_bfe_i32 v30 /*v286*/, v9 /*v265*/, 16, 8
	v_ashrrev_i32_e32 v9 /*v265*/, 24, v9 /*v265*/
	s_set_vgpr_msb 0x41                     ;  msbs: dst=1 src0=1 src1=0 src2=0
	v_mul_i32_i24_e32 v49 /*v305*/, v25 /*v281*/, v241
	v_mul_i32_i24_e32 v51 /*v307*/, v27 /*v283*/, v244
	s_set_vgpr_msb 0x55                     ;  msbs: dst=1 src0=1 src1=1 src2=1
	v_add3_u32 v4 /*v260*/, v4 /*v260*/, v48 /*v304*/, v45 /*v301*/
	s_set_vgpr_msb 0x41                     ;  msbs: dst=1 src0=1 src1=0 src2=0
	v_mul_i32_i24_e32 v53 /*v309*/, v28 /*v284*/, v245
	s_set_vgpr_msb 0x45                     ;  msbs: dst=1 src0=1 src1=1 src2=0
	v_mul_i32_i24_e32 v56 /*v312*/, v9 /*v265*/, v1 /*v257*/
	s_set_vgpr_msb 0x41                     ;  msbs: dst=1 src0=1 src1=0 src2=0
	v_mul_i32_i24_e32 v54 /*v310*/, v29 /*v285*/, v246
	s_set_vgpr_msb 0x55                     ;  msbs: dst=1 src0=1 src1=1 src2=1
	v_mul_i32_i24_e32 v55 /*v311*/, v30 /*v286*/, v2 /*v258*/
	v_add3_u32 v4 /*v260*/, v4 /*v260*/, v46 /*v302*/, v47 /*v303*/
	s_set_vgpr_msb 0x41                     ;  msbs: dst=1 src0=1 src1=0 src2=0
	v_mul_i32_i24_e32 v5 /*v261*/, v10 /*v266*/, v192
	v_mul_i32_i24_e32 v31 /*v287*/, v8 /*v264*/, v196
	v_mul_i32_i24_e32 v33 /*v289*/, v12 /*v268*/, v198
	v_mul_i32_i24_e32 v37 /*v293*/, v14 /*v270*/, v200
	s_set_vgpr_msb 0x55                     ;  msbs: dst=1 src0=1 src1=1 src2=1
	v_add3_u32 v4 /*v260*/, v4 /*v260*/, v52 /*v308*/, v50 /*v306*/
	s_set_vgpr_msb 0x41                     ;  msbs: dst=1 src0=1 src1=0 src2=0
	v_mul_i32_i24_e32 v32 /*v288*/, v11 /*v267*/, v197
	v_mul_i32_i24_e32 v34 /*v290*/, v13 /*v269*/, v199
	v_mul_i32_i24_e32 v39 /*v295*/, v15 /*v271*/, v201
	v_mul_i32_i24_e32 v42 /*v298*/, v6 /*v262*/, v203
	s_set_vgpr_msb 0x55                     ;  msbs: dst=1 src0=1 src1=1 src2=1
	;; [unrolled: 7-line block ×4, first 2 shown]
	v_add3_u32 v38 /*v294*/, v4 /*v260*/, v54 /*v310*/, v55 /*v311*/
	s_set_vgpr_msb 0x41                     ;  msbs: dst=1 src0=1 src1=0 src2=0
	v_mul_i32_i24_e32 v4 /*v260*/, v3 /*v259*/, v195
	v_mul_i32_i24_e32 v48 /*v304*/, v23 /*v279*/, v209
	;; [unrolled: 1-line block ×4, first 2 shown]
	s_set_vgpr_msb 64                       ;  msbs: dst=1 src0=0 src1=0 src2=0
	v_mul_i32_i24_e32 v54 /*v310*/, v89, v214
	s_set_vgpr_msb 0x51                     ;  msbs: dst=1 src0=1 src1=0 src2=1
	v_mad_i32_i24 v4 /*v260*/, v0 /*v256*/, v191, v4 /*v260*/
	v_mul_i32_i24_e32 v51 /*v307*/, v25 /*v281*/, v213
	v_mul_i32_i24_e32 v53 /*v309*/, v27 /*v283*/, v215
	;; [unrolled: 1-line block ×4, first 2 shown]
	s_set_vgpr_msb 0x55                     ;  msbs: dst=1 src0=1 src1=1 src2=1
	v_add3_u32 v4 /*v260*/, v4 /*v260*/, v5 /*v261*/, v31 /*v287*/
	s_set_vgpr_msb 0x41                     ;  msbs: dst=1 src0=1 src1=0 src2=0
	v_mul_i32_i24_e32 v5 /*v261*/, v3 /*v259*/, v220
	s_set_vgpr_msb 0x44                     ;  msbs: dst=1 src0=0 src1=1 src2=0
	v_mul_i32_i24_e32 v3 /*v259*/, v109, v3 /*v259*/
	s_set_vgpr_msb 0x41                     ;  msbs: dst=1 src0=1 src1=0 src2=0
	v_mul_i32_i24_e32 v31 /*v287*/, v10 /*v266*/, v219
	s_set_vgpr_msb 0x44                     ;  msbs: dst=1 src0=0 src1=1 src2=0
	v_mul_i32_i24_e32 v10 /*v266*/, v108, v10 /*v266*/
	s_set_vgpr_msb 0x55                     ;  msbs: dst=1 src0=1 src1=1 src2=1
	v_add3_u32 v4 /*v260*/, v4 /*v260*/, v37 /*v293*/, v33 /*v289*/
	s_set_vgpr_msb 0x51                     ;  msbs: dst=1 src0=1 src1=0 src2=1
	v_mad_i32_i24 v5 /*v261*/, v0 /*v256*/, v130, v5 /*v261*/
	s_set_vgpr_msb 0x54                     ;  msbs: dst=1 src0=0 src1=1 src2=1
	v_mad_i32_i24 v0 /*v256*/, v106, v0 /*v256*/, v3 /*v259*/
	s_set_vgpr_msb 0x41                     ;  msbs: dst=1 src0=1 src1=0 src2=0
	v_mul_i32_i24_e32 v33 /*v289*/, v11 /*v267*/, v133
	v_mul_i32_i24_e32 v11 /*v267*/, v11 /*v267*/, v112
	s_set_vgpr_msb 0x55                     ;  msbs: dst=1 src0=1 src1=1 src2=1
	v_add3_u32 v4 /*v260*/, v4 /*v260*/, v32 /*v288*/, v34 /*v290*/
	s_set_vgpr_msb 0x41                     ;  msbs: dst=1 src0=1 src1=0 src2=0
	v_mul_i32_i24_e32 v32 /*v288*/, v8 /*v264*/, v132
	s_set_vgpr_msb 0x44                     ;  msbs: dst=1 src0=0 src1=1 src2=0
	v_mul_i32_i24_e32 v8 /*v264*/, v99, v8 /*v264*/
	s_set_vgpr_msb 0x41                     ;  msbs: dst=1 src0=1 src1=0 src2=0
	v_mul_i32_i24_e32 v34 /*v290*/, v12 /*v268*/, v134
	v_mul_i32_i24_e32 v12 /*v268*/, v12 /*v268*/, v111
	s_set_vgpr_msb 0x55                     ;  msbs: dst=1 src0=1 src1=1 src2=1
	v_add3_u32 v4 /*v260*/, v4 /*v260*/, v42 /*v298*/, v39 /*v295*/
	s_set_vgpr_msb 0x41                     ;  msbs: dst=1 src0=1 src1=0 src2=0
	v_mul_i32_i24_e32 v39 /*v295*/, v13 /*v269*/, v135
	s_set_vgpr_msb 0x55                     ;  msbs: dst=1 src0=1 src1=1 src2=1
	v_add3_u32 v0 /*v256*/, v0 /*v256*/, v10 /*v266*/, v8 /*v264*/
	s_set_vgpr_msb 0x41                     ;  msbs: dst=1 src0=1 src1=0 src2=0
	v_mul_i32_i24_e32 v13 /*v269*/, v13 /*v269*/, v110
	v_mul_i32_i24_e32 v42 /*v298*/, v16 /*v272*/, v138
	s_set_vgpr_msb 0x55                     ;  msbs: dst=1 src0=1 src1=1 src2=1
	v_add3_u32 v4 /*v260*/, v4 /*v260*/, v40 /*v296*/, v41 /*v297*/
	s_set_vgpr_msb 0x41                     ;  msbs: dst=1 src0=1 src1=0 src2=0
	v_mul_i32_i24_e32 v40 /*v296*/, v14 /*v270*/, v136
	v_mul_i32_i24_e32 v14 /*v270*/, v14 /*v270*/, v100
	;; [unrolled: 1-line block ×4, first 2 shown]
	s_set_vgpr_msb 0x55                     ;  msbs: dst=1 src0=1 src1=1 src2=1
	v_add3_u32 v4 /*v260*/, v4 /*v260*/, v46 /*v302*/, v44 /*v300*/
	s_set_vgpr_msb 0x41                     ;  msbs: dst=1 src0=1 src1=0 src2=0
	v_mul_i32_i24_e32 v44 /*v300*/, v6 /*v262*/, v139
	s_set_vgpr_msb 0x55                     ;  msbs: dst=1 src0=1 src1=1 src2=1
	v_add3_u32 v0 /*v256*/, v0 /*v256*/, v14 /*v270*/, v12 /*v268*/
	s_set_vgpr_msb 0x41                     ;  msbs: dst=1 src0=1 src1=0 src2=0
	v_mul_i32_i24_e32 v6 /*v262*/, v6 /*v262*/, v101
	v_mul_i32_i24_e32 v16 /*v272*/, v16 /*v272*/, v114
	s_set_vgpr_msb 0x55                     ;  msbs: dst=1 src0=1 src1=1 src2=1
	v_add3_u32 v4 /*v260*/, v4 /*v260*/, v43 /*v299*/, v45 /*v301*/
	s_set_vgpr_msb 0x41                     ;  msbs: dst=1 src0=1 src1=0 src2=0
	v_mul_i32_i24_e32 v43 /*v299*/, v17 /*v273*/, v131
	s_set_vgpr_msb 0x55                     ;  msbs: dst=1 src0=1 src1=1 src2=1
	v_add3_u32 v0 /*v256*/, v0 /*v256*/, v11 /*v267*/, v13 /*v269*/
	s_set_vgpr_msb 0x41                     ;  msbs: dst=1 src0=1 src1=0 src2=0
	v_mul_i32_i24_e32 v17 /*v273*/, v17 /*v273*/, v113
	v_mul_i32_i24_e32 v46 /*v302*/, v19 /*v275*/, v140
	;; [unrolled: 9-line block ×3, first 2 shown]
	s_set_vgpr_msb 0x55                     ;  msbs: dst=1 src0=1 src1=1 src2=1
	v_add3_u32 v4 /*v260*/, v4 /*v260*/, v48 /*v304*/, v49 /*v305*/
	s_set_vgpr_msb 0x41                     ;  msbs: dst=1 src0=1 src1=0 src2=0
	v_mul_i32_i24_e32 v48 /*v304*/, v21 /*v277*/, v142
	v_mul_i32_i24_e32 v21 /*v277*/, v21 /*v277*/, v103
	s_set_vgpr_msb 0x55                     ;  msbs: dst=1 src0=1 src1=1 src2=1
	v_add3_u32 v0 /*v256*/, v0 /*v256*/, v16 /*v272*/, v17 /*v273*/
	s_set_vgpr_msb 0x41                     ;  msbs: dst=1 src0=1 src1=0 src2=0
	v_mul_i32_i24_e32 v18 /*v274*/, v18 /*v274*/, v119
	s_set_vgpr_msb 0x55                     ;  msbs: dst=1 src0=1 src1=1 src2=1
	v_add3_u32 v4 /*v260*/, v4 /*v260*/, v54 /*v310*/, v52 /*v308*/
	s_set_vgpr_msb 0x41                     ;  msbs: dst=1 src0=1 src1=0 src2=0
	v_mul_i32_i24_e32 v20 /*v276*/, v20 /*v276*/, v116
	v_mul_i32_i24_e32 v49 /*v305*/, v22 /*v278*/, v144
	s_set_vgpr_msb 0x55                     ;  msbs: dst=1 src0=1 src1=1 src2=1
	v_add3_u32 v0 /*v256*/, v0 /*v256*/, v21 /*v277*/, v19 /*v275*/
	s_set_vgpr_msb 0x41                     ;  msbs: dst=1 src0=1 src1=0 src2=0
	v_mul_i32_i24_e32 v52 /*v308*/, v7 /*v263*/, v146
	;; [unrolled: 9-line block ×3, first 2 shown]
	v_mul_i32_i24_e32 v57 /*v313*/, v30 /*v286*/, v253
	s_set_vgpr_msb 0x55                     ;  msbs: dst=1 src0=1 src1=1 src2=1
	v_add3_u32 v4 /*v260*/, v4 /*v260*/, v58 /*v314*/, v55 /*v311*/
	s_set_vgpr_msb 0x41                     ;  msbs: dst=1 src0=1 src1=0 src2=0
	v_mul_i32_i24_e32 v50 /*v306*/, v23 /*v279*/, v145
	v_mul_i32_i24_e32 v51 /*v307*/, v24 /*v280*/, v147
	;; [unrolled: 1-line block ×4, first 2 shown]
	s_set_vgpr_msb 0x55                     ;  msbs: dst=1 src0=1 src1=1 src2=1
	v_add3_u32 v0 /*v256*/, v0 /*v256*/, v7 /*v263*/, v22 /*v278*/
	v_add3_u32 v37 /*v293*/, v4 /*v260*/, v56 /*v312*/, v57 /*v313*/
	s_set_vgpr_msb 0x41                     ;  msbs: dst=1 src0=1 src1=0 src2=0
	v_mul_i32_i24_e32 v54 /*v310*/, v26 /*v282*/, v148
	s_set_vgpr_msb 64                       ;  msbs: dst=1 src0=0 src1=0 src2=0
	v_mul_i32_i24_e32 v56 /*v312*/, v89, v150
	s_set_vgpr_msb 0x41                     ;  msbs: dst=1 src0=1 src1=0 src2=0
	v_mul_i32_i24_e32 v26 /*v282*/, v26 /*v282*/, v126
	s_set_vgpr_msb 0                        ;  msbs: dst=0 src0=0 src1=0 src2=0
	v_mul_i32_i24_e32 v89, v89, v102
	s_set_vgpr_msb 0x55                     ;  msbs: dst=1 src0=1 src1=1 src2=1
	v_add3_u32 v0 /*v256*/, v0 /*v256*/, v23 /*v279*/, v24 /*v280*/
	s_set_vgpr_msb 0x41                     ;  msbs: dst=1 src0=1 src1=0 src2=0
	v_mul_i32_i24_e32 v53 /*v309*/, v25 /*v281*/, v149
	v_mul_i32_i24_e32 v55 /*v311*/, v27 /*v283*/, v151
	;; [unrolled: 1-line block ×4, first 2 shown]
	s_set_vgpr_msb 17                       ;  msbs: dst=0 src0=1 src1=0 src2=1
	v_add3_u32 v89, v0 /*v256*/, v89, v26 /*v282*/
	s_set_vgpr_msb 0x41                     ;  msbs: dst=1 src0=1 src1=0 src2=0
	v_mul_i32_i24_e32 v57 /*v313*/, v28 /*v284*/, v153
	v_mul_i32_i24_e32 v60 /*v316*/, v9 /*v265*/, v154
	;; [unrolled: 1-line block ×4, first 2 shown]
	s_set_vgpr_msb 20                       ;  msbs: dst=0 src0=0 src1=1 src2=1
	v_add3_u32 v89, v89, v25 /*v281*/, v27 /*v283*/
	s_set_vgpr_msb 0x41                     ;  msbs: dst=1 src0=1 src1=0 src2=0
	v_mul_i32_i24_e32 v58 /*v314*/, v29 /*v285*/, v152
	v_mul_i32_i24_e32 v59 /*v315*/, v30 /*v286*/, v155
	;; [unrolled: 1-line block ×4, first 2 shown]
	s_set_vgpr_msb 20                       ;  msbs: dst=0 src0=0 src1=1 src2=1
	v_add3_u32 v89, v89, v9 /*v265*/, v28 /*v284*/
	s_set_vgpr_msb 0x55                     ;  msbs: dst=1 src0=1 src1=1 src2=1
	v_add3_u32 v5 /*v261*/, v5 /*v261*/, v31 /*v287*/, v32 /*v288*/
	s_set_vgpr_msb 0                        ;  msbs: dst=0 src0=0 src1=0 src2=0
	v_bfe_i32 v255, v88, 0, 8
	v_bfe_i32 v247, v88, 8, 8
	s_set_vgpr_msb 0x54                     ;  msbs: dst=1 src0=0 src1=1 src2=1
	v_add3_u32 v0 /*v256*/, v89, v29 /*v285*/, v30 /*v286*/
	s_set_vgpr_msb 0                        ;  msbs: dst=0 src0=0 src1=0 src2=0
	v_add_nc_u32_e32 v89, 0x1c04, v85
	s_set_vgpr_msb 0x55                     ;  msbs: dst=1 src0=1 src1=1 src2=1
	v_add3_u32 v5 /*v261*/, v5 /*v261*/, v40 /*v296*/, v34 /*v290*/
	s_set_vgpr_msb 64                       ;  msbs: dst=1 src0=0 src1=0 src2=0
	v_mul_i32_i24_e32 v36 /*v292*/, v255, v222
	v_mul_i32_i24_e32 v35 /*v291*/, v255, v193
	;; [unrolled: 1-line block ×3, first 2 shown]
	ds_load_2addr_b32 v[20:21] /*v[276:277]*/, v89 offset1:1
	s_set_vgpr_msb 0                        ;  msbs: dst=0 src0=0 src1=0 src2=0
	v_add_nc_u32_e32 v89, 0x1c14, v85
	s_set_vgpr_msb 0x55                     ;  msbs: dst=1 src0=1 src1=1 src2=1
	v_add3_u32 v5 /*v261*/, v5 /*v261*/, v33 /*v289*/, v39 /*v295*/
	s_set_vgpr_msb 0                        ;  msbs: dst=0 src0=0 src1=0 src2=0
	v_mul_i32_i24_e32 v255, v121, v255
	s_set_vgpr_msb 64                       ;  msbs: dst=1 src0=0 src1=0 src2=0
	ds_load_2addr_b32 v[24:25] /*v[280:281]*/, v89 offset1:1
	s_set_vgpr_msb 0                        ;  msbs: dst=0 src0=0 src1=0 src2=0
	v_add_nc_u32_e32 v89, 0x1c00, v85
	s_set_vgpr_msb 0x55                     ;  msbs: dst=1 src0=1 src1=1 src2=1
	v_add3_u32 v5 /*v261*/, v5 /*v261*/, v44 /*v300*/, v41 /*v297*/
	s_set_vgpr_msb 64                       ;  msbs: dst=1 src0=0 src1=0 src2=0
	ds_load_2addr_b32 v[40:41] /*v[296:297]*/, v89 offset1:3
	ds_load_2addr_b32 v[32:33] /*v[288:289]*/, v89 offset0:4 offset1:7
	s_set_vgpr_msb 0x55                     ;  msbs: dst=1 src0=1 src1=1 src2=1
	v_add3_u32 v5 /*v261*/, v5 /*v261*/, v42 /*v298*/, v43 /*v299*/
	s_delay_alu instid0(VALU_DEP_1)
	v_add3_u32 v5 /*v261*/, v5 /*v261*/, v48 /*v304*/, v46 /*v302*/
	s_wait_dscnt 0x3
	v_bfe_i32 v10 /*v266*/, v20 /*v276*/, 0, 8
	v_bfe_i32 v11 /*v267*/, v20 /*v276*/, 8, 8
	;; [unrolled: 1-line block ×3, first 2 shown]
	v_ashrrev_i32_e32 v13 /*v269*/, 24, v20 /*v276*/
	v_bfe_i32 v18 /*v274*/, v21 /*v277*/, 0, 8
	v_bfe_i32 v19 /*v275*/, v21 /*v277*/, 8, 8
	;; [unrolled: 1-line block ×3, first 2 shown]
	v_ashrrev_i32_e32 v21 /*v277*/, 24, v21 /*v277*/
	s_wait_dscnt 0x2
	v_bfe_i32 v14 /*v270*/, v24 /*v280*/, 0, 8
	v_ashrrev_i32_e32 v17 /*v273*/, 24, v24 /*v280*/
	v_bfe_i32 v15 /*v271*/, v24 /*v280*/, 8, 8
	s_wait_dscnt 0x1
	v_bfe_i32 v34 /*v290*/, v40 /*v296*/, 0, 8
	s_wait_dscnt 0x0
	v_bfe_i32 v7 /*v263*/, v32 /*v288*/, 8, 8
	v_bfe_i32 v6 /*v262*/, v32 /*v288*/, 0, 8
	;; [unrolled: 1-line block ×3, first 2 shown]
	v_ashrrev_i32_e32 v9 /*v265*/, 24, v32 /*v288*/
	s_set_vgpr_msb 0x41                     ;  msbs: dst=1 src0=1 src1=0 src2=0
	v_mul_i32_i24_e32 v39 /*v295*/, v34 /*v290*/, v222
	s_set_vgpr_msb 1                        ;  msbs: dst=0 src0=1 src1=0 src2=0
	v_mul_i32_i24_e32 v89, v7 /*v263*/, v224
	v_mul_i32_i24_e32 v224, v10 /*v266*/, v226
	v_mul_i32_i24_e32 v221, v8 /*v264*/, v221
	v_mul_i32_i24_e32 v222, v9 /*v265*/, v225
	v_mul_i32_i24_e32 v225, v11 /*v267*/, v227
	v_mad_i32_i24 v89, v6 /*v262*/, v218, v89
	v_mul_i32_i24_e32 v227, v13 /*v269*/, v229
	v_mul_i32_i24_e32 v226, v12 /*v268*/, v228
	s_set_vgpr_msb 0x41                     ;  msbs: dst=1 src0=1 src1=0 src2=0
	v_bfe_i32 v16 /*v272*/, v24 /*v280*/, 16, 8
	v_bfe_i32 v22 /*v278*/, v25 /*v281*/, 0, 8
	s_set_vgpr_msb 0                        ;  msbs: dst=0 src0=0 src1=0 src2=0
	v_add3_u32 v89, v89, v221, v222
	s_set_vgpr_msb 0x41                     ;  msbs: dst=1 src0=1 src1=0 src2=0
	v_bfe_i32 v23 /*v279*/, v25 /*v281*/, 8, 8
	v_bfe_i32 v24 /*v280*/, v25 /*v281*/, 16, 8
	s_set_vgpr_msb 0x44                     ;  msbs: dst=1 src0=0 src1=1 src2=0
	v_ashrrev_i32_e32 v25 /*v281*/, 24, v25 /*v281*/
	s_set_vgpr_msb 1                        ;  msbs: dst=0 src0=1 src1=0 src2=0
	v_mul_i32_i24_e32 v228, v14 /*v270*/, v230
	s_set_vgpr_msb 0                        ;  msbs: dst=0 src0=0 src1=0 src2=0
	v_add3_u32 v89, v89, v227, v225
	s_set_vgpr_msb 1                        ;  msbs: dst=0 src0=1 src1=0 src2=0
	v_mul_i32_i24_e32 v230, v17 /*v273*/, v232
	v_mul_i32_i24_e32 v229, v15 /*v271*/, v231
	;; [unrolled: 1-line block ×4, first 2 shown]
	s_set_vgpr_msb 0                        ;  msbs: dst=0 src0=0 src1=0 src2=0
	v_add3_u32 v89, v89, v224, v226
	s_set_vgpr_msb 1                        ;  msbs: dst=0 src0=1 src1=0 src2=0
	v_mul_i32_i24_e32 v234, v21 /*v277*/, v235
	v_mul_i32_i24_e32 v231, v18 /*v274*/, v233
	;; [unrolled: 1-line block ×4, first 2 shown]
	s_set_vgpr_msb 0                        ;  msbs: dst=0 src0=0 src1=0 src2=0
	v_add3_u32 v89, v89, v230, v228
	s_set_vgpr_msb 1                        ;  msbs: dst=0 src0=1 src1=0 src2=0
	v_mul_i32_i24_e32 v236, v23 /*v279*/, v238
	v_mul_i32_i24_e32 v238, v25 /*v281*/, v239
	s_set_vgpr_msb 0x41                     ;  msbs: dst=1 src0=1 src1=0 src2=0
	v_bfe_i32 v27 /*v283*/, v41 /*v297*/, 8, 8
	s_set_vgpr_msb 0x44                     ;  msbs: dst=1 src0=0 src1=1 src2=0
	v_ashrrev_i32_e32 v29 /*v285*/, 24, v41 /*v297*/
	s_set_vgpr_msb 0                        ;  msbs: dst=0 src0=0 src1=0 src2=0
	v_add3_u32 v89, v89, v229, v223
	s_set_vgpr_msb 1                        ;  msbs: dst=0 src0=1 src1=0 src2=0
	v_mul_i32_i24_e32 v237, v24 /*v280*/, v240
	s_set_vgpr_msb 0x41                     ;  msbs: dst=1 src0=1 src1=0 src2=0
	v_bfe_i32 v26 /*v282*/, v41 /*v297*/, 0, 8
	v_bfe_i32 v28 /*v284*/, v41 /*v297*/, 16, 8
	s_set_vgpr_msb 1                        ;  msbs: dst=0 src0=1 src1=0 src2=0
	v_mul_i32_i24_e32 v240, v27 /*v283*/, v242
	s_set_vgpr_msb 0                        ;  msbs: dst=0 src0=0 src1=0 src2=0
	v_add3_u32 v89, v89, v234, v232
	s_set_vgpr_msb 1                        ;  msbs: dst=0 src0=1 src1=0 src2=0
	v_mul_i32_i24_e32 v242, v29 /*v285*/, v243
	s_set_vgpr_msb 0x41                     ;  msbs: dst=1 src0=1 src1=0 src2=0
	v_bfe_i32 v30 /*v286*/, v33 /*v289*/, 0, 8
	v_bfe_i32 v31 /*v287*/, v33 /*v289*/, 8, 8
	;; [unrolled: 1-line block ×3, first 2 shown]
	s_set_vgpr_msb 0                        ;  msbs: dst=0 src0=0 src1=0 src2=0
	v_add3_u32 v89, v89, v231, v233
	s_set_vgpr_msb 0x44                     ;  msbs: dst=1 src0=0 src1=1 src2=0
	v_ashrrev_i32_e32 v33 /*v289*/, 24, v33 /*v289*/
	s_set_vgpr_msb 1                        ;  msbs: dst=0 src0=1 src1=0 src2=0
	v_mul_i32_i24_e32 v239, v26 /*v282*/, v241
	v_mul_i32_i24_e32 v241, v28 /*v284*/, v244
	;; [unrolled: 1-line block ×3, first 2 shown]
	s_set_vgpr_msb 0                        ;  msbs: dst=0 src0=0 src1=0 src2=0
	v_add3_u32 v89, v89, v238, v235
	s_set_vgpr_msb 1                        ;  msbs: dst=0 src0=1 src1=0 src2=0
	v_mul_i32_i24_e32 v244, v31 /*v287*/, v246
	s_set_vgpr_msb 5                        ;  msbs: dst=0 src0=1 src1=1 src2=0
	v_mul_i32_i24_e32 v246, v33 /*v289*/, v1 /*v257*/
	s_set_vgpr_msb 0x41                     ;  msbs: dst=1 src0=1 src1=0 src2=0
	v_bfe_i32 v3 /*v259*/, v40 /*v296*/, 8, 8
	s_set_vgpr_msb 5                        ;  msbs: dst=0 src0=1 src1=1 src2=0
	v_mul_i32_i24_e32 v245, v32 /*v288*/, v2 /*v258*/
	s_set_vgpr_msb 0                        ;  msbs: dst=0 src0=0 src1=0 src2=0
	v_add3_u32 v89, v89, v236, v237
	s_set_vgpr_msb 1                        ;  msbs: dst=0 src0=1 src1=0 src2=0
	v_bfe_i32 v222, v40 /*v296*/, 16, 8
	s_set_vgpr_msb 4                        ;  msbs: dst=0 src0=0 src1=1 src2=0
	v_bfe_i32 v223, v88, 16, 8
	v_ashrrev_i32_e32 v218, 24, v40 /*v296*/
	s_set_vgpr_msb 0                        ;  msbs: dst=0 src0=0 src1=0 src2=0
	v_ashrrev_i32_e32 v221, 24, v88
	v_add3_u32 v89, v89, v242, v240
	v_mul_i32_i24_e32 v225, v247, v189
	s_set_vgpr_msb 1                        ;  msbs: dst=0 src0=1 src1=0 src2=0
	v_mul_i32_i24_e32 v189, v3 /*v259*/, v189
	s_set_vgpr_msb 0                        ;  msbs: dst=0 src0=0 src1=0 src2=0
	v_cvt_f32_f16_e32 v88, v90
	v_lshrrev_b32_e32 v90, 16, v90
	v_add3_u32 v89, v89, v239, v241
	v_mul_i32_i24_e32 v226, v254, v223
	v_mul_i32_i24_e32 v227, v254, v222
	;; [unrolled: 1-line block ×4, first 2 shown]
	v_add3_u32 v89, v89, v246, v243
	v_cvt_f32_f16_e32 v90, v90
	s_set_vgpr_msb 1                        ;  msbs: dst=0 src0=1 src1=0 src2=0
	v_mul_i32_i24_e32 v192, v8 /*v264*/, v192
	v_mul_i32_i24_e32 v194, v16 /*v272*/, v194
	;; [unrolled: 1-line block ×3, first 2 shown]
	s_set_vgpr_msb 0                        ;  msbs: dst=0 src0=0 src1=0 src2=0
	v_add3_u32 v224, v89, v244, v245
	v_cvt_f32_f16_e32 v89, v91
	v_lshrrev_b32_e32 v91, 16, v91
	s_set_vgpr_msb 1                        ;  msbs: dst=0 src0=1 src1=0 src2=0
	v_mul_i32_i24_e32 v142, v21 /*v277*/, v142
	s_set_vgpr_msb 0x55                     ;  msbs: dst=1 src0=1 src1=1 src2=1
	v_add3_u32 v5 /*v261*/, v5 /*v261*/, v45 /*v301*/, v47 /*v303*/
	s_set_vgpr_msb 4                        ;  msbs: dst=0 src0=0 src1=1 src2=0
	v_add3_u32 v189, v224, v39 /*v295*/, v189
	s_set_vgpr_msb 5                        ;  msbs: dst=0 src0=1 src1=1 src2=0
	v_add3_u32 v224, v38 /*v294*/, v36 /*v292*/, v225
	s_set_vgpr_msb 0                        ;  msbs: dst=0 src0=0 src1=0 src2=0
	v_cvt_f32_f16_e32 v91, v91
	s_set_vgpr_msb 1                        ;  msbs: dst=0 src0=1 src1=0 src2=0
	v_mul_i32_i24_e32 v150, v29 /*v285*/, v150
	s_set_vgpr_msb 0x55                     ;  msbs: dst=1 src0=1 src1=1 src2=1
	v_add3_u32 v5 /*v261*/, v5 /*v261*/, v52 /*v308*/, v49 /*v305*/
	s_set_vgpr_msb 0                        ;  msbs: dst=0 src0=0 src1=0 src2=0
	v_add3_u32 v189, v189, v227, v229
	v_add3_u32 v224, v224, v226, v228
	v_pk_mul_f32 v[90:91], v[90:91], s[4:5] op_sel_hi:[1,0]
	s_set_vgpr_msb 1                        ;  msbs: dst=0 src0=1 src1=0 src2=0
	v_mul_i32_i24_e32 v115, v14 /*v270*/, v115
	s_set_vgpr_msb 0x55                     ;  msbs: dst=1 src0=1 src1=1 src2=1
	v_add3_u32 v5 /*v261*/, v5 /*v261*/, v50 /*v306*/, v51 /*v307*/
	s_set_vgpr_msb 0                        ;  msbs: dst=0 src0=0 src1=0 src2=0
	v_cvt_f32_i32_e32 v225, v189
	v_cvt_f32_i32_e32 v224, v224
	s_set_vgpr_msb 1                        ;  msbs: dst=0 src0=1 src1=0 src2=0
	v_mul_i32_i24_e32 v189, v7 /*v263*/, v195
	v_mul_i32_i24_e32 v195, v10 /*v266*/, v197
	;; [unrolled: 1-line block ×4, first 2 shown]
	s_set_vgpr_msb 0                        ;  msbs: dst=0 src0=0 src1=0 src2=0
	v_pk_fma_f32 v[224:225], v[88:89], v[224:225], v[90:91] neg_lo:[0,0,1] neg_hi:[0,0,1]
	s_set_vgpr_msb 1                        ;  msbs: dst=0 src0=1 src1=0 src2=0
	v_mad_i32_i24 v189, v6 /*v262*/, v191, v189
	v_mul_i32_i24_e32 v201, v17 /*v273*/, v203
	v_mul_i32_i24_e32 v203, v19 /*v275*/, v204
	;; [unrolled: 1-line block ×3, first 2 shown]
	s_set_vgpr_msb 0                        ;  msbs: dst=0 src0=0 src1=0 src2=0
	v_pk_fma_f32 v[36:37], v[84:85], v[224:225], v[36:37] op_sel_hi:[0,1,1]
	s_set_vgpr_msb 1                        ;  msbs: dst=0 src0=1 src1=0 src2=0
	v_mul_i32_i24_e32 v84, v34 /*v290*/, v193
	v_mul_i32_i24_e32 v193, v9 /*v265*/, v196
	;; [unrolled: 1-line block ×6, first 2 shown]
	s_set_vgpr_msb 0                        ;  msbs: dst=0 src0=0 src1=0 src2=0
	v_add3_u32 v189, v189, v192, v193
	s_set_vgpr_msb 1                        ;  msbs: dst=0 src0=1 src1=0 src2=0
	v_mul_i32_i24_e32 v205, v21 /*v277*/, v206
	v_mul_i32_i24_e32 v206, v22 /*v278*/, v208
	v_mul_i32_i24_e32 v207, v23 /*v279*/, v209
	v_mul_i32_i24_e32 v209, v25 /*v281*/, v210
	s_set_vgpr_msb 0                        ;  msbs: dst=0 src0=0 src1=0 src2=0
	v_add3_u32 v189, v189, v198, v196
	s_set_vgpr_msb 1                        ;  msbs: dst=0 src0=1 src1=0 src2=0
	v_mul_i32_i24_e32 v208, v24 /*v280*/, v211
	v_mul_i32_i24_e32 v210, v26 /*v282*/, v213
	v_mul_i32_i24_e32 v211, v27 /*v283*/, v212
	v_mul_i32_i24_e32 v213, v29 /*v285*/, v214
	;; [unrolled: 7-line block ×3, first 2 shown]
	s_set_vgpr_msb 0                        ;  msbs: dst=0 src0=0 src1=0 src2=0
	v_add3_u32 v189, v189, v201, v199
	s_set_vgpr_msb 1                        ;  msbs: dst=0 src0=1 src1=0 src2=0
	v_mul_i32_i24_e32 v216, v32 /*v288*/, v253
	s_set_vgpr_msb 0                        ;  msbs: dst=0 src0=0 src1=0 src2=0
	v_mul_i32_i24_e32 v191, v247, v190
	s_set_vgpr_msb 1                        ;  msbs: dst=0 src0=1 src1=0 src2=0
	v_mul_i32_i24_e32 v190, v3 /*v259*/, v190
	s_set_vgpr_msb 0                        ;  msbs: dst=0 src0=0 src1=0 src2=0
	v_mul_i32_i24_e32 v192, v249, v223
	v_add3_u32 v189, v189, v200, v194
	v_mul_i32_i24_e32 v193, v249, v222
	v_mul_i32_i24_e32 v194, v248, v221
	;; [unrolled: 1-line block ×3, first 2 shown]
	s_set_vgpr_msb 0x55                     ;  msbs: dst=1 src0=1 src1=1 src2=1
	v_add3_u32 v5 /*v261*/, v5 /*v261*/, v56 /*v312*/, v54 /*v310*/
	s_set_vgpr_msb 0                        ;  msbs: dst=0 src0=0 src1=0 src2=0
	v_add3_u32 v189, v189, v205, v203
	s_set_vgpr_msb 1                        ;  msbs: dst=0 src0=1 src1=0 src2=0
	v_mul_i32_i24_e32 v114, v15 /*v271*/, v114
	v_mul_i32_i24_e32 v113, v16 /*v272*/, v113
	v_mul_i32_i24_e32 v105, v31 /*v287*/, v105
	s_set_vgpr_msb 0x55                     ;  msbs: dst=1 src0=1 src1=1 src2=1
	v_add3_u32 v5 /*v261*/, v5 /*v261*/, v53 /*v309*/, v55 /*v311*/
	s_set_vgpr_msb 0                        ;  msbs: dst=0 src0=0 src1=0 src2=0
	v_add3_u32 v189, v189, v202, v204
	v_add_nc_u32_e32 v85, 32, v85
	s_set_vgpr_msb 0x55                     ;  msbs: dst=1 src0=1 src1=1 src2=1
	v_add3_u32 v5 /*v261*/, v5 /*v261*/, v60 /*v316*/, v57 /*v313*/
	s_set_vgpr_msb 0                        ;  msbs: dst=0 src0=0 src1=0 src2=0
	v_add3_u32 v189, v189, v209, v206
	s_set_vgpr_msb 0x55                     ;  msbs: dst=1 src0=1 src1=1 src2=1
	s_delay_alu instid0(VALU_DEP_2) | instskip(SKIP_1) | instid1(VALU_DEP_2)
	v_add3_u32 v5 /*v261*/, v5 /*v261*/, v58 /*v314*/, v59 /*v315*/
	s_set_vgpr_msb 0                        ;  msbs: dst=0 src0=0 src1=0 src2=0
	v_add3_u32 v189, v189, v207, v208
	s_delay_alu instid0(VALU_DEP_1) | instskip(NEXT) | instid1(VALU_DEP_1)
	v_add3_u32 v189, v189, v213, v211
	v_add3_u32 v189, v189, v210, v212
	s_delay_alu instid0(VALU_DEP_1) | instskip(NEXT) | instid1(VALU_DEP_1)
	v_add3_u32 v189, v189, v217, v214
	v_add3_u32 v189, v189, v215, v216
	s_delay_alu instid0(VALU_DEP_1) | instskip(SKIP_3) | instid1(VALU_DEP_2)
	v_add3_u32 v84, v189, v84, v190
	s_set_vgpr_msb 5                        ;  msbs: dst=0 src0=1 src1=1 src2=0
	v_add3_u32 v189, v37 /*v293*/, v35 /*v291*/, v191
	s_set_vgpr_msb 0                        ;  msbs: dst=0 src0=0 src1=0 src2=0
	v_add3_u32 v84, v84, v193, v195
	s_delay_alu instid0(VALU_DEP_2)
	v_add3_u32 v189, v189, v192, v194
	s_set_vgpr_msb 1                        ;  msbs: dst=0 src0=1 src1=0 src2=0
	v_mul_i32_i24_e32 v192, v13 /*v269*/, v136
	v_mul_i32_i24_e32 v136, v18 /*v274*/, v141
	;; [unrolled: 1-line block ×3, first 2 shown]
	s_set_vgpr_msb 0                        ;  msbs: dst=0 src0=0 src1=0 src2=0
	v_cvt_f32_i32_e32 v191, v84
	v_cvt_f32_i32_e32 v190, v189
	s_set_vgpr_msb 1                        ;  msbs: dst=0 src0=1 src1=0 src2=0
	v_mul_i32_i24_e32 v189, v8 /*v264*/, v219
	v_mul_i32_i24_e32 v145, v25 /*v281*/, v146
	v_mul_i32_i24_e32 v146, v27 /*v283*/, v148
	v_mul_i32_i24_e32 v148, v30 /*v286*/, v153
	s_set_vgpr_msb 0                        ;  msbs: dst=0 src0=0 src1=0 src2=0
	v_pk_fma_f32 v[190:191], v[88:89], v[190:191], v[90:91] neg_lo:[0,0,1] neg_hi:[0,0,1]
	s_set_vgpr_msb 4                        ;  msbs: dst=0 src0=0 src1=1 src2=0
	v_mul_i32_i24_e32 v84, v250, v34 /*v290*/
	s_set_vgpr_msb 0                        ;  msbs: dst=0 src0=0 src1=0 src2=0
	s_delay_alu instid0(VALU_DEP_2)
	v_pk_fma_f32 v[46:47], v[86:87], v[190:191], v[46:47] op_sel_hi:[0,1,1]
	s_set_vgpr_msb 1                        ;  msbs: dst=0 src0=1 src1=0 src2=0
	v_mul_i32_i24_e32 v86, v7 /*v263*/, v220
	v_mul_i32_i24_e32 v190, v9 /*v265*/, v132
	;; [unrolled: 1-line block ×5, first 2 shown]
	v_mad_i32_i24 v86, v6 /*v262*/, v130, v86
	v_mul_i32_i24_e32 v134, v14 /*v270*/, v137
	v_mul_i32_i24_e32 v137, v17 /*v273*/, v139
	;; [unrolled: 1-line block ×4, first 2 shown]
	s_set_vgpr_msb 0                        ;  msbs: dst=0 src0=0 src1=0 src2=0
	v_add3_u32 v86, v86, v189, v190
	s_set_vgpr_msb 1                        ;  msbs: dst=0 src0=1 src1=0 src2=0
	v_mul_i32_i24_e32 v139, v20 /*v276*/, v143
	v_mul_i32_i24_e32 v140, v22 /*v278*/, v144
	v_mul_i32_i24_e32 v143, v24 /*v280*/, v147
	v_mul_i32_i24_e32 v144, v26 /*v282*/, v149
	s_set_vgpr_msb 0                        ;  msbs: dst=0 src0=0 src1=0 src2=0
	v_add3_u32 v86, v86, v192, v191
	s_set_vgpr_msb 1                        ;  msbs: dst=0 src0=1 src1=0 src2=0
	v_mul_i32_i24_e32 v147, v28 /*v284*/, v151
	v_mul_i32_i24_e32 v149, v31 /*v287*/, v152
	v_mul_i32_i24_e32 v152, v33 /*v289*/, v154
	v_mul_i32_i24_e32 v151, v32 /*v288*/, v155
	s_set_vgpr_msb 0                        ;  msbs: dst=0 src0=0 src1=0 src2=0
	v_add3_u32 v86, v86, v132, v133
	v_mul_i32_i24_e32 v130, v247, v98
	s_set_vgpr_msb 1                        ;  msbs: dst=0 src0=1 src1=0 src2=0
	v_mul_i32_i24_e32 v98, v3 /*v259*/, v98
	s_set_vgpr_msb 0                        ;  msbs: dst=0 src0=0 src1=0 src2=0
	v_mul_i32_i24_e32 v132, v117, v221
	v_mul_i32_i24_e32 v117, v117, v218
	v_add3_u32 v86, v86, v137, v134
	s_set_vgpr_msb 1                        ;  msbs: dst=0 src0=1 src1=0 src2=0
	v_mul_i32_i24_e32 v133, v11 /*v267*/, v111
	v_mul_i32_i24_e32 v134, v13 /*v269*/, v100
	;; [unrolled: 1-line block ×4, first 2 shown]
	s_set_vgpr_msb 0                        ;  msbs: dst=0 src0=0 src1=0 src2=0
	v_add3_u32 v86, v86, v135, v131
	v_mul_i32_i24_e32 v131, v120, v223
	v_mul_i32_i24_e32 v120, v120, v222
	s_set_vgpr_msb 1                        ;  msbs: dst=0 src0=1 src1=0 src2=0
	v_mul_i32_i24_e32 v102, v30 /*v286*/, v107
	v_mul_i32_i24_e32 v107, v32 /*v288*/, v129
	s_set_vgpr_msb 0                        ;  msbs: dst=0 src0=0 src1=0 src2=0
	v_add3_u32 v86, v86, v142, v138
	v_add_nc_u32_e32 v87, 4, v87
	s_delay_alu instid0(VALU_DEP_2) | instskip(NEXT) | instid1(VALU_DEP_1)
	v_add3_u32 v86, v86, v136, v139
	v_add3_u32 v86, v86, v145, v140
	s_delay_alu instid0(VALU_DEP_1) | instskip(NEXT) | instid1(VALU_DEP_1)
	v_add3_u32 v86, v86, v141, v143
	v_add3_u32 v86, v86, v150, v146
	s_delay_alu instid0(VALU_DEP_1) | instskip(NEXT) | instid1(VALU_DEP_1)
	;; [unrolled: 3-line block ×3, first 2 shown]
	v_add3_u32 v86, v86, v149, v151
	v_add3_u32 v84, v86, v84, v98
	s_set_vgpr_msb 5                        ;  msbs: dst=0 src0=1 src1=1 src2=0
	v_add3_u32 v86, v5 /*v261*/, v4 /*v260*/, v130
	s_set_vgpr_msb 1                        ;  msbs: dst=0 src0=1 src1=0 src2=0
	v_mul_i32_i24_e32 v98, v20 /*v276*/, v116
	s_set_vgpr_msb 0                        ;  msbs: dst=0 src0=0 src1=0 src2=0
	v_add3_u32 v84, v84, v120, v117
	v_add3_u32 v86, v86, v131, v132
	s_set_vgpr_msb 4                        ;  msbs: dst=0 src0=0 src1=1 src2=0
	v_mul_i32_i24_e32 v132, v99, v9 /*v265*/
	s_set_vgpr_msb 1                        ;  msbs: dst=0 src0=1 src1=0 src2=0
	v_mul_i32_i24_e32 v120, v10 /*v266*/, v112
	v_mul_i32_i24_e32 v117, v17 /*v273*/, v101
	s_set_vgpr_msb 0                        ;  msbs: dst=0 src0=0 src1=0 src2=0
	v_cvt_f32_i32_e32 v131, v84
	v_cvt_f32_i32_e32 v130, v86
	s_set_vgpr_msb 1                        ;  msbs: dst=0 src0=1 src1=0 src2=0
	v_mul_i32_i24_e32 v86, v19 /*v275*/, v118
	v_mul_i32_i24_e32 v101, v21 /*v277*/, v103
	;; [unrolled: 1-line block ×4, first 2 shown]
	s_set_vgpr_msb 0                        ;  msbs: dst=0 src0=0 src1=0 src2=0
	v_pk_fma_f32 v[130:131], v[88:89], v[130:131], v[90:91] neg_lo:[0,0,1] neg_hi:[0,0,1]
	s_set_vgpr_msb 1                        ;  msbs: dst=0 src0=1 src1=0 src2=0
	v_mul_i32_i24_e32 v103, v24 /*v280*/, v122
	v_mul_i32_i24_e32 v112, v33 /*v289*/, v128
	s_set_vgpr_msb 0                        ;  msbs: dst=0 src0=0 src1=0 src2=0
	v_pk_fma_f32 v[58:59], v[82:83], v[130:131], v[58:59] op_sel_hi:[0,1,1]
	s_set_vgpr_msb 4                        ;  msbs: dst=0 src0=0 src1=1 src2=0
	v_mul_i32_i24_e32 v130, v109, v7 /*v263*/
	v_mul_i32_i24_e32 v131, v108, v8 /*v264*/
	;; [unrolled: 1-line block ×3, first 2 shown]
	s_set_vgpr_msb 1                        ;  msbs: dst=0 src0=1 src1=0 src2=0
	v_mul_i32_i24_e32 v121, v12 /*v268*/, v110
	v_mul_i32_i24_e32 v108, v25 /*v281*/, v104
	s_set_vgpr_msb 4                        ;  msbs: dst=0 src0=0 src1=1 src2=0
	v_mad_i32_i24 v106, v106, v6 /*v262*/, v130
	s_set_vgpr_msb 1                        ;  msbs: dst=0 src0=1 src1=0 src2=0
	v_mul_i32_i24_e32 v109, v27 /*v283*/, v126
	v_mul_i32_i24_e32 v104, v26 /*v282*/, v127
	;; [unrolled: 1-line block ×3, first 2 shown]
	v_add_nc_u32_e32 v83, 4, v83
	s_set_vgpr_msb 0                        ;  msbs: dst=0 src0=0 src1=0 src2=0
	v_add3_u32 v106, v106, v131, v132
	s_delay_alu instid0(VALU_DEP_1) | instskip(NEXT) | instid1(VALU_DEP_1)
	v_add3_u32 v106, v106, v134, v133
	v_add3_u32 v106, v106, v120, v121
	s_delay_alu instid0(VALU_DEP_1) | instskip(NEXT) | instid1(VALU_DEP_1)
	v_add3_u32 v106, v106, v117, v115
	;; [unrolled: 3-line block ×3, first 2 shown]
	v_add3_u32 v84, v86, v84, v98
	v_mul_i32_i24_e32 v86, v247, v93
	s_set_vgpr_msb 1                        ;  msbs: dst=0 src0=1 src1=0 src2=0
	v_mul_i32_i24_e32 v93, v3 /*v259*/, v93
	s_set_vgpr_msb 0                        ;  msbs: dst=0 src0=0 src1=0 src2=0
	v_mul_i32_i24_e32 v98, v92, v223
	v_mul_i32_i24_e32 v92, v92, v222
	v_add3_u32 v84, v84, v108, v99
	v_mul_i32_i24_e32 v99, v81, v221
	v_mul_i32_i24_e32 v81, v81, v218
	s_delay_alu instid0(VALU_DEP_3) | instskip(NEXT) | instid1(VALU_DEP_1)
	v_add3_u32 v84, v84, v100, v103
	v_add3_u32 v84, v84, v111, v109
	s_delay_alu instid0(VALU_DEP_1) | instskip(NEXT) | instid1(VALU_DEP_1)
	v_add3_u32 v84, v84, v104, v110
	v_add3_u32 v84, v84, v112, v102
	s_delay_alu instid0(VALU_DEP_1) | instskip(NEXT) | instid1(VALU_DEP_1)
	v_add3_u32 v84, v84, v105, v107
	v_add3_u32 v82, v84, v82, v93
	s_set_vgpr_msb 1                        ;  msbs: dst=0 src0=1 src1=0 src2=0
	v_add3_u32 v84, v0 /*v256*/, v255, v86
	s_set_vgpr_msb 0                        ;  msbs: dst=0 src0=0 src1=0 src2=0
	s_delay_alu instid0(VALU_DEP_2) | instskip(NEXT) | instid1(VALU_DEP_2)
	v_add3_u32 v81, v82, v92, v81
	v_add3_u32 v84, v84, v98, v99
	s_delay_alu instid0(VALU_DEP_2) | instskip(NEXT) | instid1(VALU_DEP_2)
	v_cvt_f32_i32_e32 v93, v81
	v_cvt_f32_i32_e32 v92, v84
	s_delay_alu instid0(VALU_DEP_1) | instskip(NEXT) | instid1(VALU_DEP_1)
	v_pk_fma_f32 v[88:89], v[88:89], v[92:93], v[90:91] neg_lo:[0,0,1] neg_hi:[0,0,1]
	v_pk_fma_f32 v[66:67], v[80:81], v[88:89], v[66:67] op_sel_hi:[0,1,1]
	s_cbranch_scc1 .LBB138_11
; %bb.12:                               ;   in Loop: Header=BB138_6 Depth=1
	s_barrier_signal -1
	s_barrier_wait -1
	s_branch .LBB138_5
.LBB138_13:
	v_cvt_pk_f16_f32 v20, v60, v61
	v_cvt_pk_f16_f32 v19, v68, v69
	;; [unrolled: 1-line block ×16, first 2 shown]
	v_dual_mov_b32 v5, v3 :: v_dual_mov_b32 v21, v7
.LBB138_14:
	s_wait_xcnt 0x0
	s_mov_b32 s0, exec_lo
	v_cmpx_gt_u32_e64 s6, v9
	s_cbranch_execz .LBB138_65
; %bb.15:
	v_mul_lo_u32 v22, v9, s14
	v_add_nc_u32_e32 v0, s16, v21
	s_delay_alu instid0(VALU_DEP_1)
	v_cmp_gt_u32_e32 vcc_lo, s14, v0
	s_and_saveexec_b32 s0, vcc_lo
	s_cbranch_execz .LBB138_17
; %bb.16:
	s_delay_alu instid0(VALU_DEP_3)
	v_add_nc_u32_e32 v3, v0, v22
	s_wait_kmcnt 0x0
	global_store_b16 v3, v20, s[8:9] scale_offset
.LBB138_17:
	s_wait_xcnt 0x0
	s_or_b32 exec_lo, exec_lo, s0
	v_add_nc_u32_e32 v3, 32, v0
	s_delay_alu instid0(VALU_DEP_1)
	v_cmp_gt_u32_e64 s0, s14, v3
	s_and_saveexec_b32 s1, s0
	s_cbranch_execz .LBB138_19
; %bb.18:
	v_add_nc_u32_e32 v7, v3, v22
	s_wait_kmcnt 0x0
	global_store_b16 v7, v19, s[8:9] scale_offset
.LBB138_19:
	s_wait_xcnt 0x0
	s_or_b32 exec_lo, exec_lo, s1
	v_add_nc_u32_e32 v7, 64, v0
	s_delay_alu instid0(VALU_DEP_1)
	v_cmp_gt_u32_e64 s1, s14, v7
	s_and_saveexec_b32 s2, s1
	s_cbranch_execz .LBB138_21
; %bb.20:
	v_add_nc_u32_e32 v9, v7, v22
	s_wait_kmcnt 0x0
	global_store_b16 v9, v18, s[8:9] scale_offset
.LBB138_21:
	;; [unrolled: 12-line block ×3, first 2 shown]
	s_wait_xcnt 0x0
	s_or_b32 exec_lo, exec_lo, s3
	v_add3_u32 v21, v5, s15, 8
	s_delay_alu instid0(VALU_DEP_1)
	v_cmp_gt_u32_e64 s3, s6, v21
	s_and_b32 exec_lo, exec_lo, s3
	s_cbranch_execz .LBB138_65
; %bb.24:
	v_mul_lo_u32 v21, v21, s14
	s_and_saveexec_b32 s3, vcc_lo
	s_cbranch_execnz .LBB138_66
; %bb.25:
	s_or_b32 exec_lo, exec_lo, s3
	s_and_saveexec_b32 s3, s0
	s_cbranch_execnz .LBB138_67
.LBB138_26:
	s_or_b32 exec_lo, exec_lo, s3
	s_and_saveexec_b32 s3, s1
	s_cbranch_execnz .LBB138_68
.LBB138_27:
	s_or_b32 exec_lo, exec_lo, s3
	s_and_saveexec_b32 s3, s2
	s_cbranch_execz .LBB138_29
.LBB138_28:
	v_add_nc_u32_e32 v18, v21, v9
	s_wait_kmcnt 0x0
	global_store_d16_hi_b16 v18, v17, s[8:9] scale_offset
.LBB138_29:
	s_wait_xcnt 0x0
	s_or_b32 exec_lo, exec_lo, s3
	v_add3_u32 v17, v5, s15, 16
	s_delay_alu instid0(VALU_DEP_1)
	v_cmp_gt_u32_e64 s3, s6, v17
	s_and_b32 exec_lo, exec_lo, s3
	s_cbranch_execz .LBB138_65
; %bb.30:
	v_mul_lo_u32 v17, v17, s14
	s_and_saveexec_b32 s3, vcc_lo
	s_cbranch_execnz .LBB138_69
; %bb.31:
	s_or_b32 exec_lo, exec_lo, s3
	s_and_saveexec_b32 s3, s0
	s_cbranch_execnz .LBB138_70
.LBB138_32:
	s_or_b32 exec_lo, exec_lo, s3
	s_and_saveexec_b32 s3, s1
	s_cbranch_execnz .LBB138_71
.LBB138_33:
	s_or_b32 exec_lo, exec_lo, s3
	s_and_saveexec_b32 s3, s2
	s_cbranch_execz .LBB138_35
.LBB138_34:
	v_add_nc_u32_e32 v17, v17, v9
	s_wait_kmcnt 0x0
	global_store_b16 v17, v13, s[8:9] scale_offset
.LBB138_35:
	s_wait_xcnt 0x0
	s_or_b32 exec_lo, exec_lo, s3
	v_add3_u32 v17, v5, s15, 24
	s_delay_alu instid0(VALU_DEP_1)
	v_cmp_gt_u32_e64 s3, s6, v17
	s_and_b32 exec_lo, exec_lo, s3
	s_cbranch_execz .LBB138_65
; %bb.36:
	v_mul_lo_u32 v17, v17, s14
	s_and_saveexec_b32 s3, vcc_lo
	s_cbranch_execnz .LBB138_72
; %bb.37:
	s_or_b32 exec_lo, exec_lo, s3
	s_and_saveexec_b32 s3, s0
	s_cbranch_execnz .LBB138_73
.LBB138_38:
	s_or_b32 exec_lo, exec_lo, s3
	s_and_saveexec_b32 s3, s1
	s_cbranch_execnz .LBB138_74
.LBB138_39:
	s_or_b32 exec_lo, exec_lo, s3
	s_and_saveexec_b32 s3, s2
	s_cbranch_execz .LBB138_41
.LBB138_40:
	v_add_nc_u32_e32 v14, v17, v9
	s_wait_kmcnt 0x0
	global_store_d16_hi_b16 v14, v13, s[8:9] scale_offset
.LBB138_41:
	s_wait_xcnt 0x0
	s_or_b32 exec_lo, exec_lo, s3
	v_add3_u32 v13, v5, s15, 32
	s_delay_alu instid0(VALU_DEP_1)
	v_cmp_gt_u32_e64 s3, s6, v13
	s_and_b32 exec_lo, exec_lo, s3
	s_cbranch_execz .LBB138_65
; %bb.42:
	v_mul_lo_u32 v13, v13, s14
	s_and_saveexec_b32 s3, vcc_lo
	s_cbranch_execnz .LBB138_75
; %bb.43:
	s_or_b32 exec_lo, exec_lo, s3
	s_and_saveexec_b32 s3, s0
	s_cbranch_execnz .LBB138_76
.LBB138_44:
	s_or_b32 exec_lo, exec_lo, s3
	s_and_saveexec_b32 s3, s1
	s_cbranch_execnz .LBB138_77
.LBB138_45:
	s_or_b32 exec_lo, exec_lo, s3
	s_and_saveexec_b32 s3, s2
	s_cbranch_execz .LBB138_47
.LBB138_46:
	v_add_nc_u32_e32 v13, v13, v9
	s_wait_kmcnt 0x0
	global_store_b16 v13, v8, s[8:9] scale_offset
.LBB138_47:
	s_wait_xcnt 0x0
	s_or_b32 exec_lo, exec_lo, s3
	v_add3_u32 v13, v5, s15, 40
	s_delay_alu instid0(VALU_DEP_1)
	v_cmp_gt_u32_e64 s3, s6, v13
	s_and_b32 exec_lo, exec_lo, s3
	s_cbranch_execz .LBB138_65
; %bb.48:
	v_mul_lo_u32 v13, v13, s14
	s_and_saveexec_b32 s3, vcc_lo
	s_cbranch_execnz .LBB138_78
; %bb.49:
	s_or_b32 exec_lo, exec_lo, s3
	s_and_saveexec_b32 s3, s0
	s_cbranch_execnz .LBB138_79
.LBB138_50:
	s_or_b32 exec_lo, exec_lo, s3
	s_and_saveexec_b32 s3, s1
	s_cbranch_execnz .LBB138_80
.LBB138_51:
	s_or_b32 exec_lo, exec_lo, s3
	s_and_saveexec_b32 s3, s2
	s_cbranch_execz .LBB138_53
.LBB138_52:
	v_add_nc_u32_e32 v10, v13, v9
	s_wait_kmcnt 0x0
	global_store_d16_hi_b16 v10, v8, s[8:9] scale_offset
.LBB138_53:
	s_wait_xcnt 0x0
	s_or_b32 exec_lo, exec_lo, s3
	v_add3_u32 v8, v5, s15, 48
	s_delay_alu instid0(VALU_DEP_1)
	v_cmp_gt_u32_e64 s3, s6, v8
	s_and_b32 exec_lo, exec_lo, s3
	s_cbranch_execz .LBB138_65
; %bb.54:
	v_mul_lo_u32 v8, v8, s14
	s_and_saveexec_b32 s3, vcc_lo
	s_cbranch_execnz .LBB138_81
; %bb.55:
	s_or_b32 exec_lo, exec_lo, s3
	s_and_saveexec_b32 s3, s0
	s_cbranch_execnz .LBB138_82
.LBB138_56:
	s_or_b32 exec_lo, exec_lo, s3
	s_and_saveexec_b32 s3, s1
	s_cbranch_execnz .LBB138_83
.LBB138_57:
	s_or_b32 exec_lo, exec_lo, s3
	s_and_saveexec_b32 s3, s2
	s_cbranch_execz .LBB138_59
.LBB138_58:
	v_add_nc_u32_e32 v8, v8, v9
	s_wait_kmcnt 0x0
	global_store_b16 v8, v1, s[8:9] scale_offset
.LBB138_59:
	s_wait_xcnt 0x0
	s_or_b32 exec_lo, exec_lo, s3
	v_add3_u32 v5, v5, s15, 56
	s_delay_alu instid0(VALU_DEP_1)
	v_cmp_gt_u32_e64 s3, s6, v5
	s_and_b32 exec_lo, exec_lo, s3
	s_cbranch_execz .LBB138_65
; %bb.60:
	v_mul_lo_u32 v5, v5, s14
	s_and_saveexec_b32 s3, vcc_lo
	s_cbranch_execnz .LBB138_84
; %bb.61:
	s_or_b32 exec_lo, exec_lo, s3
	s_and_saveexec_b32 s3, s0
	s_cbranch_execnz .LBB138_85
.LBB138_62:
	s_or_b32 exec_lo, exec_lo, s3
	s_and_saveexec_b32 s0, s1
	s_cbranch_execnz .LBB138_86
.LBB138_63:
	s_or_b32 exec_lo, exec_lo, s0
	s_delay_alu instid0(SALU_CYCLE_1)
	s_and_b32 exec_lo, exec_lo, s2
	s_cbranch_execz .LBB138_65
.LBB138_64:
	v_add_nc_u32_e32 v0, v5, v9
	s_wait_kmcnt 0x0
	global_store_d16_hi_b16 v0, v1, s[8:9] scale_offset
.LBB138_65:
	s_sendmsg sendmsg(MSG_DEALLOC_VGPRS)
	s_endpgm
.LBB138_66:
	s_delay_alu instid0(VALU_DEP_1)
	v_add_nc_u32_e32 v22, v21, v0
	s_wait_kmcnt 0x0
	global_store_d16_hi_b16 v22, v20, s[8:9] scale_offset
	s_wait_xcnt 0x0
	s_or_b32 exec_lo, exec_lo, s3
	s_and_saveexec_b32 s3, s0
	s_cbranch_execz .LBB138_26
.LBB138_67:
	s_delay_alu instid0(VALU_DEP_1)
	v_add_nc_u32_e32 v20, v21, v3
	s_wait_kmcnt 0x0
	global_store_d16_hi_b16 v20, v19, s[8:9] scale_offset
	s_wait_xcnt 0x0
	s_or_b32 exec_lo, exec_lo, s3
	s_and_saveexec_b32 s3, s1
	s_cbranch_execz .LBB138_27
.LBB138_68:
	s_delay_alu instid0(VALU_DEP_1)
	v_add_nc_u32_e32 v19, v21, v7
	s_wait_kmcnt 0x0
	global_store_d16_hi_b16 v19, v18, s[8:9] scale_offset
	s_wait_xcnt 0x0
	s_or_b32 exec_lo, exec_lo, s3
	s_and_saveexec_b32 s3, s2
	s_cbranch_execnz .LBB138_28
	s_branch .LBB138_29
.LBB138_69:
	s_delay_alu instid0(VALU_DEP_1)
	v_add_nc_u32_e32 v18, v17, v0
	s_wait_kmcnt 0x0
	global_store_b16 v18, v16, s[8:9] scale_offset
	s_wait_xcnt 0x0
	s_or_b32 exec_lo, exec_lo, s3
	s_and_saveexec_b32 s3, s0
	s_cbranch_execz .LBB138_32
.LBB138_70:
	s_delay_alu instid0(VALU_DEP_1)
	v_add_nc_u32_e32 v18, v17, v3
	s_wait_kmcnt 0x0
	global_store_b16 v18, v15, s[8:9] scale_offset
	s_wait_xcnt 0x0
	s_or_b32 exec_lo, exec_lo, s3
	s_and_saveexec_b32 s3, s1
	s_cbranch_execz .LBB138_33
.LBB138_71:
	s_delay_alu instid0(VALU_DEP_1)
	v_add_nc_u32_e32 v18, v17, v7
	s_wait_kmcnt 0x0
	global_store_b16 v18, v14, s[8:9] scale_offset
	s_wait_xcnt 0x0
	s_or_b32 exec_lo, exec_lo, s3
	s_and_saveexec_b32 s3, s2
	s_cbranch_execnz .LBB138_34
	s_branch .LBB138_35
.LBB138_72:
	s_delay_alu instid0(VALU_DEP_1)
	v_add_nc_u32_e32 v18, v17, v0
	s_wait_kmcnt 0x0
	global_store_d16_hi_b16 v18, v16, s[8:9] scale_offset
	s_wait_xcnt 0x0
	s_or_b32 exec_lo, exec_lo, s3
	s_and_saveexec_b32 s3, s0
	s_cbranch_execz .LBB138_38
.LBB138_73:
	s_delay_alu instid0(VALU_DEP_1)
	v_add_nc_u32_e32 v16, v17, v3
	s_wait_kmcnt 0x0
	global_store_d16_hi_b16 v16, v15, s[8:9] scale_offset
	s_wait_xcnt 0x0
	s_or_b32 exec_lo, exec_lo, s3
	s_and_saveexec_b32 s3, s1
	s_cbranch_execz .LBB138_39
.LBB138_74:
	s_delay_alu instid0(VALU_DEP_1)
	v_add_nc_u32_e32 v15, v17, v7
	s_wait_kmcnt 0x0
	global_store_d16_hi_b16 v15, v14, s[8:9] scale_offset
	s_wait_xcnt 0x0
	s_or_b32 exec_lo, exec_lo, s3
	s_and_saveexec_b32 s3, s2
	s_cbranch_execnz .LBB138_40
	s_branch .LBB138_41
.LBB138_75:
	s_delay_alu instid0(VALU_DEP_1)
	v_add_nc_u32_e32 v14, v13, v0
	s_wait_kmcnt 0x0
	global_store_b16 v14, v12, s[8:9] scale_offset
	s_wait_xcnt 0x0
	s_or_b32 exec_lo, exec_lo, s3
	s_and_saveexec_b32 s3, s0
	s_cbranch_execz .LBB138_44
.LBB138_76:
	s_delay_alu instid0(VALU_DEP_1)
	v_add_nc_u32_e32 v14, v13, v3
	s_wait_kmcnt 0x0
	global_store_b16 v14, v11, s[8:9] scale_offset
	s_wait_xcnt 0x0
	s_or_b32 exec_lo, exec_lo, s3
	s_and_saveexec_b32 s3, s1
	s_cbranch_execz .LBB138_45
.LBB138_77:
	s_delay_alu instid0(VALU_DEP_1)
	v_add_nc_u32_e32 v14, v13, v7
	s_wait_kmcnt 0x0
	global_store_b16 v14, v10, s[8:9] scale_offset
	s_wait_xcnt 0x0
	s_or_b32 exec_lo, exec_lo, s3
	s_and_saveexec_b32 s3, s2
	s_cbranch_execnz .LBB138_46
	s_branch .LBB138_47
.LBB138_78:
	s_delay_alu instid0(VALU_DEP_1)
	v_add_nc_u32_e32 v14, v13, v0
	s_wait_kmcnt 0x0
	global_store_d16_hi_b16 v14, v12, s[8:9] scale_offset
	s_wait_xcnt 0x0
	s_or_b32 exec_lo, exec_lo, s3
	s_and_saveexec_b32 s3, s0
	s_cbranch_execz .LBB138_50
.LBB138_79:
	s_delay_alu instid0(VALU_DEP_1)
	v_add_nc_u32_e32 v12, v13, v3
	s_wait_kmcnt 0x0
	global_store_d16_hi_b16 v12, v11, s[8:9] scale_offset
	s_wait_xcnt 0x0
	s_or_b32 exec_lo, exec_lo, s3
	s_and_saveexec_b32 s3, s1
	s_cbranch_execz .LBB138_51
.LBB138_80:
	s_delay_alu instid0(VALU_DEP_1)
	v_add_nc_u32_e32 v11, v13, v7
	s_wait_kmcnt 0x0
	global_store_d16_hi_b16 v11, v10, s[8:9] scale_offset
	s_wait_xcnt 0x0
	s_or_b32 exec_lo, exec_lo, s3
	s_and_saveexec_b32 s3, s2
	s_cbranch_execnz .LBB138_52
	s_branch .LBB138_53
.LBB138_81:
	s_delay_alu instid0(VALU_DEP_1)
	v_add_nc_u32_e32 v10, v8, v0
	s_wait_kmcnt 0x0
	global_store_b16 v10, v6, s[8:9] scale_offset
	s_wait_xcnt 0x0
	s_or_b32 exec_lo, exec_lo, s3
	s_and_saveexec_b32 s3, s0
	s_cbranch_execz .LBB138_56
.LBB138_82:
	s_delay_alu instid0(VALU_DEP_1)
	v_add_nc_u32_e32 v10, v8, v3
	s_wait_kmcnt 0x0
	global_store_b16 v10, v4, s[8:9] scale_offset
	s_wait_xcnt 0x0
	s_or_b32 exec_lo, exec_lo, s3
	s_and_saveexec_b32 s3, s1
	s_cbranch_execz .LBB138_57
.LBB138_83:
	s_delay_alu instid0(VALU_DEP_1)
	v_add_nc_u32_e32 v10, v8, v7
	s_wait_kmcnt 0x0
	global_store_b16 v10, v2, s[8:9] scale_offset
	s_wait_xcnt 0x0
	s_or_b32 exec_lo, exec_lo, s3
	s_and_saveexec_b32 s3, s2
	s_cbranch_execnz .LBB138_58
	s_branch .LBB138_59
.LBB138_84:
	s_delay_alu instid0(VALU_DEP_1)
	v_add_nc_u32_e32 v0, v5, v0
	s_wait_kmcnt 0x0
	global_store_d16_hi_b16 v0, v6, s[8:9] scale_offset
	s_wait_xcnt 0x0
	s_or_b32 exec_lo, exec_lo, s3
	s_and_saveexec_b32 s3, s0
	s_cbranch_execz .LBB138_62
.LBB138_85:
	s_delay_alu instid0(VALU_DEP_1)
	v_add_nc_u32_e32 v0, v5, v3
	s_wait_kmcnt 0x0
	global_store_d16_hi_b16 v0, v4, s[8:9] scale_offset
	s_wait_xcnt 0x0
	s_or_b32 exec_lo, exec_lo, s3
	s_and_saveexec_b32 s0, s1
	s_cbranch_execz .LBB138_63
.LBB138_86:
	s_delay_alu instid0(VALU_DEP_1) | instskip(SKIP_4) | instid1(SALU_CYCLE_1)
	v_add_nc_u32_e32 v0, v5, v7
	s_wait_kmcnt 0x0
	global_store_d16_hi_b16 v0, v2, s[8:9] scale_offset
	s_wait_xcnt 0x0
	s_or_b32 exec_lo, exec_lo, s0
	s_and_b32 exec_lo, exec_lo, s2
	s_cbranch_execnz .LBB138_64
	s_branch .LBB138_65
	.section	.rodata,"a",@progbits
	.p2align	6, 0x0
	.amdhsa_kernel _ZL12mul_mat_q4_0IN3c104HalfELb1EEvPKvS3_PT_iiiii
		.amdhsa_group_segment_fixed_size 30336
		.amdhsa_private_segment_fixed_size 0
		.amdhsa_kernarg_size 44
		.amdhsa_user_sgpr_count 2
		.amdhsa_user_sgpr_dispatch_ptr 0
		.amdhsa_user_sgpr_queue_ptr 0
		.amdhsa_user_sgpr_kernarg_segment_ptr 1
		.amdhsa_user_sgpr_dispatch_id 0
		.amdhsa_user_sgpr_kernarg_preload_length 0
		.amdhsa_user_sgpr_kernarg_preload_offset 0
		.amdhsa_user_sgpr_private_segment_size 0
		.amdhsa_wavefront_size32 1
		.amdhsa_uses_dynamic_stack 0
		.amdhsa_enable_private_segment 0
		.amdhsa_system_sgpr_workgroup_id_x 1
		.amdhsa_system_sgpr_workgroup_id_y 1
		.amdhsa_system_sgpr_workgroup_id_z 0
		.amdhsa_system_sgpr_workgroup_info 0
		.amdhsa_system_vgpr_workitem_id 1
		.amdhsa_next_free_vgpr 463
		.amdhsa_next_free_sgpr 17
		.amdhsa_named_barrier_count 0
		.amdhsa_reserve_vcc 1
		.amdhsa_float_round_mode_32 0
		.amdhsa_float_round_mode_16_64 0
		.amdhsa_float_denorm_mode_32 3
		.amdhsa_float_denorm_mode_16_64 3
		.amdhsa_fp16_overflow 0
		.amdhsa_memory_ordered 1
		.amdhsa_forward_progress 1
		.amdhsa_inst_pref_size 255
		.amdhsa_round_robin_scheduling 0
		.amdhsa_exception_fp_ieee_invalid_op 0
		.amdhsa_exception_fp_denorm_src 0
		.amdhsa_exception_fp_ieee_div_zero 0
		.amdhsa_exception_fp_ieee_overflow 0
		.amdhsa_exception_fp_ieee_underflow 0
		.amdhsa_exception_fp_ieee_inexact 0
		.amdhsa_exception_int_div_zero 0
	.end_amdhsa_kernel
	.section	.text._ZL12mul_mat_q4_0IN3c104HalfELb1EEvPKvS3_PT_iiiii,"axG",@progbits,_ZL12mul_mat_q4_0IN3c104HalfELb1EEvPKvS3_PT_iiiii,comdat
.Lfunc_end138:
	.size	_ZL12mul_mat_q4_0IN3c104HalfELb1EEvPKvS3_PT_iiiii, .Lfunc_end138-_ZL12mul_mat_q4_0IN3c104HalfELb1EEvPKvS3_PT_iiiii
                                        ; -- End function
	.set _ZL12mul_mat_q4_0IN3c104HalfELb1EEvPKvS3_PT_iiiii.num_vgpr, 463
	.set _ZL12mul_mat_q4_0IN3c104HalfELb1EEvPKvS3_PT_iiiii.num_agpr, 0
	.set _ZL12mul_mat_q4_0IN3c104HalfELb1EEvPKvS3_PT_iiiii.numbered_sgpr, 17
	.set _ZL12mul_mat_q4_0IN3c104HalfELb1EEvPKvS3_PT_iiiii.num_named_barrier, 0
	.set _ZL12mul_mat_q4_0IN3c104HalfELb1EEvPKvS3_PT_iiiii.private_seg_size, 0
	.set _ZL12mul_mat_q4_0IN3c104HalfELb1EEvPKvS3_PT_iiiii.uses_vcc, 1
	.set _ZL12mul_mat_q4_0IN3c104HalfELb1EEvPKvS3_PT_iiiii.uses_flat_scratch, 0
	.set _ZL12mul_mat_q4_0IN3c104HalfELb1EEvPKvS3_PT_iiiii.has_dyn_sized_stack, 0
	.set _ZL12mul_mat_q4_0IN3c104HalfELb1EEvPKvS3_PT_iiiii.has_recursion, 0
	.set _ZL12mul_mat_q4_0IN3c104HalfELb1EEvPKvS3_PT_iiiii.has_indirect_call, 0
	.section	.AMDGPU.csdata,"",@progbits
; Kernel info:
; codeLenInByte = 39344
; TotalNumSgprs: 19
; NumVgprs: 463
; ScratchSize: 0
; MemoryBound: 0
; FloatMode: 240
; IeeeMode: 1
; LDSByteSize: 30336 bytes/workgroup (compile time only)
; SGPRBlocks: 0
; VGPRBlocks: 28
; NumSGPRsForWavesPerEU: 19
; NumVGPRsForWavesPerEU: 463
; NamedBarCnt: 0
; Occupancy: 2
; WaveLimiterHint : 0
; COMPUTE_PGM_RSRC2:SCRATCH_EN: 0
; COMPUTE_PGM_RSRC2:USER_SGPR: 2
; COMPUTE_PGM_RSRC2:TRAP_HANDLER: 0
; COMPUTE_PGM_RSRC2:TGID_X_EN: 1
; COMPUTE_PGM_RSRC2:TGID_Y_EN: 1
; COMPUTE_PGM_RSRC2:TGID_Z_EN: 0
; COMPUTE_PGM_RSRC2:TIDIG_COMP_CNT: 1
	.section	.text._ZL12mul_mat_q4_1IN3c104HalfELb0EEvPKvS3_PT_iiiii,"axG",@progbits,_ZL12mul_mat_q4_1IN3c104HalfELb0EEvPKvS3_PT_iiiii,comdat
	.globl	_ZL12mul_mat_q4_1IN3c104HalfELb0EEvPKvS3_PT_iiiii ; -- Begin function _ZL12mul_mat_q4_1IN3c104HalfELb0EEvPKvS3_PT_iiiii
	.p2align	8
	.type	_ZL12mul_mat_q4_1IN3c104HalfELb0EEvPKvS3_PT_iiiii,@function
_ZL12mul_mat_q4_1IN3c104HalfELb0EEvPKvS3_PT_iiiii: ; @_ZL12mul_mat_q4_1IN3c104HalfELb0EEvPKvS3_PT_iiiii
; %bb.0:
	s_clause 0x1
	s_load_b32 s12, s[0:1], 0x18
	s_load_b96 s[4:6], s[0:1], 0x20
	s_bfe_u32 s2, ttmp6, 0x4000c
	s_bfe_u32 s7, ttmp6, 0x40010
	s_add_co_i32 s2, s2, 1
	s_and_b32 s3, ttmp6, 15
	s_mul_i32 s2, ttmp9, s2
	s_add_co_i32 s7, s7, 1
	s_add_co_i32 s3, s3, s2
	s_mul_i32 s2, ttmp7, s7
	s_bfe_u32 s7, ttmp6, 0x40004
	s_getreg_b32 s8, hwreg(HW_REG_IB_STS2, 6, 4)
	s_add_co_i32 s7, s7, s2
	s_cmp_eq_u32 s8, 0
	v_bfe_u32 v1, v0, 10, 10
	s_cselect_b32 s7, ttmp7, s7
	v_and_b32_e32 v3, 0x3ff, v0
	s_cselect_b32 s2, ttmp9, s3
	s_lshl_b32 s7, s7, 6
	s_mov_b32 s3, 0
	s_wait_kmcnt 0x0
	s_cmp_gt_i32 s12, 31
	s_cbranch_scc1 .LBB139_2
; %bb.1:
	v_bfe_u32 v5, v0, 10, 10
	v_and_b32_e32 v17, 0x3ff, v0
	s_delay_alu instid0(VALU_DEP_2)
	v_add_nc_u32_e32 v7, s7, v5
	s_branch .LBB139_3
.LBB139_2:
	s_mov_b32 s3, -1
                                        ; implicit-def: $vgpr5
                                        ; implicit-def: $vgpr17
                                        ; implicit-def: $vgpr7
.LBB139_3:
	s_load_b64 s[8:9], s[0:1], 0x10
	s_lshl_b32 s14, s2, 7
	s_and_not1_b32 vcc_lo, exec_lo, s3
	s_mov_b32 s11, 0
	s_cbranch_vccnz .LBB139_13
; %bb.4:
	v_add_nc_u32_e32 v7, s7, v1
	s_add_co_i32 s10, s4, -1
	v_bfe_u32 v9, v0, 3, 7
	v_cvt_f64_i32_e32 v[22:23], s10
	s_ashr_i32 s13, s12, 31
	v_add_nc_u32_e32 v5, 24, v7
	s_ashr_i32 s15, s5, 31
	v_lshl_add_u32 v40, v1, 2, v9
	s_lshr_b32 s13, s13, 27
	s_lshr_b32 s15, s15, 27
	v_cvt_f64_u32_e32 v[18:19], v5
	v_mov_b32_e32 v5, 0
	v_cvt_f64_u32_e32 v[12:13], v7
	v_dual_add_nc_u32 v2, 8, v7 :: v_dual_add_nc_u32 v4, 16, v7
	v_dual_add_nc_u32 v6, 32, v7 :: v_dual_add_nc_u32 v8, 40, v7
	v_and_b32_e32 v10, 31, v0
	s_delay_alu instid0(VALU_DEP_3) | instskip(NEXT) | instid1(VALU_DEP_4)
	v_cvt_f64_u32_e32 v[14:15], v2
	v_cvt_f64_u32_e32 v[16:17], v4
	s_delay_alu instid0(VALU_DEP_4) | instskip(SKIP_3) | instid1(VALU_DEP_3)
	v_cvt_f64_u32_e32 v[20:21], v6
	v_dual_add_nc_u32 v2, 48, v7 :: v_dual_add_nc_u32 v4, 56, v7
	v_cvt_f64_u32_e32 v[24:25], v8
	v_dual_lshlrev_b32 v8, 2, v3 :: v_dual_bitop2_b32 v6, 7, v0 bitop3:0x40
	v_cvt_f64_u32_e32 v[26:27], v2
	s_delay_alu instid0(VALU_DEP_4)
	v_cvt_f64_u32_e32 v[28:29], v4
	s_add_co_i32 s12, s12, s13
	s_add_co_i32 s13, s5, s15
	s_ashr_i32 s5, s12, 5
	v_dual_lshlrev_b32 v46, 2, v6 :: v_dual_bitop2_b32 v4, 12, v8 bitop3:0x40
	v_mad_u32_u24 v11, 0x84, v1, v8
	v_dual_mov_b32 v31, v5 :: v_dual_bitop2_b32 v30, 28, v8 bitop3:0x40
	s_lshl_b32 s16, s5, 3
	v_mul_lo_u32 v8, s5, v1
	v_bfe_u32 v2, v0, 2, 8
	v_dual_lshlrev_b32 v42, 7, v1 :: v_dual_bitop2_b32 v38, 3, v0 bitop3:0x40
	v_lshl_or_b32 v48, v10, 2, 0x4200
	v_min_num_f64_e32 v[44:45], v[18:19], v[22:23]
	s_delay_alu instid0(VALU_DEP_4)
	v_lshl_add_u32 v10, v1, 3, v2
	v_min_num_f64_e32 v[32:33], v[12:13], v[22:23]
	s_ashr_i32 s17, s13, 5
	v_add_nc_u32_e32 v57, 0x800, v42
	v_add_nc_u32_e32 v56, 0x400, v42
	v_and_b32_e32 v10, 63, v10
	s_wait_xcnt 0x0
	s_load_b128 s[0:3], s[0:1], 0x0
	v_min_num_f64_e32 v[34:35], v[14:15], v[22:23]
	v_min_num_f64_e32 v[36:37], v[16:17], v[22:23]
	;; [unrolled: 1-line block ×3, first 2 shown]
	v_add_nc_u32_e32 v178, 0x4200, v42
	s_and_b32 s15, s12, 0xffffffe0
	v_min_num_f64_e32 v[52:53], v[24:25], v[22:23]
	s_mul_i32 s12, s5, s14
	v_mov_b64_e32 v[64:65], 0
	v_min_num_f64_e32 v[54:55], v[26:27], v[22:23]
	v_dual_min_num_f64 v[22:23], v[28:29], v[22:23] :: v_dual_lshlrev_b32 v28, 5, v40
	v_and_b32_e32 v26, 0x7fc, v40
	v_mov_b64_e32 v[68:69], 0
	v_mov_b64_e32 v[70:71], 0
	;; [unrolled: 1-line block ×4, first 2 shown]
	v_add3_u32 v26, v26, v46, 0x6200
	v_mov_b64_e32 v[74:75], 0
	v_mov_b64_e32 v[58:59], 0
	s_ashr_i32 s13, s12, 31
	v_add_nc_u32_e32 v13, 0x420, v11
	v_add_nc_u32_e32 v15, 0x840, v11
	;; [unrolled: 1-line block ×6, first 2 shown]
	v_cvt_i32_f64_e32 v14, v[32:33]
	v_add_nc_u32_e32 v33, 32, v40
	v_add_nc_u32_e32 v27, 0x1ce0, v11
	;; [unrolled: 1-line block ×5, first 2 shown]
	v_cvt_i32_f64_e32 v16, v[34:35]
	v_add_nc_u32_e32 v35, 64, v40
	v_cvt_i32_f64_e32 v18, v[36:37]
	v_and_b32_e32 v37, 0xffc, v33
	v_lshlrev_b32_e32 v33, 5, v33
	v_cvt_i32_f64_e32 v20, v[44:45]
	v_cvt_i32_f64_e32 v24, v[50:51]
	v_lshlrev_b32_e32 v12, 2, v38
	v_and_b32_e32 v44, 0xffc, v35
	v_lshlrev_b32_e32 v35, 5, v35
	v_add_nc_u32_e32 v36, 0x60, v40
	v_add3_u32 v37, v37, v46, 0x6200
	v_add_nc_u32_e32 v43, 0x2d60, v11
	v_add3_u32 v44, v44, v46, 0x6200
	v_add_nc_u32_e32 v162, v26, v28
	v_and_b32_e32 v50, 0xffc, v36
	v_lshlrev_b32_e32 v36, 5, v36
	v_add_nc_u32_e32 v47, 0x3180, v11
	v_add_nc_u32_e32 v166, v44, v35
	;; [unrolled: 1-line block ×5, first 2 shown]
	v_mul_u32_u24_e32 v184, 0x84, v3
	v_lshl_add_u32 v185, v1, 4, 0x7280
	v_mad_u32_u24 v186, 0x84, v3, 64
	s_mul_u64 s[12:13], s[12:13], 20
	v_mul_lo_u32 v79, s17, v14
	s_wait_kmcnt 0x0
	s_add_nc_u64 s[0:1], s[0:1], s[12:13]
	v_add_nc_u32_e32 v164, v37, v33
	v_add_nc_u32_e32 v171, v48, v57
	v_mul_lo_u32 v154, s17, v16
	v_mul_lo_u32 v155, s17, v18
	v_add_nc_u32_e32 v18, 0x60, v3
	v_mul_lo_u32 v156, s17, v20
	v_dual_add_nc_u32 v20, 64, v3 :: v_dual_bitop2_b32 v45, s7, v10 bitop3:0x54
	v_lshl_or_b32 v12, v10, 4, v12
	v_add_nc_u32_e32 v10, s16, v8
	v_mul_lo_u32 v157, s17, v24
	v_cvt_i32_f64_e32 v32, v[52:53]
	v_and_b32_e32 v20, 0x1fc, v20
	v_add_nc_u32_e32 v67, 0x7280, v12
	v_add_nc_u32_e32 v12, s16, v10
	v_and_b32_e32 v52, 0xfc, v0
	s_delay_alu instid0(VALU_DEP_2)
	v_add_nc_u32_e32 v14, s16, v12
	v_cvt_i32_f64_e32 v22, v[22:23]
	v_min_i32_e32 v23, s10, v45
	v_add3_u32 v45, v50, v46, 0x6200
	v_and_b32_e32 v50, 0x1fc, v18
	v_dual_add_nc_u32 v16, s16, v14 :: v_dual_lshlrev_b32 v24, 5, v3
	s_delay_alu instid0(VALU_DEP_4) | instskip(SKIP_2) | instid1(VALU_DEP_4)
	v_mad_u32 v77, v23, s17, v38
	v_add_nc_u32_e32 v23, 32, v3
	v_cvt_i32_f64_e32 v34, v[54:55]
	v_dual_add_nc_u32 v18, s16, v16 :: v_dual_add_nc_u32 v50, v24, v50
	v_add_nc_u32_e32 v53, v24, v20
	s_delay_alu instid0(VALU_DEP_4) | instskip(SKIP_1) | instid1(VALU_DEP_4)
	v_and_b32_e32 v51, 0x1fc, v23
	v_dual_add_nc_u32 v52, v24, v52 :: v_dual_lshrrev_b32 v161, 3, v23
	v_add_nc_u32_e32 v0, s16, v18
	v_add_nc_u32_e32 v46, 0x1000, v42
	s_delay_alu instid0(VALU_DEP_4) | instskip(SKIP_2) | instid1(VALU_DEP_4)
	v_add_nc_u32_e32 v51, v24, v51
	v_add_nc_u32_e32 v38, 0xc00, v42
	;; [unrolled: 1-line block ×3, first 2 shown]
	v_dual_add_nc_u32 v20, s16, v0 :: v_dual_add_nc_u32 v173, v48, v46
	v_add_nc_u32_e32 v54, 0x1c00, v42
	s_delay_alu instid0(VALU_DEP_4) | instskip(SKIP_1) | instid1(VALU_DEP_4)
	v_add_nc_u32_e32 v172, v48, v38
	v_mul_lo_u32 v38, s5, v40
	v_add_nc_u32_e32 v24, s16, v20
	v_mul_lo_u32 v158, s17, v32
	v_add_nc_u32_e32 v32, 0x1400, v42
	v_add_nc_u32_e32 v176, v48, v54
	;; [unrolled: 1-line block ×5, first 2 shown]
	v_mul_lo_u32 v160, s17, v22
	v_add_nc_u64_e32 v[22:23], s[2:3], v[30:31]
	v_add_nc_u32_e32 v165, 0x6a00, v53
	v_add_nc_u32_e32 v28, s16, v26
	;; [unrolled: 1-line block ×7, first 2 shown]
	v_mul_lo_u32 v159, s17, v34
	v_add_nc_u32_e32 v34, 0x1800, v42
	v_dual_add_nc_u32 v177, v48, v42 :: v_dual_add_nc_u32 v174, v48, v32
	s_delay_alu instid0(VALU_DEP_4) | instskip(SKIP_1) | instid1(VALU_DEP_4)
	v_add_nc_u32_e32 v42, s16, v40
	v_add_nc_u32_e32 v181, 0x6610, v51
	;; [unrolled: 1-line block ×6, first 2 shown]
	v_mov_b64_e32 v[30:31], 0
	v_mov_b64_e32 v[32:33], 0
	v_add_nc_u32_e32 v66, s15, v48
	v_mov_b64_e32 v[52:53], 0
	v_add_nc_u32_e32 v62, s16, v46
	v_mov_b64_e32 v[34:35], 0
	v_mov_b64_e32 v[36:37], 0
	;; [unrolled: 1-line block ×6, first 2 shown]
	v_add_nc_u32_e32 v76, s16, v62
	v_add_nc_u32_e32 v78, s15, v66
	s_add_co_i32 s15, s5, 3
	s_mov_b32 s10, s11
	s_branch .LBB139_6
.LBB139_5:                              ;   in Loop: Header=BB139_6 Depth=1
	s_add_co_i32 s10, s10, 8
	s_add_co_i32 s15, s15, -8
	s_cmp_ge_i32 s10, s5
	s_cbranch_scc1 .LBB139_15
.LBB139_6:                              ; =>This Loop Header: Depth=1
                                        ;     Child Loop BB139_8 Depth 2
                                        ;     Child Loop BB139_11 Depth 2
	s_mul_u64 s[12:13], s[10:11], 20
	s_cmp_gt_u32 s15, 3
	s_add_nc_u64 s[12:13], s[0:1], s[12:13]
	s_wait_xcnt 0x0
	v_mad_nc_u64_u32 v[80:81], v2, 20, s[12:13]
	s_delay_alu instid0(VALU_DEP_1) | instskip(NEXT) | instid1(VALU_DEP_1)
	v_mad_nc_u64_u32 v[82:83], v8, 20, v[80:81]
	v_add_nc_u64_e32 v[82:83], v[82:83], v[4:5]
	global_load_b32 v82, v[82:83], off offset:4
	s_wait_loadcnt 0x0
	ds_store_b32 v11, v82
	s_wait_xcnt 0x0
	v_mad_nc_u64_u32 v[82:83], v10, 20, v[80:81]
	s_delay_alu instid0(VALU_DEP_1)
	v_add_nc_u64_e32 v[82:83], v[82:83], v[4:5]
	global_load_b32 v82, v[82:83], off offset:4
	s_wait_loadcnt 0x0
	ds_store_b32 v13, v82
	s_wait_xcnt 0x0
	v_mad_nc_u64_u32 v[82:83], v12, 20, v[80:81]
	s_delay_alu instid0(VALU_DEP_1)
	;; [unrolled: 7-line block ×13, first 2 shown]
	v_add_nc_u64_e32 v[82:83], v[82:83], v[4:5]
	global_load_b32 v82, v[82:83], off offset:4
	s_wait_loadcnt 0x0
	ds_store_b32 v49, v82
	s_wait_xcnt 0x0
	v_mad_nc_u64_u32 v[82:83], v62, 20, v[80:81]
	v_mad_nc_u64_u32 v[80:81], v76, 20, v[80:81]
	s_delay_alu instid0(VALU_DEP_2) | instskip(NEXT) | instid1(VALU_DEP_2)
	v_add_nc_u64_e32 v[82:83], v[82:83], v[4:5]
	v_add_nc_u64_e32 v[80:81], v[80:81], v[4:5]
	s_clause 0x1
	global_load_b32 v82, v[82:83], off offset:4
	global_load_b32 v80, v[80:81], off offset:4
	s_wait_loadcnt 0x1
	ds_store_b32 v63, v82
	s_wait_loadcnt 0x0
	ds_store_b32 v183, v80
	s_wait_xcnt 0x0
	v_mad_nc_u64_u32 v[80:81], v6, 20, s[12:13]
	s_delay_alu instid0(VALU_DEP_1)
	v_mad_nc_u64_u32 v[82:83], v38, 20, v[80:81]
	global_load_b32 v82, v[82:83], off
	s_wait_loadcnt 0x0
	ds_store_b32 v162, v82
	s_wait_xcnt 0x0
	v_mad_nc_u64_u32 v[82:83], v48, 20, v[80:81]
	global_load_b32 v82, v[82:83], off
	s_wait_loadcnt 0x0
	ds_store_b32 v164, v82
	s_wait_xcnt 0x0
	v_mad_nc_u64_u32 v[82:83], v66, 20, v[80:81]
	v_mad_nc_u64_u32 v[80:81], v78, 20, v[80:81]
	s_clause 0x1
	global_load_b32 v82, v[82:83], off
	global_load_b32 v80, v[80:81], off
	s_wait_loadcnt 0x1
	ds_store_b32 v166, v82
	s_wait_loadcnt 0x0
	ds_store_b32 v168, v80
	s_cbranch_scc0 .LBB139_5
; %bb.7:                                ;   in Loop: Header=BB139_6 Depth=1
	s_wait_xcnt 0x1
	v_dual_add_nc_u32 v82, s10, v9 :: v_dual_mov_b32 v188, v178
	v_add_nc_u32_e32 v187, s10, v77
	s_mov_b32 s12, -4
	s_wait_xcnt 0x0
	s_delay_alu instid0(VALU_DEP_2) | instskip(SKIP_2) | instid1(VALU_DEP_3)
	v_dual_mov_b32 v189, v185 :: v_dual_add_nc_u32 v80, v82, v79
	v_dual_mov_b32 v190, v169 :: v_dual_mov_b32 v191, v167
	v_dual_mov_b32 v192, v165 :: v_dual_mov_b32 v193, v163
	v_mad_nc_i64_i32 v[80:81], v80, 36, v[22:23]
	v_mov_b32_e32 v194, v184
	global_load_b32 v80, v[80:81], off offset:4
	s_wait_loadcnt 0x0
	ds_store_b32 v177, v80
	s_wait_xcnt 0x0
	v_add_nc_u32_e32 v80, v82, v154
	s_delay_alu instid0(VALU_DEP_1)
	v_mad_nc_i64_i32 v[80:81], v80, 36, v[22:23]
	global_load_b32 v80, v[80:81], off offset:4
	s_wait_loadcnt 0x0
	ds_store_b32 v170, v80
	s_wait_xcnt 0x0
	v_add_nc_u32_e32 v80, v82, v155
	s_delay_alu instid0(VALU_DEP_1)
	v_mad_nc_i64_i32 v[80:81], v80, 36, v[22:23]
	;; [unrolled: 7-line block ×7, first 2 shown]
	global_load_b32 v80, v[80:81], off offset:4
	s_wait_loadcnt 0x0
	ds_store_b32 v176, v80
	s_wait_xcnt 0x0
	v_mad_nc_u64_u32 v[80:81], v187, 36, s[2:3]
	global_load_b32 v80, v[80:81], off
	s_wait_loadcnt 0x0
	ds_store_b32 v67, v80
	s_wait_dscnt 0x0
	s_barrier_signal -1
	s_barrier_wait -1
.LBB139_8:                              ;   Parent Loop BB139_6 Depth=1
                                        ; =>  This Inner Loop Header: Depth=2
	ds_load_2addr_b32 v[82:83], v188 offset1:3
	s_wait_xcnt 0x0
	ds_load_2addr_b32 v[80:81], v188 offset0:4 offset1:7
	ds_load_2addr_b32 v[86:87], v188 offset0:1 offset1:2
	;; [unrolled: 1-line block ×3, first 2 shown]
	ds_load_b32 v207, v190
	ds_load_b32 v208, v191
	;; [unrolled: 1-line block ×3, first 2 shown]
	ds_load_2addr_b32 v[88:89], v194 offset0:2 offset1:3
	ds_load_b32 v210, v193
	ds_load_2addr_b32 v[90:91], v189 offset1:32
	ds_load_2addr_b32 v[92:93], v189 offset0:64 offset1:96
	ds_load_2addr_b32 v[94:95], v189 offset0:128 offset1:160
	;; [unrolled: 1-line block ×3, first 2 shown]
	ds_load_2addr_b32 v[236:237], v194 offset1:1
	v_add_nc_u32_e32 v96, 0x2100, v194
	v_add_nc_u32_e32 v97, 0x2108, v194
	;; [unrolled: 1-line block ×27, first 2 shown]
	ds_load_2addr_b32 v[238:239], v96 offset1:1
	ds_load_2addr_b32 v[152:153], v97 offset1:1
	ds_load_2addr_b32 v[150:151], v98 offset0:4 offset1:7
	ds_load_2addr_b32 v[240:241], v99 offset1:1
	ds_load_2addr_b32 v[242:243], v100 offset1:1
	;; [unrolled: 1-line block ×7, first 2 shown]
	ds_load_2addr_b32 v[106:107], v105 offset0:4 offset1:7
	ds_load_2addr_b32 v[116:117], v195 offset0:4 offset1:7
	;; [unrolled: 1-line block ×4, first 2 shown]
	ds_load_2addr_b32 v[248:249], v114 offset1:1
	ds_load_2addr_b32 v[144:145], v120 offset1:1
	;; [unrolled: 1-line block ×4, first 2 shown]
	ds_load_2addr_b32 v[250:251], v115 offset0:4 offset1:7
	ds_load_2addr_b32 v[252:253], v115 offset1:3
	ds_load_2addr_b32 v[114:115], v198 offset0:4 offset1:7
	ds_load_2addr_b32 v[134:135], v124 offset1:1
	ds_load_2addr_b32 v[124:125], v125 offset1:1
	;; [unrolled: 1-line block ×13, first 2 shown]
	s_wait_dscnt 0x2f
	v_bfe_i32 v245, v82, 0, 8
	s_wait_dscnt 0x1b
	s_set_vgpr_msb 64                       ;  msbs: dst=1 src0=0 src1=0 src2=0
	v_dual_ashrrev_i32 v62 /*v318*/, 24, v241 :: v_dual_bitop2_b32 v73 /*v329*/, 15, v146 bitop3:0x40
	s_set_vgpr_msb 0                        ;  msbs: dst=0 src0=0 src1=0 src2=0
	v_bfe_i32 v247, v82, 8, 8
	v_bfe_i32 v254, v82, 16, 8
	v_ashrrev_i32_e32 v82, 24, v82
	s_set_vgpr_msb 64                       ;  msbs: dst=1 src0=0 src1=0 src2=0
	v_dual_lshrrev_b32 v13 /*v269*/, 28, v89 :: v_dual_bitop2_b32 v94 /*v350*/, 15, v236 bitop3:0x40
	v_bfe_u32 v29 /*v285*/, v238, 12, 4
	v_bfe_i32 v47 /*v303*/, v150, 8, 8
	v_bfe_u32 v74 /*v330*/, v146, 8, 4
	v_bfe_u32 v105 /*v361*/, v146, 16, 4
	;; [unrolled: 1-line block ×3, first 2 shown]
	s_wait_dscnt 0x19
	v_bfe_u32 v65 /*v321*/, v142, 12, 4
	s_wait_dscnt 0x17
	v_bfe_i32 v72 /*v328*/, v106, 8, 8
	s_set_vgpr_msb 0x41                     ;  msbs: dst=1 src0=1 src1=0 src2=0
	v_mul_i32_i24_e32 v124 /*v380*/, v73 /*v329*/, v245
	s_set_vgpr_msb 0                        ;  msbs: dst=0 src0=0 src1=0 src2=0
	v_bfe_i32 v255, v80, 0, 8
	s_set_vgpr_msb 64                       ;  msbs: dst=1 src0=0 src1=0 src2=0
	v_bfe_i32 v0 /*v256*/, v80, 8, 8
	v_bfe_i32 v1 /*v257*/, v80, 16, 8
	s_set_vgpr_msb 0                        ;  msbs: dst=0 src0=0 src1=0 src2=0
	v_ashrrev_i32_e32 v80, 24, v80
	s_set_vgpr_msb 64                       ;  msbs: dst=1 src0=0 src1=0 src2=0
	v_bfe_i32 v2 /*v258*/, v86, 0, 8
	v_bfe_i32 v3 /*v259*/, v86, 8, 8
	;; [unrolled: 1-line block ×3, first 2 shown]
	v_dual_ashrrev_i32 v6 /*v262*/, 24, v86 :: v_dual_ashrrev_i32 v32 /*v288*/, 24, v81
	v_bfe_i32 v7 /*v263*/, v84, 0, 8
	v_bfe_i32 v8 /*v264*/, v84, 8, 8
	s_set_vgpr_msb 0                        ;  msbs: dst=0 src0=0 src1=0 src2=0
	v_bfe_i32 v246, v84, 16, 8
	v_dual_ashrrev_i32 v244, 24, v84 :: v_dual_ashrrev_i32 v226, 24, v87
	v_bfe_i32 v235, v87, 0, 8
	v_bfe_i32 v234, v87, 8, 8
	;; [unrolled: 1-line block ×5, first 2 shown]
	v_dual_ashrrev_i32 v216, 24, v85 :: v_dual_ashrrev_i32 v211, 24, v83
	v_bfe_i32 v215, v85, 16, 8
	v_bfe_i32 v214, v83, 0, 8
	;; [unrolled: 1-line block ×4, first 2 shown]
	v_pk_mul_f16 v83, v209, v91
	s_set_vgpr_msb 64                       ;  msbs: dst=1 src0=0 src1=0 src2=0
	v_pk_mul_f16 v10 /*v266*/, v90, v209
	v_pk_mul_f16 v11 /*v267*/, v210, v91
	;; [unrolled: 1-line block ×3, first 2 shown]
	s_set_vgpr_msb 0                        ;  msbs: dst=0 src0=0 src1=0 src2=0
	v_pk_mul_f16 v233, v90, v207
	v_pk_mul_f16 v86, v90, v208
	;; [unrolled: 1-line block ×22, first 2 shown]
	s_set_vgpr_msb 64                       ;  msbs: dst=1 src0=0 src1=0 src2=0
	v_pk_mul_f16 v149 /*v405*/, v208, v118
	v_pk_mul_f16 v152 /*v408*/, v208, v119
	;; [unrolled: 1-line block ×4, first 2 shown]
	s_set_vgpr_msb 0                        ;  msbs: dst=0 src0=0 src1=0 src2=0
	v_pk_mul_f16 v118, v210, v118
	v_pk_mul_f16 v119, v210, v119
	s_set_vgpr_msb 64                       ;  msbs: dst=1 src0=0 src1=0 src2=0
	v_bfe_u32 v92 /*v348*/, v236, 8, 4
	v_bfe_u32 v48 /*v304*/, v236, 24, 4
	;; [unrolled: 1-line block ×4, first 2 shown]
	v_dual_lshrrev_b32 v17 /*v273*/, 4, v236 :: v_dual_bitop2_b32 v20 /*v276*/, 15, v237 bitop3:0x40
	s_set_vgpr_msb 0                        ;  msbs: dst=0 src0=0 src1=0 src2=0
	v_dual_lshrrev_b32 v224, 28, v88 :: v_dual_bitop2_b32 v94, 15, v88 bitop3:0x40
	v_bfe_u32 v85, v88, 8, 4
	s_set_vgpr_msb 64                       ;  msbs: dst=1 src0=0 src1=0 src2=0
	v_bfe_u32 v22 /*v278*/, v237, 20, 4
	s_set_vgpr_msb 0                        ;  msbs: dst=0 src0=0 src1=0 src2=0
	v_bfe_u32 v93, v88, 24, 4
	v_and_b32_e32 v207, 15, v89
	v_bfe_u32 v210, v89, 8, 4
	v_bfe_u32 v217, v88, 20, 4
	;; [unrolled: 1-line block ×3, first 2 shown]
	s_set_vgpr_msb 64                       ;  msbs: dst=1 src0=0 src1=0 src2=0
	v_bfe_u32 v9 /*v265*/, v89, 4, 4
	v_bfe_u32 v34 /*v290*/, v89, 12, 4
	s_set_vgpr_msb 0                        ;  msbs: dst=0 src0=0 src1=0 src2=0
	v_bfe_u32 v208, v89, 16, 4
	s_set_vgpr_msb 64                       ;  msbs: dst=1 src0=0 src1=0 src2=0
	v_bfe_u32 v36 /*v292*/, v89, 20, 4
	v_dual_lshrrev_b32 v19 /*v275*/, 28, v236 :: v_dual_lshrrev_b32 v25 /*v281*/, 28, v237
	v_bfe_u32 v23 /*v279*/, v237, 24, 4
	v_and_b32_e32 v24 /*v280*/, 0xf0f0f0f, v237
	s_set_vgpr_msb 0                        ;  msbs: dst=0 src0=0 src1=0 src2=0
	v_bfe_u32 v95, v88, 16, 4
	v_bfe_u32 v223, v88, 4, 4
	;; [unrolled: 1-line block ×3, first 2 shown]
	s_set_vgpr_msb 64                       ;  msbs: dst=1 src0=0 src1=0 src2=0
	v_bfe_u32 v26 /*v282*/, v237, 4, 4
	v_bfe_u32 v27 /*v283*/, v237, 12, 4
	s_set_vgpr_msb 0                        ;  msbs: dst=0 src0=0 src1=0 src2=0
	v_bfe_u32 v237, v238, 20, 4
	s_set_vgpr_msb 64                       ;  msbs: dst=1 src0=0 src1=0 src2=0
	v_dual_lshrrev_b32 v31 /*v287*/, 28, v238 :: v_dual_bitop2_b32 v70 /*v326*/, 15, v238 bitop3:0x40
	v_bfe_u32 v71 /*v327*/, v238, 8, 4
	v_bfe_u32 v99 /*v355*/, v238, 16, 4
	;; [unrolled: 1-line block ×3, first 2 shown]
	v_dual_ashrrev_i32 v50 /*v306*/, 24, v150 :: v_dual_bitop2_b32 v44 /*v300*/, 15, v152 bitop3:0x40
	v_bfe_i32 v46 /*v302*/, v150, 0, 8
	v_bfe_i32 v49 /*v305*/, v150, 16, 8
	s_set_vgpr_msb 0                        ;  msbs: dst=0 src0=0 src1=0 src2=0
	v_bfe_i32 v88, v241, 0, 8
	s_set_vgpr_msb 64                       ;  msbs: dst=1 src0=0 src1=0 src2=0
	v_bfe_i32 v59 /*v315*/, v241, 8, 8
	s_set_vgpr_msb 0                        ;  msbs: dst=0 src0=0 src1=0 src2=0
	v_bfe_i32 v89, v241, 16, 8
	s_set_vgpr_msb 64                       ;  msbs: dst=1 src0=0 src1=0 src2=0
	v_bfe_u32 v42 /*v298*/, v238, 24, 4
	s_set_vgpr_msb 0                        ;  msbs: dst=0 src0=0 src1=0 src2=0
	v_bfe_u32 v238, v146, 12, 4
	s_set_vgpr_msb 1                        ;  msbs: dst=0 src0=1 src1=0 src2=0
	v_mul_i32_i24_e32 v241, v94 /*v350*/, v245
	s_set_vgpr_msb 64                       ;  msbs: dst=1 src0=0 src1=0 src2=0
	v_bfe_u32 v66 /*v322*/, v142, 4, 4
	v_bfe_u32 v67 /*v323*/, v142, 20, 4
	s_wait_dscnt 0x16
	v_dual_lshrrev_b32 v68 /*v324*/, 28, v142 :: v_dual_ashrrev_i32 v83 /*v339*/, 24, v116
	v_bfe_i32 v75 /*v331*/, v106, 0, 8
	v_bfe_i32 v78 /*v334*/, v106, 16, 8
	s_wait_dscnt 0x15
	v_dual_ashrrev_i32 v79 /*v335*/, 24, v106 :: v_dual_ashrrev_i32 v87 /*v343*/, 24, v112
	v_bfe_i32 v80 /*v336*/, v116, 8, 8
	s_set_vgpr_msb 0x45                     ;  msbs: dst=1 src0=1 src1=1 src2=0
	v_mul_i32_i24_e32 v115 /*v371*/, v47 /*v303*/, v29 /*v285*/
	s_set_vgpr_msb 0x41                     ;  msbs: dst=1 src0=1 src1=0 src2=0
	v_mul_i32_i24_e32 v125 /*v381*/, v105 /*v361*/, v254
	v_mul_i32_i24_e32 v126 /*v382*/, v107 /*v363*/, v82
	s_set_vgpr_msb 0x45                     ;  msbs: dst=1 src0=1 src1=1 src2=0
	v_mul_i32_i24_e32 v127 /*v383*/, v47 /*v303*/, v65 /*v321*/
	v_mul_i32_i24_e32 v133 /*v389*/, v72 /*v328*/, v29 /*v285*/
	s_set_vgpr_msb 0x51                     ;  msbs: dst=1 src0=1 src1=0 src2=1
	v_mad_i32_i24 v124 /*v380*/, v74 /*v330*/, v247, v124 /*v380*/
	s_set_vgpr_msb 64                       ;  msbs: dst=1 src0=0 src1=0 src2=0
	v_bfe_u32 v33 /*v289*/, v239, 20, 4
	v_dual_lshrrev_b32 v43 /*v299*/, 28, v239 :: v_dual_bitop2_b32 v35 /*v291*/, 15, v239 bitop3:0x40
	v_bfe_u32 v37 /*v293*/, v239, 8, 4
	v_bfe_u32 v38 /*v294*/, v239, 16, 4
	;; [unrolled: 1-line block ×5, first 2 shown]
	v_bfe_i32 v51 /*v307*/, v240, 0, 8
	v_bfe_i32 v52 /*v308*/, v240, 8, 8
	;; [unrolled: 1-line block ×3, first 2 shown]
	v_dual_ashrrev_i32 v54 /*v310*/, 24, v240 :: v_dual_ashrrev_i32 v58 /*v314*/, 24, v242
	v_bfe_i32 v55 /*v311*/, v242, 0, 8
	v_bfe_i32 v56 /*v312*/, v242, 8, 8
	;; [unrolled: 1-line block ×3, first 2 shown]
	s_set_vgpr_msb 0                        ;  msbs: dst=0 src0=0 src1=0 src2=0
	v_bfe_u32 v239, v146, 4, 4
	v_bfe_u32 v240, v146, 20, 4
	v_lshrrev_b32_e32 v242, 28, v146
	s_set_vgpr_msb 0x41                     ;  msbs: dst=1 src0=1 src1=0 src2=0
	v_mul_i32_i24_e32 v61 /*v317*/, v48 /*v304*/, v82
	v_mul_i32_i24_e32 v64 /*v320*/, v90 /*v346*/, v254
	s_set_vgpr_msb 64                       ;  msbs: dst=1 src0=0 src1=0 src2=0
	v_bfe_i32 v81 /*v337*/, v116, 0, 8
	v_bfe_i32 v82 /*v338*/, v116, 16, 8
	;; [unrolled: 1-line block ×3, first 2 shown]
	s_set_vgpr_msb 0x41                     ;  msbs: dst=1 src0=1 src1=0 src2=0
	v_mul_i32_i24_e32 v116 /*v372*/, v70 /*v326*/, v245
	v_mul_i32_i24_e32 v117 /*v373*/, v49 /*v305*/, v237
	s_set_vgpr_msb 0x45                     ;  msbs: dst=1 src0=1 src1=1 src2=0
	v_mul_i32_i24_e32 v118 /*v374*/, v50 /*v306*/, v31 /*v287*/
	s_set_vgpr_msb 1                        ;  msbs: dst=0 src0=1 src1=0 src2=0
	v_mad_i32_i24 v241, v92 /*v348*/, v247, v241
	s_set_vgpr_msb 0x45                     ;  msbs: dst=1 src0=1 src1=1 src2=0
	v_mul_i32_i24_e32 v128 /*v384*/, v49 /*v305*/, v67 /*v323*/
	v_mul_i32_i24_e32 v129 /*v385*/, v50 /*v306*/, v68 /*v324*/
	;; [unrolled: 1-line block ×3, first 2 shown]
	s_set_vgpr_msb 0x41                     ;  msbs: dst=1 src0=1 src1=0 src2=0
	v_mul_i32_i24_e32 v134 /*v390*/, v78 /*v334*/, v237
	s_set_vgpr_msb 0x45                     ;  msbs: dst=1 src0=1 src1=1 src2=0
	v_mul_i32_i24_e32 v135 /*v391*/, v79 /*v335*/, v31 /*v287*/
	s_set_vgpr_msb 0x41                     ;  msbs: dst=1 src0=1 src1=0 src2=0
	v_mul_i32_i24_e32 v136 /*v392*/, v72 /*v328*/, v238
	s_set_vgpr_msb 0x55                     ;  msbs: dst=1 src0=1 src1=1 src2=1
	v_mad_i32_i24 v115 /*v371*/, v46 /*v302*/, v28 /*v284*/, v115 /*v371*/
	v_add3_u32 v124 /*v380*/, v124 /*v380*/, v125 /*v381*/, v126 /*v382*/
	s_set_vgpr_msb 0x41                     ;  msbs: dst=1 src0=1 src1=0 src2=0
	v_mul_i32_i24_e32 v125 /*v381*/, v80 /*v336*/, v238
	s_set_vgpr_msb 0x55                     ;  msbs: dst=1 src0=1 src1=1 src2=1
	v_mad_i32_i24 v127 /*v383*/, v46 /*v302*/, v66 /*v322*/, v127 /*v383*/
	v_mad_i32_i24 v133 /*v389*/, v75 /*v331*/, v28 /*v284*/, v133 /*v389*/
	s_set_vgpr_msb 64                       ;  msbs: dst=1 src0=0 src1=0 src2=0
	v_bfe_i32 v85 /*v341*/, v112, 0, 8
	v_bfe_i32 v86 /*v342*/, v112, 16, 8
	s_wait_dscnt 0x14
	v_bfe_i32 v88 /*v344*/, v110, 8, 8
	s_set_vgpr_msb 0x41                     ;  msbs: dst=1 src0=1 src1=0 src2=0
	v_mul_i32_i24_e32 v119 /*v375*/, v99 /*v355*/, v254
	v_mul_i32_i24_e32 v120 /*v376*/, v42 /*v298*/, v82
	;; [unrolled: 1-line block ×3, first 2 shown]
	s_set_vgpr_msb 0x45                     ;  msbs: dst=1 src0=1 src1=1 src2=0
	v_mul_i32_i24_e32 v131 /*v387*/, v78 /*v334*/, v67 /*v323*/
	v_mul_i32_i24_e32 v132 /*v388*/, v79 /*v335*/, v68 /*v324*/
	s_set_vgpr_msb 0x54                     ;  msbs: dst=1 src0=0 src1=1 src2=1
	v_add3_u32 v61 /*v317*/, v241, v64 /*v320*/, v61 /*v317*/
	s_set_vgpr_msb 1                        ;  msbs: dst=0 src0=1 src1=0 src2=0
	v_mul_i32_i24_e32 v241, v78 /*v334*/, v240
	s_set_vgpr_msb 0x41                     ;  msbs: dst=1 src0=1 src1=0 src2=0
	v_mul_i32_i24_e32 v64 /*v320*/, v79 /*v335*/, v242
	s_set_vgpr_msb 0x55                     ;  msbs: dst=1 src0=1 src1=1 src2=1
	v_add3_u32 v115 /*v371*/, v115 /*v371*/, v117 /*v373*/, v118 /*v374*/
	v_mul_i32_i24_e32 v117 /*v373*/, v80 /*v336*/, v65 /*v321*/
	s_set_vgpr_msb 0x51                     ;  msbs: dst=1 src0=1 src1=0 src2=1
	v_mad_i32_i24 v116 /*v372*/, v71 /*v327*/, v247, v116 /*v372*/
	v_mul_i32_i24_e32 v126 /*v382*/, v82 /*v338*/, v240
	s_set_vgpr_msb 0x55                     ;  msbs: dst=1 src0=1 src1=1 src2=1
	v_add3_u32 v127 /*v383*/, v127 /*v383*/, v128 /*v384*/, v129 /*v385*/
	s_set_vgpr_msb 0x41                     ;  msbs: dst=1 src0=1 src1=0 src2=0
	v_mul_i32_i24_e32 v128 /*v384*/, v83 /*v339*/, v242
	s_set_vgpr_msb 0x55                     ;  msbs: dst=1 src0=1 src1=1 src2=1
	v_mul_i32_i24_e32 v129 /*v385*/, v84 /*v340*/, v65 /*v321*/
	v_mad_i32_i24 v130 /*v386*/, v75 /*v331*/, v66 /*v322*/, v130 /*v386*/
	v_add3_u32 v133 /*v389*/, v133 /*v389*/, v134 /*v390*/, v135 /*v391*/
	v_mul_i32_i24_e32 v134 /*v390*/, v84 /*v340*/, v29 /*v285*/
	s_set_vgpr_msb 0x51                     ;  msbs: dst=1 src0=1 src1=0 src2=1
	v_mad_i32_i24 v136 /*v392*/, v75 /*v331*/, v239, v136 /*v392*/
	v_mad_i32_i24 v125 /*v381*/, v81 /*v337*/, v239, v125 /*v381*/
	s_set_vgpr_msb 64                       ;  msbs: dst=1 src0=0 src1=0 src2=0
	v_bfe_i32 v89 /*v345*/, v110, 0, 8
	v_bfe_i32 v91 /*v347*/, v110, 16, 8
	s_wait_dscnt 0x13
	v_dual_ashrrev_i32 v93 /*v349*/, 24, v110 :: v_dual_ashrrev_i32 v103 /*v359*/, 24, v249
	s_set_vgpr_msb 0x41                     ;  msbs: dst=1 src0=1 src1=0 src2=0
	v_mul_i32_i24_e32 v122 /*v378*/, v49 /*v305*/, v240
	v_mul_i32_i24_e32 v123 /*v379*/, v50 /*v306*/, v242
	s_set_vgpr_msb 0x55                     ;  msbs: dst=1 src0=1 src1=1 src2=1
	v_mul_i32_i24_e32 v118 /*v374*/, v82 /*v338*/, v67 /*v323*/
	v_add3_u32 v116 /*v372*/, v116 /*v372*/, v119 /*v375*/, v120 /*v376*/
	v_mul_i32_i24_e32 v119 /*v375*/, v83 /*v339*/, v68 /*v324*/
	v_mul_i32_i24_e32 v120 /*v376*/, v80 /*v336*/, v29 /*v285*/
	s_set_vgpr_msb 0x51                     ;  msbs: dst=1 src0=1 src1=0 src2=1
	v_mad_i32_i24 v121 /*v377*/, v46 /*v302*/, v239, v121 /*v377*/
	s_set_vgpr_msb 0x55                     ;  msbs: dst=1 src0=1 src1=1 src2=1
	v_add3_u32 v130 /*v386*/, v130 /*v386*/, v131 /*v387*/, v132 /*v388*/
	v_mul_i32_i24_e32 v131 /*v387*/, v86 /*v342*/, v67 /*v323*/
	v_mul_i32_i24_e32 v132 /*v388*/, v87 /*v343*/, v68 /*v324*/
	s_set_vgpr_msb 0x41                     ;  msbs: dst=1 src0=1 src1=0 src2=0
	v_mul_i32_i24_e32 v135 /*v391*/, v86 /*v342*/, v237
	s_set_vgpr_msb 17                       ;  msbs: dst=0 src0=1 src1=0 src2=1
	v_add3_u32 v241, v136 /*v392*/, v241, v64 /*v320*/
	s_set_vgpr_msb 0x45                     ;  msbs: dst=1 src0=1 src1=1 src2=0
	v_mul_i32_i24_e32 v64 /*v320*/, v87 /*v343*/, v31 /*v287*/
	s_set_vgpr_msb 0x41                     ;  msbs: dst=1 src0=1 src1=0 src2=0
	v_mul_i32_i24_e32 v136 /*v392*/, v84 /*v340*/, v238
	s_set_vgpr_msb 0x55                     ;  msbs: dst=1 src0=1 src1=1 src2=1
	v_mad_i32_i24 v117 /*v373*/, v81 /*v337*/, v66 /*v322*/, v117 /*v373*/
	v_add3_u32 v125 /*v381*/, v125 /*v381*/, v126 /*v382*/, v128 /*v384*/
	v_mul_i32_i24_e32 v128 /*v384*/, v88 /*v344*/, v29 /*v285*/
	v_mad_i32_i24 v129 /*v385*/, v85 /*v341*/, v66 /*v322*/, v129 /*v385*/
	v_mad_i32_i24 v134 /*v390*/, v85 /*v341*/, v28 /*v284*/, v134 /*v390*/
	s_wait_dscnt 0xe
	s_set_vgpr_msb 0                        ;  msbs: dst=0 src0=0 src1=0 src2=0
	v_dual_ashrrev_i32 v227, 24, v253 :: v_dual_bitop2_b32 v106, 15, v142 bitop3:0x40
	s_set_vgpr_msb 64                       ;  msbs: dst=1 src0=0 src1=0 src2=0
	v_bfe_i32 v100 /*v356*/, v249, 0, 8
	s_set_vgpr_msb 0x55                     ;  msbs: dst=1 src0=1 src1=1 src2=1
	v_add3_u32 v121 /*v377*/, v121 /*v377*/, v122 /*v378*/, v123 /*v379*/
	s_set_vgpr_msb 0x41                     ;  msbs: dst=1 src0=1 src1=0 src2=0
	v_mul_i32_i24_e32 v122 /*v378*/, v82 /*v338*/, v237
	s_set_vgpr_msb 0x55                     ;  msbs: dst=1 src0=1 src1=1 src2=1
	v_mul_i32_i24_e32 v123 /*v379*/, v83 /*v339*/, v31 /*v287*/
	v_add3_u32 v117 /*v373*/, v117 /*v373*/, v118 /*v374*/, v119 /*v375*/
	s_set_vgpr_msb 0x41                     ;  msbs: dst=1 src0=1 src1=0 src2=0
	v_mul_i32_i24_e32 v118 /*v374*/, v86 /*v342*/, v240
	v_mul_i32_i24_e32 v119 /*v375*/, v87 /*v343*/, v242
	s_set_vgpr_msb 0x55                     ;  msbs: dst=1 src0=1 src1=1 src2=1
	v_mad_i32_i24 v120 /*v376*/, v81 /*v337*/, v28 /*v284*/, v120 /*v376*/
	v_add3_u32 v129 /*v385*/, v129 /*v385*/, v131 /*v387*/, v132 /*v388*/
	s_set_vgpr_msb 0x41                     ;  msbs: dst=1 src0=1 src1=0 src2=0
	v_mul_i32_i24_e32 v131 /*v387*/, v91 /*v347*/, v237
	s_set_vgpr_msb 0x55                     ;  msbs: dst=1 src0=1 src1=1 src2=1
	v_mul_i32_i24_e32 v132 /*v388*/, v93 /*v349*/, v31 /*v287*/
	v_add3_u32 v64 /*v320*/, v134 /*v390*/, v135 /*v391*/, v64 /*v320*/
	s_set_vgpr_msb 0x51                     ;  msbs: dst=1 src0=1 src1=0 src2=1
	v_mul_i32_i24_e32 v134 /*v390*/, v88 /*v344*/, v238
	v_mad_i32_i24 v136 /*v392*/, v85 /*v341*/, v239, v136 /*v392*/
	s_set_vgpr_msb 0x55                     ;  msbs: dst=1 src0=1 src1=1 src2=1
	v_mad_i32_i24 v128 /*v384*/, v89 /*v345*/, v28 /*v284*/, v128 /*v384*/
	s_set_vgpr_msb 64                       ;  msbs: dst=1 src0=0 src1=0 src2=0
	v_bfe_u32 v69 /*v325*/, v142, 8, 4
	s_set_vgpr_msb 0                        ;  msbs: dst=0 src0=0 src1=0 src2=0
	v_bfe_u32 v116, v142, 24, 4
	v_bfe_u32 v110, v142, 16, 4
	s_set_vgpr_msb 64                       ;  msbs: dst=1 src0=0 src1=0 src2=0
	v_bfe_i32 v95 /*v351*/, v248, 16, 8
	v_bfe_i32 v101 /*v357*/, v249, 8, 8
	v_bfe_i32 v102 /*v358*/, v144, 16, 8
	s_set_vgpr_msb 0                        ;  msbs: dst=0 src0=0 src1=0 src2=0
	v_bfe_i32 v146, v253, 0, 8
	s_set_vgpr_msb 0x55                     ;  msbs: dst=1 src0=1 src1=1 src2=1
	v_add3_u32 v120 /*v376*/, v120 /*v376*/, v122 /*v378*/, v123 /*v379*/
	v_mul_i32_i24_e32 v122 /*v378*/, v88 /*v344*/, v65 /*v321*/
	s_set_vgpr_msb 0x41                     ;  msbs: dst=1 src0=1 src1=0 src2=0
	v_mul_i32_i24_e32 v135 /*v391*/, v91 /*v347*/, v240
	s_set_vgpr_msb 0x55                     ;  msbs: dst=1 src0=1 src1=1 src2=1
	v_add3_u32 v118 /*v374*/, v136 /*v392*/, v118 /*v374*/, v119 /*v375*/
	s_set_vgpr_msb 0x41                     ;  msbs: dst=1 src0=1 src1=0 src2=0
	v_mul_i32_i24_e32 v119 /*v375*/, v93 /*v349*/, v242
	s_set_vgpr_msb 0                        ;  msbs: dst=0 src0=0 src1=0 src2=0
	v_mul_i32_i24_e32 v245, v106, v245
	s_set_vgpr_msb 0x55                     ;  msbs: dst=1 src0=1 src1=1 src2=1
	v_add3_u32 v128 /*v384*/, v128 /*v384*/, v131 /*v387*/, v132 /*v388*/
	s_set_vgpr_msb 0x51                     ;  msbs: dst=1 src0=1 src1=0 src2=1
	v_mul_i32_i24_e32 v131 /*v387*/, v100 /*v356*/, v94
	v_mad_i32_i24 v134 /*v390*/, v89 /*v345*/, v239, v134 /*v390*/
	s_set_vgpr_msb 64                       ;  msbs: dst=1 src0=0 src1=0 src2=0
	v_bfe_i32 v5 /*v261*/, v81, 0, 8
	v_bfe_i32 v12 /*v268*/, v81, 8, 8
	v_bfe_i32 v30 /*v286*/, v81, 16, 8
	s_set_vgpr_msb 0                        ;  msbs: dst=0 src0=0 src1=0 src2=0
	v_bfe_u32 v81, v236, 20, 4
	s_set_vgpr_msb 64                       ;  msbs: dst=1 src0=0 src1=0 src2=0
	v_bfe_u32 v16 /*v272*/, v236, 4, 4
	v_bfe_i32 v96 /*v352*/, v250, 16, 8
	v_bfe_i32 v97 /*v353*/, v250, 0, 8
	;; [unrolled: 1-line block ×3, first 2 shown]
	s_set_vgpr_msb 0                        ;  msbs: dst=0 src0=0 src1=0 src2=0
	v_bfe_i32 v228, v253, 8, 8
	v_bfe_i32 v142, v145, 16, 8
	s_set_vgpr_msb 64                       ;  msbs: dst=1 src0=0 src1=0 src2=0
	v_bfe_i32 v18 /*v274*/, v251, 8, 8
	s_set_vgpr_msb 0                        ;  msbs: dst=0 src0=0 src1=0 src2=0
	v_bfe_i32 v112, v252, 16, 8
	s_set_vgpr_msb 0x45                     ;  msbs: dst=1 src0=1 src1=1 src2=0
	v_mul_i32_i24_e32 v123 /*v379*/, v91 /*v347*/, v67 /*v323*/
	v_mul_i32_i24_e32 v126 /*v382*/, v93 /*v349*/, v68 /*v324*/
	s_set_vgpr_msb 0                        ;  msbs: dst=0 src0=0 src1=0 src2=0
	v_mul_i32_i24_e32 v82, v116, v82
	v_mul_i32_i24_e32 v254, v110, v254
	s_set_vgpr_msb 0x55                     ;  msbs: dst=1 src0=1 src1=1 src2=1
	v_mul_i32_i24_e32 v136 /*v392*/, v95 /*v351*/, v15 /*v271*/
	v_mad_i32_i24 v122 /*v378*/, v89 /*v345*/, v66 /*v322*/, v122 /*v378*/
	v_mul_i32_i24_e32 v132 /*v388*/, v102 /*v358*/, v22 /*v278*/
	v_add3_u32 v119 /*v375*/, v134 /*v390*/, v135 /*v391*/, v119 /*v375*/
	s_set_vgpr_msb 0x41                     ;  msbs: dst=1 src0=1 src1=0 src2=0
	v_mul_i32_i24_e32 v134 /*v390*/, v103 /*v359*/, v93
	s_set_vgpr_msb 64                       ;  msbs: dst=1 src0=0 src1=0 src2=0
	v_mul_i32_i24_e32 v135 /*v391*/, v146, v207
	s_set_vgpr_msb 1                        ;  msbs: dst=0 src0=1 src1=0 src2=0
	v_mad_i32_i24 v245, v69 /*v325*/, v247, v245
	s_set_vgpr_msb 0x51                     ;  msbs: dst=1 src0=1 src1=0 src2=1
	v_mad_i32_i24 v131 /*v387*/, v101 /*v357*/, v85, v131 /*v387*/
	s_set_vgpr_msb 0                        ;  msbs: dst=0 src0=0 src1=0 src2=0
	v_bfe_i32 v219, v251, 0, 8
	v_bfe_i32 v150, v253, 16, 8
	v_ashrrev_i32_e32 v221, 24, v251
	s_set_vgpr_msb 64                       ;  msbs: dst=1 src0=0 src1=0 src2=0
	v_bfe_i32 v76 /*v332*/, v252, 8, 8
	v_bfe_i32 v77 /*v333*/, v252, 0, 8
	;; [unrolled: 1-line block ×3, first 2 shown]
	s_wait_dscnt 0xd
	s_set_vgpr_msb 0                        ;  msbs: dst=0 src0=0 src1=0 src2=0
	v_bfe_i32 v251, v114, 8, 8
	s_set_vgpr_msb 0x55                     ;  msbs: dst=1 src0=1 src1=1 src2=1
	v_add3_u32 v122 /*v378*/, v122 /*v378*/, v123 /*v379*/, v126 /*v382*/
	v_mul_i32_i24_e32 v123 /*v379*/, v97 /*v353*/, v16 /*v272*/
	v_mul_i32_i24_e32 v126 /*v382*/, v98 /*v354*/, v20 /*v276*/
	s_set_vgpr_msb 0                        ;  msbs: dst=0 src0=0 src1=0 src2=0
	v_mul_i32_i24_e32 v247, v142, v217
	v_add3_u32 v82, v245, v254, v82
	v_mul_i32_i24_e32 v245, v227, v209
	s_set_vgpr_msb 5                        ;  msbs: dst=0 src0=1 src1=1 src2=0
	v_mul_i32_i24_e32 v254, v18 /*v274*/, v34 /*v290*/
	s_set_vgpr_msb 0x51                     ;  msbs: dst=1 src0=1 src1=0 src2=1
	v_mad_i32_i24 v136 /*v392*/, v96 /*v352*/, v81, v136 /*v392*/
	s_set_vgpr_msb 0x55                     ;  msbs: dst=1 src0=1 src1=1 src2=1
	v_add3_u32 v131 /*v387*/, v132 /*v388*/, v134 /*v390*/, v131 /*v387*/
	s_set_vgpr_msb 0x44                     ;  msbs: dst=1 src0=0 src1=1 src2=0
	v_mul_i32_i24_e32 v132 /*v388*/, v112, v90 /*v346*/
	s_set_vgpr_msb 0x50                     ;  msbs: dst=1 src0=0 src1=0 src2=1
	v_mad_i32_i24 v135 /*v391*/, v228, v210, v135 /*v391*/
	s_set_vgpr_msb 0                        ;  msbs: dst=0 src0=0 src1=0 src2=0
	v_bfe_i32 v253, v114, 0, 8
	s_set_vgpr_msb 64                       ;  msbs: dst=1 src0=0 src1=0 src2=0
	v_bfe_i32 v104 /*v360*/, v114, 16, 8
	v_dual_ashrrev_i32 v106 /*v362*/, 24, v114 :: v_dual_ashrrev_i32 v111 /*v367*/, 24, v132
	s_set_vgpr_msb 0                        ;  msbs: dst=0 src0=0 src1=0 src2=0
	v_lshrrev_b16 v114, 8, v250
	v_ashrrev_i32_e32 v250, 24, v250
	s_set_vgpr_msb 0x55                     ;  msbs: dst=1 src0=1 src1=1 src2=1
	v_add3_u32 v123 /*v379*/, v123 /*v379*/, v126 /*v382*/, v136 /*v392*/
	s_set_vgpr_msb 64                       ;  msbs: dst=1 src0=0 src1=0 src2=0
	v_mul_i32_i24_e32 v126 /*v382*/, v150, v208
	s_set_vgpr_msb 0x44                     ;  msbs: dst=1 src0=0 src1=1 src2=0
	v_mul_i32_i24_e32 v136 /*v392*/, v221, v13 /*v269*/
	s_set_vgpr_msb 0x45                     ;  msbs: dst=1 src0=1 src1=1 src2=0
	v_mul_i32_i24_e32 v134 /*v390*/, v77 /*v333*/, v94 /*v350*/
	s_set_vgpr_msb 16                       ;  msbs: dst=0 src0=0 src1=0 src2=1
	v_add3_u32 v247, v247, v245, v135 /*v391*/
	s_set_vgpr_msb 5                        ;  msbs: dst=0 src0=1 src1=1 src2=0
	v_mul_i32_i24_e32 v245, v21 /*v277*/, v36 /*v292*/
	s_set_vgpr_msb 0x44                     ;  msbs: dst=1 src0=0 src1=1 src2=0
	v_mul_i32_i24_e32 v135 /*v391*/, v251, v65 /*v321*/
	s_set_vgpr_msb 4                        ;  msbs: dst=0 src0=0 src1=1 src2=0
	v_mad_i32_i24 v254, v219, v9 /*v265*/, v254
	s_set_vgpr_msb 0x55                     ;  msbs: dst=1 src0=1 src1=1 src2=1
	v_mad_i32_i24 v132 /*v388*/, v76 /*v332*/, v92 /*v348*/, v132 /*v388*/
	s_set_vgpr_msb 0x54                     ;  msbs: dst=1 src0=0 src1=1 src2=1
	v_bfe_u32 v60 /*v316*/, v147, 8, 4
	v_bfe_u32 v63 /*v319*/, v147, 24, 4
	v_mad_i32_i24 v135 /*v391*/, v253, v66 /*v322*/, v135 /*v391*/
	s_set_vgpr_msb 5                        ;  msbs: dst=0 src0=1 src1=1 src2=0
	v_add3_u32 v254, v126 /*v382*/, v136 /*v392*/, v254
	s_set_vgpr_msb 0x45                     ;  msbs: dst=1 src0=1 src1=1 src2=0
	v_mul_i32_i24_e32 v126 /*v382*/, v104 /*v360*/, v67 /*v323*/
	v_mul_i32_i24_e32 v136 /*v392*/, v106 /*v362*/, v68 /*v324*/
	s_set_vgpr_msb 0x54                     ;  msbs: dst=1 src0=0 src1=1 src2=1
	v_add3_u32 v132 /*v388*/, v245, v134 /*v390*/, v132 /*v388*/
	s_set_vgpr_msb 4                        ;  msbs: dst=0 src0=0 src1=1 src2=0
	v_mul_i32_i24_e32 v245, v251, v29 /*v285*/
	s_set_vgpr_msb 0x41                     ;  msbs: dst=1 src0=1 src1=0 src2=0
	v_mul_i32_i24_e32 v134 /*v390*/, v104 /*v360*/, v237
	s_set_vgpr_msb 64                       ;  msbs: dst=1 src0=0 src1=0 src2=0
	v_bfe_i32 v138 /*v394*/, v114, 0, 8
	s_set_vgpr_msb 0x55                     ;  msbs: dst=1 src0=1 src1=1 src2=1
	v_add3_u32 v126 /*v382*/, v135 /*v391*/, v126 /*v382*/, v136 /*v392*/
	v_mul_i32_i24_e32 v135 /*v391*/, v106 /*v362*/, v31 /*v287*/
	s_set_vgpr_msb 64                       ;  msbs: dst=1 src0=0 src1=0 src2=0
	v_mul_i32_i24_e32 v136 /*v392*/, v251, v238
	s_set_vgpr_msb 4                        ;  msbs: dst=0 src0=0 src1=1 src2=0
	v_mad_i32_i24 v245, v253, v28 /*v284*/, v245
	s_set_vgpr_msb 64                       ;  msbs: dst=1 src0=0 src1=0 src2=0
	v_bfe_u32 v108 /*v364*/, v143, 8, 4
	v_bfe_u32 v109 /*v365*/, v143, 24, 4
	s_set_vgpr_msb 5                        ;  msbs: dst=0 src0=1 src1=1 src2=0
	v_mul_i32_i24_e32 v114, v138 /*v394*/, v29 /*v285*/
	s_set_vgpr_msb 0x50                     ;  msbs: dst=1 src0=0 src1=0 src2=1
	v_mad_i32_i24 v136 /*v392*/, v253, v239, v136 /*v392*/
	s_set_vgpr_msb 0x54                     ;  msbs: dst=1 src0=0 src1=1 src2=1
	v_add3_u32 v134 /*v390*/, v245, v134 /*v390*/, v135 /*v391*/
	s_set_vgpr_msb 1                        ;  msbs: dst=0 src0=1 src1=0 src2=0
	v_mul_i32_i24_e32 v245, v104 /*v360*/, v240
	s_set_vgpr_msb 0x41                     ;  msbs: dst=1 src0=1 src1=0 src2=0
	v_mul_i32_i24_e32 v135 /*v391*/, v106 /*v362*/, v242
	s_set_vgpr_msb 5                        ;  msbs: dst=0 src0=1 src1=1 src2=0
	v_mad_i32_i24 v114, v97 /*v353*/, v28 /*v284*/, v114
	s_set_vgpr_msb 64                       ;  msbs: dst=1 src0=0 src1=0 src2=0
	v_bfe_i32 v110 /*v366*/, v132, 8, 8
	s_wait_dscnt 0xc
	v_bfe_i32 v112 /*v368*/, v134, 8, 8
	v_ashrrev_i32_e32 v113 /*v369*/, 24, v134
	s_set_vgpr_msb 0x51                     ;  msbs: dst=1 src0=1 src1=0 src2=1
	v_add3_u32 v135 /*v391*/, v136 /*v392*/, v245, v135 /*v391*/
	s_set_vgpr_msb 5                        ;  msbs: dst=0 src0=1 src1=1 src2=0
	v_mul_i32_i24_e32 v245, v52 /*v308*/, v37 /*v293*/
	s_set_vgpr_msb 0x45                     ;  msbs: dst=1 src0=1 src1=1 src2=0
	v_mul_i32_i24_e32 v136 /*v392*/, v54 /*v310*/, v39 /*v295*/
	s_wait_dscnt 0xa
	s_set_vgpr_msb 64                       ;  msbs: dst=1 src0=0 src1=0 src2=0
	v_bfe_i32 v114 /*v370*/, v136, 8, 8
	s_wait_dscnt 0x8
	v_bfe_i32 v137 /*v393*/, v138, 8, 8
	s_set_vgpr_msb 0                        ;  msbs: dst=0 src0=0 src1=0 src2=0
	v_bfe_i32 v232, v243, 0, 8
	s_set_vgpr_msb 64                       ;  msbs: dst=1 src0=0 src1=0 src2=0
	v_bfe_u32 v45 /*v301*/, v152, 8, 4
	s_set_vgpr_msb 0x45                     ;  msbs: dst=1 src0=1 src1=1 src2=0
	v_add3_u32 v115 /*v371*/, v115 /*v371*/, v136 /*v392*/, v245
	s_set_vgpr_msb 1                        ;  msbs: dst=0 src0=1 src1=0 src2=0
	v_mul_i32_i24_e32 v245, v28 /*v284*/, v255
	s_set_vgpr_msb 0x45                     ;  msbs: dst=1 src0=1 src1=1 src2=0
	v_mul_i32_i24_e32 v136 /*v392*/, v29 /*v285*/, v0 /*v256*/
	s_set_vgpr_msb 0x44                     ;  msbs: dst=1 src0=0 src1=1 src2=0
	v_mul_i32_i24_e32 v28 /*v284*/, v250, v68 /*v324*/
	s_set_vgpr_msb 0                        ;  msbs: dst=0 src0=0 src1=0 src2=0
	v_bfe_u32 v236, v152, 24, 4
	s_set_vgpr_msb 64                       ;  msbs: dst=1 src0=0 src1=0 src2=0
	v_bfe_u32 v139 /*v395*/, v152, 16, 4
	v_bfe_u32 v140 /*v396*/, v143, 16, 4
	s_set_vgpr_msb 0x45                     ;  msbs: dst=1 src0=1 src1=1 src2=0
	v_add3_u32 v116 /*v372*/, v116 /*v372*/, v136 /*v392*/, v245
	s_set_vgpr_msb 5                        ;  msbs: dst=0 src0=1 src1=1 src2=0
	v_mul_i32_i24_e32 v245, v52 /*v308*/, v60 /*v316*/
	s_set_vgpr_msb 0x45                     ;  msbs: dst=1 src0=1 src1=1 src2=0
	v_mul_i32_i24_e32 v136 /*v392*/, v54 /*v310*/, v63 /*v319*/
	s_set_vgpr_msb 64                       ;  msbs: dst=1 src0=0 src1=0 src2=0
	v_bfe_i32 v148 /*v404*/, v148, 16, 8
	s_wait_dscnt 0x7
	v_bfe_i32 v141 /*v397*/, v129, 8, 8
	v_bfe_i32 v142 /*v398*/, v129, 16, 8
	s_wait_dscnt 0x5
	v_ashrrev_i32_e32 v143 /*v399*/, 24, v121
	s_set_vgpr_msb 0x45                     ;  msbs: dst=1 src0=1 src1=1 src2=0
	v_add3_u32 v121 /*v377*/, v121 /*v377*/, v136 /*v392*/, v245
	s_set_vgpr_msb 0                        ;  msbs: dst=0 src0=0 src1=0 src2=0
	v_mul_i32_i24_e32 v245, v239, v255
	s_set_vgpr_msb 0x44                     ;  msbs: dst=1 src0=0 src1=1 src2=0
	v_mul_i32_i24_e32 v136 /*v392*/, v238, v0 /*v256*/
	s_set_vgpr_msb 1                        ;  msbs: dst=0 src0=1 src1=0 src2=0
	v_mul_i32_i24_e32 v238, v138 /*v394*/, v238
	s_wait_dscnt 0x4
	s_set_vgpr_msb 64                       ;  msbs: dst=1 src0=0 src1=0 src2=0
	v_bfe_i32 v157 /*v413*/, v96, 0, 8
	v_bfe_i32 v158 /*v414*/, v96, 8, 8
	;; [unrolled: 1-line block ×3, first 2 shown]
	s_set_vgpr_msb 0x45                     ;  msbs: dst=1 src0=1 src1=1 src2=0
	v_add3_u32 v124 /*v380*/, v124 /*v380*/, v136 /*v392*/, v245
	s_set_vgpr_msb 5                        ;  msbs: dst=0 src0=1 src1=1 src2=0
	v_mul_i32_i24_e32 v245, v52 /*v308*/, v108 /*v364*/
	s_set_vgpr_msb 0x45                     ;  msbs: dst=1 src0=1 src1=1 src2=0
	v_mul_i32_i24_e32 v136 /*v392*/, v54 /*v310*/, v109 /*v365*/
	s_set_vgpr_msb 1                        ;  msbs: dst=0 src0=1 src1=0 src2=0
	v_mad_i32_i24 v238, v97 /*v353*/, v239, v238
	s_set_vgpr_msb 5                        ;  msbs: dst=0 src0=1 src1=1 src2=0
	v_mul_i32_i24_e32 v239, v138 /*v394*/, v65 /*v321*/
	s_wait_dscnt 0x0
	s_set_vgpr_msb 64                       ;  msbs: dst=1 src0=0 src1=0 src2=0
	v_bfe_i32 v159 /*v415*/, v98, 0, 8
	v_bfe_i32 v160 /*v416*/, v98, 8, 8
	s_set_vgpr_msb 0x45                     ;  msbs: dst=1 src0=1 src1=1 src2=0
	v_add3_u32 v127 /*v383*/, v127 /*v383*/, v136 /*v392*/, v245
	s_set_vgpr_msb 5                        ;  msbs: dst=0 src0=1 src1=1 src2=0
	v_mul_i32_i24_e32 v245, v96 /*v352*/, v67 /*v323*/
	v_mad_i32_i24 v239, v97 /*v353*/, v66 /*v322*/, v239
	s_set_vgpr_msb 0x50                     ;  msbs: dst=1 src0=0 src1=0 src2=1
	v_dual_ashrrev_i32 v136 /*v392*/, 24, v136 :: v_dual_ashrrev_i32 v97 /*v353*/, 24, v138
	v_bfe_i32 v167 /*v423*/, v98, 16, 8
	v_dual_lshrrev_b32 v169 /*v425*/, 16, v233 :: v_dual_lshrrev_b32 v170 /*v426*/, 16, v87
	v_add3_u32 v28 /*v284*/, v239, v245, v28 /*v284*/
	s_set_vgpr_msb 1                        ;  msbs: dst=0 src0=1 src1=0 src2=0
	v_mul_i32_i24_e32 v239, v96 /*v352*/, v237
	s_set_vgpr_msb 4                        ;  msbs: dst=0 src0=0 src1=1 src2=0
	v_mul_i32_i24_e32 v245, v250, v31 /*v287*/
	s_set_vgpr_msb 64                       ;  msbs: dst=1 src0=0 src1=0 src2=0
	v_dual_lshrrev_b32 v171 /*v427*/, 16, v86 :: v_dual_lshrrev_b32 v172 /*v428*/, 16, v91
	v_dual_lshrrev_b32 v174 /*v430*/, 16, v231 :: v_dual_lshrrev_b32 v175 /*v431*/, 16, v230
	s_delay_alu instid0(VALU_DEP_3)
	v_add3_u32 v29 /*v285*/, v114, v239, v245
	s_set_vgpr_msb 1                        ;  msbs: dst=0 src0=1 src1=0 src2=0
	v_mul_i32_i24_e32 v239, v96 /*v352*/, v240
	s_set_vgpr_msb 0                        ;  msbs: dst=0 src0=0 src1=0 src2=0
	v_mul_i32_i24_e32 v245, v250, v242
	s_set_vgpr_msb 4                        ;  msbs: dst=0 src0=0 src1=1 src2=0
	v_lshrrev_b16 v114, 8, v17 /*v273*/
	s_set_vgpr_msb 64                       ;  msbs: dst=1 src0=0 src1=0 src2=0
	v_lshrrev_b32_e32 v176 /*v432*/, 16, v229
	v_bfe_i32 v144 /*v400*/, v107, 8, 8
	v_bfe_i32 v145 /*v401*/, v111, 8, 8
	s_set_vgpr_msb 0                        ;  msbs: dst=0 src0=0 src1=0 src2=0
	v_add3_u32 v238, v238, v239, v245
	s_set_vgpr_msb 5                        ;  msbs: dst=0 src0=1 src1=1 src2=0
	v_mul_i32_i24_e32 v239, v110 /*v366*/, v108 /*v364*/
	v_mul_i32_i24_e32 v245, v111 /*v367*/, v109 /*v365*/
	s_set_vgpr_msb 0                        ;  msbs: dst=0 src0=0 src1=0 src2=0
	v_and_b32_e32 v114, 15, v114
	s_set_vgpr_msb 64                       ;  msbs: dst=1 src0=0 src1=0 src2=0
	v_bfe_i32 v146 /*v402*/, v115, 8, 8
	v_bfe_i32 v162 /*v418*/, v104, 16, 8
	;; [unrolled: 1-line block ×3, first 2 shown]
	s_set_vgpr_msb 0x41                     ;  msbs: dst=1 src0=1 src1=0 src2=0
	v_add3_u32 v17 /*v273*/, v130 /*v386*/, v245, v239
	s_set_vgpr_msb 5                        ;  msbs: dst=0 src0=1 src1=1 src2=0
	v_mul_i32_i24_e32 v239, v110 /*v366*/, v37 /*v293*/
	v_mul_i32_i24_e32 v245, v111 /*v367*/, v39 /*v295*/
	s_set_vgpr_msb 64                       ;  msbs: dst=1 src0=0 src1=0 src2=0
	v_bfe_i32 v166 /*v422*/, v100, 16, 8
	v_bfe_i32 v153 /*v409*/, v104, 0, 8
	;; [unrolled: 1-line block ×4, first 2 shown]
	s_set_vgpr_msb 0x41                     ;  msbs: dst=1 src0=1 src1=0 src2=0
	v_add3_u32 v96 /*v352*/, v133 /*v389*/, v245, v239
	s_set_vgpr_msb 5                        ;  msbs: dst=0 src0=1 src1=1 src2=0
	v_mul_i32_i24_e32 v239, v110 /*v366*/, v60 /*v316*/
	v_mul_i32_i24_e32 v245, v111 /*v367*/, v63 /*v319*/
	s_set_vgpr_msb 64                       ;  msbs: dst=1 src0=0 src1=0 src2=0
	v_ashrrev_i32_e32 v133 /*v389*/, 24, v243
	v_bfe_i32 v156 /*v412*/, v102, 8, 8
	v_bfe_i32 v161 /*v417*/, v100, 0, 8
	s_set_vgpr_msb 0                        ;  msbs: dst=0 src0=0 src1=0 src2=0
	v_dual_ashrrev_i32 v104, 24, v104 :: v_dual_ashrrev_i32 v102, 24, v102
	s_set_vgpr_msb 64                       ;  msbs: dst=1 src0=0 src1=0 src2=0
	v_add3_u32 v130 /*v386*/, v241, v245, v239
	s_set_vgpr_msb 5                        ;  msbs: dst=0 src0=1 src1=1 src2=0
	v_mul_i32_i24_e32 v239, v112 /*v368*/, v108 /*v364*/
	v_mul_i32_i24_e32 v241, v113 /*v369*/, v109 /*v365*/
	s_set_vgpr_msb 0                        ;  msbs: dst=0 src0=0 src1=0 src2=0
	v_bfe_u32 v245, v153, 8, 4
	s_set_vgpr_msb 64                       ;  msbs: dst=1 src0=0 src1=0 src2=0
	v_bfe_i32 v164 /*v420*/, v100, 8, 8
	s_set_vgpr_msb 0                        ;  msbs: dst=0 src0=0 src1=0 src2=0
	v_dual_ashrrev_i32 v100, 24, v100 :: v_dual_add_nc_u32 v194, 16, v194
	v_add_nc_u32_e32 v193, 4, v193
	s_set_vgpr_msb 0x41                     ;  msbs: dst=1 src0=1 src1=0 src2=0
	v_add3_u32 v117 /*v373*/, v117 /*v373*/, v241, v239
	s_set_vgpr_msb 5                        ;  msbs: dst=0 src0=1 src1=1 src2=0
	v_mul_i32_i24_e32 v239, v112 /*v368*/, v37 /*v293*/
	v_mul_i32_i24_e32 v241, v113 /*v369*/, v39 /*v295*/
	s_set_vgpr_msb 0                        ;  msbs: dst=0 src0=0 src1=0 src2=0
	v_dual_add_nc_u32 v192, 4, v192 :: v_dual_add_nc_u32 v191, 4, v191
	v_dual_add_nc_u32 v190, 4, v190 :: v_dual_add_nc_u32 v189, 4, v189
	s_set_vgpr_msb 0x41                     ;  msbs: dst=1 src0=1 src1=0 src2=0
	v_add3_u32 v120 /*v376*/, v120 /*v376*/, v241, v239
	s_set_vgpr_msb 5                        ;  msbs: dst=0 src0=1 src1=1 src2=0
	v_mul_i32_i24_e32 v239, v112 /*v368*/, v60 /*v316*/
	v_mul_i32_i24_e32 v241, v113 /*v369*/, v63 /*v319*/
	s_set_vgpr_msb 0                        ;  msbs: dst=0 src0=0 src1=0 src2=0
	v_add_nc_u32_e32 v188, 32, v188
	s_add_co_i32 s12, s12, 4
	s_set_vgpr_msb 64                       ;  msbs: dst=1 src0=0 src1=0 src2=0
	v_ashrrev_i32_e32 v168 /*v424*/, 24, v98
	s_set_vgpr_msb 0                        ;  msbs: dst=0 src0=0 src1=0 src2=0
	v_lshrrev_b32_e32 v98, 16, v84
	s_set_vgpr_msb 0x41                     ;  msbs: dst=1 src0=1 src1=0 src2=0
	v_add3_u32 v125 /*v381*/, v125 /*v381*/, v241, v239
	s_set_vgpr_msb 5                        ;  msbs: dst=0 src0=1 src1=1 src2=0
	v_mul_i32_i24_e32 v239, v114 /*v370*/, v108 /*v364*/
	v_mul_i32_i24_e32 v241, v136 /*v392*/, v109 /*v365*/
	s_cmp_lt_u32 s12, 12
	s_set_vgpr_msb 0x41                     ;  msbs: dst=1 src0=1 src1=0 src2=0
	v_lshrrev_b32_e32 v173 /*v429*/, 16, v92
	s_delay_alu instid0(VALU_DEP_2) | instskip(SKIP_4) | instid1(VALU_DEP_1)
	v_add3_u32 v129 /*v385*/, v129 /*v385*/, v241, v239
	s_set_vgpr_msb 5                        ;  msbs: dst=0 src0=1 src1=1 src2=0
	v_mul_i32_i24_e32 v239, v114 /*v370*/, v37 /*v293*/
	v_mul_i32_i24_e32 v241, v136 /*v392*/, v39 /*v295*/
	s_set_vgpr_msb 0x41                     ;  msbs: dst=1 src0=1 src1=0 src2=0
	v_add3_u32 v64 /*v320*/, v64 /*v320*/, v241, v239
	s_set_vgpr_msb 5                        ;  msbs: dst=0 src0=1 src1=1 src2=0
	v_mul_i32_i24_e32 v239, v114 /*v370*/, v60 /*v316*/
	v_mul_i32_i24_e32 v241, v136 /*v392*/, v63 /*v319*/
	s_set_vgpr_msb 0x41                     ;  msbs: dst=1 src0=1 src1=0 src2=0
	s_delay_alu instid0(VALU_DEP_1) | instskip(SKIP_4) | instid1(VALU_DEP_1)
	v_add3_u32 v118 /*v374*/, v118 /*v374*/, v241, v239
	s_set_vgpr_msb 5                        ;  msbs: dst=0 src0=1 src1=1 src2=0
	v_mul_i32_i24_e32 v239, v137 /*v393*/, v108 /*v364*/
	v_mul_i32_i24_e32 v241, v97 /*v353*/, v109 /*v365*/
	s_set_vgpr_msb 0x41                     ;  msbs: dst=1 src0=1 src1=0 src2=0
	v_add3_u32 v122 /*v378*/, v122 /*v378*/, v241, v239
	s_set_vgpr_msb 5                        ;  msbs: dst=0 src0=1 src1=1 src2=0
	v_mul_i32_i24_e32 v239, v137 /*v393*/, v37 /*v293*/
	v_mul_i32_i24_e32 v241, v97 /*v353*/, v39 /*v295*/
	s_set_vgpr_msb 0x41                     ;  msbs: dst=1 src0=1 src1=0 src2=0
	s_delay_alu instid0(VALU_DEP_1)
	v_add3_u32 v128 /*v384*/, v128 /*v384*/, v241, v239
	s_set_vgpr_msb 5                        ;  msbs: dst=0 src0=1 src1=1 src2=0
	v_mul_i32_i24_e32 v239, v137 /*v393*/, v60 /*v316*/
	v_mul_i32_i24_e32 v241, v97 /*v353*/, v63 /*v319*/
	s_set_vgpr_msb 0x45                     ;  msbs: dst=1 src0=1 src1=1 src2=0
	v_mul_i32_i24_e32 v97 /*v353*/, v97 /*v353*/, v23 /*v279*/
	s_set_vgpr_msb 0x41                     ;  msbs: dst=1 src0=1 src1=0 src2=0
	s_delay_alu instid0(VALU_DEP_2)
	v_add3_u32 v119 /*v375*/, v119 /*v375*/, v241, v239
	s_set_vgpr_msb 0                        ;  msbs: dst=0 src0=0 src1=0 src2=0
	v_bfe_i32 v239, v243, 8, 8
	v_bfe_i32 v241, v243, 16, 8
	v_and_b32_e32 v243, 0xffff, v114
	s_set_vgpr_msb 4                        ;  msbs: dst=0 src0=0 src1=1 src2=0
	s_delay_alu instid0(VALU_DEP_1) | instskip(SKIP_3) | instid1(VALU_DEP_2)
	v_mul_i32_i24_e32 v114, v243, v47 /*v303*/
	s_set_vgpr_msb 64                       ;  msbs: dst=1 src0=0 src1=0 src2=0
	v_bfe_u32 v47 /*v303*/, v152, 4, 4
	s_set_vgpr_msb 0x45                     ;  msbs: dst=1 src0=1 src1=1 src2=0
	v_mad_i32_i24 v46 /*v302*/, v16 /*v272*/, v46 /*v302*/, v114
	s_set_vgpr_msb 4                        ;  msbs: dst=0 src0=0 src1=1 src2=0
	v_mul_i32_i24_e32 v114, v243, v72 /*v328*/
	s_set_vgpr_msb 0x45                     ;  msbs: dst=1 src0=1 src1=1 src2=0
	s_delay_alu instid0(VALU_DEP_1)
	v_mad_i32_i24 v72 /*v328*/, v16 /*v272*/, v75 /*v331*/, v114
	s_set_vgpr_msb 4                        ;  msbs: dst=0 src0=0 src1=1 src2=0
	v_mul_i32_i24_e32 v114, v243, v80 /*v336*/
	s_set_vgpr_msb 64                       ;  msbs: dst=1 src0=0 src1=0 src2=0
	v_bfe_u32 v75 /*v331*/, v152, 12, 4
	s_set_vgpr_msb 0x45                     ;  msbs: dst=1 src0=1 src1=1 src2=0
	s_delay_alu instid0(VALU_DEP_2)
	v_mad_i32_i24 v80 /*v336*/, v16 /*v272*/, v81 /*v337*/, v114
	s_set_vgpr_msb 4                        ;  msbs: dst=0 src0=0 src1=1 src2=0
	v_mul_i32_i24_e32 v114, v243, v84 /*v340*/
	s_set_vgpr_msb 64                       ;  msbs: dst=1 src0=0 src1=0 src2=0
	v_lshrrev_b32_e32 v81 /*v337*/, 28, v152
	s_set_vgpr_msb 0x45                     ;  msbs: dst=1 src0=1 src1=1 src2=0
	s_delay_alu instid0(VALU_DEP_2)
	v_mad_i32_i24 v84 /*v340*/, v16 /*v272*/, v85 /*v341*/, v114
	s_set_vgpr_msb 4                        ;  msbs: dst=0 src0=0 src1=1 src2=0
	v_mul_i32_i24_e32 v114, v243, v88 /*v344*/
	s_set_vgpr_msb 64                       ;  msbs: dst=1 src0=0 src1=0 src2=0
	v_bfe_u32 v85 /*v341*/, v152, 20, 4
	s_set_vgpr_msb 4                        ;  msbs: dst=0 src0=0 src1=1 src2=0
	v_mul_i32_i24_e32 v152, v243, v0 /*v256*/
	s_set_vgpr_msb 0x45                     ;  msbs: dst=1 src0=1 src1=1 src2=0
	v_mad_i32_i24 v88 /*v344*/, v16 /*v272*/, v89 /*v345*/, v114
	s_set_vgpr_msb 0                        ;  msbs: dst=0 src0=0 src1=0 src2=0
	v_mul_i32_i24_e32 v114, v243, v251
	s_set_vgpr_msb 64                       ;  msbs: dst=1 src0=0 src1=0 src2=0
	v_bfe_i32 v89 /*v345*/, v249, 16, 8
	s_set_vgpr_msb 4                        ;  msbs: dst=0 src0=0 src1=1 src2=0
	v_lshrrev_b16 v249, 8, v24 /*v280*/
	s_set_vgpr_msb 64                       ;  msbs: dst=1 src0=0 src1=0 src2=0
	v_bfe_i32 v24 /*v280*/, v145, 0, 8
	s_set_vgpr_msb 1                        ;  msbs: dst=0 src0=1 src1=0 src2=0
	v_mul_i32_i24_e32 v243, v138 /*v394*/, v243
	v_mad_i32_i24 v251, v16 /*v272*/, v253, v114
	v_mul_i32_i24_e32 v114, v16 /*v272*/, v255
	s_set_vgpr_msb 64                       ;  msbs: dst=1 src0=0 src1=0 src2=0
	v_ashrrev_i32_e32 v16 /*v272*/, 24, v248
	v_bfe_u32 v138 /*v394*/, v147, 16, 4
	s_set_vgpr_msb 1                        ;  msbs: dst=0 src0=1 src1=0 src2=0
	v_add3_u32 v253, v61 /*v317*/, v152, v114
	v_mul_i32_i24_e32 v114, v66 /*v322*/, v255
	s_set_vgpr_msb 5                        ;  msbs: dst=0 src0=1 src1=1 src2=0
	v_mul_i32_i24_e32 v255, v65 /*v321*/, v0 /*v256*/
	s_set_vgpr_msb 64                       ;  msbs: dst=1 src0=0 src1=0 src2=0
	v_bfe_i32 v61 /*v317*/, v248, 8, 8
	v_dual_ashrrev_i32 v0 /*v256*/, 24, v145 :: v_dual_ashrrev_i32 v66 /*v322*/, 24, v130
	s_set_vgpr_msb 0                        ;  msbs: dst=0 src0=0 src1=0 src2=0
	v_bfe_u32 v248, v153, 24, 4
	v_add3_u32 v82, v82, v255, v114
	v_bfe_i32 v255, v145, 8, 8
	v_ashrrev_i32_e32 v114, 24, v252
	s_set_vgpr_msb 5                        ;  msbs: dst=0 src0=1 src1=1 src2=0
	v_mul_i32_i24_e32 v145, v16 /*v272*/, v23 /*v279*/
	s_set_vgpr_msb 0                        ;  msbs: dst=0 src0=0 src1=0 src2=0
	v_and_b32_e32 v252, 0xffff, v249
	v_bfe_i32 v152, v149, 8, 8
	s_set_vgpr_msb 4                        ;  msbs: dst=0 src0=0 src1=1 src2=0
	v_mad_i32_i24 v145, v250, v19 /*v275*/, v145
	s_set_vgpr_msb 1                        ;  msbs: dst=0 src0=1 src1=0 src2=0
	v_mul_i32_i24_e32 v249, v61 /*v317*/, v252
	s_set_vgpr_msb 0                        ;  msbs: dst=0 src0=0 src1=0 src2=0
	v_bfe_i32 v250, v130, 8, 8
	s_delay_alu instid0(VALU_DEP_2)
	v_add3_u32 v249, v243, v249, v145
	s_set_vgpr_msb 1                        ;  msbs: dst=0 src0=1 src1=0 src2=0
	v_mul_i32_i24_e32 v145, v0 /*v256*/, v224
	s_set_vgpr_msb 0                        ;  msbs: dst=0 src0=0 src1=0 src2=0
	v_mul_i32_i24_e32 v243, v255, v222
	s_set_vgpr_msb 1                        ;  msbs: dst=0 src0=1 src1=0 src2=0
	s_delay_alu instid0(VALU_DEP_2) | instskip(NEXT) | instid1(VALU_DEP_2)
	v_mad_i32_i24 v145, v89 /*v345*/, v95, v145
	v_mad_i32_i24 v243, v24 /*v280*/, v223, v243
	s_set_vgpr_msb 64                       ;  msbs: dst=1 src0=0 src1=0 src2=0
	s_delay_alu instid0(VALU_DEP_1)
	v_add3_u32 v65 /*v321*/, v145, v243, v247
	s_set_vgpr_msb 4                        ;  msbs: dst=0 src0=0 src1=1 src2=0
	v_mul_i32_i24_e32 v145, v114, v48 /*v304*/
	s_set_vgpr_msb 5                        ;  msbs: dst=0 src0=1 src1=1 src2=0
	v_mul_i32_i24_e32 v243, v66 /*v322*/, v109 /*v365*/
	s_set_vgpr_msb 4                        ;  msbs: dst=0 src0=0 src1=1 src2=0
	v_bfe_u32 v247, v153, 16, 4
	v_add3_u32 v254, v254, v132 /*v388*/, v145
	v_mul_i32_i24_e32 v145, v250, v108 /*v364*/
	s_set_vgpr_msb 64                       ;  msbs: dst=1 src0=0 src1=0 src2=0
	s_delay_alu instid0(VALU_DEP_3) | instskip(SKIP_1) | instid1(VALU_DEP_2)
	v_mul_i32_i24_e32 v147 /*v403*/, v212, v247
	s_set_vgpr_msb 0x41                     ;  msbs: dst=1 src0=1 src1=0 src2=0
	v_add3_u32 v126 /*v382*/, v126 /*v382*/, v243, v145
	s_set_vgpr_msb 4                        ;  msbs: dst=0 src0=0 src1=1 src2=0
	v_mul_i32_i24_e32 v145, v250, v37 /*v293*/
	s_set_vgpr_msb 5                        ;  msbs: dst=0 src0=1 src1=1 src2=0
	v_mul_i32_i24_e32 v243, v66 /*v322*/, v39 /*v295*/
	s_set_vgpr_msb 0x41                     ;  msbs: dst=1 src0=1 src1=0 src2=0
	s_delay_alu instid0(VALU_DEP_1)
	v_add3_u32 v132 /*v388*/, v134 /*v390*/, v243, v145
	s_set_vgpr_msb 4                        ;  msbs: dst=0 src0=0 src1=1 src2=0
	v_mul_i32_i24_e32 v145, v250, v60 /*v316*/
	s_set_vgpr_msb 5                        ;  msbs: dst=0 src0=1 src1=1 src2=0
	v_mul_i32_i24_e32 v243, v66 /*v322*/, v63 /*v319*/
	s_set_vgpr_msb 0x45                     ;  msbs: dst=1 src0=1 src1=1 src2=0
	v_mul_i32_i24_e32 v66 /*v322*/, v66 /*v322*/, v23 /*v279*/
	s_set_vgpr_msb 0                        ;  msbs: dst=0 src0=0 src1=0 src2=0
	v_mul_i32_i24_e32 v250, v250, v252
	s_set_vgpr_msb 0x41                     ;  msbs: dst=1 src0=1 src1=0 src2=0
	v_add3_u32 v134 /*v390*/, v135 /*v391*/, v243, v145
	s_set_vgpr_msb 5                        ;  msbs: dst=0 src0=1 src1=1 src2=0
	v_mul_i32_i24_e32 v145, v51 /*v307*/, v35 /*v291*/
	v_mul_i32_i24_e32 v243, v53 /*v309*/, v38 /*v294*/
	s_set_vgpr_msb 0x41                     ;  msbs: dst=1 src0=1 src1=0 src2=0
	v_and_b32_e32 v135 /*v391*/, 15, v147
	s_delay_alu instid0(VALU_DEP_2)
	v_add3_u32 v115 /*v371*/, v115 /*v371*/, v145, v243
	s_set_vgpr_msb 4                        ;  msbs: dst=0 src0=0 src1=1 src2=0
	v_mul_i32_i24_e32 v145, v237, v1 /*v257*/
	s_set_vgpr_msb 1                        ;  msbs: dst=0 src0=1 src1=0 src2=0
	v_mul_i32_i24_e32 v237, v31 /*v287*/, v80
	v_ashrrev_i32_e32 v243, 24, v149
	s_set_vgpr_msb 0x41                     ;  msbs: dst=1 src0=1 src1=0 src2=0
	s_delay_alu instid0(VALU_DEP_2) | instskip(SKIP_4) | instid1(VALU_DEP_1)
	v_add3_u32 v31 /*v287*/, v116 /*v372*/, v145, v237
	s_set_vgpr_msb 5                        ;  msbs: dst=0 src0=1 src1=1 src2=0
	v_mul_i32_i24_e32 v145, v51 /*v307*/, v135 /*v391*/
	v_mul_i32_i24_e32 v237, v53 /*v309*/, v138 /*v394*/
	s_set_vgpr_msb 0x41                     ;  msbs: dst=1 src0=1 src1=0 src2=0
	v_add3_u32 v116 /*v372*/, v121 /*v377*/, v145, v237
	v_and_b32_e32 v121 /*v377*/, 15, v143
	s_set_vgpr_msb 4                        ;  msbs: dst=0 src0=0 src1=1 src2=0
	v_mul_i32_i24_e32 v145, v240, v1 /*v257*/
	s_set_vgpr_msb 0                        ;  msbs: dst=0 src0=0 src1=0 src2=0
	v_mul_i32_i24_e32 v237, v242, v80
	s_set_vgpr_msb 5                        ;  msbs: dst=0 src0=1 src1=1 src2=0
	v_mul_i32_i24_e32 v240, v16 /*v272*/, v63 /*v319*/
	s_set_vgpr_msb 0                        ;  msbs: dst=0 src0=0 src1=0 src2=0
	v_and_b32_e32 v242, 15, v153
	s_set_vgpr_msb 0x45                     ;  msbs: dst=1 src0=1 src1=1 src2=0
	v_mul_i32_i24_e32 v63 /*v319*/, v6 /*v262*/, v63 /*v319*/
	s_set_vgpr_msb 0x41                     ;  msbs: dst=1 src0=1 src1=0 src2=0
	v_add3_u32 v124 /*v380*/, v124 /*v380*/, v145, v237
	s_set_vgpr_msb 5                        ;  msbs: dst=0 src0=1 src1=1 src2=0
	v_mul_i32_i24_e32 v145, v51 /*v307*/, v121 /*v377*/
	v_mul_i32_i24_e32 v237, v53 /*v309*/, v140 /*v396*/
	s_set_vgpr_msb 0x41                     ;  msbs: dst=1 src0=1 src1=0 src2=0
	s_delay_alu instid0(VALU_DEP_1)
	v_add3_u32 v127 /*v383*/, v127 /*v383*/, v145, v237
	s_set_vgpr_msb 4                        ;  msbs: dst=0 src0=0 src1=1 src2=0
	v_mul_i32_i24_e32 v145, v81, v49 /*v305*/
	s_set_vgpr_msb 5                        ;  msbs: dst=0 src0=1 src1=1 src2=0
	v_mul_i32_i24_e32 v237, v19 /*v275*/, v50 /*v306*/
	s_set_vgpr_msb 64                       ;  msbs: dst=1 src0=0 src1=0 src2=0
	v_bfe_i32 v49 /*v305*/, v132, 0, 8
	s_set_vgpr_msb 0                        ;  msbs: dst=0 src0=0 src1=0 src2=0
	v_bfe_i32 v132, v132, 16, 8
	s_set_vgpr_msb 0x41                     ;  msbs: dst=1 src0=1 src1=0 src2=0
	v_add3_u32 v46 /*v302*/, v46 /*v302*/, v145, v237
	s_set_vgpr_msb 5                        ;  msbs: dst=0 src0=1 src1=1 src2=0
	v_mul_i32_i24_e32 v145, v61 /*v317*/, v108 /*v364*/
	v_mul_i32_i24_e32 v237, v16 /*v272*/, v109 /*v365*/
	s_set_vgpr_msb 0x41                     ;  msbs: dst=1 src0=1 src1=0 src2=0
	s_delay_alu instid0(VALU_DEP_1) | instskip(SKIP_4) | instid1(VALU_DEP_1)
	v_add3_u32 v28 /*v284*/, v28 /*v284*/, v237, v145
	s_set_vgpr_msb 5                        ;  msbs: dst=0 src0=1 src1=1 src2=0
	v_mul_i32_i24_e32 v145, v61 /*v317*/, v37 /*v293*/
	v_mul_i32_i24_e32 v237, v16 /*v272*/, v39 /*v295*/
	s_set_vgpr_msb 0x41                     ;  msbs: dst=1 src0=1 src1=0 src2=0
	v_add3_u32 v29 /*v285*/, v29 /*v285*/, v237, v145
	s_set_vgpr_msb 5                        ;  msbs: dst=0 src0=1 src1=1 src2=0
	v_mul_i32_i24_e32 v237, v61 /*v317*/, v60 /*v316*/
	s_set_vgpr_msb 0x41                     ;  msbs: dst=1 src0=1 src1=0 src2=0
	v_mul_i32_i24_e32 v61 /*v317*/, v19 /*v275*/, v80
	s_set_vgpr_msb 1                        ;  msbs: dst=0 src0=1 src1=0 src2=0
	v_mul_i32_i24_e32 v80, v68 /*v324*/, v80
	s_set_vgpr_msb 0                        ;  msbs: dst=0 src0=0 src1=0 src2=0
	v_bfe_i32 v145, v149, 0, 8
	v_bfe_i32 v149, v149, 16, 8
	s_set_vgpr_msb 64                       ;  msbs: dst=1 src0=0 src1=0 src2=0
	v_add3_u32 v16 /*v272*/, v238, v240, v237
	s_set_vgpr_msb 4                        ;  msbs: dst=0 src0=0 src1=1 src2=0
	v_mul_i32_i24_e32 v237, v81, v78 /*v334*/
	s_set_vgpr_msb 5                        ;  msbs: dst=0 src0=1 src1=1 src2=0
	v_mul_i32_i24_e32 v238, v19 /*v275*/, v79 /*v335*/
	s_set_vgpr_msb 0                        ;  msbs: dst=0 src0=0 src1=0 src2=0
	v_ashrrev_i32_e32 v240, 24, v151
	s_set_vgpr_msb 64                       ;  msbs: dst=1 src0=0 src1=0 src2=0
	v_mul_i32_i24_e32 v185 /*v441*/, v145, v207
	v_mul_i32_i24_e32 v186 /*v442*/, v149, v208
	s_set_vgpr_msb 0x41                     ;  msbs: dst=1 src0=1 src1=0 src2=0
	v_add3_u32 v50 /*v306*/, v72 /*v328*/, v237, v238
	s_set_vgpr_msb 5                        ;  msbs: dst=0 src0=1 src1=1 src2=0
	v_mul_i32_i24_e32 v237, v49 /*v305*/, v121 /*v377*/
	s_set_vgpr_msb 4                        ;  msbs: dst=0 src0=0 src1=1 src2=0
	v_mul_i32_i24_e32 v238, v132, v140 /*v396*/
	s_set_vgpr_msb 0x41                     ;  msbs: dst=1 src0=1 src1=0 src2=0
	s_delay_alu instid0(VALU_DEP_1)
	v_add3_u32 v72 /*v328*/, v17 /*v273*/, v237, v238
	s_set_vgpr_msb 5                        ;  msbs: dst=0 src0=1 src1=1 src2=0
	v_mul_i32_i24_e32 v237, v49 /*v305*/, v35 /*v291*/
	s_set_vgpr_msb 4                        ;  msbs: dst=0 src0=0 src1=1 src2=0
	v_mul_i32_i24_e32 v238, v132, v38 /*v294*/
	s_set_vgpr_msb 0x44                     ;  msbs: dst=1 src0=0 src1=1 src2=0
	v_mul_i32_i24_e32 v17 /*v273*/, v81, v1 /*v257*/
	s_set_vgpr_msb 0x41                     ;  msbs: dst=1 src0=1 src1=0 src2=0
	s_delay_alu instid0(VALU_DEP_2)
	v_add3_u32 v78 /*v334*/, v96 /*v352*/, v237, v238
	s_set_vgpr_msb 5                        ;  msbs: dst=0 src0=1 src1=1 src2=0
	v_mul_i32_i24_e32 v237, v49 /*v305*/, v135 /*v391*/
	s_set_vgpr_msb 4                        ;  msbs: dst=0 src0=0 src1=1 src2=0
	v_mul_i32_i24_e32 v238, v132, v138 /*v394*/
	s_set_vgpr_msb 64                       ;  msbs: dst=1 src0=0 src1=0 src2=0
	v_bfe_i32 v96 /*v352*/, v134, 0, 8
	s_set_vgpr_msb 20                       ;  msbs: dst=0 src0=0 src1=1 src2=1
	v_bfe_i32 v134, v134, 16, 8
	v_add3_u32 v253, v253, v17 /*v273*/, v61 /*v317*/
	s_set_vgpr_msb 64                       ;  msbs: dst=1 src0=0 src1=0 src2=0
	v_bfe_i32 v61 /*v317*/, v151, 16, 8
	s_set_vgpr_msb 0x41                     ;  msbs: dst=1 src0=1 src1=0 src2=0
	v_add3_u32 v79 /*v335*/, v130 /*v386*/, v237, v238
	s_set_vgpr_msb 4                        ;  msbs: dst=0 src0=0 src1=1 src2=0
	v_mul_i32_i24_e32 v237, v81, v82 /*v338*/
	s_set_vgpr_msb 5                        ;  msbs: dst=0 src0=1 src1=1 src2=0
	v_mul_i32_i24_e32 v238, v19 /*v275*/, v83 /*v339*/
	s_set_vgpr_msb 64                       ;  msbs: dst=1 src0=0 src1=0 src2=0
	v_bfe_u32 v17 /*v273*/, v153, 12, 4
	s_set_vgpr_msb 0x41                     ;  msbs: dst=1 src0=1 src1=0 src2=0
	s_delay_alu instid0(VALU_DEP_2)
	v_add3_u32 v80 /*v336*/, v80 /*v336*/, v237, v238
	s_set_vgpr_msb 5                        ;  msbs: dst=0 src0=1 src1=1 src2=0
	v_mul_i32_i24_e32 v237, v96 /*v352*/, v121 /*v377*/
	s_set_vgpr_msb 4                        ;  msbs: dst=0 src0=0 src1=1 src2=0
	v_mul_i32_i24_e32 v238, v134, v140 /*v396*/
	s_set_vgpr_msb 0x41                     ;  msbs: dst=1 src0=1 src1=0 src2=0
	s_delay_alu instid0(VALU_DEP_1)
	v_add3_u32 v82 /*v338*/, v117 /*v373*/, v237, v238
	s_set_vgpr_msb 5                        ;  msbs: dst=0 src0=1 src1=1 src2=0
	v_mul_i32_i24_e32 v237, v96 /*v352*/, v35 /*v291*/
	s_set_vgpr_msb 4                        ;  msbs: dst=0 src0=0 src1=1 src2=0
	v_mul_i32_i24_e32 v238, v134, v38 /*v294*/
	s_set_vgpr_msb 0x41                     ;  msbs: dst=1 src0=1 src1=0 src2=0
	s_delay_alu instid0(VALU_DEP_1)
	v_add3_u32 v83 /*v339*/, v120 /*v376*/, v237, v238
	s_set_vgpr_msb 5                        ;  msbs: dst=0 src0=1 src1=1 src2=0
	v_mul_i32_i24_e32 v237, v96 /*v352*/, v135 /*v391*/
	s_set_vgpr_msb 4                        ;  msbs: dst=0 src0=0 src1=1 src2=0
	v_mul_i32_i24_e32 v238, v134, v138 /*v394*/
	s_set_vgpr_msb 0x41                     ;  msbs: dst=1 src0=1 src1=0 src2=0
	v_ashrrev_i32_e32 v120 /*v376*/, 24, v148
	s_delay_alu instid0(VALU_DEP_2)
	v_add3_u32 v117 /*v373*/, v125 /*v381*/, v237, v238
	s_set_vgpr_msb 64                       ;  msbs: dst=1 src0=0 src1=0 src2=0
	v_bfe_i32 v125 /*v381*/, v136, 0, 8
	s_set_vgpr_msb 4                        ;  msbs: dst=0 src0=0 src1=1 src2=0
	v_bfe_i32 v136, v136, 16, 8
	v_mul_i32_i24_e32 v237, v81, v86 /*v342*/
	s_set_vgpr_msb 5                        ;  msbs: dst=0 src0=1 src1=1 src2=0
	v_mul_i32_i24_e32 v238, v19 /*v275*/, v87 /*v343*/
	s_set_vgpr_msb 0x41                     ;  msbs: dst=1 src0=1 src1=0 src2=0
	s_delay_alu instid0(VALU_DEP_1)
	v_add3_u32 v84 /*v340*/, v84 /*v340*/, v237, v238
	s_set_vgpr_msb 5                        ;  msbs: dst=0 src0=1 src1=1 src2=0
	v_mul_i32_i24_e32 v237, v125 /*v381*/, v121 /*v377*/
	s_set_vgpr_msb 4                        ;  msbs: dst=0 src0=0 src1=1 src2=0
	v_mul_i32_i24_e32 v238, v136, v140 /*v396*/
	s_set_vgpr_msb 0x41                     ;  msbs: dst=1 src0=1 src1=0 src2=0
	s_delay_alu instid0(VALU_DEP_1)
	v_add3_u32 v86 /*v342*/, v129 /*v385*/, v237, v238
	s_set_vgpr_msb 5                        ;  msbs: dst=0 src0=1 src1=1 src2=0
	v_mul_i32_i24_e32 v237, v125 /*v381*/, v35 /*v291*/
	s_set_vgpr_msb 4                        ;  msbs: dst=0 src0=0 src1=1 src2=0
	v_mul_i32_i24_e32 v238, v136, v38 /*v294*/
	s_set_vgpr_msb 64                       ;  msbs: dst=1 src0=0 src1=0 src2=0
	v_bfe_u32 v129 /*v385*/, v143, 4, 4
	s_set_vgpr_msb 0x41                     ;  msbs: dst=1 src0=1 src1=0 src2=0
	s_delay_alu instid0(VALU_DEP_2)
	v_add3_u32 v64 /*v320*/, v64 /*v320*/, v237, v238
	s_set_vgpr_msb 5                        ;  msbs: dst=0 src0=1 src1=1 src2=0
	v_mul_i32_i24_e32 v237, v125 /*v381*/, v135 /*v391*/
	s_set_vgpr_msb 4                        ;  msbs: dst=0 src0=0 src1=1 src2=0
	v_mul_i32_i24_e32 v238, v136, v138 /*v394*/
	s_set_vgpr_msb 0x41                     ;  msbs: dst=1 src0=1 src1=0 src2=0
	s_delay_alu instid0(VALU_DEP_1)
	v_add3_u32 v87 /*v343*/, v118 /*v374*/, v237, v238
	s_set_vgpr_msb 64                       ;  msbs: dst=1 src0=0 src1=0 src2=0
	v_bfe_i32 v118 /*v374*/, v138, 0, 8
	s_set_vgpr_msb 4                        ;  msbs: dst=0 src0=0 src1=1 src2=0
	v_bfe_i32 v138, v138, 16, 8
	v_mul_i32_i24_e32 v237, v81, v91 /*v347*/
	s_set_vgpr_msb 5                        ;  msbs: dst=0 src0=1 src1=1 src2=0
	v_mul_i32_i24_e32 v238, v19 /*v275*/, v93 /*v349*/
	s_set_vgpr_msb 4                        ;  msbs: dst=0 src0=0 src1=1 src2=0
	v_mul_i32_i24_e32 v81, v81, v104 /*v360*/
	s_set_vgpr_msb 64                       ;  msbs: dst=1 src0=0 src1=0 src2=0
	v_bfe_u32 v104 /*v360*/, v147, 4, 4
	s_set_vgpr_msb 0x41                     ;  msbs: dst=1 src0=1 src1=0 src2=0
	v_add3_u32 v88 /*v344*/, v88 /*v344*/, v237, v238
	s_set_vgpr_msb 5                        ;  msbs: dst=0 src0=1 src1=1 src2=0
	v_mul_i32_i24_e32 v237, v118 /*v374*/, v121 /*v377*/
	s_set_vgpr_msb 4                        ;  msbs: dst=0 src0=0 src1=1 src2=0
	v_mul_i32_i24_e32 v238, v138, v140 /*v396*/
	s_set_vgpr_msb 0x41                     ;  msbs: dst=1 src0=1 src1=0 src2=0
	s_delay_alu instid0(VALU_DEP_1)
	v_add3_u32 v91 /*v347*/, v122 /*v378*/, v237, v238
	s_set_vgpr_msb 5                        ;  msbs: dst=0 src0=1 src1=1 src2=0
	v_mul_i32_i24_e32 v237, v118 /*v374*/, v35 /*v291*/
	s_set_vgpr_msb 4                        ;  msbs: dst=0 src0=0 src1=1 src2=0
	v_mul_i32_i24_e32 v238, v138, v38 /*v294*/
	s_set_vgpr_msb 0x41                     ;  msbs: dst=1 src0=1 src1=0 src2=0
	s_delay_alu instid0(VALU_DEP_1)
	;; [unrolled: 7-line block ×3, first 2 shown]
	v_add3_u32 v122 /*v378*/, v119 /*v375*/, v237, v238
	s_set_vgpr_msb 5                        ;  msbs: dst=0 src0=1 src1=1 src2=0
	v_mul_i32_i24_e32 v238, v19 /*v275*/, v106 /*v362*/
	s_set_vgpr_msb 64                       ;  msbs: dst=1 src0=0 src1=0 src2=0
	v_lshrrev_b32_e32 v106 /*v362*/, 28, v147
	s_set_vgpr_msb 0                        ;  msbs: dst=0 src0=0 src1=0 src2=0
	v_bfe_u32 v237, v153, 4, 4
	s_set_vgpr_msb 64                       ;  msbs: dst=1 src0=0 src1=0 src2=0
	v_bfe_u32 v19 /*v275*/, v153, 20, 4
	v_bfe_i32 v119 /*v375*/, v148, 0, 8
	s_set_vgpr_msb 0                        ;  msbs: dst=0 src0=0 src1=0 src2=0
	v_add3_u32 v251, v251, v81, v238
	s_set_vgpr_msb 5                        ;  msbs: dst=0 src0=1 src1=1 src2=0
	v_mul_i32_i24_e32 v81, v67 /*v323*/, v1 /*v257*/
	s_set_vgpr_msb 64                       ;  msbs: dst=1 src0=0 src1=0 src2=0
	v_ashrrev_i32_e32 v1 /*v257*/, 24, v144
	v_bfe_i32 v67 /*v323*/, v130, 0, 8
	s_set_vgpr_msb 0                        ;  msbs: dst=0 src0=0 src1=0 src2=0
	v_bfe_i32 v130, v130, 16, 8
	v_bfe_i32 v238, v151, 0, 8
	v_add3_u32 v82, v82, v81, v80
	s_set_vgpr_msb 5                        ;  msbs: dst=0 src0=1 src1=1 src2=0
	v_mul_i32_i24_e32 v80, v1 /*v257*/, v25 /*v281*/
	s_set_vgpr_msb 4                        ;  msbs: dst=0 src0=0 src1=1 src2=0
	v_add3_u32 v250, v251, v66 /*v322*/, v250
	v_mul_i32_i24_e32 v81, v130, v140 /*v396*/
	s_set_vgpr_msb 0x45                     ;  msbs: dst=1 src0=1 src1=1 src2=0
	v_mul_i32_i24_e32 v66 /*v322*/, v2 /*v258*/, v20 /*v276*/
	s_set_vgpr_msb 0                        ;  msbs: dst=0 src0=0 src1=0 src2=0
	v_bfe_u32 v251, v140, 16, 4
	s_set_vgpr_msb 0x41                     ;  msbs: dst=1 src0=1 src1=0 src2=0
	v_add3_u32 v68 /*v324*/, v123 /*v379*/, v249, v80
	s_set_vgpr_msb 5                        ;  msbs: dst=0 src0=1 src1=1 src2=0
	v_mul_i32_i24_e32 v80, v67 /*v323*/, v121 /*v377*/
	s_set_vgpr_msb 0                        ;  msbs: dst=0 src0=0 src1=0 src2=0
	v_lshrrev_b32_e32 v249, 28, v153
	s_set_vgpr_msb 0x45                     ;  msbs: dst=1 src0=1 src1=1 src2=0
	v_mul_i32_i24_e32 v177 /*v433*/, v61 /*v317*/, v19 /*v275*/
	s_set_vgpr_msb 0x41                     ;  msbs: dst=1 src0=1 src1=0 src2=0
	v_add3_u32 v123 /*v379*/, v126 /*v382*/, v80, v81
	s_set_vgpr_msb 5                        ;  msbs: dst=0 src0=1 src1=1 src2=0
	v_mul_i32_i24_e32 v80, v67 /*v323*/, v35 /*v291*/
	s_set_vgpr_msb 4                        ;  msbs: dst=0 src0=0 src1=1 src2=0
	v_mul_i32_i24_e32 v81, v130, v38 /*v294*/
	s_set_vgpr_msb 0x41                     ;  msbs: dst=1 src0=1 src1=0 src2=0
	s_delay_alu instid0(VALU_DEP_1)
	v_add3_u32 v126 /*v382*/, v132 /*v388*/, v80, v81
	s_set_vgpr_msb 5                        ;  msbs: dst=0 src0=1 src1=1 src2=0
	v_mul_i32_i24_e32 v80, v67 /*v323*/, v135 /*v391*/
	s_set_vgpr_msb 4                        ;  msbs: dst=0 src0=0 src1=1 src2=0
	v_mul_i32_i24_e32 v81, v130, v138 /*v394*/
	s_set_vgpr_msb 64                       ;  msbs: dst=1 src0=0 src1=0 src2=0
	v_bfe_u32 v132 /*v388*/, v141, 4, 4
	s_set_vgpr_msb 4                        ;  msbs: dst=0 src0=0 src1=1 src2=0
	v_mul_i32_i24_e32 v130, v130, v15 /*v271*/
	s_set_vgpr_msb 0x41                     ;  msbs: dst=1 src0=1 src1=0 src2=0
	v_add3_u32 v128 /*v384*/, v134 /*v390*/, v80, v81
	s_set_vgpr_msb 5                        ;  msbs: dst=0 src0=1 src1=1 src2=0
	v_mul_i32_i24_e32 v80, v55 /*v311*/, v40 /*v296*/
	v_mul_i32_i24_e32 v81, v58 /*v314*/, v43 /*v299*/
	s_set_vgpr_msb 64                       ;  msbs: dst=1 src0=0 src1=0 src2=0
	v_bfe_u32 v134 /*v390*/, v141, 20, 4
	s_set_vgpr_msb 0x41                     ;  msbs: dst=1 src0=1 src1=0 src2=0
	s_delay_alu instid0(VALU_DEP_2) | instskip(SKIP_4) | instid1(VALU_DEP_1)
	v_add3_u32 v115 /*v371*/, v115 /*v371*/, v81, v80
	s_set_vgpr_msb 5                        ;  msbs: dst=0 src0=1 src1=1 src2=0
	v_mul_i32_i24_e32 v80, v2 /*v258*/, v35 /*v291*/
	v_mul_i32_i24_e32 v81, v3 /*v259*/, v37 /*v293*/
	s_set_vgpr_msb 0x41                     ;  msbs: dst=1 src0=1 src1=0 src2=0
	v_add3_u32 v31 /*v287*/, v31 /*v287*/, v81, v80
	s_set_vgpr_msb 5                        ;  msbs: dst=0 src0=1 src1=1 src2=0
	v_mul_i32_i24_e32 v80, v55 /*v311*/, v104 /*v360*/
	v_mul_i32_i24_e32 v81, v58 /*v314*/, v106 /*v362*/
	s_set_vgpr_msb 0x41                     ;  msbs: dst=1 src0=1 src1=0 src2=0
	s_delay_alu instid0(VALU_DEP_1)
	v_add3_u32 v37 /*v293*/, v116 /*v372*/, v81, v80
	v_lshrrev_b32_e32 v116 /*v372*/, 28, v143
	s_set_vgpr_msb 5                        ;  msbs: dst=0 src0=1 src1=1 src2=0
	v_mul_i32_i24_e32 v80, v2 /*v258*/, v135 /*v391*/
	v_mul_i32_i24_e32 v81, v3 /*v259*/, v60 /*v316*/
	s_set_vgpr_msb 64                       ;  msbs: dst=1 src0=0 src1=0 src2=0
	v_bfe_i32 v60 /*v316*/, v151, 8, 8
	s_set_vgpr_msb 0x45                     ;  msbs: dst=1 src0=1 src1=1 src2=0
	v_mul_i32_i24_e32 v2 /*v258*/, v2 /*v258*/, v121 /*v377*/
	s_set_vgpr_msb 0x41                     ;  msbs: dst=1 src0=1 src1=0 src2=0
	v_add3_u32 v124 /*v380*/, v124 /*v380*/, v81, v80
	s_set_vgpr_msb 5                        ;  msbs: dst=0 src0=1 src1=1 src2=0
	v_mul_i32_i24_e32 v80, v55 /*v311*/, v129 /*v385*/
	v_mul_i32_i24_e32 v81, v58 /*v314*/, v116 /*v372*/
	s_set_vgpr_msb 0x45                     ;  msbs: dst=1 src0=1 src1=1 src2=0
	v_mul_i32_i24_e32 v55 /*v311*/, v55 /*v311*/, v26 /*v282*/
	v_mul_i32_i24_e32 v58 /*v314*/, v58 /*v314*/, v25 /*v281*/
	s_set_vgpr_msb 0x41                     ;  msbs: dst=1 src0=1 src1=0 src2=0
	v_add3_u32 v130 /*v386*/, v127 /*v383*/, v81, v80
	s_set_vgpr_msb 5                        ;  msbs: dst=0 src0=1 src1=1 src2=0
	v_mul_i32_i24_e32 v80, v54 /*v310*/, v23 /*v279*/
	s_set_vgpr_msb 1                        ;  msbs: dst=0 src0=1 src1=0 src2=0
	v_mul_i32_i24_e32 v81, v52 /*v308*/, v252
	s_set_vgpr_msb 0x45                     ;  msbs: dst=1 src0=1 src1=1 src2=0
	v_mul_i32_i24_e32 v52 /*v308*/, v111 /*v367*/, v23 /*v279*/
	s_set_vgpr_msb 0x41                     ;  msbs: dst=1 src0=1 src1=0 src2=0
	v_mul_i32_i24_e32 v54 /*v310*/, v110 /*v366*/, v252
	v_ashrrev_i32_e32 v110 /*v366*/, 24, v126
	s_set_vgpr_msb 0x45                     ;  msbs: dst=1 src0=1 src1=1 src2=0
	v_mul_i32_i24_e32 v111 /*v367*/, v136 /*v392*/, v23 /*v279*/
	s_set_vgpr_msb 1                        ;  msbs: dst=0 src0=1 src1=0 src2=0
	v_add3_u32 v151, v46 /*v302*/, v80, v81
	s_set_vgpr_msb 5                        ;  msbs: dst=0 src0=1 src1=1 src2=0
	v_mul_i32_i24_e32 v80, v98 /*v354*/, v121 /*v377*/
	v_mul_i32_i24_e32 v81, v95 /*v351*/, v140 /*v396*/
	s_set_vgpr_msb 0x55                     ;  msbs: dst=1 src0=1 src1=1 src2=1
	v_mul_i32_i24_e32 v46 /*v302*/, v95 /*v351*/, v138 /*v394*/
	v_add3_u32 v50 /*v306*/, v50 /*v306*/, v52 /*v308*/, v54 /*v310*/
	s_set_vgpr_msb 64                       ;  msbs: dst=1 src0=0 src1=0 src2=0
	v_bfe_i32 v127 /*v383*/, v148, 8, 8
	s_set_vgpr_msb 0                        ;  msbs: dst=0 src0=0 src1=0 src2=0
	v_bfe_u32 v148, v147, 12, 4
	s_set_vgpr_msb 1                        ;  msbs: dst=0 src0=1 src1=0 src2=0
	v_add3_u32 v153, v28 /*v284*/, v80, v81
	s_set_vgpr_msb 5                        ;  msbs: dst=0 src0=1 src1=1 src2=0
	v_mul_i32_i24_e32 v80, v98 /*v354*/, v35 /*v291*/
	v_mul_i32_i24_e32 v81, v95 /*v351*/, v38 /*v294*/
	s_set_vgpr_msb 0x45                     ;  msbs: dst=1 src0=1 src1=1 src2=0
	v_mul_i32_i24_e32 v95 /*v351*/, v113 /*v369*/, v23 /*v279*/
	s_set_vgpr_msb 0x41                     ;  msbs: dst=1 src0=1 src1=0 src2=0
	v_mul_i32_i24_e32 v113 /*v369*/, v137 /*v393*/, v252
	s_set_vgpr_msb 0                        ;  msbs: dst=0 src0=0 src1=0 src2=0
	v_bfe_u32 v147, v147, 20, 4
	s_set_vgpr_msb 0x45                     ;  msbs: dst=1 src0=1 src1=1 src2=0
	v_mul_i32_i24_e32 v23 /*v279*/, v6 /*v262*/, v23 /*v279*/
	s_set_vgpr_msb 0x41                     ;  msbs: dst=1 src0=1 src1=0 src2=0
	v_add3_u32 v28 /*v284*/, v29 /*v285*/, v80, v81
	s_set_vgpr_msb 0                        ;  msbs: dst=0 src0=0 src1=0 src2=0
	v_cvt_f32_f16_e32 v81, v83
	s_set_vgpr_msb 64                       ;  msbs: dst=1 src0=0 src1=0 src2=0
	v_lshrrev_b32_e32 v29 /*v285*/, 16, v83
	s_set_vgpr_msb 5                        ;  msbs: dst=0 src0=1 src1=1 src2=0
	v_mul_i32_i24_e32 v83, v98 /*v354*/, v135 /*v391*/
	s_set_vgpr_msb 0x41                     ;  msbs: dst=1 src0=1 src1=0 src2=0
	v_mul_i32_i24_e32 v98 /*v354*/, v112 /*v368*/, v252
	v_mul_i32_i24_e32 v112 /*v368*/, v114 /*v370*/, v252
	s_set_vgpr_msb 1                        ;  msbs: dst=0 src0=1 src1=0 src2=0
	v_mul_i32_i24_e32 v252, v3 /*v259*/, v252
	s_set_vgpr_msb 0x45                     ;  msbs: dst=1 src0=1 src1=1 src2=0
	v_mul_i32_i24_e32 v3 /*v259*/, v3 /*v259*/, v108 /*v364*/
	s_set_vgpr_msb 17                       ;  msbs: dst=0 src0=1 src1=0 src2=1
	v_add3_u32 v83, v16 /*v272*/, v83, v46 /*v302*/
	s_set_vgpr_msb 64                       ;  msbs: dst=1 src0=0 src1=0 src2=0
	v_bfe_i32 v16 /*v272*/, v122, 0, 8
	v_ashrrev_i32_e32 v46 /*v302*/, 24, v122
	s_set_vgpr_msb 0x55                     ;  msbs: dst=1 src0=1 src1=1 src2=1
	v_add3_u32 v80 /*v336*/, v80 /*v336*/, v95 /*v351*/, v98 /*v354*/
	v_add3_u32 v84 /*v340*/, v84 /*v340*/, v111 /*v367*/, v112 /*v368*/
	v_mul_i32_i24_e32 v112 /*v368*/, v110 /*v366*/, v116 /*v372*/
	v_mul_i32_i24_e32 v52 /*v308*/, v16 /*v272*/, v129 /*v385*/
	;; [unrolled: 1-line block ×3, first 2 shown]
	s_set_vgpr_msb 16                       ;  msbs: dst=0 src0=0 src1=0 src2=1
	v_add3_u32 v252, v253, v252, v66 /*v322*/
	s_set_vgpr_msb 64                       ;  msbs: dst=1 src0=0 src1=0 src2=0
	v_bfe_i32 v66 /*v322*/, v144, 8, 8
	s_set_vgpr_msb 0                        ;  msbs: dst=0 src0=0 src1=0 src2=0
	v_bfe_i32 v144, v144, 0, 8
	s_set_vgpr_msb 0x54                     ;  msbs: dst=1 src0=0 src1=1 src2=1
	v_add3_u32 v2 /*v258*/, v82, v3 /*v259*/, v2 /*v258*/
	s_set_vgpr_msb 0x55                     ;  msbs: dst=1 src0=1 src1=1 src2=1
	v_add3_u32 v52 /*v308*/, v72 /*v328*/, v54 /*v310*/, v52 /*v308*/
	v_mul_i32_i24_e32 v54 /*v310*/, v16 /*v272*/, v40 /*v296*/
	v_mul_i32_i24_e32 v72 /*v328*/, v46 /*v302*/, v43 /*v299*/
	s_set_vgpr_msb 5                        ;  msbs: dst=0 src0=1 src1=1 src2=0
	v_mul_i32_i24_e32 v82, v66 /*v322*/, v27 /*v283*/
	s_set_vgpr_msb 0x55                     ;  msbs: dst=1 src0=1 src1=1 src2=1
	v_add3_u32 v88 /*v344*/, v88 /*v344*/, v97 /*v353*/, v113 /*v369*/
	s_set_vgpr_msb 64                       ;  msbs: dst=1 src0=0 src1=0 src2=0
	v_bfe_i32 v108 /*v364*/, v120, 0, 8
	v_ashrrev_i32_e32 v3 /*v259*/, 24, v120
	s_set_vgpr_msb 0x55                     ;  msbs: dst=1 src0=1 src1=1 src2=1
	v_add3_u32 v54 /*v310*/, v78 /*v334*/, v72 /*v328*/, v54 /*v310*/
	v_mul_i32_i24_e32 v72 /*v328*/, v16 /*v272*/, v104 /*v360*/
	v_mul_i32_i24_e32 v78 /*v334*/, v46 /*v302*/, v106 /*v362*/
	s_set_vgpr_msb 4                        ;  msbs: dst=0 src0=0 src1=1 src2=0
	v_mad_i32_i24 v82, v144, v26 /*v282*/, v82
	s_set_vgpr_msb 64                       ;  msbs: dst=1 src0=0 src1=0 src2=0
	v_bfe_u32 v35 /*v291*/, v140, 8, 4
	s_set_vgpr_msb 0x55                     ;  msbs: dst=1 src0=1 src1=1 src2=1
	v_mul_i32_i24_e32 v16 /*v272*/, v16 /*v272*/, v26 /*v282*/
	v_mul_i32_i24_e32 v46 /*v302*/, v46 /*v302*/, v25 /*v281*/
	v_add3_u32 v72 /*v328*/, v79 /*v335*/, v78 /*v334*/, v72 /*v328*/
	s_set_vgpr_msb 64                       ;  msbs: dst=1 src0=0 src1=0 src2=0
	v_bfe_i32 v78 /*v334*/, v124, 0, 8
	v_ashrrev_i32_e32 v79 /*v335*/, 24, v124
	s_set_vgpr_msb 0x51                     ;  msbs: dst=1 src0=1 src1=0 src2=1
	v_add3_u32 v68 /*v324*/, v68 /*v324*/, v82, v131 /*v387*/
	v_and_b32_e32 v131 /*v387*/, 15, v141
	s_set_vgpr_msb 5                        ;  msbs: dst=0 src0=1 src1=1 src2=0
	v_mul_i32_i24_e32 v82, v108 /*v364*/, v129 /*v385*/
	s_set_vgpr_msb 0x45                     ;  msbs: dst=1 src0=1 src1=1 src2=0
	v_mul_i32_i24_e32 v95 /*v351*/, v78 /*v334*/, v129 /*v385*/
	v_mul_i32_i24_e32 v98 /*v354*/, v79 /*v335*/, v116 /*v372*/
	s_set_vgpr_msb 64                       ;  msbs: dst=1 src0=0 src1=0 src2=0
	v_bfe_i32 v135 /*v391*/, v123, 16, 8
	v_bfe_i32 v136 /*v392*/, v125, 8, 8
	;; [unrolled: 1-line block ×3, first 2 shown]
	v_and_b32_e32 v114 /*v370*/, 15, v140
	s_set_vgpr_msb 0x55                     ;  msbs: dst=1 src0=1 src1=1 src2=1
	v_add3_u32 v82 /*v338*/, v82 /*v338*/, v98 /*v354*/, v95 /*v351*/
	v_mul_i32_i24_e32 v95 /*v351*/, v78 /*v334*/, v40 /*v296*/
	v_mul_i32_i24_e32 v98 /*v354*/, v79 /*v335*/, v43 /*v299*/
	s_set_vgpr_msb 0                        ;  msbs: dst=0 src0=0 src1=0 src2=0
	v_bfe_u32 v253, v140, 4, 4
	s_set_vgpr_msb 64                       ;  msbs: dst=1 src0=0 src1=0 src2=0
	v_bfe_u32 v121 /*v377*/, v140, 12, 4
	s_set_vgpr_msb 1                        ;  msbs: dst=0 src0=1 src1=0 src2=0
	v_cvt_f32_f16_e64 v80, v10 /*v266*/
	s_set_vgpr_msb 0x55                     ;  msbs: dst=1 src0=1 src1=1 src2=1
	v_lshrrev_b32_e32 v10 /*v266*/, 16, v10 /*v266*/
	v_add3_u32 v83 /*v339*/, v83 /*v339*/, v98 /*v354*/, v95 /*v351*/
	v_mul_i32_i24_e32 v95 /*v351*/, v78 /*v334*/, v104 /*v360*/
	v_mul_i32_i24_e32 v98 /*v354*/, v79 /*v335*/, v106 /*v362*/
	;; [unrolled: 1-line block ×4, first 2 shown]
	s_delay_alu instid0(VALU_DEP_3) | instskip(SKIP_4) | instid1(VALU_DEP_2)
	v_add3_u32 v95 /*v351*/, v117 /*v373*/, v98 /*v354*/, v95 /*v351*/
	s_set_vgpr_msb 64                       ;  msbs: dst=1 src0=0 src1=0 src2=0
	v_bfe_i32 v98 /*v354*/, v126, 0, 8
	v_lshrrev_b32_e32 v117 /*v373*/, 28, v140
	s_set_vgpr_msb 0x55                     ;  msbs: dst=1 src0=1 src1=1 src2=1
	v_mul_i32_i24_e32 v111 /*v367*/, v98 /*v354*/, v129 /*v385*/
	s_delay_alu instid0(VALU_DEP_1) | instskip(SKIP_2) | instid1(VALU_DEP_1)
	v_add3_u32 v86 /*v342*/, v86 /*v342*/, v112 /*v368*/, v111 /*v367*/
	v_mul_i32_i24_e32 v111 /*v367*/, v98 /*v354*/, v40 /*v296*/
	v_mul_i32_i24_e32 v112 /*v368*/, v110 /*v366*/, v43 /*v299*/
	v_add3_u32 v64 /*v320*/, v64 /*v320*/, v112 /*v368*/, v111 /*v367*/
	v_mul_i32_i24_e32 v111 /*v367*/, v98 /*v354*/, v104 /*v360*/
	v_mul_i32_i24_e32 v112 /*v368*/, v110 /*v366*/, v106 /*v362*/
	;; [unrolled: 1-line block ×4, first 2 shown]
	s_delay_alu instid0(VALU_DEP_3) | instskip(SKIP_4) | instid1(VALU_DEP_2)
	v_add3_u32 v87 /*v343*/, v87 /*v343*/, v112 /*v368*/, v111 /*v367*/
	s_set_vgpr_msb 64                       ;  msbs: dst=1 src0=0 src1=0 src2=0
	v_bfe_i32 v111 /*v367*/, v128, 0, 8
	v_ashrrev_i32_e32 v112 /*v368*/, 24, v128
	s_set_vgpr_msb 0x55                     ;  msbs: dst=1 src0=1 src1=1 src2=1
	v_mul_i32_i24_e32 v97 /*v353*/, v111 /*v367*/, v129 /*v385*/
	s_delay_alu instid0(VALU_DEP_2) | instskip(NEXT) | instid1(VALU_DEP_1)
	v_mul_i32_i24_e32 v113 /*v369*/, v112 /*v368*/, v116 /*v372*/
	v_add3_u32 v91 /*v347*/, v91 /*v347*/, v113 /*v369*/, v97 /*v353*/
	v_mul_i32_i24_e32 v97 /*v353*/, v111 /*v367*/, v40 /*v296*/
	v_mul_i32_i24_e32 v113 /*v369*/, v112 /*v368*/, v43 /*v299*/
	s_delay_alu instid0(VALU_DEP_1) | instskip(SKIP_4) | instid1(VALU_DEP_3)
	v_add3_u32 v93 /*v349*/, v93 /*v349*/, v113 /*v369*/, v97 /*v353*/
	v_mul_i32_i24_e32 v97 /*v353*/, v111 /*v367*/, v104 /*v360*/
	v_mul_i32_i24_e32 v113 /*v369*/, v112 /*v368*/, v106 /*v362*/
	;; [unrolled: 1-line block ×4, first 2 shown]
	v_add3_u32 v97 /*v353*/, v122 /*v378*/, v113 /*v369*/, v97 /*v353*/
	v_mul_i32_i24_e32 v122 /*v378*/, v3 /*v259*/, v116 /*v372*/
	s_set_vgpr_msb 64                       ;  msbs: dst=1 src0=0 src1=0 src2=0
	v_bfe_u32 v113 /*v369*/, v140, 24, 4
	s_set_vgpr_msb 0                        ;  msbs: dst=0 src0=0 src1=0 src2=0
	v_bfe_u32 v140, v140, 20, 4
	s_set_vgpr_msb 0x45                     ;  msbs: dst=1 src0=1 src1=1 src2=0
	v_add3_u32 v122 /*v378*/, v123 /*v379*/, v122 /*v378*/, v82
	s_set_vgpr_msb 5                        ;  msbs: dst=0 src0=1 src1=1 src2=0
	v_mul_i32_i24_e32 v82, v108 /*v364*/, v40 /*v296*/
	s_set_vgpr_msb 0x45                     ;  msbs: dst=1 src0=1 src1=1 src2=0
	v_mul_i32_i24_e32 v123 /*v379*/, v3 /*v259*/, v43 /*v299*/
	s_delay_alu instid0(VALU_DEP_1) | instskip(SKIP_4) | instid1(VALU_DEP_1)
	v_add3_u32 v123 /*v379*/, v126 /*v382*/, v123 /*v379*/, v82
	s_set_vgpr_msb 5                        ;  msbs: dst=0 src0=1 src1=1 src2=0
	v_mul_i32_i24_e32 v82, v108 /*v364*/, v104 /*v360*/
	s_set_vgpr_msb 0x45                     ;  msbs: dst=1 src0=1 src1=1 src2=0
	v_mul_i32_i24_e32 v126 /*v382*/, v3 /*v259*/, v106 /*v362*/
	v_add3_u32 v126 /*v382*/, v128 /*v384*/, v126 /*v382*/, v82
	s_set_vgpr_msb 5                        ;  msbs: dst=0 src0=1 src1=1 src2=0
	v_mul_i32_i24_e32 v82, v56 /*v312*/, v41 /*v297*/
	s_set_vgpr_msb 0x45                     ;  msbs: dst=1 src0=1 src1=1 src2=0
	v_mul_i32_i24_e32 v128 /*v384*/, v57 /*v313*/, v33 /*v289*/
	s_set_vgpr_msb 0x51                     ;  msbs: dst=1 src0=1 src1=0 src2=1
	s_delay_alu instid0(VALU_DEP_1)
	v_add3_u32 v115 /*v371*/, v115 /*v371*/, v82, v128 /*v384*/
	s_set_vgpr_msb 5                        ;  msbs: dst=0 src0=1 src1=1 src2=0
	v_mul_i32_i24_e32 v82, v4 /*v260*/, v38 /*v294*/
	s_set_vgpr_msb 0x45                     ;  msbs: dst=1 src0=1 src1=1 src2=0
	v_mul_i32_i24_e32 v38 /*v294*/, v6 /*v262*/, v39 /*v295*/
	s_set_vgpr_msb 64                       ;  msbs: dst=1 src0=0 src1=0 src2=0
	v_bfe_u32 v39 /*v295*/, v143, 12, 4
	s_set_vgpr_msb 0                        ;  msbs: dst=0 src0=0 src1=0 src2=0
	v_bfe_u32 v143, v143, 20, 4
	s_set_vgpr_msb 64                       ;  msbs: dst=1 src0=0 src1=0 src2=0
	v_bfe_u32 v128 /*v384*/, v141, 8, 4
	s_set_vgpr_msb 0x45                     ;  msbs: dst=1 src0=1 src1=1 src2=0
	v_mul_i32_i24_e32 v6 /*v262*/, v6 /*v262*/, v109 /*v365*/
	s_set_vgpr_msb 0x51                     ;  msbs: dst=1 src0=1 src1=0 src2=1
	v_add3_u32 v31 /*v287*/, v31 /*v287*/, v82, v38 /*v294*/
	s_set_vgpr_msb 1                        ;  msbs: dst=0 src0=1 src1=0 src2=0
	v_mul_i32_i24_e32 v82, v56 /*v312*/, v148
	s_set_vgpr_msb 0x51                     ;  msbs: dst=1 src0=1 src1=0 src2=1
	v_mul_i32_i24_e32 v38 /*v294*/, v57 /*v313*/, v147
	v_mul_i32_i24_e32 v109 /*v365*/, v62 /*v318*/, v236
	s_delay_alu instid0(VALU_DEP_2)
	v_add3_u32 v37 /*v293*/, v37 /*v293*/, v82, v38 /*v294*/
	s_set_vgpr_msb 5                        ;  msbs: dst=0 src0=1 src1=1 src2=0
	v_mul_i32_i24_e32 v82, v4 /*v260*/, v138 /*v394*/
	s_set_vgpr_msb 64                       ;  msbs: dst=1 src0=0 src1=0 src2=0
	v_bfe_u32 v38 /*v294*/, v141, 24, 4
	v_bfe_i32 v138 /*v394*/, v127, 8, 8
	s_set_vgpr_msb 0x51                     ;  msbs: dst=1 src0=1 src1=0 src2=1
	v_add3_u32 v63 /*v319*/, v124 /*v380*/, v82, v63 /*v319*/
	s_set_vgpr_msb 5                        ;  msbs: dst=0 src0=1 src1=1 src2=0
	v_mul_i32_i24_e32 v82, v56 /*v312*/, v39 /*v295*/
	s_set_vgpr_msb 0x41                     ;  msbs: dst=1 src0=1 src1=0 src2=0
	v_mul_i32_i24_e32 v124 /*v380*/, v57 /*v313*/, v143
	s_set_vgpr_msb 0x45                     ;  msbs: dst=1 src0=1 src1=1 src2=0
	v_mul_i32_i24_e32 v56 /*v312*/, v56 /*v312*/, v27 /*v283*/
	v_mul_i32_i24_e32 v57 /*v313*/, v57 /*v313*/, v22 /*v278*/
	s_set_vgpr_msb 0x51                     ;  msbs: dst=1 src0=1 src1=0 src2=1
	v_add3_u32 v124 /*v380*/, v130 /*v386*/, v82, v124 /*v380*/
	s_set_vgpr_msb 5                        ;  msbs: dst=0 src0=1 src1=1 src2=0
	v_mul_i32_i24_e32 v82, v51 /*v307*/, v20 /*v276*/
	s_set_vgpr_msb 0x45                     ;  msbs: dst=1 src0=1 src1=1 src2=0
	v_mul_i32_i24_e32 v51 /*v307*/, v53 /*v309*/, v15 /*v271*/
	s_set_vgpr_msb 64                       ;  msbs: dst=1 src0=0 src1=0 src2=0
	v_bfe_u32 v130 /*v386*/, v141, 16, 4
	v_bfe_u32 v53 /*v309*/, v141, 12, 4
	s_set_vgpr_msb 16                       ;  msbs: dst=0 src0=0 src1=0 src2=1
	v_add3_u32 v151, v151, v82, v51 /*v307*/
	s_set_vgpr_msb 4                        ;  msbs: dst=0 src0=0 src1=1 src2=0
	v_mul_i32_i24_e32 v82, v144, v129 /*v385*/
	s_set_vgpr_msb 0x45                     ;  msbs: dst=1 src0=1 src1=1 src2=0
	v_mul_i32_i24_e32 v51 /*v307*/, v1 /*v257*/, v116 /*v372*/
	s_set_vgpr_msb 20                       ;  msbs: dst=0 src0=0 src1=1 src2=1
	v_add3_u32 v151, v151, v58 /*v314*/, v55 /*v311*/
	s_set_vgpr_msb 0x45                     ;  msbs: dst=1 src0=1 src1=1 src2=0
	v_mul_i32_i24_e32 v55 /*v311*/, v66 /*v322*/, v39 /*v295*/
	s_set_vgpr_msb 4                        ;  msbs: dst=0 src0=0 src1=1 src2=0
	v_add3_u32 v153, v153, v51 /*v307*/, v82
	v_mul_i32_i24_e32 v82, v144, v40 /*v296*/
	s_set_vgpr_msb 0x45                     ;  msbs: dst=1 src0=1 src1=1 src2=0
	v_mul_i32_i24_e32 v51 /*v307*/, v1 /*v257*/, v43 /*v299*/
	v_mul_i32_i24_e32 v40 /*v296*/, v7 /*v263*/, v40 /*v296*/
	s_set_vgpr_msb 0x41                     ;  msbs: dst=1 src0=1 src1=0 src2=0
	v_mul_i32_i24_e32 v58 /*v314*/, v102 /*v358*/, v143
	s_set_vgpr_msb 20                       ;  msbs: dst=0 src0=0 src1=1 src2=1
	v_add3_u32 v151, v151, v56 /*v312*/, v57 /*v313*/
	s_set_vgpr_msb 0x45                     ;  msbs: dst=1 src0=1 src1=1 src2=0
	v_add3_u32 v28 /*v284*/, v28 /*v284*/, v51 /*v307*/, v82
	s_set_vgpr_msb 4                        ;  msbs: dst=0 src0=0 src1=1 src2=0
	v_mul_i32_i24_e32 v82, v144, v104 /*v360*/
	s_set_vgpr_msb 5                        ;  msbs: dst=0 src0=1 src1=1 src2=0
	v_mul_i32_i24_e32 v144, v1 /*v257*/, v106 /*v362*/
	s_set_vgpr_msb 64                       ;  msbs: dst=1 src0=0 src1=0 src2=0
	v_lshrrev_b32_e32 v51 /*v307*/, 28, v141
	s_set_vgpr_msb 0                        ;  msbs: dst=0 src0=0 src1=0 src2=0
	v_bfe_i32 v141, v122, 8, 8
	v_bfe_i32 v122, v122, 16, 8
	s_set_vgpr_msb 64                       ;  msbs: dst=1 src0=0 src1=0 src2=0
	v_bfe_i32 v1 /*v257*/, v124, 8, 8
	s_set_vgpr_msb 0                        ;  msbs: dst=0 src0=0 src1=0 src2=0
	v_add3_u32 v144, v83, v144, v82
	s_set_vgpr_msb 5                        ;  msbs: dst=0 src0=1 src1=1 src2=0
	v_mul_i32_i24_e32 v82, v49 /*v305*/, v20 /*v276*/
	s_set_vgpr_msb 4                        ;  msbs: dst=0 src0=0 src1=1 src2=0
	v_mul_i32_i24_e32 v83, v132, v15 /*v271*/
	v_bfe_i32 v124, v124, 16, 8
	s_set_vgpr_msb 0x45                     ;  msbs: dst=1 src0=1 src1=1 src2=0
	v_mul_i32_i24_e32 v104 /*v360*/, v7 /*v263*/, v104 /*v360*/
	s_set_vgpr_msb 20                       ;  msbs: dst=0 src0=0 src1=1 src2=1
	v_add3_u32 v153, v153, v55 /*v311*/, v58 /*v314*/
	s_set_vgpr_msb 0x45                     ;  msbs: dst=1 src0=1 src1=1 src2=0
	v_mul_i32_i24_e32 v58 /*v314*/, v102 /*v358*/, v33 /*v289*/
	s_set_vgpr_msb 1                        ;  msbs: dst=0 src0=1 src1=0 src2=0
	v_add3_u32 v132, v50 /*v306*/, v82, v83
	s_set_vgpr_msb 4                        ;  msbs: dst=0 src0=0 src1=1 src2=0
	v_mul_i32_i24_e32 v82, v141, v39 /*v295*/
	s_set_vgpr_msb 0                        ;  msbs: dst=0 src0=0 src1=0 src2=0
	v_mul_i32_i24_e32 v83, v122, v143
	s_set_vgpr_msb 64                       ;  msbs: dst=1 src0=0 src1=0 src2=0
	v_bfe_i32 v55 /*v311*/, v131, 8, 8
	s_set_vgpr_msb 0x41                     ;  msbs: dst=1 src0=1 src1=0 src2=0
	v_mul_i32_i24_e32 v102 /*v358*/, v102 /*v358*/, v147
	s_set_vgpr_msb 20                       ;  msbs: dst=0 src0=0 src1=1 src2=1
	v_add3_u32 v132, v132, v46 /*v302*/, v16 /*v272*/
	s_set_vgpr_msb 0x45                     ;  msbs: dst=1 src0=1 src1=1 src2=0
	v_mul_i32_i24_e32 v3 /*v259*/, v3 /*v259*/, v25 /*v281*/
	s_set_vgpr_msb 0x41                     ;  msbs: dst=1 src0=1 src1=0 src2=0
	v_add3_u32 v49 /*v305*/, v52 /*v308*/, v82, v83
	s_set_vgpr_msb 4                        ;  msbs: dst=0 src0=0 src1=1 src2=0
	v_mul_i32_i24_e32 v82, v141, v41 /*v297*/
	v_mul_i32_i24_e32 v83, v122, v33 /*v289*/
	s_set_vgpr_msb 0x41                     ;  msbs: dst=1 src0=1 src1=0 src2=0
	s_delay_alu instid0(VALU_DEP_1)
	v_add3_u32 v50 /*v306*/, v54 /*v310*/, v82, v83
	s_set_vgpr_msb 0                        ;  msbs: dst=0 src0=0 src1=0 src2=0
	v_mul_i32_i24_e32 v82, v141, v148
	v_mul_i32_i24_e32 v83, v122, v147
	s_set_vgpr_msb 64                       ;  msbs: dst=1 src0=0 src1=0 src2=0
	v_bfe_i32 v54 /*v310*/, v126, 8, 8
	s_set_vgpr_msb 4                        ;  msbs: dst=0 src0=0 src1=1 src2=0
	v_bfe_i32 v126, v126, 16, 8
	v_mul_i32_i24_e32 v141, v141, v27 /*v283*/
	v_mul_i32_i24_e32 v122, v122, v22 /*v278*/
	s_set_vgpr_msb 0x41                     ;  msbs: dst=1 src0=1 src1=0 src2=0
	v_add3_u32 v52 /*v308*/, v72 /*v328*/, v82, v83
	s_set_vgpr_msb 5                        ;  msbs: dst=0 src0=1 src1=1 src2=0
	v_mul_i32_i24_e32 v82, v96 /*v352*/, v20 /*v276*/
	s_set_vgpr_msb 4                        ;  msbs: dst=0 src0=0 src1=1 src2=0
	v_mul_i32_i24_e32 v83, v134, v15 /*v271*/
	s_set_vgpr_msb 64                       ;  msbs: dst=1 src0=0 src1=0 src2=0
	v_ashrrev_i32_e32 v96 /*v352*/, 24, v137
	s_set_vgpr_msb 0                        ;  msbs: dst=0 src0=0 src1=0 src2=0
	v_add3_u32 v122, v132, v141, v122
	s_set_vgpr_msb 1                        ;  msbs: dst=0 src0=1 src1=0 src2=0
	v_add3_u32 v134, v80 /*v336*/, v82, v83
	s_set_vgpr_msb 5                        ;  msbs: dst=0 src0=1 src1=1 src2=0
	v_mul_i32_i24_e32 v82, v1 /*v257*/, v39 /*v295*/
	s_set_vgpr_msb 0                        ;  msbs: dst=0 src0=0 src1=0 src2=0
	v_mul_i32_i24_e32 v83, v124, v143
	s_set_vgpr_msb 20                       ;  msbs: dst=0 src0=0 src1=1 src2=1
	v_add3_u32 v134, v134, v79 /*v335*/, v78 /*v334*/
	s_set_vgpr_msb 0x41                     ;  msbs: dst=1 src0=1 src1=0 src2=0
	s_delay_alu instid0(VALU_DEP_2)
	v_add3_u32 v72 /*v328*/, v82 /*v338*/, v82, v83
	s_set_vgpr_msb 5                        ;  msbs: dst=0 src0=1 src1=1 src2=0
	v_mul_i32_i24_e32 v82, v1 /*v257*/, v41 /*v297*/
	s_set_vgpr_msb 4                        ;  msbs: dst=0 src0=0 src1=1 src2=0
	v_mul_i32_i24_e32 v83, v124, v33 /*v289*/
	s_set_vgpr_msb 0x41                     ;  msbs: dst=1 src0=1 src1=0 src2=0
	s_delay_alu instid0(VALU_DEP_1)
	v_add3_u32 v80 /*v336*/, v83 /*v339*/, v82, v83
	s_set_vgpr_msb 1                        ;  msbs: dst=0 src0=1 src1=0 src2=0
	v_mul_i32_i24_e32 v82, v1 /*v257*/, v148
	s_set_vgpr_msb 0                        ;  msbs: dst=0 src0=0 src1=0 src2=0
	v_mul_i32_i24_e32 v83, v124, v147
	s_set_vgpr_msb 64                       ;  msbs: dst=1 src0=0 src1=0 src2=0
	v_bfe_i32 v83 /*v339*/, v128, 8, 8
	s_set_vgpr_msb 0                        ;  msbs: dst=0 src0=0 src1=0 src2=0
	v_bfe_i32 v128, v128, 16, 8
	s_set_vgpr_msb 0x45                     ;  msbs: dst=1 src0=1 src1=1 src2=0
	v_mul_i32_i24_e32 v1 /*v257*/, v1 /*v257*/, v27 /*v283*/
	s_set_vgpr_msb 4                        ;  msbs: dst=0 src0=0 src1=1 src2=0
	v_mul_i32_i24_e32 v124, v124, v22 /*v278*/
	s_set_vgpr_msb 0x41                     ;  msbs: dst=1 src0=1 src1=0 src2=0
	v_add3_u32 v82 /*v338*/, v95 /*v351*/, v82, v83
	s_set_vgpr_msb 5                        ;  msbs: dst=0 src0=1 src1=1 src2=0
	v_mul_i32_i24_e32 v82, v125 /*v381*/, v20 /*v276*/
	s_set_vgpr_msb 4                        ;  msbs: dst=0 src0=0 src1=1 src2=0
	v_mul_i32_i24_e32 v83, v136, v15 /*v271*/
	s_set_vgpr_msb 64                       ;  msbs: dst=1 src0=0 src1=0 src2=0
	v_dual_ashrrev_i32 v95 /*v351*/, 24, v135 :: v_dual_bitop2_b32 v125 /*v381*/, 15, v108 bitop3:0x40
	s_set_vgpr_msb 4                        ;  msbs: dst=0 src0=0 src1=1 src2=0
	v_add3_u32 v124, v134, v1 /*v257*/, v124
	s_set_vgpr_msb 1                        ;  msbs: dst=0 src0=1 src1=0 src2=0
	v_add3_u32 v136, v84 /*v340*/, v82, v83
	s_set_vgpr_msb 5                        ;  msbs: dst=0 src0=1 src1=1 src2=0
	v_mul_i32_i24_e32 v82, v54 /*v310*/, v39 /*v295*/
	s_set_vgpr_msb 0                        ;  msbs: dst=0 src0=0 src1=0 src2=0
	v_mul_i32_i24_e32 v83, v126, v143
	s_set_vgpr_msb 20                       ;  msbs: dst=0 src0=0 src1=1 src2=1
	v_add3_u32 v136, v136, v110 /*v366*/, v98 /*v354*/
	s_set_vgpr_msb 0x41                     ;  msbs: dst=1 src0=1 src1=0 src2=0
	s_delay_alu instid0(VALU_DEP_2)
	v_add3_u32 v84 /*v340*/, v86 /*v342*/, v82, v83
	s_set_vgpr_msb 5                        ;  msbs: dst=0 src0=1 src1=1 src2=0
	v_mul_i32_i24_e32 v82, v54 /*v310*/, v41 /*v297*/
	s_set_vgpr_msb 4                        ;  msbs: dst=0 src0=0 src1=1 src2=0
	v_mul_i32_i24_e32 v83, v126, v33 /*v289*/
	s_set_vgpr_msb 0x41                     ;  msbs: dst=1 src0=1 src1=0 src2=0
	s_delay_alu instid0(VALU_DEP_1)
	v_add3_u32 v64 /*v320*/, v64 /*v320*/, v82, v83
	s_set_vgpr_msb 1                        ;  msbs: dst=0 src0=1 src1=0 src2=0
	v_mul_i32_i24_e32 v82, v54 /*v310*/, v148
	s_set_vgpr_msb 0                        ;  msbs: dst=0 src0=0 src1=0 src2=0
	v_mul_i32_i24_e32 v83, v126, v147
	s_set_vgpr_msb 0x45                     ;  msbs: dst=1 src0=1 src1=1 src2=0
	v_mul_i32_i24_e32 v54 /*v310*/, v54 /*v310*/, v27 /*v283*/
	s_set_vgpr_msb 4                        ;  msbs: dst=0 src0=0 src1=1 src2=0
	v_mul_i32_i24_e32 v126, v126, v22 /*v278*/
	s_set_vgpr_msb 0x41                     ;  msbs: dst=1 src0=1 src1=0 src2=0
	v_add3_u32 v86 /*v342*/, v87 /*v343*/, v82, v83
	s_set_vgpr_msb 5                        ;  msbs: dst=0 src0=1 src1=1 src2=0
	v_mul_i32_i24_e32 v82, v118 /*v374*/, v20 /*v276*/
	s_set_vgpr_msb 4                        ;  msbs: dst=0 src0=0 src1=1 src2=0
	v_mul_i32_i24_e32 v83, v138, v15 /*v271*/
	s_set_vgpr_msb 5                        ;  msbs: dst=0 src0=1 src1=1 src2=0
	v_mul_i32_i24_e32 v138, v83 /*v339*/, v39 /*v295*/
	s_set_vgpr_msb 0x45                     ;  msbs: dst=1 src0=1 src1=1 src2=0
	v_mul_i32_i24_e32 v20 /*v276*/, v67 /*v323*/, v20 /*v276*/
	s_set_vgpr_msb 64                       ;  msbs: dst=1 src0=0 src1=0 src2=0
	v_bfe_i32 v67 /*v323*/, v120, 8, 8
	s_set_vgpr_msb 0x45                     ;  msbs: dst=1 src0=1 src1=1 src2=0
	v_mul_i32_i24_e32 v118 /*v374*/, v8 /*v264*/, v27 /*v283*/
	s_set_vgpr_msb 0x41                     ;  msbs: dst=1 src0=1 src1=0 src2=0
	v_add3_u32 v87 /*v343*/, v88 /*v344*/, v82, v83
	s_set_vgpr_msb 0                        ;  msbs: dst=0 src0=0 src1=0 src2=0
	v_mul_i32_i24_e32 v82, v128, v143
	s_set_vgpr_msb 5                        ;  msbs: dst=0 src0=1 src1=1 src2=0
	v_mul_i32_i24_e32 v83, v83 /*v339*/, v41 /*v297*/
	s_set_vgpr_msb 0x41                     ;  msbs: dst=1 src0=1 src1=0 src2=0
	v_mul_i32_i24_e32 v88 /*v344*/, v83 /*v339*/, v148
	s_set_vgpr_msb 4                        ;  msbs: dst=0 src0=0 src1=1 src2=0
	v_add3_u32 v130, v250, v20 /*v276*/, v130
	v_bfe_u32 v250, v108, 8, 4
	s_set_vgpr_msb 1                        ;  msbs: dst=0 src0=1 src1=0 src2=0
	v_add3_u32 v138, v91 /*v347*/, v138, v82
	s_set_vgpr_msb 4                        ;  msbs: dst=0 src0=0 src1=1 src2=0
	v_mul_i32_i24_e32 v82, v128, v33 /*v289*/
	s_set_vgpr_msb 64                       ;  msbs: dst=1 src0=0 src1=0 src2=0
	v_bfe_u32 v20 /*v276*/, v108, 24, 4
	s_set_vgpr_msb 0x55                     ;  msbs: dst=1 src0=1 src1=1 src2=1
	v_add3_u32 v87 /*v343*/, v87 /*v343*/, v112 /*v368*/, v111 /*v367*/
	v_mul_i32_i24_e32 v83 /*v339*/, v83 /*v339*/, v27 /*v283*/
	v_mul_i32_i24_e32 v27 /*v283*/, v67 /*v323*/, v27 /*v283*/
	s_set_vgpr_msb 0x41                     ;  msbs: dst=1 src0=1 src1=0 src2=0
	v_add3_u32 v91 /*v347*/, v93 /*v349*/, v83, v82
	s_set_vgpr_msb 0x45                     ;  msbs: dst=1 src0=1 src1=1 src2=0
	v_mul_i32_i24_e32 v93 /*v349*/, v4 /*v260*/, v15 /*v271*/
	s_set_vgpr_msb 64                       ;  msbs: dst=1 src0=0 src1=0 src2=0
	v_bfe_i32 v15 /*v271*/, v120, 16, 8
	s_set_vgpr_msb 5                        ;  msbs: dst=0 src0=1 src1=1 src2=0
	v_mul_i32_i24_e32 v120, v4 /*v260*/, v140 /*v396*/
	s_set_vgpr_msb 0                        ;  msbs: dst=0 src0=0 src1=0 src2=0
	v_mul_i32_i24_e32 v82, v128, v147
	s_set_vgpr_msb 64                       ;  msbs: dst=1 src0=0 src1=0 src2=0
	v_bfe_i32 v4 /*v260*/, v135, 8, 8
	s_set_vgpr_msb 20                       ;  msbs: dst=0 src0=0 src1=1 src2=1
	v_add3_u32 v252, v252, v93 /*v349*/, v23 /*v279*/
	s_set_vgpr_msb 64                       ;  msbs: dst=1 src0=0 src1=0 src2=0
	v_bfe_i32 v23 /*v279*/, v133, 8, 8
	s_set_vgpr_msb 0x51                     ;  msbs: dst=1 src0=1 src1=0 src2=1
	v_add3_u32 v2 /*v258*/, v2 /*v258*/, v120, v6 /*v262*/
	s_set_vgpr_msb 5                        ;  msbs: dst=0 src0=1 src1=1 src2=0
	v_add3_u32 v120, v68 /*v324*/, v65 /*v321*/, v254
	v_mul_i32_i24_e32 v254, v67 /*v323*/, v39 /*v295*/
	s_set_vgpr_msb 0x41                     ;  msbs: dst=1 src0=1 src1=0 src2=0
	v_mul_i32_i24_e32 v65 /*v321*/, v15 /*v271*/, v143
	s_set_vgpr_msb 0x45                     ;  msbs: dst=1 src0=1 src1=1 src2=0
	v_mul_i32_i24_e32 v68 /*v324*/, v15 /*v271*/, v33 /*v289*/
	v_add3_u32 v88 /*v344*/, v97 /*v353*/, v88 /*v344*/, v82
	s_set_vgpr_msb 0x41                     ;  msbs: dst=1 src0=1 src1=0 src2=0
	v_mul_i32_i24_e32 v97 /*v353*/, v15 /*v271*/, v147
	v_ashrrev_i32_e32 v93 /*v349*/, 24, v133
	s_set_vgpr_msb 17                       ;  msbs: dst=0 src0=1 src1=0 src2=1
	v_add3_u32 v254, v122 /*v378*/, v254, v65 /*v321*/
	s_set_vgpr_msb 0x45                     ;  msbs: dst=1 src0=1 src1=1 src2=0
	v_mul_i32_i24_e32 v65 /*v321*/, v67 /*v323*/, v41 /*v297*/
	s_set_vgpr_msb 64                       ;  msbs: dst=1 src0=0 src1=0 src2=0
	v_bfe_i32 v6 /*v262*/, v137, 8, 8
	s_set_vgpr_msb 0x41                     ;  msbs: dst=1 src0=1 src1=0 src2=0
	v_mul_i32_i24_e32 v16 /*v272*/, v23 /*v279*/, v250
	s_set_vgpr_msb 0x45                     ;  msbs: dst=1 src0=1 src1=1 src2=0
	v_mul_i32_i24_e32 v46 /*v302*/, v93 /*v349*/, v20 /*v276*/
	s_set_vgpr_msb 0x41                     ;  msbs: dst=1 src0=1 src1=0 src2=0
	v_mul_i32_i24_e32 v78 /*v334*/, v4 /*v260*/, v250
	s_set_vgpr_msb 0x55                     ;  msbs: dst=1 src0=1 src1=1 src2=1
	v_add3_u32 v65 /*v321*/, v123 /*v379*/, v65 /*v321*/, v68 /*v324*/
	s_set_vgpr_msb 0x41                     ;  msbs: dst=1 src0=1 src1=0 src2=0
	v_mul_i32_i24_e32 v68 /*v324*/, v67 /*v323*/, v148
	s_set_vgpr_msb 0x45                     ;  msbs: dst=1 src0=1 src1=1 src2=0
	v_mul_i32_i24_e32 v79 /*v335*/, v95 /*v351*/, v20 /*v276*/
	s_set_vgpr_msb 0x41                     ;  msbs: dst=1 src0=1 src1=0 src2=0
	v_mul_i32_i24_e32 v98 /*v354*/, v6 /*v262*/, v250
	s_set_vgpr_msb 0x55                     ;  msbs: dst=1 src0=1 src1=1 src2=1
	v_add3_u32 v16 /*v272*/, v49 /*v305*/, v46 /*v302*/, v16 /*v272*/
	v_mul_i32_i24_e32 v46 /*v302*/, v23 /*v279*/, v45 /*v301*/
	v_add3_u32 v68 /*v324*/, v126 /*v382*/, v68 /*v324*/, v97 /*v353*/
	v_mul_i32_i24_e32 v97 /*v353*/, v59 /*v315*/, v45 /*v301*/
	s_set_vgpr_msb 0x41                     ;  msbs: dst=1 src0=1 src1=0 src2=0
	v_mul_i32_i24_e32 v49 /*v305*/, v93 /*v349*/, v236
	s_set_vgpr_msb 0x55                     ;  msbs: dst=1 src0=1 src1=1 src2=1
	v_add3_u32 v72 /*v328*/, v72 /*v328*/, v79 /*v335*/, v78 /*v334*/
	v_mul_i32_i24_e32 v78 /*v334*/, v4 /*v260*/, v45 /*v301*/
	s_set_vgpr_msb 0x41                     ;  msbs: dst=1 src0=1 src1=0 src2=0
	v_mul_i32_i24_e32 v79 /*v335*/, v95 /*v351*/, v236
	s_set_vgpr_msb 0x55                     ;  msbs: dst=1 src0=1 src1=1 src2=1
	v_add3_u32 v97 /*v353*/, v115 /*v371*/, v109 /*v365*/, v97 /*v353*/
	v_mul_i32_i24_e32 v115 /*v371*/, v8 /*v264*/, v41 /*v297*/
	s_set_vgpr_msb 64                       ;  msbs: dst=1 src0=0 src1=0 src2=0
	v_bfe_i32 v109 /*v365*/, v139, 8, 8
	s_set_vgpr_msb 0x55                     ;  msbs: dst=1 src0=1 src1=1 src2=1
	v_mul_i32_i24_e32 v41 /*v297*/, v66 /*v322*/, v41 /*v297*/
	v_add3_u32 v46 /*v302*/, v50 /*v306*/, v49 /*v305*/, v46 /*v302*/
	v_mul_i32_i24_e32 v49 /*v305*/, v23 /*v279*/, v35 /*v291*/
	v_add3_u32 v31 /*v287*/, v31 /*v287*/, v40 /*v296*/, v115 /*v371*/
	v_mul_i32_i24_e32 v40 /*v296*/, v59 /*v315*/, v35 /*v291*/
	v_mul_i32_i24_e32 v115 /*v371*/, v62 /*v318*/, v113 /*v369*/
	s_set_vgpr_msb 0x41                     ;  msbs: dst=1 src0=1 src1=0 src2=0
	v_mul_i32_i24_e32 v111 /*v367*/, v109 /*v365*/, v250
	s_set_vgpr_msb 0x55                     ;  msbs: dst=1 src0=1 src1=1 src2=1
	v_mul_i32_i24_e32 v50 /*v306*/, v93 /*v349*/, v113 /*v369*/
	v_add3_u32 v78 /*v334*/, v80 /*v336*/, v79 /*v335*/, v78 /*v334*/
	v_mul_i32_i24_e32 v79 /*v335*/, v4 /*v260*/, v35 /*v291*/
	v_add3_u32 v37 /*v293*/, v37 /*v293*/, v115 /*v371*/, v40 /*v296*/
	s_set_vgpr_msb 0x41                     ;  msbs: dst=1 src0=1 src1=0 src2=0
	v_ashrrev_i32_e32 v40 /*v296*/, 24, v139
	v_mul_i32_i24_e32 v115 /*v371*/, v8 /*v264*/, v148
	s_set_vgpr_msb 0x55                     ;  msbs: dst=1 src0=1 src1=1 src2=1
	v_mul_i32_i24_e32 v110 /*v366*/, v96 /*v352*/, v20 /*v276*/
	v_mul_i32_i24_e32 v80 /*v336*/, v95 /*v351*/, v113 /*v369*/
	v_add3_u32 v28 /*v284*/, v28 /*v284*/, v41 /*v297*/, v58 /*v314*/
	v_mul_i32_i24_e32 v112 /*v368*/, v40 /*v296*/, v20 /*v276*/
	v_add3_u32 v63 /*v319*/, v63 /*v319*/, v104 /*v360*/, v115 /*v371*/
	s_set_vgpr_msb 0x41                     ;  msbs: dst=1 src0=1 src1=0 src2=0
	v_mul_i32_i24_e32 v104 /*v360*/, v59 /*v315*/, v250
	s_set_vgpr_msb 0x55                     ;  msbs: dst=1 src0=1 src1=1 src2=1
	v_mul_i32_i24_e32 v115 /*v371*/, v62 /*v318*/, v20 /*v276*/
	v_add3_u32 v84 /*v340*/, v84 /*v340*/, v110 /*v366*/, v98 /*v354*/
	v_mul_i32_i24_e32 v98 /*v354*/, v6 /*v262*/, v45 /*v301*/
	s_set_vgpr_msb 0x41                     ;  msbs: dst=1 src0=1 src1=0 src2=0
	v_mul_i32_i24_e32 v110 /*v366*/, v96 /*v352*/, v236
	s_set_vgpr_msb 20                       ;  msbs: dst=0 src0=0 src1=1 src2=1
	v_add3_u32 v138, v138, v112 /*v368*/, v111 /*v367*/
	s_set_vgpr_msb 0x55                     ;  msbs: dst=1 src0=1 src1=1 src2=1
	v_add3_u32 v104 /*v360*/, v124 /*v380*/, v115 /*v371*/, v104 /*v360*/
	v_mul_i32_i24_e32 v115 /*v371*/, v7 /*v263*/, v26 /*v282*/
	v_mul_i32_i24_e32 v111 /*v367*/, v109 /*v365*/, v45 /*v301*/
	v_add3_u32 v64 /*v320*/, v64 /*v320*/, v110 /*v366*/, v98 /*v354*/
	v_mul_i32_i24_e32 v98 /*v354*/, v6 /*v262*/, v35 /*v291*/
	v_mul_i32_i24_e32 v110 /*v366*/, v96 /*v352*/, v113 /*v369*/
	s_set_vgpr_msb 0x41                     ;  msbs: dst=1 src0=1 src1=0 src2=0
	v_mul_i32_i24_e32 v112 /*v368*/, v40 /*v296*/, v236
	v_ashrrev_i32_e32 v41 /*v297*/, 24, v131
	s_set_vgpr_msb 0x55                     ;  msbs: dst=1 src0=1 src1=1 src2=1
	v_add3_u32 v49 /*v305*/, v52 /*v308*/, v50 /*v306*/, v49 /*v305*/
	s_set_vgpr_msb 64                       ;  msbs: dst=1 src0=0 src1=0 src2=0
	v_lshrrev_b32_e32 v52 /*v308*/, 28, v108
	s_set_vgpr_msb 0x55                     ;  msbs: dst=1 src0=1 src1=1 src2=1
	v_add3_u32 v79 /*v335*/, v82 /*v338*/, v80 /*v336*/, v79 /*v335*/
	s_set_vgpr_msb 64                       ;  msbs: dst=1 src0=0 src1=0 src2=0
	v_bfe_i32 v80 /*v336*/, v123, 0, 8
	v_ashrrev_i32_e32 v82 /*v338*/, 24, v123
	s_set_vgpr_msb 0x55                     ;  msbs: dst=1 src0=1 src1=1 src2=1
	v_add3_u32 v86 /*v342*/, v86 /*v342*/, v110 /*v366*/, v98 /*v354*/
	s_set_vgpr_msb 64                       ;  msbs: dst=1 src0=0 src1=0 src2=0
	v_bfe_i32 v98 /*v354*/, v125, 0, 8
	v_ashrrev_i32_e32 v110 /*v366*/, 24, v125
	s_set_vgpr_msb 0x55                     ;  msbs: dst=1 src0=1 src1=1 src2=1
	v_add3_u32 v91 /*v347*/, v91 /*v347*/, v112 /*v368*/, v111 /*v367*/
	v_mul_i32_i24_e32 v111 /*v367*/, v109 /*v365*/, v35 /*v291*/
	v_mul_i32_i24_e32 v112 /*v368*/, v40 /*v296*/, v113 /*v369*/
	s_set_vgpr_msb 20                       ;  msbs: dst=0 src0=0 src1=1 src2=1
	v_add3_u32 v252, v252, v115 /*v371*/, v118 /*v374*/
	s_set_vgpr_msb 64                       ;  msbs: dst=1 src0=0 src1=0 src2=0
	v_bfe_i32 v118 /*v374*/, v123, 8, 8
	s_set_vgpr_msb 5                        ;  msbs: dst=0 src0=1 src1=1 src2=0
	v_mul_i32_i24_e32 v123, v7 /*v263*/, v129 /*v385*/
	v_mul_i32_i24_e32 v125, v8 /*v264*/, v39 /*v295*/
	s_set_vgpr_msb 0x55                     ;  msbs: dst=1 src0=1 src1=1 src2=1
	v_add3_u32 v88 /*v344*/, v88 /*v344*/, v112 /*v368*/, v111 /*v367*/
	s_set_vgpr_msb 64                       ;  msbs: dst=1 src0=0 src1=0 src2=0
	v_bfe_i32 v111 /*v367*/, v127, 0, 8
	v_ashrrev_i32_e32 v112 /*v368*/, 24, v127
	v_bfe_i32 v140 /*v396*/, v127, 16, 8
	s_set_vgpr_msb 1                        ;  msbs: dst=0 src0=1 src1=0 src2=0
	v_add3_u32 v123, v2 /*v258*/, v123, v125
	v_mul_i32_i24_e32 v125, v55 /*v311*/, v250
	s_set_vgpr_msb 5                        ;  msbs: dst=0 src0=1 src1=1 src2=0
	v_mul_i32_i24_e32 v127, v41 /*v297*/, v20 /*v276*/
	s_set_vgpr_msb 1                        ;  msbs: dst=0 src0=1 src1=0 src2=0
	v_mul_i32_i24_e32 v148, v66 /*v322*/, v148
	s_set_vgpr_msb 0x44                     ;  msbs: dst=1 src0=0 src1=1 src2=0
	v_bfe_u32 v66 /*v322*/, v108, 16, 4
	v_mul_i32_i24_e32 v126 /*v382*/, v244, v25 /*v281*/
	s_set_vgpr_msb 0x45                     ;  msbs: dst=1 src0=1 src1=1 src2=0
	v_mul_i32_i24_e32 v26 /*v282*/, v108 /*v364*/, v26 /*v282*/
	s_set_vgpr_msb 64                       ;  msbs: dst=1 src0=0 src1=0 src2=0
	v_bfe_i32 v108 /*v364*/, v129, 0, 8
	v_ashrrev_i32_e32 v25 /*v281*/, 24, v129
	v_bfe_i32 v115 /*v371*/, v121, 0, 8
	s_set_vgpr_msb 0                        ;  msbs: dst=0 src0=0 src1=0 src2=0
	v_add3_u32 v125, v254, v127, v125
	s_set_vgpr_msb 5                        ;  msbs: dst=0 src0=1 src1=1 src2=0
	v_mul_i32_i24_e32 v127, v55 /*v311*/, v45 /*v301*/
	s_set_vgpr_msb 1                        ;  msbs: dst=0 src0=1 src1=0 src2=0
	v_mul_i32_i24_e32 v129, v41 /*v297*/, v236
	s_set_vgpr_msb 64                       ;  msbs: dst=1 src0=0 src1=0 src2=0
	v_bfe_i32 v8 /*v264*/, v121, 8, 8
	v_bfe_i32 v39 /*v295*/, v121, 16, 8
	s_set_vgpr_msb 4                        ;  msbs: dst=0 src0=0 src1=1 src2=0
	v_mul_i32_i24_e32 v121, v246, v33 /*v289*/
	s_set_vgpr_msb 0x44                     ;  msbs: dst=1 src0=0 src1=1 src2=0
	v_mul_i32_i24_e32 v33 /*v289*/, v244, v43 /*v299*/
	s_set_vgpr_msb 0                        ;  msbs: dst=0 src0=0 src1=0 src2=0
	v_mul_i32_i24_e32 v147, v246, v147
	s_set_vgpr_msb 0x44                     ;  msbs: dst=1 src0=0 src1=1 src2=0
	v_mul_i32_i24_e32 v43 /*v299*/, v244, v106 /*v362*/
	s_set_vgpr_msb 16                       ;  msbs: dst=0 src0=0 src1=0 src2=1
	v_add3_u32 v144, v144, v148, v102 /*v358*/
	s_set_vgpr_msb 20                       ;  msbs: dst=0 src0=0 src1=1 src2=1
	v_mul_i32_i24_e32 v148, v246, v22 /*v278*/
	v_add3_u32 v130, v130, v3 /*v259*/, v26 /*v282*/
	s_set_vgpr_msb 1                        ;  msbs: dst=0 src0=1 src1=0 src2=0
	v_add3_u32 v127, v65 /*v321*/, v129, v127
	s_set_vgpr_msb 5                        ;  msbs: dst=0 src0=1 src1=1 src2=0
	v_mul_i32_i24_e32 v129, v55 /*v311*/, v35 /*v291*/
	v_mul_i32_i24_e32 v254, v41 /*v297*/, v113 /*v369*/
	s_set_vgpr_msb 17                       ;  msbs: dst=0 src0=1 src1=0 src2=1
	v_add3_u32 v147, v63 /*v319*/, v147, v43 /*v299*/
	s_set_vgpr_msb 0x44                     ;  msbs: dst=1 src0=0 src1=1 src2=0
	v_mul_i32_i24_e32 v43 /*v299*/, v88, v125 /*v381*/
	v_mul_i32_i24_e32 v63 /*v319*/, v89, v66 /*v322*/
	s_set_vgpr_msb 0x45                     ;  msbs: dst=1 src0=1 src1=1 src2=0
	v_mul_i32_i24_e32 v15 /*v271*/, v15 /*v271*/, v22 /*v278*/
	s_set_vgpr_msb 64                       ;  msbs: dst=1 src0=0 src1=0 src2=0
	v_bfe_i32 v102 /*v358*/, v131, 0, 8
	s_set_vgpr_msb 0                        ;  msbs: dst=0 src0=0 src1=0 src2=0
	v_bfe_i32 v131, v131, 16, 8
	s_set_vgpr_msb 1                        ;  msbs: dst=0 src0=1 src1=0 src2=0
	v_add3_u32 v129, v68 /*v324*/, v254, v129
	s_set_vgpr_msb 0x55                     ;  msbs: dst=1 src0=1 src1=1 src2=1
	v_add3_u32 v43 /*v299*/, v104 /*v360*/, v43 /*v299*/, v63 /*v319*/
	s_set_vgpr_msb 64                       ;  msbs: dst=1 src0=0 src1=0 src2=0
	v_bfe_i32 v63 /*v319*/, v97, 8, 8
	v_ashrrev_i32_e32 v68 /*v324*/, 24, v97
	s_set_vgpr_msb 4                        ;  msbs: dst=0 src0=0 src1=1 src2=0
	v_mul_i32_i24_e32 v128, v128, v22 /*v278*/
	s_set_vgpr_msb 64                       ;  msbs: dst=1 src0=0 src1=0 src2=0
	v_bfe_i32 v67 /*v323*/, v97, 0, 8
	v_bfe_i32 v22 /*v278*/, v97, 16, 8
	s_set_vgpr_msb 20                       ;  msbs: dst=0 src0=0 src1=1 src2=1
	v_add3_u32 v97, v130, v27 /*v283*/, v15 /*v271*/
	s_set_vgpr_msb 16                       ;  msbs: dst=0 src0=0 src1=0 src2=1
	v_add3_u32 v130, v252, v148, v126 /*v382*/
	v_mul_i32_i24_e32 v143, v246, v143
	s_set_vgpr_msb 4                        ;  msbs: dst=0 src0=0 src1=1 src2=0
	v_mul_i32_i24_e32 v148, v244, v116 /*v372*/
	v_mul_i32_i24_e32 v254, v88, v44 /*v300*/
	s_set_vgpr_msb 0x44                     ;  msbs: dst=1 src0=0 src1=1 src2=0
	v_mul_i32_i24_e32 v2 /*v258*/, v89, v139 /*v395*/
	s_set_vgpr_msb 17                       ;  msbs: dst=0 src0=1 src1=0 src2=1
	v_add3_u32 v121, v31 /*v287*/, v121, v33 /*v289*/
	s_set_vgpr_msb 0x44                     ;  msbs: dst=1 src0=0 src1=1 src2=0
	v_mul_i32_i24_e32 v31 /*v287*/, v88, v114 /*v370*/
	s_set_vgpr_msb 0                        ;  msbs: dst=0 src0=0 src1=0 src2=0
	v_add3_u32 v143, v123, v143, v148
	s_set_vgpr_msb 5                        ;  msbs: dst=0 src0=1 src1=1 src2=0
	v_mul_i32_i24_e32 v123, v102 /*v358*/, v125 /*v381*/
	s_set_vgpr_msb 4                        ;  msbs: dst=0 src0=0 src1=1 src2=0
	v_mul_i32_i24_e32 v148, v131, v66 /*v322*/
	s_set_vgpr_msb 17                       ;  msbs: dst=0 src0=1 src1=0 src2=1
	v_add3_u32 v254, v97 /*v353*/, v254, v2 /*v258*/
	s_set_vgpr_msb 64                       ;  msbs: dst=1 src0=0 src1=0 src2=0
	v_mul_i32_i24_e32 v33 /*v289*/, v89, v251
	v_bfe_u32 v50 /*v306*/, v108, 4, 4
	s_set_vgpr_msb 0x41                     ;  msbs: dst=1 src0=1 src1=0 src2=0
	v_mul_i32_i24_e32 v56 /*v312*/, v101 /*v357*/, v250
	s_set_vgpr_msb 0                        ;  msbs: dst=0 src0=0 src1=0 src2=0
	v_add3_u32 v148, v125, v123, v148
	s_set_vgpr_msb 5                        ;  msbs: dst=0 src0=1 src1=1 src2=0
	v_mul_i32_i24_e32 v123, v102 /*v358*/, v44 /*v300*/
	s_set_vgpr_msb 4                        ;  msbs: dst=0 src0=0 src1=1 src2=0
	v_mul_i32_i24_e32 v125, v131, v139 /*v395*/
	s_set_vgpr_msb 0x55                     ;  msbs: dst=1 src0=1 src1=1 src2=1
	v_add3_u32 v31 /*v287*/, v37 /*v293*/, v31 /*v287*/, v33 /*v289*/
	v_mul_i32_i24_e32 v57 /*v313*/, v103 /*v359*/, v20 /*v276*/
	v_mul_i32_i24_e32 v97 /*v353*/, v101 /*v357*/, v35 /*v291*/
	s_set_vgpr_msb 64                       ;  msbs: dst=1 src0=0 src1=0 src2=0
	v_bfe_i32 v58 /*v314*/, v133, 0, 8
	s_set_vgpr_msb 0                        ;  msbs: dst=0 src0=0 src1=0 src2=0
	v_add3_u32 v127, v127, v123, v125
	s_set_vgpr_msb 5                        ;  msbs: dst=0 src0=1 src1=1 src2=0
	v_mul_i32_i24_e32 v123, v102 /*v358*/, v114 /*v370*/
	s_set_vgpr_msb 0                        ;  msbs: dst=0 src0=0 src1=0 src2=0
	v_mul_i32_i24_e32 v125, v131, v251
	s_set_vgpr_msb 20                       ;  msbs: dst=0 src0=0 src1=1 src2=1
	v_add3_u32 v153, v153, v57 /*v313*/, v56 /*v312*/
	s_set_vgpr_msb 0x45                     ;  msbs: dst=1 src0=1 src1=1 src2=0
	v_mul_i32_i24_e32 v56 /*v312*/, v101 /*v357*/, v45 /*v301*/
	s_set_vgpr_msb 0x41                     ;  msbs: dst=1 src0=1 src1=0 src2=0
	v_mul_i32_i24_e32 v57 /*v313*/, v103 /*v359*/, v236
	s_set_vgpr_msb 0x45                     ;  msbs: dst=1 src0=1 src1=1 src2=0
	v_mul_i32_i24_e32 v101 /*v357*/, v103 /*v359*/, v113 /*v369*/
	s_set_vgpr_msb 0                        ;  msbs: dst=0 src0=0 src1=0 src2=0
	v_add3_u32 v129, v129, v123, v125
	s_set_vgpr_msb 4                        ;  msbs: dst=0 src0=0 src1=1 src2=0
	v_mul_i32_i24_e32 v123, v232, v47 /*v303*/
	s_set_vgpr_msb 5                        ;  msbs: dst=0 src0=1 src1=1 src2=0
	v_mul_i32_i24_e32 v125, v133 /*v389*/, v81 /*v337*/
	s_set_vgpr_msb 0x55                     ;  msbs: dst=1 src0=1 src1=1 src2=1
	v_add3_u32 v28 /*v284*/, v28 /*v284*/, v57 /*v313*/, v56 /*v312*/
	s_set_vgpr_msb 20                       ;  msbs: dst=0 src0=0 src1=1 src2=1
	v_bfe_i32 v133, v133, 16, 8
	v_add3_u32 v144, v144, v101 /*v357*/, v97 /*v353*/
	s_set_vgpr_msb 5                        ;  msbs: dst=0 src0=1 src1=1 src2=0
	v_mul_i32_i24_e32 v132, v58 /*v314*/, v125 /*v381*/
	s_set_vgpr_msb 0                        ;  msbs: dst=0 src0=0 src1=0 src2=0
	v_add3_u32 v244, v254, v125, v123
	s_set_vgpr_msb 4                        ;  msbs: dst=0 src0=0 src1=1 src2=0
	v_mul_i32_i24_e32 v123, v235, v44 /*v300*/
	v_mul_i32_i24_e32 v125, v234, v45 /*v301*/
	;; [unrolled: 1-line block ×3, first 2 shown]
	s_set_vgpr_msb 64                       ;  msbs: dst=1 src0=0 src1=0 src2=0
	v_bfe_i32 v122 /*v378*/, v135, 0, 8
	s_set_vgpr_msb 0                        ;  msbs: dst=0 src0=0 src1=0 src2=0
	v_bfe_i32 v135, v135, 16, 8
	s_set_vgpr_msb 64                       ;  msbs: dst=1 src0=0 src1=0 src2=0
	v_bfe_i32 v123 /*v379*/, v137, 0, 8
	v_add3_u32 v27 /*v283*/, v121, v125, v123
	s_set_vgpr_msb 0                        ;  msbs: dst=0 src0=0 src1=0 src2=0
	v_mul_i32_i24_e32 v121, v232, v253
	s_set_vgpr_msb 5                        ;  msbs: dst=0 src0=1 src1=1 src2=0
	v_mul_i32_i24_e32 v123, v133 /*v389*/, v117 /*v373*/
	s_set_vgpr_msb 1                        ;  msbs: dst=0 src0=1 src1=0 src2=0
	v_add3_u32 v132, v16 /*v272*/, v132, v141
	s_set_vgpr_msb 5                        ;  msbs: dst=0 src0=1 src1=1 src2=0
	v_mul_i32_i24_e32 v141, v58 /*v314*/, v44 /*v300*/
	s_set_vgpr_msb 0x44                     ;  msbs: dst=1 src0=0 src1=1 src2=0
	v_mul_i32_i24_e32 v16 /*v272*/, v133, v139 /*v395*/
	s_set_vgpr_msb 5                        ;  msbs: dst=0 src0=1 src1=1 src2=0
	v_mul_i32_i24_e32 v134, v122 /*v378*/, v125 /*v381*/
	s_set_vgpr_msb 0x41                     ;  msbs: dst=1 src0=1 src1=0 src2=0
	v_add3_u32 v31 /*v287*/, v31 /*v287*/, v123, v121
	s_set_vgpr_msb 4                        ;  msbs: dst=0 src0=0 src1=1 src2=0
	v_mul_i32_i24_e32 v121, v235, v114 /*v370*/
	v_mul_i32_i24_e32 v123, v234, v35 /*v291*/
	s_set_vgpr_msb 17                       ;  msbs: dst=0 src0=1 src1=0 src2=1
	v_add3_u32 v141, v46 /*v302*/, v141, v16 /*v272*/
	s_set_vgpr_msb 0x45                     ;  msbs: dst=1 src0=1 src1=1 src2=0
	v_mul_i32_i24_e32 v16 /*v272*/, v58 /*v314*/, v114 /*v370*/
	s_set_vgpr_msb 64                       ;  msbs: dst=1 src0=0 src1=0 src2=0
	v_mul_i32_i24_e32 v46 /*v302*/, v133, v251
	s_set_vgpr_msb 0x44                     ;  msbs: dst=1 src0=0 src1=1 src2=0
	v_mul_i32_i24_e32 v1 /*v257*/, v135, v66 /*v322*/
	s_set_vgpr_msb 0                        ;  msbs: dst=0 src0=0 src1=0 src2=0
	v_add3_u32 v147, v147, v123, v121
	s_set_vgpr_msb 4                        ;  msbs: dst=0 src0=0 src1=1 src2=0
	v_mul_i32_i24_e32 v121, v232, v50 /*v306*/
	s_set_vgpr_msb 5                        ;  msbs: dst=0 src0=1 src1=1 src2=0
	v_mul_i32_i24_e32 v123, v133 /*v389*/, v52 /*v308*/
	s_set_vgpr_msb 0x55                     ;  msbs: dst=1 src0=1 src1=1 src2=1
	v_add3_u32 v16 /*v272*/, v49 /*v305*/, v16 /*v272*/, v46 /*v302*/
	s_set_vgpr_msb 17                       ;  msbs: dst=0 src0=1 src1=0 src2=1
	v_add3_u32 v134, v72 /*v328*/, v134, v1 /*v257*/
	s_set_vgpr_msb 0x45                     ;  msbs: dst=1 src0=1 src1=1 src2=0
	v_mul_i32_i24_e32 v1 /*v257*/, v122 /*v378*/, v44 /*v300*/
	s_set_vgpr_msb 0x44                     ;  msbs: dst=1 src0=0 src1=1 src2=0
	v_mul_i32_i24_e32 v72 /*v328*/, v135, v139 /*v395*/
	s_set_vgpr_msb 0x41                     ;  msbs: dst=1 src0=1 src1=0 src2=0
	v_add3_u32 v35 /*v291*/, v43 /*v299*/, v123, v121
	s_set_vgpr_msb 1                        ;  msbs: dst=0 src0=1 src1=0 src2=0
	v_mul_i32_i24_e32 v121, v59 /*v315*/, v85
	v_mul_i32_i24_e32 v123, v62 /*v318*/, v93
	s_set_vgpr_msb 0                        ;  msbs: dst=0 src0=0 src1=0 src2=0
	v_bfe_i32 v137, v137, 16, 8
	s_set_vgpr_msb 0x55                     ;  msbs: dst=1 src0=1 src1=1 src2=1
	v_add3_u32 v1 /*v257*/, v78 /*v334*/, v1 /*v257*/, v72 /*v328*/
	v_mul_i32_i24_e32 v72 /*v328*/, v122 /*v378*/, v114 /*v370*/
	s_set_vgpr_msb 64                       ;  msbs: dst=1 src0=0 src1=0 src2=0
	v_mul_i32_i24_e32 v78 /*v334*/, v135, v251
	s_set_vgpr_msb 0                        ;  msbs: dst=0 src0=0 src1=0 src2=0
	v_add3_u32 v151, v151, v123, v121
	s_set_vgpr_msb 5                        ;  msbs: dst=0 src0=1 src1=1 src2=0
	v_mul_i32_i24_e32 v121, v100 /*v356*/, v125 /*v381*/
	v_mul_i32_i24_e32 v123, v89 /*v345*/, v66 /*v322*/
	s_set_vgpr_msb 4                        ;  msbs: dst=0 src0=0 src1=1 src2=0
	v_add3_u32 v126, v136, v54 /*v310*/, v126
	s_set_vgpr_msb 0x55                     ;  msbs: dst=1 src0=1 src1=1 src2=1
	v_add3_u32 v72 /*v328*/, v79 /*v335*/, v72 /*v328*/, v78 /*v334*/
	s_set_vgpr_msb 5                        ;  msbs: dst=0 src0=1 src1=1 src2=0
	v_mul_i32_i24_e32 v136, v123 /*v379*/, v125 /*v381*/
	s_set_vgpr_msb 0x44                     ;  msbs: dst=1 src0=0 src1=1 src2=0
	v_mul_i32_i24_e32 v54 /*v310*/, v137, v66 /*v322*/
	s_set_vgpr_msb 0                        ;  msbs: dst=0 src0=0 src1=0 src2=0
	v_add3_u32 v153, v153, v121, v123
	s_set_vgpr_msb 5                        ;  msbs: dst=0 src0=1 src1=1 src2=0
	v_mul_i32_i24_e32 v121, v100 /*v356*/, v44 /*v300*/
	v_mul_i32_i24_e32 v123, v89 /*v345*/, v139 /*v395*/
	s_set_vgpr_msb 64                       ;  msbs: dst=1 src0=0 src1=0 src2=0
	v_mul_i32_i24_e32 v3 /*v259*/, v234, v85
	s_set_vgpr_msb 17                       ;  msbs: dst=0 src0=1 src1=0 src2=1
	v_add3_u32 v136, v84 /*v340*/, v136, v54 /*v310*/
	s_set_vgpr_msb 0x45                     ;  msbs: dst=1 src0=1 src1=1 src2=0
	v_mul_i32_i24_e32 v54 /*v310*/, v123 /*v379*/, v44 /*v300*/
	s_set_vgpr_msb 0x44                     ;  msbs: dst=1 src0=0 src1=1 src2=0
	v_mul_i32_i24_e32 v84 /*v340*/, v137, v139 /*v395*/
	s_set_vgpr_msb 0x41                     ;  msbs: dst=1 src0=1 src1=0 src2=0
	v_add3_u32 v28 /*v284*/, v28 /*v284*/, v121, v123
	s_set_vgpr_msb 5                        ;  msbs: dst=0 src0=1 src1=1 src2=0
	v_mul_i32_i24_e32 v121, v100 /*v356*/, v114 /*v370*/
	s_set_vgpr_msb 1                        ;  msbs: dst=0 src0=1 src1=0 src2=0
	v_mul_i32_i24_e32 v123, v89 /*v345*/, v251
	s_set_vgpr_msb 64                       ;  msbs: dst=1 src0=0 src1=0 src2=0
	v_mul_i32_i24_e32 v2 /*v258*/, v226, v93
	s_set_vgpr_msb 0x55                     ;  msbs: dst=1 src0=1 src1=1 src2=1
	v_add3_u32 v54 /*v310*/, v64 /*v320*/, v54 /*v310*/, v84 /*v340*/
	v_mul_i32_i24_e32 v64 /*v320*/, v123 /*v379*/, v114 /*v370*/
	s_set_vgpr_msb 64                       ;  msbs: dst=1 src0=0 src1=0 src2=0
	v_mul_i32_i24_e32 v84 /*v340*/, v137, v251
	s_set_vgpr_msb 0                        ;  msbs: dst=0 src0=0 src1=0 src2=0
	v_add3_u32 v144, v144, v121, v123
	s_set_vgpr_msb 1                        ;  msbs: dst=0 src0=1 src1=0 src2=0
	v_mul_i32_i24_e32 v121, v23 /*v279*/, v85
	v_mul_i32_i24_e32 v123, v93 /*v349*/, v93
	s_set_vgpr_msb 64                       ;  msbs: dst=1 src0=0 src1=0 src2=0
	v_mul_i32_i24_e32 v26 /*v282*/, v235, v94
	s_set_vgpr_msb 0x55                     ;  msbs: dst=1 src0=1 src1=1 src2=1
	v_add3_u32 v64 /*v320*/, v86 /*v342*/, v64 /*v320*/, v84 /*v340*/
	s_set_vgpr_msb 64                       ;  msbs: dst=1 src0=0 src1=0 src2=0
	v_ashrrev_i32_e32 v86 /*v342*/, 24, v99
	v_bfe_u32 v7 /*v263*/, v108, 12, 4
	v_add3_u32 v23 /*v279*/, v122, v123, v121
	s_set_vgpr_msb 5                        ;  msbs: dst=0 src0=1 src1=1 src2=0
	v_mul_i32_i24_e32 v121, v80 /*v336*/, v50 /*v306*/
	v_mul_i32_i24_e32 v122, v82 /*v338*/, v52 /*v308*/
	s_set_vgpr_msb 0                        ;  msbs: dst=0 src0=0 src1=0 src2=0
	v_bfe_u32 v108, v108, 20, 4
	s_set_vgpr_msb 64                       ;  msbs: dst=1 src0=0 src1=0 src2=0
	v_bfe_i32 v124 /*v380*/, v139, 0, 8
	s_set_vgpr_msb 5                        ;  msbs: dst=0 src0=1 src1=1 src2=0
	v_add3_u32 v128, v87 /*v343*/, v83 /*v339*/, v128
	s_set_vgpr_msb 64                       ;  msbs: dst=1 src0=0 src1=0 src2=0
	v_ashrrev_i32_e32 v100 /*v356*/, 24, v117
	s_set_vgpr_msb 0                        ;  msbs: dst=0 src0=0 src1=0 src2=0
	v_add3_u32 v132, v132, v122, v121
	s_set_vgpr_msb 5                        ;  msbs: dst=0 src0=1 src1=1 src2=0
	v_mul_i32_i24_e32 v121, v80 /*v336*/, v47 /*v303*/
	v_mul_i32_i24_e32 v122, v82 /*v338*/, v81 /*v337*/
	s_set_vgpr_msb 0x45                     ;  msbs: dst=1 src0=1 src1=1 src2=0
	v_mul_i32_i24_e32 v83 /*v339*/, v124 /*v380*/, v125 /*v381*/
	s_set_vgpr_msb 0                        ;  msbs: dst=0 src0=0 src1=0 src2=0
	v_bfe_i32 v139, v139, 16, 8
	s_set_vgpr_msb 64                       ;  msbs: dst=1 src0=0 src1=0 src2=0
	v_dual_ashrrev_i32 v104 /*v360*/, 24, v113 :: v_dual_ashrrev_i32 v101 /*v357*/, 24, v103
	s_set_vgpr_msb 0                        ;  msbs: dst=0 src0=0 src1=0 src2=0
	v_add3_u32 v141, v141, v122, v121
	s_set_vgpr_msb 1                        ;  msbs: dst=0 src0=1 src1=0 src2=0
	v_mul_i32_i24_e32 v121, v80 /*v336*/, v253
	s_set_vgpr_msb 5                        ;  msbs: dst=0 src0=1 src1=1 src2=0
	v_mul_i32_i24_e32 v122, v82 /*v338*/, v117 /*v373*/
	s_set_vgpr_msb 0x44                     ;  msbs: dst=1 src0=0 src1=1 src2=0
	v_mul_i32_i24_e32 v87 /*v343*/, v139, v66 /*v322*/
	s_set_vgpr_msb 20                       ;  msbs: dst=0 src0=0 src1=1 src2=1
	v_add3_u32 v130, v130, v3 /*v259*/, v26 /*v282*/
	s_set_vgpr_msb 64                       ;  msbs: dst=1 src0=0 src1=0 src2=0
	v_mul_i32_i24_e32 v65 /*v321*/, v225, v95
	v_bfe_u32 v33 /*v289*/, v109, 8, 4
	s_set_vgpr_msb 0x41                     ;  msbs: dst=1 src0=1 src1=0 src2=0
	v_add3_u32 v16 /*v272*/, v16 /*v272*/, v122, v121
	s_set_vgpr_msb 1                        ;  msbs: dst=0 src0=1 src1=0 src2=0
	v_mul_i32_i24_e32 v121, v4 /*v260*/, v85
	v_mul_i32_i24_e32 v122, v95 /*v351*/, v93
	s_set_vgpr_msb 20                       ;  msbs: dst=0 src0=0 src1=1 src2=1
	v_add3_u32 v138, v138, v83 /*v339*/, v87 /*v343*/
	s_set_vgpr_msb 0x45                     ;  msbs: dst=1 src0=1 src1=1 src2=0
	v_mul_i32_i24_e32 v83 /*v339*/, v124 /*v380*/, v44 /*v300*/
	s_set_vgpr_msb 0x44                     ;  msbs: dst=1 src0=0 src1=1 src2=0
	v_mul_i32_i24_e32 v87 /*v343*/, v139, v139 /*v395*/
	v_bfe_u32 v37 /*v293*/, v109, 24, 4
	s_set_vgpr_msb 64                       ;  msbs: dst=1 src0=0 src1=0 src2=0
	v_add3_u32 v4 /*v260*/, v124, v122, v121
	s_set_vgpr_msb 5                        ;  msbs: dst=0 src0=1 src1=1 src2=0
	v_mul_i32_i24_e32 v121, v98 /*v354*/, v50 /*v306*/
	v_mul_i32_i24_e32 v122, v110 /*v366*/, v52 /*v308*/
	s_set_vgpr_msb 0x55                     ;  msbs: dst=1 src0=1 src1=1 src2=1
	v_add3_u32 v83 /*v339*/, v91 /*v347*/, v83 /*v339*/, v87 /*v343*/
	s_set_vgpr_msb 64                       ;  msbs: dst=1 src0=0 src1=0 src2=0
	v_mul_i32_i24_e32 v91 /*v347*/, v139, v251
	s_set_vgpr_msb 0x45                     ;  msbs: dst=1 src0=1 src1=1 src2=0
	v_mul_i32_i24_e32 v87 /*v343*/, v124 /*v380*/, v114 /*v370*/
	s_set_vgpr_msb 0x54                     ;  msbs: dst=1 src0=0 src1=1 src2=1
	v_add3_u32 v2 /*v258*/, v130, v65 /*v321*/, v2 /*v258*/
	s_set_vgpr_msb 0                        ;  msbs: dst=0 src0=0 src1=0 src2=0
	v_add3_u32 v134, v134, v122, v121
	s_set_vgpr_msb 5                        ;  msbs: dst=0 src0=1 src1=1 src2=0
	v_mul_i32_i24_e32 v121, v98 /*v354*/, v47 /*v303*/
	v_mul_i32_i24_e32 v122, v110 /*v366*/, v81 /*v337*/
	s_set_vgpr_msb 0x55                     ;  msbs: dst=1 src0=1 src1=1 src2=1
	v_add3_u32 v87 /*v343*/, v88 /*v344*/, v87 /*v343*/, v91 /*v347*/
	s_set_vgpr_msb 1                        ;  msbs: dst=0 src0=1 src1=0 src2=0
	v_mul_i32_i24_e32 v130, v39 /*v295*/, v108
	s_set_vgpr_msb 64                       ;  msbs: dst=1 src0=0 src1=0 src2=0
	v_ashrrev_i32_e32 v62 /*v318*/, 24, v107
	v_bfe_i32 v56 /*v312*/, v105, 8, 8
	s_set_vgpr_msb 0x41                     ;  msbs: dst=1 src0=1 src1=0 src2=0
	v_add3_u32 v1 /*v257*/, v1 /*v257*/, v122, v121
	s_set_vgpr_msb 1                        ;  msbs: dst=0 src0=1 src1=0 src2=0
	v_mul_i32_i24_e32 v121, v98 /*v354*/, v253
	s_set_vgpr_msb 5                        ;  msbs: dst=0 src0=1 src1=1 src2=0
	v_mul_i32_i24_e32 v122, v110 /*v366*/, v117 /*v373*/
	s_set_vgpr_msb 64                       ;  msbs: dst=1 src0=0 src1=0 src2=0
	v_ashrrev_i32_e32 v57 /*v313*/, 24, v105
	s_set_vgpr_msb 1                        ;  msbs: dst=0 src0=1 src1=0 src2=0
	v_cvt_f32_f16_e64 v83, v11 /*v267*/
	s_set_vgpr_msb 0x44                     ;  msbs: dst=1 src0=0 src1=1 src2=0
	v_lshrrev_b32_e32 v11 /*v267*/, 16, v11 /*v267*/
	v_bfe_i32 v97 /*v353*/, v103, 8, 8
	s_set_vgpr_msb 0x41                     ;  msbs: dst=1 src0=1 src1=0 src2=0
	v_add3_u32 v72 /*v328*/, v72 /*v328*/, v122, v121
	s_set_vgpr_msb 1                        ;  msbs: dst=0 src0=1 src1=0 src2=0
	v_mul_i32_i24_e32 v121, v6 /*v262*/, v85
	v_mul_i32_i24_e32 v122, v96 /*v352*/, v93
	s_set_vgpr_msb 64                       ;  msbs: dst=1 src0=0 src1=0 src2=0
	v_ashrrev_i32_e32 v96 /*v352*/, 24, v115
	v_bfe_i32 v46 /*v302*/, v101, 8, 8
	v_ashrrev_i32_e32 v49 /*v305*/, 24, v101
	v_mul_i32_i24_e32 v78 /*v334*/, v218, v223
	v_add3_u32 v6 /*v262*/, v126, v122, v121
	s_set_vgpr_msb 5                        ;  msbs: dst=0 src0=1 src1=1 src2=0
	v_mul_i32_i24_e32 v121, v111 /*v367*/, v50 /*v306*/
	v_mul_i32_i24_e32 v122, v112 /*v368*/, v52 /*v308*/
	s_set_vgpr_msb 64                       ;  msbs: dst=1 src0=0 src1=0 src2=0
	v_bfe_i32 v84 /*v340*/, v99, 8, 8
	s_set_vgpr_msb 0                        ;  msbs: dst=0 src0=0 src1=0 src2=0
	v_mul_i32_i24_e32 v254, v216, v224
	s_set_vgpr_msb 1                        ;  msbs: dst=0 src0=1 src1=0 src2=0
	v_cvt_f32_f16_e64 v82, v14 /*v270*/
	s_set_vgpr_msb 0x44                     ;  msbs: dst=1 src0=0 src1=1 src2=0
	v_lshrrev_b32_e32 v14 /*v270*/, 16, v14 /*v270*/
	s_set_vgpr_msb 0                        ;  msbs: dst=0 src0=0 src1=0 src2=0
	v_add3_u32 v136, v136, v122, v121
	s_set_vgpr_msb 5                        ;  msbs: dst=0 src0=1 src1=1 src2=0
	v_mul_i32_i24_e32 v121, v111 /*v367*/, v47 /*v303*/
	v_mul_i32_i24_e32 v122, v112 /*v368*/, v81 /*v337*/
	s_set_vgpr_msb 64                       ;  msbs: dst=1 src0=0 src1=0 src2=0
	v_mul_i32_i24_e32 v79 /*v335*/, v220, v222
	v_dual_lshrrev_b32 v103 /*v359*/, 28, v109 :: v_dual_bitop2_b32 v88 /*v344*/, 15, v109 bitop3:0x40
	v_bfe_u32 v91 /*v347*/, v109, 16, 4
	s_set_vgpr_msb 0x41                     ;  msbs: dst=1 src0=1 src1=0 src2=0
	v_add3_u32 v54 /*v310*/, v54 /*v310*/, v122, v121
	s_set_vgpr_msb 1                        ;  msbs: dst=0 src0=1 src1=0 src2=0
	v_mul_i32_i24_e32 v121, v111 /*v367*/, v253
	s_set_vgpr_msb 5                        ;  msbs: dst=0 src0=1 src1=1 src2=0
	v_mul_i32_i24_e32 v122, v112 /*v368*/, v117 /*v373*/
	s_set_vgpr_msb 64                       ;  msbs: dst=1 src0=0 src1=0 src2=0
	v_bfe_i32 v15 /*v271*/, v105, 0, 8
	s_set_vgpr_msb 0                        ;  msbs: dst=0 src0=0 src1=0 src2=0
	v_bfe_i32 v105, v105, 16, 8
	v_bfe_i32 v252, v103, 0, 8
	;; [unrolled: 1-line block ×3, first 2 shown]
	s_set_vgpr_msb 0x41                     ;  msbs: dst=1 src0=1 src1=0 src2=0
	v_add3_u32 v64 /*v320*/, v64 /*v320*/, v122, v121
	s_set_vgpr_msb 1                        ;  msbs: dst=0 src0=1 src1=0 src2=0
	v_mul_i32_i24_e32 v121, v109 /*v365*/, v85
	v_mul_i32_i24_e32 v122, v40 /*v296*/, v93
	;; [unrolled: 1-line block ×4, first 2 shown]
	s_set_vgpr_msb 0                        ;  msbs: dst=0 src0=0 src1=0 src2=0
	v_bfe_i32 v246, v101, 0, 8
	v_bfe_i32 v101, v101, 16, 8
	v_add3_u32 v128, v128, v122, v121
	s_set_vgpr_msb 5                        ;  msbs: dst=0 src0=1 src1=1 src2=0
	v_mul_i32_i24_e32 v121, v108 /*v364*/, v50 /*v306*/
	s_set_vgpr_msb 0                        ;  msbs: dst=0 src0=0 src1=0 src2=0
	v_add3_u32 v97, v97, v93, v85
	s_set_vgpr_msb 4                        ;  msbs: dst=0 src0=0 src1=1 src2=0
	v_mul_i32_i24_e32 v85, v235, v125 /*v381*/
	s_set_vgpr_msb 0                        ;  msbs: dst=0 src0=0 src1=0 src2=0
	v_mul_i32_i24_e32 v93, v234, v250
	s_set_vgpr_msb 64                       ;  msbs: dst=1 src0=0 src1=0 src2=0
	v_ashrrev_i32_e32 v125 /*v381*/, 24, v96
	s_set_vgpr_msb 5                        ;  msbs: dst=0 src0=1 src1=1 src2=0
	v_mul_i32_i24_e32 v122, v25 /*v281*/, v52 /*v308*/
	s_set_vgpr_msb 64                       ;  msbs: dst=1 src0=0 src1=0 src2=0
	v_bfe_i32 v43 /*v299*/, v99, 0, 8
	s_set_vgpr_msb 0                        ;  msbs: dst=0 src0=0 src1=0 src2=0
	v_bfe_i32 v99, v99, 16, 8
	v_add3_u32 v143, v143, v93, v85
	s_set_vgpr_msb 5                        ;  msbs: dst=0 src0=1 src1=1 src2=0
	v_mul_i32_i24_e32 v85, v115 /*v371*/, v50 /*v306*/
	v_mul_i32_i24_e32 v93, v143 /*v399*/, v52 /*v308*/
	s_set_vgpr_msb 0                        ;  msbs: dst=0 src0=0 src1=0 src2=0
	v_add3_u32 v138, v138, v122, v121
	s_set_vgpr_msb 5                        ;  msbs: dst=0 src0=1 src1=1 src2=0
	v_mul_i32_i24_e32 v121, v108 /*v364*/, v47 /*v303*/
	v_mul_i32_i24_e32 v122, v25 /*v281*/, v81 /*v337*/
	s_set_vgpr_msb 64                       ;  msbs: dst=1 src0=0 src1=0 src2=0
	v_mul_i32_i24_e32 v45 /*v301*/, v215, v217
	s_set_vgpr_msb 0                        ;  msbs: dst=0 src0=0 src1=0 src2=0
	v_add3_u32 v148, v148, v93, v85
	s_set_vgpr_msb 5                        ;  msbs: dst=0 src0=1 src1=1 src2=0
	v_mul_i32_i24_e32 v85, v115 /*v371*/, v47 /*v303*/
	v_mul_i32_i24_e32 v93, v143 /*v399*/, v81 /*v337*/
	s_set_vgpr_msb 0x41                     ;  msbs: dst=1 src0=1 src1=0 src2=0
	v_add3_u32 v40 /*v296*/, v83 /*v339*/, v122, v121
	s_set_vgpr_msb 1                        ;  msbs: dst=0 src0=1 src1=0 src2=0
	v_mul_i32_i24_e32 v121, v108 /*v364*/, v253
	s_set_vgpr_msb 5                        ;  msbs: dst=0 src0=1 src1=1 src2=0
	v_mul_i32_i24_e32 v122, v25 /*v281*/, v117 /*v373*/
	s_set_vgpr_msb 64                       ;  msbs: dst=1 src0=0 src1=0 src2=0
	v_bfe_u32 v59 /*v315*/, v109, 4, 4
	s_set_vgpr_msb 0                        ;  msbs: dst=0 src0=0 src1=0 src2=0
	v_add3_u32 v127, v127, v93, v85
	s_set_vgpr_msb 1                        ;  msbs: dst=0 src0=1 src1=0 src2=0
	v_mul_i32_i24_e32 v85, v115 /*v371*/, v253
	s_set_vgpr_msb 5                        ;  msbs: dst=0 src0=1 src1=1 src2=0
	v_mul_i32_i24_e32 v93, v143 /*v399*/, v117 /*v373*/
	s_set_vgpr_msb 0x41                     ;  msbs: dst=1 src0=1 src1=0 src2=0
	v_add3_u32 v83 /*v339*/, v87 /*v343*/, v122, v121
	v_ashrrev_i32_e32 v87 /*v343*/, 24, v111
	s_set_vgpr_msb 64                       ;  msbs: dst=1 src0=0 src1=0 src2=0
	v_bfe_i32 v44 /*v300*/, v107, 0, 8
	v_bfe_i32 v89 /*v345*/, v117, 0, 8
	s_set_vgpr_msb 0                        ;  msbs: dst=0 src0=0 src1=0 src2=0
	v_add3_u32 v129, v129, v93, v85
	s_set_vgpr_msb 4                        ;  msbs: dst=0 src0=0 src1=1 src2=0
	v_mul_i32_i24_e32 v85, v239, v75 /*v331*/
	v_mul_i32_i24_e32 v93, v241, v85 /*v341*/
	s_set_vgpr_msb 64                       ;  msbs: dst=1 src0=0 src1=0 src2=0
	v_bfe_i32 v93 /*v349*/, v113, 0, 8
	v_bfe_i32 v95 /*v351*/, v115, 0, 8
	v_mul_i32_i24_e32 v26 /*v282*/, v238, v237
	s_set_vgpr_msb 0x41                     ;  msbs: dst=1 src0=1 src1=0 src2=0
	v_mul_i32_i24_e32 v65 /*v321*/, v141 /*v397*/, v222
	s_set_vgpr_msb 0                        ;  msbs: dst=0 src0=0 src1=0 src2=0
	v_add3_u32 v234, v244, v85, v93
	v_mul_i32_i24_e32 v85, v226, v236
	s_set_vgpr_msb 4                        ;  msbs: dst=0 src0=0 src1=1 src2=0
	v_mul_i32_i24_e32 v93, v225, v139 /*v395*/
	s_set_vgpr_msb 64                       ;  msbs: dst=1 src0=0 src1=0 src2=0
	v_mul_i32_i24_e32 v106 /*v362*/, v213, v210
	v_bfe_i32 v114 /*v370*/, v111, 0, 8
	v_bfe_i32 v126 /*v382*/, v117, 8, 8
	s_set_vgpr_msb 0                        ;  msbs: dst=0 src0=0 src1=0 src2=0
	v_bfe_i32 v117, v117, 16, 8
	s_set_vgpr_msb 1                        ;  msbs: dst=0 src0=1 src1=0 src2=0
	v_add3_u32 v235, v27 /*v283*/, v93, v85
	s_set_vgpr_msb 4                        ;  msbs: dst=0 src0=0 src1=1 src2=0
	v_mul_i32_i24_e32 v85, v239, v121 /*v377*/
	s_set_vgpr_msb 0                        ;  msbs: dst=0 src0=0 src1=0 src2=0
	v_mul_i32_i24_e32 v93, v241, v140
	s_set_vgpr_msb 64                       ;  msbs: dst=1 src0=0 src1=0 src2=0
	v_mul_i32_i24_e32 v27 /*v283*/, v240, v249
	v_bfe_i32 v129 /*v385*/, v113, 8, 8
	s_set_vgpr_msb 0                        ;  msbs: dst=0 src0=0 src1=0 src2=0
	v_bfe_i32 v113, v113, 16, 8
	s_set_vgpr_msb 64                       ;  msbs: dst=1 src0=0 src1=0 src2=0
	v_bfe_u32 v109 /*v365*/, v109, 12, 4
	s_set_vgpr_msb 1                        ;  msbs: dst=0 src0=1 src1=0 src2=0
	v_add3_u32 v236, v31 /*v287*/, v85, v93
	s_set_vgpr_msb 4                        ;  msbs: dst=0 src0=0 src1=1 src2=0
	v_mul_i32_i24_e32 v85, v226, v113 /*v369*/
	s_set_vgpr_msb 0                        ;  msbs: dst=0 src0=0 src1=0 src2=0
	v_mul_i32_i24_e32 v93, v225, v251
	s_set_vgpr_msb 0x44                     ;  msbs: dst=1 src0=0 src1=1 src2=0
	v_mul_i32_i24_e32 v31 /*v287*/, v216, v117 /*v373*/
	s_set_vgpr_msb 0                        ;  msbs: dst=0 src0=0 src1=0 src2=0
	v_bfe_u32 v109, v109, 20, 4
	v_bfe_i32 v107, v107, 16, 8
	s_set_vgpr_msb 64                       ;  msbs: dst=1 src0=0 src1=0 src2=0
	v_mul_i32_i24_e32 v116 /*v372*/, v214, v207
	s_set_vgpr_msb 0                        ;  msbs: dst=0 src0=0 src1=0 src2=0
	v_add3_u32 v147, v147, v93, v85
	s_set_vgpr_msb 4                        ;  msbs: dst=0 src0=0 src1=1 src2=0
	v_mul_i32_i24_e32 v85, v239, v7 /*v263*/
	s_set_vgpr_msb 0                        ;  msbs: dst=0 src0=0 src1=0 src2=0
	v_mul_i32_i24_e32 v93, v241, v108
	v_mul_i32_i24_e32 v239, v239, v222
	;; [unrolled: 1-line block ×3, first 2 shown]
	s_set_vgpr_msb 64                       ;  msbs: dst=1 src0=0 src1=0 src2=0
	v_mul_i32_i24_e32 v190 /*v446*/, v105, v208
	s_set_vgpr_msb 0                        ;  msbs: dst=0 src0=0 src1=0 src2=0
	v_bfe_i32 v111, v111, 16, 8
	s_set_vgpr_msb 1                        ;  msbs: dst=0 src0=1 src1=0 src2=0
	v_add3_u32 v244, v35 /*v291*/, v85, v93
	s_set_vgpr_msb 0                        ;  msbs: dst=0 src0=0 src1=0 src2=0
	v_mul_i32_i24_e32 v85, v88, v94
	v_mul_i32_i24_e32 v88, v89, v95
	;; [unrolled: 1-line block ×4, first 2 shown]
	s_set_vgpr_msb 4                        ;  msbs: dst=0 src0=0 src1=1 src2=0
	v_mul_i32_i24_e32 v133, v226, v20 /*v276*/
	s_set_vgpr_msb 0                        ;  msbs: dst=0 src0=0 src1=0 src2=0
	v_mul_i32_i24_e32 v226, v149, v247
	v_add3_u32 v151, v151, v85, v88
	s_set_vgpr_msb 5                        ;  msbs: dst=0 src0=1 src1=1 src2=0
	v_mul_i32_i24_e32 v85, v24 /*v280*/, v50 /*v306*/
	v_mul_i32_i24_e32 v88, v0 /*v256*/, v52 /*v308*/
	s_set_vgpr_msb 64                       ;  msbs: dst=1 src0=0 src1=0 src2=0
	v_mul_i32_i24_e32 v20 /*v276*/, v214, v242
	s_set_vgpr_msb 0                        ;  msbs: dst=0 src0=0 src1=0 src2=0
	v_bfe_i32 v115, v115, 16, 8
	v_mul_i32_i24_e32 v123, v211, v209
	v_mul_i32_i24_e32 v125, v212, v208
	v_add3_u32 v153, v153, v88, v85
	s_set_vgpr_msb 5                        ;  msbs: dst=0 src0=1 src1=1 src2=0
	v_mul_i32_i24_e32 v85, v24 /*v280*/, v47 /*v303*/
	v_mul_i32_i24_e32 v88, v0 /*v256*/, v81 /*v337*/
	;; [unrolled: 1-line block ×4, first 2 shown]
	s_set_vgpr_msb 0x41                     ;  msbs: dst=1 src0=1 src1=0 src2=0
	v_mul_i32_i24_e32 v179 /*v435*/, v114 /*v370*/, v237
	v_mul_i32_i24_e32 v180 /*v436*/, v87 /*v343*/, v249
	s_set_vgpr_msb 1                        ;  msbs: dst=0 src0=1 src1=0 src2=0
	v_add3_u32 v250, v28 /*v284*/, v88, v85
	v_mul_i32_i24_e32 v85, v24 /*v280*/, v253
	s_set_vgpr_msb 5                        ;  msbs: dst=0 src0=1 src1=1 src2=0
	v_mul_i32_i24_e32 v88, v0 /*v256*/, v117 /*v373*/
	s_set_vgpr_msb 0x41                     ;  msbs: dst=1 src0=1 src1=0 src2=0
	v_mul_i32_i24_e32 v28 /*v284*/, v56 /*v312*/, v245
	s_set_vgpr_msb 0x45                     ;  msbs: dst=1 src0=1 src1=1 src2=0
	v_mul_i32_i24_e32 v117 /*v373*/, v104 /*v360*/, v103 /*v359*/
	v_mul_i32_i24_e32 v181 /*v437*/, v95 /*v351*/, v132 /*v388*/
	;; [unrolled: 1-line block ×3, first 2 shown]
	s_set_vgpr_msb 0                        ;  msbs: dst=0 src0=0 src1=0 src2=0
	v_add3_u32 v96, v144, v88, v85
	s_set_vgpr_msb 1                        ;  msbs: dst=0 src0=1 src1=0 src2=0
	v_mul_i32_i24_e32 v88, v58 /*v314*/, v94
	s_set_vgpr_msb 0                        ;  msbs: dst=0 src0=0 src1=0 src2=0
	v_cvt_f32_f16_e32 v85, v84
	v_cvt_f32_f16_e64 v84, v233
	s_set_vgpr_msb 0x44                     ;  msbs: dst=1 src0=0 src1=1 src2=0
	v_mul_i32_i24_e32 v58 /*v314*/, v238, v132 /*v388*/
	s_set_vgpr_msb 0x45                     ;  msbs: dst=1 src0=1 src1=1 src2=0
	v_mul_i32_i24_e32 v184 /*v440*/, v87 /*v343*/, v51 /*v307*/
	s_set_vgpr_msb 1                        ;  msbs: dst=0 src0=1 src1=0 src2=0
	v_add3_u32 v144, v23 /*v279*/, v88, v89
	s_set_vgpr_msb 5                        ;  msbs: dst=0 src0=1 src1=1 src2=0
	v_mul_i32_i24_e32 v88, v118 /*v374*/, v7 /*v263*/
	s_set_vgpr_msb 1                        ;  msbs: dst=0 src0=1 src1=0 src2=0
	v_mul_i32_i24_e32 v89, v135 /*v391*/, v108
	s_set_vgpr_msb 64                       ;  msbs: dst=1 src0=0 src1=0 src2=0
	v_mul_i32_i24_e32 v23 /*v279*/, v213, v245
	s_set_vgpr_msb 0x41                     ;  msbs: dst=1 src0=1 src1=0 src2=0
	v_mul_i32_i24_e32 v187 /*v443*/, v67 /*v323*/, v207
	v_mul_i32_i24_e32 v188 /*v444*/, v22 /*v278*/, v208
	;; [unrolled: 1-line block ×3, first 2 shown]
	s_set_vgpr_msb 0                        ;  msbs: dst=0 src0=0 src1=0 src2=0
	v_add3_u32 v132, v132, v88, v89
	s_set_vgpr_msb 5                        ;  msbs: dst=0 src0=1 src1=1 src2=0
	v_mul_i32_i24_e32 v88, v118 /*v374*/, v75 /*v331*/
	v_mul_i32_i24_e32 v89, v135 /*v391*/, v85 /*v341*/
	;; [unrolled: 1-line block ×3, first 2 shown]
	s_set_vgpr_msb 0x41                     ;  msbs: dst=1 src0=1 src1=0 src2=0
	v_mul_i32_i24_e32 v178 /*v434*/, v96 /*v352*/, v249
	s_set_vgpr_msb 0x45                     ;  msbs: dst=1 src0=1 src1=1 src2=0
	v_mul_i32_i24_e32 v182 /*v438*/, v96 /*v352*/, v51 /*v307*/
	s_set_vgpr_msb 0                        ;  msbs: dst=0 src0=0 src1=0 src2=0
	v_cvt_f32_i32_e32 v120, v120
	v_add3_u32 v141, v141, v88, v89
	s_set_vgpr_msb 5                        ;  msbs: dst=0 src0=1 src1=1 src2=0
	v_mul_i32_i24_e32 v88, v118 /*v374*/, v121 /*v377*/
	s_set_vgpr_msb 1                        ;  msbs: dst=0 src0=1 src1=0 src2=0
	v_mul_i32_i24_e32 v89, v135 /*v391*/, v140
	s_set_vgpr_msb 5                        ;  msbs: dst=0 src0=1 src1=1 src2=0
	v_mul_i32_i24_e32 v126, v30 /*v286*/, v36 /*v292*/
	s_set_vgpr_msb 0                        ;  msbs: dst=0 src0=0 src1=0 src2=0
	v_fma_mix_f32 v120, v206, v120, v206 op_sel:[0,0,1] op_sel_hi:[1,0,1]
	s_set_vgpr_msb 1                        ;  msbs: dst=0 src0=1 src1=0 src2=0
	v_add3_u32 v233, v16 /*v272*/, v88, v89
	s_set_vgpr_msb 0                        ;  msbs: dst=0 src0=0 src1=0 src2=0
	v_cvt_f32_f16_e32 v89, v87
	v_cvt_f32_f16_e32 v88, v86
	s_set_vgpr_msb 1                        ;  msbs: dst=0 src0=1 src1=0 src2=0
	v_mul_i32_i24_e32 v86, v122 /*v378*/, v94
	s_set_vgpr_msb 0                        ;  msbs: dst=0 src0=0 src1=0 src2=0
	v_mul_i32_i24_e32 v87, v135, v95
	s_set_vgpr_msb 64                       ;  msbs: dst=1 src0=0 src1=0 src2=0
	v_lshrrev_b32_e32 v122 /*v378*/, 16, v90
	s_set_vgpr_msb 0x45                     ;  msbs: dst=1 src0=1 src1=1 src2=0
	v_mul_i32_i24_e32 v16 /*v272*/, v8 /*v264*/, v75 /*v331*/
	s_set_vgpr_msb 1                        ;  msbs: dst=0 src0=1 src1=0 src2=0
	v_add3_u32 v135, v4 /*v260*/, v86, v87
	s_set_vgpr_msb 5                        ;  msbs: dst=0 src0=1 src1=1 src2=0
	v_mul_i32_i24_e32 v86, v136 /*v392*/, v7 /*v263*/
	s_set_vgpr_msb 1                        ;  msbs: dst=0 src0=1 src1=0 src2=0
	v_mul_i32_i24_e32 v87, v137 /*v393*/, v108
	s_set_vgpr_msb 0                        ;  msbs: dst=0 src0=0 src1=0 src2=0
	s_delay_alu instid0(VALU_DEP_1)
	v_add3_u32 v251, v134, v86, v87
	s_set_vgpr_msb 5                        ;  msbs: dst=0 src0=1 src1=1 src2=0
	v_mul_i32_i24_e32 v86, v136 /*v392*/, v75 /*v331*/
	v_mul_i32_i24_e32 v87, v137 /*v393*/, v85 /*v341*/
	s_set_vgpr_msb 4                        ;  msbs: dst=0 src0=0 src1=1 src2=0
	v_mul_i32_i24_e32 v134, v225, v66 /*v322*/
	s_set_vgpr_msb 5                        ;  msbs: dst=0 src0=1 src1=1 src2=0
	v_mul_i32_i24_e32 v225, v8 /*v264*/, v7 /*v263*/
	s_set_vgpr_msb 0x41                     ;  msbs: dst=1 src0=1 src1=0 src2=0
	v_mul_i32_i24_e32 v66 /*v322*/, v142 /*v398*/, v217
	v_add3_u32 v0 /*v256*/, v1 /*v257*/, v86, v87
	s_set_vgpr_msb 5                        ;  msbs: dst=0 src0=1 src1=1 src2=0
	v_mul_i32_i24_e32 v86, v136 /*v392*/, v121 /*v377*/
	s_set_vgpr_msb 1                        ;  msbs: dst=0 src0=1 src1=0 src2=0
	v_mul_i32_i24_e32 v87, v137 /*v393*/, v140
	s_set_vgpr_msb 0                        ;  msbs: dst=0 src0=0 src1=0 src2=0
	v_add3_u32 v143, v143, v134, v133
	s_set_vgpr_msb 5                        ;  msbs: dst=0 src0=1 src1=1 src2=0
	v_mul_i32_i24_e32 v133, v39 /*v295*/, v85 /*v341*/
	v_mul_i32_i24_e32 v134, v8 /*v264*/, v121 /*v377*/
	s_set_vgpr_msb 0                        ;  msbs: dst=0 src0=0 src1=0 src2=0
	v_add3_u32 v148, v148, v225, v130
	s_set_vgpr_msb 0x41                     ;  msbs: dst=1 src0=1 src1=0 src2=0
	v_add3_u32 v1 /*v257*/, v72 /*v328*/, v86, v87
	s_set_vgpr_msb 0                        ;  msbs: dst=0 src0=0 src1=0 src2=0
	v_cvt_f32_f16_e32 v87, v90
	v_cvt_f32_f16_e32 v86, v91
	s_set_vgpr_msb 1                        ;  msbs: dst=0 src0=1 src1=0 src2=0
	v_mul_i32_i24_e32 v90, v123 /*v379*/, v94
	s_set_vgpr_msb 0                        ;  msbs: dst=0 src0=0 src1=0 src2=0
	v_mul_i32_i24_e32 v91, v137, v95
	v_mul_i32_i24_e32 v95, v131, v95
	s_set_vgpr_msb 1                        ;  msbs: dst=0 src0=1 src1=0 src2=0
	v_mul_i32_i24_e32 v131, v142 /*v398*/, v140
	s_set_vgpr_msb 0x44                     ;  msbs: dst=1 src0=0 src1=1 src2=0
	v_add3_u32 v16 /*v272*/, v127, v16 /*v272*/, v133
	s_set_vgpr_msb 4                        ;  msbs: dst=0 src0=0 src1=1 src2=0
	v_mul_i32_i24_e32 v127, v152, v128 /*v384*/
	s_set_vgpr_msb 1                        ;  msbs: dst=0 src0=1 src1=0 src2=0
	v_add3_u32 v137, v6 /*v262*/, v90, v91
	s_set_vgpr_msb 5                        ;  msbs: dst=0 src0=1 src1=1 src2=0
	v_mul_i32_i24_e32 v90, v138 /*v394*/, v7 /*v263*/
	s_set_vgpr_msb 1                        ;  msbs: dst=0 src0=1 src1=0 src2=0
	v_mul_i32_i24_e32 v91, v140 /*v396*/, v108
	v_mul_i32_i24_e32 v130, v39 /*v295*/, v140
	s_set_vgpr_msb 0x44                     ;  msbs: dst=1 src0=0 src1=1 src2=0
	v_mul_i32_i24_e32 v6 /*v262*/, v216, v81 /*v337*/
	s_set_vgpr_msb 4                        ;  msbs: dst=0 src0=0 src1=1 src2=0
	v_mul_i32_i24_e32 v225, v215, v85 /*v341*/
	v_mul_i32_i24_e32 v216, v216, v52 /*v308*/
	s_set_vgpr_msb 0                        ;  msbs: dst=0 src0=0 src1=0 src2=0
	v_add3_u32 v136, v136, v90, v91
	s_set_vgpr_msb 5                        ;  msbs: dst=0 src0=1 src1=1 src2=0
	v_mul_i32_i24_e32 v90, v138 /*v394*/, v75 /*v331*/
	v_mul_i32_i24_e32 v91, v140 /*v396*/, v85 /*v341*/
	s_set_vgpr_msb 64                       ;  msbs: dst=1 src0=0 src1=0 src2=0
	v_add3_u32 v24 /*v280*/, v129, v134, v130
	s_set_vgpr_msb 4                        ;  msbs: dst=0 src0=0 src1=1 src2=0
	v_mul_i32_i24_e32 v129, v255, v7 /*v263*/
	s_set_vgpr_msb 0x44                     ;  msbs: dst=1 src0=0 src1=1 src2=0
	v_mul_i32_i24_e32 v52 /*v308*/, v246, v131 /*v387*/
	s_set_vgpr_msb 0x41                     ;  msbs: dst=1 src0=1 src1=0 src2=0
	v_mul_i32_i24_e32 v123 /*v379*/, v104 /*v360*/, v249
	v_add3_u32 v3 /*v259*/, v54 /*v310*/, v90, v91
	s_set_vgpr_msb 5                        ;  msbs: dst=0 src0=1 src1=1 src2=0
	v_mul_i32_i24_e32 v90, v138 /*v394*/, v121 /*v377*/
	s_set_vgpr_msb 1                        ;  msbs: dst=0 src0=1 src1=0 src2=0
	v_mul_i32_i24_e32 v91, v140 /*v396*/, v140
	s_set_vgpr_msb 0x44                     ;  msbs: dst=1 src0=0 src1=1 src2=0
	v_mul_i32_i24_e32 v54 /*v310*/, v213, v128 /*v384*/
	s_set_vgpr_msb 5                        ;  msbs: dst=0 src0=1 src1=1 src2=0
	v_mul_i32_i24_e32 v134, v12 /*v268*/, v17 /*v273*/
	v_mul_i32_i24_e32 v130, v119 /*v375*/, v70 /*v326*/
	s_set_vgpr_msb 1                        ;  msbs: dst=0 src0=1 src1=0 src2=0
	v_mul_i32_i24_e32 v133, v5 /*v261*/, v237
	s_set_vgpr_msb 0x41                     ;  msbs: dst=1 src0=1 src1=0 src2=0
	v_add3_u32 v4 /*v260*/, v64 /*v320*/, v90, v91
	s_set_vgpr_msb 0                        ;  msbs: dst=0 src0=0 src1=0 src2=0
	v_cvt_f32_f16_e32 v91, v92
	s_set_vgpr_msb 1                        ;  msbs: dst=0 src0=1 src1=0 src2=0
	v_mul_i32_i24_e32 v92, v124 /*v380*/, v94
	v_mul_i32_i24_e32 v94, v102 /*v358*/, v94
	s_set_vgpr_msb 0                        ;  msbs: dst=0 src0=0 src1=0 src2=0
	v_cvt_f32_f16_e64 v90, v231
	s_set_vgpr_msb 64                       ;  msbs: dst=1 src0=0 src1=0 src2=0
	v_mul_i32_i24_e32 v102 /*v358*/, v211, v248
	s_set_vgpr_msb 0x44                     ;  msbs: dst=1 src0=0 src1=1 src2=0
	v_mul_i32_i24_e32 v64 /*v320*/, v240, v51 /*v307*/
	s_set_vgpr_msb 0                        ;  msbs: dst=0 src0=0 src1=0 src2=0
	v_add3_u32 v139, v128, v92, v93
	s_set_vgpr_msb 5                        ;  msbs: dst=0 src0=1 src1=1 src2=0
	v_mul_i32_i24_e32 v92, v141 /*v397*/, v7 /*v263*/
	s_set_vgpr_msb 1                        ;  msbs: dst=0 src0=1 src1=0 src2=0
	v_mul_i32_i24_e32 v93, v142 /*v398*/, v108
	s_set_vgpr_msb 5                        ;  msbs: dst=0 src0=1 src1=1 src2=0
	v_mul_i32_i24_e32 v128, v141 /*v397*/, v121 /*v377*/
	s_set_vgpr_msb 0                        ;  msbs: dst=0 src0=0 src1=0 src2=0
	v_add3_u32 v97, v97, v94, v95
	s_set_vgpr_msb 4                        ;  msbs: dst=0 src0=0 src1=1 src2=0
	v_mul_i32_i24_e32 v94, v220, v75 /*v331*/
	v_mul_i32_i24_e32 v95, v218, v47 /*v303*/
	s_set_vgpr_msb 0                        ;  msbs: dst=0 src0=0 src1=0 src2=0
	v_add3_u32 v138, v138, v92, v93
	s_set_vgpr_msb 5                        ;  msbs: dst=0 src0=1 src1=1 src2=0
	v_mul_i32_i24_e32 v92, v141 /*v397*/, v75 /*v331*/
	v_mul_i32_i24_e32 v93, v142 /*v398*/, v85 /*v341*/
	s_set_vgpr_msb 0x44                     ;  msbs: dst=1 src0=0 src1=1 src2=0
	v_mul_i32_i24_e32 v47 /*v303*/, v214, v131 /*v387*/
	s_set_vgpr_msb 0                        ;  msbs: dst=0 src0=0 src1=0 src2=0
	v_add3_u32 v235, v235, v95, v94
	s_set_vgpr_msb 4                        ;  msbs: dst=0 src0=0 src1=1 src2=0
	v_mul_i32_i24_e32 v94, v220, v121 /*v377*/
	s_set_vgpr_msb 0                        ;  msbs: dst=0 src0=0 src1=0 src2=0
	v_mul_i32_i24_e32 v95, v218, v253
	s_set_vgpr_msb 1                        ;  msbs: dst=0 src0=1 src1=0 src2=0
	v_add3_u32 v231, v40 /*v296*/, v92, v93
	s_set_vgpr_msb 0                        ;  msbs: dst=0 src0=0 src1=0 src2=0
	v_cvt_f32_f16_e64 v92, v229
	s_set_vgpr_msb 1                        ;  msbs: dst=0 src0=1 src1=0 src2=0
	v_add3_u32 v229, v83 /*v339*/, v128, v131
	s_set_vgpr_msb 0                        ;  msbs: dst=0 src0=0 src1=0 src2=0
	v_mul_i32_i24_e32 v128, v152, v245
	v_mul_i32_i24_e32 v131, v243, v248
	v_add3_u32 v147, v147, v95, v94
	v_mul_i32_i24_e32 v94, v232, v223
	s_set_vgpr_msb 1                        ;  msbs: dst=0 src0=1 src1=0 src2=0
	v_mul_i32_i24_e32 v95, v133 /*v389*/, v224
	v_mul_i32_i24_e32 v253, v63 /*v319*/, v245
	s_set_vgpr_msb 0                        ;  msbs: dst=0 src0=0 src1=0 src2=0
	v_add3_u32 v234, v234, v131, v128
	s_set_vgpr_msb 4                        ;  msbs: dst=0 src0=0 src1=1 src2=0
	v_mul_i32_i24_e32 v128, v243, v38 /*v294*/
	s_set_vgpr_msb 64                       ;  msbs: dst=1 src0=0 src1=0 src2=0
	v_mul_i32_i24_e32 v40 /*v296*/, v215, v140
	s_set_vgpr_msb 0                        ;  msbs: dst=0 src0=0 src1=0 src2=0
	v_add3_u32 v151, v151, v95, v94
	s_set_vgpr_msb 4                        ;  msbs: dst=0 src0=0 src1=1 src2=0
	v_mul_i32_i24_e32 v94, v255, v75 /*v331*/
	v_mul_i32_i24_e32 v95, v142, v85 /*v341*/
	s_set_vgpr_msb 0                        ;  msbs: dst=0 src0=0 src1=0 src2=0
	v_add3_u32 v236, v236, v128, v127
	s_set_vgpr_msb 4                        ;  msbs: dst=0 src0=0 src1=1 src2=0
	v_mul_i32_i24_e32 v127, v152, v33 /*v289*/
	v_mul_i32_i24_e32 v128, v243, v37 /*v293*/
	v_cvt_f32_f16_e64 v93, v230
	s_set_vgpr_msb 16                       ;  msbs: dst=0 src0=0 src1=0 src2=1
	v_mul_i32_i24_e32 v230, v145, v242
	v_add3_u32 v225, v235, v225, v6 /*v262*/
	s_set_vgpr_msb 5                        ;  msbs: dst=0 src0=1 src1=1 src2=0
	v_mul_i32_i24_e32 v235, v67 /*v323*/, v88 /*v344*/
	s_set_vgpr_msb 0                        ;  msbs: dst=0 src0=0 src1=0 src2=0
	v_add3_u32 v232, v244, v128, v127
	v_mul_i32_i24_e32 v127, v142, v108
	s_set_vgpr_msb 4                        ;  msbs: dst=0 src0=0 src1=1 src2=0
	v_mul_i32_i24_e32 v128, v255, v121 /*v377*/
	s_set_vgpr_msb 0                        ;  msbs: dst=0 src0=0 src1=0 src2=0
	v_add3_u32 v244, v250, v94, v95
	s_set_vgpr_msb 1                        ;  msbs: dst=0 src0=1 src1=0 src2=0
	v_mul_i32_i24_e32 v94, v80 /*v336*/, v223
	v_mul_i32_i24_e32 v95, v82 /*v338*/, v224
	s_set_vgpr_msb 0                        ;  msbs: dst=0 src0=0 src1=0 src2=0
	v_add3_u32 v153, v153, v129, v127
	v_mul_i32_i24_e32 v129, v142, v140
	s_set_vgpr_msb 5                        ;  msbs: dst=0 src0=1 src1=1 src2=0
	v_mul_i32_i24_e32 v142, v63 /*v319*/, v33 /*v289*/
	v_mul_i32_i24_e32 v140, v46 /*v302*/, v33 /*v289*/
	s_set_vgpr_msb 0                        ;  msbs: dst=0 src0=0 src1=0 src2=0
	v_add3_u32 v144, v144, v95, v94
	s_set_vgpr_msb 1                        ;  msbs: dst=0 src0=1 src1=0 src2=0
	v_mul_i32_i24_e32 v94, v68 /*v324*/, v248
	s_set_vgpr_msb 0                        ;  msbs: dst=0 src0=0 src1=0 src2=0
	v_add3_u32 v250, v96, v128, v129
	s_set_vgpr_msb 5                        ;  msbs: dst=0 src0=1 src1=1 src2=0
	v_mul_i32_i24_e32 v96, v68 /*v324*/, v37 /*v293*/
	v_cvt_f32_f16_e64 v95, v29 /*v285*/
	s_set_vgpr_msb 0                        ;  msbs: dst=0 src0=0 src1=0 src2=0
	v_add3_u32 v226, v234, v230, v226
	v_add3_u32 v253, v141, v94, v253
	s_set_vgpr_msb 1                        ;  msbs: dst=0 src0=1 src1=0 src2=0
	v_mul_i32_i24_e32 v141, v98 /*v354*/, v223
	s_set_vgpr_msb 0                        ;  msbs: dst=0 src0=0 src1=0 src2=0
	v_add3_u32 v255, v132, v96, v142
	s_set_vgpr_msb 5                        ;  msbs: dst=0 src0=1 src1=1 src2=0
	v_mul_i32_i24_e32 v96, v63 /*v319*/, v128 /*v384*/
	v_mul_i32_i24_e32 v132, v68 /*v324*/, v38 /*v294*/
	s_set_vgpr_msb 1                        ;  msbs: dst=0 src0=1 src1=0 src2=0
	v_mul_i32_i24_e32 v142, v110 /*v366*/, v224
	v_cvt_f32_f16_e64 v94, v10 /*v266*/
	s_set_vgpr_msb 0x45                     ;  msbs: dst=1 src0=1 src1=1 src2=0
	v_mul_i32_i24_e32 v10 /*v266*/, v56 /*v312*/, v33 /*v289*/
	s_set_vgpr_msb 4                        ;  msbs: dst=0 src0=0 src1=1 src2=0
	v_mul_i32_i24_e32 v230, v145, v88 /*v344*/
	s_set_vgpr_msb 0                        ;  msbs: dst=0 src0=0 src1=0 src2=0
	v_add3_u32 v233, v233, v132, v96
	s_set_vgpr_msb 5                        ;  msbs: dst=0 src0=1 src1=1 src2=0
	v_mul_i32_i24_e32 v96, v57 /*v313*/, v37 /*v293*/
	s_set_vgpr_msb 64                       ;  msbs: dst=1 src0=0 src1=0 src2=0
	v_add3_u32 v29 /*v285*/, v135, v142, v141
	s_set_vgpr_msb 1                        ;  msbs: dst=0 src0=1 src1=0 src2=0
	v_mul_i32_i24_e32 v135, v57 /*v313*/, v248
	v_mul_i32_i24_e32 v141, v111 /*v367*/, v223
	v_mul_i32_i24_e32 v142, v112 /*v368*/, v224
	s_set_vgpr_msb 16                       ;  msbs: dst=0 src0=0 src1=0 src2=1
	v_add3_u32 v251, v251, v96, v10 /*v266*/
	s_set_vgpr_msb 5                        ;  msbs: dst=0 src0=1 src1=1 src2=0
	v_mul_i32_i24_e32 v96, v56 /*v312*/, v128 /*v384*/
	s_set_vgpr_msb 0x51                     ;  msbs: dst=1 src0=1 src1=0 src2=1
	v_add3_u32 v0 /*v256*/, v0 /*v256*/, v135, v28 /*v284*/
	s_set_vgpr_msb 5                        ;  msbs: dst=0 src0=1 src1=1 src2=0
	v_mul_i32_i24_e32 v135, v57 /*v313*/, v38 /*v294*/
	s_set_vgpr_msb 64                       ;  msbs: dst=1 src0=0 src1=0 src2=0
	v_add3_u32 v35 /*v291*/, v137, v142, v141
	s_set_vgpr_msb 1                        ;  msbs: dst=0 src0=1 src1=0 src2=0
	v_mul_i32_i24_e32 v137, v97 /*v353*/, v245
	v_mul_i32_i24_e32 v141, v101 /*v357*/, v248
	s_set_vgpr_msb 0x44                     ;  msbs: dst=1 src0=0 src1=1 src2=0
	v_mul_i32_i24_e32 v10 /*v266*/, v145, v131 /*v387*/
	s_set_vgpr_msb 0x41                     ;  msbs: dst=1 src0=1 src1=0 src2=0
	v_add3_u32 v1 /*v257*/, v1 /*v257*/, v135, v96
	s_set_vgpr_msb 5                        ;  msbs: dst=0 src0=1 src1=1 src2=0
	v_mul_i32_i24_e32 v96, v97 /*v353*/, v33 /*v289*/
	v_mul_i32_i24_e32 v135, v101 /*v357*/, v37 /*v293*/
	s_set_vgpr_msb 0x41                     ;  msbs: dst=1 src0=1 src1=0 src2=0
	v_add3_u32 v3 /*v259*/, v3 /*v259*/, v141, v137
	s_set_vgpr_msb 1                        ;  msbs: dst=0 src0=1 src1=0 src2=0
	v_mul_i32_i24_e32 v137, v25 /*v281*/, v224
	s_set_vgpr_msb 0x44                     ;  msbs: dst=1 src0=0 src1=1 src2=0
	v_mul_i32_i24_e32 v28 /*v284*/, v149, v130 /*v386*/
	s_set_vgpr_msb 4                        ;  msbs: dst=0 src0=0 src1=1 src2=0
	v_mul_i32_i24_e32 v234, v149, v91 /*v347*/
	s_set_vgpr_msb 64                       ;  msbs: dst=1 src0=0 src1=0 src2=0
	v_add3_u32 v41 /*v297*/, v136, v135, v96
	s_set_vgpr_msb 5                        ;  msbs: dst=0 src0=1 src1=1 src2=0
	v_mul_i32_i24_e32 v96, v97 /*v353*/, v128 /*v384*/
	v_mul_i32_i24_e32 v135, v101 /*v357*/, v38 /*v294*/
	s_set_vgpr_msb 1                        ;  msbs: dst=0 src0=1 src1=0 src2=0
	v_mul_i32_i24_e32 v136, v108 /*v364*/, v223
	s_set_vgpr_msb 20                       ;  msbs: dst=0 src0=0 src1=1 src2=1
	v_add3_u32 v236, v236, v10 /*v266*/, v28 /*v284*/
	s_set_vgpr_msb 0x41                     ;  msbs: dst=1 src0=1 src1=0 src2=0
	v_mul_i32_i24_e32 v10 /*v266*/, v67 /*v323*/, v242
	s_set_vgpr_msb 0x44                     ;  msbs: dst=1 src0=0 src1=1 src2=0
	v_mul_i32_i24_e32 v98 /*v354*/, v211, v38 /*v294*/
	s_set_vgpr_msb 0x41                     ;  msbs: dst=1 src0=1 src1=0 src2=0
	v_add3_u32 v4 /*v260*/, v4 /*v260*/, v135, v96
	s_set_vgpr_msb 5                        ;  msbs: dst=0 src0=1 src1=1 src2=0
	v_mul_i32_i24_e32 v96, v49 /*v305*/, v37 /*v293*/
	s_set_vgpr_msb 1                        ;  msbs: dst=0 src0=1 src1=0 src2=0
	v_mul_i32_i24_e32 v135, v46 /*v302*/, v245
	s_set_vgpr_msb 64                       ;  msbs: dst=1 src0=0 src1=0 src2=0
	v_add3_u32 v25 /*v281*/, v139, v137, v136
	s_set_vgpr_msb 1                        ;  msbs: dst=0 src0=1 src1=0 src2=0
	v_mul_i32_i24_e32 v136, v49 /*v305*/, v248
	v_mul_i32_i24_e32 v137, v143 /*v399*/, v224
	s_set_vgpr_msb 64                       ;  msbs: dst=1 src0=0 src1=0 src2=0
	v_add3_u32 v55 /*v311*/, v138, v96, v140
	s_set_vgpr_msb 5                        ;  msbs: dst=0 src0=1 src1=1 src2=0
	v_mul_i32_i24_e32 v96, v46 /*v302*/, v128 /*v384*/
	v_mul_i32_i24_e32 v138, v86 /*v342*/, v38 /*v294*/
	s_set_vgpr_msb 0                        ;  msbs: dst=0 src0=0 src1=0 src2=0
	v_add3_u32 v231, v231, v136, v135
	s_set_vgpr_msb 5                        ;  msbs: dst=0 src0=1 src1=1 src2=0
	v_mul_i32_i24_e32 v135, v49 /*v305*/, v38 /*v294*/
	s_set_vgpr_msb 1                        ;  msbs: dst=0 src0=1 src1=0 src2=0
	v_mul_i32_i24_e32 v136, v115 /*v371*/, v223
	s_set_vgpr_msb 0x45                     ;  msbs: dst=1 src0=1 src1=1 src2=0
	v_mul_i32_i24_e32 v6 /*v262*/, v22 /*v278*/, v91 /*v347*/
	v_mul_i32_i24_e32 v28 /*v284*/, v22 /*v278*/, v130 /*v386*/
	s_set_vgpr_msb 0                        ;  msbs: dst=0 src0=0 src1=0 src2=0
	v_add3_u32 v230, v232, v230, v234
	v_add3_u32 v223, v229, v135, v96
	;; [unrolled: 1-line block ×3, first 2 shown]
	s_set_vgpr_msb 4                        ;  msbs: dst=0 src0=0 src1=1 src2=0
	v_mul_i32_i24_e32 v96, v220, v7 /*v263*/
	v_mul_i32_i24_e32 v97, v218, v50 /*v306*/
	s_set_vgpr_msb 1                        ;  msbs: dst=0 src0=1 src1=0 src2=0
	v_mul_i32_i24_e32 v137, v84 /*v340*/, v245
	s_set_vgpr_msb 21                       ;  msbs: dst=0 src0=1 src1=1 src2=1
	v_mul_i32_i24_e32 v135, v84 /*v340*/, v33 /*v289*/
	v_add3_u32 v218, v2 /*v258*/, v78 /*v334*/, v79 /*v335*/
	v_mul_i32_i24_e32 v136, v86 /*v342*/, v37 /*v293*/
	s_set_vgpr_msb 0                        ;  msbs: dst=0 src0=0 src1=0 src2=0
	v_add3_u32 v143, v143, v97, v96
	s_set_vgpr_msb 1                        ;  msbs: dst=0 src0=1 src1=0 src2=0
	v_mul_i32_i24_e32 v96, v86 /*v342*/, v248
	s_set_vgpr_msb 5                        ;  msbs: dst=0 src0=1 src1=1 src2=0
	v_mul_i32_i24_e32 v97, v84 /*v340*/, v128 /*v384*/
	s_set_vgpr_msb 0                        ;  msbs: dst=0 src0=0 src1=0 src2=0
	v_mul_i32_i24_e32 v245, v228, v245
	s_set_vgpr_msb 0x44                     ;  msbs: dst=1 src0=0 src1=1 src2=0
	v_mul_i32_i24_e32 v2 /*v258*/, v228, v128 /*v384*/
	s_set_vgpr_msb 4                        ;  msbs: dst=0 src0=0 src1=1 src2=0
	v_mul_i32_i24_e32 v228, v228, v33 /*v289*/
	s_set_vgpr_msb 1                        ;  msbs: dst=0 src0=1 src1=0 src2=0
	v_add3_u32 v220, v16 /*v272*/, v96, v137
	v_add3_u32 v229, v24 /*v280*/, v138, v97
	v_cvt_f32_f16_e64 v97, v11 /*v267*/
	v_cvt_f32_f16_e64 v96, v14 /*v270*/
	s_set_vgpr_msb 0                        ;  msbs: dst=0 src0=0 src1=0 src2=0
	v_mul_i32_i24_e32 v248, v227, v248
	s_set_vgpr_msb 0x44                     ;  msbs: dst=1 src0=0 src1=1 src2=0
	v_mul_i32_i24_e32 v7 /*v263*/, v227, v38 /*v294*/
	s_set_vgpr_msb 4                        ;  msbs: dst=0 src0=0 src1=1 src2=0
	v_mul_i32_i24_e32 v227, v227, v37 /*v293*/
	s_set_vgpr_msb 0x41                     ;  msbs: dst=1 src0=1 src1=0 src2=0
	v_mul_i32_i24_e32 v11 /*v267*/, v118 /*v374*/, v222
	v_mul_i32_i24_e32 v14 /*v270*/, v135 /*v391*/, v217
	;; [unrolled: 1-line block ×3, first 2 shown]
	s_set_vgpr_msb 0                        ;  msbs: dst=0 src0=0 src1=0 src2=0
	v_add3_u32 v148, v148, v136, v135
	s_set_vgpr_msb 0x54                     ;  msbs: dst=1 src0=0 src1=1 src2=1
	v_add3_u32 v24 /*v280*/, v147, v40 /*v296*/, v31 /*v287*/
	s_set_vgpr_msb 5                        ;  msbs: dst=0 src0=1 src1=1 src2=0
	v_mul_i32_i24_e32 v147, v67 /*v323*/, v131 /*v387*/
	s_set_vgpr_msb 0x41                     ;  msbs: dst=1 src0=1 src1=0 src2=0
	v_mul_i32_i24_e32 v31 /*v287*/, v136 /*v392*/, v222
	v_mul_i32_i24_e32 v38 /*v294*/, v137 /*v393*/, v217
	s_set_vgpr_msb 5                        ;  msbs: dst=0 src0=1 src1=1 src2=0
	v_mul_i32_i24_e32 v232, v15 /*v271*/, v88 /*v344*/
	s_set_vgpr_msb 4                        ;  msbs: dst=0 src0=0 src1=1 src2=0
	v_mul_i32_i24_e32 v234, v105, v91 /*v347*/
	s_set_vgpr_msb 0                        ;  msbs: dst=0 src0=0 src1=0 src2=0
	v_add3_u32 v239, v151, v239, v241
	s_set_vgpr_msb 1                        ;  msbs: dst=0 src0=1 src1=0 src2=0
	v_mul_i32_i24_e32 v151, v15 /*v271*/, v242
	s_set_vgpr_msb 0                        ;  msbs: dst=0 src0=0 src1=0 src2=0
	v_mul_i32_i24_e32 v241, v105, v247
	s_set_vgpr_msb 64                       ;  msbs: dst=1 src0=0 src1=0 src2=0
	v_add3_u32 v40 /*v296*/, v153, v227, v228
	s_set_vgpr_msb 5                        ;  msbs: dst=0 src0=1 src1=1 src2=0
	v_mul_i32_i24_e32 v153, v15 /*v271*/, v131 /*v387*/
	s_set_vgpr_msb 4                        ;  msbs: dst=0 src0=0 src1=1 src2=0
	v_mul_i32_i24_e32 v227, v105, v130 /*v386*/
	s_set_vgpr_msb 1                        ;  msbs: dst=0 src0=1 src1=0 src2=0
	v_mul_i32_i24_e32 v228, v138 /*v394*/, v222
	s_set_vgpr_msb 0x41                     ;  msbs: dst=1 src0=1 src1=0 src2=0
	v_mul_i32_i24_e32 v50 /*v306*/, v140 /*v396*/, v217
	s_set_vgpr_msb 0                        ;  msbs: dst=0 src0=0 src1=0 src2=0
	v_add3_u32 v244, v244, v248, v245
	s_set_vgpr_msb 20                       ;  msbs: dst=0 src0=0 src1=1 src2=1
	v_mul_i32_i24_e32 v245, v252, v88 /*v344*/
	v_mul_i32_i24_e32 v248, v103, v91 /*v347*/
	v_add3_u32 v250, v250, v7 /*v263*/, v2 /*v258*/
	s_set_vgpr_msb 64                       ;  msbs: dst=1 src0=0 src1=0 src2=0
	v_mul_i32_i24_e32 v2 /*v258*/, v252, v242
	v_mul_i32_i24_e32 v7 /*v263*/, v103, v247
	s_set_vgpr_msb 0x54                     ;  msbs: dst=1 src0=0 src1=1 src2=1
	v_add3_u32 v11 /*v267*/, v144, v11 /*v267*/, v14 /*v270*/
	s_set_vgpr_msb 4                        ;  msbs: dst=0 src0=0 src1=1 src2=0
	v_mul_i32_i24_e32 v144, v252, v131 /*v387*/
	s_set_vgpr_msb 0x44                     ;  msbs: dst=1 src0=0 src1=1 src2=0
	v_mul_i32_i24_e32 v14 /*v270*/, v103, v130 /*v386*/
	s_set_vgpr_msb 1                        ;  msbs: dst=0 src0=1 src1=0 src2=0
	v_mul_i32_i24_e32 v222, v8 /*v264*/, v222
	s_set_vgpr_msb 64                       ;  msbs: dst=1 src0=0 src1=0 src2=0
	v_mul_i32_i24_e32 v8 /*v264*/, v246, v242
	s_set_vgpr_msb 1                        ;  msbs: dst=0 src0=1 src1=0 src2=0
	v_mul_i32_i24_e32 v217, v39 /*v295*/, v217
	s_set_vgpr_msb 64                       ;  msbs: dst=1 src0=0 src1=0 src2=0
	v_mul_i32_i24_e32 v39 /*v295*/, v101, v247
	s_set_vgpr_msb 0                        ;  msbs: dst=0 src0=0 src1=0 src2=0
	v_mul_i32_i24_e32 v108, v215, v108
	s_set_vgpr_msb 0x54                     ;  msbs: dst=1 src0=0 src1=1 src2=1
	v_add3_u32 v72 /*v328*/, v253, v10 /*v266*/, v16 /*v272*/
	s_set_vgpr_msb 5                        ;  msbs: dst=0 src0=1 src1=1 src2=0
	v_mul_i32_i24_e32 v253, v43 /*v299*/, v88 /*v344*/
	s_set_vgpr_msb 0x44                     ;  msbs: dst=1 src0=0 src1=1 src2=0
	v_mul_i32_i24_e32 v10 /*v266*/, v99, v91 /*v347*/
	s_set_vgpr_msb 0x45                     ;  msbs: dst=1 src0=1 src1=1 src2=0
	v_mul_i32_i24_e32 v133 /*v389*/, v60 /*v316*/, v17 /*v273*/
	s_set_vgpr_msb 0x44                     ;  msbs: dst=1 src0=0 src1=1 src2=0
	v_mul_i32_i24_e32 v110 /*v366*/, v212, v130 /*v386*/
	s_set_vgpr_msb 16                       ;  msbs: dst=0 src0=0 src1=0 src2=1
	v_add3_u32 v255, v255, v235, v6 /*v262*/
	s_set_vgpr_msb 4                        ;  msbs: dst=0 src0=0 src1=1 src2=0
	v_mul_i32_i24_e32 v235, v246, v88 /*v344*/
	s_set_vgpr_msb 0x44                     ;  msbs: dst=1 src0=0 src1=1 src2=0
	v_mul_i32_i24_e32 v6 /*v262*/, v101, v91 /*v347*/
	s_set_vgpr_msb 4                        ;  msbs: dst=0 src0=0 src1=1 src2=0
	v_mul_i32_i24_e32 v215, v101, v130 /*v386*/
	s_set_vgpr_msb 0x50                     ;  msbs: dst=1 src0=0 src1=0 src2=1
	v_add3_u32 v78 /*v334*/, v233, v147, v28 /*v284*/
	s_set_vgpr_msb 1                        ;  msbs: dst=0 src0=1 src1=0 src2=0
	v_mul_i32_i24_e32 v147, v43 /*v299*/, v242
	s_set_vgpr_msb 0                        ;  msbs: dst=0 src0=0 src1=0 src2=0
	v_mul_i32_i24_e32 v233, v99, v247
	s_set_vgpr_msb 0x55                     ;  msbs: dst=1 src0=1 src1=1 src2=1
	v_add3_u32 v16 /*v272*/, v29 /*v285*/, v31 /*v287*/, v38 /*v294*/
	v_mul_i32_i24_e32 v28 /*v284*/, v43 /*v299*/, v131 /*v387*/
	s_set_vgpr_msb 0x44                     ;  msbs: dst=1 src0=0 src1=1 src2=0
	v_mul_i32_i24_e32 v29 /*v285*/, v99, v130 /*v386*/
	s_set_vgpr_msb 64                       ;  msbs: dst=1 src0=0 src1=0 src2=0
	v_add3_u32 v31 /*v287*/, v251, v232, v234
	s_set_vgpr_msb 4                        ;  msbs: dst=0 src0=0 src1=1 src2=0
	v_mul_i32_i24_e32 v232, v238, v59 /*v315*/
	v_mul_i32_i24_e32 v234, v240, v103 /*v359*/
	s_set_vgpr_msb 0                        ;  msbs: dst=0 src0=0 src1=0 src2=0
	v_mul_i32_i24_e32 v251, v152, v210
	v_mul_i32_i24_e32 v243, v243, v209
	v_mul_i32_i24_e32 v242, v146, v242
	s_set_vgpr_msb 0x44                     ;  msbs: dst=1 src0=0 src1=1 src2=0
	v_mul_i32_i24_e32 v38 /*v294*/, v146, v131 /*v387*/
	v_mul_i32_i24_e32 v75 /*v331*/, v146, v88 /*v344*/
	s_set_vgpr_msb 0                        ;  msbs: dst=0 src0=0 src1=0 src2=0
	v_mul_i32_i24_e32 v247, v150, v247
	s_set_vgpr_msb 0x44                     ;  msbs: dst=1 src0=0 src1=1 src2=0
	v_mul_i32_i24_e32 v79 /*v335*/, v150, v130 /*v386*/
	v_mul_i32_i24_e32 v80 /*v336*/, v150, v91 /*v347*/
	s_set_vgpr_msb 0x41                     ;  msbs: dst=1 src0=1 src1=0 src2=0
	v_mul_i32_i24_e32 v63 /*v319*/, v63 /*v319*/, v210
	v_mul_i32_i24_e32 v68 /*v324*/, v68 /*v324*/, v209
	v_add3_u32 v81 /*v337*/, v0 /*v256*/, v151, v241
	s_set_vgpr_msb 5                        ;  msbs: dst=0 src0=1 src1=1 src2=0
	v_mul_i32_i24_e32 v241, v44 /*v300*/, v59 /*v315*/
	s_set_vgpr_msb 0x45                     ;  msbs: dst=1 src0=1 src1=1 src2=0
	v_mul_i32_i24_e32 v0 /*v256*/, v62 /*v318*/, v103 /*v359*/
	s_set_vgpr_msb 0x41                     ;  msbs: dst=1 src0=1 src1=0 src2=0
	v_mul_i32_i24_e32 v56 /*v312*/, v56 /*v312*/, v210
	v_mul_i32_i24_e32 v57 /*v313*/, v57 /*v313*/, v209
	v_add3_u32 v82 /*v338*/, v1 /*v257*/, v153, v227
	s_set_vgpr_msb 0x45                     ;  msbs: dst=1 src0=1 src1=1 src2=0
	v_mul_i32_i24_e32 v1 /*v257*/, v89 /*v345*/, v59 /*v315*/
	v_mul_i32_i24_e32 v83 /*v339*/, v100 /*v356*/, v103 /*v359*/
	s_set_vgpr_msb 0x51                     ;  msbs: dst=1 src0=1 src1=0 src2=1
	v_add3_u32 v35 /*v291*/, v35 /*v291*/, v228, v50 /*v306*/
	v_mul_i32_i24_e32 v50 /*v306*/, v89 /*v345*/, v237
	v_mul_i32_i24_e32 v85 /*v341*/, v100 /*v356*/, v249
	s_set_vgpr_msb 0x41                     ;  msbs: dst=1 src0=1 src1=0 src2=0
	v_add3_u32 v41 /*v297*/, v41 /*v297*/, v245, v248
	s_set_vgpr_msb 0x45                     ;  msbs: dst=1 src0=1 src1=1 src2=0
	v_mul_i32_i24_e32 v108 /*v364*/, v89 /*v345*/, v132 /*v388*/
	v_mul_i32_i24_e32 v111 /*v367*/, v100 /*v356*/, v51 /*v307*/
	s_set_vgpr_msb 0x41                     ;  msbs: dst=1 src0=1 src1=0 src2=0
	v_mul_i32_i24_e32 v97 /*v353*/, v97 /*v353*/, v210
	v_mul_i32_i24_e32 v101 /*v357*/, v101 /*v357*/, v209
	s_set_vgpr_msb 0x55                     ;  msbs: dst=1 src0=1 src1=1 src2=1
	v_add3_u32 v113 /*v369*/, v3 /*v259*/, v2 /*v258*/, v7 /*v263*/
	v_mul_i32_i24_e32 v115 /*v371*/, v93 /*v349*/, v59 /*v315*/
	s_set_vgpr_msb 0x41                     ;  msbs: dst=1 src0=1 src1=0 src2=0
	v_mul_i32_i24_e32 v46 /*v302*/, v46 /*v302*/, v210
	v_mul_i32_i24_e32 v84 /*v340*/, v84 /*v340*/, v210
	;; [unrolled: 1-line block ×5, first 2 shown]
	s_set_vgpr_msb 0x44                     ;  msbs: dst=1 src0=0 src1=1 src2=0
	v_mul_i32_i24_e32 v88 /*v344*/, v214, v88 /*v344*/
	s_set_vgpr_msb 0x45                     ;  msbs: dst=1 src0=1 src1=1 src2=0
	v_mul_i32_i24_e32 v124 /*v380*/, v93 /*v349*/, v132 /*v388*/
	s_set_vgpr_msb 0x44                     ;  msbs: dst=1 src0=0 src1=1 src2=0
	v_mul_i32_i24_e32 v128 /*v384*/, v213, v33 /*v289*/
	s_set_vgpr_msb 0x45                     ;  msbs: dst=1 src0=1 src1=1 src2=0
	v_mul_i32_i24_e32 v33 /*v289*/, v104 /*v360*/, v51 /*v307*/
	s_set_vgpr_msb 0x51                     ;  msbs: dst=1 src0=1 src1=0 src2=1
	v_add3_u32 v130 /*v386*/, v4 /*v260*/, v144, v14 /*v270*/
	v_mul_i32_i24_e32 v131 /*v387*/, v44 /*v300*/, v237
	v_mul_i32_i24_e32 v135 /*v391*/, v62 /*v318*/, v249
	s_set_vgpr_msb 0x55                     ;  msbs: dst=1 src0=1 src1=1 src2=1
	v_add3_u32 v65 /*v321*/, v25 /*v281*/, v65 /*v321*/, v66 /*v322*/
	v_mul_i32_i24_e32 v66 /*v322*/, v44 /*v300*/, v132 /*v388*/
	v_mul_i32_i24_e32 v136 /*v392*/, v62 /*v318*/, v51 /*v307*/
	;; [unrolled: 1-line block ×4, first 2 shown]
	s_set_vgpr_msb 0x54                     ;  msbs: dst=1 src0=0 src1=1 src2=1
	v_add3_u32 v139 /*v395*/, v231, v8 /*v264*/, v39 /*v295*/
	s_set_vgpr_msb 64                       ;  msbs: dst=1 src0=0 src1=0 src2=0
	v_add3_u32 v39 /*v295*/, v224, v222, v217
	s_set_vgpr_msb 0x44                     ;  msbs: dst=1 src0=0 src1=1 src2=0
	v_add3_u32 v45 /*v301*/, v218, v45 /*v301*/, v254
	s_set_vgpr_msb 0                        ;  msbs: dst=0 src0=0 src1=0 src2=0
	v_add3_u32 v108, v143, v108, v216
	s_set_vgpr_msb 16                       ;  msbs: dst=0 src0=0 src1=0 src2=1
	v_add3_u32 v105, v148, v253, v10 /*v266*/
	v_mul_i32_i24_e32 v150, v103, v208
	s_set_vgpr_msb 20                       ;  msbs: dst=0 src0=0 src1=1 src2=1
	v_add3_u32 v103, v226, v27 /*v283*/, v26 /*v282*/
	s_set_vgpr_msb 0x45                     ;  msbs: dst=1 src0=1 src1=1 src2=0
	v_mul_i32_i24_e32 v112 /*v368*/, v60 /*v316*/, v53 /*v309*/
	v_mul_i32_i24_e32 v121 /*v377*/, v61 /*v317*/, v134 /*v390*/
	s_set_vgpr_msb 5                        ;  msbs: dst=0 src0=1 src1=1 src2=0
	v_mul_i32_i24_e32 v141, v5 /*v261*/, v132 /*v388*/
	v_mul_i32_i24_e32 v142, v12 /*v268*/, v53 /*v309*/
	s_set_vgpr_msb 0x51                     ;  msbs: dst=1 src0=1 src1=0 src2=1
	v_add3_u32 v55 /*v311*/, v55 /*v311*/, v235, v6 /*v262*/
	s_set_vgpr_msb 0x45                     ;  msbs: dst=1 src0=1 src1=1 src2=0
	v_mul_i32_i24_e32 v140 /*v396*/, v114 /*v370*/, v59 /*v315*/
	v_mul_i32_i24_e32 v141 /*v397*/, v87 /*v343*/, v103 /*v359*/
	s_set_vgpr_msb 0x44                     ;  msbs: dst=1 src0=0 src1=1 src2=0
	v_add3_u32 v142 /*v398*/, v223, v52 /*v308*/, v215
	s_set_vgpr_msb 0x41                     ;  msbs: dst=1 src0=1 src1=0 src2=0
	v_mul_i32_i24_e32 v143 /*v399*/, v95 /*v351*/, v237
	s_set_vgpr_msb 5                        ;  msbs: dst=0 src0=1 src1=1 src2=0
	v_mul_i32_i24_e32 v143, v126 /*v382*/, v17 /*v273*/
	s_set_vgpr_msb 4                        ;  msbs: dst=0 src0=0 src1=1 src2=0
	v_mul_i32_i24_e32 v144, v117, v19 /*v275*/
	s_set_vgpr_msb 64                       ;  msbs: dst=1 src0=0 src1=0 src2=0
	v_add3_u32 v67 /*v323*/, v220, v147, v233
	s_set_vgpr_msb 5                        ;  msbs: dst=0 src0=1 src1=1 src2=0
	v_mul_i32_i24_e32 v145, v126 /*v382*/, v53 /*v309*/
	s_set_vgpr_msb 4                        ;  msbs: dst=0 src0=0 src1=1 src2=0
	v_mul_i32_i24_e32 v148, v117, v134 /*v390*/
	s_set_vgpr_msb 0                        ;  msbs: dst=0 src0=0 src1=0 src2=0
	v_mul_i32_i24_e32 v149, v252, v207
	v_mul_i32_i24_e32 v146, v246, v207
	s_set_vgpr_msb 1                        ;  msbs: dst=0 src0=1 src1=0 src2=0
	v_mul_i32_i24_e32 v147, v43 /*v299*/, v207
	s_set_vgpr_msb 5                        ;  msbs: dst=0 src0=1 src1=1 src2=0
	v_mul_i32_i24_e32 v207, v129 /*v385*/, v17 /*v273*/
	s_set_vgpr_msb 0                        ;  msbs: dst=0 src0=0 src1=0 src2=0
	v_mul_i32_i24_e32 v152, v101, v208
	v_mul_i32_i24_e32 v153, v99, v208
	s_set_vgpr_msb 4                        ;  msbs: dst=0 src0=0 src1=1 src2=0
	v_mul_i32_i24_e32 v210, v113, v19 /*v275*/
	v_mul_i32_i24_e32 v151, v211, v37 /*v293*/
	s_set_vgpr_msb 5                        ;  msbs: dst=0 src0=1 src1=1 src2=0
	v_mul_i32_i24_e32 v211, v129 /*v385*/, v53 /*v309*/
	s_set_vgpr_msb 4                        ;  msbs: dst=0 src0=0 src1=1 src2=0
	v_mul_i32_i24_e32 v208, v212, v91 /*v347*/
	v_mul_i32_i24_e32 v217, v113, v134 /*v390*/
	s_set_vgpr_msb 5                        ;  msbs: dst=0 src0=1 src1=1 src2=0
	v_mul_i32_i24_e32 v209, v60 /*v316*/, v109 /*v365*/
	s_set_vgpr_msb 1                        ;  msbs: dst=0 src0=1 src1=0 src2=0
	v_mul_i32_i24_e32 v212, v61 /*v317*/, v109
	s_set_vgpr_msb 20                       ;  msbs: dst=0 src0=0 src1=1 src2=1
	v_add3_u32 v101, v225, v23 /*v279*/, v20 /*v276*/
	v_mul_i32_i24_e32 v213, v219, v59 /*v315*/
	v_mul_i32_i24_e32 v214, v221, v103 /*v359*/
	s_set_vgpr_msb 0                        ;  msbs: dst=0 src0=0 src1=0 src2=0
	v_mul_i32_i24_e32 v215, v219, v237
	v_mul_i32_i24_e32 v218, v221, v249
	s_set_vgpr_msb 4                        ;  msbs: dst=0 src0=0 src1=1 src2=0
	v_mul_i32_i24_e32 v216, v219, v132 /*v388*/
	s_set_vgpr_msb 5                        ;  msbs: dst=0 src0=1 src1=1 src2=0
	v_mul_i32_i24_e32 v220, v144 /*v400*/, v17 /*v273*/
	s_set_vgpr_msb 4                        ;  msbs: dst=0 src0=0 src1=1 src2=0
	v_mul_i32_i24_e32 v219, v221, v51 /*v307*/
	v_mul_i32_i24_e32 v221, v107, v19 /*v275*/
	s_set_vgpr_msb 0x55                     ;  msbs: dst=1 src0=1 src1=1 src2=1
	v_add3_u32 v132 /*v388*/, v24 /*v280*/, v54 /*v310*/, v47 /*v303*/
	s_set_vgpr_msb 5                        ;  msbs: dst=0 src0=1 src1=1 src2=0
	v_mul_i32_i24_e32 v224, v144 /*v400*/, v109 /*v365*/
	s_set_vgpr_msb 0                        ;  msbs: dst=0 src0=0 src1=0 src2=0
	v_mul_i32_i24_e32 v225, v107, v109
	s_set_vgpr_msb 0x54                     ;  msbs: dst=1 src0=0 src1=1 src2=1
	v_add3_u32 v191 /*v447*/, v236, v64 /*v320*/, v58 /*v314*/
	s_set_vgpr_msb 5                        ;  msbs: dst=0 src0=1 src1=1 src2=0
	v_mul_i32_i24_e32 v226, v126 /*v382*/, v109 /*v365*/
	s_set_vgpr_msb 0                        ;  msbs: dst=0 src0=0 src1=0 src2=0
	v_add3_u32 v235, v230, v234, v232
	s_set_vgpr_msb 5                        ;  msbs: dst=0 src0=1 src1=1 src2=0
	v_mul_i32_i24_e32 v228, v129 /*v385*/, v109 /*v365*/
	s_set_vgpr_msb 64                       ;  msbs: dst=1 src0=0 src1=0 src2=0
	v_add3_u32 v192 /*v448*/, v239, v243, v251
	s_set_vgpr_msb 21                       ;  msbs: dst=0 src0=1 src1=1 src2=1
	v_mul_i32_i24_e32 v230, v145 /*v401*/, v109 /*v365*/
	v_add3_u32 v246, v40 /*v296*/, v75 /*v331*/, v80 /*v336*/
	v_mul_i32_i24_e32 v232, v146 /*v402*/, v109 /*v365*/
	s_set_vgpr_msb 0                        ;  msbs: dst=0 src0=0 src1=0 src2=0
	v_add3_u32 v251, v244, v242, v247
	s_set_vgpr_msb 5                        ;  msbs: dst=0 src0=1 src1=1 src2=0
	v_mul_i32_i24_e32 v234, v145 /*v401*/, v17 /*v273*/
	s_set_vgpr_msb 0x55                     ;  msbs: dst=1 src0=1 src1=1 src2=1
	v_add3_u32 v193 /*v449*/, v11 /*v267*/, v68 /*v324*/, v63 /*v319*/
	s_set_vgpr_msb 5                        ;  msbs: dst=0 src0=1 src1=1 src2=0
	v_mul_i32_i24_e32 v242, v145 /*v401*/, v53 /*v309*/
	s_set_vgpr_msb 0x44                     ;  msbs: dst=1 src0=0 src1=1 src2=0
	v_add3_u32 v3 /*v259*/, v255, v0 /*v256*/, v241
	s_set_vgpr_msb 4                        ;  msbs: dst=0 src0=0 src1=1 src2=0
	v_mul_i32_i24_e32 v238, v238, v9 /*v265*/
	s_set_vgpr_msb 5                        ;  msbs: dst=0 src0=1 src1=1 src2=0
	v_mul_i32_i24_e32 v241, v44 /*v300*/, v9 /*v265*/
	v_mul_i32_i24_e32 v243, v62 /*v318*/, v13 /*v269*/
	;; [unrolled: 1-line block ×4, first 2 shown]
	s_set_vgpr_msb 0x55                     ;  msbs: dst=1 src0=1 src1=1 src2=1
	v_add3_u32 v194 /*v450*/, v16 /*v272*/, v57 /*v313*/, v56 /*v312*/
	v_add3_u32 v24 /*v280*/, v31 /*v287*/, v83 /*v339*/, v1 /*v257*/
	v_mul_i32_i24_e32 v0 /*v256*/, v93 /*v349*/, v9 /*v265*/
	v_add3_u32 v58 /*v314*/, v81 /*v337*/, v85 /*v341*/, v50 /*v306*/
	v_add3_u32 v62 /*v318*/, v82 /*v338*/, v111 /*v367*/, v108 /*v364*/
	v_mul_i32_i24_e32 v8 /*v264*/, v114 /*v370*/, v9 /*v265*/
	v_mul_i32_i24_e32 v10 /*v266*/, v87 /*v343*/, v13 /*v269*/
	;; [unrolled: 1-line block ×5, first 2 shown]
	v_add3_u32 v95 /*v351*/, v35 /*v291*/, v101 /*v357*/, v97 /*v353*/
	v_add3_u32 v75 /*v331*/, v41 /*v297*/, v117 /*v373*/, v115 /*v371*/
	;; [unrolled: 1-line block ×7, first 2 shown]
	s_set_vgpr_msb 0x54                     ;  msbs: dst=1 src0=0 src1=1 src2=1
	v_add3_u32 v117 /*v373*/, v108, v128 /*v384*/, v88 /*v344*/
	s_set_vgpr_msb 0x55                     ;  msbs: dst=1 src0=1 src1=1 src2=1
	v_add3_u32 v116 /*v372*/, v72 /*v328*/, v135 /*v391*/, v131 /*v387*/
	v_add3_u32 v118 /*v374*/, v78 /*v334*/, v136 /*v392*/, v66 /*v322*/
	s_set_vgpr_msb 0x54                     ;  msbs: dst=1 src0=0 src1=1 src2=1
	v_add3_u32 v115 /*v371*/, v105, v138 /*v394*/, v137 /*v393*/
	s_set_vgpr_msb 0x41                     ;  msbs: dst=1 src0=1 src1=0 src2=0
	v_mul_i32_i24_e32 v65 /*v321*/, v148 /*v404*/, v110
	s_set_vgpr_msb 0x44                     ;  msbs: dst=1 src0=0 src1=1 src2=0
	v_mul_i32_i24_e32 v83 /*v339*/, v110, v165 /*v421*/
	v_mul_i32_i24_e32 v88 /*v344*/, v110, v162 /*v418*/
	s_set_vgpr_msb 0x45                     ;  msbs: dst=1 src0=1 src1=1 src2=0
	v_mul_i32_i24_e32 v87 /*v343*/, v145 /*v401*/, v34 /*v290*/
	s_set_vgpr_msb 0x54                     ;  msbs: dst=1 src0=0 src1=1 src2=1
	v_mul_i32_i24_e32 v100 /*v356*/, v110, v163 /*v419*/
	v_add3_u32 v145 /*v401*/, v103, v133 /*v389*/, v177 /*v433*/
	s_set_vgpr_msb 0x41                     ;  msbs: dst=1 src0=1 src1=0 src2=0
	v_mul_i32_i24_e32 v101 /*v357*/, v166 /*v422*/, v110
	v_mul_i32_i24_e32 v133 /*v389*/, v167 /*v423*/, v110
	s_set_vgpr_msb 64                       ;  msbs: dst=1 src0=0 src1=0 src2=0
	v_mul_i32_i24_e32 v135 /*v391*/, v112, v110
	s_set_vgpr_msb 0x44                     ;  msbs: dst=1 src0=0 src1=1 src2=0
	v_mul_i32_i24_e32 v136 /*v392*/, v112, v99 /*v355*/
	v_mul_i32_i24_e32 v137 /*v393*/, v112, v105 /*v361*/
	s_set_vgpr_msb 5                        ;  msbs: dst=0 src0=1 src1=1 src2=0
	v_dual_lshrrev_b32 v110, 16, v152 /*v408*/ :: v_dual_lshrrev_b32 v112, 16, v149 /*v405*/
	v_mul_i32_i24_e32 v131, v127 /*v383*/, v71 /*v327*/
	v_mul_i32_i24_e32 v127, v30 /*v286*/, v19 /*v275*/
	s_set_vgpr_msb 1                        ;  msbs: dst=0 src0=1 src1=0 src2=0
	v_mul_i32_i24_e32 v128, v32 /*v288*/, v249
	s_set_vgpr_msb 5                        ;  msbs: dst=0 src0=1 src1=1 src2=0
	v_mul_i32_i24_e32 v129, v148 /*v404*/, v99 /*v355*/
	v_mul_i32_i24_e32 v139, v119 /*v375*/, v73 /*v329*/
	;; [unrolled: 1-line block ×5, first 2 shown]
	s_set_vgpr_msb 20                       ;  msbs: dst=0 src0=0 src1=1 src2=1
	v_add3_u32 v99, v229, v28 /*v284*/, v29 /*v285*/
	s_set_vgpr_msb 5                        ;  msbs: dst=0 src0=1 src1=1 src2=0
	v_mul_i32_i24_e32 v222, v144 /*v400*/, v53 /*v309*/
	s_set_vgpr_msb 0                        ;  msbs: dst=0 src0=0 src1=0 src2=0
	v_mul_i32_i24_e32 v227, v117, v109
	v_mul_i32_i24_e32 v231, v111, v109
	v_mul_i32_i24_e32 v233, v115, v109
	s_set_vgpr_msb 20                       ;  msbs: dst=0 src0=0 src1=1 src2=1
	v_mul_i32_i24_e32 v236, v111, v19 /*v275*/
	v_add3_u32 v253, v250, v38 /*v294*/, v79 /*v335*/
	s_set_vgpr_msb 5                        ;  msbs: dst=0 src0=1 src1=1 src2=0
	v_mul_i32_i24_e32 v237, v146 /*v402*/, v17 /*v273*/
	s_set_vgpr_msb 4                        ;  msbs: dst=0 src0=0 src1=1 src2=0
	v_mul_i32_i24_e32 v239, v115, v19 /*v275*/
	v_mul_i32_i24_e32 v245, v111, v134 /*v390*/
	s_set_vgpr_msb 5                        ;  msbs: dst=0 src0=1 src1=1 src2=0
	v_mul_i32_i24_e32 v248, v146 /*v402*/, v53 /*v309*/
	s_set_vgpr_msb 4                        ;  msbs: dst=0 src0=0 src1=1 src2=0
	v_mul_i32_i24_e32 v240, v240, v13 /*v269*/
	s_set_vgpr_msb 5                        ;  msbs: dst=0 src0=1 src1=1 src2=0
	v_mul_i32_i24_e32 v249, v153 /*v409*/, v70 /*v326*/
	v_mul_i32_i24_e32 v252, v154 /*v410*/, v71 /*v327*/
	v_mul_i32_i24_e32 v254, v153 /*v409*/, v73 /*v329*/
	v_mul_i32_i24_e32 v255, v154 /*v410*/, v74 /*v330*/
	s_set_vgpr_msb 0x45                     ;  msbs: dst=1 src0=1 src1=1 src2=0
	v_mul_i32_i24_e32 v1 /*v257*/, v104 /*v360*/, v13 /*v269*/
	v_mul_i32_i24_e32 v2 /*v258*/, v155 /*v411*/, v70 /*v326*/
	;; [unrolled: 1-line block ×6, first 2 shown]
	s_set_vgpr_msb 0x44                     ;  msbs: dst=1 src0=0 src1=1 src2=0
	v_mul_i32_i24_e32 v11 /*v267*/, v106, v119 /*v375*/
	s_set_vgpr_msb 0x45                     ;  msbs: dst=1 src0=1 src1=1 src2=0
	v_mul_i32_i24_e32 v14 /*v270*/, v69 /*v325*/, v127 /*v383*/
	v_mul_i32_i24_e32 v13 /*v269*/, v96 /*v352*/, v13 /*v269*/
	s_set_vgpr_msb 0x41                     ;  msbs: dst=1 src0=1 src1=0 src2=0
	v_mul_i32_i24_e32 v16 /*v272*/, v21 /*v277*/, v109
	s_set_vgpr_msb 0x45                     ;  msbs: dst=1 src0=1 src1=1 src2=0
	v_mul_i32_i24_e32 v17 /*v273*/, v18 /*v274*/, v17 /*v273*/
	v_mul_i32_i24_e32 v19 /*v275*/, v21 /*v277*/, v19 /*v275*/
	;; [unrolled: 1-line block ×5, first 2 shown]
	s_set_vgpr_msb 0x44                     ;  msbs: dst=1 src0=0 src1=1 src2=0
	v_mul_i32_i24_e32 v26 /*v282*/, v106, v157 /*v413*/
	s_set_vgpr_msb 0x45                     ;  msbs: dst=1 src0=1 src1=1 src2=0
	v_mul_i32_i24_e32 v27 /*v283*/, v69 /*v325*/, v158 /*v414*/
	s_set_vgpr_msb 0x41                     ;  msbs: dst=1 src0=1 src1=0 src2=0
	v_mul_i32_i24_e32 v53 /*v309*/, v107 /*v363*/, v104
	s_set_vgpr_msb 0x45                     ;  msbs: dst=1 src0=1 src1=1 src2=0
	v_mul_i32_i24_e32 v50 /*v306*/, v32 /*v288*/, v103 /*v359*/
	s_set_vgpr_msb 0x41                     ;  msbs: dst=1 src0=1 src1=0 src2=0
	v_mul_i32_i24_e32 v63 /*v319*/, v107 /*v363*/, v102
	;; [unrolled: 4-line block ×3, first 2 shown]
	s_set_vgpr_msb 0x45                     ;  msbs: dst=1 src0=1 src1=1 src2=0
	v_mul_i32_i24_e32 v66 /*v322*/, v146 /*v402*/, v34 /*v290*/
	v_mul_i32_i24_e32 v79 /*v335*/, v125 /*v381*/, v107 /*v363*/
	;; [unrolled: 1-line block ×3, first 2 shown]
	s_set_vgpr_msb 0x54                     ;  msbs: dst=1 src0=0 src1=1 src2=1
	v_mul_i32_i24_e32 v81 /*v337*/, v116, v125 /*v381*/
	v_mul_i32_i24_e32 v84 /*v340*/, v117, v36 /*v292*/
	v_add3_u32 v144 /*v400*/, v101, v147 /*v403*/, v102 /*v358*/
	s_set_vgpr_msb 64                       ;  msbs: dst=1 src0=0 src1=0 src2=0
	v_mul_i32_i24_e32 v85 /*v341*/, v116, v104
	v_mul_i32_i24_e32 v91 /*v347*/, v116, v102
	s_set_vgpr_msb 0x44                     ;  msbs: dst=1 src0=0 src1=1 src2=0
	v_mul_i32_i24_e32 v93 /*v349*/, v111, v36 /*v292*/
	s_set_vgpr_msb 0x55                     ;  msbs: dst=1 src0=1 src1=1 src2=1
	v_add3_u32 v146 /*v402*/, v132 /*v388*/, v110 /*v366*/, v98 /*v354*/
	s_set_vgpr_msb 0x41                     ;  msbs: dst=1 src0=1 src1=0 src2=0
	v_mul_i32_i24_e32 v103 /*v359*/, v168 /*v424*/, v116
	s_set_vgpr_msb 0x55                     ;  msbs: dst=1 src0=1 src1=1 src2=1
	v_add3_u32 v147 /*v403*/, v191 /*v447*/, v112 /*v368*/, v121 /*v377*/
	s_set_vgpr_msb 64                       ;  msbs: dst=1 src0=0 src1=0 src2=0
	v_mul_i32_i24_e32 v96 /*v352*/, v116, v114
	s_set_vgpr_msb 0x44                     ;  msbs: dst=1 src0=0 src1=1 src2=0
	v_mul_i32_i24_e32 v97 /*v353*/, v114, v42 /*v298*/
	v_mul_i32_i24_e32 v98 /*v354*/, v114, v107 /*v363*/
	s_set_vgpr_msb 0x45                     ;  msbs: dst=1 src0=1 src1=1 src2=0
	v_mul_i32_i24_e32 v112 /*v368*/, v168 /*v424*/, v107 /*v363*/
	s_set_vgpr_msb 1                        ;  msbs: dst=0 src0=1 src1=0 src2=0
	v_cvt_f32_f16_e64 v108, v149 /*v405*/
	s_set_vgpr_msb 0                        ;  msbs: dst=0 src0=0 src1=0 src2=0
	v_cvt_f32_f16_e32 v111, v110
	v_cvt_f32_f16_e32 v110, v112
	s_set_vgpr_msb 0x55                     ;  msbs: dst=1 src0=1 src1=1 src2=1
	v_add3_u32 v149 /*v405*/, v193 /*v449*/, v187 /*v443*/, v188 /*v444*/
	s_set_vgpr_msb 1                        ;  msbs: dst=0 src0=1 src1=0 src2=0
	v_cvt_f32_f16_e64 v112, v150 /*v406*/
	s_set_vgpr_msb 4                        ;  msbs: dst=0 src0=0 src1=1 src2=0
	v_lshrrev_b32_e32 v114, 16, v151 /*v407*/
	v_cvt_f32_f16_e32 v117, v119
	s_set_vgpr_msb 0                        ;  msbs: dst=0 src0=0 src1=0 src2=0
	v_lshrrev_b32_e32 v119, 16, v119
	s_set_vgpr_msb 64                       ;  msbs: dst=1 src0=0 src1=0 src2=0
	v_mul_i32_i24_e32 v102 /*v358*/, v100, v116
	s_set_vgpr_msb 0x44                     ;  msbs: dst=1 src0=0 src1=1 src2=0
	v_mul_i32_i24_e32 v110 /*v366*/, v100, v107 /*v363*/
	s_set_vgpr_msb 0x55                     ;  msbs: dst=1 src0=1 src1=1 src2=1
	v_mul_i32_i24_e32 v107 /*v363*/, v148 /*v404*/, v90 /*v346*/
	v_add3_u32 v148 /*v404*/, v192 /*v448*/, v185 /*v441*/, v186 /*v442*/
	s_set_vgpr_msb 4                        ;  msbs: dst=0 src0=0 src1=1 src2=0
	v_lshrrev_b32_e32 v116, 16, v150 /*v406*/
	s_set_vgpr_msb 0x55                     ;  msbs: dst=1 src0=1 src1=1 src2=1
	v_add3_u32 v150 /*v406*/, v194 /*v450*/, v189 /*v445*/, v190 /*v446*/
	s_set_vgpr_msb 1                        ;  msbs: dst=0 src0=1 src1=0 src2=0
	v_add3_u32 v143, v58 /*v314*/, v143, v144
	v_add3_u32 v144, v62 /*v318*/, v145, v148
	;; [unrolled: 1-line block ×9, first 2 shown]
	s_set_vgpr_msb 0                        ;  msbs: dst=0 src0=0 src1=0 src2=0
	v_add3_u32 v150, v235, v209, v212
	v_add3_u32 v151, v246, v214, v213
	;; [unrolled: 1-line block ×3, first 2 shown]
	s_set_vgpr_msb 1                        ;  msbs: dst=0 src0=1 src1=0 src2=0
	v_add3_u32 v153, v116 /*v372*/, v220, v221
	v_add3_u32 v208, v3 /*v259*/, v224, v225
	s_set_vgpr_msb 5                        ;  msbs: dst=0 src0=1 src1=1 src2=0
	v_mul_i32_i24_e32 v132, v120 /*v376*/, v42 /*v298*/
	v_mul_i32_i24_e32 v135, v30 /*v286*/, v134 /*v390*/
	;; [unrolled: 1-line block ×3, first 2 shown]
	s_set_vgpr_msb 4                        ;  msbs: dst=0 src0=0 src1=1 src2=0
	v_mul_i32_i24_e32 v223, v107, v134 /*v390*/
	s_set_vgpr_msb 0                        ;  msbs: dst=0 src0=0 src1=0 src2=0
	v_mul_i32_i24_e32 v229, v113, v109
	s_set_vgpr_msb 4                        ;  msbs: dst=0 src0=0 src1=1 src2=0
	v_mul_i32_i24_e32 v250, v115, v134 /*v390*/
	s_set_vgpr_msb 0x45                     ;  msbs: dst=1 src0=1 src1=1 src2=0
	v_mul_i32_i24_e32 v21 /*v277*/, v21 /*v277*/, v134 /*v390*/
	v_mul_i32_i24_e32 v29 /*v285*/, v69 /*v325*/, v154 /*v410*/
	;; [unrolled: 1-line block ×3, first 2 shown]
	s_set_vgpr_msb 0x41                     ;  msbs: dst=1 src0=1 src1=0 src2=0
	v_mul_i32_i24_e32 v35 /*v291*/, v159 /*v415*/, v106
	s_set_vgpr_msb 0x55                     ;  msbs: dst=1 src0=1 src1=1 src2=1
	v_mul_i32_i24_e32 v37 /*v293*/, v160 /*v416*/, v69 /*v325*/
	v_mul_i32_i24_e32 v39 /*v295*/, v164 /*v420*/, v69 /*v325*/
	;; [unrolled: 1-line block ×4, first 2 shown]
	v_add3_u32 v123 /*v379*/, v55 /*v311*/, v141 /*v397*/, v140 /*v396*/
	v_add3_u32 v124 /*v380*/, v67 /*v323*/, v178 /*v434*/, v143 /*v399*/
	s_set_vgpr_msb 0x41                     ;  msbs: dst=1 src0=1 src1=0 src2=0
	v_mul_i32_i24_e32 v56 /*v312*/, v30 /*v286*/, v109
	s_set_vgpr_msb 0x55                     ;  msbs: dst=1 src0=1 src1=1 src2=1
	v_mul_i32_i24_e32 v60 /*v316*/, v60 /*v316*/, v34 /*v290*/
	v_add3_u32 v134 /*v390*/, v139 /*v395*/, v180 /*v436*/, v179 /*v435*/
	s_set_vgpr_msb 0x44                     ;  msbs: dst=1 src0=0 src1=1 src2=0
	v_mul_i32_i24_e32 v68 /*v324*/, v115, v36 /*v292*/
	s_set_vgpr_msb 0x41                     ;  msbs: dst=1 src0=1 src1=0 src2=0
	v_mul_i32_i24_e32 v67 /*v323*/, v77 /*v333*/, v106
	s_set_vgpr_msb 0x45                     ;  msbs: dst=1 src0=1 src1=1 src2=0
	v_mul_i32_i24_e32 v69 /*v325*/, v76 /*v332*/, v69 /*v325*/
	v_mul_i32_i24_e32 v70 /*v326*/, v77 /*v333*/, v70 /*v326*/
	v_mul_i32_i24_e32 v72 /*v328*/, v76 /*v332*/, v71 /*v327*/
	s_set_vgpr_msb 0x54                     ;  msbs: dst=1 src0=0 src1=1 src2=1
	v_add3_u32 v139 /*v395*/, v99, v182 /*v438*/, v181 /*v437*/
	v_mul_i32_i24_e32 v80 /*v336*/, v107, v36 /*v292*/
	s_set_vgpr_msb 0x55                     ;  msbs: dst=1 src0=1 src1=1 src2=1
	v_add3_u32 v143 /*v399*/, v142 /*v398*/, v184 /*v440*/, v183 /*v439*/
	v_mul_i32_i24_e32 v82 /*v338*/, v126 /*v382*/, v34 /*v290*/
	v_mul_i32_i24_e32 v86 /*v342*/, v129 /*v385*/, v34 /*v290*/
	s_set_vgpr_msb 0x44                     ;  msbs: dst=1 src0=0 src1=1 src2=0
	v_mul_i32_i24_e32 v89 /*v345*/, v113, v36 /*v292*/
	s_set_vgpr_msb 0                        ;  msbs: dst=0 src0=0 src1=0 src2=0
	v_add3_u32 v206, v253, v219, v216
	s_set_vgpr_msb 1                        ;  msbs: dst=0 src0=1 src1=0 src2=0
	v_add3_u32 v212, v115 /*v371*/, v232, v233
	v_add3_u32 v130, v145 /*v401*/, v130, v131
	;; [unrolled: 1-line block ×8, first 2 shown]
	s_set_vgpr_msb 0                        ;  msbs: dst=0 src0=0 src1=0 src2=0
	v_add3_u32 v142, v143, v249, v252
	v_add3_u32 v143, v144, v254, v255
	s_set_vgpr_msb 20                       ;  msbs: dst=0 src0=0 src1=1 src2=1
	v_add3_u32 v144, v145, v1 /*v257*/, v0 /*v256*/
	v_add3_u32 v145, v148, v2 /*v258*/, v4 /*v260*/
	v_add3_u32 v148, v149, v6 /*v262*/, v7 /*v263*/
	v_add3_u32 v146, v146, v10 /*v266*/, v8 /*v264*/
	s_set_vgpr_msb 0                        ;  msbs: dst=0 src0=0 src1=0 src2=0
	v_add3_u32 v121, v123, v121, v122
	s_set_vgpr_msb 20                       ;  msbs: dst=0 src0=0 src1=1 src2=1
	v_add3_u32 v122, v150, v11 /*v267*/, v14 /*v270*/
	v_add3_u32 v123, v125, v5 /*v261*/, v12 /*v268*/
	;; [unrolled: 1-line block ×7, first 2 shown]
	s_set_vgpr_msb 0x45                     ;  msbs: dst=1 src0=1 src1=1 src2=0
	v_mul_i32_i24_e32 v23 /*v279*/, v157 /*v413*/, v73 /*v329*/
	v_mul_i32_i24_e32 v25 /*v281*/, v158 /*v414*/, v74 /*v330*/
	s_set_vgpr_msb 0x44                     ;  msbs: dst=1 src0=0 src1=1 src2=0
	v_mul_i32_i24_e32 v28 /*v284*/, v106, v153 /*v409*/
	v_mul_i32_i24_e32 v31 /*v287*/, v106, v155 /*v411*/
	s_set_vgpr_msb 0x41                     ;  msbs: dst=1 src0=1 src1=0 src2=0
	v_mul_i32_i24_e32 v38 /*v294*/, v161 /*v417*/, v106
	s_set_vgpr_msb 0x45                     ;  msbs: dst=1 src0=1 src1=1 src2=0
	v_mul_i32_i24_e32 v41 /*v297*/, v160 /*v416*/, v71 /*v327*/
	v_mul_i32_i24_e32 v44 /*v300*/, v164 /*v420*/, v71 /*v327*/
	;; [unrolled: 1-line block ×7, first 2 shown]
	s_set_vgpr_msb 0x41                     ;  msbs: dst=1 src0=1 src1=0 src2=0
	v_mul_i32_i24_e32 v47 /*v303*/, v42 /*v298*/, v104
	s_set_vgpr_msb 0x45                     ;  msbs: dst=1 src0=1 src1=1 src2=0
	v_mul_i32_i24_e32 v51 /*v307*/, v162 /*v418*/, v105 /*v361*/
	s_set_vgpr_msb 0x41                     ;  msbs: dst=1 src0=1 src1=0 src2=0
	v_mul_i32_i24_e32 v57 /*v313*/, v42 /*v298*/, v102
	s_set_vgpr_msb 0x45                     ;  msbs: dst=1 src0=1 src1=1 src2=0
	v_mul_i32_i24_e32 v71 /*v327*/, v77 /*v333*/, v73 /*v329*/
	v_mul_i32_i24_e32 v73 /*v329*/, v165 /*v421*/, v99 /*v355*/
	;; [unrolled: 1-line block ×4, first 2 shown]
	s_set_vgpr_msb 0x44                     ;  msbs: dst=1 src0=0 src1=1 src2=0
	v_mul_i32_i24_e32 v104 /*v360*/, v100, v42 /*v298*/
	s_set_vgpr_msb 0x45                     ;  msbs: dst=1 src0=1 src1=1 src2=0
	v_mul_i32_i24_e32 v106 /*v362*/, v168 /*v424*/, v42 /*v298*/
	v_mul_i32_i24_e32 v42 /*v298*/, v120 /*v376*/, v48 /*v304*/
	;; [unrolled: 1-line block ×3, first 2 shown]
	s_set_vgpr_msb 1                        ;  msbs: dst=0 src0=1 src1=0 src2=0
	v_cvt_f32_f16_e64 v101, v122 /*v378*/
	s_set_vgpr_msb 0x45                     ;  msbs: dst=1 src0=1 src1=1 src2=0
	v_mul_i32_i24_e32 v125 /*v381*/, v94 /*v350*/, v119 /*v375*/
	v_mul_i32_i24_e32 v126 /*v382*/, v159 /*v415*/, v94 /*v350*/
	;; [unrolled: 1-line block ×12, first 2 shown]
	s_set_vgpr_msb 1                        ;  msbs: dst=0 src0=1 src1=0 src2=0
	v_add3_u32 v207, v118 /*v374*/, v222, v223
	v_add3_u32 v209, v24 /*v280*/, v226, v227
	;; [unrolled: 1-line block ×8, first 2 shown]
	s_set_vgpr_msb 20                       ;  msbs: dst=0 src0=0 src1=1 src2=1
	v_add3_u32 v151, v206, v18 /*v274*/, v21 /*v277*/
	v_add3_u32 v208, v212, v35 /*v291*/, v37 /*v293*/
	s_set_vgpr_msb 0                        ;  msbs: dst=0 src0=0 src1=0 src2=0
	v_add3_u32 v127, v131, v127, v128
	v_add3_u32 v128, v130, v129, v132
	;; [unrolled: 1-line block ×4, first 2 shown]
	s_set_vgpr_msb 20                       ;  msbs: dst=0 src0=0 src1=1 src2=1
	v_add3_u32 v135, v139, v60 /*v316*/, v64 /*v320*/
	s_set_vgpr_msb 0                        ;  msbs: dst=0 src0=0 src1=0 src2=0
	v_add3_u32 v121, v121, v126, v124
	s_set_vgpr_msb 20                       ;  msbs: dst=0 src0=0 src1=1 src2=1
	v_add3_u32 v126, v123, v56 /*v312*/, v50 /*v306*/
	v_add3_u32 v136, v122, v65 /*v321*/, v61 /*v317*/
	;; [unrolled: 1-line block ×10, first 2 shown]
	s_set_vgpr_msb 0x45                     ;  msbs: dst=1 src0=1 src1=1 src2=0
	v_mul_i32_i24_e32 v55 /*v311*/, v163 /*v419*/, v99 /*v355*/
	v_mul_i32_i24_e32 v59 /*v315*/, v163 /*v419*/, v105 /*v361*/
	v_mul_i32_i24_e32 v77 /*v333*/, v165 /*v421*/, v105 /*v361*/
	s_set_vgpr_msb 1                        ;  msbs: dst=0 src0=1 src1=0 src2=0
	v_cvt_f32_f16_e64 v107, v170 /*v426*/
	v_cvt_f32_f16_e64 v106, v171 /*v427*/
	s_set_vgpr_msb 0x41                     ;  msbs: dst=1 src0=1 src1=0 src2=0
	v_mul_i32_i24_e32 v34 /*v290*/, v48 /*v304*/, v104
	v_mul_i32_i24_e32 v32 /*v288*/, v48 /*v304*/, v102
	;; [unrolled: 1-line block ×3, first 2 shown]
	s_set_vgpr_msb 0x45                     ;  msbs: dst=1 src0=1 src1=1 src2=0
	v_mul_i32_i24_e32 v48 /*v304*/, v48 /*v304*/, v168 /*v424*/
	v_mul_i32_i24_e32 v138 /*v394*/, v166 /*v422*/, v99 /*v355*/
	v_mul_i32_i24_e32 v140 /*v396*/, v167 /*v423*/, v99 /*v355*/
	v_mul_i32_i24_e32 v142 /*v398*/, v166 /*v422*/, v105 /*v361*/
	v_mul_i32_i24_e32 v141 /*v397*/, v167 /*v423*/, v105 /*v361*/
	v_mul_i32_i24_e32 v105 /*v361*/, v167 /*v423*/, v90 /*v346*/
	v_mul_i32_i24_e32 v99 /*v355*/, v90 /*v346*/, v165 /*v421*/
	v_mul_i32_i24_e32 v94 /*v350*/, v90 /*v346*/, v162 /*v418*/
	v_mul_i32_i24_e32 v92 /*v348*/, v90 /*v346*/, v163 /*v419*/
	v_mul_i32_i24_e32 v90 /*v346*/, v90 /*v346*/, v166 /*v422*/
	s_set_vgpr_msb 20                       ;  msbs: dst=0 src0=0 src1=1 src2=1
	v_add3_u32 v152, v207, v23 /*v279*/, v25 /*v281*/
	v_add3_u32 v206, v209, v28 /*v284*/, v29 /*v285*/
	;; [unrolled: 1-line block ×13, first 2 shown]
	v_cvt_f32_i32_e32 v123, v128
	v_cvt_f32_i32_e32 v122, v127
	;; [unrolled: 1-line block ×4, first 2 shown]
	v_add3_u32 v129, v135, v125 /*v381*/, v131 /*v387*/
	v_add3_u32 v130, v137, v126 /*v382*/, v132 /*v388*/
	;; [unrolled: 1-line block ×7, first 2 shown]
	v_cvt_f32_i32_e32 v127, v136
	v_cvt_f32_i32_e32 v126, v126
	;; [unrolled: 1-line block ×4, first 2 shown]
	s_set_vgpr_msb 1                        ;  msbs: dst=0 src0=1 src1=0 src2=0
	v_cvt_f32_f16_e64 v103, v173 /*v429*/
	v_cvt_f32_f16_e64 v102, v174 /*v430*/
	s_set_vgpr_msb 0                        ;  msbs: dst=0 src0=0 src1=0 src2=0
	v_cvt_f32_f16_e32 v115, v114
	v_cvt_f32_f16_e32 v114, v116
	;; [unrolled: 1-line block ×3, first 2 shown]
	v_lshrrev_b32_e32 v118, 16, v118
	s_set_vgpr_msb 20                       ;  msbs: dst=0 src0=0 src1=1 src2=1
	v_add3_u32 v133, v145, v55 /*v311*/, v57 /*v313*/
	v_add3_u32 v134, v148, v59 /*v315*/, v63 /*v319*/
	;; [unrolled: 1-line block ×12, first 2 shown]
	v_cvt_f32_i32_e32 v209, v131
	v_cvt_f32_i32_e32 v131, v142
	s_set_vgpr_msb 0                        ;  msbs: dst=0 src0=0 src1=0 src2=0
	v_pk_fma_f32 v[80:81], v[80:81], v[122:123], v[94:95]
	s_set_vgpr_msb 20                       ;  msbs: dst=0 src0=0 src1=1 src2=1
	v_add3_u32 v122, v129, v107 /*v363*/, v42 /*v298*/
	s_set_vgpr_msb 0                        ;  msbs: dst=0 src0=0 src1=0 src2=0
	v_pk_fma_f32 v[88:89], v[88:89], v[126:127], v[106:107]
	s_set_vgpr_msb 20                       ;  msbs: dst=0 src0=0 src1=1 src2=1
	v_add3_u32 v106, v130, v105 /*v361*/, v48 /*v304*/
	v_cvt_f32_i32_e32 v130, v208
	v_add3_u32 v126, v140, v99 /*v355*/, v36 /*v292*/
	s_set_vgpr_msb 0                        ;  msbs: dst=0 src0=0 src1=0 src2=0
	v_fma_mix_f32 v123, v199, v121, v199 op_sel:[0,0,1] op_sel_hi:[1,0,1]
	s_set_vgpr_msb 20                       ;  msbs: dst=0 src0=0 src1=1 src2=1
	v_add3_u32 v121, v141, v94 /*v350*/, v34 /*v290*/
	v_add3_u32 v127, v144, v92 /*v348*/, v32 /*v288*/
	;; [unrolled: 1-line block ×3, first 2 shown]
	v_cvt_f32_f16_e32 v99, v98
	s_set_vgpr_msb 1                        ;  msbs: dst=0 src0=1 src1=0 src2=0
	v_cvt_f32_f16_e64 v98, v169 /*v425*/
	v_cvt_f32_f16_e64 v100, v172 /*v428*/
	v_cvt_f32_f16_e64 v105, v175 /*v431*/
	v_cvt_f32_f16_e64 v104, v176 /*v432*/
	v_cvt_f32_f16_e64 v109, v152 /*v408*/
	v_cvt_f32_f16_e64 v113, v151 /*v407*/
	s_set_vgpr_msb 0                        ;  msbs: dst=0 src0=0 src1=0 src2=0
	v_cvt_f32_f16_e32 v119, v119
	v_cvt_f32_f16_e32 v118, v118
	v_cvt_f32_i32_e32 v210, v133
	v_cvt_f32_i32_e32 v211, v132
	;; [unrolled: 1-line block ×12, first 2 shown]
	v_pk_fma_f32 v[82:83], v[82:83], v[124:125], v[96:97]
	v_cvt_f32_i32_e32 v107, v138
	v_cvt_f32_i32_e32 v138, v143
	v_pk_add_f32 v[70:71], v[70:71], v[80:81]
	v_cvt_f32_i32_e32 v129, v122
	v_pk_add_f32 v[68:69], v[68:69], v[88:89]
	v_cvt_f32_i32_e32 v106, v106
	v_pk_fma_f32 v[80:81], v[90:91], v[130:131], v[102:103]
	v_cvt_f32_i32_e32 v88, v126
	v_cvt_f32_i32_e32 v89, v121
	;; [unrolled: 1-line block ×4, first 2 shown]
	v_fma_mix_f32 v94, v203, v209, v203 op_sel:[0,0,1] op_sel_hi:[1,0,1]
	v_fma_mix_f32 v95, v205, v210, v205 op_sel:[0,0,1] op_sel_hi:[1,0,1]
	;; [unrolled: 1-line block ×6, first 2 shown]
	v_pk_fma_f32 v[108:109], v[108:109], v[132:133], v[110:111]
	v_pk_fma_f32 v[110:111], v[112:113], v[134:135], v[114:115]
	;; [unrolled: 1-line block ×3, first 2 shown]
	v_pk_add_f32 v[72:73], v[72:73], v[82:83]
	v_pk_fma_f32 v[82:83], v[92:93], v[138:139], v[104:105]
	v_pk_fma_f32 v[84:85], v[84:85], v[128:129], v[98:99]
	;; [unrolled: 1-line block ×3, first 2 shown]
	v_pk_add_f32 v[52:53], v[52:53], v[80:81]
	v_fma_mix_f32 v121, v195, v88, v195 op_sel:[0,0,1] op_sel_hi:[1,0,1]
	v_fma_mix_f32 v80, v196, v89, v196 op_sel:[0,0,1] op_sel_hi:[1,0,1]
	v_fma_mix_f32 v81, v197, v90, v197 op_sel:[0,0,1] op_sel_hi:[1,0,1]
	v_fma_mix_f32 v122, v198, v91, v198 op_sel:[0,0,1] op_sel_hi:[1,0,1]
	v_pk_add_f32 v[56:57], v[56:57], v[94:95]
	v_pk_add_f32 v[58:59], v[58:59], v[96:97]
	v_pk_add_f32 v[54:55], v[54:55], v[124:125]
	v_pk_add_f32 v[32:33], v[32:33], v[108:109]
	v_pk_add_f32 v[34:35], v[34:35], v[110:111]
	v_pk_add_f32 v[36:37], v[36:37], v[112:113]
	v_pk_add_f32 v[60:61], v[60:61], v[82:83]
	v_pk_add_f32 v[64:65], v[64:65], v[84:85]
	v_pk_add_f32 v[74:75], v[74:75], v[120:121]
	v_pk_add_f32 v[50:51], v[50:51], v[80:81]
	v_pk_add_f32 v[44:45], v[44:45], v[122:123]
	v_pk_add_f32 v[30:31], v[30:31], v[86:87]
	s_cbranch_scc1 .LBB139_8
; %bb.9:                                ;   in Loop: Header=BB139_6 Depth=1
	s_and_b32 s12, s15, -4
	s_delay_alu instid0(SALU_CYCLE_1)
	s_cmp_eq_u32 s12, 4
	s_barrier_signal -1
	s_barrier_wait -1
	s_cbranch_scc1 .LBB139_5
; %bb.10:                               ;   in Loop: Header=BB139_6 Depth=1
	v_dual_add_nc_u32 v80, s10, v161 :: v_dual_add_nc_u32 v96, 4, v187
	v_dual_mov_b32 v98, v185 :: v_dual_mov_b32 v99, v178
	v_dual_mov_b32 v100, v182 :: v_dual_mov_b32 v101, v181
	s_delay_alu instid0(VALU_DEP_3) | instskip(SKIP_3) | instid1(VALU_DEP_4)
	v_dual_add_nc_u32 v86, v80, v155 :: v_dual_add_nc_u32 v81, v80, v160
	v_dual_add_nc_u32 v82, v80, v79 :: v_dual_add_nc_u32 v84, v80, v154
	v_dual_add_nc_u32 v88, v80, v156 :: v_dual_add_nc_u32 v90, v80, v157
	v_dual_add_nc_u32 v92, v80, v158 :: v_dual_add_nc_u32 v94, v80, v159
	v_mad_nc_i64_i32 v[80:81], v81, 36, v[22:23]
	s_delay_alu instid0(VALU_DEP_4)
	v_mad_nc_i64_i32 v[82:83], v82, 36, v[22:23]
	v_mad_nc_i64_i32 v[84:85], v84, 36, v[22:23]
	;; [unrolled: 1-line block ×7, first 2 shown]
	v_mad_nc_u64_u32 v[96:97], v96, 36, s[2:3]
	s_clause 0x8
	global_load_b32 v105, v[80:81], off offset:4
	global_load_b32 v106, v[82:83], off offset:4
	;; [unrolled: 1-line block ×8, first 2 shown]
	global_load_b32 v113, v[96:97], off
	v_dual_mov_b32 v102, v180 :: v_dual_mov_b32 v103, v179
	v_mov_b32_e32 v104, v186
	s_mov_b32 s12, 12
	s_wait_loadcnt 0x8
	ds_store_b32 v176, v105
	s_wait_loadcnt 0x7
	ds_store_b32 v177, v106
	;; [unrolled: 2-line block ×9, first 2 shown]
	s_wait_dscnt 0x0
	s_barrier_signal -1
	s_barrier_wait -1
.LBB139_11:                             ;   Parent Loop BB139_6 Depth=1
                                        ; =>  This Inner Loop Header: Depth=2
	ds_load_2addr_b32 v[80:81], v99 offset0:1 offset1:2
	ds_load_2addr_b32 v[82:83], v99 offset0:5 offset1:6
	ds_load_2addr_b32 v[86:87], v99 offset1:3
	ds_load_2addr_b32 v[88:89], v99 offset0:4 offset1:7
	ds_load_2addr_b32 v[84:85], v98 offset1:32
	s_add_co_i32 s12, s12, 4
	s_delay_alu instid0(SALU_CYCLE_1)
	s_cmp_lt_u32 s12, 28
	s_wait_dscnt 0x3
	s_set_vgpr_msb 64                       ;  msbs: dst=1 src0=0 src1=0 src2=0
	v_dual_ashrrev_i32 v18 /*v274*/, 24, v80 :: v_dual_ashrrev_i32 v16 /*v272*/, 24, v82
	s_set_vgpr_msb 0                        ;  msbs: dst=0 src0=0 src1=0 src2=0
	v_bfe_i32 v255, v82, 0, 8
	s_set_vgpr_msb 64                       ;  msbs: dst=1 src0=0 src1=0 src2=0
	v_bfe_i32 v0 /*v256*/, v82, 8, 8
	v_bfe_i32 v1 /*v257*/, v82, 16, 8
	v_dual_ashrrev_i32 v14 /*v270*/, 24, v81 :: v_dual_ashrrev_i32 v11 /*v267*/, 24, v83
	v_bfe_i32 v4 /*v260*/, v83, 0, 8
	v_bfe_i32 v5 /*v261*/, v83, 8, 8
	;; [unrolled: 1-line block ×3, first 2 shown]
	s_set_vgpr_msb 0                        ;  msbs: dst=0 src0=0 src1=0 src2=0
	ds_load_b32 v105, v100
	ds_load_2addr_b32 v[82:83], v104 offset1:1
	v_bfe_i32 v252, v80, 0, 8
	v_bfe_i32 v253, v80, 8, 8
	;; [unrolled: 1-line block ×3, first 2 shown]
	s_set_vgpr_msb 64                       ;  msbs: dst=1 src0=0 src1=0 src2=0
	v_bfe_i32 v2 /*v258*/, v81, 0, 8
	v_bfe_i32 v3 /*v259*/, v81, 8, 8
	v_bfe_i32 v13 /*v269*/, v81, 16, 8
	s_wait_dscnt 0x4
	s_set_vgpr_msb 0                        ;  msbs: dst=0 src0=0 src1=0 src2=0
	v_bfe_i32 v199, v86, 0, 8
	v_bfe_i32 v247, v86, 8, 8
	v_bfe_i32 v248, v86, 16, 8
	s_wait_dscnt 0x3
	s_set_vgpr_msb 64                       ;  msbs: dst=1 src0=0 src1=0 src2=0
	v_dual_ashrrev_i32 v58 /*v314*/, 24, v86 :: v_dual_ashrrev_i32 v19 /*v275*/, 24, v88
	s_set_vgpr_msb 0                        ;  msbs: dst=0 src0=0 src1=0 src2=0
	v_bfe_i32 v249, v88, 0, 8
	v_bfe_i32 v250, v88, 8, 8
	;; [unrolled: 1-line block ×3, first 2 shown]
	v_add_nc_u32_e32 v88, 0x404, v99
	s_set_vgpr_msb 64                       ;  msbs: dst=1 src0=0 src1=0 src2=0
	v_bfe_i32 v7 /*v263*/, v87, 0, 8
	v_bfe_i32 v8 /*v264*/, v87, 8, 8
	;; [unrolled: 1-line block ×3, first 2 shown]
	s_wait_dscnt 0x1
	s_set_vgpr_msb 0                        ;  msbs: dst=0 src0=0 src1=0 src2=0
	v_pk_mul_f16 v234, v84, v105
	s_wait_dscnt 0x0
	v_dual_lshrrev_b32 v80, 4, v82 :: v_dual_lshrrev_b32 v106, 28, v82
	s_set_vgpr_msb 64                       ;  msbs: dst=1 src0=0 src1=0 src2=0
	v_dual_ashrrev_i32 v10 /*v266*/, 24, v87 :: v_dual_ashrrev_i32 v59 /*v315*/, 24, v89
	v_bfe_i32 v62 /*v318*/, v89, 0, 8
	s_set_vgpr_msb 0                        ;  msbs: dst=0 src0=0 src1=0 src2=0
	v_lshrrev_b16 v80, 8, v80
	s_set_vgpr_msb 64                       ;  msbs: dst=1 src0=0 src1=0 src2=0
	v_bfe_i32 v61 /*v317*/, v89, 8, 8
	v_bfe_i32 v60 /*v316*/, v89, 16, 8
	s_set_vgpr_msb 0                        ;  msbs: dst=0 src0=0 src1=0 src2=0
	v_dual_lshrrev_b32 v107, 28, v83 :: v_dual_bitop2_b32 v113, 15, v82 bitop3:0x40
	v_and_b32_e32 v246, 15, v80
	v_and_b32_e32 v80, 0xf0f0f0f, v83
	v_bfe_u32 v230, v82, 8, 4
	s_delay_alu instid0(VALU_DEP_4)
	v_mul_i32_i24_e32 v233, v113, v199
	v_bfe_u32 v231, v82, 24, 4
	v_bfe_u32 v232, v82, 16, 4
	s_set_vgpr_msb 64                       ;  msbs: dst=1 src0=0 src1=0 src2=0
	v_lshrrev_b16 v21 /*v277*/, 8, v80
	s_set_vgpr_msb 0                        ;  msbs: dst=0 src0=0 src1=0 src2=0
	v_lshrrev_b32_e32 v80, 4, v83
	v_bfe_u32 v111, v83, 24, 4
	v_add_nc_u32_e32 v100, 4, v100
	s_delay_alu instid0(VALU_DEP_3) | instskip(SKIP_1) | instid1(VALU_DEP_1)
	v_lshrrev_b16 v80, 8, v80
	s_set_vgpr_msb 64                       ;  msbs: dst=1 src0=0 src1=0 src2=0
	v_and_b32_e32 v20 /*v276*/, 15, v80
	s_set_vgpr_msb 0                        ;  msbs: dst=0 src0=0 src1=0 src2=0
	ds_load_2addr_b32 v[80:81], v104 offset0:2 offset1:3
	s_wait_dscnt 0x0
	v_and_b32_e32 v86, 0xf0f0f0f, v80
	v_lshrrev_b32_e32 v108, 28, v80
	v_bfe_u32 v110, v81, 4, 4
	v_bfe_u32 v225, v81, 12, 4
	;; [unrolled: 1-line block ×3, first 2 shown]
	s_set_vgpr_msb 64                       ;  msbs: dst=1 src0=0 src1=0 src2=0
	v_lshrrev_b16 v17 /*v273*/, 8, v86
	s_set_vgpr_msb 0                        ;  msbs: dst=0 src0=0 src1=0 src2=0
	v_lshrrev_b32_e32 v86, 4, v80
	s_set_vgpr_msb 0x41                     ;  msbs: dst=1 src0=1 src1=0 src2=0
	v_mul_i32_i24_e32 v27 /*v283*/, v62 /*v318*/, v110
	v_mul_i32_i24_e32 v30 /*v286*/, v61 /*v317*/, v225
	s_set_vgpr_msb 0                        ;  msbs: dst=0 src0=0 src1=0 src2=0
	v_bfe_u32 v109, v81, 24, 4
	v_lshrrev_b16 v86, 8, v86
	s_set_vgpr_msb 64                       ;  msbs: dst=1 src0=0 src1=0 src2=0
	s_delay_alu instid0(VALU_DEP_1) | instskip(SKIP_3) | instid1(VALU_DEP_1)
	v_and_b32_e32 v15 /*v271*/, 15, v86
	s_set_vgpr_msb 0                        ;  msbs: dst=0 src0=0 src1=0 src2=0
	v_and_b32_e32 v86, 0xf0f0f0f, v81
	s_set_vgpr_msb 64                       ;  msbs: dst=1 src0=0 src1=0 src2=0
	v_lshrrev_b16 v12 /*v268*/, 8, v86
	s_set_vgpr_msb 0                        ;  msbs: dst=0 src0=0 src1=0 src2=0
	v_add_nc_u32_e32 v86, 0x1080, v104
	ds_load_b32 v114, v101
	ds_load_2addr_b32 v[90:91], v86 offset1:1
	v_add_nc_u32_e32 v86, 0x1088, v104
	v_add_nc_u32_e32 v101, 4, v101
	ds_load_2addr_b32 v[92:93], v86 offset1:1
	v_add_nc_u32_e32 v86, 0x2100, v104
	ds_load_b32 v140, v102
	ds_load_2addr_b32 v[94:95], v86 offset1:1
	v_add_nc_u32_e32 v86, 0x2108, v104
	v_add_nc_u32_e32 v102, 4, v102
	ds_load_2addr_b32 v[96:97], v86 offset1:1
	v_add_nc_u32_e32 v86, 0x3180, v104
	ds_load_b32 v198, v103
	s_set_vgpr_msb 64                       ;  msbs: dst=1 src0=0 src1=0 src2=0
	ds_load_2addr_b32 v[64:65] /*v[320:321]*/, v86 offset1:1
	s_wait_dscnt 0x7
	v_pk_mul_f16 v82 /*v338*/, v84, v114
	s_set_vgpr_msb 0                        ;  msbs: dst=0 src0=0 src1=0 src2=0
	v_add_nc_u32_e32 v86, 0x3188, v104
	s_wait_dscnt 0x6
	v_bfe_u32 v117, v91, 20, 4
	v_dual_lshrrev_b32 v127, 28, v91 :: v_dual_bitop2_b32 v121, 15, v91 bitop3:0x40
	v_bfe_u32 v122, v91, 8, 4
	v_bfe_u32 v123, v91, 16, 4
	s_wait_dscnt 0x4
	s_set_vgpr_msb 64                       ;  msbs: dst=1 src0=0 src1=0 src2=0
	v_pk_mul_f16 v108 /*v364*/, v84, v140
	s_set_vgpr_msb 0                        ;  msbs: dst=0 src0=0 src1=0 src2=0
	v_bfe_u32 v124, v91, 24, 4
	v_bfe_u32 v125, v91, 4, 4
	;; [unrolled: 1-line block ×3, first 2 shown]
	ds_load_2addr_b32 v[244:245], v86 offset1:1
	ds_load_2addr_b32 v[88:89], v88 offset1:1
	v_add_nc_u32_e32 v91, 0x414, v99
	v_bfe_u32 v119, v90, 12, 4
	v_bfe_u32 v116, v90, 20, 4
	v_dual_lshrrev_b32 v120, 28, v90 :: v_dual_bitop2_b32 v118, 15, v90 bitop3:0x40
	s_wait_dscnt 0x3
	s_set_vgpr_msb 64                       ;  msbs: dst=1 src0=0 src1=0 src2=0
	v_pk_mul_f16 v133 /*v389*/, v84, v198
	s_set_vgpr_msb 0                        ;  msbs: dst=0 src0=0 src1=0 src2=0
	v_add_nc_u32_e32 v84, 0x400, v99
	v_bfe_u32 v115, v90, 4, 4
	v_and_b32_e32 v194, 15, v97
	v_mul_i32_i24_e32 v236, v118, v199
	v_mul_i32_i24_e32 v238, v119, v250
	ds_load_2addr_b32 v[86:87], v84 offset0:4 offset1:7
	ds_load_2addr_b32 v[226:227], v91 offset1:1
	ds_load_2addr_b32 v[228:229], v84 offset1:3
	v_mul_i32_i24_e32 v237, v115, v249
	v_mul_i32_i24_e32 v239, v116, v251
	s_set_vgpr_msb 4                        ;  msbs: dst=0 src0=0 src1=1 src2=0
	v_mul_i32_i24_e32 v240, v120, v19 /*v275*/
	s_set_vgpr_msb 0                        ;  msbs: dst=0 src0=0 src1=0 src2=0
	v_mul_i32_i24_e32 v241, v252, v121
	v_mul_i32_i24_e32 v242, v253, v122
	s_wait_dscnt 0x4
	v_bfe_u32 v212, v244, 8, 4
	v_and_b32_e32 v213, 15, v244
	v_bfe_u32 v214, v244, 24, 4
	v_bfe_u32 v215, v244, 16, 4
	;; [unrolled: 1-line block ×4, first 2 shown]
	v_lshrrev_b32_e32 v218, 28, v244
	v_bfe_u32 v219, v244, 20, 4
	s_wait_dscnt 0x3
	s_set_vgpr_msb 64                       ;  msbs: dst=1 src0=0 src1=0 src2=0
	v_bfe_i32 v49 /*v305*/, v88, 0, 8
	v_bfe_i32 v50 /*v306*/, v88, 8, 8
	;; [unrolled: 1-line block ×3, first 2 shown]
	v_ashrrev_i32_e32 v52 /*v308*/, 24, v88
	v_bfe_i32 v41 /*v297*/, v89, 0, 8
	s_wait_dscnt 0x2
	v_bfe_i32 v54 /*v310*/, v86, 8, 8
	s_wait_dscnt 0x0
	s_set_vgpr_msb 0                        ;  msbs: dst=0 src0=0 src1=0 src2=0
	v_bfe_i32 v84, v228, 0, 8
	s_set_vgpr_msb 64                       ;  msbs: dst=1 src0=0 src1=0 src2=0
	v_bfe_i32 v134 /*v390*/, v228, 8, 8
	v_bfe_i32 v135 /*v391*/, v228, 16, 8
	v_ashrrev_i32_e32 v136 /*v392*/, 24, v228
	v_bfe_i32 v53 /*v309*/, v86, 0, 8
	v_bfe_i32 v55 /*v311*/, v86, 16, 8
	v_ashrrev_i32_e32 v56 /*v312*/, 24, v86
	s_set_vgpr_msb 1                        ;  msbs: dst=0 src0=1 src1=0 src2=0
	v_mul_i32_i24_e32 v228, v54 /*v310*/, v119
	s_set_vgpr_msb 64                       ;  msbs: dst=1 src0=0 src1=0 src2=0
	v_bfe_i32 v42 /*v298*/, v89, 8, 8
	v_bfe_i32 v43 /*v299*/, v89, 16, 8
	v_dual_ashrrev_i32 v44 /*v300*/, 24, v89 :: v_dual_ashrrev_i32 v39 /*v295*/, 24, v227
	v_bfe_i32 v22 /*v278*/, v229, 0, 8
	v_bfe_i32 v23 /*v279*/, v229, 8, 8
	;; [unrolled: 1-line block ×3, first 2 shown]
	v_dual_ashrrev_i32 v25 /*v281*/, 24, v229 :: v_dual_ashrrev_i32 v139 /*v395*/, 24, v87
	s_set_vgpr_msb 0                        ;  msbs: dst=0 src0=0 src1=0 src2=0
	v_bfe_i32 v244, v87, 0, 8
	s_set_vgpr_msb 64                       ;  msbs: dst=1 src0=0 src1=0 src2=0
	v_bfe_i32 v137 /*v393*/, v87, 8, 8
	v_bfe_i32 v138 /*v394*/, v87, 16, 8
	s_set_vgpr_msb 0                        ;  msbs: dst=0 src0=0 src1=0 src2=0
	v_pk_mul_f16 v88, v105, v85
	v_mul_i32_i24_e32 v86, v232, v248
	s_set_vgpr_msb 4                        ;  msbs: dst=0 src0=0 src1=1 src2=0
	v_mul_i32_i24_e32 v87, v231, v58 /*v314*/
	s_set_vgpr_msb 0                        ;  msbs: dst=0 src0=0 src1=0 src2=0
	v_mad_i32_i24 v89, v230, v247, v233
	s_set_vgpr_msb 1                        ;  msbs: dst=0 src0=1 src1=0 src2=0
	v_mul_i32_i24_e32 v229, v55 /*v311*/, v116
	v_mul_i32_i24_e32 v233, v56 /*v312*/, v120
	v_mad_i32_i24 v228, v53 /*v309*/, v115, v228
	v_and_b32_e32 v221, 15, v245
	s_set_vgpr_msb 64                       ;  msbs: dst=1 src0=0 src1=0 src2=0
	v_ashrrev_i32_e32 v48 /*v304*/, 24, v226
	v_add3_u32 v57 /*v313*/, v89, v86, v87
	s_set_vgpr_msb 0                        ;  msbs: dst=0 src0=0 src1=0 src2=0
	v_cvt_f32_f16_e32 v87, v88
	v_lshrrev_b32_e32 v88, 16, v88
	s_set_vgpr_msb 1                        ;  msbs: dst=0 src0=1 src1=0 src2=0
	v_mul_i32_i24_e32 v235, v50 /*v306*/, v122
	s_set_vgpr_msb 0x41                     ;  msbs: dst=1 src0=1 src1=0 src2=0
	v_mul_i32_i24_e32 v141 /*v397*/, v52 /*v308*/, v124
	s_set_vgpr_msb 0                        ;  msbs: dst=0 src0=0 src1=0 src2=0
	v_add3_u32 v228, v228, v229, v233
	s_set_vgpr_msb 64                       ;  msbs: dst=1 src0=0 src1=0 src2=0
	v_bfe_i32 v45 /*v301*/, v226, 0, 8
	s_set_vgpr_msb 0                        ;  msbs: dst=0 src0=0 src1=0 src2=0
	v_cvt_f32_f16_e64 v86, v234
	v_cvt_f32_f16_e32 v89, v88
	v_lshrrev_b32_e32 v88, 16, v234
	s_set_vgpr_msb 1                        ;  msbs: dst=0 src0=1 src1=0 src2=0
	v_mul_i32_i24_e32 v234, v49 /*v305*/, v121
	s_set_vgpr_msb 0x41                     ;  msbs: dst=1 src0=1 src1=0 src2=0
	v_mul_i32_i24_e32 v140 /*v396*/, v51 /*v307*/, v123
	s_set_vgpr_msb 4                        ;  msbs: dst=0 src0=0 src1=1 src2=0
	v_add3_u32 v228, v228, v141 /*v397*/, v235
	s_set_vgpr_msb 0x41                     ;  msbs: dst=1 src0=1 src1=0 src2=0
	v_mul_i32_i24_e32 v142 /*v398*/, v45 /*v301*/, v125
	v_mul_i32_i24_e32 v145 /*v401*/, v48 /*v304*/, v127
	s_set_vgpr_msb 16                       ;  msbs: dst=0 src0=0 src1=0 src2=1
	v_bfe_u32 v233, v90, 8, 4
	v_bfe_u32 v235, v90, 16, 4
	v_add3_u32 v228, v228, v234, v140 /*v396*/
	v_bfe_u32 v234, v90, 24, 4
	s_set_vgpr_msb 64                       ;  msbs: dst=1 src0=0 src1=0 src2=0
	v_bfe_i32 v46 /*v302*/, v226, 8, 8
	s_set_vgpr_msb 0                        ;  msbs: dst=0 src0=0 src1=0 src2=0
	v_mad_i32_i24 v236, v233, v247, v236
	v_mul_i32_i24_e32 v90, v235, v248
	s_set_vgpr_msb 20                       ;  msbs: dst=0 src0=0 src1=1 src2=1
	v_add3_u32 v228, v228, v145 /*v401*/, v142 /*v398*/
	s_set_vgpr_msb 0x44                     ;  msbs: dst=1 src0=0 src1=1 src2=0
	v_mul_i32_i24_e32 v142 /*v398*/, v234, v58 /*v314*/
	v_bfe_i32 v47 /*v303*/, v226, 16, 8
	s_set_vgpr_msb 0                        ;  msbs: dst=0 src0=0 src1=0 src2=0
	v_mul_i32_i24_e32 v243, v254, v123
	s_set_vgpr_msb 0x41                     ;  msbs: dst=1 src0=1 src1=0 src2=0
	v_mul_i32_i24_e32 v63 /*v319*/, v18 /*v274*/, v124
	s_set_vgpr_msb 16                       ;  msbs: dst=0 src0=0 src1=0 src2=1
	v_bfe_u32 v128, v92, 8, 4
	v_add3_u32 v90, v236, v90, v142 /*v398*/
	v_bfe_u32 v130, v92, 24, 4
	s_set_vgpr_msb 0x41                     ;  msbs: dst=1 src0=1 src1=0 src2=0
	v_mul_i32_i24_e32 v143 /*v399*/, v46 /*v302*/, v126
	v_mul_i32_i24_e32 v144 /*v400*/, v47 /*v303*/, v117
	s_set_vgpr_msb 64                       ;  msbs: dst=1 src0=0 src1=0 src2=0
	v_mul_i32_i24_e32 v66 /*v322*/, v255, v125
	s_set_vgpr_msb 0                        ;  msbs: dst=0 src0=0 src1=0 src2=0
	v_add3_u32 v90, v90, v238, v237
	s_set_vgpr_msb 0x41                     ;  msbs: dst=1 src0=1 src1=0 src2=0
	v_mul_i32_i24_e32 v67 /*v323*/, v0 /*v256*/, v126
	s_set_vgpr_msb 0                        ;  msbs: dst=0 src0=0 src1=0 src2=0
	v_dual_lshrrev_b32 v134, 28, v92 :: v_dual_bitop2_b32 v129, 15, v92 bitop3:0x40
	v_bfe_u32 v131, v92, 16, 4
	v_add3_u32 v90, v90, v239, v240
	s_set_vgpr_msb 0x41                     ;  msbs: dst=1 src0=1 src1=0 src2=0
	v_mul_i32_i24_e32 v147 /*v403*/, v42 /*v298*/, v128
	v_mul_i32_i24_e32 v149 /*v405*/, v44 /*v300*/, v130
	s_set_vgpr_msb 20                       ;  msbs: dst=0 src0=0 src1=1 src2=1
	v_add3_u32 v228, v228, v143 /*v399*/, v144 /*v400*/
	s_set_vgpr_msb 0x41                     ;  msbs: dst=1 src0=1 src1=0 src2=0
	v_mul_i32_i24_e32 v68 /*v324*/, v1 /*v257*/, v117
	s_set_vgpr_msb 0                        ;  msbs: dst=0 src0=0 src1=0 src2=0
	v_add3_u32 v90, v90, v242, v241
	s_set_vgpr_msb 0x41                     ;  msbs: dst=1 src0=1 src1=0 src2=0
	v_mul_i32_i24_e32 v69 /*v325*/, v16 /*v272*/, v127
	s_set_vgpr_msb 0                        ;  msbs: dst=0 src0=0 src1=0 src2=0
	v_bfe_u32 v132, v92, 4, 4
	s_set_vgpr_msb 64                       ;  msbs: dst=1 src0=0 src1=0 src2=0
	v_bfe_i32 v36 /*v292*/, v227, 0, 8
	s_set_vgpr_msb 0x41                     ;  msbs: dst=1 src0=1 src1=0 src2=0
	v_mul_i32_i24_e32 v146 /*v402*/, v41 /*v297*/, v129
	s_set_vgpr_msb 16                       ;  msbs: dst=0 src0=0 src1=0 src2=1
	v_add3_u32 v90, v90, v243, v63 /*v319*/
	s_set_vgpr_msb 0x41                     ;  msbs: dst=1 src0=1 src1=0 src2=0
	v_mul_i32_i24_e32 v148 /*v404*/, v43 /*v299*/, v131
	s_set_vgpr_msb 20                       ;  msbs: dst=0 src0=0 src1=1 src2=1
	v_add3_u32 v228, v228, v149 /*v405*/, v147 /*v403*/
	s_set_vgpr_msb 0x41                     ;  msbs: dst=1 src0=1 src1=0 src2=0
	v_mul_i32_i24_e32 v70 /*v326*/, v2 /*v258*/, v129
	v_mul_i32_i24_e32 v71 /*v327*/, v3 /*v259*/, v128
	s_set_vgpr_msb 20                       ;  msbs: dst=0 src0=0 src1=1 src2=1
	v_add3_u32 v90, v90, v66 /*v322*/, v67 /*v323*/
	v_bfe_u32 v133, v92, 12, 4
	v_bfe_u32 v92, v92, 20, 4
	s_set_vgpr_msb 64                       ;  msbs: dst=1 src0=0 src1=0 src2=0
	v_bfe_i32 v37 /*v293*/, v227, 8, 8
	v_bfe_i32 v38 /*v294*/, v227, 16, 8
	s_set_vgpr_msb 0x41                     ;  msbs: dst=1 src0=1 src1=0 src2=0
	v_mul_i32_i24_e32 v150 /*v406*/, v36 /*v292*/, v132
	v_mul_i32_i24_e32 v153 /*v409*/, v39 /*v295*/, v134
	s_set_vgpr_msb 20                       ;  msbs: dst=0 src0=0 src1=1 src2=1
	v_add3_u32 v228, v228, v146 /*v402*/, v148 /*v404*/
	v_add3_u32 v90, v90, v68 /*v324*/, v69 /*v325*/
	s_set_vgpr_msb 0x41                     ;  msbs: dst=1 src0=1 src1=0 src2=0
	v_mul_i32_i24_e32 v72 /*v328*/, v14 /*v270*/, v130
	v_mul_i32_i24_e32 v73 /*v329*/, v13 /*v269*/, v131
	s_set_vgpr_msb 0                        ;  msbs: dst=0 src0=0 src1=0 src2=0
	v_bfe_u32 v135, v93, 8, 4
	v_bfe_u32 v138, v93, 24, 4
	s_set_vgpr_msb 0x41                     ;  msbs: dst=1 src0=1 src1=0 src2=0
	v_mul_i32_i24_e32 v151 /*v407*/, v37 /*v293*/, v133
	v_mul_i32_i24_e32 v152 /*v408*/, v38 /*v294*/, v92
	s_set_vgpr_msb 20                       ;  msbs: dst=0 src0=0 src1=1 src2=1
	v_add3_u32 v228, v228, v153 /*v409*/, v150 /*v406*/
	v_add3_u32 v90, v90, v71 /*v327*/, v70 /*v326*/
	s_set_vgpr_msb 0x41                     ;  msbs: dst=1 src0=1 src1=0 src2=0
	v_mul_i32_i24_e32 v74 /*v330*/, v5 /*v261*/, v133
	v_mul_i32_i24_e32 v75 /*v331*/, v4 /*v260*/, v132
	s_set_vgpr_msb 0                        ;  msbs: dst=0 src0=0 src1=0 src2=0
	v_dual_lshrrev_b32 v146, 28, v94 :: v_dual_bitop2_b32 v136, 15, v93 bitop3:0x40
	v_bfe_u32 v137, v93, 16, 4
	s_set_vgpr_msb 0x41                     ;  msbs: dst=1 src0=1 src1=0 src2=0
	v_mul_i32_i24_e32 v155 /*v411*/, v23 /*v279*/, v135
	v_mul_i32_i24_e32 v157 /*v413*/, v25 /*v281*/, v138
	s_set_vgpr_msb 20                       ;  msbs: dst=0 src0=0 src1=1 src2=1
	v_add3_u32 v228, v228, v151 /*v407*/, v152 /*v408*/
	v_add3_u32 v90, v90, v73 /*v329*/, v72 /*v328*/
	s_set_vgpr_msb 0x41                     ;  msbs: dst=1 src0=1 src1=0 src2=0
	v_mul_i32_i24_e32 v76 /*v332*/, v11 /*v267*/, v134
	v_mul_i32_i24_e32 v77 /*v333*/, v6 /*v262*/, v92
	s_set_vgpr_msb 0                        ;  msbs: dst=0 src0=0 src1=0 src2=0
	v_bfe_u32 v139, v93, 4, 4
	s_set_vgpr_msb 0x41                     ;  msbs: dst=1 src0=1 src1=0 src2=0
	v_mul_i32_i24_e32 v154 /*v410*/, v22 /*v278*/, v136
	v_mul_i32_i24_e32 v156 /*v412*/, v24 /*v280*/, v137
	s_set_vgpr_msb 20                       ;  msbs: dst=0 src0=0 src1=1 src2=1
	v_add3_u32 v228, v228, v157 /*v413*/, v155 /*v411*/
	s_set_vgpr_msb 0                        ;  msbs: dst=0 src0=0 src1=0 src2=0
	v_lshrrev_b32_e32 v229, 28, v93
	s_set_vgpr_msb 20                       ;  msbs: dst=0 src0=0 src1=1 src2=1
	v_add3_u32 v90, v90, v75 /*v331*/, v74 /*v330*/
	s_set_vgpr_msb 0x41                     ;  msbs: dst=1 src0=1 src1=0 src2=0
	v_mul_i32_i24_e32 v78 /*v334*/, v7 /*v263*/, v136
	v_mul_i32_i24_e32 v79 /*v335*/, v8 /*v264*/, v135
	s_set_vgpr_msb 64                       ;  msbs: dst=1 src0=0 src1=0 src2=0
	v_mul_i32_i24_e32 v158 /*v414*/, v244, v139
	s_set_vgpr_msb 0x54                     ;  msbs: dst=1 src0=0 src1=1 src2=1
	v_add3_u32 v140 /*v396*/, v228, v154 /*v410*/, v156 /*v412*/
	s_set_vgpr_msb 20                       ;  msbs: dst=0 src0=0 src1=1 src2=1
	v_bfe_u32 v228, v93, 12, 4
	v_bfe_u32 v93, v93, 20, 4
	v_add3_u32 v90, v90, v77 /*v333*/, v76 /*v332*/
	s_set_vgpr_msb 0x41                     ;  msbs: dst=1 src0=1 src1=0 src2=0
	v_mul_i32_i24_e32 v67 /*v323*/, v139 /*v395*/, v229
	v_mul_i32_i24_e32 v80 /*v336*/, v9 /*v265*/, v137
	;; [unrolled: 1-line block ×4, first 2 shown]
	s_set_vgpr_msb 20                       ;  msbs: dst=0 src0=0 src1=1 src2=1
	v_add3_u32 v90, v90, v79 /*v335*/, v78 /*v334*/
	s_set_vgpr_msb 0x41                     ;  msbs: dst=1 src0=1 src1=0 src2=0
	v_mul_i32_i24_e32 v66 /*v322*/, v138 /*v394*/, v93
	s_set_vgpr_msb 0x55                     ;  msbs: dst=1 src0=1 src1=1 src2=1
	v_add3_u32 v67 /*v323*/, v140 /*v396*/, v67 /*v323*/, v158 /*v414*/
	s_set_vgpr_msb 64                       ;  msbs: dst=1 src0=0 src1=0 src2=0
	v_pk_mul_f16 v141 /*v397*/, v114, v85
	s_set_vgpr_msb 1                        ;  msbs: dst=0 src0=1 src1=0 src2=0
	v_mul_i32_i24_e32 v236, v62 /*v318*/, v139
	s_set_vgpr_msb 0                        ;  msbs: dst=0 src0=0 src1=0 src2=0
	v_mul_i32_i24_e32 v237, v84, v118
	s_set_vgpr_msb 1                        ;  msbs: dst=0 src0=1 src1=0 src2=0
	v_mul_i32_i24_e32 v238, v61 /*v317*/, v228
	v_mul_i32_i24_e32 v239, v134 /*v390*/, v233
	s_set_vgpr_msb 20                       ;  msbs: dst=0 src0=0 src1=1 src2=1
	v_add3_u32 v90, v90, v80 /*v336*/, v81 /*v337*/
	s_set_vgpr_msb 0x55                     ;  msbs: dst=1 src0=1 src1=1 src2=1
	v_add3_u32 v63 /*v319*/, v67 /*v323*/, v63 /*v319*/, v66 /*v322*/
	s_set_vgpr_msb 1                        ;  msbs: dst=0 src0=1 src1=0 src2=0
	v_mul_i32_i24_e32 v240, v135 /*v391*/, v235
	v_mul_i32_i24_e32 v241, v60 /*v316*/, v93
	v_mul_i32_i24_e32 v242, v136 /*v392*/, v234
	v_mul_i32_i24_e32 v243, v59 /*v315*/, v229
	v_add3_u32 v237, v63 /*v319*/, v237, v239
	s_set_vgpr_msb 0                        ;  msbs: dst=0 src0=0 src1=0 src2=0
	v_add3_u32 v90, v90, v236, v238
	s_set_vgpr_msb 4                        ;  msbs: dst=0 src0=0 src1=1 src2=0
	v_lshrrev_b32_e32 v238, 16, v141 /*v397*/
	v_bfe_u32 v145, v94, 12, 4
	s_set_vgpr_msb 1                        ;  msbs: dst=0 src0=1 src1=0 src2=0
	v_cvt_f32_f16_e64 v236, v82 /*v338*/
	s_set_vgpr_msb 0                        ;  msbs: dst=0 src0=0 src1=0 src2=0
	v_add3_u32 v240, v237, v240, v242
	v_add3_u32 v90, v90, v241, v243
	v_cvt_f32_f16_e64 v239, v238
	s_set_vgpr_msb 4                        ;  msbs: dst=0 src0=0 src1=1 src2=0
	v_lshrrev_b32_e32 v238, 16, v82 /*v338*/
	s_set_vgpr_msb 1                        ;  msbs: dst=0 src0=1 src1=0 src2=0
	v_cvt_f32_f16_e64 v237, v141 /*v397*/
	s_set_vgpr_msb 0                        ;  msbs: dst=0 src0=0 src1=0 src2=0
	v_cvt_f32_i32_e32 v241, v240
	v_cvt_f32_i32_e32 v240, v90
	v_bfe_u32 v142, v94, 20, 4
	v_cvt_f32_f16_e64 v238, v238
	v_bfe_u32 v141, v94, 4, 4
	s_set_vgpr_msb 1                        ;  msbs: dst=0 src0=1 src1=0 src2=0
	v_mul_i32_i24_e32 v90, v54 /*v310*/, v145
	s_set_vgpr_msb 0                        ;  msbs: dst=0 src0=0 src1=0 src2=0
	v_bfe_u32 v148, v95, 8, 4
	v_bfe_u32 v150, v95, 24, 4
	v_pk_fma_f32 v[236:237], v[236:237], v[240:241], v[238:239]
	v_dual_lshrrev_b32 v192, 28, v96 :: v_dual_bitop2_b32 v147, 15, v95 bitop3:0x40
	s_set_vgpr_msb 1                        ;  msbs: dst=0 src0=1 src1=0 src2=0
	v_mad_i32_i24 v90, v53 /*v309*/, v141, v90
	s_set_vgpr_msb 0                        ;  msbs: dst=0 src0=0 src1=0 src2=0
	v_bfe_u32 v149, v95, 16, 4
	v_pk_add_f32 v[68:69], v[68:69], v[236:237]
	s_set_vgpr_msb 1                        ;  msbs: dst=0 src0=1 src1=0 src2=0
	v_mul_i32_i24_e32 v236, v55 /*v311*/, v142
	v_mul_i32_i24_e32 v237, v56 /*v312*/, v146
	;; [unrolled: 1-line block ×4, first 2 shown]
	v_and_b32_e32 v144, 15, v94
	s_set_vgpr_msb 0                        ;  msbs: dst=0 src0=0 src1=0 src2=0
	v_bfe_u32 v143, v95, 20, 4
	v_add3_u32 v90, v90, v236, v237
	v_bfe_u32 v151, v95, 4, 4
	v_bfe_u32 v152, v95, 12, 4
	v_lshrrev_b32_e32 v95, 28, v95
	s_set_vgpr_msb 1                        ;  msbs: dst=0 src0=1 src1=0 src2=0
	v_mul_i32_i24_e32 v238, v49 /*v305*/, v147
	v_mul_i32_i24_e32 v240, v51 /*v307*/, v149
	s_set_vgpr_msb 0                        ;  msbs: dst=0 src0=0 src1=0 src2=0
	v_add3_u32 v90, v90, v241, v239
	s_set_vgpr_msb 1                        ;  msbs: dst=0 src0=1 src1=0 src2=0
	v_mul_i32_i24_e32 v242, v45 /*v301*/, v151
	s_set_vgpr_msb 0x41                     ;  msbs: dst=1 src0=1 src1=0 src2=0
	v_mul_i32_i24_e32 v66 /*v322*/, v48 /*v304*/, v95
	s_set_vgpr_msb 64                       ;  msbs: dst=1 src0=0 src1=0 src2=0
	v_mul_i32_i24_e32 v83 /*v339*/, v144, v199
	s_set_vgpr_msb 1                        ;  msbs: dst=0 src0=1 src1=0 src2=0
	v_mul_i32_i24_e32 v243, v46 /*v302*/, v152
	s_set_vgpr_msb 0                        ;  msbs: dst=0 src0=0 src1=0 src2=0
	v_add3_u32 v90, v90, v238, v240
	s_set_vgpr_msb 0x41                     ;  msbs: dst=1 src0=1 src1=0 src2=0
	v_mul_i32_i24_e32 v63 /*v319*/, v47 /*v303*/, v143
	s_set_vgpr_msb 4                        ;  msbs: dst=0 src0=0 src1=1 src2=0
	v_bfe_u32 v238, v94, 8, 4
	v_bfe_u32 v239, v94, 24, 4
	;; [unrolled: 1-line block ×3, first 2 shown]
	v_add3_u32 v90, v90, v66 /*v322*/, v242
	s_set_vgpr_msb 64                       ;  msbs: dst=1 src0=0 src1=0 src2=0
	v_mul_i32_i24_e32 v84 /*v340*/, v141, v249
	v_mul_i32_i24_e32 v85 /*v341*/, v145, v250
	s_set_vgpr_msb 4                        ;  msbs: dst=0 src0=0 src1=1 src2=0
	v_mul_i32_i24_e32 v241, v239, v58 /*v314*/
	s_set_vgpr_msb 16                       ;  msbs: dst=0 src0=0 src1=0 src2=1
	v_mul_i32_i24_e32 v240, v94, v248
	v_add3_u32 v90, v90, v243, v63 /*v319*/
	v_mad_i32_i24 v243, v238, v247, v83 /*v339*/
	s_set_vgpr_msb 64                       ;  msbs: dst=1 src0=0 src1=0 src2=0
	v_mul_i32_i24_e32 v86 /*v342*/, v142, v251
	s_set_vgpr_msb 0x44                     ;  msbs: dst=1 src0=0 src1=1 src2=0
	v_mul_i32_i24_e32 v87 /*v343*/, v146, v19 /*v275*/
	s_set_vgpr_msb 64                       ;  msbs: dst=1 src0=0 src1=0 src2=0
	v_mul_i32_i24_e32 v88 /*v344*/, v252, v147
	v_mul_i32_i24_e32 v89 /*v345*/, v253, v148
	s_set_vgpr_msb 0                        ;  msbs: dst=0 src0=0 src1=0 src2=0
	v_add3_u32 v240, v243, v240, v241
	s_set_vgpr_msb 64                       ;  msbs: dst=1 src0=0 src1=0 src2=0
	v_mul_i32_i24_e32 v90 /*v346*/, v254, v149
	s_set_vgpr_msb 0x41                     ;  msbs: dst=1 src0=1 src1=0 src2=0
	v_mul_i32_i24_e32 v91 /*v347*/, v18 /*v274*/, v150
	s_set_vgpr_msb 20                       ;  msbs: dst=0 src0=0 src1=1 src2=1
	v_bfe_u32 v153, v96, 8, 4
	v_bfe_u32 v188, v96, 24, 4
	v_add3_u32 v240, v240, v85 /*v341*/, v84 /*v340*/
	s_set_vgpr_msb 64                       ;  msbs: dst=1 src0=0 src1=0 src2=0
	v_mul_i32_i24_e32 v92 /*v348*/, v255, v151
	s_set_vgpr_msb 0x41                     ;  msbs: dst=1 src0=1 src1=0 src2=0
	v_mul_i32_i24_e32 v93 /*v349*/, v0 /*v256*/, v152
	s_set_vgpr_msb 0                        ;  msbs: dst=0 src0=0 src1=0 src2=0
	v_dual_lshrrev_b32 v226, 28, v81 :: v_dual_bitop2_b32 v187, 15, v96 bitop3:0x40
	s_set_vgpr_msb 20                       ;  msbs: dst=0 src0=0 src1=1 src2=1
	v_add3_u32 v240, v240, v86 /*v342*/, v87 /*v343*/
	v_bfe_u32 v189, v96, 16, 4
	s_set_vgpr_msb 0x41                     ;  msbs: dst=1 src0=1 src1=0 src2=0
	v_mul_i32_i24_e32 v68 /*v324*/, v42 /*v298*/, v153
	v_mul_i32_i24_e32 v70 /*v326*/, v44 /*v300*/, v188
	;; [unrolled: 1-line block ×3, first 2 shown]
	s_set_vgpr_msb 20                       ;  msbs: dst=0 src0=0 src1=1 src2=1
	v_add3_u32 v240, v240, v89 /*v345*/, v88 /*v344*/
	s_set_vgpr_msb 0x41                     ;  msbs: dst=1 src0=1 src1=0 src2=0
	v_mul_i32_i24_e32 v95 /*v351*/, v16 /*v272*/, v95
	s_set_vgpr_msb 0                        ;  msbs: dst=0 src0=0 src1=0 src2=0
	v_bfe_u32 v190, v96, 4, 4
	s_set_vgpr_msb 0x41                     ;  msbs: dst=1 src0=1 src1=0 src2=0
	v_mul_i32_i24_e32 v67 /*v323*/, v41 /*v297*/, v187
	v_mul_i32_i24_e32 v69 /*v325*/, v43 /*v299*/, v189
	s_set_vgpr_msb 20                       ;  msbs: dst=0 src0=0 src1=1 src2=1
	v_add3_u32 v240, v240, v90 /*v346*/, v91 /*v347*/
	v_add3_u32 v90, v90, v70 /*v326*/, v68 /*v324*/
	s_set_vgpr_msb 0x41                     ;  msbs: dst=1 src0=1 src1=0 src2=0
	v_mul_i32_i24_e32 v96 /*v352*/, v2 /*v258*/, v187
	v_mul_i32_i24_e32 v97 /*v353*/, v3 /*v259*/, v153
	s_set_vgpr_msb 20                       ;  msbs: dst=0 src0=0 src1=1 src2=1
	v_bfe_u32 v191, v96, 12, 4
	v_add3_u32 v240, v240, v92 /*v348*/, v93 /*v349*/
	v_bfe_u32 v96, v96, 20, 4
	s_set_vgpr_msb 0x41                     ;  msbs: dst=1 src0=1 src1=0 src2=0
	v_mul_i32_i24_e32 v71 /*v327*/, v36 /*v292*/, v190
	v_mul_i32_i24_e32 v74 /*v330*/, v39 /*v295*/, v192
	s_set_vgpr_msb 20                       ;  msbs: dst=0 src0=0 src1=1 src2=1
	v_add3_u32 v90, v90, v67 /*v323*/, v69 /*v325*/
	v_add3_u32 v240, v240, v94 /*v350*/, v95 /*v351*/
	s_set_vgpr_msb 0x41                     ;  msbs: dst=1 src0=1 src1=0 src2=0
	v_mul_i32_i24_e32 v98 /*v354*/, v14 /*v270*/, v188
	v_mul_i32_i24_e32 v99 /*v355*/, v13 /*v269*/, v189
	s_set_vgpr_msb 0                        ;  msbs: dst=0 src0=0 src1=0 src2=0
	v_bfe_u32 v193, v97, 8, 4
	v_bfe_u32 v196, v97, 24, 4
	s_set_vgpr_msb 0x41                     ;  msbs: dst=1 src0=1 src1=0 src2=0
	v_mul_i32_i24_e32 v72 /*v328*/, v37 /*v293*/, v191
	v_mul_i32_i24_e32 v73 /*v329*/, v38 /*v294*/, v96
	s_set_vgpr_msb 20                       ;  msbs: dst=0 src0=0 src1=1 src2=1
	v_add3_u32 v90, v90, v74 /*v330*/, v71 /*v327*/
	v_add3_u32 v240, v240, v97 /*v353*/, v96 /*v352*/
	s_set_vgpr_msb 0x41                     ;  msbs: dst=1 src0=1 src1=0 src2=0
	v_mul_i32_i24_e32 v100 /*v356*/, v5 /*v261*/, v191
	v_mul_i32_i24_e32 v101 /*v357*/, v4 /*v260*/, v190
	s_set_vgpr_msb 0                        ;  msbs: dst=0 src0=0 src1=0 src2=0
	v_bfe_u32 v195, v97, 16, 4
	s_set_vgpr_msb 0x41                     ;  msbs: dst=1 src0=1 src1=0 src2=0
	v_mul_i32_i24_e32 v76 /*v332*/, v23 /*v279*/, v193
	v_mul_i32_i24_e32 v78 /*v334*/, v25 /*v281*/, v196
	s_set_vgpr_msb 20                       ;  msbs: dst=0 src0=0 src1=1 src2=1
	v_add3_u32 v90, v90, v72 /*v328*/, v73 /*v329*/
	v_add3_u32 v240, v240, v99 /*v355*/, v98 /*v354*/
	s_set_vgpr_msb 0x41                     ;  msbs: dst=1 src0=1 src1=0 src2=0
	v_mul_i32_i24_e32 v102 /*v358*/, v11 /*v267*/, v192
	v_mul_i32_i24_e32 v103 /*v359*/, v6 /*v262*/, v96
	s_set_vgpr_msb 0                        ;  msbs: dst=0 src0=0 src1=0 src2=0
	v_bfe_u32 v197, v97, 4, 4
	s_set_vgpr_msb 0x41                     ;  msbs: dst=1 src0=1 src1=0 src2=0
	v_mul_i32_i24_e32 v75 /*v331*/, v22 /*v278*/, v194
	v_mul_i32_i24_e32 v77 /*v333*/, v24 /*v280*/, v195
	s_set_vgpr_msb 20                       ;  msbs: dst=0 src0=0 src1=1 src2=1
	v_add3_u32 v90, v90, v78 /*v334*/, v76 /*v332*/
	s_set_vgpr_msb 0                        ;  msbs: dst=0 src0=0 src1=0 src2=0
	v_lshrrev_b32_e32 v237, 28, v97
	s_set_vgpr_msb 20                       ;  msbs: dst=0 src0=0 src1=1 src2=1
	v_add3_u32 v240, v240, v101 /*v357*/, v100 /*v356*/
	s_set_vgpr_msb 0x41                     ;  msbs: dst=1 src0=1 src1=0 src2=0
	v_mul_i32_i24_e32 v104 /*v360*/, v7 /*v263*/, v194
	v_mul_i32_i24_e32 v105 /*v361*/, v8 /*v264*/, v193
	s_set_vgpr_msb 64                       ;  msbs: dst=1 src0=0 src1=0 src2=0
	v_mul_i32_i24_e32 v79 /*v335*/, v244, v197
	s_set_vgpr_msb 20                       ;  msbs: dst=0 src0=0 src1=1 src2=1
	v_add3_u32 v90, v90, v75 /*v331*/, v77 /*v333*/
	v_bfe_u32 v236, v97, 12, 4
	v_bfe_u32 v97, v97, 20, 4
	v_add3_u32 v240, v240, v103 /*v359*/, v102 /*v358*/
	s_set_vgpr_msb 0x41                     ;  msbs: dst=1 src0=1 src1=0 src2=0
	v_mul_i32_i24_e32 v73 /*v329*/, v139 /*v395*/, v237
	v_mul_i32_i24_e32 v106 /*v362*/, v9 /*v265*/, v195
	;; [unrolled: 1-line block ×4, first 2 shown]
	s_set_vgpr_msb 20                       ;  msbs: dst=0 src0=0 src1=1 src2=1
	v_add3_u32 v240, v240, v105 /*v361*/, v104 /*v360*/
	s_set_vgpr_msb 0x41                     ;  msbs: dst=1 src0=1 src1=0 src2=0
	v_mul_i32_i24_e32 v72 /*v328*/, v138 /*v394*/, v97
	s_set_vgpr_msb 20                       ;  msbs: dst=0 src0=0 src1=1 src2=1
	v_add3_u32 v90, v90, v73 /*v329*/, v79 /*v335*/
	s_set_vgpr_msb 0                        ;  msbs: dst=0 src0=0 src1=0 src2=0
	v_pk_mul_f16 v242, v140, v85
	s_set_vgpr_msb 1                        ;  msbs: dst=0 src0=1 src1=0 src2=0
	v_mul_i32_i24_e32 v241, v62 /*v318*/, v197
	s_set_vgpr_msb 0                        ;  msbs: dst=0 src0=0 src1=0 src2=0
	v_mul_i32_i24_e32 v243, v84, v144
	s_set_vgpr_msb 0x41                     ;  msbs: dst=1 src0=1 src1=0 src2=0
	v_mul_i32_i24_e32 v63 /*v319*/, v61 /*v317*/, v236
	v_mul_i32_i24_e32 v66 /*v322*/, v134 /*v390*/, v238
	s_set_vgpr_msb 20                       ;  msbs: dst=0 src0=0 src1=1 src2=1
	v_add3_u32 v240, v240, v106 /*v362*/, v107 /*v363*/
	v_add3_u32 v90, v90, v71 /*v327*/, v72 /*v328*/
	s_set_vgpr_msb 0x41                     ;  msbs: dst=1 src0=1 src1=0 src2=0
	v_mul_i32_i24_e32 v67 /*v323*/, v135 /*v391*/, v94
	v_mul_i32_i24_e32 v68 /*v324*/, v60 /*v316*/, v97
	;; [unrolled: 1-line block ×4, first 2 shown]
	s_set_vgpr_msb 16                       ;  msbs: dst=0 src0=0 src1=0 src2=1
	v_add3_u32 v90, v90, v243, v66 /*v322*/
	v_add3_u32 v240, v240, v241, v63 /*v319*/
	v_cvt_f32_f16_e64 v241, v242
	v_lshrrev_b32_e32 v242, 16, v242
	s_set_vgpr_msb 4                        ;  msbs: dst=0 src0=0 src1=1 src2=0
	v_dual_lshrrev_b32 v204, 28, v64 /*v320*/ :: v_dual_bitop2_b32 v202, 15, v64 /*v320*/ bitop3:0x40
	s_set_vgpr_msb 0x54                     ;  msbs: dst=1 src0=0 src1=1 src2=1
	v_add3_u32 v63 /*v319*/, v240, v68 /*v324*/, v70 /*v326*/
	s_set_vgpr_msb 20                       ;  msbs: dst=0 src0=0 src1=1 src2=1
	v_add3_u32 v90, v90, v67 /*v323*/, v69 /*v325*/
	v_cvt_f32_f16_e64 v243, v242
	v_lshrrev_b32_e32 v242, 16, v108 /*v364*/
	s_set_vgpr_msb 1                        ;  msbs: dst=0 src0=1 src1=0 src2=0
	v_bfe_u32 v203, v64 /*v320*/, 12, 4
	v_cvt_f32_f16_e64 v240, v108 /*v364*/
	s_set_vgpr_msb 64                       ;  msbs: dst=1 src0=0 src1=0 src2=0
	v_cvt_f32_i32_e32 v67 /*v323*/, v90
	s_set_vgpr_msb 0x41                     ;  msbs: dst=1 src0=1 src1=0 src2=0
	v_cvt_f32_i32_e32 v66 /*v322*/, v63 /*v319*/
	s_set_vgpr_msb 0                        ;  msbs: dst=0 src0=0 src1=0 src2=0
	v_cvt_f32_f16_e64 v242, v242
	s_set_vgpr_msb 1                        ;  msbs: dst=0 src0=1 src1=0 src2=0
	v_bfe_u32 v200, v64 /*v320*/, 20, 4
	s_set_vgpr_msb 64                       ;  msbs: dst=1 src0=0 src1=0 src2=0
	v_mul_i32_i24_e32 v109 /*v365*/, v202, v199
	s_set_vgpr_msb 1                        ;  msbs: dst=0 src0=1 src1=0 src2=0
	v_bfe_u32 v199, v64 /*v320*/, 4, 4
	v_mul_i32_i24_e32 v90, v54 /*v310*/, v203
	s_set_vgpr_msb 4                        ;  msbs: dst=0 src0=0 src1=1 src2=0
	v_pk_fma_f32 v[240:241], v[240:241], v[66:67] /*v[322:323]*/, v[242:243]
	s_set_vgpr_msb 1                        ;  msbs: dst=0 src0=1 src1=0 src2=0
	v_bfe_u32 v206, v65 /*v321*/, 8, 4
	v_bfe_u32 v208, v65 /*v321*/, 24, 4
	s_set_vgpr_msb 4                        ;  msbs: dst=0 src0=0 src1=1 src2=0
	v_dual_lshrrev_b32 v211, 28, v65 /*v321*/ :: v_dual_bitop2_b32 v205, 15, v65 /*v321*/ bitop3:0x40
	s_set_vgpr_msb 0                        ;  msbs: dst=0 src0=0 src1=0 src2=0
	v_pk_add_f32 v[70:71], v[70:71], v[240:241]
	s_set_vgpr_msb 1                        ;  msbs: dst=0 src0=1 src1=0 src2=0
	v_mul_i32_i24_e32 v240, v55 /*v311*/, v200
	v_mul_i32_i24_e32 v241, v56 /*v312*/, v204
	v_mad_i32_i24 v90, v53 /*v309*/, v199, v90
	v_bfe_u32 v207, v65 /*v321*/, 16, 4
	v_mul_i32_i24_e32 v243, v50 /*v306*/, v206
	s_set_vgpr_msb 0x41                     ;  msbs: dst=1 src0=1 src1=0 src2=0
	v_mul_i32_i24_e32 v66 /*v322*/, v52 /*v308*/, v208
	s_set_vgpr_msb 0                        ;  msbs: dst=0 src0=0 src1=0 src2=0
	v_bfe_u32 v224, v245, 4, 4
	v_add3_u32 v90, v90, v240, v241
	s_set_vgpr_msb 1                        ;  msbs: dst=0 src0=1 src1=0 src2=0
	v_mul_i32_i24_e32 v242, v49 /*v305*/, v205
	s_set_vgpr_msb 0x41                     ;  msbs: dst=1 src0=1 src1=0 src2=0
	v_mul_i32_i24_e32 v63 /*v319*/, v51 /*v307*/, v207
	s_set_vgpr_msb 4                        ;  msbs: dst=0 src0=0 src1=1 src2=0
	v_bfe_u32 v220, v245, 8, 4
	v_bfe_u32 v222, v245, 16, 4
	v_add3_u32 v90, v90, v66 /*v322*/, v243
	v_bfe_u32 v223, v245, 24, 4
	s_set_vgpr_msb 0                        ;  msbs: dst=0 src0=0 src1=0 src2=0
	v_mul_i32_i24_e32 v91, v244, v110
	s_set_vgpr_msb 64                       ;  msbs: dst=1 src0=0 src1=0 src2=0
	v_mul_i32_i24_e32 v83 /*v339*/, v244, v224
	s_set_vgpr_msb 16                       ;  msbs: dst=0 src0=0 src1=0 src2=1
	v_bfe_u32 v240, v245, 12, 4
	v_add3_u32 v90, v90, v242, v63 /*v319*/
	s_set_vgpr_msb 1                        ;  msbs: dst=0 src0=1 src1=0 src2=0
	v_bfe_u32 v243, v64 /*v320*/, 8, 4
	v_lshrrev_b32_e32 v241, 28, v245
	v_bfe_u32 v244, v64 /*v320*/, 24, 4
	s_set_vgpr_msb 0                        ;  msbs: dst=0 src0=0 src1=0 src2=0
	v_bfe_u32 v242, v245, 20, 4
	s_set_vgpr_msb 1                        ;  msbs: dst=0 src0=1 src1=0 src2=0
	v_bfe_u32 v245, v64 /*v320*/, 16, 4
	s_set_vgpr_msb 64                       ;  msbs: dst=1 src0=0 src1=0 src2=0
	v_pk_mul_f16 v63 /*v319*/, v198, v85
	s_set_vgpr_msb 16                       ;  msbs: dst=0 src0=0 src1=0 src2=1
	v_mad_i32_i24 v247, v243, v247, v109 /*v365*/
	s_set_vgpr_msb 64                       ;  msbs: dst=1 src0=0 src1=0 src2=0
	v_mul_i32_i24_e32 v110 /*v366*/, v199, v249
	v_mul_i32_i24_e32 v111 /*v367*/, v203, v250
	s_set_vgpr_msb 0                        ;  msbs: dst=0 src0=0 src1=0 src2=0
	v_mul_i32_i24_e32 v85, v245, v248
	s_set_vgpr_msb 4                        ;  msbs: dst=0 src0=0 src1=1 src2=0
	v_mul_i32_i24_e32 v248, v244, v58 /*v314*/
	s_set_vgpr_msb 64                       ;  msbs: dst=1 src0=0 src1=0 src2=0
	v_mul_i32_i24_e32 v112 /*v368*/, v200, v251
	s_set_vgpr_msb 0x44                     ;  msbs: dst=1 src0=0 src1=1 src2=0
	v_mul_i32_i24_e32 v113 /*v369*/, v204, v19 /*v275*/
	s_set_vgpr_msb 1                        ;  msbs: dst=0 src0=1 src1=0 src2=0
	v_bfe_u32 v209, v65 /*v321*/, 4, 4
	v_bfe_u32 v201, v65 /*v321*/, 20, 4
	s_set_vgpr_msb 0                        ;  msbs: dst=0 src0=0 src1=0 src2=0
	v_add3_u32 v85, v247, v85, v248
	s_set_vgpr_msb 64                       ;  msbs: dst=1 src0=0 src1=0 src2=0
	v_mul_i32_i24_e32 v114 /*v370*/, v252, v205
	v_mul_i32_i24_e32 v115 /*v371*/, v253, v206
	s_set_vgpr_msb 1                        ;  msbs: dst=0 src0=1 src1=0 src2=0
	v_bfe_u32 v210, v65 /*v321*/, 12, 4
	s_set_vgpr_msb 0x41                     ;  msbs: dst=1 src0=1 src1=0 src2=0
	v_mul_i32_i24_e32 v67 /*v323*/, v45 /*v301*/, v209
	s_set_vgpr_msb 20                       ;  msbs: dst=0 src0=0 src1=1 src2=1
	v_add3_u32 v85, v85, v111 /*v367*/, v110 /*v366*/
	s_set_vgpr_msb 0x41                     ;  msbs: dst=1 src0=1 src1=0 src2=0
	v_mul_i32_i24_e32 v70 /*v326*/, v48 /*v304*/, v211
	s_set_vgpr_msb 64                       ;  msbs: dst=1 src0=0 src1=0 src2=0
	v_mul_i32_i24_e32 v116 /*v372*/, v254, v207
	s_set_vgpr_msb 0x41                     ;  msbs: dst=1 src0=1 src1=0 src2=0
	v_mul_i32_i24_e32 v117 /*v373*/, v18 /*v274*/, v208
	v_mul_i32_i24_e32 v68 /*v324*/, v46 /*v302*/, v210
	s_set_vgpr_msb 20                       ;  msbs: dst=0 src0=0 src1=1 src2=1
	v_add3_u32 v85, v85, v112 /*v368*/, v113 /*v369*/
	s_set_vgpr_msb 0x41                     ;  msbs: dst=1 src0=1 src1=0 src2=0
	v_mul_i32_i24_e32 v69 /*v325*/, v47 /*v303*/, v201
	s_set_vgpr_msb 20                       ;  msbs: dst=0 src0=0 src1=1 src2=1
	v_add3_u32 v90, v90, v70 /*v326*/, v67 /*v323*/
	s_set_vgpr_msb 64                       ;  msbs: dst=1 src0=0 src1=0 src2=0
	v_mul_i32_i24_e32 v118 /*v374*/, v255, v209
	s_set_vgpr_msb 0x41                     ;  msbs: dst=1 src0=1 src1=0 src2=0
	v_mul_i32_i24_e32 v119 /*v375*/, v0 /*v256*/, v210
	s_set_vgpr_msb 20                       ;  msbs: dst=0 src0=0 src1=1 src2=1
	v_add3_u32 v85, v85, v115 /*v371*/, v114 /*v370*/
	s_set_vgpr_msb 0x41                     ;  msbs: dst=1 src0=1 src1=0 src2=0
	v_mul_i32_i24_e32 v72 /*v328*/, v42 /*v298*/, v212
	v_mul_i32_i24_e32 v74 /*v330*/, v44 /*v300*/, v214
	s_set_vgpr_msb 20                       ;  msbs: dst=0 src0=0 src1=1 src2=1
	v_add3_u32 v90, v90, v68 /*v324*/, v69 /*v325*/
	s_set_vgpr_msb 0x41                     ;  msbs: dst=1 src0=1 src1=0 src2=0
	v_mul_i32_i24_e32 v120 /*v376*/, v1 /*v257*/, v201
	s_set_vgpr_msb 20                       ;  msbs: dst=0 src0=0 src1=1 src2=1
	v_add3_u32 v85, v85, v116 /*v372*/, v117 /*v373*/
	s_set_vgpr_msb 0x41                     ;  msbs: dst=1 src0=1 src1=0 src2=0
	v_mul_i32_i24_e32 v65 /*v321*/, v16 /*v272*/, v211
	v_mul_i32_i24_e32 v71 /*v327*/, v41 /*v297*/, v213
	v_mul_i32_i24_e32 v73 /*v329*/, v43 /*v299*/, v215
	s_set_vgpr_msb 20                       ;  msbs: dst=0 src0=0 src1=1 src2=1
	v_add3_u32 v90, v90, v74 /*v330*/, v72 /*v328*/
	v_add3_u32 v85, v85, v118 /*v374*/, v119 /*v375*/
	s_set_vgpr_msb 0x41                     ;  msbs: dst=1 src0=1 src1=0 src2=0
	v_mul_i32_i24_e32 v121 /*v377*/, v2 /*v258*/, v213
	v_mul_i32_i24_e32 v122 /*v378*/, v3 /*v259*/, v212
	v_mul_i32_i24_e32 v75 /*v331*/, v36 /*v292*/, v216
	v_mul_i32_i24_e32 v78 /*v334*/, v39 /*v295*/, v218
	s_set_vgpr_msb 20                       ;  msbs: dst=0 src0=0 src1=1 src2=1
	v_add3_u32 v90, v90, v71 /*v327*/, v73 /*v329*/
	v_add3_u32 v85, v85, v120 /*v376*/, v65 /*v321*/
	s_set_vgpr_msb 0x41                     ;  msbs: dst=1 src0=1 src1=0 src2=0
	v_mul_i32_i24_e32 v123 /*v379*/, v14 /*v270*/, v214
	;; [unrolled: 8-line block ×5, first 2 shown]
	v_mul_i32_i24_e32 v130 /*v386*/, v8 /*v264*/, v220
	v_mul_i32_i24_e32 v66 /*v322*/, v139 /*v395*/, v241
	s_set_vgpr_msb 20                       ;  msbs: dst=0 src0=0 src1=1 src2=1
	v_add3_u32 v90, v90, v79 /*v335*/, v81 /*v337*/
	v_add3_u32 v85, v85, v128 /*v384*/, v127 /*v383*/
	s_set_vgpr_msb 0x41                     ;  msbs: dst=1 src0=1 src1=0 src2=0
	v_mul_i32_i24_e32 v131 /*v387*/, v9 /*v265*/, v222
	v_mul_i32_i24_e32 v132 /*v388*/, v10 /*v266*/, v223
	;; [unrolled: 1-line block ×4, first 2 shown]
	s_set_vgpr_msb 20                       ;  msbs: dst=0 src0=0 src1=1 src2=1
	v_add3_u32 v85, v85, v130 /*v386*/, v129 /*v385*/
	v_add3_u32 v90, v90, v66 /*v322*/, v83 /*v339*/
	v_bfe_u32 v227, v81, 20, 4
	s_set_vgpr_msb 64                       ;  msbs: dst=1 src0=0 src1=0 src2=0
	v_mul_i32_i24_e32 v26 /*v282*/, v84, v113
	s_set_vgpr_msb 1                        ;  msbs: dst=0 src0=1 src1=0 src2=0
	v_mul_i32_i24_e32 v247, v62 /*v318*/, v224
	s_set_vgpr_msb 0                        ;  msbs: dst=0 src0=0 src1=0 src2=0
	v_mul_i32_i24_e32 v84, v84, v202
	s_set_vgpr_msb 1                        ;  msbs: dst=0 src0=1 src1=0 src2=0
	v_mul_i32_i24_e32 v248, v61 /*v317*/, v240
	s_set_vgpr_msb 0x41                     ;  msbs: dst=1 src0=1 src1=0 src2=0
	v_mul_i32_i24_e32 v58 /*v314*/, v134 /*v390*/, v243
	s_set_vgpr_msb 20                       ;  msbs: dst=0 src0=0 src1=1 src2=1
	v_add3_u32 v85, v85, v131 /*v387*/, v132 /*v388*/
	v_add3_u32 v90, v90, v64 /*v320*/, v65 /*v321*/
	s_set_vgpr_msb 0x41                     ;  msbs: dst=1 src0=1 src1=0 src2=0
	v_mul_i32_i24_e32 v29 /*v285*/, v60 /*v316*/, v227
	v_mul_i32_i24_e32 v32 /*v288*/, v59 /*v315*/, v226
	;; [unrolled: 1-line block ×6, first 2 shown]
	s_set_vgpr_msb 16                       ;  msbs: dst=0 src0=0 src1=0 src2=1
	v_add3_u32 v84, v90, v84, v58 /*v314*/
	s_set_vgpr_msb 0                        ;  msbs: dst=0 src0=0 src1=0 src2=0
	v_add3_u32 v85, v85, v247, v248
	s_set_vgpr_msb 4                        ;  msbs: dst=0 src0=0 src1=1 src2=0
	v_lshrrev_b32_e32 v248, 16, v63 /*v319*/
	s_set_vgpr_msb 0x41                     ;  msbs: dst=1 src0=1 src1=0 src2=0
	v_mul_i32_i24_e32 v18 /*v274*/, v18 /*v274*/, v111
	v_mul_i32_i24_e32 v40 /*v296*/, v139 /*v395*/, v226
	s_set_vgpr_msb 20                       ;  msbs: dst=0 src0=0 src1=1 src2=1
	v_add3_u32 v247, v84, v61 /*v317*/, v62 /*v318*/
	v_add3_u32 v90, v85, v60 /*v316*/, v59 /*v315*/
	s_set_vgpr_msb 64                       ;  msbs: dst=1 src0=0 src1=0 src2=0
	v_cvt_f32_f16_e64 v59 /*v315*/, v248
	s_set_vgpr_msb 4                        ;  msbs: dst=0 src0=0 src1=1 src2=0
	v_lshrrev_b32_e32 v248, 16, v133 /*v389*/
	s_set_vgpr_msb 1                        ;  msbs: dst=0 src0=1 src1=0 src2=0
	v_cvt_f32_f16_e64 v85, v63 /*v319*/
	v_cvt_f32_f16_e64 v84, v133 /*v389*/
	s_set_vgpr_msb 64                       ;  msbs: dst=1 src0=0 src1=0 src2=0
	v_cvt_f32_i32_e32 v61 /*v317*/, v247
	v_cvt_f32_i32_e32 v60 /*v316*/, v90
	v_cvt_f32_f16_e64 v58 /*v314*/, v248
	s_set_vgpr_msb 0                        ;  msbs: dst=0 src0=0 src1=0 src2=0
	v_bfe_u32 v248, v82, 20, 4
	s_set_vgpr_msb 0x41                     ;  msbs: dst=1 src0=1 src1=0 src2=0
	v_mul_i32_i24_e32 v34 /*v290*/, v137 /*v393*/, v225
	v_mul_i32_i24_e32 v35 /*v291*/, v138 /*v394*/, v227
	;; [unrolled: 1-line block ×3, first 2 shown]
	s_set_vgpr_msb 20                       ;  msbs: dst=0 src0=0 src1=1 src2=1
	v_pk_fma_f32 v[84:85], v[84:85], v[60:61] /*v[316:317]*/, v[58:59] /*v[314:315]*/
	s_set_vgpr_msb 0x41                     ;  msbs: dst=1 src0=1 src1=0 src2=0
	v_mul_i32_i24_e32 v31 /*v287*/, v135 /*v391*/, v232
	v_mul_i32_i24_e32 v33 /*v289*/, v136 /*v392*/, v231
	s_set_vgpr_msb 0                        ;  msbs: dst=0 src0=0 src1=0 src2=0
	v_cvt_f32_f16_e32 v88, v88
	v_add_nc_u32_e32 v104, 16, v104
	v_pk_add_f32 v[72:73], v[72:73], v[84:85]
	v_add_nc_u32_e32 v85, 0x804, v99
	v_add_nc_u32_e32 v84, 0x800, v99
	;; [unrolled: 1-line block ×3, first 2 shown]
	s_set_vgpr_msb 64                       ;  msbs: dst=1 src0=0 src1=0 src2=0
	ds_load_2addr_b32 v[60:61] /*v[316:317]*/, v85 offset1:1
	s_set_vgpr_msb 0                        ;  msbs: dst=0 src0=0 src1=0 src2=0
	v_add_nc_u32_e32 v85, 0x814, v99
	s_set_vgpr_msb 64                       ;  msbs: dst=1 src0=0 src1=0 src2=0
	ds_load_2addr_b32 v[58:59] /*v[314:315]*/, v84 offset0:4 offset1:7
	ds_load_2addr_b32 v[62:63] /*v[318:319]*/, v85 offset1:1
	ds_load_2addr_b32 v[64:65] /*v[320:321]*/, v84 offset1:3
	s_set_vgpr_msb 0                        ;  msbs: dst=0 src0=0 src1=0 src2=0
	ds_load_2addr_b32 v[84:85], v98 offset0:64 offset1:96
	s_wait_dscnt 0x4
	s_set_vgpr_msb 0x41                     ;  msbs: dst=1 src0=1 src1=0 src2=0
	v_bfe_i32 v76 /*v332*/, v60 /*v316*/, 8, 8
	v_bfe_i32 v77 /*v333*/, v61 /*v317*/, 8, 8
	s_wait_dscnt 0x3
	s_set_vgpr_msb 4                        ;  msbs: dst=0 src0=0 src1=1 src2=0
	v_lshrrev_b16 v90, 8, v58 /*v314*/
	s_set_vgpr_msb 0x41                     ;  msbs: dst=1 src0=1 src1=0 src2=0
	v_bfe_i32 v66 /*v322*/, v59 /*v315*/, 0, 8
	v_bfe_i32 v67 /*v323*/, v59 /*v315*/, 8, 8
	s_wait_dscnt 0x1
	s_set_vgpr_msb 4                        ;  msbs: dst=0 src0=0 src1=1 src2=0
	v_lshrrev_b16 v247, 8, v64 /*v320*/
	s_set_vgpr_msb 0x41                     ;  msbs: dst=1 src0=1 src1=0 src2=0
	v_bfe_i32 v68 /*v324*/, v59 /*v315*/, 16, 8
	s_set_vgpr_msb 0                        ;  msbs: dst=0 src0=0 src1=0 src2=0
	v_bfe_i32 v90, v90, 0, 8
	s_set_vgpr_msb 0x44                     ;  msbs: dst=1 src0=0 src1=1 src2=0
	v_dual_ashrrev_i32 v59 /*v315*/, 24, v59 /*v315*/ :: v_dual_ashrrev_i32 v69 /*v325*/, 24, v64 /*v320*/
	v_bfe_i32 v70 /*v326*/, v247, 0, 8
	s_set_vgpr_msb 0                        ;  msbs: dst=0 src0=0 src1=0 src2=0
	v_and_b32_e32 v247, 0xffff, v246
	v_bfe_u32 v246, v82, 4, 4
	s_set_vgpr_msb 0x41                     ;  msbs: dst=1 src0=1 src1=0 src2=0
	v_bfe_i32 v71 /*v327*/, v64 /*v320*/, 16, 8
	v_bfe_i32 v64 /*v320*/, v64 /*v320*/, 0, 8
	s_set_vgpr_msb 0x44                     ;  msbs: dst=1 src0=0 src1=1 src2=0
	v_mul_i32_i24_e32 v75 /*v331*/, v231, v69 /*v325*/
	v_mul_i32_i24_e32 v72 /*v328*/, v230, v70 /*v326*/
	s_set_vgpr_msb 0                        ;  msbs: dst=0 src0=0 src1=0 src2=0
	v_mul_i32_i24_e32 v82, v246, v249
	v_mul_i32_i24_e32 v249, v247, v250
	;; [unrolled: 1-line block ×3, first 2 shown]
	s_set_vgpr_msb 4                        ;  msbs: dst=0 src0=0 src1=1 src2=0
	v_mul_i32_i24_e32 v251, v106, v19 /*v275*/
	s_set_vgpr_msb 0x44                     ;  msbs: dst=1 src0=0 src1=1 src2=0
	v_mul_i32_i24_e32 v19 /*v275*/, v247, v54 /*v310*/
	v_mul_i32_i24_e32 v54 /*v310*/, v248, v55 /*v311*/
	s_set_vgpr_msb 1                        ;  msbs: dst=0 src0=1 src1=0 src2=0
	v_add3_u32 v82, v57 /*v313*/, v249, v82
	s_set_vgpr_msb 4                        ;  msbs: dst=0 src0=0 src1=1 src2=0
	v_and_b32_e32 v249, 0xffff, v21 /*v277*/
	s_set_vgpr_msb 0x54                     ;  msbs: dst=1 src0=0 src1=1 src2=1
	v_mul_i32_i24_e32 v55 /*v311*/, v106, v56 /*v312*/
	v_mad_i32_i24 v19 /*v275*/, v246, v53 /*v309*/, v19 /*v275*/
	v_ashrrev_i32_e32 v53 /*v309*/, 24, v58 /*v314*/
	s_set_vgpr_msb 0                        ;  msbs: dst=0 src0=0 src1=0 src2=0
	v_add3_u32 v82, v82, v250, v251
	v_and_b32_e32 v251, 15, v83
	v_bfe_u32 v250, v83, 16, 4
	v_mul_i32_i24_e32 v253, v253, v249
	s_set_vgpr_msb 0x55                     ;  msbs: dst=1 src0=1 src1=1 src2=1
	v_add3_u32 v19 /*v275*/, v19 /*v275*/, v54 /*v310*/, v55 /*v311*/
	v_bfe_i32 v54 /*v310*/, v58 /*v314*/, 0, 8
	s_set_vgpr_msb 0                        ;  msbs: dst=0 src0=0 src1=0 src2=0
	v_mul_i32_i24_e32 v252, v252, v251
	v_mul_i32_i24_e32 v254, v254, v250
	s_set_vgpr_msb 0x41                     ;  msbs: dst=1 src0=1 src1=0 src2=0
	v_mul_i32_i24_e32 v21 /*v277*/, v49 /*v305*/, v251
	v_mul_i32_i24_e32 v49 /*v305*/, v50 /*v306*/, v249
	;; [unrolled: 1-line block ×3, first 2 shown]
	s_set_vgpr_msb 0                        ;  msbs: dst=0 src0=0 src1=0 src2=0
	v_add3_u32 v82, v82, v253, v252
	s_set_vgpr_msb 4                        ;  msbs: dst=0 src0=0 src1=1 src2=0
	v_and_b32_e32 v252, 0xffff, v20 /*v276*/
	v_bfe_u32 v253, v83, 20, 4
	s_set_vgpr_msb 0x41                     ;  msbs: dst=1 src0=1 src1=0 src2=0
	v_mul_i32_i24_e32 v51 /*v307*/, v52 /*v308*/, v111
	v_bfe_i32 v55 /*v311*/, v58 /*v314*/, 16, 8
	s_set_vgpr_msb 16                       ;  msbs: dst=0 src0=0 src1=0 src2=1
	v_add3_u32 v82, v82, v254, v18 /*v274*/
	v_bfe_u32 v254, v83, 4, 4
	s_set_vgpr_msb 0x41                     ;  msbs: dst=1 src0=1 src1=0 src2=0
	v_mul_i32_i24_e32 v20 /*v276*/, v46 /*v302*/, v252
	s_set_vgpr_msb 0x55                     ;  msbs: dst=1 src0=1 src1=1 src2=1
	v_add3_u32 v19 /*v275*/, v19 /*v275*/, v51 /*v307*/, v49 /*v305*/
	s_set_vgpr_msb 0x41                     ;  msbs: dst=1 src0=1 src1=0 src2=0
	v_mul_i32_i24_e32 v46 /*v302*/, v48 /*v304*/, v107
	s_set_vgpr_msb 0x44                     ;  msbs: dst=1 src0=0 src1=1 src2=0
	v_ashrrev_i32_e32 v52 /*v308*/, 24, v60 /*v316*/
	s_set_vgpr_msb 0                        ;  msbs: dst=0 src0=0 src1=0 src2=0
	v_mul_i32_i24_e32 v83, v255, v254
	s_set_vgpr_msb 1                        ;  msbs: dst=0 src0=1 src1=0 src2=0
	v_mul_i32_i24_e32 v255, v0 /*v256*/, v252
	s_set_vgpr_msb 0x41                     ;  msbs: dst=1 src0=1 src1=0 src2=0
	v_mul_i32_i24_e32 v0 /*v256*/, v1 /*v257*/, v253
	v_mul_i32_i24_e32 v1 /*v257*/, v16 /*v272*/, v107
	s_set_vgpr_msb 0x55                     ;  msbs: dst=1 src0=1 src1=1 src2=1
	v_add3_u32 v19 /*v275*/, v19 /*v275*/, v21 /*v277*/, v50 /*v306*/
	s_set_vgpr_msb 0x41                     ;  msbs: dst=1 src0=1 src1=0 src2=0
	v_mul_i32_i24_e32 v16 /*v272*/, v45 /*v301*/, v254
	s_set_vgpr_msb 0                        ;  msbs: dst=0 src0=0 src1=0 src2=0
	v_add3_u32 v82, v82, v83, v255
	s_set_vgpr_msb 4                        ;  msbs: dst=0 src0=0 src1=1 src2=0
	v_and_b32_e32 v255, 0xffff, v17 /*v273*/
	s_set_vgpr_msb 0x41                     ;  msbs: dst=1 src0=1 src1=0 src2=0
	v_mul_i32_i24_e32 v45 /*v301*/, v47 /*v303*/, v253
	v_bfe_i32 v58 /*v314*/, v60 /*v316*/, 16, 8
	s_set_vgpr_msb 0x55                     ;  msbs: dst=1 src0=1 src1=1 src2=1
	v_add3_u32 v16 /*v272*/, v19 /*v275*/, v46 /*v302*/, v16 /*v272*/
	s_set_vgpr_msb 20                       ;  msbs: dst=0 src0=0 src1=1 src2=1
	v_add3_u32 v82, v82, v0 /*v256*/, v1 /*v257*/
	s_set_vgpr_msb 64                       ;  msbs: dst=1 src0=0 src1=0 src2=0
	v_and_b32_e32 v1 /*v257*/, 15, v80
	v_bfe_u32 v0 /*v256*/, v80, 16, 4
	s_set_vgpr_msb 0x41                     ;  msbs: dst=1 src0=1 src1=0 src2=0
	v_mul_i32_i24_e32 v17 /*v273*/, v42 /*v298*/, v255
	s_set_vgpr_msb 0x55                     ;  msbs: dst=1 src0=1 src1=1 src2=1
	v_add3_u32 v16 /*v272*/, v16 /*v272*/, v20 /*v276*/, v45 /*v301*/
	s_set_vgpr_msb 0x41                     ;  msbs: dst=1 src0=1 src1=0 src2=0
	v_mul_i32_i24_e32 v42 /*v298*/, v44 /*v300*/, v112
	s_set_vgpr_msb 5                        ;  msbs: dst=0 src0=1 src1=1 src2=0
	v_mul_i32_i24_e32 v83, v2 /*v258*/, v1 /*v257*/
	s_set_vgpr_msb 0x41                     ;  msbs: dst=1 src0=1 src1=0 src2=0
	v_mul_i32_i24_e32 v2 /*v258*/, v3 /*v259*/, v255
	s_set_vgpr_msb 0x45                     ;  msbs: dst=1 src0=1 src1=1 src2=0
	v_mul_i32_i24_e32 v3 /*v259*/, v13 /*v269*/, v0 /*v256*/
	s_set_vgpr_msb 0x41                     ;  msbs: dst=1 src0=1 src1=0 src2=0
	v_mul_i32_i24_e32 v13 /*v269*/, v14 /*v270*/, v112
	s_set_vgpr_msb 0x45                     ;  msbs: dst=1 src0=1 src1=1 src2=0
	v_mul_i32_i24_e32 v14 /*v270*/, v41 /*v297*/, v1 /*v257*/
	v_mul_i32_i24_e32 v41 /*v297*/, v43 /*v299*/, v0 /*v256*/
	s_set_vgpr_msb 4                        ;  msbs: dst=0 src0=0 src1=1 src2=0
	v_add3_u32 v82, v82, v2 /*v258*/, v83
	s_set_vgpr_msb 0x55                     ;  msbs: dst=1 src0=1 src1=1 src2=1
	v_and_b32_e32 v2 /*v258*/, 0xffff, v15 /*v271*/
	v_add3_u32 v16 /*v272*/, v16 /*v272*/, v42 /*v298*/, v17 /*v273*/
	v_bfe_i32 v60 /*v316*/, v60 /*v316*/, 0, 8
	v_dual_ashrrev_i32 v47 /*v303*/, 24, v62 /*v318*/ :: v_dual_ashrrev_i32 v43 /*v299*/, 24, v61 /*v317*/
	s_set_vgpr_msb 20                       ;  msbs: dst=0 src0=0 src1=1 src2=1
	v_add3_u32 v82, v82, v3 /*v259*/, v13 /*v269*/
	s_set_vgpr_msb 64                       ;  msbs: dst=1 src0=0 src1=0 src2=0
	v_bfe_u32 v3 /*v259*/, v80, 20, 4
	s_set_vgpr_msb 0                        ;  msbs: dst=0 src0=0 src1=0 src2=0
	v_bfe_u32 v80, v80, 4, 4
	s_set_vgpr_msb 0x55                     ;  msbs: dst=1 src0=1 src1=1 src2=1
	v_add3_u32 v14 /*v270*/, v16 /*v272*/, v14 /*v270*/, v41 /*v297*/
	v_mul_i32_i24_e32 v15 /*v271*/, v37 /*v293*/, v2 /*v258*/
	s_set_vgpr_msb 0x41                     ;  msbs: dst=1 src0=1 src1=0 src2=0
	v_mul_i32_i24_e32 v37 /*v293*/, v39 /*v295*/, v108
	v_bfe_i32 v48 /*v304*/, v62 /*v318*/, 16, 8
	s_set_vgpr_msb 1                        ;  msbs: dst=0 src0=1 src1=0 src2=0
	v_mul_i32_i24_e32 v83, v4 /*v260*/, v80
	s_set_vgpr_msb 0x45                     ;  msbs: dst=1 src0=1 src1=1 src2=0
	v_mul_i32_i24_e32 v4 /*v260*/, v5 /*v261*/, v2 /*v258*/
	v_mul_i32_i24_e32 v5 /*v261*/, v6 /*v262*/, v3 /*v259*/
	s_set_vgpr_msb 0x41                     ;  msbs: dst=1 src0=1 src1=0 src2=0
	v_mul_i32_i24_e32 v6 /*v262*/, v11 /*v267*/, v108
	v_mul_i32_i24_e32 v11 /*v267*/, v36 /*v292*/, v80
	s_set_vgpr_msb 0x45                     ;  msbs: dst=1 src0=1 src1=1 src2=0
	v_mul_i32_i24_e32 v36 /*v292*/, v38 /*v294*/, v3 /*v259*/
	s_set_vgpr_msb 16                       ;  msbs: dst=0 src0=0 src1=0 src2=1
	v_add3_u32 v82, v82, v83, v4 /*v260*/
	s_set_vgpr_msb 0x44                     ;  msbs: dst=1 src0=0 src1=1 src2=0
	v_and_b32_e32 v4 /*v260*/, 0xffff, v12 /*v268*/
	s_set_vgpr_msb 0x41                     ;  msbs: dst=1 src0=1 src1=0 src2=0
	v_mul_i32_i24_e32 v56 /*v312*/, v55 /*v311*/, v248
	s_set_vgpr_msb 0x55                     ;  msbs: dst=1 src0=1 src1=1 src2=1
	v_add3_u32 v11 /*v267*/, v14 /*v270*/, v37 /*v293*/, v11 /*v267*/
	s_set_vgpr_msb 0x41                     ;  msbs: dst=1 src0=1 src1=0 src2=0
	v_mul_i32_i24_e32 v57 /*v313*/, v53 /*v309*/, v106
	s_set_vgpr_msb 20                       ;  msbs: dst=0 src0=0 src1=1 src2=1
	v_add3_u32 v82, v82, v5 /*v261*/, v6 /*v262*/
	s_set_vgpr_msb 64                       ;  msbs: dst=1 src0=0 src1=0 src2=0
	v_and_b32_e32 v6 /*v262*/, 15, v81
	v_bfe_u32 v5 /*v261*/, v81, 16, 4
	s_set_vgpr_msb 0x55                     ;  msbs: dst=1 src0=1 src1=1 src2=1
	v_add3_u32 v11 /*v267*/, v11 /*v267*/, v15 /*v271*/, v36 /*v292*/
	s_set_vgpr_msb 5                        ;  msbs: dst=0 src0=1 src1=1 src2=0
	v_mul_i32_i24_e32 v83, v8 /*v264*/, v4 /*v260*/
	s_set_vgpr_msb 0x41                     ;  msbs: dst=1 src0=1 src1=0 src2=0
	v_mul_i32_i24_e32 v8 /*v264*/, v10 /*v266*/, v109
	s_set_vgpr_msb 5                        ;  msbs: dst=0 src0=1 src1=1 src2=0
	v_mul_i32_i24_e32 v81, v7 /*v263*/, v6 /*v262*/
	s_set_vgpr_msb 0x45                     ;  msbs: dst=1 src0=1 src1=1 src2=0
	v_mul_i32_i24_e32 v7 /*v263*/, v9 /*v265*/, v5 /*v261*/
	v_mul_i32_i24_e32 v9 /*v265*/, v22 /*v278*/, v6 /*v262*/
	;; [unrolled: 1-line block ×3, first 2 shown]
	s_set_vgpr_msb 0x41                     ;  msbs: dst=1 src0=1 src1=0 src2=0
	v_mul_i32_i24_e32 v22 /*v278*/, v25 /*v281*/, v109
	s_set_vgpr_msb 0x45                     ;  msbs: dst=1 src0=1 src1=1 src2=0
	v_mul_i32_i24_e32 v12 /*v268*/, v24 /*v280*/, v5 /*v261*/
	s_set_vgpr_msb 0                        ;  msbs: dst=0 src0=0 src1=0 src2=0
	v_add3_u32 v81, v82, v83, v81
	s_set_vgpr_msb 0x41                     ;  msbs: dst=1 src0=1 src1=0 src2=0
	v_mul_i32_i24_e32 v18 /*v274*/, v60 /*v316*/, v251
	v_mul_i32_i24_e32 v21 /*v277*/, v76 /*v332*/, v249
	s_set_vgpr_msb 0x55                     ;  msbs: dst=1 src0=1 src1=1 src2=1
	v_add3_u32 v10 /*v266*/, v11 /*v267*/, v22 /*v278*/, v10 /*v266*/
	s_set_vgpr_msb 0x41                     ;  msbs: dst=1 src0=1 src1=0 src2=0
	v_mul_i32_i24_e32 v49 /*v305*/, v58 /*v314*/, v250
	s_set_vgpr_msb 20                       ;  msbs: dst=0 src0=0 src1=1 src2=1
	v_add3_u32 v81, v81, v7 /*v263*/, v8 /*v264*/
	s_set_vgpr_msb 0x41                     ;  msbs: dst=1 src0=1 src1=0 src2=0
	v_mul_i32_i24_e32 v50 /*v306*/, v52 /*v308*/, v111
	v_bfe_i32 v51 /*v307*/, v62 /*v318*/, 8, 8
	s_set_vgpr_msb 0x55                     ;  msbs: dst=1 src0=1 src1=1 src2=1
	v_add3_u32 v9 /*v265*/, v10 /*v266*/, v9 /*v265*/, v12 /*v268*/
	v_bfe_i32 v62 /*v318*/, v62 /*v318*/, 0, 8
	s_set_vgpr_msb 20                       ;  msbs: dst=0 src0=0 src1=1 src2=1
	v_add3_u32 v81, v81, v27 /*v283*/, v30 /*v286*/
	s_set_vgpr_msb 0x41                     ;  msbs: dst=1 src0=1 src1=0 src2=0
	v_mul_i32_i24_e32 v45 /*v301*/, v48 /*v304*/, v253
	v_mul_i32_i24_e32 v46 /*v302*/, v47 /*v303*/, v107
	s_set_vgpr_msb 5                        ;  msbs: dst=0 src0=1 src1=1 src2=0
	v_add3_u32 v82, v9 /*v265*/, v40 /*v296*/, v91
	s_set_vgpr_msb 0x41                     ;  msbs: dst=1 src0=1 src1=0 src2=0
	v_bfe_i32 v44 /*v300*/, v61 /*v317*/, 16, 8
	s_set_vgpr_msb 20                       ;  msbs: dst=0 src0=0 src1=1 src2=1
	v_add3_u32 v81, v81, v29 /*v285*/, v32 /*v288*/
	s_set_vgpr_msb 0x41                     ;  msbs: dst=1 src0=1 src1=0 src2=0
	v_bfe_i32 v61 /*v317*/, v61 /*v317*/, 0, 8
	s_set_vgpr_msb 0x44                     ;  msbs: dst=1 src0=0 src1=1 src2=0
	v_dual_ashrrev_i32 v38 /*v294*/, 24, v63 /*v319*/ :: v_dual_ashrrev_i32 v23 /*v279*/, 24, v65 /*v321*/
	s_set_vgpr_msb 20                       ;  msbs: dst=0 src0=0 src1=1 src2=1
	v_add3_u32 v82, v82, v34 /*v290*/, v35 /*v291*/
	s_set_vgpr_msb 0x41                     ;  msbs: dst=1 src0=1 src1=0 src2=0
	v_bfe_i32 v39 /*v295*/, v63 /*v319*/, 16, 8
	v_mul_i32_i24_e32 v19 /*v275*/, v62 /*v318*/, v254
	v_mul_i32_i24_e32 v20 /*v276*/, v51 /*v307*/, v252
	s_set_vgpr_msb 0x45                     ;  msbs: dst=1 src0=1 src1=1 src2=0
	v_mul_i32_i24_e32 v13 /*v269*/, v61 /*v317*/, v1 /*v257*/
	s_set_vgpr_msb 20                       ;  msbs: dst=0 src0=0 src1=1 src2=1
	v_add3_u32 v82, v82, v26 /*v282*/, v28 /*v284*/
	s_set_vgpr_msb 0x41                     ;  msbs: dst=1 src0=1 src1=0 src2=0
	v_mul_i32_i24_e32 v16 /*v272*/, v77 /*v333*/, v255
	s_set_vgpr_msb 0x45                     ;  msbs: dst=1 src0=1 src1=1 src2=0
	v_mul_i32_i24_e32 v17 /*v273*/, v44 /*v300*/, v0 /*v256*/
	s_set_vgpr_msb 0x41                     ;  msbs: dst=1 src0=1 src1=0 src2=0
	v_mul_i32_i24_e32 v41 /*v297*/, v43 /*v299*/, v112
	v_bfe_i32 v42 /*v298*/, v63 /*v319*/, 8, 8
	s_set_vgpr_msb 20                       ;  msbs: dst=0 src0=0 src1=1 src2=1
	v_add3_u32 v83, v82, v31 /*v287*/, v33 /*v289*/
	v_cvt_f32_i32_e32 v82, v81
	s_set_vgpr_msb 0x45                     ;  msbs: dst=1 src0=1 src1=1 src2=0
	v_bfe_i32 v63 /*v319*/, v63 /*v319*/, 0, 8
	v_mul_i32_i24_e32 v36 /*v292*/, v39 /*v295*/, v3 /*v259*/
	s_set_vgpr_msb 0x41                     ;  msbs: dst=1 src0=1 src1=0 src2=0
	v_mul_i32_i24_e32 v37 /*v293*/, v38 /*v294*/, v108
	s_set_vgpr_msb 0                        ;  msbs: dst=0 src0=0 src1=0 src2=0
	v_cvt_f32_i32_e32 v83, v83
	s_set_vgpr_msb 0x41                     ;  msbs: dst=1 src0=1 src1=0 src2=0
	v_bfe_i32 v24 /*v280*/, v65 /*v321*/, 16, 8
	v_bfe_i32 v25 /*v281*/, v65 /*v321*/, 8, 8
	;; [unrolled: 1-line block ×3, first 2 shown]
	s_set_vgpr_msb 17                       ;  msbs: dst=0 src0=1 src1=0 src2=1
	v_mad_i32_i24 v91, v54 /*v310*/, v246, v18 /*v274*/
	s_set_vgpr_msb 0                        ;  msbs: dst=0 src0=0 src1=0 src2=0
	v_pk_fma_f32 v[82:83], v[86:87], v[82:83], v[88:89]
	s_set_vgpr_msb 0x50                     ;  msbs: dst=1 src0=0 src1=0 src2=1
	v_mad_i32_i24 v7 /*v263*/, v90, v247, v21 /*v277*/
	s_set_vgpr_msb 0x55                     ;  msbs: dst=1 src0=1 src1=1 src2=1
	v_add3_u32 v8 /*v264*/, v57 /*v313*/, v50 /*v306*/, v46 /*v302*/
	v_add3_u32 v9 /*v265*/, v56 /*v312*/, v49 /*v305*/, v45 /*v301*/
	s_set_vgpr_msb 0x44                     ;  msbs: dst=1 src0=0 src1=1 src2=0
	v_mul_i32_i24_e32 v74 /*v330*/, v232, v71 /*v327*/
	s_set_vgpr_msb 0x41                     ;  msbs: dst=1 src0=1 src1=0 src2=0
	v_mul_i32_i24_e32 v14 /*v270*/, v63 /*v319*/, v80
	s_set_vgpr_msb 0x45                     ;  msbs: dst=1 src0=1 src1=1 src2=0
	v_mul_i32_i24_e32 v15 /*v271*/, v42 /*v298*/, v2 /*v258*/
	s_set_vgpr_msb 0                        ;  msbs: dst=0 src0=0 src1=0 src2=0
	v_pk_add_f32 v[64:65], v[64:65], v[82:83]
	s_set_vgpr_msb 5                        ;  msbs: dst=0 src0=1 src1=1 src2=0
	v_mul_i32_i24_e32 v81, v65 /*v321*/, v6 /*v262*/
	v_mul_i32_i24_e32 v82, v25 /*v281*/, v4 /*v260*/
	;; [unrolled: 1-line block ×3, first 2 shown]
	s_set_vgpr_msb 1                        ;  msbs: dst=0 src0=1 src1=0 src2=0
	v_mul_i32_i24_e32 v86, v23 /*v279*/, v109
	s_set_vgpr_msb 0x55                     ;  msbs: dst=1 src0=1 src1=1 src2=1
	v_add3_u32 v7 /*v263*/, v7 /*v263*/, v20 /*v276*/, v16 /*v272*/
	s_set_vgpr_msb 20                       ;  msbs: dst=0 src0=0 src1=1 src2=1
	v_add3_u32 v91, v91, v19 /*v275*/, v13 /*v269*/
	s_set_vgpr_msb 0x55                     ;  msbs: dst=1 src0=1 src1=1 src2=1
	v_add3_u32 v9 /*v265*/, v9 /*v265*/, v17 /*v273*/, v36 /*v292*/
	v_add3_u32 v8 /*v264*/, v8 /*v264*/, v41 /*v297*/, v37 /*v293*/
	s_set_vgpr_msb 0x44                     ;  msbs: dst=1 src0=0 src1=1 src2=0
	v_mul_i32_i24_e32 v73 /*v329*/, v113, v64 /*v320*/
	s_set_vgpr_msb 5                        ;  msbs: dst=0 src0=1 src1=1 src2=0
	v_add3_u32 v82, v7 /*v263*/, v15 /*v271*/, v82
	s_set_vgpr_msb 4                        ;  msbs: dst=0 src0=0 src1=1 src2=0
	v_add3_u32 v81, v91, v14 /*v270*/, v81
	s_set_vgpr_msb 17                       ;  msbs: dst=0 src0=1 src1=0 src2=1
	v_add3_u32 v83, v9 /*v265*/, v83, v74 /*v330*/
	v_add3_u32 v86, v8 /*v264*/, v86, v75 /*v331*/
	v_mul_i32_i24_e32 v87, v67 /*v323*/, v225
	v_mul_i32_i24_e32 v89, v59 /*v315*/, v226
	;; [unrolled: 1-line block ×3, first 2 shown]
	s_set_vgpr_msb 4                        ;  msbs: dst=0 src0=0 src1=1 src2=0
	v_add3_u32 v81, v81, v73 /*v329*/, v83
	v_add3_u32 v82, v82, v72 /*v328*/, v86
	s_set_vgpr_msb 1                        ;  msbs: dst=0 src0=1 src1=0 src2=0
	v_mul_i32_i24_e32 v91, v53 /*v309*/, v120
	s_set_vgpr_msb 0x41                     ;  msbs: dst=1 src0=1 src1=0 src2=0
	v_mul_i32_i24_e32 v8 /*v264*/, v76 /*v332*/, v122
	v_mul_i32_i24_e32 v10 /*v266*/, v52 /*v308*/, v124
	;; [unrolled: 1-line block ×3, first 2 shown]
	s_set_vgpr_msb 0                        ;  msbs: dst=0 src0=0 src1=0 src2=0
	v_add3_u32 v81, v81, v82, v89
	s_set_vgpr_msb 1                        ;  msbs: dst=0 src0=1 src1=0 src2=0
	v_mad_i32_i24 v82, v66 /*v322*/, v110, v87
	v_mul_i32_i24_e32 v89, v55 /*v311*/, v116
	s_set_vgpr_msb 0x41                     ;  msbs: dst=1 src0=1 src1=0 src2=0
	v_mul_i32_i24_e32 v9 /*v265*/, v58 /*v314*/, v123
	v_mul_i32_i24_e32 v11 /*v267*/, v62 /*v318*/, v125
	;; [unrolled: 1-line block ×3, first 2 shown]
	s_set_vgpr_msb 0                        ;  msbs: dst=0 src0=0 src1=0 src2=0
	v_add3_u32 v81, v81, v82, v88
	v_mul_i32_i24_e32 v88, v90, v119
	s_set_vgpr_msb 0x41                     ;  msbs: dst=1 src0=1 src1=0 src2=0
	v_mul_i32_i24_e32 v12 /*v268*/, v51 /*v307*/, v126
	v_mul_i32_i24_e32 v13 /*v269*/, v48 /*v304*/, v117
	v_mul_i32_i24_e32 v16 /*v272*/, v77 /*v333*/, v128
	v_mul_i32_i24_e32 v18 /*v274*/, v43 /*v299*/, v130
	s_set_vgpr_msb 1                        ;  msbs: dst=0 src0=1 src1=0 src2=0
	v_mad_i32_i24 v88, v54 /*v310*/, v115, v88
	s_set_vgpr_msb 0x41                     ;  msbs: dst=1 src0=1 src1=0 src2=0
	v_mul_i32_i24_e32 v15 /*v271*/, v61 /*v317*/, v129
	v_mul_i32_i24_e32 v17 /*v273*/, v44 /*v300*/, v131
	;; [unrolled: 1-line block ×4, first 2 shown]
	s_set_vgpr_msb 0                        ;  msbs: dst=0 src0=0 src1=0 src2=0
	v_add3_u32 v88, v88, v89, v91
	v_mul_i32_i24_e32 v89, v90, v145
	s_set_vgpr_msb 1                        ;  msbs: dst=0 src0=1 src1=0 src2=0
	v_mul_i32_i24_e32 v91, v55 /*v311*/, v142
	s_set_vgpr_msb 0                        ;  msbs: dst=0 src0=0 src1=0 src2=0
	v_mul_i32_i24_e32 v90, v90, v203
	s_set_vgpr_msb 0x41                     ;  msbs: dst=1 src0=1 src1=0 src2=0
	v_mul_i32_i24_e32 v20 /*v276*/, v42 /*v298*/, v133
	s_set_vgpr_msb 20                       ;  msbs: dst=0 src0=0 src1=1 src2=1
	v_add3_u32 v88, v88, v10 /*v266*/, v8 /*v264*/
	s_set_vgpr_msb 1                        ;  msbs: dst=0 src0=1 src1=0 src2=0
	v_mad_i32_i24 v89, v54 /*v310*/, v141, v89
	s_set_vgpr_msb 0x41                     ;  msbs: dst=1 src0=1 src1=0 src2=0
	v_mul_i32_i24_e32 v8 /*v264*/, v60 /*v316*/, v147
	v_mul_i32_i24_e32 v10 /*v266*/, v58 /*v314*/, v149
	v_mul_i32_i24_e32 v21 /*v277*/, v39 /*v295*/, v92
	s_set_vgpr_msb 20                       ;  msbs: dst=0 src0=0 src1=1 src2=1
	v_add3_u32 v88, v88, v7 /*v263*/, v9 /*v265*/
	s_set_vgpr_msb 0x41                     ;  msbs: dst=1 src0=1 src1=0 src2=0
	v_mul_i32_i24_e32 v7 /*v263*/, v53 /*v309*/, v146
	v_mul_i32_i24_e32 v9 /*v265*/, v76 /*v332*/, v148
	s_set_vgpr_msb 1                        ;  msbs: dst=0 src0=1 src1=0 src2=0
	v_mad_i32_i24 v90, v54 /*v310*/, v199, v90
	s_set_vgpr_msb 0x41                     ;  msbs: dst=1 src0=1 src1=0 src2=0
	v_mul_i32_i24_e32 v27 /*v283*/, v25 /*v281*/, v135
	s_set_vgpr_msb 20                       ;  msbs: dst=0 src0=0 src1=1 src2=1
	v_add3_u32 v88, v88, v14 /*v270*/, v11 /*v267*/
	s_set_vgpr_msb 0x41                     ;  msbs: dst=1 src0=1 src1=0 src2=0
	v_mul_i32_i24_e32 v11 /*v267*/, v52 /*v308*/, v150
	s_set_vgpr_msb 16                       ;  msbs: dst=0 src0=0 src1=0 src2=1
	v_add3_u32 v89, v89, v91, v7 /*v263*/
	s_set_vgpr_msb 0x41                     ;  msbs: dst=1 src0=1 src1=0 src2=0
	v_mul_i32_i24_e32 v14 /*v270*/, v48 /*v304*/, v143
	s_set_vgpr_msb 1                        ;  msbs: dst=0 src0=1 src1=0 src2=0
	v_mul_i32_i24_e32 v91, v55 /*v311*/, v200
	s_set_vgpr_msb 20                       ;  msbs: dst=0 src0=0 src1=1 src2=1
	v_add3_u32 v88, v88, v12 /*v268*/, v13 /*v269*/
	s_set_vgpr_msb 0x41                     ;  msbs: dst=1 src0=1 src1=0 src2=0
	v_mul_i32_i24_e32 v12 /*v268*/, v62 /*v318*/, v151
	s_set_vgpr_msb 20                       ;  msbs: dst=0 src0=0 src1=1 src2=1
	v_add3_u32 v89, v89, v11 /*v267*/, v9 /*v265*/
	s_set_vgpr_msb 0x41                     ;  msbs: dst=1 src0=1 src1=0 src2=0
	v_mul_i32_i24_e32 v13 /*v269*/, v51 /*v307*/, v152
	v_mul_i32_i24_e32 v7 /*v263*/, v53 /*v309*/, v204
	s_set_vgpr_msb 20                       ;  msbs: dst=0 src0=0 src1=1 src2=1
	v_add3_u32 v88, v88, v18 /*v274*/, v16 /*v272*/
	s_set_vgpr_msb 0x41                     ;  msbs: dst=1 src0=1 src1=0 src2=0
	v_mul_i32_i24_e32 v29 /*v285*/, v23 /*v279*/, v138
	s_set_vgpr_msb 20                       ;  msbs: dst=0 src0=0 src1=1 src2=1
	v_add3_u32 v89, v89, v8 /*v264*/, v10 /*v266*/
	s_set_vgpr_msb 0x41                     ;  msbs: dst=1 src0=1 src1=0 src2=0
	v_mul_i32_i24_e32 v9 /*v265*/, v76 /*v332*/, v206
	v_mul_i32_i24_e32 v11 /*v267*/, v52 /*v308*/, v208
	s_set_vgpr_msb 20                       ;  msbs: dst=0 src0=0 src1=1 src2=1
	v_add3_u32 v88, v88, v15 /*v271*/, v17 /*v273*/
	s_set_vgpr_msb 0x41                     ;  msbs: dst=1 src0=1 src1=0 src2=0
	v_mul_i32_i24_e32 v15 /*v271*/, v47 /*v303*/, v95
	v_mul_i32_i24_e32 v17 /*v273*/, v77 /*v333*/, v153
	s_set_vgpr_msb 16                       ;  msbs: dst=0 src0=0 src1=0 src2=1
	v_add3_u32 v90, v90, v91, v7 /*v263*/
	s_set_vgpr_msb 0x41                     ;  msbs: dst=1 src0=1 src1=0 src2=0
	v_mul_i32_i24_e32 v26 /*v282*/, v65 /*v321*/, v136
	s_set_vgpr_msb 20                       ;  msbs: dst=0 src0=0 src1=1 src2=1
	v_add3_u32 v88, v88, v22 /*v278*/, v19 /*v275*/
	v_add3_u32 v89, v89, v15 /*v271*/, v12 /*v268*/
	s_set_vgpr_msb 0x41                     ;  msbs: dst=1 src0=1 src1=0 src2=0
	v_mul_i32_i24_e32 v19 /*v275*/, v43 /*v299*/, v188
	v_mul_i32_i24_e32 v28 /*v284*/, v24 /*v280*/, v137
	;; [unrolled: 1-line block ×3, first 2 shown]
	s_set_vgpr_msb 20                       ;  msbs: dst=0 src0=0 src1=1 src2=1
	v_add3_u32 v88, v88, v20 /*v276*/, v21 /*v277*/
	v_add3_u32 v89, v89, v13 /*v269*/, v14 /*v270*/
	s_set_vgpr_msb 0x41                     ;  msbs: dst=1 src0=1 src1=0 src2=0
	v_mul_i32_i24_e32 v18 /*v274*/, v44 /*v300*/, v189
	v_mul_i32_i24_e32 v8 /*v264*/, v60 /*v316*/, v205
	;; [unrolled: 1-line block ×3, first 2 shown]
	s_set_vgpr_msb 20                       ;  msbs: dst=0 src0=0 src1=1 src2=1
	v_add3_u32 v88, v88, v29 /*v285*/, v27 /*v283*/
	v_add3_u32 v89, v89, v19 /*v275*/, v17 /*v273*/
	;; [unrolled: 1-line block ×3, first 2 shown]
	s_set_vgpr_msb 0x41                     ;  msbs: dst=1 src0=1 src1=0 src2=0
	v_mul_i32_i24_e32 v30 /*v286*/, v66 /*v322*/, v139
	v_mul_i32_i24_e32 v33 /*v289*/, v59 /*v315*/, v229
	s_set_vgpr_msb 20                       ;  msbs: dst=0 src0=0 src1=1 src2=1
	v_add3_u32 v88, v88, v26 /*v282*/, v28 /*v284*/
	s_set_vgpr_msb 0x41                     ;  msbs: dst=1 src0=1 src1=0 src2=0
	v_mul_i32_i24_e32 v20 /*v276*/, v63 /*v319*/, v190
	v_mul_i32_i24_e32 v26 /*v282*/, v38 /*v294*/, v192
	s_set_vgpr_msb 20                       ;  msbs: dst=0 src0=0 src1=1 src2=1
	v_add3_u32 v89, v89, v16 /*v272*/, v18 /*v274*/
	s_set_vgpr_msb 0x41                     ;  msbs: dst=1 src0=1 src1=0 src2=0
	v_mul_i32_i24_e32 v12 /*v268*/, v62 /*v318*/, v209
	v_mul_i32_i24_e32 v15 /*v271*/, v47 /*v303*/, v211
	s_set_vgpr_msb 20                       ;  msbs: dst=0 src0=0 src1=1 src2=1
	v_add3_u32 v90, v90, v8 /*v264*/, v10 /*v266*/
	s_wait_dscnt 0x0
	s_set_vgpr_msb 0                        ;  msbs: dst=0 src0=0 src1=0 src2=0
	v_pk_mul_f16 v82, v105, v84
	v_cvt_f32_i32_e32 v81, v81
	s_set_vgpr_msb 0x41                     ;  msbs: dst=1 src0=1 src1=0 src2=0
	v_mul_i32_i24_e32 v31 /*v287*/, v67 /*v323*/, v228
	v_mul_i32_i24_e32 v32 /*v288*/, v68 /*v324*/, v93
	s_set_vgpr_msb 20                       ;  msbs: dst=0 src0=0 src1=1 src2=1
	v_add3_u32 v88, v88, v33 /*v289*/, v30 /*v286*/
	s_set_vgpr_msb 0x41                     ;  msbs: dst=1 src0=1 src1=0 src2=0
	v_mul_i32_i24_e32 v21 /*v277*/, v42 /*v298*/, v191
	v_mul_i32_i24_e32 v22 /*v278*/, v39 /*v295*/, v96
	s_set_vgpr_msb 20                       ;  msbs: dst=0 src0=0 src1=1 src2=1
	v_add3_u32 v89, v89, v26 /*v282*/, v20 /*v276*/
	s_set_vgpr_msb 0x41                     ;  msbs: dst=1 src0=1 src1=0 src2=0
	v_mul_i32_i24_e32 v13 /*v269*/, v51 /*v307*/, v210
	v_mul_i32_i24_e32 v14 /*v270*/, v48 /*v304*/, v201
	s_set_vgpr_msb 20                       ;  msbs: dst=0 src0=0 src1=1 src2=1
	v_add3_u32 v90, v90, v15 /*v271*/, v12 /*v268*/
	s_set_vgpr_msb 0                        ;  msbs: dst=0 src0=0 src1=0 src2=0
	v_fma_mix_f32 v82, v82, v81, v82 op_sel:[0,0,1] op_sel_hi:[1,0,1]
	s_set_vgpr_msb 1                        ;  msbs: dst=0 src0=1 src1=0 src2=0
	v_mul_i32_i24_e32 v81, v64 /*v320*/, v118
	v_mul_i32_i24_e32 v83, v70 /*v326*/, v233
	s_set_vgpr_msb 20                       ;  msbs: dst=0 src0=0 src1=1 src2=1
	v_add3_u32 v88, v88, v31 /*v287*/, v32 /*v288*/
	s_set_vgpr_msb 0x41                     ;  msbs: dst=1 src0=1 src1=0 src2=0
	v_mul_i32_i24_e32 v28 /*v284*/, v25 /*v281*/, v193
	v_mul_i32_i24_e32 v30 /*v286*/, v23 /*v279*/, v196
	s_set_vgpr_msb 20                       ;  msbs: dst=0 src0=0 src1=1 src2=1
	v_add3_u32 v89, v89, v21 /*v277*/, v22 /*v278*/
	s_set_vgpr_msb 0x41                     ;  msbs: dst=1 src0=1 src1=0 src2=0
	v_mul_i32_i24_e32 v17 /*v273*/, v77 /*v333*/, v212
	v_mul_i32_i24_e32 v19 /*v275*/, v43 /*v299*/, v214
	s_set_vgpr_msb 20                       ;  msbs: dst=0 src0=0 src1=1 src2=1
	v_add3_u32 v90, v90, v13 /*v269*/, v14 /*v270*/
	s_set_vgpr_msb 1                        ;  msbs: dst=0 src0=1 src1=0 src2=0
	v_mul_i32_i24_e32 v86, v71 /*v327*/, v235
	v_mul_i32_i24_e32 v87, v69 /*v325*/, v234
	s_set_vgpr_msb 0                        ;  msbs: dst=0 src0=0 src1=0 src2=0
	v_add3_u32 v81, v88, v81, v83
	s_set_vgpr_msb 0x41                     ;  msbs: dst=1 src0=1 src1=0 src2=0
	v_mul_i32_i24_e32 v27 /*v283*/, v65 /*v321*/, v194
	v_mul_i32_i24_e32 v29 /*v285*/, v24 /*v280*/, v195
	s_set_vgpr_msb 20                       ;  msbs: dst=0 src0=0 src1=1 src2=1
	v_add3_u32 v89, v89, v30 /*v286*/, v28 /*v284*/
	s_set_vgpr_msb 0x41                     ;  msbs: dst=1 src0=1 src1=0 src2=0
	v_mul_i32_i24_e32 v16 /*v272*/, v61 /*v317*/, v213
	v_mul_i32_i24_e32 v18 /*v274*/, v44 /*v300*/, v215
	s_set_vgpr_msb 20                       ;  msbs: dst=0 src0=0 src1=1 src2=1
	v_add3_u32 v90, v90, v19 /*v275*/, v17 /*v273*/
	s_set_vgpr_msb 0                        ;  msbs: dst=0 src0=0 src1=0 src2=0
	v_add3_u32 v81, v81, v86, v87
	s_set_vgpr_msb 0x41                     ;  msbs: dst=1 src0=1 src1=0 src2=0
	v_mul_i32_i24_e32 v31 /*v287*/, v66 /*v322*/, v197
	v_mul_i32_i24_e32 v34 /*v290*/, v59 /*v315*/, v237
	s_set_vgpr_msb 20                       ;  msbs: dst=0 src0=0 src1=1 src2=1
	v_add3_u32 v89, v89, v27 /*v283*/, v29 /*v285*/
	s_set_vgpr_msb 0x41                     ;  msbs: dst=1 src0=1 src1=0 src2=0
	v_mul_i32_i24_e32 v20 /*v276*/, v63 /*v319*/, v216
	v_mul_i32_i24_e32 v26 /*v282*/, v38 /*v294*/, v218
	s_set_vgpr_msb 20                       ;  msbs: dst=0 src0=0 src1=1 src2=1
	v_add3_u32 v90, v90, v16 /*v272*/, v18 /*v274*/
	s_set_vgpr_msb 0                        ;  msbs: dst=0 src0=0 src1=0 src2=0
	v_pk_mul_f16 v83, v114, v84
	v_cvt_f32_i32_e32 v81, v81
	s_set_vgpr_msb 0x41                     ;  msbs: dst=1 src0=1 src1=0 src2=0
	v_mul_i32_i24_e32 v32 /*v288*/, v67 /*v323*/, v236
	v_mul_i32_i24_e32 v33 /*v289*/, v68 /*v324*/, v97
	s_set_vgpr_msb 20                       ;  msbs: dst=0 src0=0 src1=1 src2=1
	v_add3_u32 v89, v89, v34 /*v290*/, v31 /*v287*/
	s_set_vgpr_msb 0x41                     ;  msbs: dst=1 src0=1 src1=0 src2=0
	v_mul_i32_i24_e32 v21 /*v277*/, v42 /*v298*/, v217
	v_mul_i32_i24_e32 v22 /*v278*/, v39 /*v295*/, v219
	s_set_vgpr_msb 20                       ;  msbs: dst=0 src0=0 src1=1 src2=1
	v_add3_u32 v90, v90, v26 /*v282*/, v20 /*v276*/
	s_set_vgpr_msb 0                        ;  msbs: dst=0 src0=0 src1=0 src2=0
	v_fma_mix_f32 v81, v83, v81, v83 op_sel:[0,0,1] op_sel_hi:[1,0,1]
	s_set_vgpr_msb 1                        ;  msbs: dst=0 src0=1 src1=0 src2=0
	v_mul_i32_i24_e32 v83, v64 /*v320*/, v144
	v_mul_i32_i24_e32 v86, v70 /*v326*/, v238
	s_set_vgpr_msb 20                       ;  msbs: dst=0 src0=0 src1=1 src2=1
	v_add3_u32 v89, v89, v32 /*v288*/, v33 /*v289*/
	s_set_vgpr_msb 0x41                     ;  msbs: dst=1 src0=1 src1=0 src2=0
	v_mul_i32_i24_e32 v25 /*v281*/, v25 /*v281*/, v220
	v_mul_i32_i24_e32 v23 /*v279*/, v23 /*v279*/, v223
	s_set_vgpr_msb 20                       ;  msbs: dst=0 src0=0 src1=1 src2=1
	v_add3_u32 v90, v90, v21 /*v277*/, v22 /*v278*/
	s_set_vgpr_msb 1                        ;  msbs: dst=0 src0=1 src1=0 src2=0
	v_mul_i32_i24_e32 v87, v71 /*v327*/, v94
	v_mul_i32_i24_e32 v88, v69 /*v325*/, v239
	s_set_vgpr_msb 0                        ;  msbs: dst=0 src0=0 src1=0 src2=0
	v_add3_u32 v83, v89, v83, v86
	s_set_vgpr_msb 0x41                     ;  msbs: dst=1 src0=1 src1=0 src2=0
	v_mul_i32_i24_e32 v27 /*v283*/, v65 /*v321*/, v221
	v_mul_i32_i24_e32 v24 /*v280*/, v24 /*v280*/, v222
	s_set_vgpr_msb 20                       ;  msbs: dst=0 src0=0 src1=1 src2=1
	v_add3_u32 v90, v90, v23 /*v279*/, v25 /*v281*/
	s_set_vgpr_msb 0x41                     ;  msbs: dst=1 src0=1 src1=0 src2=0
	v_mul_i32_i24_e32 v28 /*v284*/, v66 /*v322*/, v224
	s_set_vgpr_msb 0                        ;  msbs: dst=0 src0=0 src1=0 src2=0
	v_add3_u32 v83, v83, v87, v88
	s_set_vgpr_msb 0x41                     ;  msbs: dst=1 src0=1 src1=0 src2=0
	v_mul_i32_i24_e32 v31 /*v287*/, v59 /*v315*/, v241
	s_set_vgpr_msb 0                        ;  msbs: dst=0 src0=0 src1=0 src2=0
	v_pk_mul_f16 v86, v140, v84
	s_set_vgpr_msb 20                       ;  msbs: dst=0 src0=0 src1=1 src2=1
	v_add3_u32 v90, v90, v27 /*v283*/, v24 /*v280*/
	s_set_vgpr_msb 0x41                     ;  msbs: dst=1 src0=1 src1=0 src2=0
	v_mul_i32_i24_e32 v29 /*v285*/, v67 /*v323*/, v240
	s_set_vgpr_msb 0                        ;  msbs: dst=0 src0=0 src1=0 src2=0
	v_cvt_f32_i32_e32 v83, v83
	s_set_vgpr_msb 0x41                     ;  msbs: dst=1 src0=1 src1=0 src2=0
	v_mul_i32_i24_e32 v30 /*v286*/, v68 /*v324*/, v242
	s_set_vgpr_msb 1                        ;  msbs: dst=0 src0=1 src1=0 src2=0
	v_mul_i32_i24_e32 v87, v70 /*v326*/, v243
	s_set_vgpr_msb 20                       ;  msbs: dst=0 src0=0 src1=1 src2=1
	v_add3_u32 v90, v90, v31 /*v287*/, v28 /*v284*/
	s_set_vgpr_msb 1                        ;  msbs: dst=0 src0=1 src1=0 src2=0
	v_mul_i32_i24_e32 v88, v71 /*v327*/, v245
	s_set_vgpr_msb 0                        ;  msbs: dst=0 src0=0 src1=0 src2=0
	v_fma_mix_f32 v86, v86, v83, v86 op_sel:[0,0,1] op_sel_hi:[1,0,1]
	s_set_vgpr_msb 1                        ;  msbs: dst=0 src0=1 src1=0 src2=0
	v_mul_i32_i24_e32 v83, v64 /*v320*/, v202
	v_mul_i32_i24_e32 v89, v69 /*v325*/, v244
	s_set_vgpr_msb 20                       ;  msbs: dst=0 src0=0 src1=1 src2=1
	v_add3_u32 v90, v90, v29 /*v285*/, v30 /*v286*/
	s_set_vgpr_msb 0                        ;  msbs: dst=0 src0=0 src1=0 src2=0
	v_pk_mul_f16 v84, v198, v84
	s_delay_alu instid0(VALU_DEP_2) | instskip(SKIP_1) | instid1(VALU_DEP_2)
	v_add3_u32 v83, v90, v83, v87
	v_add_nc_u32_e32 v87, 0xc04, v99
	v_add3_u32 v83, v83, v88, v89
	ds_load_2addr_b32 v[90:91], v87 offset1:1
	v_add_nc_u32_e32 v87, 0xc14, v99
	v_cvt_f32_i32_e32 v83, v83
	s_delay_alu instid0(VALU_DEP_1)
	v_fma_mix_f32 v84, v84, v83, v84 op_sel:[0,0,1] op_sel_hi:[1,0,1]
	v_add_nc_u32_e32 v83, 0xc00, v99
	ds_load_2addr_b32 v[88:89], v83 offset0:4 offset1:7
	s_set_vgpr_msb 64                       ;  msbs: dst=1 src0=0 src1=0 src2=0
	ds_load_2addr_b32 v[8:9] /*v[264:265]*/, v87 offset1:1
	ds_load_2addr_b32 v[10:11] /*v[266:267]*/, v83 offset1:3
	s_wait_dscnt 0x3
	v_bfe_i32 v17 /*v273*/, v90, 0, 8
	v_bfe_i32 v18 /*v274*/, v90, 8, 8
	;; [unrolled: 1-line block ×3, first 2 shown]
	s_set_vgpr_msb 0                        ;  msbs: dst=0 src0=0 src1=0 src2=0
	v_ashrrev_i32_e32 v90, 24, v90
	s_set_vgpr_msb 64                       ;  msbs: dst=1 src0=0 src1=0 src2=0
	v_bfe_i32 v23 /*v279*/, v91, 0, 8
	v_bfe_i32 v24 /*v280*/, v91, 8, 8
	;; [unrolled: 1-line block ×3, first 2 shown]
	s_set_vgpr_msb 0                        ;  msbs: dst=0 src0=0 src1=0 src2=0
	v_ashrrev_i32_e32 v91, 24, v91
	s_set_vgpr_msb 0x41                     ;  msbs: dst=1 src0=1 src1=0 src2=0
	v_mul_i32_i24_e32 v41 /*v297*/, v18 /*v274*/, v249
	s_set_vgpr_msb 64                       ;  msbs: dst=1 src0=0 src1=0 src2=0
	v_mul_i32_i24_e32 v43 /*v299*/, v90, v111
	s_set_vgpr_msb 0x41                     ;  msbs: dst=1 src0=1 src1=0 src2=0
	v_mul_i32_i24_e32 v40 /*v296*/, v17 /*v273*/, v251
	v_mul_i32_i24_e32 v42 /*v298*/, v19 /*v275*/, v250
	;; [unrolled: 1-line block ×3, first 2 shown]
	s_set_vgpr_msb 64                       ;  msbs: dst=1 src0=0 src1=0 src2=0
	v_mul_i32_i24_e32 v51 /*v307*/, v91, v112
	s_set_vgpr_msb 0x45                     ;  msbs: dst=1 src0=1 src1=1 src2=0
	v_mul_i32_i24_e32 v48 /*v304*/, v23 /*v279*/, v1 /*v257*/
	s_wait_dscnt 0x2
	s_set_vgpr_msb 64                       ;  msbs: dst=1 src0=0 src1=0 src2=0
	v_bfe_i32 v15 /*v271*/, v88, 8, 8
	v_bfe_i32 v14 /*v270*/, v88, 0, 8
	;; [unrolled: 1-line block ×3, first 2 shown]
	s_set_vgpr_msb 0                        ;  msbs: dst=0 src0=0 src1=0 src2=0
	v_ashrrev_i32_e32 v88, 24, v88
	s_wait_dscnt 0x0
	s_set_vgpr_msb 0x41                     ;  msbs: dst=1 src0=1 src1=0 src2=0
	v_bfe_i32 v7 /*v263*/, v10 /*v266*/, 0, 8
	s_set_vgpr_msb 0x44                     ;  msbs: dst=1 src0=0 src1=1 src2=0
	v_mul_i32_i24_e32 v37 /*v293*/, v247, v15 /*v271*/
	s_set_vgpr_msb 0x41                     ;  msbs: dst=1 src0=1 src1=0 src2=0
	v_bfe_i32 v12 /*v268*/, v10 /*v266*/, 8, 8
	s_set_vgpr_msb 0x44                     ;  msbs: dst=1 src0=0 src1=1 src2=0
	v_mul_i32_i24_e32 v38 /*v294*/, v248, v16 /*v272*/
	s_set_vgpr_msb 64                       ;  msbs: dst=1 src0=0 src1=0 src2=0
	v_mul_i32_i24_e32 v39 /*v295*/, v106, v88
	s_set_vgpr_msb 0x41                     ;  msbs: dst=1 src0=1 src1=0 src2=0
	v_bfe_i32 v13 /*v269*/, v10 /*v266*/, 16, 8
	s_set_vgpr_msb 0x54                     ;  msbs: dst=1 src0=0 src1=1 src2=1
	v_mad_i32_i24 v37 /*v293*/, v246, v14 /*v270*/, v37 /*v293*/
	v_ashrrev_i32_e32 v10 /*v266*/, 24, v10 /*v266*/
	s_set_vgpr_msb 0x55                     ;  msbs: dst=1 src0=1 src1=1 src2=1
	v_bfe_i32 v20 /*v276*/, v8 /*v264*/, 0, 8
	v_bfe_i32 v21 /*v277*/, v8 /*v264*/, 8, 8
	;; [unrolled: 1-line block ×3, first 2 shown]
	v_add3_u32 v37 /*v293*/, v37 /*v293*/, v38 /*v294*/, v39 /*v295*/
	v_ashrrev_i32_e32 v8 /*v264*/, 24, v8 /*v264*/
	s_set_vgpr_msb 0x41                     ;  msbs: dst=1 src0=1 src1=0 src2=0
	v_mul_i32_i24_e32 v44 /*v300*/, v20 /*v276*/, v254
	v_mul_i32_i24_e32 v45 /*v301*/, v21 /*v277*/, v252
	v_mul_i32_i24_e32 v46 /*v302*/, v22 /*v278*/, v253
	s_set_vgpr_msb 0x55                     ;  msbs: dst=1 src0=1 src1=1 src2=1
	v_add3_u32 v37 /*v293*/, v37 /*v293*/, v43 /*v299*/, v41 /*v297*/
	s_set_vgpr_msb 0x41                     ;  msbs: dst=1 src0=1 src1=0 src2=0
	v_mul_i32_i24_e32 v47 /*v303*/, v8 /*v264*/, v107
	v_bfe_i32 v26 /*v282*/, v9 /*v265*/, 0, 8
	v_bfe_i32 v27 /*v283*/, v9 /*v265*/, 8, 8
	v_bfe_i32 v28 /*v284*/, v9 /*v265*/, 16, 8
	s_set_vgpr_msb 0x55                     ;  msbs: dst=1 src0=1 src1=1 src2=1
	v_add3_u32 v37 /*v293*/, v37 /*v293*/, v40 /*v296*/, v42 /*v298*/
	v_ashrrev_i32_e32 v9 /*v265*/, 24, v9 /*v265*/
	v_mul_i32_i24_e32 v50 /*v306*/, v25 /*v281*/, v0 /*v256*/
	v_bfe_i32 v29 /*v285*/, v11 /*v267*/, 0, 8
	v_bfe_i32 v30 /*v286*/, v11 /*v267*/, 8, 8
	v_add3_u32 v37 /*v293*/, v37 /*v293*/, v47 /*v303*/, v44 /*v300*/
	v_bfe_i32 v31 /*v287*/, v11 /*v267*/, 16, 8
	v_ashrrev_i32_e32 v11 /*v267*/, 24, v11 /*v267*/
	s_set_vgpr_msb 0x41                     ;  msbs: dst=1 src0=1 src1=0 src2=0
	v_mul_i32_i24_e32 v52 /*v308*/, v26 /*v282*/, v80
	v_mul_i32_i24_e32 v55 /*v311*/, v9 /*v265*/, v108
	s_set_vgpr_msb 0x55                     ;  msbs: dst=1 src0=1 src1=1 src2=1
	v_add3_u32 v37 /*v293*/, v37 /*v293*/, v45 /*v301*/, v46 /*v302*/
	v_mul_i32_i24_e32 v53 /*v309*/, v27 /*v283*/, v2 /*v258*/
	v_mul_i32_i24_e32 v54 /*v310*/, v28 /*v284*/, v3 /*v259*/
	v_mul_i32_i24_e32 v57 /*v313*/, v30 /*v286*/, v4 /*v260*/
	s_set_vgpr_msb 0x41                     ;  msbs: dst=1 src0=1 src1=0 src2=0
	v_mul_i32_i24_e32 v59 /*v315*/, v11 /*v267*/, v109
	s_set_vgpr_msb 0x55                     ;  msbs: dst=1 src0=1 src1=1 src2=1
	v_add3_u32 v37 /*v293*/, v37 /*v293*/, v51 /*v307*/, v49 /*v305*/
	s_set_vgpr_msb 64                       ;  msbs: dst=1 src0=0 src1=0 src2=0
	v_bfe_i32 v32 /*v288*/, v89, 0, 8
	v_bfe_i32 v33 /*v289*/, v89, 8, 8
	;; [unrolled: 1-line block ×3, first 2 shown]
	s_set_vgpr_msb 0                        ;  msbs: dst=0 src0=0 src1=0 src2=0
	v_ashrrev_i32_e32 v89, 24, v89
	s_set_vgpr_msb 0x55                     ;  msbs: dst=1 src0=1 src1=1 src2=1
	v_add3_u32 v37 /*v293*/, v37 /*v293*/, v48 /*v304*/, v50 /*v306*/
	v_mul_i32_i24_e32 v56 /*v312*/, v29 /*v285*/, v6 /*v262*/
	v_mul_i32_i24_e32 v58 /*v314*/, v31 /*v287*/, v5 /*v261*/
	s_set_vgpr_msb 0x41                     ;  msbs: dst=1 src0=1 src1=0 src2=0
	v_mul_i32_i24_e32 v60 /*v316*/, v32 /*v288*/, v110
	s_set_vgpr_msb 64                       ;  msbs: dst=1 src0=0 src1=0 src2=0
	v_mul_i32_i24_e32 v63 /*v319*/, v89, v226
	s_set_vgpr_msb 0x55                     ;  msbs: dst=1 src0=1 src1=1 src2=1
	v_add3_u32 v37 /*v293*/, v37 /*v293*/, v55 /*v311*/, v52 /*v308*/
	s_set_vgpr_msb 0x41                     ;  msbs: dst=1 src0=1 src1=0 src2=0
	v_mul_i32_i24_e32 v61 /*v317*/, v33 /*v289*/, v225
	v_mul_i32_i24_e32 v62 /*v318*/, v34 /*v290*/, v227
	s_set_vgpr_msb 1                        ;  msbs: dst=0 src0=1 src1=0 src2=0
	v_mul_i32_i24_e32 v83, v7 /*v263*/, v113
	s_set_vgpr_msb 4                        ;  msbs: dst=0 src0=0 src1=1 src2=0
	v_mul_i32_i24_e32 v87, v230, v12 /*v268*/
	s_set_vgpr_msb 0x55                     ;  msbs: dst=1 src0=1 src1=1 src2=1
	v_add3_u32 v37 /*v293*/, v37 /*v293*/, v53 /*v309*/, v54 /*v310*/
	s_set_vgpr_msb 0x44                     ;  msbs: dst=1 src0=0 src1=1 src2=0
	v_mul_i32_i24_e32 v35 /*v291*/, v232, v13 /*v269*/
	v_mul_i32_i24_e32 v36 /*v292*/, v231, v10 /*v266*/
	s_set_vgpr_msb 64                       ;  msbs: dst=1 src0=0 src1=0 src2=0
	v_mul_i32_i24_e32 v38 /*v294*/, v88, v120
	s_set_vgpr_msb 0x41                     ;  msbs: dst=1 src0=1 src1=0 src2=0
	v_mul_i32_i24_e32 v40 /*v296*/, v18 /*v274*/, v122
	s_set_vgpr_msb 0x55                     ;  msbs: dst=1 src0=1 src1=1 src2=1
	v_add3_u32 v37 /*v293*/, v37 /*v293*/, v59 /*v315*/, v57 /*v313*/
	s_set_vgpr_msb 64                       ;  msbs: dst=1 src0=0 src1=0 src2=0
	v_mul_i32_i24_e32 v42 /*v298*/, v90, v124
	s_set_vgpr_msb 0x41                     ;  msbs: dst=1 src0=1 src1=0 src2=0
	v_mul_i32_i24_e32 v39 /*v295*/, v17 /*v273*/, v121
	v_mul_i32_i24_e32 v41 /*v297*/, v19 /*v275*/, v123
	;; [unrolled: 1-line block ×3, first 2 shown]
	s_set_vgpr_msb 0x55                     ;  msbs: dst=1 src0=1 src1=1 src2=1
	v_add3_u32 v37 /*v293*/, v37 /*v293*/, v56 /*v312*/, v58 /*v314*/
	s_set_vgpr_msb 0x41                     ;  msbs: dst=1 src0=1 src1=0 src2=0
	v_mul_i32_i24_e32 v46 /*v302*/, v8 /*v264*/, v127
	v_mul_i32_i24_e32 v44 /*v300*/, v21 /*v277*/, v126
	;; [unrolled: 1-line block ×4, first 2 shown]
	s_set_vgpr_msb 0x55                     ;  msbs: dst=1 src0=1 src1=1 src2=1
	v_add3_u32 v37 /*v293*/, v37 /*v293*/, v63 /*v319*/, v60 /*v316*/
	s_set_vgpr_msb 64                       ;  msbs: dst=1 src0=0 src1=0 src2=0
	v_mul_i32_i24_e32 v50 /*v306*/, v91, v130
	s_set_vgpr_msb 0x41                     ;  msbs: dst=1 src0=1 src1=0 src2=0
	v_mul_i32_i24_e32 v47 /*v303*/, v23 /*v279*/, v129
	v_mul_i32_i24_e32 v49 /*v305*/, v25 /*v281*/, v131
	;; [unrolled: 1-line block ×3, first 2 shown]
	s_set_vgpr_msb 0x55                     ;  msbs: dst=1 src0=1 src1=1 src2=1
	v_add3_u32 v37 /*v293*/, v37 /*v293*/, v61 /*v317*/, v62 /*v318*/
	s_set_vgpr_msb 0x41                     ;  msbs: dst=1 src0=1 src1=0 src2=0
	v_mul_i32_i24_e32 v54 /*v310*/, v9 /*v265*/, v134
	v_mul_i32_i24_e32 v52 /*v308*/, v27 /*v283*/, v133
	;; [unrolled: 1-line block ×4, first 2 shown]
	s_set_vgpr_msb 1                        ;  msbs: dst=0 src0=1 src1=0 src2=0
	v_add3_u32 v83, v37 /*v293*/, v83, v87
	s_set_vgpr_msb 0x41                     ;  msbs: dst=1 src0=1 src1=0 src2=0
	v_mul_i32_i24_e32 v37 /*v293*/, v16 /*v272*/, v116
	v_mul_i32_i24_e32 v58 /*v314*/, v11 /*v267*/, v138
	;; [unrolled: 1-line block ×4, first 2 shown]
	s_set_vgpr_msb 20                       ;  msbs: dst=0 src0=0 src1=1 src2=1
	v_add3_u32 v83, v83, v35 /*v291*/, v36 /*v292*/
	s_set_vgpr_msb 0x41                     ;  msbs: dst=1 src0=1 src1=0 src2=0
	v_mul_i32_i24_e32 v36 /*v292*/, v15 /*v271*/, v119
	s_set_vgpr_msb 0                        ;  msbs: dst=0 src0=0 src1=0 src2=0
	v_pk_mul_f16 v87, v105, v85
	s_set_vgpr_msb 0x41                     ;  msbs: dst=1 src0=1 src1=0 src2=0
	v_mul_i32_i24_e32 v59 /*v315*/, v32 /*v288*/, v139
	s_set_vgpr_msb 64                       ;  msbs: dst=1 src0=0 src1=0 src2=0
	v_mul_i32_i24_e32 v62 /*v318*/, v89, v229
	s_set_vgpr_msb 0                        ;  msbs: dst=0 src0=0 src1=0 src2=0
	v_cvt_f32_i32_e32 v83, v83
	s_set_vgpr_msb 0x51                     ;  msbs: dst=1 src0=1 src1=0 src2=1
	v_mad_i32_i24 v36 /*v292*/, v14 /*v270*/, v115, v36 /*v292*/
	v_mul_i32_i24_e32 v60 /*v316*/, v33 /*v289*/, v228
	v_mul_i32_i24_e32 v61 /*v317*/, v34 /*v290*/, v93
	s_set_vgpr_msb 0x44                     ;  msbs: dst=1 src0=0 src1=1 src2=0
	v_mul_i32_i24_e32 v35 /*v291*/, v234, v10 /*v266*/
	s_set_vgpr_msb 0                        ;  msbs: dst=0 src0=0 src1=0 src2=0
	v_fma_mix_f32 v83, v87, v83, v87 op_sel:[0,0,1] op_sel_hi:[1,0,1]
	s_set_vgpr_msb 0x55                     ;  msbs: dst=1 src0=1 src1=1 src2=1
	v_add3_u32 v36 /*v292*/, v36 /*v292*/, v37 /*v293*/, v38 /*v294*/
	s_set_vgpr_msb 0x41                     ;  msbs: dst=1 src0=1 src1=0 src2=0
	v_mul_i32_i24_e32 v37 /*v293*/, v15 /*v271*/, v145
	v_mul_i32_i24_e32 v38 /*v294*/, v16 /*v272*/, v142
	s_set_vgpr_msb 4                        ;  msbs: dst=0 src0=0 src1=1 src2=0
	v_mul_i32_i24_e32 v87, v235, v13 /*v269*/
	s_set_vgpr_msb 0                        ;  msbs: dst=0 src0=0 src1=0 src2=0
	v_pk_add_f32 v[74:75], v[74:75], v[82:83]
	s_set_vgpr_msb 0x55                     ;  msbs: dst=1 src0=1 src1=1 src2=1
	v_add3_u32 v36 /*v292*/, v36 /*v292*/, v42 /*v298*/, v40 /*v296*/
	s_set_vgpr_msb 0x51                     ;  msbs: dst=1 src0=1 src1=0 src2=1
	v_mad_i32_i24 v37 /*v293*/, v14 /*v270*/, v141, v37 /*v293*/
	v_mul_i32_i24_e32 v40 /*v296*/, v17 /*v273*/, v147
	v_mul_i32_i24_e32 v42 /*v298*/, v19 /*v275*/, v149
	s_set_vgpr_msb 1                        ;  msbs: dst=0 src0=1 src1=0 src2=0
	v_mul_i32_i24_e32 v82, v7 /*v263*/, v118
	s_set_vgpr_msb 0x55                     ;  msbs: dst=1 src0=1 src1=1 src2=1
	v_add3_u32 v36 /*v292*/, v36 /*v292*/, v39 /*v295*/, v41 /*v297*/
	s_set_vgpr_msb 64                       ;  msbs: dst=1 src0=0 src1=0 src2=0
	v_mul_i32_i24_e32 v39 /*v295*/, v88, v146
	s_set_vgpr_msb 0x41                     ;  msbs: dst=1 src0=1 src1=0 src2=0
	v_mul_i32_i24_e32 v41 /*v297*/, v18 /*v274*/, v148
	s_set_vgpr_msb 4                        ;  msbs: dst=0 src0=0 src1=1 src2=0
	v_mul_i32_i24_e32 v83, v233, v12 /*v268*/
	s_set_vgpr_msb 64                       ;  msbs: dst=1 src0=0 src1=0 src2=0
	v_mul_i32_i24_e32 v63 /*v319*/, v89, v237
	s_set_vgpr_msb 0x55                     ;  msbs: dst=1 src0=1 src1=1 src2=1
	v_add3_u32 v36 /*v292*/, v36 /*v292*/, v46 /*v302*/, v43 /*v299*/
	s_set_vgpr_msb 64                       ;  msbs: dst=1 src0=0 src1=0 src2=0
	v_mul_i32_i24_e32 v43 /*v299*/, v90, v150
	s_set_vgpr_msb 0x55                     ;  msbs: dst=1 src0=1 src1=1 src2=1
	v_add3_u32 v37 /*v293*/, v37 /*v293*/, v38 /*v294*/, v39 /*v295*/
	s_set_vgpr_msb 0x41                     ;  msbs: dst=1 src0=1 src1=0 src2=0
	v_mul_i32_i24_e32 v46 /*v302*/, v22 /*v278*/, v143
	s_set_vgpr_msb 0                        ;  msbs: dst=0 src0=0 src1=0 src2=0
	v_mul_i32_i24_e32 v88, v88, v204
	s_set_vgpr_msb 0x55                     ;  msbs: dst=1 src0=1 src1=1 src2=1
	v_add3_u32 v36 /*v292*/, v36 /*v292*/, v44 /*v300*/, v45 /*v301*/
	s_set_vgpr_msb 0x41                     ;  msbs: dst=1 src0=1 src1=0 src2=0
	v_mul_i32_i24_e32 v44 /*v300*/, v20 /*v276*/, v151
	s_set_vgpr_msb 0x55                     ;  msbs: dst=1 src0=1 src1=1 src2=1
	v_add3_u32 v37 /*v293*/, v37 /*v293*/, v43 /*v299*/, v41 /*v297*/
	s_set_vgpr_msb 0x41                     ;  msbs: dst=1 src0=1 src1=0 src2=0
	v_mul_i32_i24_e32 v45 /*v301*/, v21 /*v277*/, v152
	s_set_vgpr_msb 0                        ;  msbs: dst=0 src0=0 src1=0 src2=0
	v_mul_i32_i24_e32 v90, v90, v208
	s_set_vgpr_msb 0x55                     ;  msbs: dst=1 src0=1 src1=1 src2=1
	v_add3_u32 v36 /*v292*/, v36 /*v292*/, v50 /*v306*/, v48 /*v304*/
	s_set_vgpr_msb 0x41                     ;  msbs: dst=1 src0=1 src1=0 src2=0
	v_mul_i32_i24_e32 v48 /*v304*/, v23 /*v279*/, v187
	;; [unrolled: 10-line block ×3, first 2 shown]
	v_mul_i32_i24_e32 v49 /*v305*/, v24 /*v280*/, v153
	v_mul_i32_i24_e32 v8 /*v264*/, v8 /*v264*/, v211
	s_set_vgpr_msb 0x55                     ;  msbs: dst=1 src0=1 src1=1 src2=1
	v_add3_u32 v36 /*v292*/, v36 /*v292*/, v54 /*v310*/, v51 /*v307*/
	v_add3_u32 v37 /*v293*/, v37 /*v293*/, v47 /*v303*/, v44 /*v300*/
	s_set_vgpr_msb 64                       ;  msbs: dst=1 src0=0 src1=0 src2=0
	v_mul_i32_i24_e32 v51 /*v307*/, v91, v188
	s_set_vgpr_msb 0x41                     ;  msbs: dst=1 src0=1 src1=0 src2=0
	v_mul_i32_i24_e32 v54 /*v310*/, v28 /*v284*/, v96
	s_set_vgpr_msb 0                        ;  msbs: dst=0 src0=0 src1=0 src2=0
	v_mul_i32_i24_e32 v91, v91, v214
	s_set_vgpr_msb 0x55                     ;  msbs: dst=1 src0=1 src1=1 src2=1
	v_add3_u32 v36 /*v292*/, v36 /*v292*/, v52 /*v308*/, v53 /*v309*/
	v_add3_u32 v37 /*v293*/, v37 /*v293*/, v45 /*v301*/, v46 /*v302*/
	s_set_vgpr_msb 0x41                     ;  msbs: dst=1 src0=1 src1=0 src2=0
	v_mul_i32_i24_e32 v52 /*v308*/, v26 /*v282*/, v190
	v_mul_i32_i24_e32 v53 /*v309*/, v27 /*v283*/, v191
	s_set_vgpr_msb 0x55                     ;  msbs: dst=1 src0=1 src1=1 src2=1
	v_add3_u32 v36 /*v292*/, v36 /*v292*/, v58 /*v314*/, v56 /*v312*/
	v_add3_u32 v37 /*v293*/, v37 /*v293*/, v51 /*v307*/, v49 /*v305*/
	s_set_vgpr_msb 0x41                     ;  msbs: dst=1 src0=1 src1=0 src2=0
	v_mul_i32_i24_e32 v56 /*v312*/, v29 /*v285*/, v194
	v_mul_i32_i24_e32 v58 /*v314*/, v31 /*v287*/, v195
	s_set_vgpr_msb 0x55                     ;  msbs: dst=1 src0=1 src1=1 src2=1
	v_add3_u32 v36 /*v292*/, v36 /*v292*/, v55 /*v311*/, v57 /*v313*/
	s_set_vgpr_msb 0x41                     ;  msbs: dst=1 src0=1 src1=0 src2=0
	v_mul_i32_i24_e32 v55 /*v311*/, v9 /*v265*/, v192
	s_set_vgpr_msb 0x55                     ;  msbs: dst=1 src0=1 src1=1 src2=1
	v_add3_u32 v37 /*v293*/, v37 /*v293*/, v48 /*v304*/, v50 /*v306*/
	s_set_vgpr_msb 0x41                     ;  msbs: dst=1 src0=1 src1=0 src2=0
	v_mul_i32_i24_e32 v57 /*v313*/, v30 /*v286*/, v193
	v_mul_i32_i24_e32 v9 /*v265*/, v9 /*v265*/, v218
	s_set_vgpr_msb 0x55                     ;  msbs: dst=1 src0=1 src1=1 src2=1
	v_add3_u32 v36 /*v292*/, v36 /*v292*/, v62 /*v318*/, v59 /*v315*/
	s_set_vgpr_msb 0x41                     ;  msbs: dst=1 src0=1 src1=0 src2=0
	v_mul_i32_i24_e32 v59 /*v315*/, v11 /*v267*/, v196
	s_set_vgpr_msb 0x55                     ;  msbs: dst=1 src0=1 src1=1 src2=1
	;; [unrolled: 9-line block ×3, first 2 shown]
	v_add3_u32 v37 /*v293*/, v37 /*v293*/, v53 /*v309*/, v54 /*v310*/
	s_set_vgpr_msb 0x41                     ;  msbs: dst=1 src0=1 src1=0 src2=0
	v_mul_i32_i24_e32 v61 /*v317*/, v33 /*v289*/, v236
	s_set_vgpr_msb 1                        ;  msbs: dst=0 src0=1 src1=0 src2=0
	v_add3_u32 v82, v36 /*v292*/, v82, v83
	s_set_vgpr_msb 0                        ;  msbs: dst=0 src0=0 src1=0 src2=0
	v_pk_mul_f16 v83, v114, v85
	s_set_vgpr_msb 0x55                     ;  msbs: dst=1 src0=1 src1=1 src2=1
	v_add3_u32 v37 /*v293*/, v37 /*v293*/, v59 /*v315*/, v57 /*v313*/
	s_set_vgpr_msb 0x44                     ;  msbs: dst=1 src0=0 src1=1 src2=0
	v_mul_i32_i24_e32 v36 /*v292*/, v239, v10 /*v266*/
	s_set_vgpr_msb 16                       ;  msbs: dst=0 src0=0 src1=0 src2=1
	v_add3_u32 v82, v82, v87, v35 /*v291*/
	s_set_vgpr_msb 4                        ;  msbs: dst=0 src0=0 src1=1 src2=0
	v_mul_i32_i24_e32 v87, v238, v12 /*v268*/
	s_set_vgpr_msb 0x55                     ;  msbs: dst=1 src0=1 src1=1 src2=1
	v_add3_u32 v37 /*v293*/, v37 /*v293*/, v56 /*v312*/, v58 /*v314*/
	s_set_vgpr_msb 0x44                     ;  msbs: dst=1 src0=0 src1=1 src2=0
	v_mul_i32_i24_e32 v35 /*v291*/, v94, v13 /*v269*/
	s_set_vgpr_msb 0                        ;  msbs: dst=0 src0=0 src1=0 src2=0
	v_cvt_f32_i32_e32 v82, v82
	s_set_vgpr_msb 0x55                     ;  msbs: dst=1 src0=1 src1=1 src2=1
	v_add3_u32 v37 /*v293*/, v37 /*v293*/, v63 /*v319*/, v60 /*v316*/
	s_set_vgpr_msb 0                        ;  msbs: dst=0 src0=0 src1=0 src2=0
	s_delay_alu instid0(VALU_DEP_2)
	v_fma_mix_f32 v83, v83, v82, v83 op_sel:[0,0,1] op_sel_hi:[1,0,1]
	s_set_vgpr_msb 1                        ;  msbs: dst=0 src0=1 src1=0 src2=0
	v_mul_i32_i24_e32 v82, v7 /*v263*/, v144
	s_set_vgpr_msb 0x55                     ;  msbs: dst=1 src0=1 src1=1 src2=1
	v_add3_u32 v37 /*v293*/, v37 /*v293*/, v61 /*v317*/, v62 /*v318*/
	s_set_vgpr_msb 1                        ;  msbs: dst=0 src0=1 src1=0 src2=0
	s_delay_alu instid0(VALU_DEP_1)
	v_add3_u32 v82, v37 /*v293*/, v82, v87
	s_set_vgpr_msb 0                        ;  msbs: dst=0 src0=0 src1=0 src2=0
	v_pk_mul_f16 v87, v140, v85
	v_pk_mul_f16 v85, v198, v85
	s_set_vgpr_msb 20                       ;  msbs: dst=0 src0=0 src1=1 src2=1
	v_add3_u32 v82, v82, v35 /*v291*/, v36 /*v292*/
	s_delay_alu instid0(VALU_DEP_1) | instskip(SKIP_1) | instid1(VALU_DEP_1)
	v_cvt_f32_i32_e32 v82, v82
	s_set_vgpr_msb 0                        ;  msbs: dst=0 src0=0 src1=0 src2=0
	v_fma_mix_f32 v87, v87, v82, v87 op_sel:[0,0,1] op_sel_hi:[1,0,1]
	s_set_vgpr_msb 1                        ;  msbs: dst=0 src0=1 src1=0 src2=0
	v_mul_i32_i24_e32 v82, v7 /*v263*/, v202
	s_set_vgpr_msb 0x44                     ;  msbs: dst=1 src0=0 src1=1 src2=0
	v_mul_i32_i24_e32 v7 /*v263*/, v244, v10 /*v266*/
	s_set_vgpr_msb 0x41                     ;  msbs: dst=1 src0=1 src1=0 src2=0
	v_mul_i32_i24_e32 v10 /*v266*/, v15 /*v271*/, v203
	v_mul_i32_i24_e32 v15 /*v271*/, v18 /*v274*/, v206
	s_set_vgpr_msb 0                        ;  msbs: dst=0 src0=0 src1=0 src2=0
	v_pk_add_f32 v[52:53], v[52:53], v[86:87]
	s_set_vgpr_msb 4                        ;  msbs: dst=0 src0=0 src1=1 src2=0
	v_mul_i32_i24_e32 v86, v243, v12 /*v268*/
	s_set_vgpr_msb 0x51                     ;  msbs: dst=1 src0=1 src1=0 src2=1
	v_mul_i32_i24_e32 v12 /*v268*/, v16 /*v272*/, v200
	v_mad_i32_i24 v10 /*v266*/, v14 /*v270*/, v199, v10 /*v266*/
	s_set_vgpr_msb 4                        ;  msbs: dst=0 src0=0 src1=1 src2=0
	v_mul_i32_i24_e32 v87, v245, v13 /*v269*/
	s_set_vgpr_msb 0x41                     ;  msbs: dst=1 src0=1 src1=0 src2=0
	v_mul_i32_i24_e32 v13 /*v269*/, v17 /*v273*/, v205
	v_mul_i32_i24_e32 v16 /*v272*/, v19 /*v275*/, v207
	;; [unrolled: 1-line block ×3, first 2 shown]
	s_set_vgpr_msb 5                        ;  msbs: dst=0 src0=1 src1=1 src2=0
	v_add3_u32 v88, v10 /*v266*/, v12 /*v268*/, v88
	s_set_vgpr_msb 0x41                     ;  msbs: dst=1 src0=1 src1=0 src2=0
	v_mul_i32_i24_e32 v18 /*v274*/, v21 /*v277*/, v210
	v_mul_i32_i24_e32 v19 /*v275*/, v22 /*v278*/, v201
	;; [unrolled: 1-line block ×4, first 2 shown]
	s_set_vgpr_msb 16                       ;  msbs: dst=0 src0=0 src1=0 src2=1
	v_add3_u32 v88, v88, v90, v15 /*v271*/
	s_set_vgpr_msb 0x41                     ;  msbs: dst=1 src0=1 src1=0 src2=0
	v_mul_i32_i24_e32 v22 /*v278*/, v25 /*v281*/, v215
	v_mul_i32_i24_e32 v23 /*v279*/, v26 /*v282*/, v216
	;; [unrolled: 1-line block ×4, first 2 shown]
	s_set_vgpr_msb 20                       ;  msbs: dst=0 src0=0 src1=1 src2=1
	v_add3_u32 v88, v88, v13 /*v269*/, v16 /*v272*/
	s_set_vgpr_msb 0x41                     ;  msbs: dst=1 src0=1 src1=0 src2=0
	v_mul_i32_i24_e32 v27 /*v283*/, v30 /*v286*/, v220
	v_mul_i32_i24_e32 v26 /*v282*/, v29 /*v285*/, v221
	;; [unrolled: 1-line block ×4, first 2 shown]
	s_set_vgpr_msb 20                       ;  msbs: dst=0 src0=0 src1=1 src2=1
	v_add3_u32 v88, v88, v8 /*v264*/, v17 /*v273*/
	s_set_vgpr_msb 0x41                     ;  msbs: dst=1 src0=1 src1=0 src2=0
	v_mul_i32_i24_e32 v30 /*v286*/, v33 /*v289*/, v240
	v_mul_i32_i24_e32 v31 /*v287*/, v34 /*v290*/, v242
	s_set_vgpr_msb 20                       ;  msbs: dst=0 src0=0 src1=1 src2=1
	v_add3_u32 v88, v88, v18 /*v274*/, v19 /*v275*/
	s_set_vgpr_msb 16                       ;  msbs: dst=0 src0=0 src1=0 src2=1
	s_delay_alu instid0(VALU_DEP_1) | instskip(SKIP_1) | instid1(VALU_DEP_1)
	v_add3_u32 v88, v88, v91, v21 /*v277*/
	s_set_vgpr_msb 20                       ;  msbs: dst=0 src0=0 src1=1 src2=1
	v_add3_u32 v88, v88, v20 /*v276*/, v22 /*v278*/
	s_delay_alu instid0(VALU_DEP_1) | instskip(NEXT) | instid1(VALU_DEP_1)
	v_add3_u32 v88, v88, v9 /*v265*/, v23 /*v279*/
	v_add3_u32 v88, v88, v24 /*v280*/, v25 /*v281*/
	s_delay_alu instid0(VALU_DEP_1) | instskip(NEXT) | instid1(VALU_DEP_1)
	v_add3_u32 v88, v88, v11 /*v267*/, v27 /*v283*/
	v_add3_u32 v88, v88, v26 /*v282*/, v28 /*v284*/
	s_set_vgpr_msb 16                       ;  msbs: dst=0 src0=0 src1=0 src2=1
	s_delay_alu instid0(VALU_DEP_1) | instskip(SKIP_1) | instid1(VALU_DEP_1)
	v_add3_u32 v88, v88, v89, v29 /*v285*/
	s_set_vgpr_msb 20                       ;  msbs: dst=0 src0=0 src1=1 src2=1
	v_add3_u32 v88, v88, v30 /*v286*/, v31 /*v287*/
	s_set_vgpr_msb 0                        ;  msbs: dst=0 src0=0 src1=0 src2=0
	s_delay_alu instid0(VALU_DEP_1) | instskip(SKIP_1) | instid1(VALU_DEP_1)
	v_add3_u32 v82, v88, v82, v86
	s_set_vgpr_msb 16                       ;  msbs: dst=0 src0=0 src1=0 src2=1
	v_add3_u32 v82, v82, v87, v7 /*v263*/
	s_delay_alu instid0(VALU_DEP_1) | instskip(SKIP_1) | instid1(VALU_DEP_1)
	v_cvt_f32_i32_e32 v82, v82
	s_set_vgpr_msb 0                        ;  msbs: dst=0 src0=0 src1=0 src2=0
	v_fma_mix_f32 v85, v85, v82, v85 op_sel:[0,0,1] op_sel_hi:[1,0,1]
	v_add_nc_u32_e32 v82, 0x1000, v99
	s_delay_alu instid0(VALU_DEP_2)
	v_pk_add_f32 v[60:61], v[60:61], v[84:85]
	ds_load_2addr_b32 v[86:87], v82 offset0:4 offset1:7
	v_add_nc_u32_e32 v84, 0x1004, v99
	ds_load_2addr_b32 v[88:89], v84 offset1:1
	v_add_nc_u32_e32 v84, 0x1014, v99
	ds_load_2addr_b32 v[90:91], v84 offset1:1
	s_set_vgpr_msb 64                       ;  msbs: dst=1 src0=0 src1=0 src2=0
	ds_load_2addr_b32 v[8:9] /*v[264:265]*/, v82 offset1:3
	s_set_vgpr_msb 0                        ;  msbs: dst=0 src0=0 src1=0 src2=0
	ds_load_2addr_b32 v[84:85], v98 offset0:128 offset1:160
	s_wait_dscnt 0x4
	s_set_vgpr_msb 64                       ;  msbs: dst=1 src0=0 src1=0 src2=0
	v_bfe_i32 v12 /*v268*/, v86, 8, 8
	v_bfe_i32 v11 /*v267*/, v86, 0, 8
	v_bfe_i32 v13 /*v269*/, v86, 16, 8
	v_ashrrev_i32_e32 v14 /*v270*/, 24, v86
	v_bfe_i32 v32 /*v288*/, v87, 0, 8
	s_set_vgpr_msb 0x44                     ;  msbs: dst=1 src0=0 src1=1 src2=0
	v_mul_i32_i24_e32 v36 /*v292*/, v247, v12 /*v268*/
	s_wait_dscnt 0x3
	v_bfe_i32 v16 /*v272*/, v88, 8, 8
	s_set_vgpr_msb 64                       ;  msbs: dst=1 src0=0 src1=0 src2=0
	v_ashrrev_i32_e32 v18 /*v274*/, 24, v88
	s_set_vgpr_msb 0x54                     ;  msbs: dst=1 src0=0 src1=1 src2=1
	v_mul_i32_i24_e32 v37 /*v293*/, v248, v13 /*v269*/
	v_mul_i32_i24_e32 v38 /*v294*/, v106, v14 /*v270*/
	v_mad_i32_i24 v36 /*v292*/, v246, v11 /*v267*/, v36 /*v292*/
	v_bfe_i32 v15 /*v271*/, v88, 0, 8
	v_bfe_i32 v17 /*v273*/, v88, 16, 8
	s_set_vgpr_msb 0x41                     ;  msbs: dst=1 src0=1 src1=0 src2=0
	v_mul_i32_i24_e32 v40 /*v296*/, v16 /*v272*/, v249
	v_mul_i32_i24_e32 v42 /*v298*/, v18 /*v274*/, v111
	s_set_vgpr_msb 0x55                     ;  msbs: dst=1 src0=1 src1=1 src2=1
	v_add3_u32 v36 /*v292*/, v36 /*v292*/, v37 /*v293*/, v38 /*v294*/
	s_wait_dscnt 0x2
	s_set_vgpr_msb 64                       ;  msbs: dst=1 src0=0 src1=0 src2=0
	v_bfe_i32 v19 /*v275*/, v90, 0, 8
	v_ashrrev_i32_e32 v22 /*v278*/, 24, v90
	s_set_vgpr_msb 0x41                     ;  msbs: dst=1 src0=1 src1=0 src2=0
	v_mul_i32_i24_e32 v39 /*v295*/, v15 /*v271*/, v251
	v_mul_i32_i24_e32 v41 /*v297*/, v17 /*v273*/, v250
	s_set_vgpr_msb 0x55                     ;  msbs: dst=1 src0=1 src1=1 src2=1
	v_add3_u32 v36 /*v292*/, v36 /*v292*/, v42 /*v298*/, v40 /*v296*/
	s_set_vgpr_msb 64                       ;  msbs: dst=1 src0=0 src1=0 src2=0
	v_bfe_i32 v20 /*v276*/, v90, 8, 8
	v_bfe_i32 v21 /*v277*/, v90, 16, 8
	s_set_vgpr_msb 0x41                     ;  msbs: dst=1 src0=1 src1=0 src2=0
	v_mul_i32_i24_e32 v43 /*v299*/, v19 /*v275*/, v254
	v_mul_i32_i24_e32 v46 /*v302*/, v22 /*v278*/, v107
	s_set_vgpr_msb 0x55                     ;  msbs: dst=1 src0=1 src1=1 src2=1
	v_add3_u32 v36 /*v292*/, v36 /*v292*/, v39 /*v295*/, v41 /*v297*/
	s_set_vgpr_msb 0x41                     ;  msbs: dst=1 src0=1 src1=0 src2=0
	v_mul_i32_i24_e32 v37 /*v293*/, v12 /*v268*/, v119
	s_set_vgpr_msb 64                       ;  msbs: dst=1 src0=0 src1=0 src2=0
	v_bfe_i32 v23 /*v279*/, v89, 0, 8
	v_bfe_i32 v24 /*v280*/, v89, 8, 8
	;; [unrolled: 1-line block ×3, first 2 shown]
	s_set_vgpr_msb 0                        ;  msbs: dst=0 src0=0 src1=0 src2=0
	v_ashrrev_i32_e32 v89, 24, v89
	s_set_vgpr_msb 0x41                     ;  msbs: dst=1 src0=1 src1=0 src2=0
	v_mul_i32_i24_e32 v44 /*v300*/, v20 /*v276*/, v252
	v_mul_i32_i24_e32 v45 /*v301*/, v21 /*v277*/, v253
	s_set_vgpr_msb 0x55                     ;  msbs: dst=1 src0=1 src1=1 src2=1
	v_add3_u32 v36 /*v292*/, v36 /*v292*/, v46 /*v302*/, v43 /*v299*/
	s_set_vgpr_msb 0x51                     ;  msbs: dst=1 src0=1 src1=0 src2=1
	v_mul_i32_i24_e32 v38 /*v294*/, v13 /*v269*/, v116
	v_mul_i32_i24_e32 v39 /*v295*/, v14 /*v270*/, v120
	v_mad_i32_i24 v37 /*v293*/, v11 /*v267*/, v115, v37 /*v293*/
	s_set_vgpr_msb 64                       ;  msbs: dst=1 src0=0 src1=0 src2=0
	v_bfe_i32 v33 /*v289*/, v87, 8, 8
	v_bfe_i32 v34 /*v290*/, v87, 16, 8
	s_set_vgpr_msb 0                        ;  msbs: dst=0 src0=0 src1=0 src2=0
	v_ashrrev_i32_e32 v87, 24, v87
	s_set_vgpr_msb 0x41                     ;  msbs: dst=1 src0=1 src1=0 src2=0
	v_mul_i32_i24_e32 v48 /*v304*/, v24 /*v280*/, v255
	s_set_vgpr_msb 64                       ;  msbs: dst=1 src0=0 src1=0 src2=0
	v_mul_i32_i24_e32 v50 /*v306*/, v89, v112
	s_set_vgpr_msb 0x55                     ;  msbs: dst=1 src0=1 src1=1 src2=1
	v_add3_u32 v36 /*v292*/, v36 /*v292*/, v44 /*v300*/, v45 /*v301*/
	s_set_vgpr_msb 0x41                     ;  msbs: dst=1 src0=1 src1=0 src2=0
	v_mul_i32_i24_e32 v41 /*v297*/, v16 /*v272*/, v122
	v_mul_i32_i24_e32 v43 /*v299*/, v18 /*v274*/, v124
	s_set_vgpr_msb 0x55                     ;  msbs: dst=1 src0=1 src1=1 src2=1
	v_add3_u32 v37 /*v293*/, v37 /*v293*/, v38 /*v294*/, v39 /*v295*/
	s_set_vgpr_msb 64                       ;  msbs: dst=1 src0=0 src1=0 src2=0
	v_bfe_i32 v26 /*v282*/, v91, 0, 8
	v_bfe_i32 v27 /*v283*/, v91, 8, 8
	;; [unrolled: 1-line block ×3, first 2 shown]
	s_set_vgpr_msb 0                        ;  msbs: dst=0 src0=0 src1=0 src2=0
	v_ashrrev_i32_e32 v91, 24, v91
	s_set_vgpr_msb 0x55                     ;  msbs: dst=1 src0=1 src1=1 src2=1
	v_mul_i32_i24_e32 v47 /*v303*/, v23 /*v279*/, v1 /*v257*/
	v_mul_i32_i24_e32 v49 /*v305*/, v25 /*v281*/, v0 /*v256*/
	v_add3_u32 v36 /*v292*/, v36 /*v292*/, v50 /*v306*/, v48 /*v304*/
	s_set_vgpr_msb 0x41                     ;  msbs: dst=1 src0=1 src1=0 src2=0
	v_mul_i32_i24_e32 v40 /*v296*/, v15 /*v271*/, v121
	v_mul_i32_i24_e32 v42 /*v298*/, v17 /*v273*/, v123
	s_set_vgpr_msb 0x55                     ;  msbs: dst=1 src0=1 src1=1 src2=1
	v_add3_u32 v37 /*v293*/, v37 /*v293*/, v43 /*v299*/, v41 /*v297*/
	s_set_vgpr_msb 0x41                     ;  msbs: dst=1 src0=1 src1=0 src2=0
	v_mul_i32_i24_e32 v51 /*v307*/, v26 /*v282*/, v80
	s_set_vgpr_msb 64                       ;  msbs: dst=1 src0=0 src1=0 src2=0
	v_mul_i32_i24_e32 v54 /*v310*/, v91, v108
	s_set_vgpr_msb 0x55                     ;  msbs: dst=1 src0=1 src1=1 src2=1
	v_add3_u32 v36 /*v292*/, v36 /*v292*/, v47 /*v303*/, v49 /*v305*/
	s_set_vgpr_msb 0x41                     ;  msbs: dst=1 src0=1 src1=0 src2=0
	v_mul_i32_i24_e32 v44 /*v300*/, v19 /*v275*/, v125
	v_mul_i32_i24_e32 v47 /*v303*/, v22 /*v278*/, v127
	s_set_vgpr_msb 0x55                     ;  msbs: dst=1 src0=1 src1=1 src2=1
	v_add3_u32 v37 /*v293*/, v37 /*v293*/, v40 /*v296*/, v42 /*v298*/
	s_set_vgpr_msb 0x41                     ;  msbs: dst=1 src0=1 src1=0 src2=0
	v_mul_i32_i24_e32 v38 /*v294*/, v12 /*v268*/, v145
	v_mul_i32_i24_e32 v12 /*v268*/, v12 /*v268*/, v203
	s_wait_dscnt 0x1
	s_set_vgpr_msb 1                        ;  msbs: dst=0 src0=1 src1=0 src2=0
	v_bfe_i32 v82, v8 /*v264*/, 0, 8
	s_set_vgpr_msb 0x41                     ;  msbs: dst=1 src0=1 src1=0 src2=0
	v_bfe_i32 v7 /*v263*/, v8 /*v264*/, 8, 8
	v_bfe_i32 v10 /*v266*/, v8 /*v264*/, 16, 8
	s_set_vgpr_msb 0x44                     ;  msbs: dst=1 src0=0 src1=1 src2=0
	v_ashrrev_i32_e32 v8 /*v264*/, 24, v8 /*v264*/
	s_set_vgpr_msb 0x41                     ;  msbs: dst=1 src0=1 src1=0 src2=0
	v_bfe_i32 v29 /*v285*/, v9 /*v265*/, 0, 8
	v_bfe_i32 v30 /*v286*/, v9 /*v265*/, 8, 8
	;; [unrolled: 1-line block ×3, first 2 shown]
	s_set_vgpr_msb 0x55                     ;  msbs: dst=1 src0=1 src1=1 src2=1
	v_ashrrev_i32_e32 v9 /*v265*/, 24, v9 /*v265*/
	v_mul_i32_i24_e32 v52 /*v308*/, v27 /*v283*/, v2 /*v258*/
	v_mul_i32_i24_e32 v53 /*v309*/, v28 /*v284*/, v3 /*v259*/
	v_add3_u32 v36 /*v292*/, v36 /*v292*/, v54 /*v310*/, v51 /*v307*/
	s_set_vgpr_msb 0x41                     ;  msbs: dst=1 src0=1 src1=0 src2=0
	v_mul_i32_i24_e32 v45 /*v301*/, v20 /*v276*/, v126
	v_mul_i32_i24_e32 v46 /*v302*/, v21 /*v277*/, v117
	s_set_vgpr_msb 0x55                     ;  msbs: dst=1 src0=1 src1=1 src2=1
	v_add3_u32 v37 /*v293*/, v37 /*v293*/, v47 /*v303*/, v44 /*v300*/
	s_set_vgpr_msb 0x51                     ;  msbs: dst=1 src0=1 src1=0 src2=1
	v_mul_i32_i24_e32 v39 /*v295*/, v13 /*v269*/, v142
	v_mul_i32_i24_e32 v40 /*v296*/, v14 /*v270*/, v146
	v_mad_i32_i24 v38 /*v294*/, v11 /*v267*/, v141, v38 /*v294*/
	v_mul_i32_i24_e32 v13 /*v269*/, v13 /*v269*/, v200
	v_mul_i32_i24_e32 v14 /*v270*/, v14 /*v270*/, v204
	v_mad_i32_i24 v11 /*v267*/, v11 /*v267*/, v199, v12 /*v268*/
	s_set_vgpr_msb 0x45                     ;  msbs: dst=1 src0=1 src1=1 src2=0
	v_mul_i32_i24_e32 v56 /*v312*/, v30 /*v286*/, v4 /*v260*/
	s_set_vgpr_msb 0x41                     ;  msbs: dst=1 src0=1 src1=0 src2=0
	v_mul_i32_i24_e32 v58 /*v314*/, v9 /*v265*/, v109
	s_set_vgpr_msb 0x55                     ;  msbs: dst=1 src0=1 src1=1 src2=1
	v_add3_u32 v36 /*v292*/, v36 /*v292*/, v52 /*v308*/, v53 /*v309*/
	s_set_vgpr_msb 0x41                     ;  msbs: dst=1 src0=1 src1=0 src2=0
	v_mul_i32_i24_e32 v49 /*v305*/, v24 /*v280*/, v128
	s_set_vgpr_msb 64                       ;  msbs: dst=1 src0=0 src1=0 src2=0
	v_mul_i32_i24_e32 v51 /*v307*/, v89, v130
	s_set_vgpr_msb 0x55                     ;  msbs: dst=1 src0=1 src1=1 src2=1
	v_add3_u32 v37 /*v293*/, v37 /*v293*/, v45 /*v301*/, v46 /*v302*/
	s_set_vgpr_msb 0x41                     ;  msbs: dst=1 src0=1 src1=0 src2=0
	v_mul_i32_i24_e32 v42 /*v298*/, v16 /*v272*/, v148
	v_mul_i32_i24_e32 v44 /*v300*/, v18 /*v274*/, v150
	;; [unrolled: 1-line block ×4, first 2 shown]
	s_set_vgpr_msb 0x55                     ;  msbs: dst=1 src0=1 src1=1 src2=1
	v_add3_u32 v11 /*v267*/, v11 /*v267*/, v13 /*v269*/, v14 /*v270*/
	v_mul_i32_i24_e32 v55 /*v311*/, v29 /*v285*/, v6 /*v262*/
	v_mul_i32_i24_e32 v57 /*v313*/, v31 /*v287*/, v5 /*v261*/
	v_add3_u32 v36 /*v292*/, v36 /*v292*/, v58 /*v314*/, v56 /*v312*/
	s_set_vgpr_msb 0x41                     ;  msbs: dst=1 src0=1 src1=0 src2=0
	v_mul_i32_i24_e32 v48 /*v304*/, v23 /*v279*/, v129
	v_mul_i32_i24_e32 v50 /*v306*/, v25 /*v281*/, v131
	s_set_vgpr_msb 0x55                     ;  msbs: dst=1 src0=1 src1=1 src2=1
	v_add3_u32 v37 /*v293*/, v37 /*v293*/, v51 /*v307*/, v49 /*v305*/
	s_set_vgpr_msb 0x41                     ;  msbs: dst=1 src0=1 src1=0 src2=0
	v_mul_i32_i24_e32 v41 /*v297*/, v15 /*v271*/, v147
	v_mul_i32_i24_e32 v43 /*v299*/, v17 /*v273*/, v149
	;; [unrolled: 1-line block ×4, first 2 shown]
	s_set_vgpr_msb 0x55                     ;  msbs: dst=1 src0=1 src1=1 src2=1
	v_add3_u32 v11 /*v267*/, v11 /*v267*/, v18 /*v274*/, v16 /*v272*/
	s_set_vgpr_msb 0x41                     ;  msbs: dst=1 src0=1 src1=0 src2=0
	v_mul_i32_i24_e32 v59 /*v315*/, v32 /*v288*/, v110
	s_set_vgpr_msb 64                       ;  msbs: dst=1 src0=0 src1=0 src2=0
	v_mul_i32_i24_e32 v62 /*v318*/, v87, v226
	s_set_vgpr_msb 0x55                     ;  msbs: dst=1 src0=1 src1=1 src2=1
	v_add3_u32 v36 /*v292*/, v36 /*v292*/, v55 /*v311*/, v57 /*v313*/
	s_set_vgpr_msb 0x41                     ;  msbs: dst=1 src0=1 src1=0 src2=0
	v_mul_i32_i24_e32 v52 /*v308*/, v26 /*v282*/, v132
	s_set_vgpr_msb 64                       ;  msbs: dst=1 src0=0 src1=0 src2=0
	v_mul_i32_i24_e32 v55 /*v311*/, v91, v134
	s_set_vgpr_msb 0x55                     ;  msbs: dst=1 src0=1 src1=1 src2=1
	v_add3_u32 v37 /*v293*/, v37 /*v293*/, v48 /*v304*/, v50 /*v306*/
	s_set_vgpr_msb 0x41                     ;  msbs: dst=1 src0=1 src1=0 src2=0
	v_mul_i32_i24_e32 v45 /*v301*/, v19 /*v275*/, v151
	v_mul_i32_i24_e32 v48 /*v304*/, v22 /*v278*/, v95
	s_set_vgpr_msb 0x55                     ;  msbs: dst=1 src0=1 src1=1 src2=1
	v_add3_u32 v38 /*v294*/, v38 /*v294*/, v39 /*v295*/, v40 /*v296*/
	s_set_vgpr_msb 0x41                     ;  msbs: dst=1 src0=1 src1=0 src2=0
	v_mul_i32_i24_e32 v19 /*v275*/, v19 /*v275*/, v209
	v_mul_i32_i24_e32 v22 /*v278*/, v22 /*v278*/, v211
	;; [unrolled: 5-line block ×6, first 2 shown]
	s_set_vgpr_msb 0x55                     ;  msbs: dst=1 src0=1 src1=1 src2=1
	v_add3_u32 v11 /*v267*/, v11 /*v267*/, v22 /*v278*/, v19 /*v275*/
	s_set_vgpr_msb 0                        ;  msbs: dst=0 src0=0 src1=0 src2=0
	v_mul_i32_i24_e32 v86, v82, v113
	s_set_vgpr_msb 4                        ;  msbs: dst=0 src0=0 src1=1 src2=0
	v_mul_i32_i24_e32 v88, v230, v7 /*v263*/
	s_set_vgpr_msb 0x55                     ;  msbs: dst=1 src0=1 src1=1 src2=1
	v_add3_u32 v36 /*v292*/, v36 /*v292*/, v60 /*v316*/, v61 /*v317*/
	s_set_vgpr_msb 0x41                     ;  msbs: dst=1 src0=1 src1=0 src2=0
	v_mul_i32_i24_e32 v57 /*v313*/, v30 /*v286*/, v135
	v_mul_i32_i24_e32 v59 /*v315*/, v9 /*v265*/, v138
	s_set_vgpr_msb 0x55                     ;  msbs: dst=1 src0=1 src1=1 src2=1
	v_add3_u32 v37 /*v293*/, v37 /*v293*/, v53 /*v309*/, v54 /*v310*/
	s_set_vgpr_msb 0x41                     ;  msbs: dst=1 src0=1 src1=0 src2=0
	v_mul_i32_i24_e32 v50 /*v306*/, v24 /*v280*/, v153
	s_set_vgpr_msb 64                       ;  msbs: dst=1 src0=0 src1=0 src2=0
	v_mul_i32_i24_e32 v52 /*v308*/, v89, v188
	s_set_vgpr_msb 0x55                     ;  msbs: dst=1 src0=1 src1=1 src2=1
	v_add3_u32 v38 /*v294*/, v38 /*v294*/, v41 /*v297*/, v43 /*v299*/
	s_set_vgpr_msb 0x41                     ;  msbs: dst=1 src0=1 src1=0 src2=0
	v_mul_i32_i24_e32 v24 /*v280*/, v24 /*v280*/, v212
	s_set_vgpr_msb 0                        ;  msbs: dst=0 src0=0 src1=0 src2=0
	v_mul_i32_i24_e32 v89, v89, v214
	s_set_vgpr_msb 0x55                     ;  msbs: dst=1 src0=1 src1=1 src2=1
	v_add3_u32 v11 /*v267*/, v11 /*v267*/, v20 /*v276*/, v21 /*v277*/
	s_set_vgpr_msb 4                        ;  msbs: dst=0 src0=0 src1=1 src2=0
	v_mul_i32_i24_e32 v90, v232, v10 /*v266*/
	s_set_vgpr_msb 0x44                     ;  msbs: dst=1 src0=0 src1=1 src2=0
	v_mul_i32_i24_e32 v35 /*v291*/, v231, v8 /*v264*/
	s_set_vgpr_msb 1                        ;  msbs: dst=0 src0=1 src1=0 src2=0
	v_add3_u32 v86, v36 /*v292*/, v86, v88
	s_set_vgpr_msb 0x41                     ;  msbs: dst=1 src0=1 src1=0 src2=0
	v_mul_i32_i24_e32 v56 /*v312*/, v29 /*v285*/, v136
	v_mul_i32_i24_e32 v58 /*v314*/, v31 /*v287*/, v137
	s_set_vgpr_msb 0x55                     ;  msbs: dst=1 src0=1 src1=1 src2=1
	v_add3_u32 v37 /*v293*/, v37 /*v293*/, v59 /*v315*/, v57 /*v313*/
	s_set_vgpr_msb 0x41                     ;  msbs: dst=1 src0=1 src1=0 src2=0
	v_mul_i32_i24_e32 v49 /*v305*/, v23 /*v279*/, v187
	v_mul_i32_i24_e32 v51 /*v307*/, v25 /*v281*/, v189
	s_set_vgpr_msb 0x55                     ;  msbs: dst=1 src0=1 src1=1 src2=1
	v_add3_u32 v38 /*v294*/, v38 /*v294*/, v48 /*v304*/, v45 /*v301*/
	s_set_vgpr_msb 0x41                     ;  msbs: dst=1 src0=1 src1=0 src2=0
	v_mul_i32_i24_e32 v23 /*v279*/, v23 /*v279*/, v213
	v_mul_i32_i24_e32 v25 /*v281*/, v25 /*v281*/, v215
	s_set_vgpr_msb 17                       ;  msbs: dst=0 src0=1 src1=0 src2=1
	v_add3_u32 v89, v11 /*v267*/, v89, v24 /*v280*/
	s_set_vgpr_msb 16                       ;  msbs: dst=0 src0=0 src1=0 src2=1
	v_add3_u32 v86, v86, v90, v35 /*v291*/
	s_set_vgpr_msb 0x41                     ;  msbs: dst=1 src0=1 src1=0 src2=0
	v_mul_i32_i24_e32 v60 /*v316*/, v32 /*v288*/, v139
	s_set_vgpr_msb 64                       ;  msbs: dst=1 src0=0 src1=0 src2=0
	v_mul_i32_i24_e32 v63 /*v319*/, v87, v229
	s_set_vgpr_msb 0x55                     ;  msbs: dst=1 src0=1 src1=1 src2=1
	v_add3_u32 v37 /*v293*/, v37 /*v293*/, v56 /*v312*/, v58 /*v314*/
	s_set_vgpr_msb 0x41                     ;  msbs: dst=1 src0=1 src1=0 src2=0
	v_mul_i32_i24_e32 v53 /*v309*/, v26 /*v282*/, v190
	s_set_vgpr_msb 64                       ;  msbs: dst=1 src0=0 src1=0 src2=0
	v_mul_i32_i24_e32 v56 /*v312*/, v91, v192
	s_set_vgpr_msb 0x55                     ;  msbs: dst=1 src0=1 src1=1 src2=1
	v_add3_u32 v38 /*v294*/, v38 /*v294*/, v46 /*v302*/, v47 /*v303*/
	s_set_vgpr_msb 0x41                     ;  msbs: dst=1 src0=1 src1=0 src2=0
	v_mul_i32_i24_e32 v26 /*v282*/, v26 /*v282*/, v216
	s_set_vgpr_msb 0                        ;  msbs: dst=0 src0=0 src1=0 src2=0
	v_mul_i32_i24_e32 v91, v91, v218
	s_set_vgpr_msb 20                       ;  msbs: dst=0 src0=0 src1=1 src2=1
	v_add3_u32 v89, v89, v23 /*v279*/, v25 /*v281*/
	s_wait_dscnt 0x0
	s_set_vgpr_msb 0                        ;  msbs: dst=0 src0=0 src1=0 src2=0
	v_pk_mul_f16 v88, v105, v84
	v_cvt_f32_i32_e32 v86, v86
	s_set_vgpr_msb 0x41                     ;  msbs: dst=1 src0=1 src1=0 src2=0
	v_mul_i32_i24_e32 v61 /*v317*/, v33 /*v289*/, v228
	v_mul_i32_i24_e32 v62 /*v318*/, v34 /*v290*/, v93
	s_set_vgpr_msb 0x55                     ;  msbs: dst=1 src0=1 src1=1 src2=1
	v_add3_u32 v37 /*v293*/, v37 /*v293*/, v63 /*v319*/, v60 /*v316*/
	s_set_vgpr_msb 0x41                     ;  msbs: dst=1 src0=1 src1=0 src2=0
	v_mul_i32_i24_e32 v54 /*v310*/, v27 /*v283*/, v191
	v_mul_i32_i24_e32 v55 /*v311*/, v28 /*v284*/, v96
	s_set_vgpr_msb 0x55                     ;  msbs: dst=1 src0=1 src1=1 src2=1
	v_add3_u32 v38 /*v294*/, v38 /*v294*/, v52 /*v308*/, v50 /*v306*/
	s_set_vgpr_msb 0x41                     ;  msbs: dst=1 src0=1 src1=0 src2=0
	v_mul_i32_i24_e32 v27 /*v283*/, v27 /*v283*/, v217
	v_mul_i32_i24_e32 v28 /*v284*/, v28 /*v284*/, v219
	s_set_vgpr_msb 16                       ;  msbs: dst=0 src0=0 src1=0 src2=1
	v_add3_u32 v89, v89, v91, v26 /*v282*/
	s_set_vgpr_msb 0                        ;  msbs: dst=0 src0=0 src1=0 src2=0
	v_fma_mix_f32 v90, v88, v86, v88 op_sel:[0,0,1] op_sel_hi:[1,0,1]
	v_mul_i32_i24_e32 v86, v82, v118
	s_set_vgpr_msb 4                        ;  msbs: dst=0 src0=0 src1=1 src2=0
	v_mul_i32_i24_e32 v88, v233, v7 /*v263*/
	s_set_vgpr_msb 0x55                     ;  msbs: dst=1 src0=1 src1=1 src2=1
	v_add3_u32 v37 /*v293*/, v37 /*v293*/, v61 /*v317*/, v62 /*v318*/
	s_set_vgpr_msb 0x41                     ;  msbs: dst=1 src0=1 src1=0 src2=0
	v_mul_i32_i24_e32 v58 /*v314*/, v30 /*v286*/, v193
	v_mul_i32_i24_e32 v60 /*v316*/, v9 /*v265*/, v196
	s_set_vgpr_msb 0x55                     ;  msbs: dst=1 src0=1 src1=1 src2=1
	v_add3_u32 v38 /*v294*/, v38 /*v294*/, v49 /*v305*/, v51 /*v307*/
	s_set_vgpr_msb 0x41                     ;  msbs: dst=1 src0=1 src1=0 src2=0
	v_mul_i32_i24_e32 v30 /*v286*/, v30 /*v286*/, v220
	v_mul_i32_i24_e32 v9 /*v265*/, v9 /*v265*/, v223
	s_set_vgpr_msb 20                       ;  msbs: dst=0 src0=0 src1=1 src2=1
	v_add3_u32 v89, v89, v27 /*v283*/, v28 /*v284*/
	s_set_vgpr_msb 0x44                     ;  msbs: dst=1 src0=0 src1=1 src2=0
	v_mul_i32_i24_e32 v35 /*v291*/, v235, v10 /*v266*/
	v_mul_i32_i24_e32 v36 /*v292*/, v234, v8 /*v264*/
	s_set_vgpr_msb 1                        ;  msbs: dst=0 src0=1 src1=0 src2=0
	v_add3_u32 v86, v37 /*v293*/, v86, v88
	s_set_vgpr_msb 0x41                     ;  msbs: dst=1 src0=1 src1=0 src2=0
	v_mul_i32_i24_e32 v57 /*v313*/, v29 /*v285*/, v194
	v_mul_i32_i24_e32 v59 /*v315*/, v31 /*v287*/, v195
	s_set_vgpr_msb 0x55                     ;  msbs: dst=1 src0=1 src1=1 src2=1
	v_add3_u32 v38 /*v294*/, v38 /*v294*/, v56 /*v312*/, v53 /*v309*/
	s_set_vgpr_msb 0x41                     ;  msbs: dst=1 src0=1 src1=0 src2=0
	v_mul_i32_i24_e32 v29 /*v285*/, v29 /*v285*/, v221
	v_mul_i32_i24_e32 v31 /*v287*/, v31 /*v287*/, v222
	s_set_vgpr_msb 20                       ;  msbs: dst=0 src0=0 src1=1 src2=1
	v_add3_u32 v89, v89, v9 /*v265*/, v30 /*v286*/
	v_add3_u32 v86, v86, v35 /*v291*/, v36 /*v292*/
	s_set_vgpr_msb 0x41                     ;  msbs: dst=1 src0=1 src1=0 src2=0
	v_mul_i32_i24_e32 v61 /*v317*/, v32 /*v288*/, v197
	s_set_vgpr_msb 64                       ;  msbs: dst=1 src0=0 src1=0 src2=0
	v_mul_i32_i24_e32 v64 /*v320*/, v87, v237
	s_set_vgpr_msb 0x55                     ;  msbs: dst=1 src0=1 src1=1 src2=1
	v_add3_u32 v38 /*v294*/, v38 /*v294*/, v54 /*v310*/, v55 /*v311*/
	s_set_vgpr_msb 0x41                     ;  msbs: dst=1 src0=1 src1=0 src2=0
	v_mul_i32_i24_e32 v32 /*v288*/, v32 /*v288*/, v224
	s_set_vgpr_msb 0                        ;  msbs: dst=0 src0=0 src1=0 src2=0
	v_mul_i32_i24_e32 v87, v87, v241
	s_set_vgpr_msb 20                       ;  msbs: dst=0 src0=0 src1=1 src2=1
	v_add3_u32 v89, v89, v29 /*v285*/, v31 /*v287*/
	s_set_vgpr_msb 0                        ;  msbs: dst=0 src0=0 src1=0 src2=0
	v_pk_mul_f16 v88, v114, v84
	v_cvt_f32_i32_e32 v86, v86
	s_set_vgpr_msb 0x41                     ;  msbs: dst=1 src0=1 src1=0 src2=0
	v_mul_i32_i24_e32 v62 /*v318*/, v33 /*v289*/, v236
	v_mul_i32_i24_e32 v63 /*v319*/, v34 /*v290*/, v97
	s_set_vgpr_msb 0x55                     ;  msbs: dst=1 src0=1 src1=1 src2=1
	v_add3_u32 v38 /*v294*/, v38 /*v294*/, v60 /*v316*/, v58 /*v314*/
	s_set_vgpr_msb 0x41                     ;  msbs: dst=1 src0=1 src1=0 src2=0
	v_mul_i32_i24_e32 v33 /*v289*/, v33 /*v289*/, v240
	v_mul_i32_i24_e32 v34 /*v290*/, v34 /*v290*/, v242
	s_set_vgpr_msb 16                       ;  msbs: dst=0 src0=0 src1=0 src2=1
	v_add3_u32 v87, v89, v87, v32 /*v288*/
	s_set_vgpr_msb 0                        ;  msbs: dst=0 src0=0 src1=0 src2=0
	v_fma_mix_f32 v88, v88, v86, v88 op_sel:[0,0,1] op_sel_hi:[1,0,1]
	v_mul_i32_i24_e32 v86, v82, v144
	s_set_vgpr_msb 0x44                     ;  msbs: dst=1 src0=0 src1=1 src2=0
	v_mul_i32_i24_e32 v35 /*v291*/, v238, v7 /*v263*/
	s_set_vgpr_msb 0x55                     ;  msbs: dst=1 src0=1 src1=1 src2=1
	v_add3_u32 v38 /*v294*/, v38 /*v294*/, v57 /*v313*/, v59 /*v315*/
	s_set_vgpr_msb 0                        ;  msbs: dst=0 src0=0 src1=0 src2=0
	v_mul_i32_i24_e32 v82, v82, v202
	s_set_vgpr_msb 0x44                     ;  msbs: dst=1 src0=0 src1=1 src2=0
	v_mul_i32_i24_e32 v7 /*v263*/, v243, v7 /*v263*/
	s_set_vgpr_msb 20                       ;  msbs: dst=0 src0=0 src1=1 src2=1
	v_add3_u32 v87, v87, v33 /*v289*/, v34 /*v290*/
	s_set_vgpr_msb 0x44                     ;  msbs: dst=1 src0=0 src1=1 src2=0
	v_mul_i32_i24_e32 v36 /*v292*/, v94, v10 /*v266*/
	v_mul_i32_i24_e32 v37 /*v293*/, v239, v8 /*v264*/
	s_set_vgpr_msb 0x55                     ;  msbs: dst=1 src0=1 src1=1 src2=1
	v_add3_u32 v38 /*v294*/, v38 /*v294*/, v64 /*v320*/, v61 /*v317*/
	s_set_vgpr_msb 0x44                     ;  msbs: dst=1 src0=0 src1=1 src2=0
	v_mul_i32_i24_e32 v10 /*v266*/, v245, v10 /*v266*/
	v_mul_i32_i24_e32 v8 /*v264*/, v244, v8 /*v264*/
	s_set_vgpr_msb 16                       ;  msbs: dst=0 src0=0 src1=0 src2=1
	v_add3_u32 v82, v87, v82, v7 /*v263*/
	v_add_nc_u32_e32 v87, 0x1404, v99
	s_set_vgpr_msb 0x55                     ;  msbs: dst=1 src0=1 src1=1 src2=1
	v_add3_u32 v38 /*v294*/, v38 /*v294*/, v62 /*v318*/, v63 /*v319*/
	s_set_vgpr_msb 20                       ;  msbs: dst=0 src0=0 src1=1 src2=1
	v_add3_u32 v82, v82, v10 /*v266*/, v8 /*v264*/
	s_set_vgpr_msb 64                       ;  msbs: dst=1 src0=0 src1=0 src2=0
	ds_load_2addr_b32 v[10:11] /*v[266:267]*/, v87 offset1:1
	s_set_vgpr_msb 17                       ;  msbs: dst=0 src0=1 src1=0 src2=1
	v_add3_u32 v86, v38 /*v294*/, v86, v35 /*v291*/
	s_set_vgpr_msb 64                       ;  msbs: dst=1 src0=0 src1=0 src2=0
	v_pk_mul_f16 v35 /*v291*/, v140, v84
	s_set_vgpr_msb 0                        ;  msbs: dst=0 src0=0 src1=0 src2=0
	v_pk_mul_f16 v84, v198, v84
	v_cvt_f32_i32_e32 v82, v82
	v_add_nc_u32_e32 v87, 0x1414, v99
	s_set_vgpr_msb 20                       ;  msbs: dst=0 src0=0 src1=1 src2=1
	v_add3_u32 v86, v86, v36 /*v292*/, v37 /*v293*/
	s_set_vgpr_msb 0                        ;  msbs: dst=0 src0=0 src1=0 src2=0
	v_fma_mix_f32 v84, v84, v82, v84 op_sel:[0,0,1] op_sel_hi:[1,0,1]
	v_add_nc_u32_e32 v82, 0x1400, v99
	s_delay_alu instid0(VALU_DEP_3)
	v_cvt_f32_i32_e32 v86, v86
	s_set_vgpr_msb 64                       ;  msbs: dst=1 src0=0 src1=0 src2=0
	ds_load_2addr_b32 v[8:9] /*v[264:265]*/, v82 offset0:4 offset1:7
	ds_load_2addr_b32 v[12:13] /*v[268:269]*/, v87 offset1:1
	ds_load_2addr_b32 v[14:15] /*v[270:271]*/, v82 offset1:3
	s_set_vgpr_msb 17                       ;  msbs: dst=0 src0=1 src1=0 src2=1
	v_fma_mix_f32 v86, v35 /*v291*/, v86, v35 /*v291*/ op_sel:[0,0,1] op_sel_hi:[1,0,1]
	s_wait_dscnt 0x3
	s_set_vgpr_msb 0x41                     ;  msbs: dst=1 src0=1 src1=0 src2=0
	v_bfe_i32 v20 /*v276*/, v10 /*v266*/, 0, 8
	v_bfe_i32 v21 /*v277*/, v10 /*v266*/, 8, 8
	;; [unrolled: 1-line block ×3, first 2 shown]
	s_set_vgpr_msb 0x44                     ;  msbs: dst=1 src0=0 src1=1 src2=0
	v_ashrrev_i32_e32 v10 /*v266*/, 24, v10 /*v266*/
	s_set_vgpr_msb 0x41                     ;  msbs: dst=1 src0=1 src1=0 src2=0
	v_bfe_i32 v26 /*v282*/, v11 /*v267*/, 0, 8
	v_mul_i32_i24_e32 v42 /*v298*/, v20 /*v276*/, v251
	v_mul_i32_i24_e32 v43 /*v299*/, v21 /*v277*/, v249
	;; [unrolled: 1-line block ×3, first 2 shown]
	v_bfe_i32 v27 /*v283*/, v11 /*v267*/, 8, 8
	v_bfe_i32 v28 /*v284*/, v11 /*v267*/, 16, 8
	s_set_vgpr_msb 0x45                     ;  msbs: dst=1 src0=1 src1=1 src2=0
	v_ashrrev_i32_e32 v11 /*v267*/, 24, v11 /*v267*/
	v_mul_i32_i24_e32 v50 /*v306*/, v26 /*v282*/, v1 /*v257*/
	s_set_vgpr_msb 0x41                     ;  msbs: dst=1 src0=1 src1=0 src2=0
	v_mul_i32_i24_e32 v51 /*v307*/, v27 /*v283*/, v255
	s_set_vgpr_msb 0x45                     ;  msbs: dst=1 src0=1 src1=1 src2=0
	v_mul_i32_i24_e32 v52 /*v308*/, v28 /*v284*/, v0 /*v256*/
	s_wait_dscnt 0x2
	v_bfe_i32 v18 /*v274*/, v8 /*v264*/, 8, 8
	s_wait_dscnt 0x0
	s_set_vgpr_msb 1                        ;  msbs: dst=0 src0=1 src1=0 src2=0
	v_bfe_i32 v82, v14 /*v270*/, 0, 8
	s_set_vgpr_msb 0x41                     ;  msbs: dst=1 src0=1 src1=0 src2=0
	v_bfe_i32 v7 /*v263*/, v14 /*v270*/, 8, 8
	v_bfe_i32 v16 /*v272*/, v14 /*v270*/, 16, 8
	s_set_vgpr_msb 0x44                     ;  msbs: dst=1 src0=0 src1=1 src2=0
	v_ashrrev_i32_e32 v14 /*v270*/, 24, v14 /*v270*/
	s_set_vgpr_msb 0x41                     ;  msbs: dst=1 src0=1 src1=0 src2=0
	v_bfe_i32 v17 /*v273*/, v8 /*v264*/, 0, 8
	v_bfe_i32 v19 /*v275*/, v8 /*v264*/, 16, 8
	s_set_vgpr_msb 0x44                     ;  msbs: dst=1 src0=0 src1=1 src2=0
	v_ashrrev_i32_e32 v8 /*v264*/, 24, v8 /*v264*/
	v_mul_i32_i24_e32 v39 /*v295*/, v247, v18 /*v274*/
	s_set_vgpr_msb 0x41                     ;  msbs: dst=1 src0=1 src1=0 src2=0
	v_bfe_i32 v23 /*v279*/, v12 /*v268*/, 0, 8
	v_bfe_i32 v24 /*v280*/, v12 /*v268*/, 8, 8
	s_set_vgpr_msb 0x54                     ;  msbs: dst=1 src0=0 src1=1 src2=1
	v_mul_i32_i24_e32 v40 /*v296*/, v248, v19 /*v275*/
	v_mul_i32_i24_e32 v41 /*v297*/, v106, v8 /*v264*/
	v_mad_i32_i24 v39 /*v295*/, v246, v17 /*v273*/, v39 /*v295*/
	s_set_vgpr_msb 0x41                     ;  msbs: dst=1 src0=1 src1=0 src2=0
	v_bfe_i32 v25 /*v281*/, v12 /*v268*/, 16, 8
	s_set_vgpr_msb 0x44                     ;  msbs: dst=1 src0=0 src1=1 src2=0
	v_ashrrev_i32_e32 v12 /*v268*/, 24, v12 /*v268*/
	s_set_vgpr_msb 0x41                     ;  msbs: dst=1 src0=1 src1=0 src2=0
	v_mul_i32_i24_e32 v45 /*v301*/, v10 /*v266*/, v111
	v_mul_i32_i24_e32 v46 /*v302*/, v23 /*v279*/, v254
	s_set_vgpr_msb 0x55                     ;  msbs: dst=1 src0=1 src1=1 src2=1
	v_add3_u32 v39 /*v295*/, v39 /*v295*/, v40 /*v296*/, v41 /*v297*/
	s_set_vgpr_msb 0x41                     ;  msbs: dst=1 src0=1 src1=0 src2=0
	v_mul_i32_i24_e32 v47 /*v303*/, v24 /*v280*/, v252
	v_mul_i32_i24_e32 v49 /*v305*/, v12 /*v268*/, v107
	;; [unrolled: 1-line block ×3, first 2 shown]
	v_bfe_i32 v29 /*v285*/, v13 /*v269*/, 0, 8
	s_set_vgpr_msb 0x55                     ;  msbs: dst=1 src0=1 src1=1 src2=1
	v_add3_u32 v39 /*v295*/, v39 /*v295*/, v45 /*v301*/, v43 /*v299*/
	v_bfe_i32 v30 /*v286*/, v13 /*v269*/, 8, 8
	v_bfe_i32 v31 /*v287*/, v13 /*v269*/, 16, 8
	v_ashrrev_i32_e32 v13 /*v269*/, 24, v13 /*v269*/
	s_set_vgpr_msb 0x41                     ;  msbs: dst=1 src0=1 src1=0 src2=0
	v_mul_i32_i24_e32 v53 /*v309*/, v11 /*v267*/, v112
	s_set_vgpr_msb 0x55                     ;  msbs: dst=1 src0=1 src1=1 src2=1
	v_add3_u32 v39 /*v295*/, v39 /*v295*/, v42 /*v298*/, v44 /*v300*/
	s_set_vgpr_msb 0x41                     ;  msbs: dst=1 src0=1 src1=0 src2=0
	v_mul_i32_i24_e32 v54 /*v310*/, v29 /*v285*/, v80
	v_bfe_i32 v32 /*v288*/, v15 /*v271*/, 0, 8
	v_mul_i32_i24_e32 v57 /*v313*/, v13 /*v269*/, v108
	v_bfe_i32 v33 /*v289*/, v15 /*v271*/, 8, 8
	s_set_vgpr_msb 0x55                     ;  msbs: dst=1 src0=1 src1=1 src2=1
	v_add3_u32 v39 /*v295*/, v39 /*v295*/, v49 /*v305*/, v46 /*v302*/
	v_bfe_i32 v34 /*v290*/, v15 /*v271*/, 16, 8
	v_ashrrev_i32_e32 v15 /*v271*/, 24, v15 /*v271*/
	v_mul_i32_i24_e32 v55 /*v311*/, v30 /*v286*/, v2 /*v258*/
	v_mul_i32_i24_e32 v56 /*v312*/, v31 /*v287*/, v3 /*v259*/
	v_add3_u32 v39 /*v295*/, v39 /*v295*/, v47 /*v303*/, v48 /*v304*/
	v_bfe_i32 v35 /*v291*/, v9 /*v265*/, 0, 8
	v_bfe_i32 v36 /*v292*/, v9 /*v265*/, 8, 8
	;; [unrolled: 1-line block ×3, first 2 shown]
	v_ashrrev_i32_e32 v9 /*v265*/, 24, v9 /*v265*/
	v_add3_u32 v39 /*v295*/, v39 /*v295*/, v53 /*v309*/, v51 /*v307*/
	v_mul_i32_i24_e32 v59 /*v315*/, v33 /*v289*/, v4 /*v260*/
	s_set_vgpr_msb 0x41                     ;  msbs: dst=1 src0=1 src1=0 src2=0
	v_mul_i32_i24_e32 v61 /*v317*/, v15 /*v271*/, v109
	s_set_vgpr_msb 0x55                     ;  msbs: dst=1 src0=1 src1=1 src2=1
	v_mul_i32_i24_e32 v58 /*v314*/, v32 /*v288*/, v6 /*v262*/
	v_mul_i32_i24_e32 v60 /*v316*/, v34 /*v290*/, v5 /*v261*/
	v_add3_u32 v39 /*v295*/, v39 /*v295*/, v50 /*v306*/, v52 /*v308*/
	s_set_vgpr_msb 0x41                     ;  msbs: dst=1 src0=1 src1=0 src2=0
	v_mul_i32_i24_e32 v62 /*v318*/, v35 /*v291*/, v110
	v_mul_i32_i24_e32 v65 /*v321*/, v9 /*v265*/, v226
	;; [unrolled: 1-line block ×4, first 2 shown]
	s_set_vgpr_msb 0x55                     ;  msbs: dst=1 src0=1 src1=1 src2=1
	v_add3_u32 v39 /*v295*/, v39 /*v295*/, v57 /*v313*/, v54 /*v310*/
	s_set_vgpr_msb 0                        ;  msbs: dst=0 src0=0 src1=0 src2=0
	v_mul_i32_i24_e32 v87, v82, v113
	s_set_vgpr_msb 4                        ;  msbs: dst=0 src0=0 src1=1 src2=0
	v_mul_i32_i24_e32 v89, v230, v7 /*v263*/
	v_mul_i32_i24_e32 v91, v232, v16 /*v272*/
	s_set_vgpr_msb 0x44                     ;  msbs: dst=1 src0=0 src1=1 src2=0
	v_mul_i32_i24_e32 v38 /*v294*/, v231, v14 /*v270*/
	s_set_vgpr_msb 0x55                     ;  msbs: dst=1 src0=1 src1=1 src2=1
	v_add3_u32 v39 /*v295*/, v39 /*v295*/, v55 /*v311*/, v56 /*v312*/
	s_set_vgpr_msb 0x41                     ;  msbs: dst=1 src0=1 src1=0 src2=0
	v_mul_i32_i24_e32 v40 /*v296*/, v8 /*v264*/, v120
	v_mul_i32_i24_e32 v42 /*v298*/, v21 /*v277*/, v122
	v_mul_i32_i24_e32 v44 /*v300*/, v10 /*v266*/, v124
	v_mul_i32_i24_e32 v41 /*v297*/, v20 /*v276*/, v121
	s_set_vgpr_msb 0x55                     ;  msbs: dst=1 src0=1 src1=1 src2=1
	v_add3_u32 v39 /*v295*/, v39 /*v295*/, v61 /*v317*/, v59 /*v315*/
	s_set_vgpr_msb 0x41                     ;  msbs: dst=1 src0=1 src1=0 src2=0
	v_mul_i32_i24_e32 v43 /*v299*/, v22 /*v278*/, v123
	v_mul_i32_i24_e32 v45 /*v301*/, v23 /*v279*/, v125
	v_mul_i32_i24_e32 v48 /*v304*/, v12 /*v268*/, v127
	v_mul_i32_i24_e32 v46 /*v302*/, v24 /*v280*/, v126
	;; [unrolled: 7-line block ×5, first 2 shown]
	s_set_vgpr_msb 1                        ;  msbs: dst=0 src0=1 src1=0 src2=0
	v_add3_u32 v87, v39 /*v295*/, v87, v89
	s_set_vgpr_msb 0x41                     ;  msbs: dst=1 src0=1 src1=0 src2=0
	v_mul_i32_i24_e32 v39 /*v295*/, v19 /*v275*/, v116
	v_mul_i32_i24_e32 v59 /*v315*/, v34 /*v290*/, v137
	;; [unrolled: 1-line block ×4, first 2 shown]
	s_set_vgpr_msb 16                       ;  msbs: dst=0 src0=0 src1=0 src2=1
	v_add3_u32 v87, v87, v91, v38 /*v294*/
	s_set_vgpr_msb 0x41                     ;  msbs: dst=1 src0=1 src1=0 src2=0
	v_mul_i32_i24_e32 v38 /*v294*/, v18 /*v274*/, v119
	s_set_vgpr_msb 0                        ;  msbs: dst=0 src0=0 src1=0 src2=0
	v_pk_mul_f16 v89, v105, v85
	s_set_vgpr_msb 0x41                     ;  msbs: dst=1 src0=1 src1=0 src2=0
	v_mul_i32_i24_e32 v62 /*v318*/, v36 /*v292*/, v228
	v_mul_i32_i24_e32 v63 /*v319*/, v37 /*v293*/, v93
	s_set_vgpr_msb 0                        ;  msbs: dst=0 src0=0 src1=0 src2=0
	v_cvt_f32_i32_e32 v87, v87
	s_set_vgpr_msb 0x51                     ;  msbs: dst=1 src0=1 src1=0 src2=1
	v_mad_i32_i24 v38 /*v294*/, v17 /*v273*/, v115, v38 /*v294*/
	s_set_vgpr_msb 0                        ;  msbs: dst=0 src0=0 src1=0 src2=0
	s_delay_alu instid0(VALU_DEP_2) | instskip(SKIP_1) | instid1(VALU_DEP_2)
	v_fma_mix_f32 v91, v89, v87, v89 op_sel:[0,0,1] op_sel_hi:[1,0,1]
	s_set_vgpr_msb 0x55                     ;  msbs: dst=1 src0=1 src1=1 src2=1
	v_add3_u32 v38 /*v294*/, v38 /*v294*/, v39 /*v295*/, v40 /*v296*/
	s_set_vgpr_msb 0                        ;  msbs: dst=0 src0=0 src1=0 src2=0
	v_mul_i32_i24_e32 v87, v82, v118
	s_set_vgpr_msb 4                        ;  msbs: dst=0 src0=0 src1=1 src2=0
	v_mul_i32_i24_e32 v89, v233, v7 /*v263*/
	s_set_vgpr_msb 0x41                     ;  msbs: dst=1 src0=1 src1=0 src2=0
	v_mul_i32_i24_e32 v39 /*v295*/, v8 /*v264*/, v146
	s_set_vgpr_msb 0                        ;  msbs: dst=0 src0=0 src1=0 src2=0
	v_pk_add_f32 v[50:51], v[50:51], v[90:91]
	s_set_vgpr_msb 0x55                     ;  msbs: dst=1 src0=1 src1=1 src2=1
	v_add3_u32 v38 /*v294*/, v38 /*v294*/, v44 /*v300*/, v42 /*v298*/
	s_set_vgpr_msb 4                        ;  msbs: dst=0 src0=0 src1=1 src2=0
	v_mul_i32_i24_e32 v90, v235, v16 /*v272*/
	v_mul_i32_i24_e32 v91, v234, v14 /*v270*/
	s_set_vgpr_msb 0x41                     ;  msbs: dst=1 src0=1 src1=0 src2=0
	v_mul_i32_i24_e32 v40 /*v296*/, v20 /*v276*/, v147
	v_mul_i32_i24_e32 v42 /*v298*/, v22 /*v278*/, v149
	s_set_vgpr_msb 0x55                     ;  msbs: dst=1 src0=1 src1=1 src2=1
	v_add3_u32 v38 /*v294*/, v38 /*v294*/, v41 /*v297*/, v43 /*v299*/
	s_set_vgpr_msb 0x41                     ;  msbs: dst=1 src0=1 src1=0 src2=0
	v_mul_i32_i24_e32 v41 /*v297*/, v21 /*v277*/, v148
	v_mul_i32_i24_e32 v43 /*v299*/, v10 /*v266*/, v150
	;; [unrolled: 1-line block ×4, first 2 shown]
	s_set_vgpr_msb 0x55                     ;  msbs: dst=1 src0=1 src1=1 src2=1
	v_add3_u32 v38 /*v294*/, v38 /*v294*/, v48 /*v304*/, v45 /*v301*/
	s_set_vgpr_msb 0x41                     ;  msbs: dst=1 src0=1 src1=0 src2=0
	v_mul_i32_i24_e32 v45 /*v301*/, v24 /*v280*/, v152
	v_mul_i32_i24_e32 v48 /*v304*/, v26 /*v282*/, v187
	s_set_vgpr_msb 0x55                     ;  msbs: dst=1 src0=1 src1=1 src2=1
	v_add3_u32 v38 /*v294*/, v38 /*v294*/, v46 /*v302*/, v47 /*v303*/
	s_set_vgpr_msb 0x41                     ;  msbs: dst=1 src0=1 src1=0 src2=0
	v_mul_i32_i24_e32 v47 /*v303*/, v12 /*v268*/, v95
	v_mul_i32_i24_e32 v46 /*v302*/, v25 /*v281*/, v143
	v_mul_i32_i24_e32 v12 /*v268*/, v12 /*v268*/, v211
	s_set_vgpr_msb 0x55                     ;  msbs: dst=1 src0=1 src1=1 src2=1
	v_add3_u32 v38 /*v294*/, v38 /*v294*/, v52 /*v308*/, v50 /*v306*/
	s_set_vgpr_msb 0x41                     ;  msbs: dst=1 src0=1 src1=0 src2=0
	v_mul_i32_i24_e32 v50 /*v306*/, v28 /*v284*/, v189
	v_mul_i32_i24_e32 v52 /*v308*/, v29 /*v285*/, v190
	s_set_vgpr_msb 0x55                     ;  msbs: dst=1 src0=1 src1=1 src2=1
	v_add3_u32 v38 /*v294*/, v38 /*v294*/, v49 /*v305*/, v51 /*v307*/
	s_set_vgpr_msb 0x41                     ;  msbs: dst=1 src0=1 src1=0 src2=0
	v_mul_i32_i24_e32 v49 /*v305*/, v27 /*v283*/, v153
	v_mul_i32_i24_e32 v51 /*v307*/, v11 /*v267*/, v188
	v_mul_i32_i24_e32 v11 /*v267*/, v11 /*v267*/, v214
	;; [unrolled: 11-line block ×4, first 2 shown]
	s_set_vgpr_msb 0x55                     ;  msbs: dst=1 src0=1 src1=1 src2=1
	v_add3_u32 v38 /*v294*/, v38 /*v294*/, v64 /*v320*/, v61 /*v317*/
	s_set_vgpr_msb 0x41                     ;  msbs: dst=1 src0=1 src1=0 src2=0
	v_mul_i32_i24_e32 v61 /*v317*/, v36 /*v292*/, v236
	s_set_vgpr_msb 0x55                     ;  msbs: dst=1 src0=1 src1=1 src2=1
	s_delay_alu instid0(VALU_DEP_2)
	v_add3_u32 v38 /*v294*/, v38 /*v294*/, v62 /*v318*/, v63 /*v319*/
	s_set_vgpr_msb 0x41                     ;  msbs: dst=1 src0=1 src1=0 src2=0
	v_mul_i32_i24_e32 v63 /*v319*/, v9 /*v265*/, v237
	v_mul_i32_i24_e32 v62 /*v318*/, v37 /*v293*/, v97
	;; [unrolled: 1-line block ×3, first 2 shown]
	s_set_vgpr_msb 1                        ;  msbs: dst=0 src0=1 src1=0 src2=0
	v_add3_u32 v87, v38 /*v294*/, v87, v89
	s_set_vgpr_msb 0x41                     ;  msbs: dst=1 src0=1 src1=0 src2=0
	v_mul_i32_i24_e32 v38 /*v294*/, v19 /*v275*/, v142
	s_set_vgpr_msb 0                        ;  msbs: dst=0 src0=0 src1=0 src2=0
	v_pk_mul_f16 v89, v114, v85
	v_add3_u32 v87, v87, v90, v91
	s_set_vgpr_msb 1                        ;  msbs: dst=0 src0=1 src1=0 src2=0
	v_mul_i32_i24_e32 v91, v18 /*v274*/, v145
	s_set_vgpr_msb 4                        ;  msbs: dst=0 src0=0 src1=1 src2=0
	v_mul_i32_i24_e32 v90, v239, v14 /*v270*/
	v_cvt_f32_i32_e32 v87, v87
	s_set_vgpr_msb 1                        ;  msbs: dst=0 src0=1 src1=0 src2=0
	v_mad_i32_i24 v91, v17 /*v273*/, v141, v91
	s_set_vgpr_msb 0                        ;  msbs: dst=0 src0=0 src1=0 src2=0
	s_delay_alu instid0(VALU_DEP_2) | instskip(SKIP_1) | instid1(VALU_DEP_2)
	v_fma_mix_f32 v89, v89, v87, v89 op_sel:[0,0,1] op_sel_hi:[1,0,1]
	s_set_vgpr_msb 20                       ;  msbs: dst=0 src0=0 src1=1 src2=1
	v_add3_u32 v91, v91, v38 /*v294*/, v39 /*v295*/
	s_set_vgpr_msb 0                        ;  msbs: dst=0 src0=0 src1=0 src2=0
	v_mul_i32_i24_e32 v87, v82, v144
	v_mul_i32_i24_e32 v82, v82, v202
	v_pk_add_f32 v[54:55], v[54:55], v[88:89]
	s_set_vgpr_msb 20                       ;  msbs: dst=0 src0=0 src1=1 src2=1
	v_add3_u32 v91, v91, v43 /*v299*/, v41 /*v297*/
	v_mul_i32_i24_e32 v88, v238, v7 /*v263*/
	v_mul_i32_i24_e32 v89, v94, v16 /*v272*/
	s_delay_alu instid0(VALU_DEP_3) | instskip(NEXT) | instid1(VALU_DEP_1)
	v_add3_u32 v91, v91, v40 /*v296*/, v42 /*v298*/
	v_add3_u32 v91, v91, v47 /*v303*/, v44 /*v300*/
	s_delay_alu instid0(VALU_DEP_1) | instskip(NEXT) | instid1(VALU_DEP_1)
	v_add3_u32 v91, v91, v45 /*v301*/, v46 /*v302*/
	v_add3_u32 v91, v91, v51 /*v307*/, v49 /*v305*/
	s_delay_alu instid0(VALU_DEP_1) | instskip(NEXT) | instid1(VALU_DEP_1)
	;; [unrolled: 3-line block ×4, first 2 shown]
	v_add3_u32 v91, v91, v56 /*v312*/, v58 /*v314*/
	v_add3_u32 v91, v91, v63 /*v319*/, v60 /*v316*/
	s_delay_alu instid0(VALU_DEP_1) | instskip(SKIP_1) | instid1(VALU_DEP_1)
	v_add3_u32 v91, v91, v61 /*v317*/, v62 /*v318*/
	s_set_vgpr_msb 0                        ;  msbs: dst=0 src0=0 src1=0 src2=0
	v_add3_u32 v87, v91, v87, v88
	v_pk_mul_f16 v88, v140, v85
	s_set_vgpr_msb 1                        ;  msbs: dst=0 src0=1 src1=0 src2=0
	v_mul_i32_i24_e32 v91, v8 /*v264*/, v204
	s_set_vgpr_msb 0x41                     ;  msbs: dst=1 src0=1 src1=0 src2=0
	v_mul_i32_i24_e32 v8 /*v264*/, v21 /*v277*/, v206
	v_mul_i32_i24_e32 v21 /*v277*/, v27 /*v283*/, v212
	s_set_vgpr_msb 0                        ;  msbs: dst=0 src0=0 src1=0 src2=0
	v_add3_u32 v87, v87, v89, v90
	s_set_vgpr_msb 1                        ;  msbs: dst=0 src0=1 src1=0 src2=0
	v_mul_i32_i24_e32 v89, v18 /*v274*/, v203
	v_mul_i32_i24_e32 v90, v19 /*v275*/, v200
	s_set_vgpr_msb 0x41                     ;  msbs: dst=1 src0=1 src1=0 src2=0
	v_mul_i32_i24_e32 v18 /*v274*/, v24 /*v280*/, v210
	v_mul_i32_i24_e32 v19 /*v275*/, v25 /*v281*/, v201
	s_set_vgpr_msb 0                        ;  msbs: dst=0 src0=0 src1=0 src2=0
	v_cvt_f32_i32_e32 v87, v87
	s_set_vgpr_msb 1                        ;  msbs: dst=0 src0=1 src1=0 src2=0
	v_mad_i32_i24 v89, v17 /*v273*/, v199, v89
	s_set_vgpr_msb 0x41                     ;  msbs: dst=1 src0=1 src1=0 src2=0
	v_mul_i32_i24_e32 v24 /*v280*/, v30 /*v286*/, v217
	v_mul_i32_i24_e32 v25 /*v281*/, v31 /*v287*/, v219
	;; [unrolled: 1-line block ×3, first 2 shown]
	s_set_vgpr_msb 0                        ;  msbs: dst=0 src0=0 src1=0 src2=0
	v_fma_mix_f32 v87, v88, v87, v88 op_sel:[0,0,1] op_sel_hi:[1,0,1]
	v_add3_u32 v89, v89, v90, v91
	s_set_vgpr_msb 4                        ;  msbs: dst=0 src0=0 src1=1 src2=0
	v_mul_i32_i24_e32 v88, v244, v14 /*v270*/
	s_set_vgpr_msb 0x41                     ;  msbs: dst=1 src0=1 src1=0 src2=0
	v_mul_i32_i24_e32 v14 /*v270*/, v22 /*v278*/, v207
	v_mul_i32_i24_e32 v22 /*v278*/, v28 /*v284*/, v215
	s_set_vgpr_msb 0                        ;  msbs: dst=0 src0=0 src1=0 src2=0
	v_pk_add_f32 v[56:57], v[56:57], v[86:87]
	s_set_vgpr_msb 4                        ;  msbs: dst=0 src0=0 src1=1 src2=0
	v_mul_i32_i24_e32 v86, v243, v7 /*v263*/
	s_set_vgpr_msb 0x41                     ;  msbs: dst=1 src0=1 src1=0 src2=0
	v_mul_i32_i24_e32 v7 /*v263*/, v20 /*v276*/, v205
	s_set_vgpr_msb 20                       ;  msbs: dst=0 src0=0 src1=1 src2=1
	v_add3_u32 v89, v89, v10 /*v266*/, v8 /*v264*/
	v_mul_i32_i24_e32 v87, v245, v16 /*v272*/
	s_set_vgpr_msb 0x41                     ;  msbs: dst=1 src0=1 src1=0 src2=0
	v_mul_i32_i24_e32 v16 /*v272*/, v23 /*v279*/, v209
	v_mul_i32_i24_e32 v20 /*v276*/, v26 /*v282*/, v213
	;; [unrolled: 1-line block ×3, first 2 shown]
	s_set_vgpr_msb 20                       ;  msbs: dst=0 src0=0 src1=1 src2=1
	v_add3_u32 v89, v89, v7 /*v263*/, v14 /*v270*/
	s_set_vgpr_msb 0x41                     ;  msbs: dst=1 src0=1 src1=0 src2=0
	v_mul_i32_i24_e32 v26 /*v282*/, v32 /*v288*/, v221
	v_mul_i32_i24_e32 v28 /*v284*/, v34 /*v290*/, v222
	;; [unrolled: 1-line block ×4, first 2 shown]
	s_set_vgpr_msb 20                       ;  msbs: dst=0 src0=0 src1=1 src2=1
	v_add3_u32 v89, v89, v12 /*v268*/, v16 /*v272*/
	s_set_vgpr_msb 0x41                     ;  msbs: dst=1 src0=1 src1=0 src2=0
	v_mul_i32_i24_e32 v31 /*v287*/, v37 /*v293*/, v242
	s_set_vgpr_msb 0                        ;  msbs: dst=0 src0=0 src1=0 src2=0
	v_pk_mul_f16 v85, v198, v85
	s_set_vgpr_msb 20                       ;  msbs: dst=0 src0=0 src1=1 src2=1
	v_add3_u32 v89, v89, v18 /*v274*/, v19 /*v275*/
	s_delay_alu instid0(VALU_DEP_1) | instskip(NEXT) | instid1(VALU_DEP_1)
	v_add3_u32 v89, v89, v11 /*v267*/, v21 /*v277*/
	v_add3_u32 v89, v89, v20 /*v276*/, v22 /*v278*/
	s_delay_alu instid0(VALU_DEP_1) | instskip(NEXT) | instid1(VALU_DEP_1)
	v_add3_u32 v89, v89, v13 /*v269*/, v23 /*v279*/
	v_add3_u32 v89, v89, v24 /*v280*/, v25 /*v281*/
	s_delay_alu instid0(VALU_DEP_1) | instskip(NEXT) | instid1(VALU_DEP_1)
	v_add3_u32 v89, v89, v15 /*v271*/, v27 /*v283*/
	v_add3_u32 v89, v89, v26 /*v282*/, v28 /*v284*/
	s_delay_alu instid0(VALU_DEP_1) | instskip(NEXT) | instid1(VALU_DEP_1)
	v_add3_u32 v89, v89, v9 /*v265*/, v29 /*v285*/
	v_add3_u32 v89, v89, v30 /*v286*/, v31 /*v287*/
	s_set_vgpr_msb 0                        ;  msbs: dst=0 src0=0 src1=0 src2=0
	s_delay_alu instid0(VALU_DEP_1) | instskip(NEXT) | instid1(VALU_DEP_1)
	v_add3_u32 v82, v89, v82, v86
	v_add3_u32 v82, v82, v87, v88
	s_delay_alu instid0(VALU_DEP_1) | instskip(NEXT) | instid1(VALU_DEP_1)
	v_cvt_f32_i32_e32 v82, v82
	v_fma_mix_f32 v85, v85, v82, v85 op_sel:[0,0,1] op_sel_hi:[1,0,1]
	v_add_nc_u32_e32 v82, 0x1800, v99
	s_delay_alu instid0(VALU_DEP_2)
	v_pk_add_f32 v[58:59], v[58:59], v[84:85]
	ds_load_2addr_b32 v[86:87], v82 offset0:4 offset1:7
	v_add_nc_u32_e32 v84, 0x1804, v99
	ds_load_2addr_b32 v[88:89], v84 offset1:1
	v_add_nc_u32_e32 v84, 0x1814, v99
	ds_load_2addr_b32 v[90:91], v84 offset1:1
	s_set_vgpr_msb 64                       ;  msbs: dst=1 src0=0 src1=0 src2=0
	ds_load_2addr_b32 v[8:9] /*v[264:265]*/, v82 offset1:3
	s_set_vgpr_msb 0                        ;  msbs: dst=0 src0=0 src1=0 src2=0
	ds_load_2addr_b32 v[84:85], v98 offset0:192 offset1:224
	v_add_nc_u32_e32 v98, 4, v98
	s_wait_dscnt 0x4
	s_set_vgpr_msb 64                       ;  msbs: dst=1 src0=0 src1=0 src2=0
	v_bfe_i32 v13 /*v269*/, v86, 8, 8
	v_bfe_i32 v12 /*v268*/, v86, 0, 8
	;; [unrolled: 1-line block ×3, first 2 shown]
	v_ashrrev_i32_e32 v15 /*v271*/, 24, v86
	v_bfe_i32 v32 /*v288*/, v87, 0, 8
	s_set_vgpr_msb 0x44                     ;  msbs: dst=1 src0=0 src1=1 src2=0
	v_mul_i32_i24_e32 v36 /*v292*/, v247, v13 /*v269*/
	s_wait_dscnt 0x3
	v_bfe_i32 v17 /*v273*/, v88, 8, 8
	s_set_vgpr_msb 64                       ;  msbs: dst=1 src0=0 src1=0 src2=0
	v_ashrrev_i32_e32 v19 /*v275*/, 24, v88
	s_set_vgpr_msb 0x54                     ;  msbs: dst=1 src0=0 src1=1 src2=1
	v_mul_i32_i24_e32 v37 /*v293*/, v248, v14 /*v270*/
	v_mul_i32_i24_e32 v38 /*v294*/, v106, v15 /*v271*/
	v_mad_i32_i24 v36 /*v292*/, v246, v12 /*v268*/, v36 /*v292*/
	v_bfe_i32 v16 /*v272*/, v88, 0, 8
	v_bfe_i32 v18 /*v274*/, v88, 16, 8
	s_set_vgpr_msb 0x41                     ;  msbs: dst=1 src0=1 src1=0 src2=0
	v_mul_i32_i24_e32 v40 /*v296*/, v17 /*v273*/, v249
	v_mul_i32_i24_e32 v42 /*v298*/, v19 /*v275*/, v111
	s_set_vgpr_msb 0x55                     ;  msbs: dst=1 src0=1 src1=1 src2=1
	v_add3_u32 v36 /*v292*/, v36 /*v292*/, v37 /*v293*/, v38 /*v294*/
	s_wait_dscnt 0x2
	s_set_vgpr_msb 64                       ;  msbs: dst=1 src0=0 src1=0 src2=0
	v_bfe_i32 v20 /*v276*/, v90, 0, 8
	v_bfe_i32 v21 /*v277*/, v90, 8, 8
	;; [unrolled: 1-line block ×3, first 2 shown]
	s_set_vgpr_msb 0                        ;  msbs: dst=0 src0=0 src1=0 src2=0
	v_ashrrev_i32_e32 v90, 24, v90
	s_set_vgpr_msb 0x41                     ;  msbs: dst=1 src0=1 src1=0 src2=0
	v_mul_i32_i24_e32 v39 /*v295*/, v16 /*v272*/, v251
	v_mul_i32_i24_e32 v41 /*v297*/, v18 /*v274*/, v250
	s_set_vgpr_msb 0x55                     ;  msbs: dst=1 src0=1 src1=1 src2=1
	v_add3_u32 v36 /*v292*/, v36 /*v292*/, v42 /*v298*/, v40 /*v296*/
	s_set_vgpr_msb 64                       ;  msbs: dst=1 src0=0 src1=0 src2=0
	v_bfe_i32 v23 /*v279*/, v89, 0, 8
	v_bfe_i32 v24 /*v280*/, v89, 8, 8
	;; [unrolled: 1-line block ×3, first 2 shown]
	s_set_vgpr_msb 0                        ;  msbs: dst=0 src0=0 src1=0 src2=0
	v_ashrrev_i32_e32 v89, 24, v89
	s_set_vgpr_msb 0x41                     ;  msbs: dst=1 src0=1 src1=0 src2=0
	v_mul_i32_i24_e32 v43 /*v299*/, v20 /*v276*/, v254
	s_set_vgpr_msb 64                       ;  msbs: dst=1 src0=0 src1=0 src2=0
	v_mul_i32_i24_e32 v46 /*v302*/, v90, v107
	s_set_vgpr_msb 0x55                     ;  msbs: dst=1 src0=1 src1=1 src2=1
	v_add3_u32 v36 /*v292*/, v36 /*v292*/, v39 /*v295*/, v41 /*v297*/
	s_set_vgpr_msb 0x41                     ;  msbs: dst=1 src0=1 src1=0 src2=0
	v_mul_i32_i24_e32 v44 /*v300*/, v21 /*v277*/, v252
	v_mul_i32_i24_e32 v45 /*v301*/, v22 /*v278*/, v253
	;; [unrolled: 1-line block ×3, first 2 shown]
	s_set_vgpr_msb 64                       ;  msbs: dst=1 src0=0 src1=0 src2=0
	v_mul_i32_i24_e32 v50 /*v306*/, v89, v112
	s_set_vgpr_msb 0x55                     ;  msbs: dst=1 src0=1 src1=1 src2=1
	v_add3_u32 v36 /*v292*/, v36 /*v292*/, v46 /*v302*/, v43 /*v299*/
	s_set_vgpr_msb 64                       ;  msbs: dst=1 src0=0 src1=0 src2=0
	v_bfe_i32 v26 /*v282*/, v91, 0, 8
	v_bfe_i32 v27 /*v283*/, v91, 8, 8
	;; [unrolled: 1-line block ×3, first 2 shown]
	s_set_vgpr_msb 0                        ;  msbs: dst=0 src0=0 src1=0 src2=0
	v_ashrrev_i32_e32 v91, 24, v91
	s_set_vgpr_msb 0x55                     ;  msbs: dst=1 src0=1 src1=1 src2=1
	v_add3_u32 v36 /*v292*/, v36 /*v292*/, v44 /*v300*/, v45 /*v301*/
	v_mul_i32_i24_e32 v47 /*v303*/, v23 /*v279*/, v1 /*v257*/
	v_mul_i32_i24_e32 v49 /*v305*/, v25 /*v281*/, v0 /*v256*/
	s_set_vgpr_msb 0x41                     ;  msbs: dst=1 src0=1 src1=0 src2=0
	v_mul_i32_i24_e32 v51 /*v307*/, v26 /*v282*/, v80
	s_set_vgpr_msb 64                       ;  msbs: dst=1 src0=0 src1=0 src2=0
	v_mul_i32_i24_e32 v54 /*v310*/, v91, v108
	s_set_vgpr_msb 0x55                     ;  msbs: dst=1 src0=1 src1=1 src2=1
	v_add3_u32 v36 /*v292*/, v36 /*v292*/, v50 /*v306*/, v48 /*v304*/
	s_wait_dscnt 0x1
	v_bfe_i32 v7 /*v263*/, v8 /*v264*/, 0, 8
	v_bfe_i32 v10 /*v266*/, v8 /*v264*/, 8, 8
	;; [unrolled: 1-line block ×3, first 2 shown]
	v_ashrrev_i32_e32 v8 /*v264*/, 24, v8 /*v264*/
	v_add3_u32 v36 /*v292*/, v36 /*v292*/, v47 /*v303*/, v49 /*v305*/
	v_bfe_i32 v29 /*v285*/, v9 /*v265*/, 0, 8
	v_bfe_i32 v30 /*v286*/, v9 /*v265*/, 8, 8
	;; [unrolled: 1-line block ×3, first 2 shown]
	v_ashrrev_i32_e32 v9 /*v265*/, 24, v9 /*v265*/
	v_mul_i32_i24_e32 v52 /*v308*/, v27 /*v283*/, v2 /*v258*/
	v_mul_i32_i24_e32 v53 /*v309*/, v28 /*v284*/, v3 /*v259*/
	v_add3_u32 v36 /*v292*/, v36 /*v292*/, v54 /*v310*/, v51 /*v307*/
	v_mul_i32_i24_e32 v56 /*v312*/, v30 /*v286*/, v4 /*v260*/
	s_set_vgpr_msb 0x41                     ;  msbs: dst=1 src0=1 src1=0 src2=0
	v_mul_i32_i24_e32 v58 /*v314*/, v9 /*v265*/, v109
	s_set_vgpr_msb 64                       ;  msbs: dst=1 src0=0 src1=0 src2=0
	v_bfe_i32 v33 /*v289*/, v87, 8, 8
	v_bfe_i32 v34 /*v290*/, v87, 16, 8
	s_set_vgpr_msb 0x55                     ;  msbs: dst=1 src0=1 src1=1 src2=1
	v_add3_u32 v36 /*v292*/, v36 /*v292*/, v52 /*v308*/, v53 /*v309*/
	s_set_vgpr_msb 0                        ;  msbs: dst=0 src0=0 src1=0 src2=0
	v_ashrrev_i32_e32 v87, 24, v87
	s_set_vgpr_msb 0x45                     ;  msbs: dst=1 src0=1 src1=1 src2=0
	v_mul_i32_i24_e32 v55 /*v311*/, v29 /*v285*/, v6 /*v262*/
	v_mul_i32_i24_e32 v57 /*v313*/, v31 /*v287*/, v5 /*v261*/
	s_set_vgpr_msb 0x41                     ;  msbs: dst=1 src0=1 src1=0 src2=0
	v_mul_i32_i24_e32 v59 /*v315*/, v32 /*v288*/, v110
	s_set_vgpr_msb 0x55                     ;  msbs: dst=1 src0=1 src1=1 src2=1
	v_add3_u32 v36 /*v292*/, v36 /*v292*/, v58 /*v314*/, v56 /*v312*/
	s_set_vgpr_msb 64                       ;  msbs: dst=1 src0=0 src1=0 src2=0
	v_mul_i32_i24_e32 v62 /*v318*/, v87, v226
	s_set_vgpr_msb 0x41                     ;  msbs: dst=1 src0=1 src1=0 src2=0
	v_mul_i32_i24_e32 v60 /*v316*/, v33 /*v289*/, v225
	v_mul_i32_i24_e32 v61 /*v317*/, v34 /*v290*/, v227
	s_set_vgpr_msb 1                        ;  msbs: dst=0 src0=1 src1=0 src2=0
	v_mul_i32_i24_e32 v82, v7 /*v263*/, v113
	s_set_vgpr_msb 0x55                     ;  msbs: dst=1 src0=1 src1=1 src2=1
	v_add3_u32 v36 /*v292*/, v36 /*v292*/, v55 /*v311*/, v57 /*v313*/
	s_set_vgpr_msb 4                        ;  msbs: dst=0 src0=0 src1=1 src2=0
	v_mul_i32_i24_e32 v86, v230, v10 /*v266*/
	v_mul_i32_i24_e32 v88, v232, v11 /*v267*/
	s_set_vgpr_msb 0x44                     ;  msbs: dst=1 src0=0 src1=1 src2=0
	v_mul_i32_i24_e32 v35 /*v291*/, v231, v8 /*v264*/
	s_set_vgpr_msb 0x41                     ;  msbs: dst=1 src0=1 src1=0 src2=0
	v_mul_i32_i24_e32 v37 /*v293*/, v15 /*v271*/, v120
	s_set_vgpr_msb 0x55                     ;  msbs: dst=1 src0=1 src1=1 src2=1
	v_add3_u32 v36 /*v292*/, v36 /*v292*/, v62 /*v318*/, v59 /*v315*/
	s_set_vgpr_msb 0x41                     ;  msbs: dst=1 src0=1 src1=0 src2=0
	v_mul_i32_i24_e32 v39 /*v295*/, v17 /*v273*/, v122
	v_mul_i32_i24_e32 v41 /*v297*/, v19 /*v275*/, v124
	;; [unrolled: 1-line block ×4, first 2 shown]
	s_set_vgpr_msb 0x55                     ;  msbs: dst=1 src0=1 src1=1 src2=1
	v_add3_u32 v36 /*v292*/, v36 /*v292*/, v60 /*v316*/, v61 /*v317*/
	s_set_vgpr_msb 0x41                     ;  msbs: dst=1 src0=1 src1=0 src2=0
	v_mul_i32_i24_e32 v42 /*v298*/, v20 /*v276*/, v125
	s_set_vgpr_msb 64                       ;  msbs: dst=1 src0=0 src1=0 src2=0
	v_mul_i32_i24_e32 v45 /*v301*/, v90, v127
	s_set_vgpr_msb 0x41                     ;  msbs: dst=1 src0=1 src1=0 src2=0
	v_mul_i32_i24_e32 v43 /*v299*/, v21 /*v277*/, v126
	v_mul_i32_i24_e32 v44 /*v300*/, v22 /*v278*/, v117
	s_set_vgpr_msb 1                        ;  msbs: dst=0 src0=1 src1=0 src2=0
	v_add3_u32 v82, v36 /*v292*/, v82, v86
	s_set_vgpr_msb 0x41                     ;  msbs: dst=1 src0=1 src1=0 src2=0
	v_mul_i32_i24_e32 v36 /*v292*/, v14 /*v270*/, v116
	v_mul_i32_i24_e32 v47 /*v303*/, v24 /*v280*/, v128
	s_set_vgpr_msb 64                       ;  msbs: dst=1 src0=0 src1=0 src2=0
	v_mul_i32_i24_e32 v49 /*v305*/, v89, v130
	s_set_vgpr_msb 0x41                     ;  msbs: dst=1 src0=1 src1=0 src2=0
	v_mul_i32_i24_e32 v46 /*v302*/, v23 /*v279*/, v129
	s_set_vgpr_msb 16                       ;  msbs: dst=0 src0=0 src1=0 src2=1
	v_add3_u32 v82, v82, v88, v35 /*v291*/
	s_set_vgpr_msb 0x41                     ;  msbs: dst=1 src0=1 src1=0 src2=0
	v_mul_i32_i24_e32 v35 /*v291*/, v13 /*v269*/, v119
	v_mul_i32_i24_e32 v48 /*v304*/, v25 /*v281*/, v131
	;; [unrolled: 1-line block ×3, first 2 shown]
	s_set_vgpr_msb 64                       ;  msbs: dst=1 src0=0 src1=0 src2=0
	v_mul_i32_i24_e32 v53 /*v309*/, v91, v134
	s_set_vgpr_msb 0x51                     ;  msbs: dst=1 src0=1 src1=0 src2=1
	v_mul_i32_i24_e32 v51 /*v307*/, v27 /*v283*/, v133
	v_mad_i32_i24 v35 /*v291*/, v12 /*v268*/, v115, v35 /*v291*/
	v_mul_i32_i24_e32 v52 /*v308*/, v28 /*v284*/, v92
	v_mul_i32_i24_e32 v55 /*v311*/, v30 /*v286*/, v135
	;; [unrolled: 1-line block ×4, first 2 shown]
	s_set_vgpr_msb 0x55                     ;  msbs: dst=1 src0=1 src1=1 src2=1
	v_add3_u32 v35 /*v291*/, v35 /*v291*/, v36 /*v292*/, v37 /*v293*/
	s_set_vgpr_msb 0x41                     ;  msbs: dst=1 src0=1 src1=0 src2=0
	v_mul_i32_i24_e32 v36 /*v292*/, v13 /*v269*/, v145
	v_mul_i32_i24_e32 v37 /*v293*/, v14 /*v270*/, v142
	;; [unrolled: 1-line block ×3, first 2 shown]
	s_wait_dscnt 0x0
	s_set_vgpr_msb 0                        ;  msbs: dst=0 src0=0 src1=0 src2=0
	v_pk_mul_f16 v86, v105, v84
	s_set_vgpr_msb 0x55                     ;  msbs: dst=1 src0=1 src1=1 src2=1
	v_add3_u32 v35 /*v291*/, v35 /*v291*/, v41 /*v297*/, v39 /*v295*/
	s_set_vgpr_msb 0x51                     ;  msbs: dst=1 src0=1 src1=0 src2=1
	v_mad_i32_i24 v36 /*v292*/, v12 /*v268*/, v141, v36 /*v292*/
	v_mul_i32_i24_e32 v39 /*v295*/, v16 /*v272*/, v147
	v_mul_i32_i24_e32 v41 /*v297*/, v18 /*v274*/, v149
	s_set_vgpr_msb 0                        ;  msbs: dst=0 src0=0 src1=0 src2=0
	v_cvt_f32_i32_e32 v82, v82
	s_set_vgpr_msb 0x55                     ;  msbs: dst=1 src0=1 src1=1 src2=1
	v_add3_u32 v35 /*v291*/, v35 /*v291*/, v38 /*v294*/, v40 /*v296*/
	s_set_vgpr_msb 0x41                     ;  msbs: dst=1 src0=1 src1=0 src2=0
	v_mul_i32_i24_e32 v38 /*v294*/, v15 /*v271*/, v146
	v_mul_i32_i24_e32 v40 /*v296*/, v17 /*v273*/, v148
	;; [unrolled: 1-line block ×3, first 2 shown]
	s_set_vgpr_msb 64                       ;  msbs: dst=1 src0=0 src1=0 src2=0
	v_mul_i32_i24_e32 v61 /*v317*/, v87, v229
	s_set_vgpr_msb 0x55                     ;  msbs: dst=1 src0=1 src1=1 src2=1
	v_add3_u32 v35 /*v291*/, v35 /*v291*/, v45 /*v301*/, v42 /*v298*/
	s_set_vgpr_msb 0x41                     ;  msbs: dst=1 src0=1 src1=0 src2=0
	v_mul_i32_i24_e32 v42 /*v298*/, v19 /*v275*/, v150
	s_set_vgpr_msb 0x55                     ;  msbs: dst=1 src0=1 src1=1 src2=1
	v_add3_u32 v36 /*v292*/, v36 /*v292*/, v37 /*v293*/, v38 /*v294*/
	s_set_vgpr_msb 0x41                     ;  msbs: dst=1 src0=1 src1=0 src2=0
	v_mul_i32_i24_e32 v45 /*v301*/, v22 /*v278*/, v143
	s_set_vgpr_msb 0                        ;  msbs: dst=0 src0=0 src1=0 src2=0
	v_fma_mix_f32 v82, v86, v82, v86 op_sel:[0,0,1] op_sel_hi:[1,0,1]
	s_set_vgpr_msb 0x55                     ;  msbs: dst=1 src0=1 src1=1 src2=1
	v_add3_u32 v35 /*v291*/, v35 /*v291*/, v43 /*v299*/, v44 /*v300*/
	s_set_vgpr_msb 0x41                     ;  msbs: dst=1 src0=1 src1=0 src2=0
	v_mul_i32_i24_e32 v43 /*v299*/, v20 /*v276*/, v151
	s_set_vgpr_msb 0x55                     ;  msbs: dst=1 src0=1 src1=1 src2=1
	v_add3_u32 v36 /*v292*/, v36 /*v292*/, v42 /*v298*/, v40 /*v296*/
	s_set_vgpr_msb 0x41                     ;  msbs: dst=1 src0=1 src1=0 src2=0
	v_mul_i32_i24_e32 v44 /*v300*/, v21 /*v277*/, v152
	v_mul_i32_i24_e32 v59 /*v315*/, v33 /*v289*/, v228
	s_set_vgpr_msb 0x55                     ;  msbs: dst=1 src0=1 src1=1 src2=1
	v_add3_u32 v35 /*v291*/, v35 /*v291*/, v49 /*v305*/, v47 /*v303*/
	s_set_vgpr_msb 0x41                     ;  msbs: dst=1 src0=1 src1=0 src2=0
	v_mul_i32_i24_e32 v47 /*v303*/, v23 /*v279*/, v187
	s_set_vgpr_msb 0x55                     ;  msbs: dst=1 src0=1 src1=1 src2=1
	v_add3_u32 v36 /*v292*/, v36 /*v292*/, v39 /*v295*/, v41 /*v297*/
	s_set_vgpr_msb 0x41                     ;  msbs: dst=1 src0=1 src1=0 src2=0
	v_mul_i32_i24_e32 v49 /*v305*/, v25 /*v281*/, v189
	v_mul_i32_i24_e32 v60 /*v316*/, v34 /*v290*/, v93
	s_set_vgpr_msb 0x55                     ;  msbs: dst=1 src0=1 src1=1 src2=1
	v_add3_u32 v35 /*v291*/, v35 /*v291*/, v46 /*v302*/, v48 /*v304*/
	s_set_vgpr_msb 64                       ;  msbs: dst=1 src0=0 src1=0 src2=0
	v_mul_i32_i24_e32 v46 /*v302*/, v90, v95
	s_set_vgpr_msb 0x41                     ;  msbs: dst=1 src0=1 src1=0 src2=0
	v_mul_i32_i24_e32 v48 /*v304*/, v24 /*v280*/, v153
	s_set_vgpr_msb 0                        ;  msbs: dst=0 src0=0 src1=0 src2=0
	v_pk_add_f32 v[44:45], v[44:45], v[82:83]
	s_set_vgpr_msb 1                        ;  msbs: dst=0 src0=1 src1=0 src2=0
	v_mul_i32_i24_e32 v82, v7 /*v263*/, v118
	s_set_vgpr_msb 0x55                     ;  msbs: dst=1 src0=1 src1=1 src2=1
	v_add3_u32 v35 /*v291*/, v35 /*v291*/, v53 /*v309*/, v50 /*v306*/
	v_add3_u32 v36 /*v292*/, v36 /*v292*/, v46 /*v302*/, v43 /*v299*/
	s_set_vgpr_msb 64                       ;  msbs: dst=1 src0=0 src1=0 src2=0
	v_mul_i32_i24_e32 v50 /*v306*/, v89, v188
	s_set_vgpr_msb 0x41                     ;  msbs: dst=1 src0=1 src1=0 src2=0
	v_mul_i32_i24_e32 v53 /*v309*/, v28 /*v284*/, v96
	s_set_vgpr_msb 4                        ;  msbs: dst=0 src0=0 src1=1 src2=0
	v_mul_i32_i24_e32 v83, v233, v10 /*v266*/
	s_set_vgpr_msb 0x55                     ;  msbs: dst=1 src0=1 src1=1 src2=1
	v_add3_u32 v35 /*v291*/, v35 /*v291*/, v51 /*v307*/, v52 /*v308*/
	v_add3_u32 v36 /*v292*/, v36 /*v292*/, v44 /*v300*/, v45 /*v301*/
	s_set_vgpr_msb 0x41                     ;  msbs: dst=1 src0=1 src1=0 src2=0
	v_mul_i32_i24_e32 v51 /*v307*/, v26 /*v282*/, v190
	v_mul_i32_i24_e32 v52 /*v308*/, v27 /*v283*/, v191
	s_set_vgpr_msb 4                        ;  msbs: dst=0 src0=0 src1=1 src2=0
	v_mul_i32_i24_e32 v86, v235, v11 /*v267*/
	s_set_vgpr_msb 0x55                     ;  msbs: dst=1 src0=1 src1=1 src2=1
	v_add3_u32 v35 /*v291*/, v35 /*v291*/, v57 /*v313*/, v55 /*v311*/
	v_add3_u32 v36 /*v292*/, v36 /*v292*/, v50 /*v306*/, v48 /*v304*/
	s_set_vgpr_msb 4                        ;  msbs: dst=0 src0=0 src1=1 src2=0
	v_mul_i32_i24_e32 v88, v234, v8 /*v264*/
	s_set_vgpr_msb 0x41                     ;  msbs: dst=1 src0=1 src1=0 src2=0
	v_mul_i32_i24_e32 v55 /*v311*/, v29 /*v285*/, v194
	v_mul_i32_i24_e32 v57 /*v313*/, v31 /*v287*/, v195
	s_set_vgpr_msb 0x55                     ;  msbs: dst=1 src0=1 src1=1 src2=1
	v_add3_u32 v35 /*v291*/, v35 /*v291*/, v54 /*v310*/, v56 /*v312*/
	s_set_vgpr_msb 64                       ;  msbs: dst=1 src0=0 src1=0 src2=0
	v_mul_i32_i24_e32 v54 /*v310*/, v91, v192
	s_set_vgpr_msb 0x55                     ;  msbs: dst=1 src0=1 src1=1 src2=1
	v_add3_u32 v36 /*v292*/, v36 /*v292*/, v47 /*v303*/, v49 /*v305*/
	s_set_vgpr_msb 0x41                     ;  msbs: dst=1 src0=1 src1=0 src2=0
	v_mul_i32_i24_e32 v56 /*v312*/, v30 /*v286*/, v193
	s_set_vgpr_msb 64                       ;  msbs: dst=1 src0=0 src1=0 src2=0
	v_mul_i32_i24_e32 v62 /*v318*/, v87, v237
	s_set_vgpr_msb 0x55                     ;  msbs: dst=1 src0=1 src1=1 src2=1
	v_add3_u32 v35 /*v291*/, v35 /*v291*/, v61 /*v317*/, v58 /*v314*/
	s_set_vgpr_msb 0x41                     ;  msbs: dst=1 src0=1 src1=0 src2=0
	v_mul_i32_i24_e32 v58 /*v314*/, v9 /*v265*/, v196
	s_set_vgpr_msb 0x55                     ;  msbs: dst=1 src0=1 src1=1 src2=1
	v_add3_u32 v36 /*v292*/, v36 /*v292*/, v54 /*v310*/, v51 /*v307*/
	s_set_vgpr_msb 0x41                     ;  msbs: dst=1 src0=1 src1=0 src2=0
	v_mul_i32_i24_e32 v61 /*v317*/, v34 /*v290*/, v97
	s_set_vgpr_msb 0                        ;  msbs: dst=0 src0=0 src1=0 src2=0
	v_mul_i32_i24_e32 v90, v90, v211
	s_set_vgpr_msb 0x55                     ;  msbs: dst=1 src0=1 src1=1 src2=1
	v_add3_u32 v35 /*v291*/, v35 /*v291*/, v59 /*v315*/, v60 /*v316*/
	s_set_vgpr_msb 0x41                     ;  msbs: dst=1 src0=1 src1=0 src2=0
	v_mul_i32_i24_e32 v59 /*v315*/, v32 /*v288*/, v197
	s_set_vgpr_msb 0x55                     ;  msbs: dst=1 src0=1 src1=1 src2=1
	v_add3_u32 v36 /*v292*/, v36 /*v292*/, v52 /*v308*/, v53 /*v309*/
	s_set_vgpr_msb 0x41                     ;  msbs: dst=1 src0=1 src1=0 src2=0
	v_mul_i32_i24_e32 v60 /*v316*/, v33 /*v289*/, v236
	s_set_vgpr_msb 0                        ;  msbs: dst=0 src0=0 src1=0 src2=0
	v_mul_i32_i24_e32 v89, v89, v214
	s_set_vgpr_msb 1                        ;  msbs: dst=0 src0=1 src1=0 src2=0
	v_add3_u32 v82, v35 /*v291*/, v82, v83
	s_set_vgpr_msb 0                        ;  msbs: dst=0 src0=0 src1=0 src2=0
	v_pk_mul_f16 v83, v114, v84
	s_set_vgpr_msb 0x55                     ;  msbs: dst=1 src0=1 src1=1 src2=1
	v_add3_u32 v36 /*v292*/, v36 /*v292*/, v58 /*v314*/, v56 /*v312*/
	s_set_vgpr_msb 0x44                     ;  msbs: dst=1 src0=0 src1=1 src2=0
	v_mul_i32_i24_e32 v35 /*v291*/, v239, v8 /*v264*/
	s_set_vgpr_msb 0                        ;  msbs: dst=0 src0=0 src1=0 src2=0
	v_mul_i32_i24_e32 v91, v91, v218
	v_add3_u32 v82, v82, v86, v88
	s_set_vgpr_msb 4                        ;  msbs: dst=0 src0=0 src1=1 src2=0
	v_mul_i32_i24_e32 v86, v94, v11 /*v267*/
	s_set_vgpr_msb 0x55                     ;  msbs: dst=1 src0=1 src1=1 src2=1
	v_add3_u32 v36 /*v292*/, v36 /*v292*/, v55 /*v311*/, v57 /*v313*/
	s_set_vgpr_msb 0x41                     ;  msbs: dst=1 src0=1 src1=0 src2=0
	v_mul_i32_i24_e32 v9 /*v265*/, v9 /*v265*/, v223
	s_set_vgpr_msb 0                        ;  msbs: dst=0 src0=0 src1=0 src2=0
	v_mul_i32_i24_e32 v87, v87, v241
	v_cvt_f32_i32_e32 v82, v82
	s_set_vgpr_msb 0x44                     ;  msbs: dst=1 src0=0 src1=1 src2=0
	v_mul_i32_i24_e32 v8 /*v264*/, v244, v8 /*v264*/
	s_set_vgpr_msb 0x55                     ;  msbs: dst=1 src0=1 src1=1 src2=1
	v_add3_u32 v36 /*v292*/, v36 /*v292*/, v62 /*v318*/, v59 /*v315*/
	s_set_vgpr_msb 0                        ;  msbs: dst=0 src0=0 src1=0 src2=0
	v_fma_mix_f32 v88, v83, v82, v83 op_sel:[0,0,1] op_sel_hi:[1,0,1]
	s_set_vgpr_msb 1                        ;  msbs: dst=0 src0=1 src1=0 src2=0
	v_mul_i32_i24_e32 v82, v7 /*v263*/, v144
	s_set_vgpr_msb 4                        ;  msbs: dst=0 src0=0 src1=1 src2=0
	v_mul_i32_i24_e32 v83, v238, v10 /*v266*/
	s_set_vgpr_msb 0x55                     ;  msbs: dst=1 src0=1 src1=1 src2=1
	v_add3_u32 v36 /*v292*/, v36 /*v292*/, v60 /*v316*/, v61 /*v317*/
	s_set_vgpr_msb 1                        ;  msbs: dst=0 src0=1 src1=0 src2=0
	s_delay_alu instid0(VALU_DEP_1) | instskip(SKIP_2) | instid1(VALU_DEP_2)
	v_add3_u32 v82, v36 /*v292*/, v82, v83
	s_set_vgpr_msb 16                       ;  msbs: dst=0 src0=0 src1=0 src2=1
	v_pk_mul_f16 v83, v140, v84
	v_add3_u32 v82, v82, v86, v35 /*v291*/
	s_delay_alu instid0(VALU_DEP_1) | instskip(SKIP_1) | instid1(VALU_DEP_1)
	v_cvt_f32_i32_e32 v82, v82
	s_set_vgpr_msb 0                        ;  msbs: dst=0 src0=0 src1=0 src2=0
	v_fma_mix_f32 v86, v83, v82, v83 op_sel:[0,0,1] op_sel_hi:[1,0,1]
	s_set_vgpr_msb 4                        ;  msbs: dst=0 src0=0 src1=1 src2=0
	v_mul_i32_i24_e32 v83, v243, v10 /*v266*/
	s_set_vgpr_msb 0x41                     ;  msbs: dst=1 src0=1 src1=0 src2=0
	v_mul_i32_i24_e32 v10 /*v266*/, v13 /*v269*/, v203
	s_set_vgpr_msb 1                        ;  msbs: dst=0 src0=1 src1=0 src2=0
	v_mul_i32_i24_e32 v82, v7 /*v263*/, v202
	s_set_vgpr_msb 0x44                     ;  msbs: dst=1 src0=0 src1=1 src2=0
	v_mul_i32_i24_e32 v7 /*v263*/, v245, v11 /*v267*/
	s_set_vgpr_msb 0x51                     ;  msbs: dst=1 src0=1 src1=0 src2=1
	v_mul_i32_i24_e32 v11 /*v267*/, v14 /*v270*/, v200
	v_mul_i32_i24_e32 v13 /*v269*/, v15 /*v271*/, v204
	v_mad_i32_i24 v10 /*v266*/, v12 /*v268*/, v199, v10 /*v266*/
	v_mul_i32_i24_e32 v15 /*v271*/, v17 /*v273*/, v206
	v_mul_i32_i24_e32 v17 /*v273*/, v19 /*v275*/, v208
	v_mul_i32_i24_e32 v14 /*v270*/, v16 /*v272*/, v205
	v_mul_i32_i24_e32 v16 /*v272*/, v18 /*v274*/, v207
	s_set_vgpr_msb 0x55                     ;  msbs: dst=1 src0=1 src1=1 src2=1
	v_add3_u32 v10 /*v266*/, v10 /*v266*/, v11 /*v267*/, v13 /*v269*/
	s_set_vgpr_msb 0x41                     ;  msbs: dst=1 src0=1 src1=0 src2=0
	v_mul_i32_i24_e32 v18 /*v274*/, v20 /*v276*/, v209
	v_mul_i32_i24_e32 v19 /*v275*/, v21 /*v277*/, v210
	v_mul_i32_i24_e32 v20 /*v276*/, v22 /*v278*/, v201
	v_mul_i32_i24_e32 v22 /*v278*/, v24 /*v280*/, v212
	s_set_vgpr_msb 0x55                     ;  msbs: dst=1 src0=1 src1=1 src2=1
	v_add3_u32 v10 /*v266*/, v10 /*v266*/, v17 /*v273*/, v15 /*v271*/
	s_set_vgpr_msb 0x41                     ;  msbs: dst=1 src0=1 src1=0 src2=0
	;; [unrolled: 7-line block ×3, first 2 shown]
	v_mul_i32_i24_e32 v26 /*v282*/, v28 /*v284*/, v219
	v_mul_i32_i24_e32 v28 /*v284*/, v30 /*v286*/, v220
	;; [unrolled: 1-line block ×4, first 2 shown]
	s_set_vgpr_msb 17                       ;  msbs: dst=0 src0=1 src1=0 src2=1
	v_add3_u32 v90, v10 /*v266*/, v90, v18 /*v274*/
	s_set_vgpr_msb 0x41                     ;  msbs: dst=1 src0=1 src1=0 src2=0
	v_mul_i32_i24_e32 v30 /*v286*/, v32 /*v288*/, v224
	v_mul_i32_i24_e32 v31 /*v287*/, v33 /*v289*/, v240
	;; [unrolled: 1-line block ×3, first 2 shown]
	s_set_vgpr_msb 20                       ;  msbs: dst=0 src0=0 src1=1 src2=1
	v_add3_u32 v90, v90, v19 /*v275*/, v20 /*v276*/
	s_set_vgpr_msb 16                       ;  msbs: dst=0 src0=0 src1=0 src2=1
	s_delay_alu instid0(VALU_DEP_1) | instskip(SKIP_1) | instid1(VALU_DEP_1)
	v_add3_u32 v89, v90, v89, v22 /*v278*/
	s_set_vgpr_msb 20                       ;  msbs: dst=0 src0=0 src1=1 src2=1
	v_add3_u32 v89, v89, v21 /*v277*/, v23 /*v279*/
	s_set_vgpr_msb 16                       ;  msbs: dst=0 src0=0 src1=0 src2=1
	s_delay_alu instid0(VALU_DEP_1) | instskip(SKIP_1) | instid1(VALU_DEP_1)
	v_add3_u32 v89, v89, v91, v24 /*v280*/
	s_set_vgpr_msb 20                       ;  msbs: dst=0 src0=0 src1=1 src2=1
	v_add3_u32 v89, v89, v25 /*v281*/, v26 /*v282*/
	s_delay_alu instid0(VALU_DEP_1) | instskip(NEXT) | instid1(VALU_DEP_1)
	v_add3_u32 v89, v89, v9 /*v265*/, v28 /*v284*/
	v_add3_u32 v89, v89, v27 /*v283*/, v29 /*v285*/
	s_set_vgpr_msb 16                       ;  msbs: dst=0 src0=0 src1=0 src2=1
	s_delay_alu instid0(VALU_DEP_1) | instskip(SKIP_1) | instid1(VALU_DEP_1)
	v_add3_u32 v87, v89, v87, v30 /*v286*/
	s_set_vgpr_msb 20                       ;  msbs: dst=0 src0=0 src1=1 src2=1
	v_add3_u32 v87, v87, v31 /*v287*/, v32 /*v288*/
	s_set_vgpr_msb 0                        ;  msbs: dst=0 src0=0 src1=0 src2=0
	s_delay_alu instid0(VALU_DEP_1) | instskip(SKIP_3) | instid1(VALU_DEP_3)
	v_add3_u32 v82, v87, v82, v83
	v_pk_mul_f16 v83, v198, v84
	v_add_nc_u32_e32 v84, 0x1c04, v99
	s_set_vgpr_msb 20                       ;  msbs: dst=0 src0=0 src1=1 src2=1
	v_add3_u32 v82, v82, v7 /*v263*/, v8 /*v264*/
	s_set_vgpr_msb 64                       ;  msbs: dst=1 src0=0 src1=0 src2=0
	ds_load_2addr_b32 v[8:9] /*v[264:265]*/, v84 offset1:1
	s_set_vgpr_msb 0                        ;  msbs: dst=0 src0=0 src1=0 src2=0
	v_add_nc_u32_e32 v84, 0x1c14, v99
	v_cvt_f32_i32_e32 v82, v82
	s_delay_alu instid0(VALU_DEP_1)
	v_fma_mix_f32 v82, v83, v82, v83 op_sel:[0,0,1] op_sel_hi:[1,0,1]
	v_add_nc_u32_e32 v83, 0x1c00, v99
	v_add_nc_u32_e32 v99, 32, v99
	ds_load_2addr_b32 v[90:91], v83 offset0:4 offset1:7
	s_set_vgpr_msb 64                       ;  msbs: dst=1 src0=0 src1=0 src2=0
	ds_load_2addr_b32 v[10:11] /*v[266:267]*/, v84 offset1:1
	ds_load_2addr_b32 v[12:13] /*v[268:269]*/, v83 offset1:3
	s_wait_dscnt 0x3
	s_set_vgpr_msb 0x41                     ;  msbs: dst=1 src0=1 src1=0 src2=0
	v_bfe_i32 v17 /*v273*/, v8 /*v264*/, 0, 8
	v_bfe_i32 v18 /*v274*/, v8 /*v264*/, 8, 8
	;; [unrolled: 1-line block ×3, first 2 shown]
	s_set_vgpr_msb 0x44                     ;  msbs: dst=1 src0=0 src1=1 src2=0
	v_ashrrev_i32_e32 v8 /*v264*/, 24, v8 /*v264*/
	s_set_vgpr_msb 0x41                     ;  msbs: dst=1 src0=1 src1=0 src2=0
	v_bfe_i32 v23 /*v279*/, v9 /*v265*/, 0, 8
	v_bfe_i32 v24 /*v280*/, v9 /*v265*/, 8, 8
	;; [unrolled: 1-line block ×3, first 2 shown]
	s_set_vgpr_msb 0x44                     ;  msbs: dst=1 src0=0 src1=1 src2=0
	v_ashrrev_i32_e32 v9 /*v265*/, 24, v9 /*v265*/
	s_set_vgpr_msb 1                        ;  msbs: dst=0 src0=1 src1=0 src2=0
	v_mul_i32_i24_e32 v111, v8 /*v264*/, v111
	s_delay_alu instid0(VALU_DEP_2)
	v_mul_i32_i24_e32 v112, v9 /*v265*/, v112
	s_wait_dscnt 0x2
	s_set_vgpr_msb 64                       ;  msbs: dst=1 src0=0 src1=0 src2=0
	v_bfe_i32 v15 /*v271*/, v90, 8, 8
	s_wait_dscnt 0x0
	s_set_vgpr_msb 1                        ;  msbs: dst=0 src0=1 src1=0 src2=0
	v_bfe_i32 v83, v12 /*v268*/, 0, 8
	v_bfe_i32 v84, v12 /*v268*/, 8, 8
	s_set_vgpr_msb 0x41                     ;  msbs: dst=1 src0=1 src1=0 src2=0
	v_bfe_i32 v7 /*v263*/, v12 /*v268*/, 16, 8
	s_set_vgpr_msb 0x44                     ;  msbs: dst=1 src0=0 src1=1 src2=0
	v_ashrrev_i32_e32 v12 /*v268*/, 24, v12 /*v268*/
	v_bfe_i32 v14 /*v270*/, v90, 0, 8
	v_bfe_i32 v16 /*v272*/, v90, 16, 8
	s_set_vgpr_msb 0                        ;  msbs: dst=0 src0=0 src1=0 src2=0
	v_ashrrev_i32_e32 v90, 24, v90
	s_set_vgpr_msb 0x41                     ;  msbs: dst=1 src0=1 src1=0 src2=0
	v_bfe_i32 v20 /*v276*/, v10 /*v266*/, 0, 8
	v_bfe_i32 v21 /*v277*/, v10 /*v266*/, 8, 8
	;; [unrolled: 1-line block ×3, first 2 shown]
	s_set_vgpr_msb 0x44                     ;  msbs: dst=1 src0=0 src1=1 src2=0
	v_ashrrev_i32_e32 v10 /*v266*/, 24, v10 /*v266*/
	s_set_vgpr_msb 0                        ;  msbs: dst=0 src0=0 src1=0 src2=0
	v_mul_i32_i24_e32 v89, v230, v84
	s_set_vgpr_msb 4                        ;  msbs: dst=0 src0=0 src1=1 src2=0
	v_mul_i32_i24_e32 v230, v231, v12 /*v268*/
	v_mul_i32_i24_e32 v231, v247, v15 /*v271*/
	s_set_vgpr_msb 0                        ;  msbs: dst=0 src0=0 src1=0 src2=0
	v_mul_i32_i24_e32 v87, v83, v113
	s_set_vgpr_msb 4                        ;  msbs: dst=0 src0=0 src1=1 src2=0
	v_mul_i32_i24_e32 v113, v232, v7 /*v263*/
	v_mul_i32_i24_e32 v232, v248, v16 /*v272*/
	s_set_vgpr_msb 0                        ;  msbs: dst=0 src0=0 src1=0 src2=0
	v_mul_i32_i24_e32 v106, v106, v90
	s_set_vgpr_msb 4                        ;  msbs: dst=0 src0=0 src1=1 src2=0
	v_mad_i32_i24 v231, v246, v14 /*v270*/, v231
	s_set_vgpr_msb 1                        ;  msbs: dst=0 src0=1 src1=0 src2=0
	v_mul_i32_i24_e32 v248, v18 /*v274*/, v249
	v_mul_i32_i24_e32 v247, v17 /*v273*/, v251
	;; [unrolled: 1-line block ×4, first 2 shown]
	s_set_vgpr_msb 0                        ;  msbs: dst=0 src0=0 src1=0 src2=0
	v_add3_u32 v106, v231, v232, v106
	s_set_vgpr_msb 1                        ;  msbs: dst=0 src0=1 src1=0 src2=0
	v_mul_i32_i24_e32 v107, v10 /*v266*/, v107
	v_mul_i32_i24_e32 v251, v21 /*v277*/, v252
	;; [unrolled: 1-line block ×4, first 2 shown]
	s_set_vgpr_msb 0                        ;  msbs: dst=0 src0=0 src1=0 src2=0
	v_add3_u32 v106, v106, v111, v248
	s_set_vgpr_msb 0x41                     ;  msbs: dst=1 src0=1 src1=0 src2=0
	v_bfe_i32 v26 /*v282*/, v11 /*v267*/, 0, 8
	v_bfe_i32 v27 /*v283*/, v11 /*v267*/, 8, 8
	v_bfe_i32 v28 /*v284*/, v11 /*v267*/, 16, 8
	s_set_vgpr_msb 0x44                     ;  msbs: dst=1 src0=0 src1=1 src2=0
	v_ashrrev_i32_e32 v11 /*v267*/, 24, v11 /*v267*/
	s_set_vgpr_msb 0                        ;  msbs: dst=0 src0=0 src1=0 src2=0
	v_add3_u32 v106, v106, v247, v249
	s_set_vgpr_msb 5                        ;  msbs: dst=0 src0=1 src1=1 src2=0
	v_mul_i32_i24_e32 v253, v23 /*v279*/, v1 /*v257*/
	v_mul_i32_i24_e32 v255, v25 /*v281*/, v0 /*v256*/
	s_set_vgpr_msb 0x41                     ;  msbs: dst=1 src0=1 src1=0 src2=0
	v_bfe_i32 v29 /*v285*/, v13 /*v269*/, 0, 8
	v_bfe_i32 v30 /*v286*/, v13 /*v269*/, 8, 8
	s_set_vgpr_msb 0                        ;  msbs: dst=0 src0=0 src1=0 src2=0
	v_add3_u32 v106, v106, v107, v250
	s_set_vgpr_msb 0x41                     ;  msbs: dst=1 src0=1 src1=0 src2=0
	v_bfe_i32 v31 /*v287*/, v13 /*v269*/, 16, 8
	s_set_vgpr_msb 0x44                     ;  msbs: dst=1 src0=0 src1=1 src2=0
	v_ashrrev_i32_e32 v13 /*v269*/, 24, v13 /*v269*/
	s_set_vgpr_msb 1                        ;  msbs: dst=0 src0=1 src1=0 src2=0
	v_mul_i32_i24_e32 v80, v26 /*v282*/, v80
	v_mul_i32_i24_e32 v108, v11 /*v267*/, v108
	s_set_vgpr_msb 0                        ;  msbs: dst=0 src0=0 src1=0 src2=0
	v_add3_u32 v106, v106, v251, v252
	s_set_vgpr_msb 0x45                     ;  msbs: dst=1 src0=1 src1=1 src2=0
	v_mul_i32_i24_e32 v0 /*v256*/, v27 /*v283*/, v2 /*v258*/
	v_mul_i32_i24_e32 v1 /*v257*/, v28 /*v284*/, v3 /*v259*/
	v_mul_i32_i24_e32 v3 /*v259*/, v30 /*v286*/, v4 /*v260*/
	s_set_vgpr_msb 1                        ;  msbs: dst=0 src0=1 src1=0 src2=0
	v_mul_i32_i24_e32 v109, v13 /*v269*/, v109
	s_set_vgpr_msb 0                        ;  msbs: dst=0 src0=0 src1=0 src2=0
	v_add3_u32 v106, v106, v112, v254
	s_set_vgpr_msb 64                       ;  msbs: dst=1 src0=0 src1=0 src2=0
	v_bfe_i32 v32 /*v288*/, v91, 0, 8
	v_bfe_i32 v33 /*v289*/, v91, 8, 8
	v_bfe_i32 v34 /*v290*/, v91, 16, 8
	s_set_vgpr_msb 0                        ;  msbs: dst=0 src0=0 src1=0 src2=0
	v_ashrrev_i32_e32 v91, 24, v91
	v_add3_u32 v106, v106, v253, v255
	s_set_vgpr_msb 0x45                     ;  msbs: dst=1 src0=1 src1=1 src2=0
	v_mul_i32_i24_e32 v2 /*v258*/, v29 /*v285*/, v6 /*v262*/
	v_mul_i32_i24_e32 v4 /*v260*/, v31 /*v287*/, v5 /*v261*/
	s_set_vgpr_msb 1                        ;  msbs: dst=0 src0=1 src1=0 src2=0
	v_mul_i32_i24_e32 v110, v32 /*v288*/, v110
	s_set_vgpr_msb 0                        ;  msbs: dst=0 src0=0 src1=0 src2=0
	v_mul_i32_i24_e32 v226, v91, v226
	v_add3_u32 v80, v106, v108, v80
	s_set_vgpr_msb 1                        ;  msbs: dst=0 src0=1 src1=0 src2=0
	v_mul_i32_i24_e32 v225, v33 /*v289*/, v225
	v_mul_i32_i24_e32 v227, v34 /*v290*/, v227
	;; [unrolled: 1-line block ×3, first 2 shown]
	s_set_vgpr_msb 0                        ;  msbs: dst=0 src0=0 src1=0 src2=0
	v_mul_i32_i24_e32 v107, v90, v120
	s_set_vgpr_msb 20                       ;  msbs: dst=0 src0=0 src1=1 src2=1
	v_add3_u32 v80, v80, v0 /*v256*/, v1 /*v257*/
	s_set_vgpr_msb 1                        ;  msbs: dst=0 src0=1 src1=0 src2=0
	v_mul_i32_i24_e32 v111, v8 /*v264*/, v124
	v_mul_i32_i24_e32 v108, v17 /*v273*/, v121
	;; [unrolled: 1-line block ×4, first 2 shown]
	s_set_vgpr_msb 16                       ;  msbs: dst=0 src0=0 src1=0 src2=1
	v_add3_u32 v80, v80, v109, v3 /*v259*/
	s_set_vgpr_msb 1                        ;  msbs: dst=0 src0=1 src1=0 src2=0
	v_mul_i32_i24_e32 v109, v18 /*v274*/, v122
	v_mul_i32_i24_e32 v117, v10 /*v266*/, v127
	;; [unrolled: 1-line block ×4, first 2 shown]
	s_set_vgpr_msb 20                       ;  msbs: dst=0 src0=0 src1=1 src2=1
	v_add3_u32 v80, v80, v2 /*v258*/, v4 /*v260*/
	s_set_vgpr_msb 1                        ;  msbs: dst=0 src0=1 src1=0 src2=0
	v_mul_i32_i24_e32 v122, v26 /*v282*/, v132
	v_mul_i32_i24_e32 v124, v11 /*v267*/, v134
	;; [unrolled: 1-line block ×4, first 2 shown]
	s_set_vgpr_msb 0                        ;  msbs: dst=0 src0=0 src1=0 src2=0
	v_add3_u32 v80, v80, v226, v110
	s_set_vgpr_msb 1                        ;  msbs: dst=0 src0=1 src1=0 src2=0
	v_mul_i32_i24_e32 v110, v19 /*v275*/, v123
	v_mul_i32_i24_e32 v123, v27 /*v283*/, v133
	;; [unrolled: 1-line block ×3, first 2 shown]
	s_set_vgpr_msb 0                        ;  msbs: dst=0 src0=0 src1=0 src2=0
	v_mul_i32_i24_e32 v131, v91, v229
	v_add3_u32 v80, v80, v225, v227
	s_set_vgpr_msb 1                        ;  msbs: dst=0 src0=1 src1=0 src2=0
	v_mul_i32_i24_e32 v130, v33 /*v289*/, v228
	v_mul_i32_i24_e32 v93, v34 /*v290*/, v93
	;; [unrolled: 1-line block ×4, first 2 shown]
	s_set_vgpr_msb 0                        ;  msbs: dst=0 src0=0 src1=0 src2=0
	v_add3_u32 v80, v80, v87, v89
	v_pk_mul_f16 v87, v105, v85
	s_set_vgpr_msb 1                        ;  msbs: dst=0 src0=1 src1=0 src2=0
	v_mul_i32_i24_e32 v105, v15 /*v271*/, v119
	v_mul_i32_i24_e32 v119, v24 /*v280*/, v128
	;; [unrolled: 1-line block ×3, first 2 shown]
	s_set_vgpr_msb 0                        ;  msbs: dst=0 src0=0 src1=0 src2=0
	v_add3_u32 v80, v80, v113, v230
	s_set_vgpr_msb 1                        ;  msbs: dst=0 src0=1 src1=0 src2=0
	v_mul_i32_i24_e32 v113, v21 /*v277*/, v126
	v_mad_i32_i24 v105, v14 /*v270*/, v115, v105
	v_mul_i32_i24_e32 v126, v30 /*v286*/, v135
	s_set_vgpr_msb 4                        ;  msbs: dst=0 src0=0 src1=1 src2=0
	v_mul_i32_i24_e32 v89, v234, v12 /*v268*/
	v_cvt_f32_i32_e32 v80, v80
	s_set_vgpr_msb 1                        ;  msbs: dst=0 src0=1 src1=0 src2=0
	v_mul_i32_i24_e32 v115, v26 /*v282*/, v190
	s_set_vgpr_msb 0                        ;  msbs: dst=0 src0=0 src1=0 src2=0
	v_add3_u32 v105, v105, v106, v107
	s_set_vgpr_msb 1                        ;  msbs: dst=0 src0=1 src1=0 src2=0
	v_mul_i32_i24_e32 v107, v8 /*v264*/, v150
	v_mul_i32_i24_e32 v106, v19 /*v275*/, v149
	s_set_vgpr_msb 0                        ;  msbs: dst=0 src0=0 src1=0 src2=0
	v_fma_mix_f32 v80, v87, v80, v87 op_sel:[0,0,1] op_sel_hi:[1,0,1]
	s_set_vgpr_msb 4                        ;  msbs: dst=0 src0=0 src1=1 src2=0
	v_mul_i32_i24_e32 v87, v235, v7 /*v263*/
	s_set_vgpr_msb 0                        ;  msbs: dst=0 src0=0 src1=0 src2=0
	v_add3_u32 v105, v105, v111, v109
	s_set_vgpr_msb 1                        ;  msbs: dst=0 src0=1 src1=0 src2=0
	v_mul_i32_i24_e32 v109, v21 /*v277*/, v152
	v_mul_i32_i24_e32 v111, v23 /*v279*/, v187
	s_set_vgpr_msb 0                        ;  msbs: dst=0 src0=0 src1=0 src2=0
	v_pk_add_f32 v[30:31], v[30:31], v[80:81]
	v_mul_i32_i24_e32 v80, v83, v118
	v_add3_u32 v105, v105, v108, v110
	s_set_vgpr_msb 1                        ;  msbs: dst=0 src0=1 src1=0 src2=0
	v_mul_i32_i24_e32 v118, v23 /*v279*/, v129
	v_mul_i32_i24_e32 v129, v32 /*v288*/, v139
	s_set_vgpr_msb 0                        ;  msbs: dst=0 src0=0 src1=0 src2=0
	v_mul_i32_i24_e32 v81, v233, v84
	s_set_vgpr_msb 1                        ;  msbs: dst=0 src0=1 src1=0 src2=0
	v_mul_i32_i24_e32 v108, v20 /*v276*/, v151
	s_set_vgpr_msb 0                        ;  msbs: dst=0 src0=0 src1=0 src2=0
	v_add3_u32 v105, v105, v117, v112
	s_set_vgpr_msb 1                        ;  msbs: dst=0 src0=1 src1=0 src2=0
	v_mul_i32_i24_e32 v110, v22 /*v278*/, v143
	v_mul_i32_i24_e32 v112, v24 /*v280*/, v153
	;; [unrolled: 1-line block ×4, first 2 shown]
	s_set_vgpr_msb 0                        ;  msbs: dst=0 src0=0 src1=0 src2=0
	v_add3_u32 v105, v105, v113, v116
	s_set_vgpr_msb 1                        ;  msbs: dst=0 src0=1 src1=0 src2=0
	v_mul_i32_i24_e32 v113, v25 /*v281*/, v189
	v_mul_i32_i24_e32 v116, v27 /*v283*/, v191
	s_set_vgpr_msb 0                        ;  msbs: dst=0 src0=0 src1=0 src2=0
	v_add3_u32 v105, v105, v121, v119
	s_set_vgpr_msb 1                        ;  msbs: dst=0 src0=1 src1=0 src2=0
	v_mul_i32_i24_e32 v119, v30 /*v286*/, v193
	v_mul_i32_i24_e32 v121, v13 /*v269*/, v196
	;; [unrolled: 5-line block ×3, first 2 shown]
	s_set_vgpr_msb 0                        ;  msbs: dst=0 src0=0 src1=0 src2=0
	v_add3_u32 v105, v105, v124, v122
	s_set_vgpr_msb 1                        ;  msbs: dst=0 src0=1 src1=0 src2=0
	v_mul_i32_i24_e32 v122, v32 /*v288*/, v197
	s_set_vgpr_msb 0                        ;  msbs: dst=0 src0=0 src1=0 src2=0
	v_mul_i32_i24_e32 v124, v91, v237
	v_mul_i32_i24_e32 v91, v91, v241
	v_add3_u32 v92, v105, v123, v92
	s_set_vgpr_msb 1                        ;  msbs: dst=0 src0=1 src1=0 src2=0
	v_mul_i32_i24_e32 v105, v18 /*v274*/, v148
	v_mul_i32_i24_e32 v123, v33 /*v289*/, v236
	s_set_vgpr_msb 0                        ;  msbs: dst=0 src0=0 src1=0 src2=0
	v_add3_u32 v92, v92, v128, v126
	s_delay_alu instid0(VALU_DEP_1) | instskip(NEXT) | instid1(VALU_DEP_1)
	v_add3_u32 v92, v92, v125, v127
	v_add3_u32 v92, v92, v131, v129
	s_delay_alu instid0(VALU_DEP_1) | instskip(SKIP_1) | instid1(VALU_DEP_2)
	v_add3_u32 v92, v92, v130, v93
	v_mul_i32_i24_e32 v93, v90, v146
	v_add3_u32 v80, v92, v80, v81
	v_pk_mul_f16 v81, v114, v85
	s_set_vgpr_msb 1                        ;  msbs: dst=0 src0=1 src1=0 src2=0
	v_mul_i32_i24_e32 v92, v16 /*v272*/, v142
	v_mul_i32_i24_e32 v114, v9 /*v265*/, v188
	s_set_vgpr_msb 0                        ;  msbs: dst=0 src0=0 src1=0 src2=0
	v_add3_u32 v80, v80, v87, v89
	s_set_vgpr_msb 4                        ;  msbs: dst=0 src0=0 src1=1 src2=0
	v_mul_i32_i24_e32 v87, v94, v7 /*v263*/
	s_set_vgpr_msb 1                        ;  msbs: dst=0 src0=1 src1=0 src2=0
	v_mul_i32_i24_e32 v94, v17 /*v273*/, v147
	s_set_vgpr_msb 0                        ;  msbs: dst=0 src0=0 src1=0 src2=0
	v_cvt_f32_i32_e32 v80, v80
	s_delay_alu instid0(VALU_DEP_1) | instskip(SKIP_2) | instid1(VALU_DEP_3)
	v_fma_mix_f32 v89, v81, v80, v81 op_sel:[0,0,1] op_sel_hi:[1,0,1]
	v_mul_i32_i24_e32 v80, v83, v144
	v_mul_i32_i24_e32 v81, v238, v84
	v_pk_add_f32 v[32:33], v[32:33], v[88:89]
	s_set_vgpr_msb 1                        ;  msbs: dst=0 src0=1 src1=0 src2=0
	v_mul_i32_i24_e32 v89, v15 /*v271*/, v145
	s_set_vgpr_msb 4                        ;  msbs: dst=0 src0=0 src1=1 src2=0
	v_mul_i32_i24_e32 v88, v239, v12 /*v268*/
	s_set_vgpr_msb 1                        ;  msbs: dst=0 src0=1 src1=0 src2=0
	s_delay_alu instid0(VALU_DEP_2) | instskip(SKIP_1) | instid1(VALU_DEP_1)
	v_mad_i32_i24 v89, v14 /*v270*/, v141, v89
	s_set_vgpr_msb 0                        ;  msbs: dst=0 src0=0 src1=0 src2=0
	v_add3_u32 v89, v89, v92, v93
	s_set_vgpr_msb 1                        ;  msbs: dst=0 src0=1 src1=0 src2=0
	v_mul_i32_i24_e32 v93, v8 /*v264*/, v208
	v_mul_i32_i24_e32 v92, v19 /*v275*/, v207
	s_set_vgpr_msb 0                        ;  msbs: dst=0 src0=0 src1=0 src2=0
	v_add3_u32 v89, v89, v107, v105
	s_set_vgpr_msb 1                        ;  msbs: dst=0 src0=1 src1=0 src2=0
	v_mul_i32_i24_e32 v105, v23 /*v279*/, v213
	v_mul_i32_i24_e32 v107, v25 /*v281*/, v215
	;; [unrolled: 5-line block ×9, first 2 shown]
	s_set_vgpr_msb 0                        ;  msbs: dst=0 src0=0 src1=0 src2=0
	v_add3_u32 v89, v89, v121, v119
	s_set_vgpr_msb 1                        ;  msbs: dst=0 src0=1 src1=0 src2=0
	v_mul_i32_i24_e32 v119, v34 /*v290*/, v242
	s_set_vgpr_msb 0                        ;  msbs: dst=0 src0=0 src1=0 src2=0
	s_delay_alu instid0(VALU_DEP_2) | instskip(SKIP_3) | instid1(VALU_DEP_2)
	v_add3_u32 v89, v89, v118, v120
	s_set_vgpr_msb 1                        ;  msbs: dst=0 src0=1 src1=0 src2=0
	v_mul_i32_i24_e32 v118, v33 /*v289*/, v240
	s_set_vgpr_msb 0                        ;  msbs: dst=0 src0=0 src1=0 src2=0
	v_add3_u32 v89, v89, v124, v122
	s_delay_alu instid0(VALU_DEP_1) | instskip(SKIP_3) | instid1(VALU_DEP_2)
	v_add3_u32 v89, v89, v123, v97
	s_set_vgpr_msb 1                        ;  msbs: dst=0 src0=1 src1=0 src2=0
	v_mul_i32_i24_e32 v97, v10 /*v266*/, v211
	s_set_vgpr_msb 0                        ;  msbs: dst=0 src0=0 src1=0 src2=0
	v_add3_u32 v80, v89, v80, v81
	v_pk_mul_f16 v81, v140, v85
	s_set_vgpr_msb 1                        ;  msbs: dst=0 src0=1 src1=0 src2=0
	v_mul_i32_i24_e32 v89, v17 /*v273*/, v205
	s_set_vgpr_msb 0                        ;  msbs: dst=0 src0=0 src1=0 src2=0
	v_add3_u32 v80, v80, v87, v88
	v_mul_i32_i24_e32 v88, v90, v204
	s_set_vgpr_msb 1                        ;  msbs: dst=0 src0=1 src1=0 src2=0
	v_mul_i32_i24_e32 v90, v18 /*v274*/, v206
	s_set_vgpr_msb 0                        ;  msbs: dst=0 src0=0 src1=0 src2=0
	v_cvt_f32_i32_e32 v80, v80
	s_delay_alu instid0(VALU_DEP_1)
	v_fma_mix_f32 v87, v81, v80, v81 op_sel:[0,0,1] op_sel_hi:[1,0,1]
	v_mul_i32_i24_e32 v80, v83, v202
	v_mul_i32_i24_e32 v81, v243, v84
	s_set_vgpr_msb 4                        ;  msbs: dst=0 src0=0 src1=1 src2=0
	v_mul_i32_i24_e32 v83, v245, v7 /*v263*/
	v_mul_i32_i24_e32 v84, v244, v12 /*v268*/
	s_set_vgpr_msb 0                        ;  msbs: dst=0 src0=0 src1=0 src2=0
	v_pk_add_f32 v[34:35], v[34:35], v[86:87]
	s_set_vgpr_msb 1                        ;  msbs: dst=0 src0=1 src1=0 src2=0
	v_mul_i32_i24_e32 v86, v15 /*v271*/, v203
	v_mul_i32_i24_e32 v87, v16 /*v272*/, v200
	s_delay_alu instid0(VALU_DEP_2) | instskip(SKIP_1) | instid1(VALU_DEP_1)
	v_mad_i32_i24 v86, v14 /*v270*/, v199, v86
	s_set_vgpr_msb 0                        ;  msbs: dst=0 src0=0 src1=0 src2=0
	v_add3_u32 v86, v86, v87, v88
	s_delay_alu instid0(VALU_DEP_1) | instskip(NEXT) | instid1(VALU_DEP_1)
	v_add3_u32 v86, v86, v93, v90
	v_add3_u32 v86, v86, v89, v92
	s_delay_alu instid0(VALU_DEP_1) | instskip(NEXT) | instid1(VALU_DEP_1)
	v_add3_u32 v86, v86, v97, v94
	;; [unrolled: 3-line block ×6, first 2 shown]
	v_add3_u32 v86, v86, v118, v119
	s_delay_alu instid0(VALU_DEP_1) | instskip(SKIP_1) | instid1(VALU_DEP_2)
	v_add3_u32 v80, v86, v80, v81
	v_pk_mul_f16 v81, v198, v85
	v_add3_u32 v80, v80, v83, v84
	s_delay_alu instid0(VALU_DEP_1) | instskip(NEXT) | instid1(VALU_DEP_1)
	v_cvt_f32_i32_e32 v80, v80
	v_fma_mix_f32 v83, v81, v80, v81 op_sel:[0,0,1] op_sel_hi:[1,0,1]
	s_delay_alu instid0(VALU_DEP_1)
	v_pk_add_f32 v[36:37], v[36:37], v[82:83]
	s_cbranch_scc1 .LBB139_11
; %bb.12:                               ;   in Loop: Header=BB139_6 Depth=1
	s_barrier_signal -1
	s_barrier_wait -1
	s_branch .LBB139_5
.LBB139_13:
	v_dual_mov_b32 v0, 0 :: v_dual_mov_b32 v28, 0
	v_dual_mov_b32 v38, 0 :: v_dual_mov_b32 v39, 0
	;; [unrolled: 1-line block ×14, first 2 shown]
	s_wait_xcnt 0x0
	s_mov_b32 s0, exec_lo
	v_cmpx_gt_u32_e64 s4, v7
	s_cbranch_execnz .LBB139_16
.LBB139_14:
	s_sendmsg sendmsg(MSG_DEALLOC_VGPRS)
	s_endpgm
.LBB139_15:
	v_cvt_pk_f16_f32 v40, v64, v65
	v_cvt_pk_f16_f32 v39, v68, v69
	;; [unrolled: 1-line block ×4, first 2 shown]
	v_cvt_f16_f32_e32 v29, v74
	v_cvt_f16_f32_e32 v27, v31
	;; [unrolled: 1-line block ×24, first 2 shown]
	v_dual_mov_b32 v5, v1 :: v_dual_mov_b32 v17, v3
	s_mov_b32 s0, exec_lo
	s_wait_xcnt 0x0
	v_cmpx_gt_u32_e64 s4, v7
	s_cbranch_execz .LBB139_14
.LBB139_16:
	v_mul_lo_u32 v30, v7, s6
	v_add_nc_u32_e32 v1, s14, v17
	s_delay_alu instid0(VALU_DEP_1)
	v_cmp_gt_u32_e32 vcc_lo, s6, v1
	s_and_saveexec_b32 s0, vcc_lo
	s_cbranch_execz .LBB139_18
; %bb.17:
	s_delay_alu instid0(VALU_DEP_3)
	v_add_nc_u32_e32 v3, v1, v30
	s_wait_kmcnt 0x0
	global_store_b16 v3, v40, s[8:9] scale_offset
.LBB139_18:
	s_wait_xcnt 0x0
	s_or_b32 exec_lo, exec_lo, s0
	v_add_nc_u32_e32 v3, 32, v1
	s_delay_alu instid0(VALU_DEP_1)
	v_cmp_gt_u32_e64 s0, s6, v3
	s_and_saveexec_b32 s1, s0
	s_cbranch_execz .LBB139_20
; %bb.19:
	v_add_nc_u32_e32 v7, v3, v30
	s_wait_kmcnt 0x0
	global_store_b16 v7, v39, s[8:9] scale_offset
.LBB139_20:
	s_wait_xcnt 0x0
	s_or_b32 exec_lo, exec_lo, s1
	v_add_nc_u32_e32 v7, 64, v1
	s_delay_alu instid0(VALU_DEP_1)
	v_cmp_gt_u32_e64 s1, s6, v7
	s_and_saveexec_b32 s2, s1
	s_cbranch_execz .LBB139_22
; %bb.21:
	v_add_nc_u32_e32 v17, v7, v30
	s_wait_kmcnt 0x0
	global_store_b16 v17, v38, s[8:9] scale_offset
.LBB139_22:
	;; [unrolled: 12-line block ×3, first 2 shown]
	s_wait_xcnt 0x0
	s_or_b32 exec_lo, exec_lo, s3
	v_add3_u32 v30, v5, s7, 8
	s_delay_alu instid0(VALU_DEP_1)
	v_cmp_gt_u32_e64 s3, s4, v30
	s_and_b32 exec_lo, exec_lo, s3
	s_cbranch_execz .LBB139_14
; %bb.25:
	v_mul_lo_u32 v30, v30, s6
	s_and_saveexec_b32 s3, vcc_lo
	s_cbranch_execnz .LBB139_65
; %bb.26:
	s_or_b32 exec_lo, exec_lo, s3
	s_and_saveexec_b32 s3, s0
	s_cbranch_execnz .LBB139_66
.LBB139_27:
	s_or_b32 exec_lo, exec_lo, s3
	s_and_saveexec_b32 s3, s1
	s_cbranch_execnz .LBB139_67
.LBB139_28:
	s_or_b32 exec_lo, exec_lo, s3
	s_and_saveexec_b32 s3, s2
	s_cbranch_execz .LBB139_30
.LBB139_29:
	v_add_nc_u32_e32 v30, v30, v17
	s_wait_kmcnt 0x0
	global_store_d16_hi_b16 v30, v28, s[8:9] scale_offset
.LBB139_30:
	s_wait_xcnt 0x0
	s_or_b32 exec_lo, exec_lo, s3
	v_add3_u32 v28, v5, s7, 16
	s_delay_alu instid0(VALU_DEP_1)
	v_cmp_gt_u32_e64 s3, s4, v28
	s_and_b32 exec_lo, exec_lo, s3
	s_cbranch_execz .LBB139_14
; %bb.31:
	v_mul_lo_u32 v28, v28, s6
	s_and_saveexec_b32 s3, vcc_lo
	s_cbranch_execnz .LBB139_68
; %bb.32:
	s_or_b32 exec_lo, exec_lo, s3
	s_and_saveexec_b32 s3, s0
	s_cbranch_execnz .LBB139_69
.LBB139_33:
	s_or_b32 exec_lo, exec_lo, s3
	s_and_saveexec_b32 s3, s1
	s_cbranch_execnz .LBB139_70
.LBB139_34:
	s_or_b32 exec_lo, exec_lo, s3
	s_and_saveexec_b32 s3, s2
	s_cbranch_execz .LBB139_36
.LBB139_35:
	v_add_nc_u32_e32 v26, v28, v17
	s_wait_kmcnt 0x0
	global_store_b16 v26, v25, s[8:9] scale_offset
.LBB139_36:
	s_wait_xcnt 0x0
	s_or_b32 exec_lo, exec_lo, s3
	v_add3_u32 v25, v5, s7, 24
	s_delay_alu instid0(VALU_DEP_1)
	v_cmp_gt_u32_e64 s3, s4, v25
	s_and_b32 exec_lo, exec_lo, s3
	s_cbranch_execz .LBB139_14
; %bb.37:
	v_mul_lo_u32 v25, v25, s6
	s_and_saveexec_b32 s3, vcc_lo
	s_cbranch_execnz .LBB139_71
; %bb.38:
	s_or_b32 exec_lo, exec_lo, s3
	s_and_saveexec_b32 s3, s0
	s_cbranch_execnz .LBB139_72
.LBB139_39:
	s_or_b32 exec_lo, exec_lo, s3
	s_and_saveexec_b32 s3, s1
	s_cbranch_execnz .LBB139_73
.LBB139_40:
	s_or_b32 exec_lo, exec_lo, s3
	s_and_saveexec_b32 s3, s2
	s_cbranch_execz .LBB139_42
.LBB139_41:
	v_add_nc_u32_e32 v22, v25, v17
	s_wait_kmcnt 0x0
	global_store_b16 v22, v21, s[8:9] scale_offset
.LBB139_42:
	s_wait_xcnt 0x0
	s_or_b32 exec_lo, exec_lo, s3
	v_add3_u32 v21, v5, s7, 32
	s_delay_alu instid0(VALU_DEP_1)
	v_cmp_gt_u32_e64 s3, s4, v21
	s_and_b32 exec_lo, exec_lo, s3
	s_cbranch_execz .LBB139_14
; %bb.43:
	v_mul_lo_u32 v21, v21, s6
	s_and_saveexec_b32 s3, vcc_lo
	s_cbranch_execnz .LBB139_74
; %bb.44:
	s_or_b32 exec_lo, exec_lo, s3
	s_and_saveexec_b32 s3, s0
	s_cbranch_execnz .LBB139_75
.LBB139_45:
	s_or_b32 exec_lo, exec_lo, s3
	s_and_saveexec_b32 s3, s1
	s_cbranch_execnz .LBB139_76
.LBB139_46:
	s_or_b32 exec_lo, exec_lo, s3
	s_and_saveexec_b32 s3, s2
	s_cbranch_execz .LBB139_48
.LBB139_47:
	v_add_nc_u32_e32 v18, v21, v17
	s_wait_kmcnt 0x0
	global_store_b16 v18, v16, s[8:9] scale_offset
.LBB139_48:
	s_wait_xcnt 0x0
	s_or_b32 exec_lo, exec_lo, s3
	v_add3_u32 v16, v5, s7, 40
	s_delay_alu instid0(VALU_DEP_1)
	v_cmp_gt_u32_e64 s3, s4, v16
	s_and_b32 exec_lo, exec_lo, s3
	s_cbranch_execz .LBB139_14
; %bb.49:
	v_mul_lo_u32 v16, v16, s6
	s_and_saveexec_b32 s3, vcc_lo
	s_cbranch_execnz .LBB139_77
; %bb.50:
	s_or_b32 exec_lo, exec_lo, s3
	s_and_saveexec_b32 s3, s0
	s_cbranch_execnz .LBB139_78
.LBB139_51:
	s_or_b32 exec_lo, exec_lo, s3
	s_and_saveexec_b32 s3, s1
	s_cbranch_execnz .LBB139_79
.LBB139_52:
	s_or_b32 exec_lo, exec_lo, s3
	s_and_saveexec_b32 s3, s2
	s_cbranch_execz .LBB139_54
.LBB139_53:
	v_add_nc_u32_e32 v13, v16, v17
	s_wait_kmcnt 0x0
	global_store_b16 v13, v12, s[8:9] scale_offset
.LBB139_54:
	s_wait_xcnt 0x0
	s_or_b32 exec_lo, exec_lo, s3
	v_add3_u32 v12, v5, s7, 48
	s_delay_alu instid0(VALU_DEP_1)
	v_cmp_gt_u32_e64 s3, s4, v12
	s_and_b32 exec_lo, exec_lo, s3
	s_cbranch_execz .LBB139_14
; %bb.55:
	v_mul_lo_u32 v12, v12, s6
	s_and_saveexec_b32 s3, vcc_lo
	s_cbranch_execnz .LBB139_80
; %bb.56:
	s_or_b32 exec_lo, exec_lo, s3
	s_and_saveexec_b32 s3, s0
	s_cbranch_execnz .LBB139_81
.LBB139_57:
	s_or_b32 exec_lo, exec_lo, s3
	s_and_saveexec_b32 s3, s1
	s_cbranch_execnz .LBB139_82
.LBB139_58:
	s_or_b32 exec_lo, exec_lo, s3
	s_and_saveexec_b32 s3, s2
	s_cbranch_execz .LBB139_60
.LBB139_59:
	v_add_nc_u32_e32 v9, v12, v17
	s_wait_kmcnt 0x0
	global_store_b16 v9, v8, s[8:9] scale_offset
.LBB139_60:
	s_wait_xcnt 0x0
	s_or_b32 exec_lo, exec_lo, s3
	v_add3_u32 v5, v5, s7, 56
	s_delay_alu instid0(VALU_DEP_1)
	v_cmp_gt_u32_e64 s3, s4, v5
	s_and_b32 exec_lo, exec_lo, s3
	s_cbranch_execz .LBB139_14
; %bb.61:
	v_mul_lo_u32 v5, v5, s6
	s_and_saveexec_b32 s3, vcc_lo
	s_cbranch_execnz .LBB139_83
; %bb.62:
	s_or_b32 exec_lo, exec_lo, s3
	s_and_saveexec_b32 s3, s0
	s_cbranch_execnz .LBB139_84
.LBB139_63:
	s_or_b32 exec_lo, exec_lo, s3
	s_and_saveexec_b32 s0, s1
	s_cbranch_execnz .LBB139_85
.LBB139_64:
	s_or_b32 exec_lo, exec_lo, s0
	s_delay_alu instid0(SALU_CYCLE_1)
	s_and_b32 exec_lo, exec_lo, s2
	s_cbranch_execz .LBB139_14
	s_branch .LBB139_86
.LBB139_65:
	s_delay_alu instid0(VALU_DEP_1)
	v_add_nc_u32_e32 v31, v30, v1
	s_wait_kmcnt 0x0
	global_store_d16_hi_b16 v31, v40, s[8:9] scale_offset
	s_wait_xcnt 0x0
	s_or_b32 exec_lo, exec_lo, s3
	s_and_saveexec_b32 s3, s0
	s_cbranch_execz .LBB139_27
.LBB139_66:
	s_delay_alu instid0(VALU_DEP_1)
	v_add_nc_u32_e32 v31, v30, v3
	s_wait_kmcnt 0x0
	global_store_d16_hi_b16 v31, v39, s[8:9] scale_offset
	s_wait_xcnt 0x0
	s_or_b32 exec_lo, exec_lo, s3
	s_and_saveexec_b32 s3, s1
	s_cbranch_execz .LBB139_28
.LBB139_67:
	s_delay_alu instid0(VALU_DEP_1)
	v_add_nc_u32_e32 v31, v30, v7
	s_wait_kmcnt 0x0
	global_store_d16_hi_b16 v31, v38, s[8:9] scale_offset
	s_wait_xcnt 0x0
	s_or_b32 exec_lo, exec_lo, s3
	s_and_saveexec_b32 s3, s2
	s_cbranch_execnz .LBB139_29
	s_branch .LBB139_30
.LBB139_68:
	s_delay_alu instid0(VALU_DEP_1)
	v_add_nc_u32_e32 v30, v28, v1
	s_wait_kmcnt 0x0
	global_store_b16 v30, v29, s[8:9] scale_offset
	s_wait_xcnt 0x0
	s_or_b32 exec_lo, exec_lo, s3
	s_and_saveexec_b32 s3, s0
	s_cbranch_execz .LBB139_33
.LBB139_69:
	s_delay_alu instid0(VALU_DEP_1)
	v_add_nc_u32_e32 v29, v28, v3
	s_wait_kmcnt 0x0
	global_store_b16 v29, v27, s[8:9] scale_offset
	s_wait_xcnt 0x0
	s_or_b32 exec_lo, exec_lo, s3
	s_and_saveexec_b32 s3, s1
	s_cbranch_execz .LBB139_34
.LBB139_70:
	s_delay_alu instid0(VALU_DEP_1)
	v_add_nc_u32_e32 v27, v28, v7
	s_wait_kmcnt 0x0
	global_store_b16 v27, v26, s[8:9] scale_offset
	s_wait_xcnt 0x0
	s_or_b32 exec_lo, exec_lo, s3
	s_and_saveexec_b32 s3, s2
	s_cbranch_execnz .LBB139_35
	s_branch .LBB139_36
.LBB139_71:
	s_delay_alu instid0(VALU_DEP_1)
	v_add_nc_u32_e32 v26, v25, v1
	s_wait_kmcnt 0x0
	global_store_b16 v26, v24, s[8:9] scale_offset
	s_wait_xcnt 0x0
	s_or_b32 exec_lo, exec_lo, s3
	s_and_saveexec_b32 s3, s0
	s_cbranch_execz .LBB139_39
.LBB139_72:
	s_delay_alu instid0(VALU_DEP_1)
	v_add_nc_u32_e32 v24, v25, v3
	s_wait_kmcnt 0x0
	global_store_b16 v24, v23, s[8:9] scale_offset
	s_wait_xcnt 0x0
	s_or_b32 exec_lo, exec_lo, s3
	s_and_saveexec_b32 s3, s1
	s_cbranch_execz .LBB139_40
.LBB139_73:
	s_delay_alu instid0(VALU_DEP_1)
	v_add_nc_u32_e32 v23, v25, v7
	s_wait_kmcnt 0x0
	global_store_b16 v23, v22, s[8:9] scale_offset
	s_wait_xcnt 0x0
	s_or_b32 exec_lo, exec_lo, s3
	s_and_saveexec_b32 s3, s2
	s_cbranch_execnz .LBB139_41
	s_branch .LBB139_42
.LBB139_74:
	s_delay_alu instid0(VALU_DEP_1)
	v_add_nc_u32_e32 v22, v21, v1
	s_wait_kmcnt 0x0
	global_store_b16 v22, v20, s[8:9] scale_offset
	s_wait_xcnt 0x0
	s_or_b32 exec_lo, exec_lo, s3
	s_and_saveexec_b32 s3, s0
	s_cbranch_execz .LBB139_45
.LBB139_75:
	s_delay_alu instid0(VALU_DEP_1)
	v_add_nc_u32_e32 v20, v21, v3
	s_wait_kmcnt 0x0
	global_store_b16 v20, v19, s[8:9] scale_offset
	s_wait_xcnt 0x0
	s_or_b32 exec_lo, exec_lo, s3
	s_and_saveexec_b32 s3, s1
	s_cbranch_execz .LBB139_46
.LBB139_76:
	s_delay_alu instid0(VALU_DEP_1)
	v_add_nc_u32_e32 v19, v21, v7
	s_wait_kmcnt 0x0
	global_store_b16 v19, v18, s[8:9] scale_offset
	s_wait_xcnt 0x0
	s_or_b32 exec_lo, exec_lo, s3
	s_and_saveexec_b32 s3, s2
	s_cbranch_execnz .LBB139_47
	s_branch .LBB139_48
.LBB139_77:
	s_delay_alu instid0(VALU_DEP_1)
	v_add_nc_u32_e32 v18, v16, v1
	s_wait_kmcnt 0x0
	global_store_b16 v18, v15, s[8:9] scale_offset
	s_wait_xcnt 0x0
	s_or_b32 exec_lo, exec_lo, s3
	s_and_saveexec_b32 s3, s0
	s_cbranch_execz .LBB139_51
.LBB139_78:
	s_delay_alu instid0(VALU_DEP_1)
	v_add_nc_u32_e32 v15, v16, v3
	s_wait_kmcnt 0x0
	global_store_b16 v15, v14, s[8:9] scale_offset
	s_wait_xcnt 0x0
	s_or_b32 exec_lo, exec_lo, s3
	s_and_saveexec_b32 s3, s1
	s_cbranch_execz .LBB139_52
.LBB139_79:
	s_delay_alu instid0(VALU_DEP_1)
	v_add_nc_u32_e32 v14, v16, v7
	s_wait_kmcnt 0x0
	global_store_b16 v14, v13, s[8:9] scale_offset
	s_wait_xcnt 0x0
	s_or_b32 exec_lo, exec_lo, s3
	s_and_saveexec_b32 s3, s2
	s_cbranch_execnz .LBB139_53
	s_branch .LBB139_54
.LBB139_80:
	s_delay_alu instid0(VALU_DEP_1)
	v_add_nc_u32_e32 v13, v12, v1
	s_wait_kmcnt 0x0
	global_store_b16 v13, v11, s[8:9] scale_offset
	s_wait_xcnt 0x0
	s_or_b32 exec_lo, exec_lo, s3
	s_and_saveexec_b32 s3, s0
	s_cbranch_execz .LBB139_57
.LBB139_81:
	s_delay_alu instid0(VALU_DEP_1)
	v_add_nc_u32_e32 v11, v12, v3
	s_wait_kmcnt 0x0
	global_store_b16 v11, v10, s[8:9] scale_offset
	s_wait_xcnt 0x0
	s_or_b32 exec_lo, exec_lo, s3
	s_and_saveexec_b32 s3, s1
	s_cbranch_execz .LBB139_58
.LBB139_82:
	s_delay_alu instid0(VALU_DEP_1)
	v_add_nc_u32_e32 v10, v12, v7
	s_wait_kmcnt 0x0
	global_store_b16 v10, v9, s[8:9] scale_offset
	s_wait_xcnt 0x0
	s_or_b32 exec_lo, exec_lo, s3
	s_and_saveexec_b32 s3, s2
	s_cbranch_execnz .LBB139_59
	s_branch .LBB139_60
.LBB139_83:
	s_delay_alu instid0(VALU_DEP_1)
	v_add_nc_u32_e32 v1, v5, v1
	s_wait_kmcnt 0x0
	global_store_b16 v1, v6, s[8:9] scale_offset
	s_wait_xcnt 0x0
	s_or_b32 exec_lo, exec_lo, s3
	s_and_saveexec_b32 s3, s0
	s_cbranch_execz .LBB139_63
.LBB139_84:
	s_delay_alu instid0(VALU_DEP_1)
	v_add_nc_u32_e32 v1, v5, v3
	s_wait_kmcnt 0x0
	global_store_b16 v1, v4, s[8:9] scale_offset
	s_wait_xcnt 0x0
	s_or_b32 exec_lo, exec_lo, s3
	s_and_saveexec_b32 s0, s1
	s_cbranch_execz .LBB139_64
.LBB139_85:
	s_delay_alu instid0(VALU_DEP_1) | instskip(SKIP_4) | instid1(SALU_CYCLE_1)
	v_add_nc_u32_e32 v1, v5, v7
	s_wait_kmcnt 0x0
	global_store_b16 v1, v2, s[8:9] scale_offset
	s_wait_xcnt 0x0
	s_or_b32 exec_lo, exec_lo, s0
	s_and_b32 exec_lo, exec_lo, s2
	s_cbranch_execz .LBB139_14
.LBB139_86:
	v_add_nc_u32_e32 v1, v5, v17
	s_wait_kmcnt 0x0
	global_store_b16 v1, v0, s[8:9] scale_offset
	s_sendmsg sendmsg(MSG_DEALLOC_VGPRS)
	s_endpgm
	.section	.rodata,"a",@progbits
	.p2align	6, 0x0
	.amdhsa_kernel _ZL12mul_mat_q4_1IN3c104HalfELb0EEvPKvS3_PT_iiiii
		.amdhsa_group_segment_fixed_size 30336
		.amdhsa_private_segment_fixed_size 0
		.amdhsa_kernarg_size 44
		.amdhsa_user_sgpr_count 2
		.amdhsa_user_sgpr_dispatch_ptr 0
		.amdhsa_user_sgpr_queue_ptr 0
		.amdhsa_user_sgpr_kernarg_segment_ptr 1
		.amdhsa_user_sgpr_dispatch_id 0
		.amdhsa_user_sgpr_kernarg_preload_length 0
		.amdhsa_user_sgpr_kernarg_preload_offset 0
		.amdhsa_user_sgpr_private_segment_size 0
		.amdhsa_wavefront_size32 1
		.amdhsa_uses_dynamic_stack 0
		.amdhsa_enable_private_segment 0
		.amdhsa_system_sgpr_workgroup_id_x 1
		.amdhsa_system_sgpr_workgroup_id_y 1
		.amdhsa_system_sgpr_workgroup_id_z 0
		.amdhsa_system_sgpr_workgroup_info 0
		.amdhsa_system_vgpr_workitem_id 1
		.amdhsa_next_free_vgpr 451
		.amdhsa_next_free_sgpr 18
		.amdhsa_named_barrier_count 0
		.amdhsa_reserve_vcc 1
		.amdhsa_float_round_mode_32 0
		.amdhsa_float_round_mode_16_64 0
		.amdhsa_float_denorm_mode_32 3
		.amdhsa_float_denorm_mode_16_64 3
		.amdhsa_fp16_overflow 0
		.amdhsa_memory_ordered 1
		.amdhsa_forward_progress 1
		.amdhsa_inst_pref_size 255
		.amdhsa_round_robin_scheduling 0
		.amdhsa_exception_fp_ieee_invalid_op 0
		.amdhsa_exception_fp_denorm_src 0
		.amdhsa_exception_fp_ieee_div_zero 0
		.amdhsa_exception_fp_ieee_overflow 0
		.amdhsa_exception_fp_ieee_underflow 0
		.amdhsa_exception_fp_ieee_inexact 0
		.amdhsa_exception_int_div_zero 0
	.end_amdhsa_kernel
	.section	.text._ZL12mul_mat_q4_1IN3c104HalfELb0EEvPKvS3_PT_iiiii,"axG",@progbits,_ZL12mul_mat_q4_1IN3c104HalfELb0EEvPKvS3_PT_iiiii,comdat
.Lfunc_end139:
	.size	_ZL12mul_mat_q4_1IN3c104HalfELb0EEvPKvS3_PT_iiiii, .Lfunc_end139-_ZL12mul_mat_q4_1IN3c104HalfELb0EEvPKvS3_PT_iiiii
                                        ; -- End function
	.set _ZL12mul_mat_q4_1IN3c104HalfELb0EEvPKvS3_PT_iiiii.num_vgpr, 451
	.set _ZL12mul_mat_q4_1IN3c104HalfELb0EEvPKvS3_PT_iiiii.num_agpr, 0
	.set _ZL12mul_mat_q4_1IN3c104HalfELb0EEvPKvS3_PT_iiiii.numbered_sgpr, 18
	.set _ZL12mul_mat_q4_1IN3c104HalfELb0EEvPKvS3_PT_iiiii.num_named_barrier, 0
	.set _ZL12mul_mat_q4_1IN3c104HalfELb0EEvPKvS3_PT_iiiii.private_seg_size, 0
	.set _ZL12mul_mat_q4_1IN3c104HalfELb0EEvPKvS3_PT_iiiii.uses_vcc, 1
	.set _ZL12mul_mat_q4_1IN3c104HalfELb0EEvPKvS3_PT_iiiii.uses_flat_scratch, 0
	.set _ZL12mul_mat_q4_1IN3c104HalfELb0EEvPKvS3_PT_iiiii.has_dyn_sized_stack, 0
	.set _ZL12mul_mat_q4_1IN3c104HalfELb0EEvPKvS3_PT_iiiii.has_recursion, 0
	.set _ZL12mul_mat_q4_1IN3c104HalfELb0EEvPKvS3_PT_iiiii.has_indirect_call, 0
	.section	.AMDGPU.csdata,"",@progbits
; Kernel info:
; codeLenInByte = 40676
; TotalNumSgprs: 20
; NumVgprs: 451
; ScratchSize: 0
; MemoryBound: 0
; FloatMode: 240
; IeeeMode: 1
; LDSByteSize: 30336 bytes/workgroup (compile time only)
; SGPRBlocks: 0
; VGPRBlocks: 28
; NumSGPRsForWavesPerEU: 20
; NumVGPRsForWavesPerEU: 451
; NamedBarCnt: 0
; Occupancy: 2
; WaveLimiterHint : 0
; COMPUTE_PGM_RSRC2:SCRATCH_EN: 0
; COMPUTE_PGM_RSRC2:USER_SGPR: 2
; COMPUTE_PGM_RSRC2:TRAP_HANDLER: 0
; COMPUTE_PGM_RSRC2:TGID_X_EN: 1
; COMPUTE_PGM_RSRC2:TGID_Y_EN: 1
; COMPUTE_PGM_RSRC2:TGID_Z_EN: 0
; COMPUTE_PGM_RSRC2:TIDIG_COMP_CNT: 1
	.section	.text._ZL12mul_mat_q4_1IN3c104HalfELb1EEvPKvS3_PT_iiiii,"axG",@progbits,_ZL12mul_mat_q4_1IN3c104HalfELb1EEvPKvS3_PT_iiiii,comdat
	.globl	_ZL12mul_mat_q4_1IN3c104HalfELb1EEvPKvS3_PT_iiiii ; -- Begin function _ZL12mul_mat_q4_1IN3c104HalfELb1EEvPKvS3_PT_iiiii
	.p2align	8
	.type	_ZL12mul_mat_q4_1IN3c104HalfELb1EEvPKvS3_PT_iiiii,@function
_ZL12mul_mat_q4_1IN3c104HalfELb1EEvPKvS3_PT_iiiii: ; @_ZL12mul_mat_q4_1IN3c104HalfELb1EEvPKvS3_PT_iiiii
; %bb.0:
	s_clause 0x1
	s_load_b128 s[4:7], s[0:1], 0x18
	s_load_b32 s12, s[0:1], 0x28
	s_bfe_u32 s2, ttmp6, 0x4000c
	s_bfe_u32 s8, ttmp6, 0x40010
	s_add_co_i32 s2, s2, 1
	s_and_b32 s3, ttmp6, 15
	s_mul_i32 s2, ttmp9, s2
	s_add_co_i32 s8, s8, 1
	s_add_co_i32 s3, s3, s2
	s_mul_i32 s2, ttmp7, s8
	s_bfe_u32 s8, ttmp6, 0x40004
	s_getreg_b32 s9, hwreg(HW_REG_IB_STS2, 6, 4)
	s_add_co_i32 s8, s8, s2
	s_cmp_eq_u32 s9, 0
	v_bfe_u32 v3, v0, 10, 10
	s_cselect_b32 s8, ttmp7, s8
	v_and_b32_e32 v7, 0x3ff, v0
	s_cselect_b32 s2, ttmp9, s3
	s_lshl_b32 s13, s8, 6
	s_mov_b32 s3, 0
	s_wait_kmcnt 0x0
	s_cmp_gt_i32 s4, 31
	s_cbranch_scc1 .LBB140_2
; %bb.1:
	v_bfe_u32 v4, v0, 10, 10
	v_and_b32_e32 v14, 0x3ff, v0
	s_delay_alu instid0(VALU_DEP_2)
	v_add_nc_u32_e32 v9, s13, v4
	s_branch .LBB140_3
.LBB140_2:
	s_mov_b32 s3, -1
                                        ; implicit-def: $vgpr4
                                        ; implicit-def: $vgpr14
                                        ; implicit-def: $vgpr9
.LBB140_3:
	s_load_b64 s[8:9], s[0:1], 0x10
	s_lshl_b32 s14, s2, 7
	s_and_not1_b32 vcc_lo, exec_lo, s3
	s_mov_b32 s11, 0
	s_cbranch_vccnz .LBB140_13
; %bb.4:
	v_dual_mov_b32 v5, 0 :: v_dual_lshlrev_b32 v1, 2, v7
	v_bfe_u32 v11, v0, 3, 7
	s_ashr_i32 s10, s4, 31
	s_not_b32 s16, s14
	s_delay_alu instid0(VALU_DEP_2)
	v_dual_add_nc_u32 v9, s13, v3 :: v_dual_bitop2_b32 v4, 12, v1 bitop3:0x40
	s_lshr_b32 s10, s10, 27
	v_lshl_add_u32 v22, v3, 2, v11
	s_add_co_i32 s4, s4, s10
	s_add_co_i32 s10, s5, s16
	v_dual_add_nc_u32 v6, 8, v9 :: v_dual_add_nc_u32 v23, 16, v9
	s_delay_alu instid0(VALU_DEP_2) | instskip(SKIP_1) | instid1(VALU_DEP_3)
	v_dual_add_nc_u32 v27, 32, v9 :: v_dual_min_i32 v46, s10, v22
	v_add_nc_u32_e32 v29, 40, v9
	v_cvt_f64_u32_e32 v[20:21], v6
	v_add_nc_u32_e32 v6, 24, v9
	s_add_co_i32 s16, s6, -1
	v_cvt_f64_u32_e32 v[16:17], v9
	v_cvt_f64_i32_e32 v[14:15], s16
	v_cvt_f64_u32_e32 v[24:25], v23
	v_add_nc_u32_e32 v23, 48, v9
	v_cvt_f64_u32_e32 v[30:31], v6
	v_cvt_f64_u32_e32 v[32:33], v27
	v_dual_add_nc_u32 v6, 56, v9 :: v_dual_add_nc_u32 v8, 8, v3
	v_min_i32_e32 v10, s10, v3
	v_cvt_f64_u32_e32 v[34:35], v29
	v_cvt_f64_u32_e32 v[36:37], v23
	s_delay_alu instid0(VALU_DEP_4) | instskip(SKIP_3) | instid1(VALU_DEP_3)
	v_cvt_f64_u32_e32 v[38:39], v6
	v_dual_add_nc_u32 v18, 16, v3 :: v_dual_min_i32 v12, s10, v8
	v_dual_add_nc_u32 v28, 24, v3 :: v_dual_add_nc_u32 v47, 32, v3
	v_dual_add_nc_u32 v52, 40, v3 :: v_dual_add_nc_u32 v54, 48, v3
	v_min_i32_e32 v26, s10, v18
	s_delay_alu instid0(VALU_DEP_3) | instskip(NEXT) | instid1(VALU_DEP_4)
	v_dual_ashrrev_i32 v6, 31, v46 :: v_dual_min_i32 v48, s10, v28
	v_min_i32_e32 v50, s10, v47
	v_add_min_i32_e64 v56, v22, 32, s10
	v_add_min_i32_e64 v61, 0x60, v22, s10
	s_delay_alu instid0(VALU_DEP_4) | instskip(SKIP_2) | instid1(VALU_DEP_4)
	v_dual_lshrrev_b32 v6, 30, v6 :: v_dual_min_i32 v55, s10, v52
	v_add_min_i32_e64 v60, v22, 64, s10
	v_bfe_u32 v2, v0, 2, 8
	v_ashrrev_i32_e32 v57, 31, v61
	s_ashr_i32 s15, s7, 31
	v_dual_add_nc_u32 v40, v46, v6 :: v_dual_bitop2_b32 v6, 7, v0 bitop3:0x40
	v_ashrrev_i32_e32 v41, 31, v56
	v_dual_min_num_f64 v[16:17], v[16:17], v[14:15] :: v_dual_ashrrev_i32 v53, 31, v60
	v_min_num_f64_e32 v[20:21], v[20:21], v[14:15]
	s_delay_alu instid0(VALU_DEP_4) | instskip(NEXT) | instid1(VALU_DEP_4)
	v_dual_lshlrev_b32 v22, 2, v6 :: v_dual_bitop2_b32 v49, -4, v40 bitop3:0x40
	v_dual_min_num_f64 v[40:41], v[30:31], v[14:15] :: v_dual_lshrrev_b32 v51, 30, v41
	v_dual_min_num_f64 v[42:43], v[32:33], v[14:15] :: v_dual_lshrrev_b32 v32, 30, v57
	v_dual_min_num_f64 v[24:25], v[24:25], v[14:15] :: v_dual_lshrrev_b32 v31, 30, v53
	v_min_num_f64_e32 v[44:45], v[34:35], v[14:15]
	v_min_num_f64_e32 v[36:37], v[36:37], v[14:15]
	s_delay_alu instid0(VALU_DEP_4)
	v_dual_min_num_f64 v[14:15], v[38:39], v[14:15] :: v_dual_add_nc_u32 v32, v61, v32
	v_lshl_add_u32 v30, v3, 3, v2
	v_add_nc_u32_e32 v33, v56, v51
	s_lshr_b32 s17, s15, 27
	v_and_b32_e32 v38, 3, v0
	v_and_b32_e32 v32, -4, v32
	v_dual_add_nc_u32 v31, v60, v31 :: v_dual_bitop2_b32 v30, 63, v30 bitop3:0x40
	v_and_b32_e32 v33, -4, v33
	s_add_co_i32 s7, s7, s17
	v_lshlrev_b32_e32 v51, 2, v38
	s_delay_alu instid0(VALU_DEP_3)
	v_or_b32_e32 v35, s13, v30
	s_ashr_i32 s7, s7, 5
	v_add3_u32 v39, v33, v22, 0x6200
	v_and_b32_e32 v31, -4, v31
	v_dual_add_nc_u32 v59, 56, v3 :: v_dual_min_i32 v58, s10, v54
	v_min_i32_e32 v33, s16, v35
	v_add3_u32 v34, v49, v22, 0x6200
	v_cvt_i32_f64_e32 v16, v[16:17]
	v_cvt_i32_f64_e32 v20, v[20:21]
	v_lshlrev_b32_e32 v17, 5, v46
	v_mad_u32 v33, v33, s7, v38
	v_add3_u32 v49, v31, v22, 0x6200
	v_add3_u32 v22, v32, v22, 0x6200
	v_min_i32_e32 v32, s10, v59
	s_wait_xcnt 0x0
	s_load_b128 s[0:3], s[0:1], 0x0
	v_cvt_i32_f64_e32 v21, v[24:25]
	v_cvt_i32_f64_e32 v24, v[40:41]
	;; [unrolled: 1-line block ×6, first 2 shown]
	v_add_nc_u32_e32 v37, 0x60, v7
	v_dual_add_nc_u32 v40, 64, v7 :: v_dual_add_nc_u32 v42, 32, v7
	v_lshlrev_b32_e32 v15, 5, v7
	v_and_b32_e32 v43, 0xfc, v0
	s_delay_alu instid0(VALU_DEP_4) | instskip(NEXT) | instid1(VALU_DEP_4)
	v_and_b32_e32 v37, 0x1fc, v37
	v_and_b32_e32 v40, 0x1fc, v40
	;; [unrolled: 1-line block ×3, first 2 shown]
	v_lshlrev_b32_e32 v44, 5, v56
	v_lshlrev_b32_e32 v8, 7, v8
	v_add_min_i32_e64 v64, 0x58, v3, s10
	v_add_min_i32_e64 v65, 0x60, v3, s10
	v_dual_add_nc_u32 v63, v15, v41 :: v_dual_lshlrev_b32 v41, 5, v60
	v_dual_add_nc_u32 v62, v15, v37 :: v_dual_add_nc_u32 v40, v15, v40
	v_dual_add_nc_u32 v37, v34, v17 :: v_dual_add_nc_u32 v39, v39, v44
	v_dual_lshlrev_b32 v17, 5, v61 :: v_dual_add_nc_u32 v15, v15, v43
	s_delay_alu instid0(VALU_DEP_4) | instskip(SKIP_1) | instid1(VALU_DEP_3)
	v_add_nc_u32_e32 v41, v49, v41
	v_mul_lo_u32 v158, s7, v16
	v_dual_lshlrev_b32 v16, 7, v18 :: v_dual_add_nc_u32 v43, v22, v17
	v_and_b32_e32 v22, 31, v0
	v_and_b32_e32 v0, 28, v1
	v_add_min_i32_e64 v34, v3, 64, s10
	v_add_min_i32_e64 v44, 0x48, v3, s10
	;; [unrolled: 1-line block ×3, first 2 shown]
	v_lshl_or_b32 v22, v22, 2, 0x4200
	v_add_min_i32_e64 v66, 0x68, v3, s10
	v_add_min_i32_e64 v68, 0x70, v3, s10
	;; [unrolled: 1-line block ×3, first 2 shown]
	v_lshl_or_b32 v30, v30, 4, v51
	v_mul_lo_u32 v159, s7, v20
	v_mul_lo_u32 v160, s7, v21
	;; [unrolled: 1-line block ×3, first 2 shown]
	v_dual_lshlrev_b32 v18, 7, v28 :: v_dual_lshlrev_b32 v20, 7, v47
	v_dual_lshlrev_b32 v21, 7, v52 :: v_dual_lshlrev_b32 v24, 7, v54
	v_mul_lo_u32 v165, s7, v14
	v_dual_lshlrev_b32 v14, 7, v59 :: v_dual_lshrrev_b32 v166, 3, v42
	s_delay_alu instid0(VALU_DEP_4)
	v_dual_add_nc_u32 v167, v22, v8 :: v_dual_add_nc_u32 v169, v22, v18
	v_dual_add_nc_u32 v168, v22, v16 :: v_dual_lshlrev_b32 v8, 7, v3
	s_ashr_i32 s15, s4, 5
	v_mad_u32 v13, 0x84, v10, v1
	v_mad_u32 v19, 0x84, v12, v1
	;; [unrolled: 1-line block ×16, first 2 shown]
	v_mov_b32_e32 v1, v5
	v_add_nc_u32_e32 v157, 0x7280, v30
	v_mul_lo_u32 v162, s7, v25
	v_mul_lo_u32 v163, s7, v38
	;; [unrolled: 1-line block ×3, first 2 shown]
	v_dual_add_nc_u32 v170, v22, v20 :: v_dual_add_nc_u32 v171, v22, v21
	v_dual_add_nc_u32 v172, v22, v24 :: v_dual_add_nc_u32 v173, v22, v14
	v_add_nc_u32_e32 v174, v22, v8
	v_add_nc_u32_e32 v175, 0x4200, v8
	;; [unrolled: 1-line block ×4, first 2 shown]
	v_mul_lo_u32 v8, v10, s15
	v_mul_lo_u32 v10, v12, s15
	;; [unrolled: 1-line block ×20, first 2 shown]
	s_mul_i32 s4, s15, s14
	s_wait_kmcnt 0x0
	v_add_nc_u64_e32 v[0:1], s[2:3], v[0:1]
	v_add_nc_u32_e32 v176, 0x6e00, v62
	v_add_nc_u32_e32 v177, 0x6e10, v62
	;; [unrolled: 1-line block ×6, first 2 shown]
	v_mov_b64_e32 v[70:71], 0
	v_mov_b64_e32 v[72:73], 0
	;; [unrolled: 1-line block ×16, first 2 shown]
	s_ashr_i32 s5, s4, 31
	v_mul_u32_u24_e32 v184, 0x84, v7
	v_lshl_add_u32 v185, v3, 4, 0x7280
	v_mad_u32_u24 v186, 0x84, v7, 64
	s_mul_u64 s[4:5], s[4:5], 20
	s_add_co_i32 s7, s15, 3
	s_add_nc_u64 s[0:1], s[0:1], s[4:5]
	s_mov_b32 s10, s11
	s_branch .LBB140_6
.LBB140_5:                              ;   in Loop: Header=BB140_6 Depth=1
	s_add_co_i32 s10, s10, 8
	s_add_co_i32 s7, s7, -8
	s_cmp_ge_i32 s10, s15
	s_cbranch_scc1 .LBB140_15
.LBB140_6:                              ; =>This Loop Header: Depth=1
                                        ;     Child Loop BB140_8 Depth 2
                                        ;     Child Loop BB140_11 Depth 2
	s_mul_u64 s[4:5], s[10:11], 20
	s_cmp_gt_u32 s7, 3
	s_add_nc_u64 s[4:5], s[0:1], s[4:5]
	s_wait_xcnt 0x0
	v_mad_nc_u64_u32 v[80:81], v2, 20, s[4:5]
	s_delay_alu instid0(VALU_DEP_1) | instskip(NEXT) | instid1(VALU_DEP_1)
	v_mad_nc_i64_i32 v[82:83], v8, 20, v[80:81]
	v_add_nc_u64_e32 v[82:83], v[82:83], v[4:5]
	global_load_b32 v82, v[82:83], off offset:4
	s_wait_loadcnt 0x0
	ds_store_b32 v13, v82
	s_wait_xcnt 0x0
	v_mad_nc_i64_i32 v[82:83], v10, 20, v[80:81]
	s_delay_alu instid0(VALU_DEP_1)
	v_add_nc_u64_e32 v[82:83], v[82:83], v[4:5]
	global_load_b32 v82, v[82:83], off offset:4
	s_wait_loadcnt 0x0
	ds_store_b32 v19, v82
	s_wait_xcnt 0x0
	v_mad_nc_i64_i32 v[82:83], v12, 20, v[80:81]
	s_delay_alu instid0(VALU_DEP_1)
	;; [unrolled: 7-line block ×13, first 2 shown]
	v_add_nc_u64_e32 v[82:83], v[82:83], v[4:5]
	global_load_b32 v82, v[82:83], off offset:4
	s_wait_loadcnt 0x0
	ds_store_b32 v154, v82
	s_wait_xcnt 0x0
	v_mad_nc_i64_i32 v[82:83], v44, 20, v[80:81]
	v_mad_nc_i64_i32 v[80:81], v48, 20, v[80:81]
	s_delay_alu instid0(VALU_DEP_2) | instskip(NEXT) | instid1(VALU_DEP_2)
	v_add_nc_u64_e32 v[82:83], v[82:83], v[4:5]
	v_add_nc_u64_e32 v[80:81], v[80:81], v[4:5]
	s_clause 0x1
	global_load_b32 v82, v[82:83], off offset:4
	global_load_b32 v80, v[80:81], off offset:4
	s_wait_loadcnt 0x1
	ds_store_b32 v155, v82
	s_wait_loadcnt 0x0
	ds_store_b32 v156, v80
	s_wait_xcnt 0x0
	v_mad_nc_u64_u32 v[80:81], v6, 20, s[4:5]
	s_delay_alu instid0(VALU_DEP_1)
	v_mad_nc_i64_i32 v[82:83], v50, 20, v[80:81]
	global_load_b32 v82, v[82:83], off
	s_wait_loadcnt 0x0
	ds_store_b32 v37, v82
	s_wait_xcnt 0x0
	v_mad_nc_i64_i32 v[82:83], v52, 20, v[80:81]
	global_load_b32 v82, v[82:83], off
	s_wait_loadcnt 0x0
	ds_store_b32 v39, v82
	s_wait_xcnt 0x0
	v_mad_nc_i64_i32 v[82:83], v56, 20, v[80:81]
	v_mad_nc_i64_i32 v[80:81], v66, 20, v[80:81]
	s_clause 0x1
	global_load_b32 v82, v[82:83], off
	global_load_b32 v80, v[80:81], off
	s_wait_loadcnt 0x1
	ds_store_b32 v41, v82
	s_wait_loadcnt 0x0
	ds_store_b32 v43, v80
	s_cbranch_scc0 .LBB140_5
; %bb.7:                                ;   in Loop: Header=BB140_6 Depth=1
	s_wait_xcnt 0x1
	v_dual_add_nc_u32 v187, s10, v33 :: v_dual_add_nc_u32 v82, s10, v11
	v_dual_mov_b32 v190, v182 :: v_dual_mov_b32 v192, v178
	s_mov_b32 s4, -4
	s_wait_xcnt 0x0
	s_delay_alu instid0(VALU_DEP_2) | instskip(SKIP_2) | instid1(VALU_DEP_3)
	v_dual_mov_b32 v188, v175 :: v_dual_add_nc_u32 v80, v82, v158
	v_dual_mov_b32 v189, v185 :: v_dual_mov_b32 v191, v180
	v_dual_mov_b32 v193, v176 :: v_dual_mov_b32 v194, v184
	v_mad_nc_i64_i32 v[80:81], v80, 36, v[0:1]
	global_load_b32 v80, v[80:81], off offset:4
	s_wait_loadcnt 0x0
	ds_store_b32 v174, v80
	s_wait_xcnt 0x0
	v_add_nc_u32_e32 v80, v82, v159
	s_delay_alu instid0(VALU_DEP_1)
	v_mad_nc_i64_i32 v[80:81], v80, 36, v[0:1]
	global_load_b32 v80, v[80:81], off offset:4
	s_wait_loadcnt 0x0
	ds_store_b32 v167, v80
	s_wait_xcnt 0x0
	v_add_nc_u32_e32 v80, v82, v160
	s_delay_alu instid0(VALU_DEP_1)
	;; [unrolled: 7-line block ×7, first 2 shown]
	v_mad_nc_i64_i32 v[80:81], v80, 36, v[0:1]
	global_load_b32 v80, v[80:81], off offset:4
	s_wait_loadcnt 0x0
	ds_store_b32 v173, v80
	s_wait_xcnt 0x0
	v_mad_nc_u64_u32 v[80:81], v187, 36, s[2:3]
	global_load_b32 v80, v[80:81], off
	s_wait_loadcnt 0x0
	ds_store_b32 v157, v80
	s_wait_dscnt 0x0
	s_barrier_signal -1
	s_barrier_wait -1
.LBB140_8:                              ;   Parent Loop BB140_6 Depth=1
                                        ; =>  This Inner Loop Header: Depth=2
	ds_load_2addr_b32 v[82:83], v188 offset1:3
	s_wait_xcnt 0x0
	ds_load_2addr_b32 v[80:81], v188 offset0:4 offset1:7
	ds_load_2addr_b32 v[86:87], v188 offset0:1 offset1:2
	;; [unrolled: 1-line block ×3, first 2 shown]
	ds_load_b32 v207, v190
	ds_load_b32 v208, v191
	;; [unrolled: 1-line block ×3, first 2 shown]
	ds_load_2addr_b32 v[88:89], v194 offset0:2 offset1:3
	ds_load_b32 v210, v193
	ds_load_2addr_b32 v[90:91], v189 offset1:32
	ds_load_2addr_b32 v[92:93], v189 offset0:64 offset1:96
	ds_load_2addr_b32 v[94:95], v189 offset0:128 offset1:160
	;; [unrolled: 1-line block ×3, first 2 shown]
	ds_load_2addr_b32 v[236:237], v194 offset1:1
	v_add_nc_u32_e32 v96, 0x2100, v194
	v_add_nc_u32_e32 v97, 0x2108, v194
	;; [unrolled: 1-line block ×27, first 2 shown]
	ds_load_2addr_b32 v[238:239], v96 offset1:1
	ds_load_2addr_b32 v[152:153], v97 offset1:1
	ds_load_2addr_b32 v[150:151], v98 offset0:4 offset1:7
	ds_load_2addr_b32 v[240:241], v99 offset1:1
	ds_load_2addr_b32 v[242:243], v100 offset1:1
	;; [unrolled: 1-line block ×7, first 2 shown]
	ds_load_2addr_b32 v[106:107], v105 offset0:4 offset1:7
	ds_load_2addr_b32 v[116:117], v195 offset0:4 offset1:7
	;; [unrolled: 1-line block ×4, first 2 shown]
	ds_load_2addr_b32 v[248:249], v114 offset1:1
	ds_load_2addr_b32 v[144:145], v120 offset1:1
	ds_load_2addr_b32 v[132:133], v121 offset1:1
	ds_load_2addr_b32 v[122:123], v122 offset1:1
	ds_load_2addr_b32 v[250:251], v115 offset0:4 offset1:7
	ds_load_2addr_b32 v[252:253], v115 offset1:3
	ds_load_2addr_b32 v[114:115], v198 offset0:4 offset1:7
	ds_load_2addr_b32 v[134:135], v124 offset1:1
	ds_load_2addr_b32 v[124:125], v125 offset1:1
	;; [unrolled: 1-line block ×13, first 2 shown]
	s_wait_dscnt 0x2f
	v_bfe_i32 v245, v82, 0, 8
	s_wait_dscnt 0x1b
	s_set_vgpr_msb 64                       ;  msbs: dst=1 src0=0 src1=0 src2=0
	v_dual_ashrrev_i32 v62 /*v318*/, 24, v241 :: v_dual_bitop2_b32 v73 /*v329*/, 15, v146 bitop3:0x40
	s_set_vgpr_msb 0                        ;  msbs: dst=0 src0=0 src1=0 src2=0
	v_bfe_i32 v247, v82, 8, 8
	v_bfe_i32 v254, v82, 16, 8
	v_ashrrev_i32_e32 v82, 24, v82
	s_set_vgpr_msb 64                       ;  msbs: dst=1 src0=0 src1=0 src2=0
	v_dual_lshrrev_b32 v13 /*v269*/, 28, v89 :: v_dual_bitop2_b32 v94 /*v350*/, 15, v236 bitop3:0x40
	v_bfe_u32 v29 /*v285*/, v238, 12, 4
	v_bfe_i32 v47 /*v303*/, v150, 8, 8
	v_bfe_u32 v74 /*v330*/, v146, 8, 4
	v_bfe_u32 v105 /*v361*/, v146, 16, 4
	;; [unrolled: 1-line block ×3, first 2 shown]
	s_wait_dscnt 0x19
	v_bfe_u32 v65 /*v321*/, v142, 12, 4
	s_wait_dscnt 0x17
	v_bfe_i32 v72 /*v328*/, v106, 8, 8
	s_set_vgpr_msb 0x41                     ;  msbs: dst=1 src0=1 src1=0 src2=0
	v_mul_i32_i24_e32 v124 /*v380*/, v73 /*v329*/, v245
	s_set_vgpr_msb 0                        ;  msbs: dst=0 src0=0 src1=0 src2=0
	v_bfe_i32 v255, v80, 0, 8
	s_set_vgpr_msb 64                       ;  msbs: dst=1 src0=0 src1=0 src2=0
	v_bfe_i32 v0 /*v256*/, v80, 8, 8
	v_bfe_i32 v1 /*v257*/, v80, 16, 8
	s_set_vgpr_msb 0                        ;  msbs: dst=0 src0=0 src1=0 src2=0
	v_ashrrev_i32_e32 v80, 24, v80
	s_set_vgpr_msb 64                       ;  msbs: dst=1 src0=0 src1=0 src2=0
	v_bfe_i32 v2 /*v258*/, v86, 0, 8
	v_bfe_i32 v3 /*v259*/, v86, 8, 8
	;; [unrolled: 1-line block ×3, first 2 shown]
	v_dual_ashrrev_i32 v6 /*v262*/, 24, v86 :: v_dual_ashrrev_i32 v32 /*v288*/, 24, v81
	v_bfe_i32 v7 /*v263*/, v84, 0, 8
	v_bfe_i32 v8 /*v264*/, v84, 8, 8
	s_set_vgpr_msb 0                        ;  msbs: dst=0 src0=0 src1=0 src2=0
	v_bfe_i32 v246, v84, 16, 8
	v_dual_ashrrev_i32 v244, 24, v84 :: v_dual_ashrrev_i32 v226, 24, v87
	v_bfe_i32 v235, v87, 0, 8
	v_bfe_i32 v234, v87, 8, 8
	;; [unrolled: 1-line block ×5, first 2 shown]
	v_dual_ashrrev_i32 v216, 24, v85 :: v_dual_ashrrev_i32 v211, 24, v83
	v_bfe_i32 v215, v85, 16, 8
	v_bfe_i32 v214, v83, 0, 8
	;; [unrolled: 1-line block ×4, first 2 shown]
	v_pk_mul_f16 v83, v209, v91
	s_set_vgpr_msb 64                       ;  msbs: dst=1 src0=0 src1=0 src2=0
	v_pk_mul_f16 v10 /*v266*/, v90, v209
	v_pk_mul_f16 v11 /*v267*/, v210, v91
	;; [unrolled: 1-line block ×3, first 2 shown]
	s_set_vgpr_msb 0                        ;  msbs: dst=0 src0=0 src1=0 src2=0
	v_pk_mul_f16 v233, v90, v207
	v_pk_mul_f16 v86, v90, v208
	;; [unrolled: 1-line block ×22, first 2 shown]
	s_set_vgpr_msb 64                       ;  msbs: dst=1 src0=0 src1=0 src2=0
	v_pk_mul_f16 v149 /*v405*/, v208, v118
	v_pk_mul_f16 v152 /*v408*/, v208, v119
	v_pk_mul_f16 v150 /*v406*/, v209, v118
	v_pk_mul_f16 v151 /*v407*/, v209, v119
	s_set_vgpr_msb 0                        ;  msbs: dst=0 src0=0 src1=0 src2=0
	v_pk_mul_f16 v118, v210, v118
	v_pk_mul_f16 v119, v210, v119
	s_set_vgpr_msb 64                       ;  msbs: dst=1 src0=0 src1=0 src2=0
	v_bfe_u32 v92 /*v348*/, v236, 8, 4
	v_bfe_u32 v48 /*v304*/, v236, 24, 4
	;; [unrolled: 1-line block ×4, first 2 shown]
	v_dual_lshrrev_b32 v17 /*v273*/, 4, v236 :: v_dual_bitop2_b32 v20 /*v276*/, 15, v237 bitop3:0x40
	s_set_vgpr_msb 0                        ;  msbs: dst=0 src0=0 src1=0 src2=0
	v_dual_lshrrev_b32 v224, 28, v88 :: v_dual_bitop2_b32 v94, 15, v88 bitop3:0x40
	v_bfe_u32 v85, v88, 8, 4
	s_set_vgpr_msb 64                       ;  msbs: dst=1 src0=0 src1=0 src2=0
	v_bfe_u32 v22 /*v278*/, v237, 20, 4
	s_set_vgpr_msb 0                        ;  msbs: dst=0 src0=0 src1=0 src2=0
	v_bfe_u32 v93, v88, 24, 4
	v_and_b32_e32 v207, 15, v89
	v_bfe_u32 v210, v89, 8, 4
	v_bfe_u32 v217, v88, 20, 4
	;; [unrolled: 1-line block ×3, first 2 shown]
	s_set_vgpr_msb 64                       ;  msbs: dst=1 src0=0 src1=0 src2=0
	v_bfe_u32 v9 /*v265*/, v89, 4, 4
	v_bfe_u32 v34 /*v290*/, v89, 12, 4
	s_set_vgpr_msb 0                        ;  msbs: dst=0 src0=0 src1=0 src2=0
	v_bfe_u32 v208, v89, 16, 4
	s_set_vgpr_msb 64                       ;  msbs: dst=1 src0=0 src1=0 src2=0
	v_bfe_u32 v36 /*v292*/, v89, 20, 4
	v_dual_lshrrev_b32 v19 /*v275*/, 28, v236 :: v_dual_lshrrev_b32 v25 /*v281*/, 28, v237
	v_bfe_u32 v23 /*v279*/, v237, 24, 4
	v_and_b32_e32 v24 /*v280*/, 0xf0f0f0f, v237
	s_set_vgpr_msb 0                        ;  msbs: dst=0 src0=0 src1=0 src2=0
	v_bfe_u32 v95, v88, 16, 4
	v_bfe_u32 v223, v88, 4, 4
	;; [unrolled: 1-line block ×3, first 2 shown]
	s_set_vgpr_msb 64                       ;  msbs: dst=1 src0=0 src1=0 src2=0
	v_bfe_u32 v26 /*v282*/, v237, 4, 4
	v_bfe_u32 v27 /*v283*/, v237, 12, 4
	s_set_vgpr_msb 0                        ;  msbs: dst=0 src0=0 src1=0 src2=0
	v_bfe_u32 v237, v238, 20, 4
	s_set_vgpr_msb 64                       ;  msbs: dst=1 src0=0 src1=0 src2=0
	v_dual_lshrrev_b32 v31 /*v287*/, 28, v238 :: v_dual_bitop2_b32 v70 /*v326*/, 15, v238 bitop3:0x40
	v_bfe_u32 v71 /*v327*/, v238, 8, 4
	v_bfe_u32 v99 /*v355*/, v238, 16, 4
	;; [unrolled: 1-line block ×3, first 2 shown]
	v_dual_ashrrev_i32 v50 /*v306*/, 24, v150 :: v_dual_bitop2_b32 v44 /*v300*/, 15, v152 bitop3:0x40
	v_bfe_i32 v46 /*v302*/, v150, 0, 8
	v_bfe_i32 v49 /*v305*/, v150, 16, 8
	s_set_vgpr_msb 0                        ;  msbs: dst=0 src0=0 src1=0 src2=0
	v_bfe_i32 v88, v241, 0, 8
	s_set_vgpr_msb 64                       ;  msbs: dst=1 src0=0 src1=0 src2=0
	v_bfe_i32 v59 /*v315*/, v241, 8, 8
	s_set_vgpr_msb 0                        ;  msbs: dst=0 src0=0 src1=0 src2=0
	v_bfe_i32 v89, v241, 16, 8
	s_set_vgpr_msb 64                       ;  msbs: dst=1 src0=0 src1=0 src2=0
	v_bfe_u32 v42 /*v298*/, v238, 24, 4
	s_set_vgpr_msb 0                        ;  msbs: dst=0 src0=0 src1=0 src2=0
	v_bfe_u32 v238, v146, 12, 4
	s_set_vgpr_msb 1                        ;  msbs: dst=0 src0=1 src1=0 src2=0
	v_mul_i32_i24_e32 v241, v94 /*v350*/, v245
	s_set_vgpr_msb 64                       ;  msbs: dst=1 src0=0 src1=0 src2=0
	v_bfe_u32 v66 /*v322*/, v142, 4, 4
	v_bfe_u32 v67 /*v323*/, v142, 20, 4
	s_wait_dscnt 0x16
	v_dual_lshrrev_b32 v68 /*v324*/, 28, v142 :: v_dual_ashrrev_i32 v83 /*v339*/, 24, v116
	v_bfe_i32 v75 /*v331*/, v106, 0, 8
	v_bfe_i32 v78 /*v334*/, v106, 16, 8
	s_wait_dscnt 0x15
	v_dual_ashrrev_i32 v79 /*v335*/, 24, v106 :: v_dual_ashrrev_i32 v87 /*v343*/, 24, v112
	v_bfe_i32 v80 /*v336*/, v116, 8, 8
	s_set_vgpr_msb 0x45                     ;  msbs: dst=1 src0=1 src1=1 src2=0
	v_mul_i32_i24_e32 v115 /*v371*/, v47 /*v303*/, v29 /*v285*/
	s_set_vgpr_msb 0x41                     ;  msbs: dst=1 src0=1 src1=0 src2=0
	v_mul_i32_i24_e32 v125 /*v381*/, v105 /*v361*/, v254
	v_mul_i32_i24_e32 v126 /*v382*/, v107 /*v363*/, v82
	s_set_vgpr_msb 0x45                     ;  msbs: dst=1 src0=1 src1=1 src2=0
	v_mul_i32_i24_e32 v127 /*v383*/, v47 /*v303*/, v65 /*v321*/
	v_mul_i32_i24_e32 v133 /*v389*/, v72 /*v328*/, v29 /*v285*/
	s_set_vgpr_msb 0x51                     ;  msbs: dst=1 src0=1 src1=0 src2=1
	v_mad_i32_i24 v124 /*v380*/, v74 /*v330*/, v247, v124 /*v380*/
	s_set_vgpr_msb 64                       ;  msbs: dst=1 src0=0 src1=0 src2=0
	v_bfe_u32 v33 /*v289*/, v239, 20, 4
	v_dual_lshrrev_b32 v43 /*v299*/, 28, v239 :: v_dual_bitop2_b32 v35 /*v291*/, 15, v239 bitop3:0x40
	v_bfe_u32 v37 /*v293*/, v239, 8, 4
	v_bfe_u32 v38 /*v294*/, v239, 16, 4
	;; [unrolled: 1-line block ×5, first 2 shown]
	v_bfe_i32 v51 /*v307*/, v240, 0, 8
	v_bfe_i32 v52 /*v308*/, v240, 8, 8
	;; [unrolled: 1-line block ×3, first 2 shown]
	v_dual_ashrrev_i32 v54 /*v310*/, 24, v240 :: v_dual_ashrrev_i32 v58 /*v314*/, 24, v242
	v_bfe_i32 v55 /*v311*/, v242, 0, 8
	v_bfe_i32 v56 /*v312*/, v242, 8, 8
	;; [unrolled: 1-line block ×3, first 2 shown]
	s_set_vgpr_msb 0                        ;  msbs: dst=0 src0=0 src1=0 src2=0
	v_bfe_u32 v239, v146, 4, 4
	v_bfe_u32 v240, v146, 20, 4
	v_lshrrev_b32_e32 v242, 28, v146
	s_set_vgpr_msb 0x41                     ;  msbs: dst=1 src0=1 src1=0 src2=0
	v_mul_i32_i24_e32 v61 /*v317*/, v48 /*v304*/, v82
	v_mul_i32_i24_e32 v64 /*v320*/, v90 /*v346*/, v254
	s_set_vgpr_msb 64                       ;  msbs: dst=1 src0=0 src1=0 src2=0
	v_bfe_i32 v81 /*v337*/, v116, 0, 8
	v_bfe_i32 v82 /*v338*/, v116, 16, 8
	;; [unrolled: 1-line block ×3, first 2 shown]
	s_set_vgpr_msb 0x41                     ;  msbs: dst=1 src0=1 src1=0 src2=0
	v_mul_i32_i24_e32 v116 /*v372*/, v70 /*v326*/, v245
	v_mul_i32_i24_e32 v117 /*v373*/, v49 /*v305*/, v237
	s_set_vgpr_msb 0x45                     ;  msbs: dst=1 src0=1 src1=1 src2=0
	v_mul_i32_i24_e32 v118 /*v374*/, v50 /*v306*/, v31 /*v287*/
	s_set_vgpr_msb 1                        ;  msbs: dst=0 src0=1 src1=0 src2=0
	v_mad_i32_i24 v241, v92 /*v348*/, v247, v241
	s_set_vgpr_msb 0x45                     ;  msbs: dst=1 src0=1 src1=1 src2=0
	v_mul_i32_i24_e32 v128 /*v384*/, v49 /*v305*/, v67 /*v323*/
	v_mul_i32_i24_e32 v129 /*v385*/, v50 /*v306*/, v68 /*v324*/
	;; [unrolled: 1-line block ×3, first 2 shown]
	s_set_vgpr_msb 0x41                     ;  msbs: dst=1 src0=1 src1=0 src2=0
	v_mul_i32_i24_e32 v134 /*v390*/, v78 /*v334*/, v237
	s_set_vgpr_msb 0x45                     ;  msbs: dst=1 src0=1 src1=1 src2=0
	v_mul_i32_i24_e32 v135 /*v391*/, v79 /*v335*/, v31 /*v287*/
	s_set_vgpr_msb 0x41                     ;  msbs: dst=1 src0=1 src1=0 src2=0
	v_mul_i32_i24_e32 v136 /*v392*/, v72 /*v328*/, v238
	s_set_vgpr_msb 0x55                     ;  msbs: dst=1 src0=1 src1=1 src2=1
	v_mad_i32_i24 v115 /*v371*/, v46 /*v302*/, v28 /*v284*/, v115 /*v371*/
	v_add3_u32 v124 /*v380*/, v124 /*v380*/, v125 /*v381*/, v126 /*v382*/
	s_set_vgpr_msb 0x41                     ;  msbs: dst=1 src0=1 src1=0 src2=0
	v_mul_i32_i24_e32 v125 /*v381*/, v80 /*v336*/, v238
	s_set_vgpr_msb 0x55                     ;  msbs: dst=1 src0=1 src1=1 src2=1
	v_mad_i32_i24 v127 /*v383*/, v46 /*v302*/, v66 /*v322*/, v127 /*v383*/
	v_mad_i32_i24 v133 /*v389*/, v75 /*v331*/, v28 /*v284*/, v133 /*v389*/
	s_set_vgpr_msb 64                       ;  msbs: dst=1 src0=0 src1=0 src2=0
	v_bfe_i32 v85 /*v341*/, v112, 0, 8
	v_bfe_i32 v86 /*v342*/, v112, 16, 8
	s_wait_dscnt 0x14
	v_bfe_i32 v88 /*v344*/, v110, 8, 8
	s_set_vgpr_msb 0x41                     ;  msbs: dst=1 src0=1 src1=0 src2=0
	v_mul_i32_i24_e32 v119 /*v375*/, v99 /*v355*/, v254
	v_mul_i32_i24_e32 v120 /*v376*/, v42 /*v298*/, v82
	;; [unrolled: 1-line block ×3, first 2 shown]
	s_set_vgpr_msb 0x45                     ;  msbs: dst=1 src0=1 src1=1 src2=0
	v_mul_i32_i24_e32 v131 /*v387*/, v78 /*v334*/, v67 /*v323*/
	v_mul_i32_i24_e32 v132 /*v388*/, v79 /*v335*/, v68 /*v324*/
	s_set_vgpr_msb 0x54                     ;  msbs: dst=1 src0=0 src1=1 src2=1
	v_add3_u32 v61 /*v317*/, v241, v64 /*v320*/, v61 /*v317*/
	s_set_vgpr_msb 1                        ;  msbs: dst=0 src0=1 src1=0 src2=0
	v_mul_i32_i24_e32 v241, v78 /*v334*/, v240
	s_set_vgpr_msb 0x41                     ;  msbs: dst=1 src0=1 src1=0 src2=0
	v_mul_i32_i24_e32 v64 /*v320*/, v79 /*v335*/, v242
	s_set_vgpr_msb 0x55                     ;  msbs: dst=1 src0=1 src1=1 src2=1
	v_add3_u32 v115 /*v371*/, v115 /*v371*/, v117 /*v373*/, v118 /*v374*/
	v_mul_i32_i24_e32 v117 /*v373*/, v80 /*v336*/, v65 /*v321*/
	s_set_vgpr_msb 0x51                     ;  msbs: dst=1 src0=1 src1=0 src2=1
	v_mad_i32_i24 v116 /*v372*/, v71 /*v327*/, v247, v116 /*v372*/
	v_mul_i32_i24_e32 v126 /*v382*/, v82 /*v338*/, v240
	s_set_vgpr_msb 0x55                     ;  msbs: dst=1 src0=1 src1=1 src2=1
	v_add3_u32 v127 /*v383*/, v127 /*v383*/, v128 /*v384*/, v129 /*v385*/
	s_set_vgpr_msb 0x41                     ;  msbs: dst=1 src0=1 src1=0 src2=0
	v_mul_i32_i24_e32 v128 /*v384*/, v83 /*v339*/, v242
	s_set_vgpr_msb 0x55                     ;  msbs: dst=1 src0=1 src1=1 src2=1
	v_mul_i32_i24_e32 v129 /*v385*/, v84 /*v340*/, v65 /*v321*/
	v_mad_i32_i24 v130 /*v386*/, v75 /*v331*/, v66 /*v322*/, v130 /*v386*/
	v_add3_u32 v133 /*v389*/, v133 /*v389*/, v134 /*v390*/, v135 /*v391*/
	v_mul_i32_i24_e32 v134 /*v390*/, v84 /*v340*/, v29 /*v285*/
	s_set_vgpr_msb 0x51                     ;  msbs: dst=1 src0=1 src1=0 src2=1
	v_mad_i32_i24 v136 /*v392*/, v75 /*v331*/, v239, v136 /*v392*/
	v_mad_i32_i24 v125 /*v381*/, v81 /*v337*/, v239, v125 /*v381*/
	s_set_vgpr_msb 64                       ;  msbs: dst=1 src0=0 src1=0 src2=0
	v_bfe_i32 v89 /*v345*/, v110, 0, 8
	v_bfe_i32 v91 /*v347*/, v110, 16, 8
	s_wait_dscnt 0x13
	v_dual_ashrrev_i32 v93 /*v349*/, 24, v110 :: v_dual_ashrrev_i32 v103 /*v359*/, 24, v249
	s_set_vgpr_msb 0x41                     ;  msbs: dst=1 src0=1 src1=0 src2=0
	v_mul_i32_i24_e32 v122 /*v378*/, v49 /*v305*/, v240
	v_mul_i32_i24_e32 v123 /*v379*/, v50 /*v306*/, v242
	s_set_vgpr_msb 0x55                     ;  msbs: dst=1 src0=1 src1=1 src2=1
	v_mul_i32_i24_e32 v118 /*v374*/, v82 /*v338*/, v67 /*v323*/
	v_add3_u32 v116 /*v372*/, v116 /*v372*/, v119 /*v375*/, v120 /*v376*/
	v_mul_i32_i24_e32 v119 /*v375*/, v83 /*v339*/, v68 /*v324*/
	v_mul_i32_i24_e32 v120 /*v376*/, v80 /*v336*/, v29 /*v285*/
	s_set_vgpr_msb 0x51                     ;  msbs: dst=1 src0=1 src1=0 src2=1
	v_mad_i32_i24 v121 /*v377*/, v46 /*v302*/, v239, v121 /*v377*/
	s_set_vgpr_msb 0x55                     ;  msbs: dst=1 src0=1 src1=1 src2=1
	v_add3_u32 v130 /*v386*/, v130 /*v386*/, v131 /*v387*/, v132 /*v388*/
	v_mul_i32_i24_e32 v131 /*v387*/, v86 /*v342*/, v67 /*v323*/
	v_mul_i32_i24_e32 v132 /*v388*/, v87 /*v343*/, v68 /*v324*/
	s_set_vgpr_msb 0x41                     ;  msbs: dst=1 src0=1 src1=0 src2=0
	v_mul_i32_i24_e32 v135 /*v391*/, v86 /*v342*/, v237
	s_set_vgpr_msb 17                       ;  msbs: dst=0 src0=1 src1=0 src2=1
	v_add3_u32 v241, v136 /*v392*/, v241, v64 /*v320*/
	s_set_vgpr_msb 0x45                     ;  msbs: dst=1 src0=1 src1=1 src2=0
	v_mul_i32_i24_e32 v64 /*v320*/, v87 /*v343*/, v31 /*v287*/
	s_set_vgpr_msb 0x41                     ;  msbs: dst=1 src0=1 src1=0 src2=0
	v_mul_i32_i24_e32 v136 /*v392*/, v84 /*v340*/, v238
	s_set_vgpr_msb 0x55                     ;  msbs: dst=1 src0=1 src1=1 src2=1
	v_mad_i32_i24 v117 /*v373*/, v81 /*v337*/, v66 /*v322*/, v117 /*v373*/
	v_add3_u32 v125 /*v381*/, v125 /*v381*/, v126 /*v382*/, v128 /*v384*/
	v_mul_i32_i24_e32 v128 /*v384*/, v88 /*v344*/, v29 /*v285*/
	v_mad_i32_i24 v129 /*v385*/, v85 /*v341*/, v66 /*v322*/, v129 /*v385*/
	v_mad_i32_i24 v134 /*v390*/, v85 /*v341*/, v28 /*v284*/, v134 /*v390*/
	s_wait_dscnt 0xe
	s_set_vgpr_msb 0                        ;  msbs: dst=0 src0=0 src1=0 src2=0
	v_dual_ashrrev_i32 v227, 24, v253 :: v_dual_bitop2_b32 v106, 15, v142 bitop3:0x40
	s_set_vgpr_msb 64                       ;  msbs: dst=1 src0=0 src1=0 src2=0
	v_bfe_i32 v100 /*v356*/, v249, 0, 8
	s_set_vgpr_msb 0x55                     ;  msbs: dst=1 src0=1 src1=1 src2=1
	v_add3_u32 v121 /*v377*/, v121 /*v377*/, v122 /*v378*/, v123 /*v379*/
	s_set_vgpr_msb 0x41                     ;  msbs: dst=1 src0=1 src1=0 src2=0
	v_mul_i32_i24_e32 v122 /*v378*/, v82 /*v338*/, v237
	s_set_vgpr_msb 0x55                     ;  msbs: dst=1 src0=1 src1=1 src2=1
	v_mul_i32_i24_e32 v123 /*v379*/, v83 /*v339*/, v31 /*v287*/
	v_add3_u32 v117 /*v373*/, v117 /*v373*/, v118 /*v374*/, v119 /*v375*/
	s_set_vgpr_msb 0x41                     ;  msbs: dst=1 src0=1 src1=0 src2=0
	v_mul_i32_i24_e32 v118 /*v374*/, v86 /*v342*/, v240
	v_mul_i32_i24_e32 v119 /*v375*/, v87 /*v343*/, v242
	s_set_vgpr_msb 0x55                     ;  msbs: dst=1 src0=1 src1=1 src2=1
	v_mad_i32_i24 v120 /*v376*/, v81 /*v337*/, v28 /*v284*/, v120 /*v376*/
	v_add3_u32 v129 /*v385*/, v129 /*v385*/, v131 /*v387*/, v132 /*v388*/
	s_set_vgpr_msb 0x41                     ;  msbs: dst=1 src0=1 src1=0 src2=0
	v_mul_i32_i24_e32 v131 /*v387*/, v91 /*v347*/, v237
	s_set_vgpr_msb 0x55                     ;  msbs: dst=1 src0=1 src1=1 src2=1
	v_mul_i32_i24_e32 v132 /*v388*/, v93 /*v349*/, v31 /*v287*/
	v_add3_u32 v64 /*v320*/, v134 /*v390*/, v135 /*v391*/, v64 /*v320*/
	s_set_vgpr_msb 0x51                     ;  msbs: dst=1 src0=1 src1=0 src2=1
	v_mul_i32_i24_e32 v134 /*v390*/, v88 /*v344*/, v238
	v_mad_i32_i24 v136 /*v392*/, v85 /*v341*/, v239, v136 /*v392*/
	s_set_vgpr_msb 0x55                     ;  msbs: dst=1 src0=1 src1=1 src2=1
	v_mad_i32_i24 v128 /*v384*/, v89 /*v345*/, v28 /*v284*/, v128 /*v384*/
	s_set_vgpr_msb 64                       ;  msbs: dst=1 src0=0 src1=0 src2=0
	v_bfe_u32 v69 /*v325*/, v142, 8, 4
	s_set_vgpr_msb 0                        ;  msbs: dst=0 src0=0 src1=0 src2=0
	v_bfe_u32 v116, v142, 24, 4
	v_bfe_u32 v110, v142, 16, 4
	s_set_vgpr_msb 64                       ;  msbs: dst=1 src0=0 src1=0 src2=0
	v_bfe_i32 v95 /*v351*/, v248, 16, 8
	v_bfe_i32 v101 /*v357*/, v249, 8, 8
	;; [unrolled: 1-line block ×3, first 2 shown]
	s_set_vgpr_msb 0                        ;  msbs: dst=0 src0=0 src1=0 src2=0
	v_bfe_i32 v146, v253, 0, 8
	s_set_vgpr_msb 0x55                     ;  msbs: dst=1 src0=1 src1=1 src2=1
	v_add3_u32 v120 /*v376*/, v120 /*v376*/, v122 /*v378*/, v123 /*v379*/
	v_mul_i32_i24_e32 v122 /*v378*/, v88 /*v344*/, v65 /*v321*/
	s_set_vgpr_msb 0x41                     ;  msbs: dst=1 src0=1 src1=0 src2=0
	v_mul_i32_i24_e32 v135 /*v391*/, v91 /*v347*/, v240
	s_set_vgpr_msb 0x55                     ;  msbs: dst=1 src0=1 src1=1 src2=1
	v_add3_u32 v118 /*v374*/, v136 /*v392*/, v118 /*v374*/, v119 /*v375*/
	s_set_vgpr_msb 0x41                     ;  msbs: dst=1 src0=1 src1=0 src2=0
	v_mul_i32_i24_e32 v119 /*v375*/, v93 /*v349*/, v242
	s_set_vgpr_msb 0                        ;  msbs: dst=0 src0=0 src1=0 src2=0
	v_mul_i32_i24_e32 v245, v106, v245
	s_set_vgpr_msb 0x55                     ;  msbs: dst=1 src0=1 src1=1 src2=1
	v_add3_u32 v128 /*v384*/, v128 /*v384*/, v131 /*v387*/, v132 /*v388*/
	s_set_vgpr_msb 0x51                     ;  msbs: dst=1 src0=1 src1=0 src2=1
	v_mul_i32_i24_e32 v131 /*v387*/, v100 /*v356*/, v94
	v_mad_i32_i24 v134 /*v390*/, v89 /*v345*/, v239, v134 /*v390*/
	s_set_vgpr_msb 64                       ;  msbs: dst=1 src0=0 src1=0 src2=0
	v_bfe_i32 v5 /*v261*/, v81, 0, 8
	v_bfe_i32 v12 /*v268*/, v81, 8, 8
	;; [unrolled: 1-line block ×3, first 2 shown]
	s_set_vgpr_msb 0                        ;  msbs: dst=0 src0=0 src1=0 src2=0
	v_bfe_u32 v81, v236, 20, 4
	s_set_vgpr_msb 64                       ;  msbs: dst=1 src0=0 src1=0 src2=0
	v_bfe_u32 v16 /*v272*/, v236, 4, 4
	v_bfe_i32 v96 /*v352*/, v250, 16, 8
	v_bfe_i32 v97 /*v353*/, v250, 0, 8
	;; [unrolled: 1-line block ×3, first 2 shown]
	s_set_vgpr_msb 0                        ;  msbs: dst=0 src0=0 src1=0 src2=0
	v_bfe_i32 v228, v253, 8, 8
	v_bfe_i32 v142, v145, 16, 8
	s_set_vgpr_msb 64                       ;  msbs: dst=1 src0=0 src1=0 src2=0
	v_bfe_i32 v18 /*v274*/, v251, 8, 8
	s_set_vgpr_msb 0                        ;  msbs: dst=0 src0=0 src1=0 src2=0
	v_bfe_i32 v112, v252, 16, 8
	s_set_vgpr_msb 0x45                     ;  msbs: dst=1 src0=1 src1=1 src2=0
	v_mul_i32_i24_e32 v123 /*v379*/, v91 /*v347*/, v67 /*v323*/
	v_mul_i32_i24_e32 v126 /*v382*/, v93 /*v349*/, v68 /*v324*/
	s_set_vgpr_msb 0                        ;  msbs: dst=0 src0=0 src1=0 src2=0
	v_mul_i32_i24_e32 v82, v116, v82
	v_mul_i32_i24_e32 v254, v110, v254
	s_set_vgpr_msb 0x55                     ;  msbs: dst=1 src0=1 src1=1 src2=1
	v_mul_i32_i24_e32 v136 /*v392*/, v95 /*v351*/, v15 /*v271*/
	v_mad_i32_i24 v122 /*v378*/, v89 /*v345*/, v66 /*v322*/, v122 /*v378*/
	v_mul_i32_i24_e32 v132 /*v388*/, v102 /*v358*/, v22 /*v278*/
	v_add3_u32 v119 /*v375*/, v134 /*v390*/, v135 /*v391*/, v119 /*v375*/
	s_set_vgpr_msb 0x41                     ;  msbs: dst=1 src0=1 src1=0 src2=0
	v_mul_i32_i24_e32 v134 /*v390*/, v103 /*v359*/, v93
	s_set_vgpr_msb 64                       ;  msbs: dst=1 src0=0 src1=0 src2=0
	v_mul_i32_i24_e32 v135 /*v391*/, v146, v207
	s_set_vgpr_msb 1                        ;  msbs: dst=0 src0=1 src1=0 src2=0
	v_mad_i32_i24 v245, v69 /*v325*/, v247, v245
	s_set_vgpr_msb 0x51                     ;  msbs: dst=1 src0=1 src1=0 src2=1
	v_mad_i32_i24 v131 /*v387*/, v101 /*v357*/, v85, v131 /*v387*/
	s_set_vgpr_msb 0                        ;  msbs: dst=0 src0=0 src1=0 src2=0
	v_bfe_i32 v219, v251, 0, 8
	v_bfe_i32 v150, v253, 16, 8
	v_ashrrev_i32_e32 v221, 24, v251
	s_set_vgpr_msb 64                       ;  msbs: dst=1 src0=0 src1=0 src2=0
	v_bfe_i32 v76 /*v332*/, v252, 8, 8
	v_bfe_i32 v77 /*v333*/, v252, 0, 8
	;; [unrolled: 1-line block ×3, first 2 shown]
	s_wait_dscnt 0xd
	s_set_vgpr_msb 0                        ;  msbs: dst=0 src0=0 src1=0 src2=0
	v_bfe_i32 v251, v114, 8, 8
	s_set_vgpr_msb 0x55                     ;  msbs: dst=1 src0=1 src1=1 src2=1
	v_add3_u32 v122 /*v378*/, v122 /*v378*/, v123 /*v379*/, v126 /*v382*/
	v_mul_i32_i24_e32 v123 /*v379*/, v97 /*v353*/, v16 /*v272*/
	v_mul_i32_i24_e32 v126 /*v382*/, v98 /*v354*/, v20 /*v276*/
	s_set_vgpr_msb 0                        ;  msbs: dst=0 src0=0 src1=0 src2=0
	v_mul_i32_i24_e32 v247, v142, v217
	v_add3_u32 v82, v245, v254, v82
	v_mul_i32_i24_e32 v245, v227, v209
	s_set_vgpr_msb 5                        ;  msbs: dst=0 src0=1 src1=1 src2=0
	v_mul_i32_i24_e32 v254, v18 /*v274*/, v34 /*v290*/
	s_set_vgpr_msb 0x51                     ;  msbs: dst=1 src0=1 src1=0 src2=1
	v_mad_i32_i24 v136 /*v392*/, v96 /*v352*/, v81, v136 /*v392*/
	s_set_vgpr_msb 0x55                     ;  msbs: dst=1 src0=1 src1=1 src2=1
	v_add3_u32 v131 /*v387*/, v132 /*v388*/, v134 /*v390*/, v131 /*v387*/
	s_set_vgpr_msb 0x44                     ;  msbs: dst=1 src0=0 src1=1 src2=0
	v_mul_i32_i24_e32 v132 /*v388*/, v112, v90 /*v346*/
	s_set_vgpr_msb 0x50                     ;  msbs: dst=1 src0=0 src1=0 src2=1
	v_mad_i32_i24 v135 /*v391*/, v228, v210, v135 /*v391*/
	s_set_vgpr_msb 0                        ;  msbs: dst=0 src0=0 src1=0 src2=0
	v_bfe_i32 v253, v114, 0, 8
	s_set_vgpr_msb 64                       ;  msbs: dst=1 src0=0 src1=0 src2=0
	v_bfe_i32 v104 /*v360*/, v114, 16, 8
	v_dual_ashrrev_i32 v106 /*v362*/, 24, v114 :: v_dual_ashrrev_i32 v111 /*v367*/, 24, v132
	s_set_vgpr_msb 0                        ;  msbs: dst=0 src0=0 src1=0 src2=0
	v_lshrrev_b16 v114, 8, v250
	v_ashrrev_i32_e32 v250, 24, v250
	s_set_vgpr_msb 0x55                     ;  msbs: dst=1 src0=1 src1=1 src2=1
	v_add3_u32 v123 /*v379*/, v123 /*v379*/, v126 /*v382*/, v136 /*v392*/
	s_set_vgpr_msb 64                       ;  msbs: dst=1 src0=0 src1=0 src2=0
	v_mul_i32_i24_e32 v126 /*v382*/, v150, v208
	s_set_vgpr_msb 0x44                     ;  msbs: dst=1 src0=0 src1=1 src2=0
	v_mul_i32_i24_e32 v136 /*v392*/, v221, v13 /*v269*/
	s_set_vgpr_msb 0x45                     ;  msbs: dst=1 src0=1 src1=1 src2=0
	v_mul_i32_i24_e32 v134 /*v390*/, v77 /*v333*/, v94 /*v350*/
	s_set_vgpr_msb 16                       ;  msbs: dst=0 src0=0 src1=0 src2=1
	v_add3_u32 v247, v247, v245, v135 /*v391*/
	s_set_vgpr_msb 5                        ;  msbs: dst=0 src0=1 src1=1 src2=0
	v_mul_i32_i24_e32 v245, v21 /*v277*/, v36 /*v292*/
	s_set_vgpr_msb 0x44                     ;  msbs: dst=1 src0=0 src1=1 src2=0
	v_mul_i32_i24_e32 v135 /*v391*/, v251, v65 /*v321*/
	s_set_vgpr_msb 4                        ;  msbs: dst=0 src0=0 src1=1 src2=0
	v_mad_i32_i24 v254, v219, v9 /*v265*/, v254
	s_set_vgpr_msb 0x55                     ;  msbs: dst=1 src0=1 src1=1 src2=1
	v_mad_i32_i24 v132 /*v388*/, v76 /*v332*/, v92 /*v348*/, v132 /*v388*/
	s_set_vgpr_msb 0x54                     ;  msbs: dst=1 src0=0 src1=1 src2=1
	v_bfe_u32 v60 /*v316*/, v147, 8, 4
	v_bfe_u32 v63 /*v319*/, v147, 24, 4
	v_mad_i32_i24 v135 /*v391*/, v253, v66 /*v322*/, v135 /*v391*/
	s_set_vgpr_msb 5                        ;  msbs: dst=0 src0=1 src1=1 src2=0
	v_add3_u32 v254, v126 /*v382*/, v136 /*v392*/, v254
	s_set_vgpr_msb 0x45                     ;  msbs: dst=1 src0=1 src1=1 src2=0
	v_mul_i32_i24_e32 v126 /*v382*/, v104 /*v360*/, v67 /*v323*/
	v_mul_i32_i24_e32 v136 /*v392*/, v106 /*v362*/, v68 /*v324*/
	s_set_vgpr_msb 0x54                     ;  msbs: dst=1 src0=0 src1=1 src2=1
	v_add3_u32 v132 /*v388*/, v245, v134 /*v390*/, v132 /*v388*/
	s_set_vgpr_msb 4                        ;  msbs: dst=0 src0=0 src1=1 src2=0
	v_mul_i32_i24_e32 v245, v251, v29 /*v285*/
	s_set_vgpr_msb 0x41                     ;  msbs: dst=1 src0=1 src1=0 src2=0
	v_mul_i32_i24_e32 v134 /*v390*/, v104 /*v360*/, v237
	s_set_vgpr_msb 64                       ;  msbs: dst=1 src0=0 src1=0 src2=0
	v_bfe_i32 v138 /*v394*/, v114, 0, 8
	s_set_vgpr_msb 0x55                     ;  msbs: dst=1 src0=1 src1=1 src2=1
	v_add3_u32 v126 /*v382*/, v135 /*v391*/, v126 /*v382*/, v136 /*v392*/
	v_mul_i32_i24_e32 v135 /*v391*/, v106 /*v362*/, v31 /*v287*/
	s_set_vgpr_msb 64                       ;  msbs: dst=1 src0=0 src1=0 src2=0
	v_mul_i32_i24_e32 v136 /*v392*/, v251, v238
	s_set_vgpr_msb 4                        ;  msbs: dst=0 src0=0 src1=1 src2=0
	v_mad_i32_i24 v245, v253, v28 /*v284*/, v245
	s_set_vgpr_msb 64                       ;  msbs: dst=1 src0=0 src1=0 src2=0
	v_bfe_u32 v108 /*v364*/, v143, 8, 4
	v_bfe_u32 v109 /*v365*/, v143, 24, 4
	s_set_vgpr_msb 5                        ;  msbs: dst=0 src0=1 src1=1 src2=0
	v_mul_i32_i24_e32 v114, v138 /*v394*/, v29 /*v285*/
	s_set_vgpr_msb 0x50                     ;  msbs: dst=1 src0=0 src1=0 src2=1
	v_mad_i32_i24 v136 /*v392*/, v253, v239, v136 /*v392*/
	s_set_vgpr_msb 0x54                     ;  msbs: dst=1 src0=0 src1=1 src2=1
	v_add3_u32 v134 /*v390*/, v245, v134 /*v390*/, v135 /*v391*/
	s_set_vgpr_msb 1                        ;  msbs: dst=0 src0=1 src1=0 src2=0
	v_mul_i32_i24_e32 v245, v104 /*v360*/, v240
	s_set_vgpr_msb 0x41                     ;  msbs: dst=1 src0=1 src1=0 src2=0
	v_mul_i32_i24_e32 v135 /*v391*/, v106 /*v362*/, v242
	s_set_vgpr_msb 5                        ;  msbs: dst=0 src0=1 src1=1 src2=0
	v_mad_i32_i24 v114, v97 /*v353*/, v28 /*v284*/, v114
	s_set_vgpr_msb 64                       ;  msbs: dst=1 src0=0 src1=0 src2=0
	v_bfe_i32 v110 /*v366*/, v132, 8, 8
	s_wait_dscnt 0xc
	v_bfe_i32 v112 /*v368*/, v134, 8, 8
	v_ashrrev_i32_e32 v113 /*v369*/, 24, v134
	s_set_vgpr_msb 0x51                     ;  msbs: dst=1 src0=1 src1=0 src2=1
	v_add3_u32 v135 /*v391*/, v136 /*v392*/, v245, v135 /*v391*/
	s_set_vgpr_msb 5                        ;  msbs: dst=0 src0=1 src1=1 src2=0
	v_mul_i32_i24_e32 v245, v52 /*v308*/, v37 /*v293*/
	s_set_vgpr_msb 0x45                     ;  msbs: dst=1 src0=1 src1=1 src2=0
	v_mul_i32_i24_e32 v136 /*v392*/, v54 /*v310*/, v39 /*v295*/
	s_wait_dscnt 0xa
	s_set_vgpr_msb 64                       ;  msbs: dst=1 src0=0 src1=0 src2=0
	v_bfe_i32 v114 /*v370*/, v136, 8, 8
	s_wait_dscnt 0x8
	v_bfe_i32 v137 /*v393*/, v138, 8, 8
	s_set_vgpr_msb 0                        ;  msbs: dst=0 src0=0 src1=0 src2=0
	v_bfe_i32 v232, v243, 0, 8
	s_set_vgpr_msb 64                       ;  msbs: dst=1 src0=0 src1=0 src2=0
	v_bfe_u32 v45 /*v301*/, v152, 8, 4
	s_set_vgpr_msb 0x45                     ;  msbs: dst=1 src0=1 src1=1 src2=0
	v_add3_u32 v115 /*v371*/, v115 /*v371*/, v136 /*v392*/, v245
	s_set_vgpr_msb 1                        ;  msbs: dst=0 src0=1 src1=0 src2=0
	v_mul_i32_i24_e32 v245, v28 /*v284*/, v255
	s_set_vgpr_msb 0x45                     ;  msbs: dst=1 src0=1 src1=1 src2=0
	v_mul_i32_i24_e32 v136 /*v392*/, v29 /*v285*/, v0 /*v256*/
	s_set_vgpr_msb 0x44                     ;  msbs: dst=1 src0=0 src1=1 src2=0
	v_mul_i32_i24_e32 v28 /*v284*/, v250, v68 /*v324*/
	s_set_vgpr_msb 0                        ;  msbs: dst=0 src0=0 src1=0 src2=0
	v_bfe_u32 v236, v152, 24, 4
	s_set_vgpr_msb 64                       ;  msbs: dst=1 src0=0 src1=0 src2=0
	v_bfe_u32 v139 /*v395*/, v152, 16, 4
	v_bfe_u32 v140 /*v396*/, v143, 16, 4
	s_set_vgpr_msb 0x45                     ;  msbs: dst=1 src0=1 src1=1 src2=0
	v_add3_u32 v116 /*v372*/, v116 /*v372*/, v136 /*v392*/, v245
	s_set_vgpr_msb 5                        ;  msbs: dst=0 src0=1 src1=1 src2=0
	v_mul_i32_i24_e32 v245, v52 /*v308*/, v60 /*v316*/
	s_set_vgpr_msb 0x45                     ;  msbs: dst=1 src0=1 src1=1 src2=0
	v_mul_i32_i24_e32 v136 /*v392*/, v54 /*v310*/, v63 /*v319*/
	s_set_vgpr_msb 64                       ;  msbs: dst=1 src0=0 src1=0 src2=0
	v_bfe_i32 v148 /*v404*/, v148, 16, 8
	s_wait_dscnt 0x7
	v_bfe_i32 v141 /*v397*/, v129, 8, 8
	v_bfe_i32 v142 /*v398*/, v129, 16, 8
	s_wait_dscnt 0x5
	v_ashrrev_i32_e32 v143 /*v399*/, 24, v121
	s_set_vgpr_msb 0x45                     ;  msbs: dst=1 src0=1 src1=1 src2=0
	v_add3_u32 v121 /*v377*/, v121 /*v377*/, v136 /*v392*/, v245
	s_set_vgpr_msb 0                        ;  msbs: dst=0 src0=0 src1=0 src2=0
	v_mul_i32_i24_e32 v245, v239, v255
	s_set_vgpr_msb 0x44                     ;  msbs: dst=1 src0=0 src1=1 src2=0
	v_mul_i32_i24_e32 v136 /*v392*/, v238, v0 /*v256*/
	s_set_vgpr_msb 1                        ;  msbs: dst=0 src0=1 src1=0 src2=0
	v_mul_i32_i24_e32 v238, v138 /*v394*/, v238
	s_wait_dscnt 0x4
	s_set_vgpr_msb 64                       ;  msbs: dst=1 src0=0 src1=0 src2=0
	v_bfe_i32 v157 /*v413*/, v96, 0, 8
	v_bfe_i32 v158 /*v414*/, v96, 8, 8
	;; [unrolled: 1-line block ×3, first 2 shown]
	s_set_vgpr_msb 0x45                     ;  msbs: dst=1 src0=1 src1=1 src2=0
	v_add3_u32 v124 /*v380*/, v124 /*v380*/, v136 /*v392*/, v245
	s_set_vgpr_msb 5                        ;  msbs: dst=0 src0=1 src1=1 src2=0
	v_mul_i32_i24_e32 v245, v52 /*v308*/, v108 /*v364*/
	s_set_vgpr_msb 0x45                     ;  msbs: dst=1 src0=1 src1=1 src2=0
	v_mul_i32_i24_e32 v136 /*v392*/, v54 /*v310*/, v109 /*v365*/
	s_set_vgpr_msb 1                        ;  msbs: dst=0 src0=1 src1=0 src2=0
	v_mad_i32_i24 v238, v97 /*v353*/, v239, v238
	s_set_vgpr_msb 5                        ;  msbs: dst=0 src0=1 src1=1 src2=0
	v_mul_i32_i24_e32 v239, v138 /*v394*/, v65 /*v321*/
	s_wait_dscnt 0x0
	s_set_vgpr_msb 64                       ;  msbs: dst=1 src0=0 src1=0 src2=0
	v_bfe_i32 v159 /*v415*/, v98, 0, 8
	v_bfe_i32 v160 /*v416*/, v98, 8, 8
	s_set_vgpr_msb 0x45                     ;  msbs: dst=1 src0=1 src1=1 src2=0
	v_add3_u32 v127 /*v383*/, v127 /*v383*/, v136 /*v392*/, v245
	s_set_vgpr_msb 5                        ;  msbs: dst=0 src0=1 src1=1 src2=0
	v_mul_i32_i24_e32 v245, v96 /*v352*/, v67 /*v323*/
	v_mad_i32_i24 v239, v97 /*v353*/, v66 /*v322*/, v239
	s_set_vgpr_msb 0x50                     ;  msbs: dst=1 src0=0 src1=0 src2=1
	v_dual_ashrrev_i32 v136 /*v392*/, 24, v136 :: v_dual_ashrrev_i32 v97 /*v353*/, 24, v138
	v_bfe_i32 v167 /*v423*/, v98, 16, 8
	v_dual_lshrrev_b32 v169 /*v425*/, 16, v233 :: v_dual_lshrrev_b32 v170 /*v426*/, 16, v87
	v_add3_u32 v28 /*v284*/, v239, v245, v28 /*v284*/
	s_set_vgpr_msb 1                        ;  msbs: dst=0 src0=1 src1=0 src2=0
	v_mul_i32_i24_e32 v239, v96 /*v352*/, v237
	s_set_vgpr_msb 4                        ;  msbs: dst=0 src0=0 src1=1 src2=0
	v_mul_i32_i24_e32 v245, v250, v31 /*v287*/
	s_set_vgpr_msb 64                       ;  msbs: dst=1 src0=0 src1=0 src2=0
	v_dual_lshrrev_b32 v171 /*v427*/, 16, v86 :: v_dual_lshrrev_b32 v172 /*v428*/, 16, v91
	v_dual_lshrrev_b32 v174 /*v430*/, 16, v231 :: v_dual_lshrrev_b32 v175 /*v431*/, 16, v230
	s_delay_alu instid0(VALU_DEP_3)
	v_add3_u32 v29 /*v285*/, v114, v239, v245
	s_set_vgpr_msb 1                        ;  msbs: dst=0 src0=1 src1=0 src2=0
	v_mul_i32_i24_e32 v239, v96 /*v352*/, v240
	s_set_vgpr_msb 0                        ;  msbs: dst=0 src0=0 src1=0 src2=0
	v_mul_i32_i24_e32 v245, v250, v242
	s_set_vgpr_msb 4                        ;  msbs: dst=0 src0=0 src1=1 src2=0
	v_lshrrev_b16 v114, 8, v17 /*v273*/
	s_set_vgpr_msb 64                       ;  msbs: dst=1 src0=0 src1=0 src2=0
	v_lshrrev_b32_e32 v176 /*v432*/, 16, v229
	v_bfe_i32 v144 /*v400*/, v107, 8, 8
	v_bfe_i32 v145 /*v401*/, v111, 8, 8
	s_set_vgpr_msb 0                        ;  msbs: dst=0 src0=0 src1=0 src2=0
	v_add3_u32 v238, v238, v239, v245
	s_set_vgpr_msb 5                        ;  msbs: dst=0 src0=1 src1=1 src2=0
	v_mul_i32_i24_e32 v239, v110 /*v366*/, v108 /*v364*/
	v_mul_i32_i24_e32 v245, v111 /*v367*/, v109 /*v365*/
	s_set_vgpr_msb 0                        ;  msbs: dst=0 src0=0 src1=0 src2=0
	v_and_b32_e32 v114, 15, v114
	s_set_vgpr_msb 64                       ;  msbs: dst=1 src0=0 src1=0 src2=0
	v_bfe_i32 v146 /*v402*/, v115, 8, 8
	v_bfe_i32 v162 /*v418*/, v104, 16, 8
	;; [unrolled: 1-line block ×3, first 2 shown]
	s_set_vgpr_msb 0x41                     ;  msbs: dst=1 src0=1 src1=0 src2=0
	v_add3_u32 v17 /*v273*/, v130 /*v386*/, v245, v239
	s_set_vgpr_msb 5                        ;  msbs: dst=0 src0=1 src1=1 src2=0
	v_mul_i32_i24_e32 v239, v110 /*v366*/, v37 /*v293*/
	v_mul_i32_i24_e32 v245, v111 /*v367*/, v39 /*v295*/
	s_set_vgpr_msb 64                       ;  msbs: dst=1 src0=0 src1=0 src2=0
	v_bfe_i32 v166 /*v422*/, v100, 16, 8
	v_bfe_i32 v153 /*v409*/, v104, 0, 8
	;; [unrolled: 1-line block ×4, first 2 shown]
	s_set_vgpr_msb 0x41                     ;  msbs: dst=1 src0=1 src1=0 src2=0
	v_add3_u32 v96 /*v352*/, v133 /*v389*/, v245, v239
	s_set_vgpr_msb 5                        ;  msbs: dst=0 src0=1 src1=1 src2=0
	v_mul_i32_i24_e32 v239, v110 /*v366*/, v60 /*v316*/
	v_mul_i32_i24_e32 v245, v111 /*v367*/, v63 /*v319*/
	s_set_vgpr_msb 64                       ;  msbs: dst=1 src0=0 src1=0 src2=0
	v_ashrrev_i32_e32 v133 /*v389*/, 24, v243
	v_bfe_i32 v156 /*v412*/, v102, 8, 8
	v_bfe_i32 v161 /*v417*/, v100, 0, 8
	s_set_vgpr_msb 0                        ;  msbs: dst=0 src0=0 src1=0 src2=0
	v_dual_ashrrev_i32 v104, 24, v104 :: v_dual_ashrrev_i32 v102, 24, v102
	s_set_vgpr_msb 64                       ;  msbs: dst=1 src0=0 src1=0 src2=0
	v_add3_u32 v130 /*v386*/, v241, v245, v239
	s_set_vgpr_msb 5                        ;  msbs: dst=0 src0=1 src1=1 src2=0
	v_mul_i32_i24_e32 v239, v112 /*v368*/, v108 /*v364*/
	v_mul_i32_i24_e32 v241, v113 /*v369*/, v109 /*v365*/
	s_set_vgpr_msb 0                        ;  msbs: dst=0 src0=0 src1=0 src2=0
	v_bfe_u32 v245, v153, 8, 4
	s_set_vgpr_msb 64                       ;  msbs: dst=1 src0=0 src1=0 src2=0
	v_bfe_i32 v164 /*v420*/, v100, 8, 8
	s_set_vgpr_msb 0                        ;  msbs: dst=0 src0=0 src1=0 src2=0
	v_dual_ashrrev_i32 v100, 24, v100 :: v_dual_add_nc_u32 v194, 16, v194
	v_add_nc_u32_e32 v193, 4, v193
	s_set_vgpr_msb 0x41                     ;  msbs: dst=1 src0=1 src1=0 src2=0
	v_add3_u32 v117 /*v373*/, v117 /*v373*/, v241, v239
	s_set_vgpr_msb 5                        ;  msbs: dst=0 src0=1 src1=1 src2=0
	v_mul_i32_i24_e32 v239, v112 /*v368*/, v37 /*v293*/
	v_mul_i32_i24_e32 v241, v113 /*v369*/, v39 /*v295*/
	s_set_vgpr_msb 0                        ;  msbs: dst=0 src0=0 src1=0 src2=0
	v_dual_add_nc_u32 v192, 4, v192 :: v_dual_add_nc_u32 v191, 4, v191
	v_dual_add_nc_u32 v190, 4, v190 :: v_dual_add_nc_u32 v189, 4, v189
	s_set_vgpr_msb 0x41                     ;  msbs: dst=1 src0=1 src1=0 src2=0
	v_add3_u32 v120 /*v376*/, v120 /*v376*/, v241, v239
	s_set_vgpr_msb 5                        ;  msbs: dst=0 src0=1 src1=1 src2=0
	v_mul_i32_i24_e32 v239, v112 /*v368*/, v60 /*v316*/
	v_mul_i32_i24_e32 v241, v113 /*v369*/, v63 /*v319*/
	s_set_vgpr_msb 0                        ;  msbs: dst=0 src0=0 src1=0 src2=0
	v_add_nc_u32_e32 v188, 32, v188
	s_add_co_i32 s4, s4, 4
	s_set_vgpr_msb 64                       ;  msbs: dst=1 src0=0 src1=0 src2=0
	v_ashrrev_i32_e32 v168 /*v424*/, 24, v98
	s_set_vgpr_msb 0                        ;  msbs: dst=0 src0=0 src1=0 src2=0
	v_lshrrev_b32_e32 v98, 16, v84
	s_set_vgpr_msb 0x41                     ;  msbs: dst=1 src0=1 src1=0 src2=0
	v_add3_u32 v125 /*v381*/, v125 /*v381*/, v241, v239
	s_set_vgpr_msb 5                        ;  msbs: dst=0 src0=1 src1=1 src2=0
	v_mul_i32_i24_e32 v239, v114 /*v370*/, v108 /*v364*/
	v_mul_i32_i24_e32 v241, v136 /*v392*/, v109 /*v365*/
	s_cmp_lt_u32 s4, 12
	s_set_vgpr_msb 0x41                     ;  msbs: dst=1 src0=1 src1=0 src2=0
	v_lshrrev_b32_e32 v173 /*v429*/, 16, v92
	s_delay_alu instid0(VALU_DEP_2) | instskip(SKIP_4) | instid1(VALU_DEP_1)
	v_add3_u32 v129 /*v385*/, v129 /*v385*/, v241, v239
	s_set_vgpr_msb 5                        ;  msbs: dst=0 src0=1 src1=1 src2=0
	v_mul_i32_i24_e32 v239, v114 /*v370*/, v37 /*v293*/
	v_mul_i32_i24_e32 v241, v136 /*v392*/, v39 /*v295*/
	s_set_vgpr_msb 0x41                     ;  msbs: dst=1 src0=1 src1=0 src2=0
	v_add3_u32 v64 /*v320*/, v64 /*v320*/, v241, v239
	s_set_vgpr_msb 5                        ;  msbs: dst=0 src0=1 src1=1 src2=0
	v_mul_i32_i24_e32 v239, v114 /*v370*/, v60 /*v316*/
	v_mul_i32_i24_e32 v241, v136 /*v392*/, v63 /*v319*/
	s_set_vgpr_msb 0x41                     ;  msbs: dst=1 src0=1 src1=0 src2=0
	s_delay_alu instid0(VALU_DEP_1) | instskip(SKIP_4) | instid1(VALU_DEP_1)
	v_add3_u32 v118 /*v374*/, v118 /*v374*/, v241, v239
	s_set_vgpr_msb 5                        ;  msbs: dst=0 src0=1 src1=1 src2=0
	v_mul_i32_i24_e32 v239, v137 /*v393*/, v108 /*v364*/
	v_mul_i32_i24_e32 v241, v97 /*v353*/, v109 /*v365*/
	s_set_vgpr_msb 0x41                     ;  msbs: dst=1 src0=1 src1=0 src2=0
	v_add3_u32 v122 /*v378*/, v122 /*v378*/, v241, v239
	s_set_vgpr_msb 5                        ;  msbs: dst=0 src0=1 src1=1 src2=0
	v_mul_i32_i24_e32 v239, v137 /*v393*/, v37 /*v293*/
	v_mul_i32_i24_e32 v241, v97 /*v353*/, v39 /*v295*/
	s_set_vgpr_msb 0x41                     ;  msbs: dst=1 src0=1 src1=0 src2=0
	s_delay_alu instid0(VALU_DEP_1)
	v_add3_u32 v128 /*v384*/, v128 /*v384*/, v241, v239
	s_set_vgpr_msb 5                        ;  msbs: dst=0 src0=1 src1=1 src2=0
	v_mul_i32_i24_e32 v239, v137 /*v393*/, v60 /*v316*/
	v_mul_i32_i24_e32 v241, v97 /*v353*/, v63 /*v319*/
	s_set_vgpr_msb 0x45                     ;  msbs: dst=1 src0=1 src1=1 src2=0
	v_mul_i32_i24_e32 v97 /*v353*/, v97 /*v353*/, v23 /*v279*/
	s_set_vgpr_msb 0x41                     ;  msbs: dst=1 src0=1 src1=0 src2=0
	s_delay_alu instid0(VALU_DEP_2)
	v_add3_u32 v119 /*v375*/, v119 /*v375*/, v241, v239
	s_set_vgpr_msb 0                        ;  msbs: dst=0 src0=0 src1=0 src2=0
	v_bfe_i32 v239, v243, 8, 8
	v_bfe_i32 v241, v243, 16, 8
	v_and_b32_e32 v243, 0xffff, v114
	s_set_vgpr_msb 4                        ;  msbs: dst=0 src0=0 src1=1 src2=0
	s_delay_alu instid0(VALU_DEP_1) | instskip(SKIP_3) | instid1(VALU_DEP_2)
	v_mul_i32_i24_e32 v114, v243, v47 /*v303*/
	s_set_vgpr_msb 64                       ;  msbs: dst=1 src0=0 src1=0 src2=0
	v_bfe_u32 v47 /*v303*/, v152, 4, 4
	s_set_vgpr_msb 0x45                     ;  msbs: dst=1 src0=1 src1=1 src2=0
	v_mad_i32_i24 v46 /*v302*/, v16 /*v272*/, v46 /*v302*/, v114
	s_set_vgpr_msb 4                        ;  msbs: dst=0 src0=0 src1=1 src2=0
	v_mul_i32_i24_e32 v114, v243, v72 /*v328*/
	s_set_vgpr_msb 0x45                     ;  msbs: dst=1 src0=1 src1=1 src2=0
	s_delay_alu instid0(VALU_DEP_1)
	v_mad_i32_i24 v72 /*v328*/, v16 /*v272*/, v75 /*v331*/, v114
	s_set_vgpr_msb 4                        ;  msbs: dst=0 src0=0 src1=1 src2=0
	v_mul_i32_i24_e32 v114, v243, v80 /*v336*/
	s_set_vgpr_msb 64                       ;  msbs: dst=1 src0=0 src1=0 src2=0
	v_bfe_u32 v75 /*v331*/, v152, 12, 4
	s_set_vgpr_msb 0x45                     ;  msbs: dst=1 src0=1 src1=1 src2=0
	s_delay_alu instid0(VALU_DEP_2)
	v_mad_i32_i24 v80 /*v336*/, v16 /*v272*/, v81 /*v337*/, v114
	s_set_vgpr_msb 4                        ;  msbs: dst=0 src0=0 src1=1 src2=0
	v_mul_i32_i24_e32 v114, v243, v84 /*v340*/
	s_set_vgpr_msb 64                       ;  msbs: dst=1 src0=0 src1=0 src2=0
	v_lshrrev_b32_e32 v81 /*v337*/, 28, v152
	s_set_vgpr_msb 0x45                     ;  msbs: dst=1 src0=1 src1=1 src2=0
	s_delay_alu instid0(VALU_DEP_2)
	v_mad_i32_i24 v84 /*v340*/, v16 /*v272*/, v85 /*v341*/, v114
	s_set_vgpr_msb 4                        ;  msbs: dst=0 src0=0 src1=1 src2=0
	v_mul_i32_i24_e32 v114, v243, v88 /*v344*/
	s_set_vgpr_msb 64                       ;  msbs: dst=1 src0=0 src1=0 src2=0
	v_bfe_u32 v85 /*v341*/, v152, 20, 4
	s_set_vgpr_msb 4                        ;  msbs: dst=0 src0=0 src1=1 src2=0
	v_mul_i32_i24_e32 v152, v243, v0 /*v256*/
	s_set_vgpr_msb 0x45                     ;  msbs: dst=1 src0=1 src1=1 src2=0
	v_mad_i32_i24 v88 /*v344*/, v16 /*v272*/, v89 /*v345*/, v114
	s_set_vgpr_msb 0                        ;  msbs: dst=0 src0=0 src1=0 src2=0
	v_mul_i32_i24_e32 v114, v243, v251
	s_set_vgpr_msb 64                       ;  msbs: dst=1 src0=0 src1=0 src2=0
	v_bfe_i32 v89 /*v345*/, v249, 16, 8
	s_set_vgpr_msb 4                        ;  msbs: dst=0 src0=0 src1=1 src2=0
	v_lshrrev_b16 v249, 8, v24 /*v280*/
	s_set_vgpr_msb 64                       ;  msbs: dst=1 src0=0 src1=0 src2=0
	v_bfe_i32 v24 /*v280*/, v145, 0, 8
	s_set_vgpr_msb 1                        ;  msbs: dst=0 src0=1 src1=0 src2=0
	v_mul_i32_i24_e32 v243, v138 /*v394*/, v243
	v_mad_i32_i24 v251, v16 /*v272*/, v253, v114
	v_mul_i32_i24_e32 v114, v16 /*v272*/, v255
	s_set_vgpr_msb 64                       ;  msbs: dst=1 src0=0 src1=0 src2=0
	v_ashrrev_i32_e32 v16 /*v272*/, 24, v248
	v_bfe_u32 v138 /*v394*/, v147, 16, 4
	s_set_vgpr_msb 1                        ;  msbs: dst=0 src0=1 src1=0 src2=0
	v_add3_u32 v253, v61 /*v317*/, v152, v114
	v_mul_i32_i24_e32 v114, v66 /*v322*/, v255
	s_set_vgpr_msb 5                        ;  msbs: dst=0 src0=1 src1=1 src2=0
	v_mul_i32_i24_e32 v255, v65 /*v321*/, v0 /*v256*/
	s_set_vgpr_msb 64                       ;  msbs: dst=1 src0=0 src1=0 src2=0
	v_bfe_i32 v61 /*v317*/, v248, 8, 8
	v_dual_ashrrev_i32 v0 /*v256*/, 24, v145 :: v_dual_ashrrev_i32 v66 /*v322*/, 24, v130
	s_set_vgpr_msb 0                        ;  msbs: dst=0 src0=0 src1=0 src2=0
	v_bfe_u32 v248, v153, 24, 4
	v_add3_u32 v82, v82, v255, v114
	v_bfe_i32 v255, v145, 8, 8
	v_ashrrev_i32_e32 v114, 24, v252
	s_set_vgpr_msb 5                        ;  msbs: dst=0 src0=1 src1=1 src2=0
	v_mul_i32_i24_e32 v145, v16 /*v272*/, v23 /*v279*/
	s_set_vgpr_msb 0                        ;  msbs: dst=0 src0=0 src1=0 src2=0
	v_and_b32_e32 v252, 0xffff, v249
	v_bfe_i32 v152, v149, 8, 8
	s_set_vgpr_msb 4                        ;  msbs: dst=0 src0=0 src1=1 src2=0
	v_mad_i32_i24 v145, v250, v19 /*v275*/, v145
	s_set_vgpr_msb 1                        ;  msbs: dst=0 src0=1 src1=0 src2=0
	v_mul_i32_i24_e32 v249, v61 /*v317*/, v252
	s_set_vgpr_msb 0                        ;  msbs: dst=0 src0=0 src1=0 src2=0
	v_bfe_i32 v250, v130, 8, 8
	s_delay_alu instid0(VALU_DEP_2)
	v_add3_u32 v249, v243, v249, v145
	s_set_vgpr_msb 1                        ;  msbs: dst=0 src0=1 src1=0 src2=0
	v_mul_i32_i24_e32 v145, v0 /*v256*/, v224
	s_set_vgpr_msb 0                        ;  msbs: dst=0 src0=0 src1=0 src2=0
	v_mul_i32_i24_e32 v243, v255, v222
	s_set_vgpr_msb 1                        ;  msbs: dst=0 src0=1 src1=0 src2=0
	s_delay_alu instid0(VALU_DEP_2) | instskip(NEXT) | instid1(VALU_DEP_2)
	v_mad_i32_i24 v145, v89 /*v345*/, v95, v145
	v_mad_i32_i24 v243, v24 /*v280*/, v223, v243
	s_set_vgpr_msb 64                       ;  msbs: dst=1 src0=0 src1=0 src2=0
	s_delay_alu instid0(VALU_DEP_1)
	v_add3_u32 v65 /*v321*/, v145, v243, v247
	s_set_vgpr_msb 4                        ;  msbs: dst=0 src0=0 src1=1 src2=0
	v_mul_i32_i24_e32 v145, v114, v48 /*v304*/
	s_set_vgpr_msb 5                        ;  msbs: dst=0 src0=1 src1=1 src2=0
	v_mul_i32_i24_e32 v243, v66 /*v322*/, v109 /*v365*/
	s_set_vgpr_msb 4                        ;  msbs: dst=0 src0=0 src1=1 src2=0
	v_bfe_u32 v247, v153, 16, 4
	v_add3_u32 v254, v254, v132 /*v388*/, v145
	v_mul_i32_i24_e32 v145, v250, v108 /*v364*/
	s_set_vgpr_msb 64                       ;  msbs: dst=1 src0=0 src1=0 src2=0
	s_delay_alu instid0(VALU_DEP_3) | instskip(SKIP_1) | instid1(VALU_DEP_2)
	v_mul_i32_i24_e32 v147 /*v403*/, v212, v247
	s_set_vgpr_msb 0x41                     ;  msbs: dst=1 src0=1 src1=0 src2=0
	v_add3_u32 v126 /*v382*/, v126 /*v382*/, v243, v145
	s_set_vgpr_msb 4                        ;  msbs: dst=0 src0=0 src1=1 src2=0
	v_mul_i32_i24_e32 v145, v250, v37 /*v293*/
	s_set_vgpr_msb 5                        ;  msbs: dst=0 src0=1 src1=1 src2=0
	v_mul_i32_i24_e32 v243, v66 /*v322*/, v39 /*v295*/
	s_set_vgpr_msb 0x41                     ;  msbs: dst=1 src0=1 src1=0 src2=0
	s_delay_alu instid0(VALU_DEP_1)
	v_add3_u32 v132 /*v388*/, v134 /*v390*/, v243, v145
	s_set_vgpr_msb 4                        ;  msbs: dst=0 src0=0 src1=1 src2=0
	v_mul_i32_i24_e32 v145, v250, v60 /*v316*/
	s_set_vgpr_msb 5                        ;  msbs: dst=0 src0=1 src1=1 src2=0
	v_mul_i32_i24_e32 v243, v66 /*v322*/, v63 /*v319*/
	s_set_vgpr_msb 0x45                     ;  msbs: dst=1 src0=1 src1=1 src2=0
	v_mul_i32_i24_e32 v66 /*v322*/, v66 /*v322*/, v23 /*v279*/
	s_set_vgpr_msb 0                        ;  msbs: dst=0 src0=0 src1=0 src2=0
	v_mul_i32_i24_e32 v250, v250, v252
	s_set_vgpr_msb 0x41                     ;  msbs: dst=1 src0=1 src1=0 src2=0
	v_add3_u32 v134 /*v390*/, v135 /*v391*/, v243, v145
	s_set_vgpr_msb 5                        ;  msbs: dst=0 src0=1 src1=1 src2=0
	v_mul_i32_i24_e32 v145, v51 /*v307*/, v35 /*v291*/
	v_mul_i32_i24_e32 v243, v53 /*v309*/, v38 /*v294*/
	s_set_vgpr_msb 0x41                     ;  msbs: dst=1 src0=1 src1=0 src2=0
	v_and_b32_e32 v135 /*v391*/, 15, v147
	s_delay_alu instid0(VALU_DEP_2)
	v_add3_u32 v115 /*v371*/, v115 /*v371*/, v145, v243
	s_set_vgpr_msb 4                        ;  msbs: dst=0 src0=0 src1=1 src2=0
	v_mul_i32_i24_e32 v145, v237, v1 /*v257*/
	s_set_vgpr_msb 1                        ;  msbs: dst=0 src0=1 src1=0 src2=0
	v_mul_i32_i24_e32 v237, v31 /*v287*/, v80
	v_ashrrev_i32_e32 v243, 24, v149
	s_set_vgpr_msb 0x41                     ;  msbs: dst=1 src0=1 src1=0 src2=0
	s_delay_alu instid0(VALU_DEP_2) | instskip(SKIP_4) | instid1(VALU_DEP_1)
	v_add3_u32 v31 /*v287*/, v116 /*v372*/, v145, v237
	s_set_vgpr_msb 5                        ;  msbs: dst=0 src0=1 src1=1 src2=0
	v_mul_i32_i24_e32 v145, v51 /*v307*/, v135 /*v391*/
	v_mul_i32_i24_e32 v237, v53 /*v309*/, v138 /*v394*/
	s_set_vgpr_msb 0x41                     ;  msbs: dst=1 src0=1 src1=0 src2=0
	v_add3_u32 v116 /*v372*/, v121 /*v377*/, v145, v237
	v_and_b32_e32 v121 /*v377*/, 15, v143
	s_set_vgpr_msb 4                        ;  msbs: dst=0 src0=0 src1=1 src2=0
	v_mul_i32_i24_e32 v145, v240, v1 /*v257*/
	s_set_vgpr_msb 0                        ;  msbs: dst=0 src0=0 src1=0 src2=0
	v_mul_i32_i24_e32 v237, v242, v80
	s_set_vgpr_msb 5                        ;  msbs: dst=0 src0=1 src1=1 src2=0
	v_mul_i32_i24_e32 v240, v16 /*v272*/, v63 /*v319*/
	s_set_vgpr_msb 0                        ;  msbs: dst=0 src0=0 src1=0 src2=0
	v_and_b32_e32 v242, 15, v153
	s_set_vgpr_msb 0x45                     ;  msbs: dst=1 src0=1 src1=1 src2=0
	v_mul_i32_i24_e32 v63 /*v319*/, v6 /*v262*/, v63 /*v319*/
	s_set_vgpr_msb 0x41                     ;  msbs: dst=1 src0=1 src1=0 src2=0
	v_add3_u32 v124 /*v380*/, v124 /*v380*/, v145, v237
	s_set_vgpr_msb 5                        ;  msbs: dst=0 src0=1 src1=1 src2=0
	v_mul_i32_i24_e32 v145, v51 /*v307*/, v121 /*v377*/
	v_mul_i32_i24_e32 v237, v53 /*v309*/, v140 /*v396*/
	s_set_vgpr_msb 0x41                     ;  msbs: dst=1 src0=1 src1=0 src2=0
	s_delay_alu instid0(VALU_DEP_1)
	v_add3_u32 v127 /*v383*/, v127 /*v383*/, v145, v237
	s_set_vgpr_msb 4                        ;  msbs: dst=0 src0=0 src1=1 src2=0
	v_mul_i32_i24_e32 v145, v81, v49 /*v305*/
	s_set_vgpr_msb 5                        ;  msbs: dst=0 src0=1 src1=1 src2=0
	v_mul_i32_i24_e32 v237, v19 /*v275*/, v50 /*v306*/
	s_set_vgpr_msb 64                       ;  msbs: dst=1 src0=0 src1=0 src2=0
	v_bfe_i32 v49 /*v305*/, v132, 0, 8
	s_set_vgpr_msb 0                        ;  msbs: dst=0 src0=0 src1=0 src2=0
	v_bfe_i32 v132, v132, 16, 8
	s_set_vgpr_msb 0x41                     ;  msbs: dst=1 src0=1 src1=0 src2=0
	v_add3_u32 v46 /*v302*/, v46 /*v302*/, v145, v237
	s_set_vgpr_msb 5                        ;  msbs: dst=0 src0=1 src1=1 src2=0
	v_mul_i32_i24_e32 v145, v61 /*v317*/, v108 /*v364*/
	v_mul_i32_i24_e32 v237, v16 /*v272*/, v109 /*v365*/
	s_set_vgpr_msb 0x41                     ;  msbs: dst=1 src0=1 src1=0 src2=0
	s_delay_alu instid0(VALU_DEP_1) | instskip(SKIP_4) | instid1(VALU_DEP_1)
	v_add3_u32 v28 /*v284*/, v28 /*v284*/, v237, v145
	s_set_vgpr_msb 5                        ;  msbs: dst=0 src0=1 src1=1 src2=0
	v_mul_i32_i24_e32 v145, v61 /*v317*/, v37 /*v293*/
	v_mul_i32_i24_e32 v237, v16 /*v272*/, v39 /*v295*/
	s_set_vgpr_msb 0x41                     ;  msbs: dst=1 src0=1 src1=0 src2=0
	v_add3_u32 v29 /*v285*/, v29 /*v285*/, v237, v145
	s_set_vgpr_msb 5                        ;  msbs: dst=0 src0=1 src1=1 src2=0
	v_mul_i32_i24_e32 v237, v61 /*v317*/, v60 /*v316*/
	s_set_vgpr_msb 0x41                     ;  msbs: dst=1 src0=1 src1=0 src2=0
	v_mul_i32_i24_e32 v61 /*v317*/, v19 /*v275*/, v80
	s_set_vgpr_msb 1                        ;  msbs: dst=0 src0=1 src1=0 src2=0
	v_mul_i32_i24_e32 v80, v68 /*v324*/, v80
	s_set_vgpr_msb 0                        ;  msbs: dst=0 src0=0 src1=0 src2=0
	v_bfe_i32 v145, v149, 0, 8
	v_bfe_i32 v149, v149, 16, 8
	s_set_vgpr_msb 64                       ;  msbs: dst=1 src0=0 src1=0 src2=0
	v_add3_u32 v16 /*v272*/, v238, v240, v237
	s_set_vgpr_msb 4                        ;  msbs: dst=0 src0=0 src1=1 src2=0
	v_mul_i32_i24_e32 v237, v81, v78 /*v334*/
	s_set_vgpr_msb 5                        ;  msbs: dst=0 src0=1 src1=1 src2=0
	v_mul_i32_i24_e32 v238, v19 /*v275*/, v79 /*v335*/
	s_set_vgpr_msb 0                        ;  msbs: dst=0 src0=0 src1=0 src2=0
	v_ashrrev_i32_e32 v240, 24, v151
	s_set_vgpr_msb 64                       ;  msbs: dst=1 src0=0 src1=0 src2=0
	v_mul_i32_i24_e32 v185 /*v441*/, v145, v207
	v_mul_i32_i24_e32 v186 /*v442*/, v149, v208
	s_set_vgpr_msb 0x41                     ;  msbs: dst=1 src0=1 src1=0 src2=0
	v_add3_u32 v50 /*v306*/, v72 /*v328*/, v237, v238
	s_set_vgpr_msb 5                        ;  msbs: dst=0 src0=1 src1=1 src2=0
	v_mul_i32_i24_e32 v237, v49 /*v305*/, v121 /*v377*/
	s_set_vgpr_msb 4                        ;  msbs: dst=0 src0=0 src1=1 src2=0
	v_mul_i32_i24_e32 v238, v132, v140 /*v396*/
	s_set_vgpr_msb 0x41                     ;  msbs: dst=1 src0=1 src1=0 src2=0
	s_delay_alu instid0(VALU_DEP_1)
	v_add3_u32 v72 /*v328*/, v17 /*v273*/, v237, v238
	s_set_vgpr_msb 5                        ;  msbs: dst=0 src0=1 src1=1 src2=0
	v_mul_i32_i24_e32 v237, v49 /*v305*/, v35 /*v291*/
	s_set_vgpr_msb 4                        ;  msbs: dst=0 src0=0 src1=1 src2=0
	v_mul_i32_i24_e32 v238, v132, v38 /*v294*/
	s_set_vgpr_msb 0x44                     ;  msbs: dst=1 src0=0 src1=1 src2=0
	v_mul_i32_i24_e32 v17 /*v273*/, v81, v1 /*v257*/
	s_set_vgpr_msb 0x41                     ;  msbs: dst=1 src0=1 src1=0 src2=0
	s_delay_alu instid0(VALU_DEP_2)
	v_add3_u32 v78 /*v334*/, v96 /*v352*/, v237, v238
	s_set_vgpr_msb 5                        ;  msbs: dst=0 src0=1 src1=1 src2=0
	v_mul_i32_i24_e32 v237, v49 /*v305*/, v135 /*v391*/
	s_set_vgpr_msb 4                        ;  msbs: dst=0 src0=0 src1=1 src2=0
	v_mul_i32_i24_e32 v238, v132, v138 /*v394*/
	s_set_vgpr_msb 64                       ;  msbs: dst=1 src0=0 src1=0 src2=0
	v_bfe_i32 v96 /*v352*/, v134, 0, 8
	s_set_vgpr_msb 20                       ;  msbs: dst=0 src0=0 src1=1 src2=1
	v_bfe_i32 v134, v134, 16, 8
	v_add3_u32 v253, v253, v17 /*v273*/, v61 /*v317*/
	s_set_vgpr_msb 64                       ;  msbs: dst=1 src0=0 src1=0 src2=0
	v_bfe_i32 v61 /*v317*/, v151, 16, 8
	s_set_vgpr_msb 0x41                     ;  msbs: dst=1 src0=1 src1=0 src2=0
	v_add3_u32 v79 /*v335*/, v130 /*v386*/, v237, v238
	s_set_vgpr_msb 4                        ;  msbs: dst=0 src0=0 src1=1 src2=0
	v_mul_i32_i24_e32 v237, v81, v82 /*v338*/
	s_set_vgpr_msb 5                        ;  msbs: dst=0 src0=1 src1=1 src2=0
	v_mul_i32_i24_e32 v238, v19 /*v275*/, v83 /*v339*/
	s_set_vgpr_msb 64                       ;  msbs: dst=1 src0=0 src1=0 src2=0
	v_bfe_u32 v17 /*v273*/, v153, 12, 4
	s_set_vgpr_msb 0x41                     ;  msbs: dst=1 src0=1 src1=0 src2=0
	s_delay_alu instid0(VALU_DEP_2)
	v_add3_u32 v80 /*v336*/, v80 /*v336*/, v237, v238
	s_set_vgpr_msb 5                        ;  msbs: dst=0 src0=1 src1=1 src2=0
	v_mul_i32_i24_e32 v237, v96 /*v352*/, v121 /*v377*/
	s_set_vgpr_msb 4                        ;  msbs: dst=0 src0=0 src1=1 src2=0
	v_mul_i32_i24_e32 v238, v134, v140 /*v396*/
	s_set_vgpr_msb 0x41                     ;  msbs: dst=1 src0=1 src1=0 src2=0
	s_delay_alu instid0(VALU_DEP_1)
	v_add3_u32 v82 /*v338*/, v117 /*v373*/, v237, v238
	s_set_vgpr_msb 5                        ;  msbs: dst=0 src0=1 src1=1 src2=0
	v_mul_i32_i24_e32 v237, v96 /*v352*/, v35 /*v291*/
	s_set_vgpr_msb 4                        ;  msbs: dst=0 src0=0 src1=1 src2=0
	v_mul_i32_i24_e32 v238, v134, v38 /*v294*/
	s_set_vgpr_msb 0x41                     ;  msbs: dst=1 src0=1 src1=0 src2=0
	s_delay_alu instid0(VALU_DEP_1)
	v_add3_u32 v83 /*v339*/, v120 /*v376*/, v237, v238
	s_set_vgpr_msb 5                        ;  msbs: dst=0 src0=1 src1=1 src2=0
	v_mul_i32_i24_e32 v237, v96 /*v352*/, v135 /*v391*/
	s_set_vgpr_msb 4                        ;  msbs: dst=0 src0=0 src1=1 src2=0
	v_mul_i32_i24_e32 v238, v134, v138 /*v394*/
	s_set_vgpr_msb 0x41                     ;  msbs: dst=1 src0=1 src1=0 src2=0
	v_ashrrev_i32_e32 v120 /*v376*/, 24, v148
	s_delay_alu instid0(VALU_DEP_2)
	v_add3_u32 v117 /*v373*/, v125 /*v381*/, v237, v238
	s_set_vgpr_msb 64                       ;  msbs: dst=1 src0=0 src1=0 src2=0
	v_bfe_i32 v125 /*v381*/, v136, 0, 8
	s_set_vgpr_msb 4                        ;  msbs: dst=0 src0=0 src1=1 src2=0
	v_bfe_i32 v136, v136, 16, 8
	v_mul_i32_i24_e32 v237, v81, v86 /*v342*/
	s_set_vgpr_msb 5                        ;  msbs: dst=0 src0=1 src1=1 src2=0
	v_mul_i32_i24_e32 v238, v19 /*v275*/, v87 /*v343*/
	s_set_vgpr_msb 0x41                     ;  msbs: dst=1 src0=1 src1=0 src2=0
	s_delay_alu instid0(VALU_DEP_1)
	v_add3_u32 v84 /*v340*/, v84 /*v340*/, v237, v238
	s_set_vgpr_msb 5                        ;  msbs: dst=0 src0=1 src1=1 src2=0
	v_mul_i32_i24_e32 v237, v125 /*v381*/, v121 /*v377*/
	s_set_vgpr_msb 4                        ;  msbs: dst=0 src0=0 src1=1 src2=0
	v_mul_i32_i24_e32 v238, v136, v140 /*v396*/
	s_set_vgpr_msb 0x41                     ;  msbs: dst=1 src0=1 src1=0 src2=0
	s_delay_alu instid0(VALU_DEP_1)
	v_add3_u32 v86 /*v342*/, v129 /*v385*/, v237, v238
	s_set_vgpr_msb 5                        ;  msbs: dst=0 src0=1 src1=1 src2=0
	v_mul_i32_i24_e32 v237, v125 /*v381*/, v35 /*v291*/
	s_set_vgpr_msb 4                        ;  msbs: dst=0 src0=0 src1=1 src2=0
	v_mul_i32_i24_e32 v238, v136, v38 /*v294*/
	s_set_vgpr_msb 64                       ;  msbs: dst=1 src0=0 src1=0 src2=0
	v_bfe_u32 v129 /*v385*/, v143, 4, 4
	s_set_vgpr_msb 0x41                     ;  msbs: dst=1 src0=1 src1=0 src2=0
	s_delay_alu instid0(VALU_DEP_2)
	v_add3_u32 v64 /*v320*/, v64 /*v320*/, v237, v238
	s_set_vgpr_msb 5                        ;  msbs: dst=0 src0=1 src1=1 src2=0
	v_mul_i32_i24_e32 v237, v125 /*v381*/, v135 /*v391*/
	s_set_vgpr_msb 4                        ;  msbs: dst=0 src0=0 src1=1 src2=0
	v_mul_i32_i24_e32 v238, v136, v138 /*v394*/
	s_set_vgpr_msb 0x41                     ;  msbs: dst=1 src0=1 src1=0 src2=0
	s_delay_alu instid0(VALU_DEP_1)
	v_add3_u32 v87 /*v343*/, v118 /*v374*/, v237, v238
	s_set_vgpr_msb 64                       ;  msbs: dst=1 src0=0 src1=0 src2=0
	v_bfe_i32 v118 /*v374*/, v138, 0, 8
	s_set_vgpr_msb 4                        ;  msbs: dst=0 src0=0 src1=1 src2=0
	v_bfe_i32 v138, v138, 16, 8
	v_mul_i32_i24_e32 v237, v81, v91 /*v347*/
	s_set_vgpr_msb 5                        ;  msbs: dst=0 src0=1 src1=1 src2=0
	v_mul_i32_i24_e32 v238, v19 /*v275*/, v93 /*v349*/
	s_set_vgpr_msb 4                        ;  msbs: dst=0 src0=0 src1=1 src2=0
	v_mul_i32_i24_e32 v81, v81, v104 /*v360*/
	s_set_vgpr_msb 64                       ;  msbs: dst=1 src0=0 src1=0 src2=0
	v_bfe_u32 v104 /*v360*/, v147, 4, 4
	s_set_vgpr_msb 0x41                     ;  msbs: dst=1 src0=1 src1=0 src2=0
	v_add3_u32 v88 /*v344*/, v88 /*v344*/, v237, v238
	s_set_vgpr_msb 5                        ;  msbs: dst=0 src0=1 src1=1 src2=0
	v_mul_i32_i24_e32 v237, v118 /*v374*/, v121 /*v377*/
	s_set_vgpr_msb 4                        ;  msbs: dst=0 src0=0 src1=1 src2=0
	v_mul_i32_i24_e32 v238, v138, v140 /*v396*/
	s_set_vgpr_msb 0x41                     ;  msbs: dst=1 src0=1 src1=0 src2=0
	s_delay_alu instid0(VALU_DEP_1)
	v_add3_u32 v91 /*v347*/, v122 /*v378*/, v237, v238
	s_set_vgpr_msb 5                        ;  msbs: dst=0 src0=1 src1=1 src2=0
	v_mul_i32_i24_e32 v237, v118 /*v374*/, v35 /*v291*/
	s_set_vgpr_msb 4                        ;  msbs: dst=0 src0=0 src1=1 src2=0
	v_mul_i32_i24_e32 v238, v138, v38 /*v294*/
	s_set_vgpr_msb 0x41                     ;  msbs: dst=1 src0=1 src1=0 src2=0
	s_delay_alu instid0(VALU_DEP_1)
	;; [unrolled: 7-line block ×3, first 2 shown]
	v_add3_u32 v122 /*v378*/, v119 /*v375*/, v237, v238
	s_set_vgpr_msb 5                        ;  msbs: dst=0 src0=1 src1=1 src2=0
	v_mul_i32_i24_e32 v238, v19 /*v275*/, v106 /*v362*/
	s_set_vgpr_msb 64                       ;  msbs: dst=1 src0=0 src1=0 src2=0
	v_lshrrev_b32_e32 v106 /*v362*/, 28, v147
	s_set_vgpr_msb 0                        ;  msbs: dst=0 src0=0 src1=0 src2=0
	v_bfe_u32 v237, v153, 4, 4
	s_set_vgpr_msb 64                       ;  msbs: dst=1 src0=0 src1=0 src2=0
	v_bfe_u32 v19 /*v275*/, v153, 20, 4
	v_bfe_i32 v119 /*v375*/, v148, 0, 8
	s_set_vgpr_msb 0                        ;  msbs: dst=0 src0=0 src1=0 src2=0
	v_add3_u32 v251, v251, v81, v238
	s_set_vgpr_msb 5                        ;  msbs: dst=0 src0=1 src1=1 src2=0
	v_mul_i32_i24_e32 v81, v67 /*v323*/, v1 /*v257*/
	s_set_vgpr_msb 64                       ;  msbs: dst=1 src0=0 src1=0 src2=0
	v_ashrrev_i32_e32 v1 /*v257*/, 24, v144
	v_bfe_i32 v67 /*v323*/, v130, 0, 8
	s_set_vgpr_msb 0                        ;  msbs: dst=0 src0=0 src1=0 src2=0
	v_bfe_i32 v130, v130, 16, 8
	v_bfe_i32 v238, v151, 0, 8
	v_add3_u32 v82, v82, v81, v80
	s_set_vgpr_msb 5                        ;  msbs: dst=0 src0=1 src1=1 src2=0
	v_mul_i32_i24_e32 v80, v1 /*v257*/, v25 /*v281*/
	s_set_vgpr_msb 4                        ;  msbs: dst=0 src0=0 src1=1 src2=0
	v_add3_u32 v250, v251, v66 /*v322*/, v250
	v_mul_i32_i24_e32 v81, v130, v140 /*v396*/
	s_set_vgpr_msb 0x45                     ;  msbs: dst=1 src0=1 src1=1 src2=0
	v_mul_i32_i24_e32 v66 /*v322*/, v2 /*v258*/, v20 /*v276*/
	s_set_vgpr_msb 0                        ;  msbs: dst=0 src0=0 src1=0 src2=0
	v_bfe_u32 v251, v140, 16, 4
	s_set_vgpr_msb 0x41                     ;  msbs: dst=1 src0=1 src1=0 src2=0
	v_add3_u32 v68 /*v324*/, v123 /*v379*/, v249, v80
	s_set_vgpr_msb 5                        ;  msbs: dst=0 src0=1 src1=1 src2=0
	v_mul_i32_i24_e32 v80, v67 /*v323*/, v121 /*v377*/
	s_set_vgpr_msb 0                        ;  msbs: dst=0 src0=0 src1=0 src2=0
	v_lshrrev_b32_e32 v249, 28, v153
	s_set_vgpr_msb 0x45                     ;  msbs: dst=1 src0=1 src1=1 src2=0
	v_mul_i32_i24_e32 v177 /*v433*/, v61 /*v317*/, v19 /*v275*/
	s_set_vgpr_msb 0x41                     ;  msbs: dst=1 src0=1 src1=0 src2=0
	v_add3_u32 v123 /*v379*/, v126 /*v382*/, v80, v81
	s_set_vgpr_msb 5                        ;  msbs: dst=0 src0=1 src1=1 src2=0
	v_mul_i32_i24_e32 v80, v67 /*v323*/, v35 /*v291*/
	s_set_vgpr_msb 4                        ;  msbs: dst=0 src0=0 src1=1 src2=0
	v_mul_i32_i24_e32 v81, v130, v38 /*v294*/
	s_set_vgpr_msb 0x41                     ;  msbs: dst=1 src0=1 src1=0 src2=0
	s_delay_alu instid0(VALU_DEP_1)
	v_add3_u32 v126 /*v382*/, v132 /*v388*/, v80, v81
	s_set_vgpr_msb 5                        ;  msbs: dst=0 src0=1 src1=1 src2=0
	v_mul_i32_i24_e32 v80, v67 /*v323*/, v135 /*v391*/
	s_set_vgpr_msb 4                        ;  msbs: dst=0 src0=0 src1=1 src2=0
	v_mul_i32_i24_e32 v81, v130, v138 /*v394*/
	s_set_vgpr_msb 64                       ;  msbs: dst=1 src0=0 src1=0 src2=0
	v_bfe_u32 v132 /*v388*/, v141, 4, 4
	s_set_vgpr_msb 4                        ;  msbs: dst=0 src0=0 src1=1 src2=0
	v_mul_i32_i24_e32 v130, v130, v15 /*v271*/
	s_set_vgpr_msb 0x41                     ;  msbs: dst=1 src0=1 src1=0 src2=0
	v_add3_u32 v128 /*v384*/, v134 /*v390*/, v80, v81
	s_set_vgpr_msb 5                        ;  msbs: dst=0 src0=1 src1=1 src2=0
	v_mul_i32_i24_e32 v80, v55 /*v311*/, v40 /*v296*/
	v_mul_i32_i24_e32 v81, v58 /*v314*/, v43 /*v299*/
	s_set_vgpr_msb 64                       ;  msbs: dst=1 src0=0 src1=0 src2=0
	v_bfe_u32 v134 /*v390*/, v141, 20, 4
	s_set_vgpr_msb 0x41                     ;  msbs: dst=1 src0=1 src1=0 src2=0
	s_delay_alu instid0(VALU_DEP_2) | instskip(SKIP_4) | instid1(VALU_DEP_1)
	v_add3_u32 v115 /*v371*/, v115 /*v371*/, v81, v80
	s_set_vgpr_msb 5                        ;  msbs: dst=0 src0=1 src1=1 src2=0
	v_mul_i32_i24_e32 v80, v2 /*v258*/, v35 /*v291*/
	v_mul_i32_i24_e32 v81, v3 /*v259*/, v37 /*v293*/
	s_set_vgpr_msb 0x41                     ;  msbs: dst=1 src0=1 src1=0 src2=0
	v_add3_u32 v31 /*v287*/, v31 /*v287*/, v81, v80
	s_set_vgpr_msb 5                        ;  msbs: dst=0 src0=1 src1=1 src2=0
	v_mul_i32_i24_e32 v80, v55 /*v311*/, v104 /*v360*/
	v_mul_i32_i24_e32 v81, v58 /*v314*/, v106 /*v362*/
	s_set_vgpr_msb 0x41                     ;  msbs: dst=1 src0=1 src1=0 src2=0
	s_delay_alu instid0(VALU_DEP_1)
	v_add3_u32 v37 /*v293*/, v116 /*v372*/, v81, v80
	v_lshrrev_b32_e32 v116 /*v372*/, 28, v143
	s_set_vgpr_msb 5                        ;  msbs: dst=0 src0=1 src1=1 src2=0
	v_mul_i32_i24_e32 v80, v2 /*v258*/, v135 /*v391*/
	v_mul_i32_i24_e32 v81, v3 /*v259*/, v60 /*v316*/
	s_set_vgpr_msb 64                       ;  msbs: dst=1 src0=0 src1=0 src2=0
	v_bfe_i32 v60 /*v316*/, v151, 8, 8
	s_set_vgpr_msb 0x45                     ;  msbs: dst=1 src0=1 src1=1 src2=0
	v_mul_i32_i24_e32 v2 /*v258*/, v2 /*v258*/, v121 /*v377*/
	s_set_vgpr_msb 0x41                     ;  msbs: dst=1 src0=1 src1=0 src2=0
	v_add3_u32 v124 /*v380*/, v124 /*v380*/, v81, v80
	s_set_vgpr_msb 5                        ;  msbs: dst=0 src0=1 src1=1 src2=0
	v_mul_i32_i24_e32 v80, v55 /*v311*/, v129 /*v385*/
	v_mul_i32_i24_e32 v81, v58 /*v314*/, v116 /*v372*/
	s_set_vgpr_msb 0x45                     ;  msbs: dst=1 src0=1 src1=1 src2=0
	v_mul_i32_i24_e32 v55 /*v311*/, v55 /*v311*/, v26 /*v282*/
	v_mul_i32_i24_e32 v58 /*v314*/, v58 /*v314*/, v25 /*v281*/
	s_set_vgpr_msb 0x41                     ;  msbs: dst=1 src0=1 src1=0 src2=0
	v_add3_u32 v130 /*v386*/, v127 /*v383*/, v81, v80
	s_set_vgpr_msb 5                        ;  msbs: dst=0 src0=1 src1=1 src2=0
	v_mul_i32_i24_e32 v80, v54 /*v310*/, v23 /*v279*/
	s_set_vgpr_msb 1                        ;  msbs: dst=0 src0=1 src1=0 src2=0
	v_mul_i32_i24_e32 v81, v52 /*v308*/, v252
	s_set_vgpr_msb 0x45                     ;  msbs: dst=1 src0=1 src1=1 src2=0
	v_mul_i32_i24_e32 v52 /*v308*/, v111 /*v367*/, v23 /*v279*/
	s_set_vgpr_msb 0x41                     ;  msbs: dst=1 src0=1 src1=0 src2=0
	v_mul_i32_i24_e32 v54 /*v310*/, v110 /*v366*/, v252
	v_ashrrev_i32_e32 v110 /*v366*/, 24, v126
	s_set_vgpr_msb 0x45                     ;  msbs: dst=1 src0=1 src1=1 src2=0
	v_mul_i32_i24_e32 v111 /*v367*/, v136 /*v392*/, v23 /*v279*/
	s_set_vgpr_msb 1                        ;  msbs: dst=0 src0=1 src1=0 src2=0
	v_add3_u32 v151, v46 /*v302*/, v80, v81
	s_set_vgpr_msb 5                        ;  msbs: dst=0 src0=1 src1=1 src2=0
	v_mul_i32_i24_e32 v80, v98 /*v354*/, v121 /*v377*/
	v_mul_i32_i24_e32 v81, v95 /*v351*/, v140 /*v396*/
	s_set_vgpr_msb 0x55                     ;  msbs: dst=1 src0=1 src1=1 src2=1
	v_mul_i32_i24_e32 v46 /*v302*/, v95 /*v351*/, v138 /*v394*/
	v_add3_u32 v50 /*v306*/, v50 /*v306*/, v52 /*v308*/, v54 /*v310*/
	s_set_vgpr_msb 64                       ;  msbs: dst=1 src0=0 src1=0 src2=0
	v_bfe_i32 v127 /*v383*/, v148, 8, 8
	s_set_vgpr_msb 0                        ;  msbs: dst=0 src0=0 src1=0 src2=0
	v_bfe_u32 v148, v147, 12, 4
	s_set_vgpr_msb 1                        ;  msbs: dst=0 src0=1 src1=0 src2=0
	v_add3_u32 v153, v28 /*v284*/, v80, v81
	s_set_vgpr_msb 5                        ;  msbs: dst=0 src0=1 src1=1 src2=0
	v_mul_i32_i24_e32 v80, v98 /*v354*/, v35 /*v291*/
	v_mul_i32_i24_e32 v81, v95 /*v351*/, v38 /*v294*/
	s_set_vgpr_msb 0x45                     ;  msbs: dst=1 src0=1 src1=1 src2=0
	v_mul_i32_i24_e32 v95 /*v351*/, v113 /*v369*/, v23 /*v279*/
	s_set_vgpr_msb 0x41                     ;  msbs: dst=1 src0=1 src1=0 src2=0
	v_mul_i32_i24_e32 v113 /*v369*/, v137 /*v393*/, v252
	s_set_vgpr_msb 0                        ;  msbs: dst=0 src0=0 src1=0 src2=0
	v_bfe_u32 v147, v147, 20, 4
	s_set_vgpr_msb 0x45                     ;  msbs: dst=1 src0=1 src1=1 src2=0
	v_mul_i32_i24_e32 v23 /*v279*/, v6 /*v262*/, v23 /*v279*/
	s_set_vgpr_msb 0x41                     ;  msbs: dst=1 src0=1 src1=0 src2=0
	v_add3_u32 v28 /*v284*/, v29 /*v285*/, v80, v81
	s_set_vgpr_msb 0                        ;  msbs: dst=0 src0=0 src1=0 src2=0
	v_cvt_f32_f16_e32 v81, v83
	s_set_vgpr_msb 64                       ;  msbs: dst=1 src0=0 src1=0 src2=0
	v_lshrrev_b32_e32 v29 /*v285*/, 16, v83
	s_set_vgpr_msb 5                        ;  msbs: dst=0 src0=1 src1=1 src2=0
	v_mul_i32_i24_e32 v83, v98 /*v354*/, v135 /*v391*/
	s_set_vgpr_msb 0x41                     ;  msbs: dst=1 src0=1 src1=0 src2=0
	v_mul_i32_i24_e32 v98 /*v354*/, v112 /*v368*/, v252
	v_mul_i32_i24_e32 v112 /*v368*/, v114 /*v370*/, v252
	s_set_vgpr_msb 1                        ;  msbs: dst=0 src0=1 src1=0 src2=0
	v_mul_i32_i24_e32 v252, v3 /*v259*/, v252
	s_set_vgpr_msb 0x45                     ;  msbs: dst=1 src0=1 src1=1 src2=0
	v_mul_i32_i24_e32 v3 /*v259*/, v3 /*v259*/, v108 /*v364*/
	s_set_vgpr_msb 17                       ;  msbs: dst=0 src0=1 src1=0 src2=1
	v_add3_u32 v83, v16 /*v272*/, v83, v46 /*v302*/
	s_set_vgpr_msb 64                       ;  msbs: dst=1 src0=0 src1=0 src2=0
	v_bfe_i32 v16 /*v272*/, v122, 0, 8
	v_ashrrev_i32_e32 v46 /*v302*/, 24, v122
	s_set_vgpr_msb 0x55                     ;  msbs: dst=1 src0=1 src1=1 src2=1
	v_add3_u32 v80 /*v336*/, v80 /*v336*/, v95 /*v351*/, v98 /*v354*/
	v_add3_u32 v84 /*v340*/, v84 /*v340*/, v111 /*v367*/, v112 /*v368*/
	v_mul_i32_i24_e32 v112 /*v368*/, v110 /*v366*/, v116 /*v372*/
	v_mul_i32_i24_e32 v52 /*v308*/, v16 /*v272*/, v129 /*v385*/
	v_mul_i32_i24_e32 v54 /*v310*/, v46 /*v302*/, v116 /*v372*/
	s_set_vgpr_msb 16                       ;  msbs: dst=0 src0=0 src1=0 src2=1
	v_add3_u32 v252, v253, v252, v66 /*v322*/
	s_set_vgpr_msb 64                       ;  msbs: dst=1 src0=0 src1=0 src2=0
	v_bfe_i32 v66 /*v322*/, v144, 8, 8
	s_set_vgpr_msb 0                        ;  msbs: dst=0 src0=0 src1=0 src2=0
	v_bfe_i32 v144, v144, 0, 8
	s_set_vgpr_msb 0x54                     ;  msbs: dst=1 src0=0 src1=1 src2=1
	v_add3_u32 v2 /*v258*/, v82, v3 /*v259*/, v2 /*v258*/
	s_set_vgpr_msb 0x55                     ;  msbs: dst=1 src0=1 src1=1 src2=1
	v_add3_u32 v52 /*v308*/, v72 /*v328*/, v54 /*v310*/, v52 /*v308*/
	v_mul_i32_i24_e32 v54 /*v310*/, v16 /*v272*/, v40 /*v296*/
	v_mul_i32_i24_e32 v72 /*v328*/, v46 /*v302*/, v43 /*v299*/
	s_set_vgpr_msb 5                        ;  msbs: dst=0 src0=1 src1=1 src2=0
	v_mul_i32_i24_e32 v82, v66 /*v322*/, v27 /*v283*/
	s_set_vgpr_msb 0x55                     ;  msbs: dst=1 src0=1 src1=1 src2=1
	v_add3_u32 v88 /*v344*/, v88 /*v344*/, v97 /*v353*/, v113 /*v369*/
	s_set_vgpr_msb 64                       ;  msbs: dst=1 src0=0 src1=0 src2=0
	v_bfe_i32 v108 /*v364*/, v120, 0, 8
	v_ashrrev_i32_e32 v3 /*v259*/, 24, v120
	s_set_vgpr_msb 0x55                     ;  msbs: dst=1 src0=1 src1=1 src2=1
	v_add3_u32 v54 /*v310*/, v78 /*v334*/, v72 /*v328*/, v54 /*v310*/
	v_mul_i32_i24_e32 v72 /*v328*/, v16 /*v272*/, v104 /*v360*/
	v_mul_i32_i24_e32 v78 /*v334*/, v46 /*v302*/, v106 /*v362*/
	s_set_vgpr_msb 4                        ;  msbs: dst=0 src0=0 src1=1 src2=0
	v_mad_i32_i24 v82, v144, v26 /*v282*/, v82
	s_set_vgpr_msb 64                       ;  msbs: dst=1 src0=0 src1=0 src2=0
	v_bfe_u32 v35 /*v291*/, v140, 8, 4
	s_set_vgpr_msb 0x55                     ;  msbs: dst=1 src0=1 src1=1 src2=1
	v_mul_i32_i24_e32 v16 /*v272*/, v16 /*v272*/, v26 /*v282*/
	v_mul_i32_i24_e32 v46 /*v302*/, v46 /*v302*/, v25 /*v281*/
	v_add3_u32 v72 /*v328*/, v79 /*v335*/, v78 /*v334*/, v72 /*v328*/
	s_set_vgpr_msb 64                       ;  msbs: dst=1 src0=0 src1=0 src2=0
	v_bfe_i32 v78 /*v334*/, v124, 0, 8
	v_ashrrev_i32_e32 v79 /*v335*/, 24, v124
	s_set_vgpr_msb 0x51                     ;  msbs: dst=1 src0=1 src1=0 src2=1
	v_add3_u32 v68 /*v324*/, v68 /*v324*/, v82, v131 /*v387*/
	v_and_b32_e32 v131 /*v387*/, 15, v141
	s_set_vgpr_msb 5                        ;  msbs: dst=0 src0=1 src1=1 src2=0
	v_mul_i32_i24_e32 v82, v108 /*v364*/, v129 /*v385*/
	s_set_vgpr_msb 0x45                     ;  msbs: dst=1 src0=1 src1=1 src2=0
	v_mul_i32_i24_e32 v95 /*v351*/, v78 /*v334*/, v129 /*v385*/
	v_mul_i32_i24_e32 v98 /*v354*/, v79 /*v335*/, v116 /*v372*/
	s_set_vgpr_msb 64                       ;  msbs: dst=1 src0=0 src1=0 src2=0
	v_bfe_i32 v135 /*v391*/, v123, 16, 8
	v_bfe_i32 v136 /*v392*/, v125, 8, 8
	;; [unrolled: 1-line block ×3, first 2 shown]
	v_and_b32_e32 v114 /*v370*/, 15, v140
	s_set_vgpr_msb 0x55                     ;  msbs: dst=1 src0=1 src1=1 src2=1
	v_add3_u32 v82 /*v338*/, v82 /*v338*/, v98 /*v354*/, v95 /*v351*/
	v_mul_i32_i24_e32 v95 /*v351*/, v78 /*v334*/, v40 /*v296*/
	v_mul_i32_i24_e32 v98 /*v354*/, v79 /*v335*/, v43 /*v299*/
	s_set_vgpr_msb 0                        ;  msbs: dst=0 src0=0 src1=0 src2=0
	v_bfe_u32 v253, v140, 4, 4
	s_set_vgpr_msb 64                       ;  msbs: dst=1 src0=0 src1=0 src2=0
	v_bfe_u32 v121 /*v377*/, v140, 12, 4
	s_set_vgpr_msb 1                        ;  msbs: dst=0 src0=1 src1=0 src2=0
	v_cvt_f32_f16_e64 v80, v10 /*v266*/
	s_set_vgpr_msb 0x55                     ;  msbs: dst=1 src0=1 src1=1 src2=1
	v_lshrrev_b32_e32 v10 /*v266*/, 16, v10 /*v266*/
	v_add3_u32 v83 /*v339*/, v83 /*v339*/, v98 /*v354*/, v95 /*v351*/
	v_mul_i32_i24_e32 v95 /*v351*/, v78 /*v334*/, v104 /*v360*/
	v_mul_i32_i24_e32 v98 /*v354*/, v79 /*v335*/, v106 /*v362*/
	;; [unrolled: 1-line block ×4, first 2 shown]
	s_delay_alu instid0(VALU_DEP_3) | instskip(SKIP_4) | instid1(VALU_DEP_2)
	v_add3_u32 v95 /*v351*/, v117 /*v373*/, v98 /*v354*/, v95 /*v351*/
	s_set_vgpr_msb 64                       ;  msbs: dst=1 src0=0 src1=0 src2=0
	v_bfe_i32 v98 /*v354*/, v126, 0, 8
	v_lshrrev_b32_e32 v117 /*v373*/, 28, v140
	s_set_vgpr_msb 0x55                     ;  msbs: dst=1 src0=1 src1=1 src2=1
	v_mul_i32_i24_e32 v111 /*v367*/, v98 /*v354*/, v129 /*v385*/
	s_delay_alu instid0(VALU_DEP_1) | instskip(SKIP_2) | instid1(VALU_DEP_1)
	v_add3_u32 v86 /*v342*/, v86 /*v342*/, v112 /*v368*/, v111 /*v367*/
	v_mul_i32_i24_e32 v111 /*v367*/, v98 /*v354*/, v40 /*v296*/
	v_mul_i32_i24_e32 v112 /*v368*/, v110 /*v366*/, v43 /*v299*/
	v_add3_u32 v64 /*v320*/, v64 /*v320*/, v112 /*v368*/, v111 /*v367*/
	v_mul_i32_i24_e32 v111 /*v367*/, v98 /*v354*/, v104 /*v360*/
	v_mul_i32_i24_e32 v112 /*v368*/, v110 /*v366*/, v106 /*v362*/
	;; [unrolled: 1-line block ×4, first 2 shown]
	s_delay_alu instid0(VALU_DEP_3) | instskip(SKIP_4) | instid1(VALU_DEP_2)
	v_add3_u32 v87 /*v343*/, v87 /*v343*/, v112 /*v368*/, v111 /*v367*/
	s_set_vgpr_msb 64                       ;  msbs: dst=1 src0=0 src1=0 src2=0
	v_bfe_i32 v111 /*v367*/, v128, 0, 8
	v_ashrrev_i32_e32 v112 /*v368*/, 24, v128
	s_set_vgpr_msb 0x55                     ;  msbs: dst=1 src0=1 src1=1 src2=1
	v_mul_i32_i24_e32 v97 /*v353*/, v111 /*v367*/, v129 /*v385*/
	s_delay_alu instid0(VALU_DEP_2) | instskip(NEXT) | instid1(VALU_DEP_1)
	v_mul_i32_i24_e32 v113 /*v369*/, v112 /*v368*/, v116 /*v372*/
	v_add3_u32 v91 /*v347*/, v91 /*v347*/, v113 /*v369*/, v97 /*v353*/
	v_mul_i32_i24_e32 v97 /*v353*/, v111 /*v367*/, v40 /*v296*/
	v_mul_i32_i24_e32 v113 /*v369*/, v112 /*v368*/, v43 /*v299*/
	s_delay_alu instid0(VALU_DEP_1) | instskip(SKIP_4) | instid1(VALU_DEP_3)
	v_add3_u32 v93 /*v349*/, v93 /*v349*/, v113 /*v369*/, v97 /*v353*/
	v_mul_i32_i24_e32 v97 /*v353*/, v111 /*v367*/, v104 /*v360*/
	v_mul_i32_i24_e32 v113 /*v369*/, v112 /*v368*/, v106 /*v362*/
	;; [unrolled: 1-line block ×4, first 2 shown]
	v_add3_u32 v97 /*v353*/, v122 /*v378*/, v113 /*v369*/, v97 /*v353*/
	v_mul_i32_i24_e32 v122 /*v378*/, v3 /*v259*/, v116 /*v372*/
	s_set_vgpr_msb 64                       ;  msbs: dst=1 src0=0 src1=0 src2=0
	v_bfe_u32 v113 /*v369*/, v140, 24, 4
	s_set_vgpr_msb 0                        ;  msbs: dst=0 src0=0 src1=0 src2=0
	v_bfe_u32 v140, v140, 20, 4
	s_set_vgpr_msb 0x45                     ;  msbs: dst=1 src0=1 src1=1 src2=0
	v_add3_u32 v122 /*v378*/, v123 /*v379*/, v122 /*v378*/, v82
	s_set_vgpr_msb 5                        ;  msbs: dst=0 src0=1 src1=1 src2=0
	v_mul_i32_i24_e32 v82, v108 /*v364*/, v40 /*v296*/
	s_set_vgpr_msb 0x45                     ;  msbs: dst=1 src0=1 src1=1 src2=0
	v_mul_i32_i24_e32 v123 /*v379*/, v3 /*v259*/, v43 /*v299*/
	s_delay_alu instid0(VALU_DEP_1) | instskip(SKIP_4) | instid1(VALU_DEP_1)
	v_add3_u32 v123 /*v379*/, v126 /*v382*/, v123 /*v379*/, v82
	s_set_vgpr_msb 5                        ;  msbs: dst=0 src0=1 src1=1 src2=0
	v_mul_i32_i24_e32 v82, v108 /*v364*/, v104 /*v360*/
	s_set_vgpr_msb 0x45                     ;  msbs: dst=1 src0=1 src1=1 src2=0
	v_mul_i32_i24_e32 v126 /*v382*/, v3 /*v259*/, v106 /*v362*/
	v_add3_u32 v126 /*v382*/, v128 /*v384*/, v126 /*v382*/, v82
	s_set_vgpr_msb 5                        ;  msbs: dst=0 src0=1 src1=1 src2=0
	v_mul_i32_i24_e32 v82, v56 /*v312*/, v41 /*v297*/
	s_set_vgpr_msb 0x45                     ;  msbs: dst=1 src0=1 src1=1 src2=0
	v_mul_i32_i24_e32 v128 /*v384*/, v57 /*v313*/, v33 /*v289*/
	s_set_vgpr_msb 0x51                     ;  msbs: dst=1 src0=1 src1=0 src2=1
	s_delay_alu instid0(VALU_DEP_1)
	v_add3_u32 v115 /*v371*/, v115 /*v371*/, v82, v128 /*v384*/
	s_set_vgpr_msb 5                        ;  msbs: dst=0 src0=1 src1=1 src2=0
	v_mul_i32_i24_e32 v82, v4 /*v260*/, v38 /*v294*/
	s_set_vgpr_msb 0x45                     ;  msbs: dst=1 src0=1 src1=1 src2=0
	v_mul_i32_i24_e32 v38 /*v294*/, v6 /*v262*/, v39 /*v295*/
	s_set_vgpr_msb 64                       ;  msbs: dst=1 src0=0 src1=0 src2=0
	v_bfe_u32 v39 /*v295*/, v143, 12, 4
	s_set_vgpr_msb 0                        ;  msbs: dst=0 src0=0 src1=0 src2=0
	v_bfe_u32 v143, v143, 20, 4
	s_set_vgpr_msb 64                       ;  msbs: dst=1 src0=0 src1=0 src2=0
	v_bfe_u32 v128 /*v384*/, v141, 8, 4
	s_set_vgpr_msb 0x45                     ;  msbs: dst=1 src0=1 src1=1 src2=0
	v_mul_i32_i24_e32 v6 /*v262*/, v6 /*v262*/, v109 /*v365*/
	s_set_vgpr_msb 0x51                     ;  msbs: dst=1 src0=1 src1=0 src2=1
	v_add3_u32 v31 /*v287*/, v31 /*v287*/, v82, v38 /*v294*/
	s_set_vgpr_msb 1                        ;  msbs: dst=0 src0=1 src1=0 src2=0
	v_mul_i32_i24_e32 v82, v56 /*v312*/, v148
	s_set_vgpr_msb 0x51                     ;  msbs: dst=1 src0=1 src1=0 src2=1
	v_mul_i32_i24_e32 v38 /*v294*/, v57 /*v313*/, v147
	v_mul_i32_i24_e32 v109 /*v365*/, v62 /*v318*/, v236
	s_delay_alu instid0(VALU_DEP_2)
	v_add3_u32 v37 /*v293*/, v37 /*v293*/, v82, v38 /*v294*/
	s_set_vgpr_msb 5                        ;  msbs: dst=0 src0=1 src1=1 src2=0
	v_mul_i32_i24_e32 v82, v4 /*v260*/, v138 /*v394*/
	s_set_vgpr_msb 64                       ;  msbs: dst=1 src0=0 src1=0 src2=0
	v_bfe_u32 v38 /*v294*/, v141, 24, 4
	v_bfe_i32 v138 /*v394*/, v127, 8, 8
	s_set_vgpr_msb 0x51                     ;  msbs: dst=1 src0=1 src1=0 src2=1
	v_add3_u32 v63 /*v319*/, v124 /*v380*/, v82, v63 /*v319*/
	s_set_vgpr_msb 5                        ;  msbs: dst=0 src0=1 src1=1 src2=0
	v_mul_i32_i24_e32 v82, v56 /*v312*/, v39 /*v295*/
	s_set_vgpr_msb 0x41                     ;  msbs: dst=1 src0=1 src1=0 src2=0
	v_mul_i32_i24_e32 v124 /*v380*/, v57 /*v313*/, v143
	s_set_vgpr_msb 0x45                     ;  msbs: dst=1 src0=1 src1=1 src2=0
	v_mul_i32_i24_e32 v56 /*v312*/, v56 /*v312*/, v27 /*v283*/
	v_mul_i32_i24_e32 v57 /*v313*/, v57 /*v313*/, v22 /*v278*/
	s_set_vgpr_msb 0x51                     ;  msbs: dst=1 src0=1 src1=0 src2=1
	v_add3_u32 v124 /*v380*/, v130 /*v386*/, v82, v124 /*v380*/
	s_set_vgpr_msb 5                        ;  msbs: dst=0 src0=1 src1=1 src2=0
	v_mul_i32_i24_e32 v82, v51 /*v307*/, v20 /*v276*/
	s_set_vgpr_msb 0x45                     ;  msbs: dst=1 src0=1 src1=1 src2=0
	v_mul_i32_i24_e32 v51 /*v307*/, v53 /*v309*/, v15 /*v271*/
	s_set_vgpr_msb 64                       ;  msbs: dst=1 src0=0 src1=0 src2=0
	v_bfe_u32 v130 /*v386*/, v141, 16, 4
	v_bfe_u32 v53 /*v309*/, v141, 12, 4
	s_set_vgpr_msb 16                       ;  msbs: dst=0 src0=0 src1=0 src2=1
	v_add3_u32 v151, v151, v82, v51 /*v307*/
	s_set_vgpr_msb 4                        ;  msbs: dst=0 src0=0 src1=1 src2=0
	v_mul_i32_i24_e32 v82, v144, v129 /*v385*/
	s_set_vgpr_msb 0x45                     ;  msbs: dst=1 src0=1 src1=1 src2=0
	v_mul_i32_i24_e32 v51 /*v307*/, v1 /*v257*/, v116 /*v372*/
	s_set_vgpr_msb 20                       ;  msbs: dst=0 src0=0 src1=1 src2=1
	v_add3_u32 v151, v151, v58 /*v314*/, v55 /*v311*/
	s_set_vgpr_msb 0x45                     ;  msbs: dst=1 src0=1 src1=1 src2=0
	v_mul_i32_i24_e32 v55 /*v311*/, v66 /*v322*/, v39 /*v295*/
	s_set_vgpr_msb 4                        ;  msbs: dst=0 src0=0 src1=1 src2=0
	v_add3_u32 v153, v153, v51 /*v307*/, v82
	v_mul_i32_i24_e32 v82, v144, v40 /*v296*/
	s_set_vgpr_msb 0x45                     ;  msbs: dst=1 src0=1 src1=1 src2=0
	v_mul_i32_i24_e32 v51 /*v307*/, v1 /*v257*/, v43 /*v299*/
	v_mul_i32_i24_e32 v40 /*v296*/, v7 /*v263*/, v40 /*v296*/
	s_set_vgpr_msb 0x41                     ;  msbs: dst=1 src0=1 src1=0 src2=0
	v_mul_i32_i24_e32 v58 /*v314*/, v102 /*v358*/, v143
	s_set_vgpr_msb 20                       ;  msbs: dst=0 src0=0 src1=1 src2=1
	v_add3_u32 v151, v151, v56 /*v312*/, v57 /*v313*/
	s_set_vgpr_msb 0x45                     ;  msbs: dst=1 src0=1 src1=1 src2=0
	v_add3_u32 v28 /*v284*/, v28 /*v284*/, v51 /*v307*/, v82
	s_set_vgpr_msb 4                        ;  msbs: dst=0 src0=0 src1=1 src2=0
	v_mul_i32_i24_e32 v82, v144, v104 /*v360*/
	s_set_vgpr_msb 5                        ;  msbs: dst=0 src0=1 src1=1 src2=0
	v_mul_i32_i24_e32 v144, v1 /*v257*/, v106 /*v362*/
	s_set_vgpr_msb 64                       ;  msbs: dst=1 src0=0 src1=0 src2=0
	v_lshrrev_b32_e32 v51 /*v307*/, 28, v141
	s_set_vgpr_msb 0                        ;  msbs: dst=0 src0=0 src1=0 src2=0
	v_bfe_i32 v141, v122, 8, 8
	v_bfe_i32 v122, v122, 16, 8
	s_set_vgpr_msb 64                       ;  msbs: dst=1 src0=0 src1=0 src2=0
	v_bfe_i32 v1 /*v257*/, v124, 8, 8
	s_set_vgpr_msb 0                        ;  msbs: dst=0 src0=0 src1=0 src2=0
	v_add3_u32 v144, v83, v144, v82
	s_set_vgpr_msb 5                        ;  msbs: dst=0 src0=1 src1=1 src2=0
	v_mul_i32_i24_e32 v82, v49 /*v305*/, v20 /*v276*/
	s_set_vgpr_msb 4                        ;  msbs: dst=0 src0=0 src1=1 src2=0
	v_mul_i32_i24_e32 v83, v132, v15 /*v271*/
	v_bfe_i32 v124, v124, 16, 8
	s_set_vgpr_msb 0x45                     ;  msbs: dst=1 src0=1 src1=1 src2=0
	v_mul_i32_i24_e32 v104 /*v360*/, v7 /*v263*/, v104 /*v360*/
	s_set_vgpr_msb 20                       ;  msbs: dst=0 src0=0 src1=1 src2=1
	v_add3_u32 v153, v153, v55 /*v311*/, v58 /*v314*/
	s_set_vgpr_msb 0x45                     ;  msbs: dst=1 src0=1 src1=1 src2=0
	v_mul_i32_i24_e32 v58 /*v314*/, v102 /*v358*/, v33 /*v289*/
	s_set_vgpr_msb 1                        ;  msbs: dst=0 src0=1 src1=0 src2=0
	v_add3_u32 v132, v50 /*v306*/, v82, v83
	s_set_vgpr_msb 4                        ;  msbs: dst=0 src0=0 src1=1 src2=0
	v_mul_i32_i24_e32 v82, v141, v39 /*v295*/
	s_set_vgpr_msb 0                        ;  msbs: dst=0 src0=0 src1=0 src2=0
	v_mul_i32_i24_e32 v83, v122, v143
	s_set_vgpr_msb 64                       ;  msbs: dst=1 src0=0 src1=0 src2=0
	v_bfe_i32 v55 /*v311*/, v131, 8, 8
	s_set_vgpr_msb 0x41                     ;  msbs: dst=1 src0=1 src1=0 src2=0
	v_mul_i32_i24_e32 v102 /*v358*/, v102 /*v358*/, v147
	s_set_vgpr_msb 20                       ;  msbs: dst=0 src0=0 src1=1 src2=1
	v_add3_u32 v132, v132, v46 /*v302*/, v16 /*v272*/
	s_set_vgpr_msb 0x45                     ;  msbs: dst=1 src0=1 src1=1 src2=0
	v_mul_i32_i24_e32 v3 /*v259*/, v3 /*v259*/, v25 /*v281*/
	s_set_vgpr_msb 0x41                     ;  msbs: dst=1 src0=1 src1=0 src2=0
	v_add3_u32 v49 /*v305*/, v52 /*v308*/, v82, v83
	s_set_vgpr_msb 4                        ;  msbs: dst=0 src0=0 src1=1 src2=0
	v_mul_i32_i24_e32 v82, v141, v41 /*v297*/
	v_mul_i32_i24_e32 v83, v122, v33 /*v289*/
	s_set_vgpr_msb 0x41                     ;  msbs: dst=1 src0=1 src1=0 src2=0
	s_delay_alu instid0(VALU_DEP_1)
	v_add3_u32 v50 /*v306*/, v54 /*v310*/, v82, v83
	s_set_vgpr_msb 0                        ;  msbs: dst=0 src0=0 src1=0 src2=0
	v_mul_i32_i24_e32 v82, v141, v148
	v_mul_i32_i24_e32 v83, v122, v147
	s_set_vgpr_msb 64                       ;  msbs: dst=1 src0=0 src1=0 src2=0
	v_bfe_i32 v54 /*v310*/, v126, 8, 8
	s_set_vgpr_msb 4                        ;  msbs: dst=0 src0=0 src1=1 src2=0
	v_bfe_i32 v126, v126, 16, 8
	v_mul_i32_i24_e32 v141, v141, v27 /*v283*/
	v_mul_i32_i24_e32 v122, v122, v22 /*v278*/
	s_set_vgpr_msb 0x41                     ;  msbs: dst=1 src0=1 src1=0 src2=0
	v_add3_u32 v52 /*v308*/, v72 /*v328*/, v82, v83
	s_set_vgpr_msb 5                        ;  msbs: dst=0 src0=1 src1=1 src2=0
	v_mul_i32_i24_e32 v82, v96 /*v352*/, v20 /*v276*/
	s_set_vgpr_msb 4                        ;  msbs: dst=0 src0=0 src1=1 src2=0
	v_mul_i32_i24_e32 v83, v134, v15 /*v271*/
	s_set_vgpr_msb 64                       ;  msbs: dst=1 src0=0 src1=0 src2=0
	v_ashrrev_i32_e32 v96 /*v352*/, 24, v137
	s_set_vgpr_msb 0                        ;  msbs: dst=0 src0=0 src1=0 src2=0
	v_add3_u32 v122, v132, v141, v122
	s_set_vgpr_msb 1                        ;  msbs: dst=0 src0=1 src1=0 src2=0
	v_add3_u32 v134, v80 /*v336*/, v82, v83
	s_set_vgpr_msb 5                        ;  msbs: dst=0 src0=1 src1=1 src2=0
	v_mul_i32_i24_e32 v82, v1 /*v257*/, v39 /*v295*/
	s_set_vgpr_msb 0                        ;  msbs: dst=0 src0=0 src1=0 src2=0
	v_mul_i32_i24_e32 v83, v124, v143
	s_set_vgpr_msb 20                       ;  msbs: dst=0 src0=0 src1=1 src2=1
	v_add3_u32 v134, v134, v79 /*v335*/, v78 /*v334*/
	s_set_vgpr_msb 0x41                     ;  msbs: dst=1 src0=1 src1=0 src2=0
	s_delay_alu instid0(VALU_DEP_2)
	v_add3_u32 v72 /*v328*/, v82 /*v338*/, v82, v83
	s_set_vgpr_msb 5                        ;  msbs: dst=0 src0=1 src1=1 src2=0
	v_mul_i32_i24_e32 v82, v1 /*v257*/, v41 /*v297*/
	s_set_vgpr_msb 4                        ;  msbs: dst=0 src0=0 src1=1 src2=0
	v_mul_i32_i24_e32 v83, v124, v33 /*v289*/
	s_set_vgpr_msb 0x41                     ;  msbs: dst=1 src0=1 src1=0 src2=0
	s_delay_alu instid0(VALU_DEP_1)
	v_add3_u32 v80 /*v336*/, v83 /*v339*/, v82, v83
	s_set_vgpr_msb 1                        ;  msbs: dst=0 src0=1 src1=0 src2=0
	v_mul_i32_i24_e32 v82, v1 /*v257*/, v148
	s_set_vgpr_msb 0                        ;  msbs: dst=0 src0=0 src1=0 src2=0
	v_mul_i32_i24_e32 v83, v124, v147
	s_set_vgpr_msb 64                       ;  msbs: dst=1 src0=0 src1=0 src2=0
	v_bfe_i32 v83 /*v339*/, v128, 8, 8
	s_set_vgpr_msb 0                        ;  msbs: dst=0 src0=0 src1=0 src2=0
	v_bfe_i32 v128, v128, 16, 8
	s_set_vgpr_msb 0x45                     ;  msbs: dst=1 src0=1 src1=1 src2=0
	v_mul_i32_i24_e32 v1 /*v257*/, v1 /*v257*/, v27 /*v283*/
	s_set_vgpr_msb 4                        ;  msbs: dst=0 src0=0 src1=1 src2=0
	v_mul_i32_i24_e32 v124, v124, v22 /*v278*/
	s_set_vgpr_msb 0x41                     ;  msbs: dst=1 src0=1 src1=0 src2=0
	v_add3_u32 v82 /*v338*/, v95 /*v351*/, v82, v83
	s_set_vgpr_msb 5                        ;  msbs: dst=0 src0=1 src1=1 src2=0
	v_mul_i32_i24_e32 v82, v125 /*v381*/, v20 /*v276*/
	s_set_vgpr_msb 4                        ;  msbs: dst=0 src0=0 src1=1 src2=0
	v_mul_i32_i24_e32 v83, v136, v15 /*v271*/
	s_set_vgpr_msb 64                       ;  msbs: dst=1 src0=0 src1=0 src2=0
	v_dual_ashrrev_i32 v95 /*v351*/, 24, v135 :: v_dual_bitop2_b32 v125 /*v381*/, 15, v108 bitop3:0x40
	s_set_vgpr_msb 4                        ;  msbs: dst=0 src0=0 src1=1 src2=0
	v_add3_u32 v124, v134, v1 /*v257*/, v124
	s_set_vgpr_msb 1                        ;  msbs: dst=0 src0=1 src1=0 src2=0
	v_add3_u32 v136, v84 /*v340*/, v82, v83
	s_set_vgpr_msb 5                        ;  msbs: dst=0 src0=1 src1=1 src2=0
	v_mul_i32_i24_e32 v82, v54 /*v310*/, v39 /*v295*/
	s_set_vgpr_msb 0                        ;  msbs: dst=0 src0=0 src1=0 src2=0
	v_mul_i32_i24_e32 v83, v126, v143
	s_set_vgpr_msb 20                       ;  msbs: dst=0 src0=0 src1=1 src2=1
	v_add3_u32 v136, v136, v110 /*v366*/, v98 /*v354*/
	s_set_vgpr_msb 0x41                     ;  msbs: dst=1 src0=1 src1=0 src2=0
	s_delay_alu instid0(VALU_DEP_2)
	v_add3_u32 v84 /*v340*/, v86 /*v342*/, v82, v83
	s_set_vgpr_msb 5                        ;  msbs: dst=0 src0=1 src1=1 src2=0
	v_mul_i32_i24_e32 v82, v54 /*v310*/, v41 /*v297*/
	s_set_vgpr_msb 4                        ;  msbs: dst=0 src0=0 src1=1 src2=0
	v_mul_i32_i24_e32 v83, v126, v33 /*v289*/
	s_set_vgpr_msb 0x41                     ;  msbs: dst=1 src0=1 src1=0 src2=0
	s_delay_alu instid0(VALU_DEP_1)
	v_add3_u32 v64 /*v320*/, v64 /*v320*/, v82, v83
	s_set_vgpr_msb 1                        ;  msbs: dst=0 src0=1 src1=0 src2=0
	v_mul_i32_i24_e32 v82, v54 /*v310*/, v148
	s_set_vgpr_msb 0                        ;  msbs: dst=0 src0=0 src1=0 src2=0
	v_mul_i32_i24_e32 v83, v126, v147
	s_set_vgpr_msb 0x45                     ;  msbs: dst=1 src0=1 src1=1 src2=0
	v_mul_i32_i24_e32 v54 /*v310*/, v54 /*v310*/, v27 /*v283*/
	s_set_vgpr_msb 4                        ;  msbs: dst=0 src0=0 src1=1 src2=0
	v_mul_i32_i24_e32 v126, v126, v22 /*v278*/
	s_set_vgpr_msb 0x41                     ;  msbs: dst=1 src0=1 src1=0 src2=0
	v_add3_u32 v86 /*v342*/, v87 /*v343*/, v82, v83
	s_set_vgpr_msb 5                        ;  msbs: dst=0 src0=1 src1=1 src2=0
	v_mul_i32_i24_e32 v82, v118 /*v374*/, v20 /*v276*/
	s_set_vgpr_msb 4                        ;  msbs: dst=0 src0=0 src1=1 src2=0
	v_mul_i32_i24_e32 v83, v138, v15 /*v271*/
	s_set_vgpr_msb 5                        ;  msbs: dst=0 src0=1 src1=1 src2=0
	v_mul_i32_i24_e32 v138, v83 /*v339*/, v39 /*v295*/
	s_set_vgpr_msb 0x45                     ;  msbs: dst=1 src0=1 src1=1 src2=0
	v_mul_i32_i24_e32 v20 /*v276*/, v67 /*v323*/, v20 /*v276*/
	s_set_vgpr_msb 64                       ;  msbs: dst=1 src0=0 src1=0 src2=0
	v_bfe_i32 v67 /*v323*/, v120, 8, 8
	s_set_vgpr_msb 0x45                     ;  msbs: dst=1 src0=1 src1=1 src2=0
	v_mul_i32_i24_e32 v118 /*v374*/, v8 /*v264*/, v27 /*v283*/
	s_set_vgpr_msb 0x41                     ;  msbs: dst=1 src0=1 src1=0 src2=0
	v_add3_u32 v87 /*v343*/, v88 /*v344*/, v82, v83
	s_set_vgpr_msb 0                        ;  msbs: dst=0 src0=0 src1=0 src2=0
	v_mul_i32_i24_e32 v82, v128, v143
	s_set_vgpr_msb 5                        ;  msbs: dst=0 src0=1 src1=1 src2=0
	v_mul_i32_i24_e32 v83, v83 /*v339*/, v41 /*v297*/
	s_set_vgpr_msb 0x41                     ;  msbs: dst=1 src0=1 src1=0 src2=0
	v_mul_i32_i24_e32 v88 /*v344*/, v83 /*v339*/, v148
	s_set_vgpr_msb 4                        ;  msbs: dst=0 src0=0 src1=1 src2=0
	v_add3_u32 v130, v250, v20 /*v276*/, v130
	v_bfe_u32 v250, v108, 8, 4
	s_set_vgpr_msb 1                        ;  msbs: dst=0 src0=1 src1=0 src2=0
	v_add3_u32 v138, v91 /*v347*/, v138, v82
	s_set_vgpr_msb 4                        ;  msbs: dst=0 src0=0 src1=1 src2=0
	v_mul_i32_i24_e32 v82, v128, v33 /*v289*/
	s_set_vgpr_msb 64                       ;  msbs: dst=1 src0=0 src1=0 src2=0
	v_bfe_u32 v20 /*v276*/, v108, 24, 4
	s_set_vgpr_msb 0x55                     ;  msbs: dst=1 src0=1 src1=1 src2=1
	v_add3_u32 v87 /*v343*/, v87 /*v343*/, v112 /*v368*/, v111 /*v367*/
	v_mul_i32_i24_e32 v83 /*v339*/, v83 /*v339*/, v27 /*v283*/
	v_mul_i32_i24_e32 v27 /*v283*/, v67 /*v323*/, v27 /*v283*/
	s_set_vgpr_msb 0x41                     ;  msbs: dst=1 src0=1 src1=0 src2=0
	v_add3_u32 v91 /*v347*/, v93 /*v349*/, v83, v82
	s_set_vgpr_msb 0x45                     ;  msbs: dst=1 src0=1 src1=1 src2=0
	v_mul_i32_i24_e32 v93 /*v349*/, v4 /*v260*/, v15 /*v271*/
	s_set_vgpr_msb 64                       ;  msbs: dst=1 src0=0 src1=0 src2=0
	v_bfe_i32 v15 /*v271*/, v120, 16, 8
	s_set_vgpr_msb 5                        ;  msbs: dst=0 src0=1 src1=1 src2=0
	v_mul_i32_i24_e32 v120, v4 /*v260*/, v140 /*v396*/
	s_set_vgpr_msb 0                        ;  msbs: dst=0 src0=0 src1=0 src2=0
	v_mul_i32_i24_e32 v82, v128, v147
	s_set_vgpr_msb 64                       ;  msbs: dst=1 src0=0 src1=0 src2=0
	v_bfe_i32 v4 /*v260*/, v135, 8, 8
	s_set_vgpr_msb 20                       ;  msbs: dst=0 src0=0 src1=1 src2=1
	v_add3_u32 v252, v252, v93 /*v349*/, v23 /*v279*/
	s_set_vgpr_msb 64                       ;  msbs: dst=1 src0=0 src1=0 src2=0
	v_bfe_i32 v23 /*v279*/, v133, 8, 8
	s_set_vgpr_msb 0x51                     ;  msbs: dst=1 src0=1 src1=0 src2=1
	v_add3_u32 v2 /*v258*/, v2 /*v258*/, v120, v6 /*v262*/
	s_set_vgpr_msb 5                        ;  msbs: dst=0 src0=1 src1=1 src2=0
	v_add3_u32 v120, v68 /*v324*/, v65 /*v321*/, v254
	v_mul_i32_i24_e32 v254, v67 /*v323*/, v39 /*v295*/
	s_set_vgpr_msb 0x41                     ;  msbs: dst=1 src0=1 src1=0 src2=0
	v_mul_i32_i24_e32 v65 /*v321*/, v15 /*v271*/, v143
	s_set_vgpr_msb 0x45                     ;  msbs: dst=1 src0=1 src1=1 src2=0
	v_mul_i32_i24_e32 v68 /*v324*/, v15 /*v271*/, v33 /*v289*/
	v_add3_u32 v88 /*v344*/, v97 /*v353*/, v88 /*v344*/, v82
	s_set_vgpr_msb 0x41                     ;  msbs: dst=1 src0=1 src1=0 src2=0
	v_mul_i32_i24_e32 v97 /*v353*/, v15 /*v271*/, v147
	v_ashrrev_i32_e32 v93 /*v349*/, 24, v133
	s_set_vgpr_msb 17                       ;  msbs: dst=0 src0=1 src1=0 src2=1
	v_add3_u32 v254, v122 /*v378*/, v254, v65 /*v321*/
	s_set_vgpr_msb 0x45                     ;  msbs: dst=1 src0=1 src1=1 src2=0
	v_mul_i32_i24_e32 v65 /*v321*/, v67 /*v323*/, v41 /*v297*/
	s_set_vgpr_msb 64                       ;  msbs: dst=1 src0=0 src1=0 src2=0
	v_bfe_i32 v6 /*v262*/, v137, 8, 8
	s_set_vgpr_msb 0x41                     ;  msbs: dst=1 src0=1 src1=0 src2=0
	v_mul_i32_i24_e32 v16 /*v272*/, v23 /*v279*/, v250
	s_set_vgpr_msb 0x45                     ;  msbs: dst=1 src0=1 src1=1 src2=0
	v_mul_i32_i24_e32 v46 /*v302*/, v93 /*v349*/, v20 /*v276*/
	s_set_vgpr_msb 0x41                     ;  msbs: dst=1 src0=1 src1=0 src2=0
	v_mul_i32_i24_e32 v78 /*v334*/, v4 /*v260*/, v250
	s_set_vgpr_msb 0x55                     ;  msbs: dst=1 src0=1 src1=1 src2=1
	v_add3_u32 v65 /*v321*/, v123 /*v379*/, v65 /*v321*/, v68 /*v324*/
	s_set_vgpr_msb 0x41                     ;  msbs: dst=1 src0=1 src1=0 src2=0
	v_mul_i32_i24_e32 v68 /*v324*/, v67 /*v323*/, v148
	s_set_vgpr_msb 0x45                     ;  msbs: dst=1 src0=1 src1=1 src2=0
	v_mul_i32_i24_e32 v79 /*v335*/, v95 /*v351*/, v20 /*v276*/
	s_set_vgpr_msb 0x41                     ;  msbs: dst=1 src0=1 src1=0 src2=0
	v_mul_i32_i24_e32 v98 /*v354*/, v6 /*v262*/, v250
	s_set_vgpr_msb 0x55                     ;  msbs: dst=1 src0=1 src1=1 src2=1
	v_add3_u32 v16 /*v272*/, v49 /*v305*/, v46 /*v302*/, v16 /*v272*/
	v_mul_i32_i24_e32 v46 /*v302*/, v23 /*v279*/, v45 /*v301*/
	v_add3_u32 v68 /*v324*/, v126 /*v382*/, v68 /*v324*/, v97 /*v353*/
	v_mul_i32_i24_e32 v97 /*v353*/, v59 /*v315*/, v45 /*v301*/
	s_set_vgpr_msb 0x41                     ;  msbs: dst=1 src0=1 src1=0 src2=0
	v_mul_i32_i24_e32 v49 /*v305*/, v93 /*v349*/, v236
	s_set_vgpr_msb 0x55                     ;  msbs: dst=1 src0=1 src1=1 src2=1
	v_add3_u32 v72 /*v328*/, v72 /*v328*/, v79 /*v335*/, v78 /*v334*/
	v_mul_i32_i24_e32 v78 /*v334*/, v4 /*v260*/, v45 /*v301*/
	s_set_vgpr_msb 0x41                     ;  msbs: dst=1 src0=1 src1=0 src2=0
	v_mul_i32_i24_e32 v79 /*v335*/, v95 /*v351*/, v236
	s_set_vgpr_msb 0x55                     ;  msbs: dst=1 src0=1 src1=1 src2=1
	v_add3_u32 v97 /*v353*/, v115 /*v371*/, v109 /*v365*/, v97 /*v353*/
	v_mul_i32_i24_e32 v115 /*v371*/, v8 /*v264*/, v41 /*v297*/
	s_set_vgpr_msb 64                       ;  msbs: dst=1 src0=0 src1=0 src2=0
	v_bfe_i32 v109 /*v365*/, v139, 8, 8
	s_set_vgpr_msb 0x55                     ;  msbs: dst=1 src0=1 src1=1 src2=1
	v_mul_i32_i24_e32 v41 /*v297*/, v66 /*v322*/, v41 /*v297*/
	v_add3_u32 v46 /*v302*/, v50 /*v306*/, v49 /*v305*/, v46 /*v302*/
	v_mul_i32_i24_e32 v49 /*v305*/, v23 /*v279*/, v35 /*v291*/
	v_add3_u32 v31 /*v287*/, v31 /*v287*/, v40 /*v296*/, v115 /*v371*/
	v_mul_i32_i24_e32 v40 /*v296*/, v59 /*v315*/, v35 /*v291*/
	v_mul_i32_i24_e32 v115 /*v371*/, v62 /*v318*/, v113 /*v369*/
	s_set_vgpr_msb 0x41                     ;  msbs: dst=1 src0=1 src1=0 src2=0
	v_mul_i32_i24_e32 v111 /*v367*/, v109 /*v365*/, v250
	s_set_vgpr_msb 0x55                     ;  msbs: dst=1 src0=1 src1=1 src2=1
	v_mul_i32_i24_e32 v50 /*v306*/, v93 /*v349*/, v113 /*v369*/
	v_add3_u32 v78 /*v334*/, v80 /*v336*/, v79 /*v335*/, v78 /*v334*/
	v_mul_i32_i24_e32 v79 /*v335*/, v4 /*v260*/, v35 /*v291*/
	v_add3_u32 v37 /*v293*/, v37 /*v293*/, v115 /*v371*/, v40 /*v296*/
	s_set_vgpr_msb 0x41                     ;  msbs: dst=1 src0=1 src1=0 src2=0
	v_ashrrev_i32_e32 v40 /*v296*/, 24, v139
	v_mul_i32_i24_e32 v115 /*v371*/, v8 /*v264*/, v148
	s_set_vgpr_msb 0x55                     ;  msbs: dst=1 src0=1 src1=1 src2=1
	v_mul_i32_i24_e32 v110 /*v366*/, v96 /*v352*/, v20 /*v276*/
	v_mul_i32_i24_e32 v80 /*v336*/, v95 /*v351*/, v113 /*v369*/
	v_add3_u32 v28 /*v284*/, v28 /*v284*/, v41 /*v297*/, v58 /*v314*/
	v_mul_i32_i24_e32 v112 /*v368*/, v40 /*v296*/, v20 /*v276*/
	v_add3_u32 v63 /*v319*/, v63 /*v319*/, v104 /*v360*/, v115 /*v371*/
	s_set_vgpr_msb 0x41                     ;  msbs: dst=1 src0=1 src1=0 src2=0
	v_mul_i32_i24_e32 v104 /*v360*/, v59 /*v315*/, v250
	s_set_vgpr_msb 0x55                     ;  msbs: dst=1 src0=1 src1=1 src2=1
	v_mul_i32_i24_e32 v115 /*v371*/, v62 /*v318*/, v20 /*v276*/
	v_add3_u32 v84 /*v340*/, v84 /*v340*/, v110 /*v366*/, v98 /*v354*/
	v_mul_i32_i24_e32 v98 /*v354*/, v6 /*v262*/, v45 /*v301*/
	s_set_vgpr_msb 0x41                     ;  msbs: dst=1 src0=1 src1=0 src2=0
	v_mul_i32_i24_e32 v110 /*v366*/, v96 /*v352*/, v236
	s_set_vgpr_msb 20                       ;  msbs: dst=0 src0=0 src1=1 src2=1
	v_add3_u32 v138, v138, v112 /*v368*/, v111 /*v367*/
	s_set_vgpr_msb 0x55                     ;  msbs: dst=1 src0=1 src1=1 src2=1
	v_add3_u32 v104 /*v360*/, v124 /*v380*/, v115 /*v371*/, v104 /*v360*/
	v_mul_i32_i24_e32 v115 /*v371*/, v7 /*v263*/, v26 /*v282*/
	v_mul_i32_i24_e32 v111 /*v367*/, v109 /*v365*/, v45 /*v301*/
	v_add3_u32 v64 /*v320*/, v64 /*v320*/, v110 /*v366*/, v98 /*v354*/
	v_mul_i32_i24_e32 v98 /*v354*/, v6 /*v262*/, v35 /*v291*/
	v_mul_i32_i24_e32 v110 /*v366*/, v96 /*v352*/, v113 /*v369*/
	s_set_vgpr_msb 0x41                     ;  msbs: dst=1 src0=1 src1=0 src2=0
	v_mul_i32_i24_e32 v112 /*v368*/, v40 /*v296*/, v236
	v_ashrrev_i32_e32 v41 /*v297*/, 24, v131
	s_set_vgpr_msb 0x55                     ;  msbs: dst=1 src0=1 src1=1 src2=1
	v_add3_u32 v49 /*v305*/, v52 /*v308*/, v50 /*v306*/, v49 /*v305*/
	s_set_vgpr_msb 64                       ;  msbs: dst=1 src0=0 src1=0 src2=0
	v_lshrrev_b32_e32 v52 /*v308*/, 28, v108
	s_set_vgpr_msb 0x55                     ;  msbs: dst=1 src0=1 src1=1 src2=1
	v_add3_u32 v79 /*v335*/, v82 /*v338*/, v80 /*v336*/, v79 /*v335*/
	s_set_vgpr_msb 64                       ;  msbs: dst=1 src0=0 src1=0 src2=0
	v_bfe_i32 v80 /*v336*/, v123, 0, 8
	v_ashrrev_i32_e32 v82 /*v338*/, 24, v123
	s_set_vgpr_msb 0x55                     ;  msbs: dst=1 src0=1 src1=1 src2=1
	v_add3_u32 v86 /*v342*/, v86 /*v342*/, v110 /*v366*/, v98 /*v354*/
	s_set_vgpr_msb 64                       ;  msbs: dst=1 src0=0 src1=0 src2=0
	v_bfe_i32 v98 /*v354*/, v125, 0, 8
	v_ashrrev_i32_e32 v110 /*v366*/, 24, v125
	s_set_vgpr_msb 0x55                     ;  msbs: dst=1 src0=1 src1=1 src2=1
	v_add3_u32 v91 /*v347*/, v91 /*v347*/, v112 /*v368*/, v111 /*v367*/
	v_mul_i32_i24_e32 v111 /*v367*/, v109 /*v365*/, v35 /*v291*/
	v_mul_i32_i24_e32 v112 /*v368*/, v40 /*v296*/, v113 /*v369*/
	s_set_vgpr_msb 20                       ;  msbs: dst=0 src0=0 src1=1 src2=1
	v_add3_u32 v252, v252, v115 /*v371*/, v118 /*v374*/
	s_set_vgpr_msb 64                       ;  msbs: dst=1 src0=0 src1=0 src2=0
	v_bfe_i32 v118 /*v374*/, v123, 8, 8
	s_set_vgpr_msb 5                        ;  msbs: dst=0 src0=1 src1=1 src2=0
	v_mul_i32_i24_e32 v123, v7 /*v263*/, v129 /*v385*/
	v_mul_i32_i24_e32 v125, v8 /*v264*/, v39 /*v295*/
	s_set_vgpr_msb 0x55                     ;  msbs: dst=1 src0=1 src1=1 src2=1
	v_add3_u32 v88 /*v344*/, v88 /*v344*/, v112 /*v368*/, v111 /*v367*/
	s_set_vgpr_msb 64                       ;  msbs: dst=1 src0=0 src1=0 src2=0
	v_bfe_i32 v111 /*v367*/, v127, 0, 8
	v_ashrrev_i32_e32 v112 /*v368*/, 24, v127
	v_bfe_i32 v140 /*v396*/, v127, 16, 8
	s_set_vgpr_msb 1                        ;  msbs: dst=0 src0=1 src1=0 src2=0
	v_add3_u32 v123, v2 /*v258*/, v123, v125
	v_mul_i32_i24_e32 v125, v55 /*v311*/, v250
	s_set_vgpr_msb 5                        ;  msbs: dst=0 src0=1 src1=1 src2=0
	v_mul_i32_i24_e32 v127, v41 /*v297*/, v20 /*v276*/
	s_set_vgpr_msb 1                        ;  msbs: dst=0 src0=1 src1=0 src2=0
	v_mul_i32_i24_e32 v148, v66 /*v322*/, v148
	s_set_vgpr_msb 0x44                     ;  msbs: dst=1 src0=0 src1=1 src2=0
	v_bfe_u32 v66 /*v322*/, v108, 16, 4
	v_mul_i32_i24_e32 v126 /*v382*/, v244, v25 /*v281*/
	s_set_vgpr_msb 0x45                     ;  msbs: dst=1 src0=1 src1=1 src2=0
	v_mul_i32_i24_e32 v26 /*v282*/, v108 /*v364*/, v26 /*v282*/
	s_set_vgpr_msb 64                       ;  msbs: dst=1 src0=0 src1=0 src2=0
	v_bfe_i32 v108 /*v364*/, v129, 0, 8
	v_ashrrev_i32_e32 v25 /*v281*/, 24, v129
	v_bfe_i32 v115 /*v371*/, v121, 0, 8
	s_set_vgpr_msb 0                        ;  msbs: dst=0 src0=0 src1=0 src2=0
	v_add3_u32 v125, v254, v127, v125
	s_set_vgpr_msb 5                        ;  msbs: dst=0 src0=1 src1=1 src2=0
	v_mul_i32_i24_e32 v127, v55 /*v311*/, v45 /*v301*/
	s_set_vgpr_msb 1                        ;  msbs: dst=0 src0=1 src1=0 src2=0
	v_mul_i32_i24_e32 v129, v41 /*v297*/, v236
	s_set_vgpr_msb 64                       ;  msbs: dst=1 src0=0 src1=0 src2=0
	v_bfe_i32 v8 /*v264*/, v121, 8, 8
	v_bfe_i32 v39 /*v295*/, v121, 16, 8
	s_set_vgpr_msb 4                        ;  msbs: dst=0 src0=0 src1=1 src2=0
	v_mul_i32_i24_e32 v121, v246, v33 /*v289*/
	s_set_vgpr_msb 0x44                     ;  msbs: dst=1 src0=0 src1=1 src2=0
	v_mul_i32_i24_e32 v33 /*v289*/, v244, v43 /*v299*/
	s_set_vgpr_msb 0                        ;  msbs: dst=0 src0=0 src1=0 src2=0
	v_mul_i32_i24_e32 v147, v246, v147
	s_set_vgpr_msb 0x44                     ;  msbs: dst=1 src0=0 src1=1 src2=0
	v_mul_i32_i24_e32 v43 /*v299*/, v244, v106 /*v362*/
	s_set_vgpr_msb 16                       ;  msbs: dst=0 src0=0 src1=0 src2=1
	v_add3_u32 v144, v144, v148, v102 /*v358*/
	s_set_vgpr_msb 20                       ;  msbs: dst=0 src0=0 src1=1 src2=1
	v_mul_i32_i24_e32 v148, v246, v22 /*v278*/
	v_add3_u32 v130, v130, v3 /*v259*/, v26 /*v282*/
	s_set_vgpr_msb 1                        ;  msbs: dst=0 src0=1 src1=0 src2=0
	v_add3_u32 v127, v65 /*v321*/, v129, v127
	s_set_vgpr_msb 5                        ;  msbs: dst=0 src0=1 src1=1 src2=0
	v_mul_i32_i24_e32 v129, v55 /*v311*/, v35 /*v291*/
	v_mul_i32_i24_e32 v254, v41 /*v297*/, v113 /*v369*/
	s_set_vgpr_msb 17                       ;  msbs: dst=0 src0=1 src1=0 src2=1
	v_add3_u32 v147, v63 /*v319*/, v147, v43 /*v299*/
	s_set_vgpr_msb 0x44                     ;  msbs: dst=1 src0=0 src1=1 src2=0
	v_mul_i32_i24_e32 v43 /*v299*/, v88, v125 /*v381*/
	v_mul_i32_i24_e32 v63 /*v319*/, v89, v66 /*v322*/
	s_set_vgpr_msb 0x45                     ;  msbs: dst=1 src0=1 src1=1 src2=0
	v_mul_i32_i24_e32 v15 /*v271*/, v15 /*v271*/, v22 /*v278*/
	s_set_vgpr_msb 64                       ;  msbs: dst=1 src0=0 src1=0 src2=0
	v_bfe_i32 v102 /*v358*/, v131, 0, 8
	s_set_vgpr_msb 0                        ;  msbs: dst=0 src0=0 src1=0 src2=0
	v_bfe_i32 v131, v131, 16, 8
	s_set_vgpr_msb 1                        ;  msbs: dst=0 src0=1 src1=0 src2=0
	v_add3_u32 v129, v68 /*v324*/, v254, v129
	s_set_vgpr_msb 0x55                     ;  msbs: dst=1 src0=1 src1=1 src2=1
	v_add3_u32 v43 /*v299*/, v104 /*v360*/, v43 /*v299*/, v63 /*v319*/
	s_set_vgpr_msb 64                       ;  msbs: dst=1 src0=0 src1=0 src2=0
	v_bfe_i32 v63 /*v319*/, v97, 8, 8
	v_ashrrev_i32_e32 v68 /*v324*/, 24, v97
	s_set_vgpr_msb 4                        ;  msbs: dst=0 src0=0 src1=1 src2=0
	v_mul_i32_i24_e32 v128, v128, v22 /*v278*/
	s_set_vgpr_msb 64                       ;  msbs: dst=1 src0=0 src1=0 src2=0
	v_bfe_i32 v67 /*v323*/, v97, 0, 8
	v_bfe_i32 v22 /*v278*/, v97, 16, 8
	s_set_vgpr_msb 20                       ;  msbs: dst=0 src0=0 src1=1 src2=1
	v_add3_u32 v97, v130, v27 /*v283*/, v15 /*v271*/
	s_set_vgpr_msb 16                       ;  msbs: dst=0 src0=0 src1=0 src2=1
	v_add3_u32 v130, v252, v148, v126 /*v382*/
	v_mul_i32_i24_e32 v143, v246, v143
	s_set_vgpr_msb 4                        ;  msbs: dst=0 src0=0 src1=1 src2=0
	v_mul_i32_i24_e32 v148, v244, v116 /*v372*/
	v_mul_i32_i24_e32 v254, v88, v44 /*v300*/
	s_set_vgpr_msb 0x44                     ;  msbs: dst=1 src0=0 src1=1 src2=0
	v_mul_i32_i24_e32 v2 /*v258*/, v89, v139 /*v395*/
	s_set_vgpr_msb 17                       ;  msbs: dst=0 src0=1 src1=0 src2=1
	v_add3_u32 v121, v31 /*v287*/, v121, v33 /*v289*/
	s_set_vgpr_msb 0x44                     ;  msbs: dst=1 src0=0 src1=1 src2=0
	v_mul_i32_i24_e32 v31 /*v287*/, v88, v114 /*v370*/
	s_set_vgpr_msb 0                        ;  msbs: dst=0 src0=0 src1=0 src2=0
	v_add3_u32 v143, v123, v143, v148
	s_set_vgpr_msb 5                        ;  msbs: dst=0 src0=1 src1=1 src2=0
	v_mul_i32_i24_e32 v123, v102 /*v358*/, v125 /*v381*/
	s_set_vgpr_msb 4                        ;  msbs: dst=0 src0=0 src1=1 src2=0
	v_mul_i32_i24_e32 v148, v131, v66 /*v322*/
	s_set_vgpr_msb 17                       ;  msbs: dst=0 src0=1 src1=0 src2=1
	v_add3_u32 v254, v97 /*v353*/, v254, v2 /*v258*/
	s_set_vgpr_msb 64                       ;  msbs: dst=1 src0=0 src1=0 src2=0
	v_mul_i32_i24_e32 v33 /*v289*/, v89, v251
	v_bfe_u32 v50 /*v306*/, v108, 4, 4
	s_set_vgpr_msb 0x41                     ;  msbs: dst=1 src0=1 src1=0 src2=0
	v_mul_i32_i24_e32 v56 /*v312*/, v101 /*v357*/, v250
	s_set_vgpr_msb 0                        ;  msbs: dst=0 src0=0 src1=0 src2=0
	v_add3_u32 v148, v125, v123, v148
	s_set_vgpr_msb 5                        ;  msbs: dst=0 src0=1 src1=1 src2=0
	v_mul_i32_i24_e32 v123, v102 /*v358*/, v44 /*v300*/
	s_set_vgpr_msb 4                        ;  msbs: dst=0 src0=0 src1=1 src2=0
	v_mul_i32_i24_e32 v125, v131, v139 /*v395*/
	s_set_vgpr_msb 0x55                     ;  msbs: dst=1 src0=1 src1=1 src2=1
	v_add3_u32 v31 /*v287*/, v37 /*v293*/, v31 /*v287*/, v33 /*v289*/
	v_mul_i32_i24_e32 v57 /*v313*/, v103 /*v359*/, v20 /*v276*/
	v_mul_i32_i24_e32 v97 /*v353*/, v101 /*v357*/, v35 /*v291*/
	s_set_vgpr_msb 64                       ;  msbs: dst=1 src0=0 src1=0 src2=0
	v_bfe_i32 v58 /*v314*/, v133, 0, 8
	s_set_vgpr_msb 0                        ;  msbs: dst=0 src0=0 src1=0 src2=0
	v_add3_u32 v127, v127, v123, v125
	s_set_vgpr_msb 5                        ;  msbs: dst=0 src0=1 src1=1 src2=0
	v_mul_i32_i24_e32 v123, v102 /*v358*/, v114 /*v370*/
	s_set_vgpr_msb 0                        ;  msbs: dst=0 src0=0 src1=0 src2=0
	v_mul_i32_i24_e32 v125, v131, v251
	s_set_vgpr_msb 20                       ;  msbs: dst=0 src0=0 src1=1 src2=1
	v_add3_u32 v153, v153, v57 /*v313*/, v56 /*v312*/
	s_set_vgpr_msb 0x45                     ;  msbs: dst=1 src0=1 src1=1 src2=0
	v_mul_i32_i24_e32 v56 /*v312*/, v101 /*v357*/, v45 /*v301*/
	s_set_vgpr_msb 0x41                     ;  msbs: dst=1 src0=1 src1=0 src2=0
	v_mul_i32_i24_e32 v57 /*v313*/, v103 /*v359*/, v236
	s_set_vgpr_msb 0x45                     ;  msbs: dst=1 src0=1 src1=1 src2=0
	v_mul_i32_i24_e32 v101 /*v357*/, v103 /*v359*/, v113 /*v369*/
	s_set_vgpr_msb 0                        ;  msbs: dst=0 src0=0 src1=0 src2=0
	v_add3_u32 v129, v129, v123, v125
	s_set_vgpr_msb 4                        ;  msbs: dst=0 src0=0 src1=1 src2=0
	v_mul_i32_i24_e32 v123, v232, v47 /*v303*/
	s_set_vgpr_msb 5                        ;  msbs: dst=0 src0=1 src1=1 src2=0
	v_mul_i32_i24_e32 v125, v133 /*v389*/, v81 /*v337*/
	s_set_vgpr_msb 0x55                     ;  msbs: dst=1 src0=1 src1=1 src2=1
	v_add3_u32 v28 /*v284*/, v28 /*v284*/, v57 /*v313*/, v56 /*v312*/
	s_set_vgpr_msb 20                       ;  msbs: dst=0 src0=0 src1=1 src2=1
	v_bfe_i32 v133, v133, 16, 8
	v_add3_u32 v144, v144, v101 /*v357*/, v97 /*v353*/
	s_set_vgpr_msb 5                        ;  msbs: dst=0 src0=1 src1=1 src2=0
	v_mul_i32_i24_e32 v132, v58 /*v314*/, v125 /*v381*/
	s_set_vgpr_msb 0                        ;  msbs: dst=0 src0=0 src1=0 src2=0
	v_add3_u32 v244, v254, v125, v123
	s_set_vgpr_msb 4                        ;  msbs: dst=0 src0=0 src1=1 src2=0
	v_mul_i32_i24_e32 v123, v235, v44 /*v300*/
	v_mul_i32_i24_e32 v125, v234, v45 /*v301*/
	;; [unrolled: 1-line block ×3, first 2 shown]
	s_set_vgpr_msb 64                       ;  msbs: dst=1 src0=0 src1=0 src2=0
	v_bfe_i32 v122 /*v378*/, v135, 0, 8
	s_set_vgpr_msb 0                        ;  msbs: dst=0 src0=0 src1=0 src2=0
	v_bfe_i32 v135, v135, 16, 8
	s_set_vgpr_msb 64                       ;  msbs: dst=1 src0=0 src1=0 src2=0
	v_bfe_i32 v123 /*v379*/, v137, 0, 8
	v_add3_u32 v27 /*v283*/, v121, v125, v123
	s_set_vgpr_msb 0                        ;  msbs: dst=0 src0=0 src1=0 src2=0
	v_mul_i32_i24_e32 v121, v232, v253
	s_set_vgpr_msb 5                        ;  msbs: dst=0 src0=1 src1=1 src2=0
	v_mul_i32_i24_e32 v123, v133 /*v389*/, v117 /*v373*/
	s_set_vgpr_msb 1                        ;  msbs: dst=0 src0=1 src1=0 src2=0
	v_add3_u32 v132, v16 /*v272*/, v132, v141
	s_set_vgpr_msb 5                        ;  msbs: dst=0 src0=1 src1=1 src2=0
	v_mul_i32_i24_e32 v141, v58 /*v314*/, v44 /*v300*/
	s_set_vgpr_msb 0x44                     ;  msbs: dst=1 src0=0 src1=1 src2=0
	v_mul_i32_i24_e32 v16 /*v272*/, v133, v139 /*v395*/
	s_set_vgpr_msb 5                        ;  msbs: dst=0 src0=1 src1=1 src2=0
	v_mul_i32_i24_e32 v134, v122 /*v378*/, v125 /*v381*/
	s_set_vgpr_msb 0x41                     ;  msbs: dst=1 src0=1 src1=0 src2=0
	v_add3_u32 v31 /*v287*/, v31 /*v287*/, v123, v121
	s_set_vgpr_msb 4                        ;  msbs: dst=0 src0=0 src1=1 src2=0
	v_mul_i32_i24_e32 v121, v235, v114 /*v370*/
	v_mul_i32_i24_e32 v123, v234, v35 /*v291*/
	s_set_vgpr_msb 17                       ;  msbs: dst=0 src0=1 src1=0 src2=1
	v_add3_u32 v141, v46 /*v302*/, v141, v16 /*v272*/
	s_set_vgpr_msb 0x45                     ;  msbs: dst=1 src0=1 src1=1 src2=0
	v_mul_i32_i24_e32 v16 /*v272*/, v58 /*v314*/, v114 /*v370*/
	s_set_vgpr_msb 64                       ;  msbs: dst=1 src0=0 src1=0 src2=0
	v_mul_i32_i24_e32 v46 /*v302*/, v133, v251
	s_set_vgpr_msb 0x44                     ;  msbs: dst=1 src0=0 src1=1 src2=0
	v_mul_i32_i24_e32 v1 /*v257*/, v135, v66 /*v322*/
	s_set_vgpr_msb 0                        ;  msbs: dst=0 src0=0 src1=0 src2=0
	v_add3_u32 v147, v147, v123, v121
	s_set_vgpr_msb 4                        ;  msbs: dst=0 src0=0 src1=1 src2=0
	v_mul_i32_i24_e32 v121, v232, v50 /*v306*/
	s_set_vgpr_msb 5                        ;  msbs: dst=0 src0=1 src1=1 src2=0
	v_mul_i32_i24_e32 v123, v133 /*v389*/, v52 /*v308*/
	s_set_vgpr_msb 0x55                     ;  msbs: dst=1 src0=1 src1=1 src2=1
	v_add3_u32 v16 /*v272*/, v49 /*v305*/, v16 /*v272*/, v46 /*v302*/
	s_set_vgpr_msb 17                       ;  msbs: dst=0 src0=1 src1=0 src2=1
	v_add3_u32 v134, v72 /*v328*/, v134, v1 /*v257*/
	s_set_vgpr_msb 0x45                     ;  msbs: dst=1 src0=1 src1=1 src2=0
	v_mul_i32_i24_e32 v1 /*v257*/, v122 /*v378*/, v44 /*v300*/
	s_set_vgpr_msb 0x44                     ;  msbs: dst=1 src0=0 src1=1 src2=0
	v_mul_i32_i24_e32 v72 /*v328*/, v135, v139 /*v395*/
	s_set_vgpr_msb 0x41                     ;  msbs: dst=1 src0=1 src1=0 src2=0
	v_add3_u32 v35 /*v291*/, v43 /*v299*/, v123, v121
	s_set_vgpr_msb 1                        ;  msbs: dst=0 src0=1 src1=0 src2=0
	v_mul_i32_i24_e32 v121, v59 /*v315*/, v85
	v_mul_i32_i24_e32 v123, v62 /*v318*/, v93
	s_set_vgpr_msb 0                        ;  msbs: dst=0 src0=0 src1=0 src2=0
	v_bfe_i32 v137, v137, 16, 8
	s_set_vgpr_msb 0x55                     ;  msbs: dst=1 src0=1 src1=1 src2=1
	v_add3_u32 v1 /*v257*/, v78 /*v334*/, v1 /*v257*/, v72 /*v328*/
	v_mul_i32_i24_e32 v72 /*v328*/, v122 /*v378*/, v114 /*v370*/
	s_set_vgpr_msb 64                       ;  msbs: dst=1 src0=0 src1=0 src2=0
	v_mul_i32_i24_e32 v78 /*v334*/, v135, v251
	s_set_vgpr_msb 0                        ;  msbs: dst=0 src0=0 src1=0 src2=0
	v_add3_u32 v151, v151, v123, v121
	s_set_vgpr_msb 5                        ;  msbs: dst=0 src0=1 src1=1 src2=0
	v_mul_i32_i24_e32 v121, v100 /*v356*/, v125 /*v381*/
	v_mul_i32_i24_e32 v123, v89 /*v345*/, v66 /*v322*/
	s_set_vgpr_msb 4                        ;  msbs: dst=0 src0=0 src1=1 src2=0
	v_add3_u32 v126, v136, v54 /*v310*/, v126
	s_set_vgpr_msb 0x55                     ;  msbs: dst=1 src0=1 src1=1 src2=1
	v_add3_u32 v72 /*v328*/, v79 /*v335*/, v72 /*v328*/, v78 /*v334*/
	s_set_vgpr_msb 5                        ;  msbs: dst=0 src0=1 src1=1 src2=0
	v_mul_i32_i24_e32 v136, v123 /*v379*/, v125 /*v381*/
	s_set_vgpr_msb 0x44                     ;  msbs: dst=1 src0=0 src1=1 src2=0
	v_mul_i32_i24_e32 v54 /*v310*/, v137, v66 /*v322*/
	s_set_vgpr_msb 0                        ;  msbs: dst=0 src0=0 src1=0 src2=0
	v_add3_u32 v153, v153, v121, v123
	s_set_vgpr_msb 5                        ;  msbs: dst=0 src0=1 src1=1 src2=0
	v_mul_i32_i24_e32 v121, v100 /*v356*/, v44 /*v300*/
	v_mul_i32_i24_e32 v123, v89 /*v345*/, v139 /*v395*/
	s_set_vgpr_msb 64                       ;  msbs: dst=1 src0=0 src1=0 src2=0
	v_mul_i32_i24_e32 v3 /*v259*/, v234, v85
	s_set_vgpr_msb 17                       ;  msbs: dst=0 src0=1 src1=0 src2=1
	v_add3_u32 v136, v84 /*v340*/, v136, v54 /*v310*/
	s_set_vgpr_msb 0x45                     ;  msbs: dst=1 src0=1 src1=1 src2=0
	v_mul_i32_i24_e32 v54 /*v310*/, v123 /*v379*/, v44 /*v300*/
	s_set_vgpr_msb 0x44                     ;  msbs: dst=1 src0=0 src1=1 src2=0
	v_mul_i32_i24_e32 v84 /*v340*/, v137, v139 /*v395*/
	s_set_vgpr_msb 0x41                     ;  msbs: dst=1 src0=1 src1=0 src2=0
	v_add3_u32 v28 /*v284*/, v28 /*v284*/, v121, v123
	s_set_vgpr_msb 5                        ;  msbs: dst=0 src0=1 src1=1 src2=0
	v_mul_i32_i24_e32 v121, v100 /*v356*/, v114 /*v370*/
	s_set_vgpr_msb 1                        ;  msbs: dst=0 src0=1 src1=0 src2=0
	v_mul_i32_i24_e32 v123, v89 /*v345*/, v251
	s_set_vgpr_msb 64                       ;  msbs: dst=1 src0=0 src1=0 src2=0
	v_mul_i32_i24_e32 v2 /*v258*/, v226, v93
	s_set_vgpr_msb 0x55                     ;  msbs: dst=1 src0=1 src1=1 src2=1
	v_add3_u32 v54 /*v310*/, v64 /*v320*/, v54 /*v310*/, v84 /*v340*/
	v_mul_i32_i24_e32 v64 /*v320*/, v123 /*v379*/, v114 /*v370*/
	s_set_vgpr_msb 64                       ;  msbs: dst=1 src0=0 src1=0 src2=0
	v_mul_i32_i24_e32 v84 /*v340*/, v137, v251
	s_set_vgpr_msb 0                        ;  msbs: dst=0 src0=0 src1=0 src2=0
	v_add3_u32 v144, v144, v121, v123
	s_set_vgpr_msb 1                        ;  msbs: dst=0 src0=1 src1=0 src2=0
	v_mul_i32_i24_e32 v121, v23 /*v279*/, v85
	v_mul_i32_i24_e32 v123, v93 /*v349*/, v93
	s_set_vgpr_msb 64                       ;  msbs: dst=1 src0=0 src1=0 src2=0
	v_mul_i32_i24_e32 v26 /*v282*/, v235, v94
	s_set_vgpr_msb 0x55                     ;  msbs: dst=1 src0=1 src1=1 src2=1
	v_add3_u32 v64 /*v320*/, v86 /*v342*/, v64 /*v320*/, v84 /*v340*/
	s_set_vgpr_msb 64                       ;  msbs: dst=1 src0=0 src1=0 src2=0
	v_ashrrev_i32_e32 v86 /*v342*/, 24, v99
	v_bfe_u32 v7 /*v263*/, v108, 12, 4
	v_add3_u32 v23 /*v279*/, v122, v123, v121
	s_set_vgpr_msb 5                        ;  msbs: dst=0 src0=1 src1=1 src2=0
	v_mul_i32_i24_e32 v121, v80 /*v336*/, v50 /*v306*/
	v_mul_i32_i24_e32 v122, v82 /*v338*/, v52 /*v308*/
	s_set_vgpr_msb 0                        ;  msbs: dst=0 src0=0 src1=0 src2=0
	v_bfe_u32 v108, v108, 20, 4
	s_set_vgpr_msb 64                       ;  msbs: dst=1 src0=0 src1=0 src2=0
	v_bfe_i32 v124 /*v380*/, v139, 0, 8
	s_set_vgpr_msb 5                        ;  msbs: dst=0 src0=1 src1=1 src2=0
	v_add3_u32 v128, v87 /*v343*/, v83 /*v339*/, v128
	s_set_vgpr_msb 64                       ;  msbs: dst=1 src0=0 src1=0 src2=0
	v_ashrrev_i32_e32 v100 /*v356*/, 24, v117
	s_set_vgpr_msb 0                        ;  msbs: dst=0 src0=0 src1=0 src2=0
	v_add3_u32 v132, v132, v122, v121
	s_set_vgpr_msb 5                        ;  msbs: dst=0 src0=1 src1=1 src2=0
	v_mul_i32_i24_e32 v121, v80 /*v336*/, v47 /*v303*/
	v_mul_i32_i24_e32 v122, v82 /*v338*/, v81 /*v337*/
	s_set_vgpr_msb 0x45                     ;  msbs: dst=1 src0=1 src1=1 src2=0
	v_mul_i32_i24_e32 v83 /*v339*/, v124 /*v380*/, v125 /*v381*/
	s_set_vgpr_msb 0                        ;  msbs: dst=0 src0=0 src1=0 src2=0
	v_bfe_i32 v139, v139, 16, 8
	s_set_vgpr_msb 64                       ;  msbs: dst=1 src0=0 src1=0 src2=0
	v_dual_ashrrev_i32 v104 /*v360*/, 24, v113 :: v_dual_ashrrev_i32 v101 /*v357*/, 24, v103
	s_set_vgpr_msb 0                        ;  msbs: dst=0 src0=0 src1=0 src2=0
	v_add3_u32 v141, v141, v122, v121
	s_set_vgpr_msb 1                        ;  msbs: dst=0 src0=1 src1=0 src2=0
	v_mul_i32_i24_e32 v121, v80 /*v336*/, v253
	s_set_vgpr_msb 5                        ;  msbs: dst=0 src0=1 src1=1 src2=0
	v_mul_i32_i24_e32 v122, v82 /*v338*/, v117 /*v373*/
	s_set_vgpr_msb 0x44                     ;  msbs: dst=1 src0=0 src1=1 src2=0
	v_mul_i32_i24_e32 v87 /*v343*/, v139, v66 /*v322*/
	s_set_vgpr_msb 20                       ;  msbs: dst=0 src0=0 src1=1 src2=1
	v_add3_u32 v130, v130, v3 /*v259*/, v26 /*v282*/
	s_set_vgpr_msb 64                       ;  msbs: dst=1 src0=0 src1=0 src2=0
	v_mul_i32_i24_e32 v65 /*v321*/, v225, v95
	v_bfe_u32 v33 /*v289*/, v109, 8, 4
	s_set_vgpr_msb 0x41                     ;  msbs: dst=1 src0=1 src1=0 src2=0
	v_add3_u32 v16 /*v272*/, v16 /*v272*/, v122, v121
	s_set_vgpr_msb 1                        ;  msbs: dst=0 src0=1 src1=0 src2=0
	v_mul_i32_i24_e32 v121, v4 /*v260*/, v85
	v_mul_i32_i24_e32 v122, v95 /*v351*/, v93
	s_set_vgpr_msb 20                       ;  msbs: dst=0 src0=0 src1=1 src2=1
	v_add3_u32 v138, v138, v83 /*v339*/, v87 /*v343*/
	s_set_vgpr_msb 0x45                     ;  msbs: dst=1 src0=1 src1=1 src2=0
	v_mul_i32_i24_e32 v83 /*v339*/, v124 /*v380*/, v44 /*v300*/
	s_set_vgpr_msb 0x44                     ;  msbs: dst=1 src0=0 src1=1 src2=0
	v_mul_i32_i24_e32 v87 /*v343*/, v139, v139 /*v395*/
	v_bfe_u32 v37 /*v293*/, v109, 24, 4
	s_set_vgpr_msb 64                       ;  msbs: dst=1 src0=0 src1=0 src2=0
	v_add3_u32 v4 /*v260*/, v124, v122, v121
	s_set_vgpr_msb 5                        ;  msbs: dst=0 src0=1 src1=1 src2=0
	v_mul_i32_i24_e32 v121, v98 /*v354*/, v50 /*v306*/
	v_mul_i32_i24_e32 v122, v110 /*v366*/, v52 /*v308*/
	s_set_vgpr_msb 0x55                     ;  msbs: dst=1 src0=1 src1=1 src2=1
	v_add3_u32 v83 /*v339*/, v91 /*v347*/, v83 /*v339*/, v87 /*v343*/
	s_set_vgpr_msb 64                       ;  msbs: dst=1 src0=0 src1=0 src2=0
	v_mul_i32_i24_e32 v91 /*v347*/, v139, v251
	s_set_vgpr_msb 0x45                     ;  msbs: dst=1 src0=1 src1=1 src2=0
	v_mul_i32_i24_e32 v87 /*v343*/, v124 /*v380*/, v114 /*v370*/
	s_set_vgpr_msb 0x54                     ;  msbs: dst=1 src0=0 src1=1 src2=1
	v_add3_u32 v2 /*v258*/, v130, v65 /*v321*/, v2 /*v258*/
	s_set_vgpr_msb 0                        ;  msbs: dst=0 src0=0 src1=0 src2=0
	v_add3_u32 v134, v134, v122, v121
	s_set_vgpr_msb 5                        ;  msbs: dst=0 src0=1 src1=1 src2=0
	v_mul_i32_i24_e32 v121, v98 /*v354*/, v47 /*v303*/
	v_mul_i32_i24_e32 v122, v110 /*v366*/, v81 /*v337*/
	s_set_vgpr_msb 0x55                     ;  msbs: dst=1 src0=1 src1=1 src2=1
	v_add3_u32 v87 /*v343*/, v88 /*v344*/, v87 /*v343*/, v91 /*v347*/
	s_set_vgpr_msb 1                        ;  msbs: dst=0 src0=1 src1=0 src2=0
	v_mul_i32_i24_e32 v130, v39 /*v295*/, v108
	s_set_vgpr_msb 64                       ;  msbs: dst=1 src0=0 src1=0 src2=0
	v_ashrrev_i32_e32 v62 /*v318*/, 24, v107
	v_bfe_i32 v56 /*v312*/, v105, 8, 8
	s_set_vgpr_msb 0x41                     ;  msbs: dst=1 src0=1 src1=0 src2=0
	v_add3_u32 v1 /*v257*/, v1 /*v257*/, v122, v121
	s_set_vgpr_msb 1                        ;  msbs: dst=0 src0=1 src1=0 src2=0
	v_mul_i32_i24_e32 v121, v98 /*v354*/, v253
	s_set_vgpr_msb 5                        ;  msbs: dst=0 src0=1 src1=1 src2=0
	v_mul_i32_i24_e32 v122, v110 /*v366*/, v117 /*v373*/
	s_set_vgpr_msb 64                       ;  msbs: dst=1 src0=0 src1=0 src2=0
	v_ashrrev_i32_e32 v57 /*v313*/, 24, v105
	s_set_vgpr_msb 1                        ;  msbs: dst=0 src0=1 src1=0 src2=0
	v_cvt_f32_f16_e64 v83, v11 /*v267*/
	s_set_vgpr_msb 0x44                     ;  msbs: dst=1 src0=0 src1=1 src2=0
	v_lshrrev_b32_e32 v11 /*v267*/, 16, v11 /*v267*/
	v_bfe_i32 v97 /*v353*/, v103, 8, 8
	s_set_vgpr_msb 0x41                     ;  msbs: dst=1 src0=1 src1=0 src2=0
	v_add3_u32 v72 /*v328*/, v72 /*v328*/, v122, v121
	s_set_vgpr_msb 1                        ;  msbs: dst=0 src0=1 src1=0 src2=0
	v_mul_i32_i24_e32 v121, v6 /*v262*/, v85
	v_mul_i32_i24_e32 v122, v96 /*v352*/, v93
	s_set_vgpr_msb 64                       ;  msbs: dst=1 src0=0 src1=0 src2=0
	v_ashrrev_i32_e32 v96 /*v352*/, 24, v115
	v_bfe_i32 v46 /*v302*/, v101, 8, 8
	v_ashrrev_i32_e32 v49 /*v305*/, 24, v101
	v_mul_i32_i24_e32 v78 /*v334*/, v218, v223
	v_add3_u32 v6 /*v262*/, v126, v122, v121
	s_set_vgpr_msb 5                        ;  msbs: dst=0 src0=1 src1=1 src2=0
	v_mul_i32_i24_e32 v121, v111 /*v367*/, v50 /*v306*/
	v_mul_i32_i24_e32 v122, v112 /*v368*/, v52 /*v308*/
	s_set_vgpr_msb 64                       ;  msbs: dst=1 src0=0 src1=0 src2=0
	v_bfe_i32 v84 /*v340*/, v99, 8, 8
	s_set_vgpr_msb 0                        ;  msbs: dst=0 src0=0 src1=0 src2=0
	v_mul_i32_i24_e32 v254, v216, v224
	s_set_vgpr_msb 1                        ;  msbs: dst=0 src0=1 src1=0 src2=0
	v_cvt_f32_f16_e64 v82, v14 /*v270*/
	s_set_vgpr_msb 0x44                     ;  msbs: dst=1 src0=0 src1=1 src2=0
	v_lshrrev_b32_e32 v14 /*v270*/, 16, v14 /*v270*/
	s_set_vgpr_msb 0                        ;  msbs: dst=0 src0=0 src1=0 src2=0
	v_add3_u32 v136, v136, v122, v121
	s_set_vgpr_msb 5                        ;  msbs: dst=0 src0=1 src1=1 src2=0
	v_mul_i32_i24_e32 v121, v111 /*v367*/, v47 /*v303*/
	v_mul_i32_i24_e32 v122, v112 /*v368*/, v81 /*v337*/
	s_set_vgpr_msb 64                       ;  msbs: dst=1 src0=0 src1=0 src2=0
	v_mul_i32_i24_e32 v79 /*v335*/, v220, v222
	v_dual_lshrrev_b32 v103 /*v359*/, 28, v109 :: v_dual_bitop2_b32 v88 /*v344*/, 15, v109 bitop3:0x40
	v_bfe_u32 v91 /*v347*/, v109, 16, 4
	s_set_vgpr_msb 0x41                     ;  msbs: dst=1 src0=1 src1=0 src2=0
	v_add3_u32 v54 /*v310*/, v54 /*v310*/, v122, v121
	s_set_vgpr_msb 1                        ;  msbs: dst=0 src0=1 src1=0 src2=0
	v_mul_i32_i24_e32 v121, v111 /*v367*/, v253
	s_set_vgpr_msb 5                        ;  msbs: dst=0 src0=1 src1=1 src2=0
	v_mul_i32_i24_e32 v122, v112 /*v368*/, v117 /*v373*/
	s_set_vgpr_msb 64                       ;  msbs: dst=1 src0=0 src1=0 src2=0
	v_bfe_i32 v15 /*v271*/, v105, 0, 8
	s_set_vgpr_msb 0                        ;  msbs: dst=0 src0=0 src1=0 src2=0
	v_bfe_i32 v105, v105, 16, 8
	v_bfe_i32 v252, v103, 0, 8
	;; [unrolled: 1-line block ×3, first 2 shown]
	s_set_vgpr_msb 0x41                     ;  msbs: dst=1 src0=1 src1=0 src2=0
	v_add3_u32 v64 /*v320*/, v64 /*v320*/, v122, v121
	s_set_vgpr_msb 1                        ;  msbs: dst=0 src0=1 src1=0 src2=0
	v_mul_i32_i24_e32 v121, v109 /*v365*/, v85
	v_mul_i32_i24_e32 v122, v40 /*v296*/, v93
	;; [unrolled: 1-line block ×4, first 2 shown]
	s_set_vgpr_msb 0                        ;  msbs: dst=0 src0=0 src1=0 src2=0
	v_bfe_i32 v246, v101, 0, 8
	v_bfe_i32 v101, v101, 16, 8
	v_add3_u32 v128, v128, v122, v121
	s_set_vgpr_msb 5                        ;  msbs: dst=0 src0=1 src1=1 src2=0
	v_mul_i32_i24_e32 v121, v108 /*v364*/, v50 /*v306*/
	s_set_vgpr_msb 0                        ;  msbs: dst=0 src0=0 src1=0 src2=0
	v_add3_u32 v97, v97, v93, v85
	s_set_vgpr_msb 4                        ;  msbs: dst=0 src0=0 src1=1 src2=0
	v_mul_i32_i24_e32 v85, v235, v125 /*v381*/
	s_set_vgpr_msb 0                        ;  msbs: dst=0 src0=0 src1=0 src2=0
	v_mul_i32_i24_e32 v93, v234, v250
	s_set_vgpr_msb 64                       ;  msbs: dst=1 src0=0 src1=0 src2=0
	v_ashrrev_i32_e32 v125 /*v381*/, 24, v96
	s_set_vgpr_msb 5                        ;  msbs: dst=0 src0=1 src1=1 src2=0
	v_mul_i32_i24_e32 v122, v25 /*v281*/, v52 /*v308*/
	s_set_vgpr_msb 64                       ;  msbs: dst=1 src0=0 src1=0 src2=0
	v_bfe_i32 v43 /*v299*/, v99, 0, 8
	s_set_vgpr_msb 0                        ;  msbs: dst=0 src0=0 src1=0 src2=0
	v_bfe_i32 v99, v99, 16, 8
	v_add3_u32 v143, v143, v93, v85
	s_set_vgpr_msb 5                        ;  msbs: dst=0 src0=1 src1=1 src2=0
	v_mul_i32_i24_e32 v85, v115 /*v371*/, v50 /*v306*/
	v_mul_i32_i24_e32 v93, v143 /*v399*/, v52 /*v308*/
	s_set_vgpr_msb 0                        ;  msbs: dst=0 src0=0 src1=0 src2=0
	v_add3_u32 v138, v138, v122, v121
	s_set_vgpr_msb 5                        ;  msbs: dst=0 src0=1 src1=1 src2=0
	v_mul_i32_i24_e32 v121, v108 /*v364*/, v47 /*v303*/
	v_mul_i32_i24_e32 v122, v25 /*v281*/, v81 /*v337*/
	s_set_vgpr_msb 64                       ;  msbs: dst=1 src0=0 src1=0 src2=0
	v_mul_i32_i24_e32 v45 /*v301*/, v215, v217
	s_set_vgpr_msb 0                        ;  msbs: dst=0 src0=0 src1=0 src2=0
	v_add3_u32 v148, v148, v93, v85
	s_set_vgpr_msb 5                        ;  msbs: dst=0 src0=1 src1=1 src2=0
	v_mul_i32_i24_e32 v85, v115 /*v371*/, v47 /*v303*/
	v_mul_i32_i24_e32 v93, v143 /*v399*/, v81 /*v337*/
	s_set_vgpr_msb 0x41                     ;  msbs: dst=1 src0=1 src1=0 src2=0
	v_add3_u32 v40 /*v296*/, v83 /*v339*/, v122, v121
	s_set_vgpr_msb 1                        ;  msbs: dst=0 src0=1 src1=0 src2=0
	v_mul_i32_i24_e32 v121, v108 /*v364*/, v253
	s_set_vgpr_msb 5                        ;  msbs: dst=0 src0=1 src1=1 src2=0
	v_mul_i32_i24_e32 v122, v25 /*v281*/, v117 /*v373*/
	s_set_vgpr_msb 64                       ;  msbs: dst=1 src0=0 src1=0 src2=0
	v_bfe_u32 v59 /*v315*/, v109, 4, 4
	s_set_vgpr_msb 0                        ;  msbs: dst=0 src0=0 src1=0 src2=0
	v_add3_u32 v127, v127, v93, v85
	s_set_vgpr_msb 1                        ;  msbs: dst=0 src0=1 src1=0 src2=0
	v_mul_i32_i24_e32 v85, v115 /*v371*/, v253
	s_set_vgpr_msb 5                        ;  msbs: dst=0 src0=1 src1=1 src2=0
	v_mul_i32_i24_e32 v93, v143 /*v399*/, v117 /*v373*/
	s_set_vgpr_msb 0x41                     ;  msbs: dst=1 src0=1 src1=0 src2=0
	v_add3_u32 v83 /*v339*/, v87 /*v343*/, v122, v121
	v_ashrrev_i32_e32 v87 /*v343*/, 24, v111
	s_set_vgpr_msb 64                       ;  msbs: dst=1 src0=0 src1=0 src2=0
	v_bfe_i32 v44 /*v300*/, v107, 0, 8
	v_bfe_i32 v89 /*v345*/, v117, 0, 8
	s_set_vgpr_msb 0                        ;  msbs: dst=0 src0=0 src1=0 src2=0
	v_add3_u32 v129, v129, v93, v85
	s_set_vgpr_msb 4                        ;  msbs: dst=0 src0=0 src1=1 src2=0
	v_mul_i32_i24_e32 v85, v239, v75 /*v331*/
	v_mul_i32_i24_e32 v93, v241, v85 /*v341*/
	s_set_vgpr_msb 64                       ;  msbs: dst=1 src0=0 src1=0 src2=0
	v_bfe_i32 v93 /*v349*/, v113, 0, 8
	v_bfe_i32 v95 /*v351*/, v115, 0, 8
	v_mul_i32_i24_e32 v26 /*v282*/, v238, v237
	s_set_vgpr_msb 0x41                     ;  msbs: dst=1 src0=1 src1=0 src2=0
	v_mul_i32_i24_e32 v65 /*v321*/, v141 /*v397*/, v222
	s_set_vgpr_msb 0                        ;  msbs: dst=0 src0=0 src1=0 src2=0
	v_add3_u32 v234, v244, v85, v93
	v_mul_i32_i24_e32 v85, v226, v236
	s_set_vgpr_msb 4                        ;  msbs: dst=0 src0=0 src1=1 src2=0
	v_mul_i32_i24_e32 v93, v225, v139 /*v395*/
	s_set_vgpr_msb 64                       ;  msbs: dst=1 src0=0 src1=0 src2=0
	v_mul_i32_i24_e32 v106 /*v362*/, v213, v210
	v_bfe_i32 v114 /*v370*/, v111, 0, 8
	v_bfe_i32 v126 /*v382*/, v117, 8, 8
	s_set_vgpr_msb 0                        ;  msbs: dst=0 src0=0 src1=0 src2=0
	v_bfe_i32 v117, v117, 16, 8
	s_set_vgpr_msb 1                        ;  msbs: dst=0 src0=1 src1=0 src2=0
	v_add3_u32 v235, v27 /*v283*/, v93, v85
	s_set_vgpr_msb 4                        ;  msbs: dst=0 src0=0 src1=1 src2=0
	v_mul_i32_i24_e32 v85, v239, v121 /*v377*/
	s_set_vgpr_msb 0                        ;  msbs: dst=0 src0=0 src1=0 src2=0
	v_mul_i32_i24_e32 v93, v241, v140
	s_set_vgpr_msb 64                       ;  msbs: dst=1 src0=0 src1=0 src2=0
	v_mul_i32_i24_e32 v27 /*v283*/, v240, v249
	v_bfe_i32 v129 /*v385*/, v113, 8, 8
	s_set_vgpr_msb 0                        ;  msbs: dst=0 src0=0 src1=0 src2=0
	v_bfe_i32 v113, v113, 16, 8
	s_set_vgpr_msb 64                       ;  msbs: dst=1 src0=0 src1=0 src2=0
	v_bfe_u32 v109 /*v365*/, v109, 12, 4
	s_set_vgpr_msb 1                        ;  msbs: dst=0 src0=1 src1=0 src2=0
	v_add3_u32 v236, v31 /*v287*/, v85, v93
	s_set_vgpr_msb 4                        ;  msbs: dst=0 src0=0 src1=1 src2=0
	v_mul_i32_i24_e32 v85, v226, v113 /*v369*/
	s_set_vgpr_msb 0                        ;  msbs: dst=0 src0=0 src1=0 src2=0
	v_mul_i32_i24_e32 v93, v225, v251
	s_set_vgpr_msb 0x44                     ;  msbs: dst=1 src0=0 src1=1 src2=0
	v_mul_i32_i24_e32 v31 /*v287*/, v216, v117 /*v373*/
	s_set_vgpr_msb 0                        ;  msbs: dst=0 src0=0 src1=0 src2=0
	v_bfe_u32 v109, v109, 20, 4
	v_bfe_i32 v107, v107, 16, 8
	s_set_vgpr_msb 64                       ;  msbs: dst=1 src0=0 src1=0 src2=0
	v_mul_i32_i24_e32 v116 /*v372*/, v214, v207
	s_set_vgpr_msb 0                        ;  msbs: dst=0 src0=0 src1=0 src2=0
	v_add3_u32 v147, v147, v93, v85
	s_set_vgpr_msb 4                        ;  msbs: dst=0 src0=0 src1=1 src2=0
	v_mul_i32_i24_e32 v85, v239, v7 /*v263*/
	s_set_vgpr_msb 0                        ;  msbs: dst=0 src0=0 src1=0 src2=0
	v_mul_i32_i24_e32 v93, v241, v108
	v_mul_i32_i24_e32 v239, v239, v222
	;; [unrolled: 1-line block ×3, first 2 shown]
	s_set_vgpr_msb 64                       ;  msbs: dst=1 src0=0 src1=0 src2=0
	v_mul_i32_i24_e32 v190 /*v446*/, v105, v208
	s_set_vgpr_msb 0                        ;  msbs: dst=0 src0=0 src1=0 src2=0
	v_bfe_i32 v111, v111, 16, 8
	s_set_vgpr_msb 1                        ;  msbs: dst=0 src0=1 src1=0 src2=0
	v_add3_u32 v244, v35 /*v291*/, v85, v93
	s_set_vgpr_msb 0                        ;  msbs: dst=0 src0=0 src1=0 src2=0
	v_mul_i32_i24_e32 v85, v88, v94
	v_mul_i32_i24_e32 v88, v89, v95
	;; [unrolled: 1-line block ×4, first 2 shown]
	s_set_vgpr_msb 4                        ;  msbs: dst=0 src0=0 src1=1 src2=0
	v_mul_i32_i24_e32 v133, v226, v20 /*v276*/
	s_set_vgpr_msb 0                        ;  msbs: dst=0 src0=0 src1=0 src2=0
	v_mul_i32_i24_e32 v226, v149, v247
	v_add3_u32 v151, v151, v85, v88
	s_set_vgpr_msb 5                        ;  msbs: dst=0 src0=1 src1=1 src2=0
	v_mul_i32_i24_e32 v85, v24 /*v280*/, v50 /*v306*/
	v_mul_i32_i24_e32 v88, v0 /*v256*/, v52 /*v308*/
	s_set_vgpr_msb 64                       ;  msbs: dst=1 src0=0 src1=0 src2=0
	v_mul_i32_i24_e32 v20 /*v276*/, v214, v242
	s_set_vgpr_msb 0                        ;  msbs: dst=0 src0=0 src1=0 src2=0
	v_bfe_i32 v115, v115, 16, 8
	v_mul_i32_i24_e32 v123, v211, v209
	v_mul_i32_i24_e32 v125, v212, v208
	v_add3_u32 v153, v153, v88, v85
	s_set_vgpr_msb 5                        ;  msbs: dst=0 src0=1 src1=1 src2=0
	v_mul_i32_i24_e32 v85, v24 /*v280*/, v47 /*v303*/
	v_mul_i32_i24_e32 v88, v0 /*v256*/, v81 /*v337*/
	;; [unrolled: 1-line block ×4, first 2 shown]
	s_set_vgpr_msb 0x41                     ;  msbs: dst=1 src0=1 src1=0 src2=0
	v_mul_i32_i24_e32 v179 /*v435*/, v114 /*v370*/, v237
	v_mul_i32_i24_e32 v180 /*v436*/, v87 /*v343*/, v249
	s_set_vgpr_msb 1                        ;  msbs: dst=0 src0=1 src1=0 src2=0
	v_add3_u32 v250, v28 /*v284*/, v88, v85
	v_mul_i32_i24_e32 v85, v24 /*v280*/, v253
	s_set_vgpr_msb 5                        ;  msbs: dst=0 src0=1 src1=1 src2=0
	v_mul_i32_i24_e32 v88, v0 /*v256*/, v117 /*v373*/
	s_set_vgpr_msb 0x41                     ;  msbs: dst=1 src0=1 src1=0 src2=0
	v_mul_i32_i24_e32 v28 /*v284*/, v56 /*v312*/, v245
	s_set_vgpr_msb 0x45                     ;  msbs: dst=1 src0=1 src1=1 src2=0
	v_mul_i32_i24_e32 v117 /*v373*/, v104 /*v360*/, v103 /*v359*/
	v_mul_i32_i24_e32 v181 /*v437*/, v95 /*v351*/, v132 /*v388*/
	;; [unrolled: 1-line block ×3, first 2 shown]
	s_set_vgpr_msb 0                        ;  msbs: dst=0 src0=0 src1=0 src2=0
	v_add3_u32 v96, v144, v88, v85
	s_set_vgpr_msb 1                        ;  msbs: dst=0 src0=1 src1=0 src2=0
	v_mul_i32_i24_e32 v88, v58 /*v314*/, v94
	s_set_vgpr_msb 0                        ;  msbs: dst=0 src0=0 src1=0 src2=0
	v_cvt_f32_f16_e32 v85, v84
	v_cvt_f32_f16_e64 v84, v233
	s_set_vgpr_msb 0x44                     ;  msbs: dst=1 src0=0 src1=1 src2=0
	v_mul_i32_i24_e32 v58 /*v314*/, v238, v132 /*v388*/
	s_set_vgpr_msb 0x45                     ;  msbs: dst=1 src0=1 src1=1 src2=0
	v_mul_i32_i24_e32 v184 /*v440*/, v87 /*v343*/, v51 /*v307*/
	s_set_vgpr_msb 1                        ;  msbs: dst=0 src0=1 src1=0 src2=0
	v_add3_u32 v144, v23 /*v279*/, v88, v89
	s_set_vgpr_msb 5                        ;  msbs: dst=0 src0=1 src1=1 src2=0
	v_mul_i32_i24_e32 v88, v118 /*v374*/, v7 /*v263*/
	s_set_vgpr_msb 1                        ;  msbs: dst=0 src0=1 src1=0 src2=0
	v_mul_i32_i24_e32 v89, v135 /*v391*/, v108
	s_set_vgpr_msb 64                       ;  msbs: dst=1 src0=0 src1=0 src2=0
	v_mul_i32_i24_e32 v23 /*v279*/, v213, v245
	s_set_vgpr_msb 0x41                     ;  msbs: dst=1 src0=1 src1=0 src2=0
	v_mul_i32_i24_e32 v187 /*v443*/, v67 /*v323*/, v207
	v_mul_i32_i24_e32 v188 /*v444*/, v22 /*v278*/, v208
	;; [unrolled: 1-line block ×3, first 2 shown]
	s_set_vgpr_msb 0                        ;  msbs: dst=0 src0=0 src1=0 src2=0
	v_add3_u32 v132, v132, v88, v89
	s_set_vgpr_msb 5                        ;  msbs: dst=0 src0=1 src1=1 src2=0
	v_mul_i32_i24_e32 v88, v118 /*v374*/, v75 /*v331*/
	v_mul_i32_i24_e32 v89, v135 /*v391*/, v85 /*v341*/
	;; [unrolled: 1-line block ×3, first 2 shown]
	s_set_vgpr_msb 0x41                     ;  msbs: dst=1 src0=1 src1=0 src2=0
	v_mul_i32_i24_e32 v178 /*v434*/, v96 /*v352*/, v249
	s_set_vgpr_msb 0x45                     ;  msbs: dst=1 src0=1 src1=1 src2=0
	v_mul_i32_i24_e32 v182 /*v438*/, v96 /*v352*/, v51 /*v307*/
	s_set_vgpr_msb 0                        ;  msbs: dst=0 src0=0 src1=0 src2=0
	v_cvt_f32_i32_e32 v120, v120
	v_add3_u32 v141, v141, v88, v89
	s_set_vgpr_msb 5                        ;  msbs: dst=0 src0=1 src1=1 src2=0
	v_mul_i32_i24_e32 v88, v118 /*v374*/, v121 /*v377*/
	s_set_vgpr_msb 1                        ;  msbs: dst=0 src0=1 src1=0 src2=0
	v_mul_i32_i24_e32 v89, v135 /*v391*/, v140
	s_set_vgpr_msb 5                        ;  msbs: dst=0 src0=1 src1=1 src2=0
	v_mul_i32_i24_e32 v126, v30 /*v286*/, v36 /*v292*/
	s_set_vgpr_msb 0                        ;  msbs: dst=0 src0=0 src1=0 src2=0
	v_fma_mix_f32 v120, v206, v120, v206 op_sel:[0,0,1] op_sel_hi:[1,0,1]
	s_set_vgpr_msb 1                        ;  msbs: dst=0 src0=1 src1=0 src2=0
	v_add3_u32 v233, v16 /*v272*/, v88, v89
	s_set_vgpr_msb 0                        ;  msbs: dst=0 src0=0 src1=0 src2=0
	v_cvt_f32_f16_e32 v89, v87
	v_cvt_f32_f16_e32 v88, v86
	s_set_vgpr_msb 1                        ;  msbs: dst=0 src0=1 src1=0 src2=0
	v_mul_i32_i24_e32 v86, v122 /*v378*/, v94
	s_set_vgpr_msb 0                        ;  msbs: dst=0 src0=0 src1=0 src2=0
	v_mul_i32_i24_e32 v87, v135, v95
	s_set_vgpr_msb 64                       ;  msbs: dst=1 src0=0 src1=0 src2=0
	v_lshrrev_b32_e32 v122 /*v378*/, 16, v90
	s_set_vgpr_msb 0x45                     ;  msbs: dst=1 src0=1 src1=1 src2=0
	v_mul_i32_i24_e32 v16 /*v272*/, v8 /*v264*/, v75 /*v331*/
	s_set_vgpr_msb 1                        ;  msbs: dst=0 src0=1 src1=0 src2=0
	v_add3_u32 v135, v4 /*v260*/, v86, v87
	s_set_vgpr_msb 5                        ;  msbs: dst=0 src0=1 src1=1 src2=0
	v_mul_i32_i24_e32 v86, v136 /*v392*/, v7 /*v263*/
	s_set_vgpr_msb 1                        ;  msbs: dst=0 src0=1 src1=0 src2=0
	v_mul_i32_i24_e32 v87, v137 /*v393*/, v108
	s_set_vgpr_msb 0                        ;  msbs: dst=0 src0=0 src1=0 src2=0
	s_delay_alu instid0(VALU_DEP_1)
	v_add3_u32 v251, v134, v86, v87
	s_set_vgpr_msb 5                        ;  msbs: dst=0 src0=1 src1=1 src2=0
	v_mul_i32_i24_e32 v86, v136 /*v392*/, v75 /*v331*/
	v_mul_i32_i24_e32 v87, v137 /*v393*/, v85 /*v341*/
	s_set_vgpr_msb 4                        ;  msbs: dst=0 src0=0 src1=1 src2=0
	v_mul_i32_i24_e32 v134, v225, v66 /*v322*/
	s_set_vgpr_msb 5                        ;  msbs: dst=0 src0=1 src1=1 src2=0
	v_mul_i32_i24_e32 v225, v8 /*v264*/, v7 /*v263*/
	s_set_vgpr_msb 0x41                     ;  msbs: dst=1 src0=1 src1=0 src2=0
	v_mul_i32_i24_e32 v66 /*v322*/, v142 /*v398*/, v217
	v_add3_u32 v0 /*v256*/, v1 /*v257*/, v86, v87
	s_set_vgpr_msb 5                        ;  msbs: dst=0 src0=1 src1=1 src2=0
	v_mul_i32_i24_e32 v86, v136 /*v392*/, v121 /*v377*/
	s_set_vgpr_msb 1                        ;  msbs: dst=0 src0=1 src1=0 src2=0
	v_mul_i32_i24_e32 v87, v137 /*v393*/, v140
	s_set_vgpr_msb 0                        ;  msbs: dst=0 src0=0 src1=0 src2=0
	v_add3_u32 v143, v143, v134, v133
	s_set_vgpr_msb 5                        ;  msbs: dst=0 src0=1 src1=1 src2=0
	v_mul_i32_i24_e32 v133, v39 /*v295*/, v85 /*v341*/
	v_mul_i32_i24_e32 v134, v8 /*v264*/, v121 /*v377*/
	s_set_vgpr_msb 0                        ;  msbs: dst=0 src0=0 src1=0 src2=0
	v_add3_u32 v148, v148, v225, v130
	s_set_vgpr_msb 0x41                     ;  msbs: dst=1 src0=1 src1=0 src2=0
	v_add3_u32 v1 /*v257*/, v72 /*v328*/, v86, v87
	s_set_vgpr_msb 0                        ;  msbs: dst=0 src0=0 src1=0 src2=0
	v_cvt_f32_f16_e32 v87, v90
	v_cvt_f32_f16_e32 v86, v91
	s_set_vgpr_msb 1                        ;  msbs: dst=0 src0=1 src1=0 src2=0
	v_mul_i32_i24_e32 v90, v123 /*v379*/, v94
	s_set_vgpr_msb 0                        ;  msbs: dst=0 src0=0 src1=0 src2=0
	v_mul_i32_i24_e32 v91, v137, v95
	v_mul_i32_i24_e32 v95, v131, v95
	s_set_vgpr_msb 1                        ;  msbs: dst=0 src0=1 src1=0 src2=0
	v_mul_i32_i24_e32 v131, v142 /*v398*/, v140
	s_set_vgpr_msb 0x44                     ;  msbs: dst=1 src0=0 src1=1 src2=0
	v_add3_u32 v16 /*v272*/, v127, v16 /*v272*/, v133
	s_set_vgpr_msb 4                        ;  msbs: dst=0 src0=0 src1=1 src2=0
	v_mul_i32_i24_e32 v127, v152, v128 /*v384*/
	s_set_vgpr_msb 1                        ;  msbs: dst=0 src0=1 src1=0 src2=0
	v_add3_u32 v137, v6 /*v262*/, v90, v91
	s_set_vgpr_msb 5                        ;  msbs: dst=0 src0=1 src1=1 src2=0
	v_mul_i32_i24_e32 v90, v138 /*v394*/, v7 /*v263*/
	s_set_vgpr_msb 1                        ;  msbs: dst=0 src0=1 src1=0 src2=0
	v_mul_i32_i24_e32 v91, v140 /*v396*/, v108
	v_mul_i32_i24_e32 v130, v39 /*v295*/, v140
	s_set_vgpr_msb 0x44                     ;  msbs: dst=1 src0=0 src1=1 src2=0
	v_mul_i32_i24_e32 v6 /*v262*/, v216, v81 /*v337*/
	s_set_vgpr_msb 4                        ;  msbs: dst=0 src0=0 src1=1 src2=0
	v_mul_i32_i24_e32 v225, v215, v85 /*v341*/
	v_mul_i32_i24_e32 v216, v216, v52 /*v308*/
	s_set_vgpr_msb 0                        ;  msbs: dst=0 src0=0 src1=0 src2=0
	v_add3_u32 v136, v136, v90, v91
	s_set_vgpr_msb 5                        ;  msbs: dst=0 src0=1 src1=1 src2=0
	v_mul_i32_i24_e32 v90, v138 /*v394*/, v75 /*v331*/
	v_mul_i32_i24_e32 v91, v140 /*v396*/, v85 /*v341*/
	s_set_vgpr_msb 64                       ;  msbs: dst=1 src0=0 src1=0 src2=0
	v_add3_u32 v24 /*v280*/, v129, v134, v130
	s_set_vgpr_msb 4                        ;  msbs: dst=0 src0=0 src1=1 src2=0
	v_mul_i32_i24_e32 v129, v255, v7 /*v263*/
	s_set_vgpr_msb 0x44                     ;  msbs: dst=1 src0=0 src1=1 src2=0
	v_mul_i32_i24_e32 v52 /*v308*/, v246, v131 /*v387*/
	s_set_vgpr_msb 0x41                     ;  msbs: dst=1 src0=1 src1=0 src2=0
	v_mul_i32_i24_e32 v123 /*v379*/, v104 /*v360*/, v249
	v_add3_u32 v3 /*v259*/, v54 /*v310*/, v90, v91
	s_set_vgpr_msb 5                        ;  msbs: dst=0 src0=1 src1=1 src2=0
	v_mul_i32_i24_e32 v90, v138 /*v394*/, v121 /*v377*/
	s_set_vgpr_msb 1                        ;  msbs: dst=0 src0=1 src1=0 src2=0
	v_mul_i32_i24_e32 v91, v140 /*v396*/, v140
	s_set_vgpr_msb 0x44                     ;  msbs: dst=1 src0=0 src1=1 src2=0
	v_mul_i32_i24_e32 v54 /*v310*/, v213, v128 /*v384*/
	s_set_vgpr_msb 5                        ;  msbs: dst=0 src0=1 src1=1 src2=0
	v_mul_i32_i24_e32 v134, v12 /*v268*/, v17 /*v273*/
	v_mul_i32_i24_e32 v130, v119 /*v375*/, v70 /*v326*/
	s_set_vgpr_msb 1                        ;  msbs: dst=0 src0=1 src1=0 src2=0
	v_mul_i32_i24_e32 v133, v5 /*v261*/, v237
	s_set_vgpr_msb 0x41                     ;  msbs: dst=1 src0=1 src1=0 src2=0
	v_add3_u32 v4 /*v260*/, v64 /*v320*/, v90, v91
	s_set_vgpr_msb 0                        ;  msbs: dst=0 src0=0 src1=0 src2=0
	v_cvt_f32_f16_e32 v91, v92
	s_set_vgpr_msb 1                        ;  msbs: dst=0 src0=1 src1=0 src2=0
	v_mul_i32_i24_e32 v92, v124 /*v380*/, v94
	v_mul_i32_i24_e32 v94, v102 /*v358*/, v94
	s_set_vgpr_msb 0                        ;  msbs: dst=0 src0=0 src1=0 src2=0
	v_cvt_f32_f16_e64 v90, v231
	s_set_vgpr_msb 64                       ;  msbs: dst=1 src0=0 src1=0 src2=0
	v_mul_i32_i24_e32 v102 /*v358*/, v211, v248
	s_set_vgpr_msb 0x44                     ;  msbs: dst=1 src0=0 src1=1 src2=0
	v_mul_i32_i24_e32 v64 /*v320*/, v240, v51 /*v307*/
	s_set_vgpr_msb 0                        ;  msbs: dst=0 src0=0 src1=0 src2=0
	v_add3_u32 v139, v128, v92, v93
	s_set_vgpr_msb 5                        ;  msbs: dst=0 src0=1 src1=1 src2=0
	v_mul_i32_i24_e32 v92, v141 /*v397*/, v7 /*v263*/
	s_set_vgpr_msb 1                        ;  msbs: dst=0 src0=1 src1=0 src2=0
	v_mul_i32_i24_e32 v93, v142 /*v398*/, v108
	s_set_vgpr_msb 5                        ;  msbs: dst=0 src0=1 src1=1 src2=0
	v_mul_i32_i24_e32 v128, v141 /*v397*/, v121 /*v377*/
	s_set_vgpr_msb 0                        ;  msbs: dst=0 src0=0 src1=0 src2=0
	v_add3_u32 v97, v97, v94, v95
	s_set_vgpr_msb 4                        ;  msbs: dst=0 src0=0 src1=1 src2=0
	v_mul_i32_i24_e32 v94, v220, v75 /*v331*/
	v_mul_i32_i24_e32 v95, v218, v47 /*v303*/
	s_set_vgpr_msb 0                        ;  msbs: dst=0 src0=0 src1=0 src2=0
	v_add3_u32 v138, v138, v92, v93
	s_set_vgpr_msb 5                        ;  msbs: dst=0 src0=1 src1=1 src2=0
	v_mul_i32_i24_e32 v92, v141 /*v397*/, v75 /*v331*/
	v_mul_i32_i24_e32 v93, v142 /*v398*/, v85 /*v341*/
	s_set_vgpr_msb 0x44                     ;  msbs: dst=1 src0=0 src1=1 src2=0
	v_mul_i32_i24_e32 v47 /*v303*/, v214, v131 /*v387*/
	s_set_vgpr_msb 0                        ;  msbs: dst=0 src0=0 src1=0 src2=0
	v_add3_u32 v235, v235, v95, v94
	s_set_vgpr_msb 4                        ;  msbs: dst=0 src0=0 src1=1 src2=0
	v_mul_i32_i24_e32 v94, v220, v121 /*v377*/
	s_set_vgpr_msb 0                        ;  msbs: dst=0 src0=0 src1=0 src2=0
	v_mul_i32_i24_e32 v95, v218, v253
	s_set_vgpr_msb 1                        ;  msbs: dst=0 src0=1 src1=0 src2=0
	v_add3_u32 v231, v40 /*v296*/, v92, v93
	s_set_vgpr_msb 0                        ;  msbs: dst=0 src0=0 src1=0 src2=0
	v_cvt_f32_f16_e64 v92, v229
	s_set_vgpr_msb 1                        ;  msbs: dst=0 src0=1 src1=0 src2=0
	v_add3_u32 v229, v83 /*v339*/, v128, v131
	s_set_vgpr_msb 0                        ;  msbs: dst=0 src0=0 src1=0 src2=0
	v_mul_i32_i24_e32 v128, v152, v245
	v_mul_i32_i24_e32 v131, v243, v248
	v_add3_u32 v147, v147, v95, v94
	v_mul_i32_i24_e32 v94, v232, v223
	s_set_vgpr_msb 1                        ;  msbs: dst=0 src0=1 src1=0 src2=0
	v_mul_i32_i24_e32 v95, v133 /*v389*/, v224
	v_mul_i32_i24_e32 v253, v63 /*v319*/, v245
	s_set_vgpr_msb 0                        ;  msbs: dst=0 src0=0 src1=0 src2=0
	v_add3_u32 v234, v234, v131, v128
	s_set_vgpr_msb 4                        ;  msbs: dst=0 src0=0 src1=1 src2=0
	v_mul_i32_i24_e32 v128, v243, v38 /*v294*/
	s_set_vgpr_msb 64                       ;  msbs: dst=1 src0=0 src1=0 src2=0
	v_mul_i32_i24_e32 v40 /*v296*/, v215, v140
	s_set_vgpr_msb 0                        ;  msbs: dst=0 src0=0 src1=0 src2=0
	v_add3_u32 v151, v151, v95, v94
	s_set_vgpr_msb 4                        ;  msbs: dst=0 src0=0 src1=1 src2=0
	v_mul_i32_i24_e32 v94, v255, v75 /*v331*/
	v_mul_i32_i24_e32 v95, v142, v85 /*v341*/
	s_set_vgpr_msb 0                        ;  msbs: dst=0 src0=0 src1=0 src2=0
	v_add3_u32 v236, v236, v128, v127
	s_set_vgpr_msb 4                        ;  msbs: dst=0 src0=0 src1=1 src2=0
	v_mul_i32_i24_e32 v127, v152, v33 /*v289*/
	v_mul_i32_i24_e32 v128, v243, v37 /*v293*/
	v_cvt_f32_f16_e64 v93, v230
	s_set_vgpr_msb 16                       ;  msbs: dst=0 src0=0 src1=0 src2=1
	v_mul_i32_i24_e32 v230, v145, v242
	v_add3_u32 v225, v235, v225, v6 /*v262*/
	s_set_vgpr_msb 5                        ;  msbs: dst=0 src0=1 src1=1 src2=0
	v_mul_i32_i24_e32 v235, v67 /*v323*/, v88 /*v344*/
	s_set_vgpr_msb 0                        ;  msbs: dst=0 src0=0 src1=0 src2=0
	v_add3_u32 v232, v244, v128, v127
	v_mul_i32_i24_e32 v127, v142, v108
	s_set_vgpr_msb 4                        ;  msbs: dst=0 src0=0 src1=1 src2=0
	v_mul_i32_i24_e32 v128, v255, v121 /*v377*/
	s_set_vgpr_msb 0                        ;  msbs: dst=0 src0=0 src1=0 src2=0
	v_add3_u32 v244, v250, v94, v95
	s_set_vgpr_msb 1                        ;  msbs: dst=0 src0=1 src1=0 src2=0
	v_mul_i32_i24_e32 v94, v80 /*v336*/, v223
	v_mul_i32_i24_e32 v95, v82 /*v338*/, v224
	s_set_vgpr_msb 0                        ;  msbs: dst=0 src0=0 src1=0 src2=0
	v_add3_u32 v153, v153, v129, v127
	v_mul_i32_i24_e32 v129, v142, v140
	s_set_vgpr_msb 5                        ;  msbs: dst=0 src0=1 src1=1 src2=0
	v_mul_i32_i24_e32 v142, v63 /*v319*/, v33 /*v289*/
	v_mul_i32_i24_e32 v140, v46 /*v302*/, v33 /*v289*/
	s_set_vgpr_msb 0                        ;  msbs: dst=0 src0=0 src1=0 src2=0
	v_add3_u32 v144, v144, v95, v94
	s_set_vgpr_msb 1                        ;  msbs: dst=0 src0=1 src1=0 src2=0
	v_mul_i32_i24_e32 v94, v68 /*v324*/, v248
	s_set_vgpr_msb 0                        ;  msbs: dst=0 src0=0 src1=0 src2=0
	v_add3_u32 v250, v96, v128, v129
	s_set_vgpr_msb 5                        ;  msbs: dst=0 src0=1 src1=1 src2=0
	v_mul_i32_i24_e32 v96, v68 /*v324*/, v37 /*v293*/
	v_cvt_f32_f16_e64 v95, v29 /*v285*/
	s_set_vgpr_msb 0                        ;  msbs: dst=0 src0=0 src1=0 src2=0
	v_add3_u32 v226, v234, v230, v226
	v_add3_u32 v253, v141, v94, v253
	s_set_vgpr_msb 1                        ;  msbs: dst=0 src0=1 src1=0 src2=0
	v_mul_i32_i24_e32 v141, v98 /*v354*/, v223
	s_set_vgpr_msb 0                        ;  msbs: dst=0 src0=0 src1=0 src2=0
	v_add3_u32 v255, v132, v96, v142
	s_set_vgpr_msb 5                        ;  msbs: dst=0 src0=1 src1=1 src2=0
	v_mul_i32_i24_e32 v96, v63 /*v319*/, v128 /*v384*/
	v_mul_i32_i24_e32 v132, v68 /*v324*/, v38 /*v294*/
	s_set_vgpr_msb 1                        ;  msbs: dst=0 src0=1 src1=0 src2=0
	v_mul_i32_i24_e32 v142, v110 /*v366*/, v224
	v_cvt_f32_f16_e64 v94, v10 /*v266*/
	s_set_vgpr_msb 0x45                     ;  msbs: dst=1 src0=1 src1=1 src2=0
	v_mul_i32_i24_e32 v10 /*v266*/, v56 /*v312*/, v33 /*v289*/
	s_set_vgpr_msb 4                        ;  msbs: dst=0 src0=0 src1=1 src2=0
	v_mul_i32_i24_e32 v230, v145, v88 /*v344*/
	s_set_vgpr_msb 0                        ;  msbs: dst=0 src0=0 src1=0 src2=0
	v_add3_u32 v233, v233, v132, v96
	s_set_vgpr_msb 5                        ;  msbs: dst=0 src0=1 src1=1 src2=0
	v_mul_i32_i24_e32 v96, v57 /*v313*/, v37 /*v293*/
	s_set_vgpr_msb 64                       ;  msbs: dst=1 src0=0 src1=0 src2=0
	v_add3_u32 v29 /*v285*/, v135, v142, v141
	s_set_vgpr_msb 1                        ;  msbs: dst=0 src0=1 src1=0 src2=0
	v_mul_i32_i24_e32 v135, v57 /*v313*/, v248
	v_mul_i32_i24_e32 v141, v111 /*v367*/, v223
	;; [unrolled: 1-line block ×3, first 2 shown]
	s_set_vgpr_msb 16                       ;  msbs: dst=0 src0=0 src1=0 src2=1
	v_add3_u32 v251, v251, v96, v10 /*v266*/
	s_set_vgpr_msb 5                        ;  msbs: dst=0 src0=1 src1=1 src2=0
	v_mul_i32_i24_e32 v96, v56 /*v312*/, v128 /*v384*/
	s_set_vgpr_msb 0x51                     ;  msbs: dst=1 src0=1 src1=0 src2=1
	v_add3_u32 v0 /*v256*/, v0 /*v256*/, v135, v28 /*v284*/
	s_set_vgpr_msb 5                        ;  msbs: dst=0 src0=1 src1=1 src2=0
	v_mul_i32_i24_e32 v135, v57 /*v313*/, v38 /*v294*/
	s_set_vgpr_msb 64                       ;  msbs: dst=1 src0=0 src1=0 src2=0
	v_add3_u32 v35 /*v291*/, v137, v142, v141
	s_set_vgpr_msb 1                        ;  msbs: dst=0 src0=1 src1=0 src2=0
	v_mul_i32_i24_e32 v137, v97 /*v353*/, v245
	v_mul_i32_i24_e32 v141, v101 /*v357*/, v248
	s_set_vgpr_msb 0x44                     ;  msbs: dst=1 src0=0 src1=1 src2=0
	v_mul_i32_i24_e32 v10 /*v266*/, v145, v131 /*v387*/
	s_set_vgpr_msb 0x41                     ;  msbs: dst=1 src0=1 src1=0 src2=0
	v_add3_u32 v1 /*v257*/, v1 /*v257*/, v135, v96
	s_set_vgpr_msb 5                        ;  msbs: dst=0 src0=1 src1=1 src2=0
	v_mul_i32_i24_e32 v96, v97 /*v353*/, v33 /*v289*/
	v_mul_i32_i24_e32 v135, v101 /*v357*/, v37 /*v293*/
	s_set_vgpr_msb 0x41                     ;  msbs: dst=1 src0=1 src1=0 src2=0
	v_add3_u32 v3 /*v259*/, v3 /*v259*/, v141, v137
	s_set_vgpr_msb 1                        ;  msbs: dst=0 src0=1 src1=0 src2=0
	v_mul_i32_i24_e32 v137, v25 /*v281*/, v224
	s_set_vgpr_msb 0x44                     ;  msbs: dst=1 src0=0 src1=1 src2=0
	v_mul_i32_i24_e32 v28 /*v284*/, v149, v130 /*v386*/
	s_set_vgpr_msb 4                        ;  msbs: dst=0 src0=0 src1=1 src2=0
	v_mul_i32_i24_e32 v234, v149, v91 /*v347*/
	s_set_vgpr_msb 64                       ;  msbs: dst=1 src0=0 src1=0 src2=0
	v_add3_u32 v41 /*v297*/, v136, v135, v96
	s_set_vgpr_msb 5                        ;  msbs: dst=0 src0=1 src1=1 src2=0
	v_mul_i32_i24_e32 v96, v97 /*v353*/, v128 /*v384*/
	v_mul_i32_i24_e32 v135, v101 /*v357*/, v38 /*v294*/
	s_set_vgpr_msb 1                        ;  msbs: dst=0 src0=1 src1=0 src2=0
	v_mul_i32_i24_e32 v136, v108 /*v364*/, v223
	s_set_vgpr_msb 20                       ;  msbs: dst=0 src0=0 src1=1 src2=1
	v_add3_u32 v236, v236, v10 /*v266*/, v28 /*v284*/
	s_set_vgpr_msb 0x41                     ;  msbs: dst=1 src0=1 src1=0 src2=0
	v_mul_i32_i24_e32 v10 /*v266*/, v67 /*v323*/, v242
	s_set_vgpr_msb 0x44                     ;  msbs: dst=1 src0=0 src1=1 src2=0
	v_mul_i32_i24_e32 v98 /*v354*/, v211, v38 /*v294*/
	s_set_vgpr_msb 0x41                     ;  msbs: dst=1 src0=1 src1=0 src2=0
	v_add3_u32 v4 /*v260*/, v4 /*v260*/, v135, v96
	s_set_vgpr_msb 5                        ;  msbs: dst=0 src0=1 src1=1 src2=0
	v_mul_i32_i24_e32 v96, v49 /*v305*/, v37 /*v293*/
	s_set_vgpr_msb 1                        ;  msbs: dst=0 src0=1 src1=0 src2=0
	v_mul_i32_i24_e32 v135, v46 /*v302*/, v245
	s_set_vgpr_msb 64                       ;  msbs: dst=1 src0=0 src1=0 src2=0
	v_add3_u32 v25 /*v281*/, v139, v137, v136
	s_set_vgpr_msb 1                        ;  msbs: dst=0 src0=1 src1=0 src2=0
	v_mul_i32_i24_e32 v136, v49 /*v305*/, v248
	v_mul_i32_i24_e32 v137, v143 /*v399*/, v224
	s_set_vgpr_msb 64                       ;  msbs: dst=1 src0=0 src1=0 src2=0
	v_add3_u32 v55 /*v311*/, v138, v96, v140
	s_set_vgpr_msb 5                        ;  msbs: dst=0 src0=1 src1=1 src2=0
	v_mul_i32_i24_e32 v96, v46 /*v302*/, v128 /*v384*/
	v_mul_i32_i24_e32 v138, v86 /*v342*/, v38 /*v294*/
	s_set_vgpr_msb 0                        ;  msbs: dst=0 src0=0 src1=0 src2=0
	v_add3_u32 v231, v231, v136, v135
	s_set_vgpr_msb 5                        ;  msbs: dst=0 src0=1 src1=1 src2=0
	v_mul_i32_i24_e32 v135, v49 /*v305*/, v38 /*v294*/
	s_set_vgpr_msb 1                        ;  msbs: dst=0 src0=1 src1=0 src2=0
	v_mul_i32_i24_e32 v136, v115 /*v371*/, v223
	s_set_vgpr_msb 0x45                     ;  msbs: dst=1 src0=1 src1=1 src2=0
	v_mul_i32_i24_e32 v6 /*v262*/, v22 /*v278*/, v91 /*v347*/
	v_mul_i32_i24_e32 v28 /*v284*/, v22 /*v278*/, v130 /*v386*/
	s_set_vgpr_msb 0                        ;  msbs: dst=0 src0=0 src1=0 src2=0
	v_add3_u32 v230, v232, v230, v234
	v_add3_u32 v223, v229, v135, v96
	;; [unrolled: 1-line block ×3, first 2 shown]
	s_set_vgpr_msb 4                        ;  msbs: dst=0 src0=0 src1=1 src2=0
	v_mul_i32_i24_e32 v96, v220, v7 /*v263*/
	v_mul_i32_i24_e32 v97, v218, v50 /*v306*/
	s_set_vgpr_msb 1                        ;  msbs: dst=0 src0=1 src1=0 src2=0
	v_mul_i32_i24_e32 v137, v84 /*v340*/, v245
	s_set_vgpr_msb 21                       ;  msbs: dst=0 src0=1 src1=1 src2=1
	v_mul_i32_i24_e32 v135, v84 /*v340*/, v33 /*v289*/
	v_add3_u32 v218, v2 /*v258*/, v78 /*v334*/, v79 /*v335*/
	v_mul_i32_i24_e32 v136, v86 /*v342*/, v37 /*v293*/
	s_set_vgpr_msb 0                        ;  msbs: dst=0 src0=0 src1=0 src2=0
	v_add3_u32 v143, v143, v97, v96
	s_set_vgpr_msb 1                        ;  msbs: dst=0 src0=1 src1=0 src2=0
	v_mul_i32_i24_e32 v96, v86 /*v342*/, v248
	s_set_vgpr_msb 5                        ;  msbs: dst=0 src0=1 src1=1 src2=0
	v_mul_i32_i24_e32 v97, v84 /*v340*/, v128 /*v384*/
	s_set_vgpr_msb 0                        ;  msbs: dst=0 src0=0 src1=0 src2=0
	v_mul_i32_i24_e32 v245, v228, v245
	s_set_vgpr_msb 0x44                     ;  msbs: dst=1 src0=0 src1=1 src2=0
	v_mul_i32_i24_e32 v2 /*v258*/, v228, v128 /*v384*/
	s_set_vgpr_msb 4                        ;  msbs: dst=0 src0=0 src1=1 src2=0
	v_mul_i32_i24_e32 v228, v228, v33 /*v289*/
	s_set_vgpr_msb 1                        ;  msbs: dst=0 src0=1 src1=0 src2=0
	v_add3_u32 v220, v16 /*v272*/, v96, v137
	v_add3_u32 v229, v24 /*v280*/, v138, v97
	v_cvt_f32_f16_e64 v97, v11 /*v267*/
	v_cvt_f32_f16_e64 v96, v14 /*v270*/
	s_set_vgpr_msb 0                        ;  msbs: dst=0 src0=0 src1=0 src2=0
	v_mul_i32_i24_e32 v248, v227, v248
	s_set_vgpr_msb 0x44                     ;  msbs: dst=1 src0=0 src1=1 src2=0
	v_mul_i32_i24_e32 v7 /*v263*/, v227, v38 /*v294*/
	s_set_vgpr_msb 4                        ;  msbs: dst=0 src0=0 src1=1 src2=0
	v_mul_i32_i24_e32 v227, v227, v37 /*v293*/
	s_set_vgpr_msb 0x41                     ;  msbs: dst=1 src0=1 src1=0 src2=0
	v_mul_i32_i24_e32 v11 /*v267*/, v118 /*v374*/, v222
	v_mul_i32_i24_e32 v14 /*v270*/, v135 /*v391*/, v217
	;; [unrolled: 1-line block ×3, first 2 shown]
	s_set_vgpr_msb 0                        ;  msbs: dst=0 src0=0 src1=0 src2=0
	v_add3_u32 v148, v148, v136, v135
	s_set_vgpr_msb 0x54                     ;  msbs: dst=1 src0=0 src1=1 src2=1
	v_add3_u32 v24 /*v280*/, v147, v40 /*v296*/, v31 /*v287*/
	s_set_vgpr_msb 5                        ;  msbs: dst=0 src0=1 src1=1 src2=0
	v_mul_i32_i24_e32 v147, v67 /*v323*/, v131 /*v387*/
	s_set_vgpr_msb 0x41                     ;  msbs: dst=1 src0=1 src1=0 src2=0
	v_mul_i32_i24_e32 v31 /*v287*/, v136 /*v392*/, v222
	v_mul_i32_i24_e32 v38 /*v294*/, v137 /*v393*/, v217
	s_set_vgpr_msb 5                        ;  msbs: dst=0 src0=1 src1=1 src2=0
	v_mul_i32_i24_e32 v232, v15 /*v271*/, v88 /*v344*/
	s_set_vgpr_msb 4                        ;  msbs: dst=0 src0=0 src1=1 src2=0
	v_mul_i32_i24_e32 v234, v105, v91 /*v347*/
	s_set_vgpr_msb 0                        ;  msbs: dst=0 src0=0 src1=0 src2=0
	v_add3_u32 v239, v151, v239, v241
	s_set_vgpr_msb 1                        ;  msbs: dst=0 src0=1 src1=0 src2=0
	v_mul_i32_i24_e32 v151, v15 /*v271*/, v242
	s_set_vgpr_msb 0                        ;  msbs: dst=0 src0=0 src1=0 src2=0
	v_mul_i32_i24_e32 v241, v105, v247
	s_set_vgpr_msb 64                       ;  msbs: dst=1 src0=0 src1=0 src2=0
	v_add3_u32 v40 /*v296*/, v153, v227, v228
	s_set_vgpr_msb 5                        ;  msbs: dst=0 src0=1 src1=1 src2=0
	v_mul_i32_i24_e32 v153, v15 /*v271*/, v131 /*v387*/
	s_set_vgpr_msb 4                        ;  msbs: dst=0 src0=0 src1=1 src2=0
	v_mul_i32_i24_e32 v227, v105, v130 /*v386*/
	s_set_vgpr_msb 1                        ;  msbs: dst=0 src0=1 src1=0 src2=0
	v_mul_i32_i24_e32 v228, v138 /*v394*/, v222
	s_set_vgpr_msb 0x41                     ;  msbs: dst=1 src0=1 src1=0 src2=0
	v_mul_i32_i24_e32 v50 /*v306*/, v140 /*v396*/, v217
	s_set_vgpr_msb 0                        ;  msbs: dst=0 src0=0 src1=0 src2=0
	v_add3_u32 v244, v244, v248, v245
	s_set_vgpr_msb 20                       ;  msbs: dst=0 src0=0 src1=1 src2=1
	v_mul_i32_i24_e32 v245, v252, v88 /*v344*/
	v_mul_i32_i24_e32 v248, v103, v91 /*v347*/
	v_add3_u32 v250, v250, v7 /*v263*/, v2 /*v258*/
	s_set_vgpr_msb 64                       ;  msbs: dst=1 src0=0 src1=0 src2=0
	v_mul_i32_i24_e32 v2 /*v258*/, v252, v242
	v_mul_i32_i24_e32 v7 /*v263*/, v103, v247
	s_set_vgpr_msb 0x54                     ;  msbs: dst=1 src0=0 src1=1 src2=1
	v_add3_u32 v11 /*v267*/, v144, v11 /*v267*/, v14 /*v270*/
	s_set_vgpr_msb 4                        ;  msbs: dst=0 src0=0 src1=1 src2=0
	v_mul_i32_i24_e32 v144, v252, v131 /*v387*/
	s_set_vgpr_msb 0x44                     ;  msbs: dst=1 src0=0 src1=1 src2=0
	v_mul_i32_i24_e32 v14 /*v270*/, v103, v130 /*v386*/
	s_set_vgpr_msb 1                        ;  msbs: dst=0 src0=1 src1=0 src2=0
	v_mul_i32_i24_e32 v222, v8 /*v264*/, v222
	s_set_vgpr_msb 64                       ;  msbs: dst=1 src0=0 src1=0 src2=0
	v_mul_i32_i24_e32 v8 /*v264*/, v246, v242
	s_set_vgpr_msb 1                        ;  msbs: dst=0 src0=1 src1=0 src2=0
	v_mul_i32_i24_e32 v217, v39 /*v295*/, v217
	s_set_vgpr_msb 64                       ;  msbs: dst=1 src0=0 src1=0 src2=0
	v_mul_i32_i24_e32 v39 /*v295*/, v101, v247
	s_set_vgpr_msb 0                        ;  msbs: dst=0 src0=0 src1=0 src2=0
	v_mul_i32_i24_e32 v108, v215, v108
	s_set_vgpr_msb 0x54                     ;  msbs: dst=1 src0=0 src1=1 src2=1
	v_add3_u32 v72 /*v328*/, v253, v10 /*v266*/, v16 /*v272*/
	s_set_vgpr_msb 5                        ;  msbs: dst=0 src0=1 src1=1 src2=0
	v_mul_i32_i24_e32 v253, v43 /*v299*/, v88 /*v344*/
	s_set_vgpr_msb 0x44                     ;  msbs: dst=1 src0=0 src1=1 src2=0
	v_mul_i32_i24_e32 v10 /*v266*/, v99, v91 /*v347*/
	s_set_vgpr_msb 0x45                     ;  msbs: dst=1 src0=1 src1=1 src2=0
	v_mul_i32_i24_e32 v133 /*v389*/, v60 /*v316*/, v17 /*v273*/
	s_set_vgpr_msb 0x44                     ;  msbs: dst=1 src0=0 src1=1 src2=0
	v_mul_i32_i24_e32 v110 /*v366*/, v212, v130 /*v386*/
	s_set_vgpr_msb 16                       ;  msbs: dst=0 src0=0 src1=0 src2=1
	v_add3_u32 v255, v255, v235, v6 /*v262*/
	s_set_vgpr_msb 4                        ;  msbs: dst=0 src0=0 src1=1 src2=0
	v_mul_i32_i24_e32 v235, v246, v88 /*v344*/
	s_set_vgpr_msb 0x44                     ;  msbs: dst=1 src0=0 src1=1 src2=0
	v_mul_i32_i24_e32 v6 /*v262*/, v101, v91 /*v347*/
	s_set_vgpr_msb 4                        ;  msbs: dst=0 src0=0 src1=1 src2=0
	v_mul_i32_i24_e32 v215, v101, v130 /*v386*/
	s_set_vgpr_msb 0x50                     ;  msbs: dst=1 src0=0 src1=0 src2=1
	v_add3_u32 v78 /*v334*/, v233, v147, v28 /*v284*/
	s_set_vgpr_msb 1                        ;  msbs: dst=0 src0=1 src1=0 src2=0
	v_mul_i32_i24_e32 v147, v43 /*v299*/, v242
	s_set_vgpr_msb 0                        ;  msbs: dst=0 src0=0 src1=0 src2=0
	v_mul_i32_i24_e32 v233, v99, v247
	s_set_vgpr_msb 0x55                     ;  msbs: dst=1 src0=1 src1=1 src2=1
	v_add3_u32 v16 /*v272*/, v29 /*v285*/, v31 /*v287*/, v38 /*v294*/
	v_mul_i32_i24_e32 v28 /*v284*/, v43 /*v299*/, v131 /*v387*/
	s_set_vgpr_msb 0x44                     ;  msbs: dst=1 src0=0 src1=1 src2=0
	v_mul_i32_i24_e32 v29 /*v285*/, v99, v130 /*v386*/
	s_set_vgpr_msb 64                       ;  msbs: dst=1 src0=0 src1=0 src2=0
	v_add3_u32 v31 /*v287*/, v251, v232, v234
	s_set_vgpr_msb 4                        ;  msbs: dst=0 src0=0 src1=1 src2=0
	v_mul_i32_i24_e32 v232, v238, v59 /*v315*/
	v_mul_i32_i24_e32 v234, v240, v103 /*v359*/
	s_set_vgpr_msb 0                        ;  msbs: dst=0 src0=0 src1=0 src2=0
	v_mul_i32_i24_e32 v251, v152, v210
	v_mul_i32_i24_e32 v243, v243, v209
	;; [unrolled: 1-line block ×3, first 2 shown]
	s_set_vgpr_msb 0x44                     ;  msbs: dst=1 src0=0 src1=1 src2=0
	v_mul_i32_i24_e32 v38 /*v294*/, v146, v131 /*v387*/
	v_mul_i32_i24_e32 v75 /*v331*/, v146, v88 /*v344*/
	s_set_vgpr_msb 0                        ;  msbs: dst=0 src0=0 src1=0 src2=0
	v_mul_i32_i24_e32 v247, v150, v247
	s_set_vgpr_msb 0x44                     ;  msbs: dst=1 src0=0 src1=1 src2=0
	v_mul_i32_i24_e32 v79 /*v335*/, v150, v130 /*v386*/
	v_mul_i32_i24_e32 v80 /*v336*/, v150, v91 /*v347*/
	s_set_vgpr_msb 0x41                     ;  msbs: dst=1 src0=1 src1=0 src2=0
	v_mul_i32_i24_e32 v63 /*v319*/, v63 /*v319*/, v210
	v_mul_i32_i24_e32 v68 /*v324*/, v68 /*v324*/, v209
	v_add3_u32 v81 /*v337*/, v0 /*v256*/, v151, v241
	s_set_vgpr_msb 5                        ;  msbs: dst=0 src0=1 src1=1 src2=0
	v_mul_i32_i24_e32 v241, v44 /*v300*/, v59 /*v315*/
	s_set_vgpr_msb 0x45                     ;  msbs: dst=1 src0=1 src1=1 src2=0
	v_mul_i32_i24_e32 v0 /*v256*/, v62 /*v318*/, v103 /*v359*/
	s_set_vgpr_msb 0x41                     ;  msbs: dst=1 src0=1 src1=0 src2=0
	v_mul_i32_i24_e32 v56 /*v312*/, v56 /*v312*/, v210
	v_mul_i32_i24_e32 v57 /*v313*/, v57 /*v313*/, v209
	v_add3_u32 v82 /*v338*/, v1 /*v257*/, v153, v227
	s_set_vgpr_msb 0x45                     ;  msbs: dst=1 src0=1 src1=1 src2=0
	v_mul_i32_i24_e32 v1 /*v257*/, v89 /*v345*/, v59 /*v315*/
	v_mul_i32_i24_e32 v83 /*v339*/, v100 /*v356*/, v103 /*v359*/
	s_set_vgpr_msb 0x51                     ;  msbs: dst=1 src0=1 src1=0 src2=1
	v_add3_u32 v35 /*v291*/, v35 /*v291*/, v228, v50 /*v306*/
	v_mul_i32_i24_e32 v50 /*v306*/, v89 /*v345*/, v237
	v_mul_i32_i24_e32 v85 /*v341*/, v100 /*v356*/, v249
	s_set_vgpr_msb 0x41                     ;  msbs: dst=1 src0=1 src1=0 src2=0
	v_add3_u32 v41 /*v297*/, v41 /*v297*/, v245, v248
	s_set_vgpr_msb 0x45                     ;  msbs: dst=1 src0=1 src1=1 src2=0
	v_mul_i32_i24_e32 v108 /*v364*/, v89 /*v345*/, v132 /*v388*/
	v_mul_i32_i24_e32 v111 /*v367*/, v100 /*v356*/, v51 /*v307*/
	s_set_vgpr_msb 0x41                     ;  msbs: dst=1 src0=1 src1=0 src2=0
	v_mul_i32_i24_e32 v97 /*v353*/, v97 /*v353*/, v210
	v_mul_i32_i24_e32 v101 /*v357*/, v101 /*v357*/, v209
	s_set_vgpr_msb 0x55                     ;  msbs: dst=1 src0=1 src1=1 src2=1
	v_add3_u32 v113 /*v369*/, v3 /*v259*/, v2 /*v258*/, v7 /*v263*/
	v_mul_i32_i24_e32 v115 /*v371*/, v93 /*v349*/, v59 /*v315*/
	s_set_vgpr_msb 0x41                     ;  msbs: dst=1 src0=1 src1=0 src2=0
	v_mul_i32_i24_e32 v46 /*v302*/, v46 /*v302*/, v210
	v_mul_i32_i24_e32 v84 /*v340*/, v84 /*v340*/, v210
	;; [unrolled: 1-line block ×5, first 2 shown]
	s_set_vgpr_msb 0x44                     ;  msbs: dst=1 src0=0 src1=1 src2=0
	v_mul_i32_i24_e32 v88 /*v344*/, v214, v88 /*v344*/
	s_set_vgpr_msb 0x45                     ;  msbs: dst=1 src0=1 src1=1 src2=0
	v_mul_i32_i24_e32 v124 /*v380*/, v93 /*v349*/, v132 /*v388*/
	s_set_vgpr_msb 0x44                     ;  msbs: dst=1 src0=0 src1=1 src2=0
	v_mul_i32_i24_e32 v128 /*v384*/, v213, v33 /*v289*/
	s_set_vgpr_msb 0x45                     ;  msbs: dst=1 src0=1 src1=1 src2=0
	v_mul_i32_i24_e32 v33 /*v289*/, v104 /*v360*/, v51 /*v307*/
	s_set_vgpr_msb 0x51                     ;  msbs: dst=1 src0=1 src1=0 src2=1
	v_add3_u32 v130 /*v386*/, v4 /*v260*/, v144, v14 /*v270*/
	v_mul_i32_i24_e32 v131 /*v387*/, v44 /*v300*/, v237
	v_mul_i32_i24_e32 v135 /*v391*/, v62 /*v318*/, v249
	s_set_vgpr_msb 0x55                     ;  msbs: dst=1 src0=1 src1=1 src2=1
	v_add3_u32 v65 /*v321*/, v25 /*v281*/, v65 /*v321*/, v66 /*v322*/
	v_mul_i32_i24_e32 v66 /*v322*/, v44 /*v300*/, v132 /*v388*/
	v_mul_i32_i24_e32 v136 /*v392*/, v62 /*v318*/, v51 /*v307*/
	;; [unrolled: 1-line block ×4, first 2 shown]
	s_set_vgpr_msb 0x54                     ;  msbs: dst=1 src0=0 src1=1 src2=1
	v_add3_u32 v139 /*v395*/, v231, v8 /*v264*/, v39 /*v295*/
	s_set_vgpr_msb 64                       ;  msbs: dst=1 src0=0 src1=0 src2=0
	v_add3_u32 v39 /*v295*/, v224, v222, v217
	s_set_vgpr_msb 0x44                     ;  msbs: dst=1 src0=0 src1=1 src2=0
	v_add3_u32 v45 /*v301*/, v218, v45 /*v301*/, v254
	s_set_vgpr_msb 0                        ;  msbs: dst=0 src0=0 src1=0 src2=0
	v_add3_u32 v108, v143, v108, v216
	s_set_vgpr_msb 16                       ;  msbs: dst=0 src0=0 src1=0 src2=1
	v_add3_u32 v105, v148, v253, v10 /*v266*/
	v_mul_i32_i24_e32 v150, v103, v208
	s_set_vgpr_msb 20                       ;  msbs: dst=0 src0=0 src1=1 src2=1
	v_add3_u32 v103, v226, v27 /*v283*/, v26 /*v282*/
	s_set_vgpr_msb 0x45                     ;  msbs: dst=1 src0=1 src1=1 src2=0
	v_mul_i32_i24_e32 v112 /*v368*/, v60 /*v316*/, v53 /*v309*/
	v_mul_i32_i24_e32 v121 /*v377*/, v61 /*v317*/, v134 /*v390*/
	s_set_vgpr_msb 5                        ;  msbs: dst=0 src0=1 src1=1 src2=0
	v_mul_i32_i24_e32 v141, v5 /*v261*/, v132 /*v388*/
	v_mul_i32_i24_e32 v142, v12 /*v268*/, v53 /*v309*/
	s_set_vgpr_msb 0x51                     ;  msbs: dst=1 src0=1 src1=0 src2=1
	v_add3_u32 v55 /*v311*/, v55 /*v311*/, v235, v6 /*v262*/
	s_set_vgpr_msb 0x45                     ;  msbs: dst=1 src0=1 src1=1 src2=0
	v_mul_i32_i24_e32 v140 /*v396*/, v114 /*v370*/, v59 /*v315*/
	v_mul_i32_i24_e32 v141 /*v397*/, v87 /*v343*/, v103 /*v359*/
	s_set_vgpr_msb 0x44                     ;  msbs: dst=1 src0=0 src1=1 src2=0
	v_add3_u32 v142 /*v398*/, v223, v52 /*v308*/, v215
	s_set_vgpr_msb 0x41                     ;  msbs: dst=1 src0=1 src1=0 src2=0
	v_mul_i32_i24_e32 v143 /*v399*/, v95 /*v351*/, v237
	s_set_vgpr_msb 5                        ;  msbs: dst=0 src0=1 src1=1 src2=0
	v_mul_i32_i24_e32 v143, v126 /*v382*/, v17 /*v273*/
	s_set_vgpr_msb 4                        ;  msbs: dst=0 src0=0 src1=1 src2=0
	v_mul_i32_i24_e32 v144, v117, v19 /*v275*/
	s_set_vgpr_msb 64                       ;  msbs: dst=1 src0=0 src1=0 src2=0
	v_add3_u32 v67 /*v323*/, v220, v147, v233
	s_set_vgpr_msb 5                        ;  msbs: dst=0 src0=1 src1=1 src2=0
	v_mul_i32_i24_e32 v145, v126 /*v382*/, v53 /*v309*/
	s_set_vgpr_msb 4                        ;  msbs: dst=0 src0=0 src1=1 src2=0
	v_mul_i32_i24_e32 v148, v117, v134 /*v390*/
	s_set_vgpr_msb 0                        ;  msbs: dst=0 src0=0 src1=0 src2=0
	v_mul_i32_i24_e32 v149, v252, v207
	v_mul_i32_i24_e32 v146, v246, v207
	s_set_vgpr_msb 1                        ;  msbs: dst=0 src0=1 src1=0 src2=0
	v_mul_i32_i24_e32 v147, v43 /*v299*/, v207
	s_set_vgpr_msb 5                        ;  msbs: dst=0 src0=1 src1=1 src2=0
	v_mul_i32_i24_e32 v207, v129 /*v385*/, v17 /*v273*/
	s_set_vgpr_msb 0                        ;  msbs: dst=0 src0=0 src1=0 src2=0
	v_mul_i32_i24_e32 v152, v101, v208
	v_mul_i32_i24_e32 v153, v99, v208
	s_set_vgpr_msb 4                        ;  msbs: dst=0 src0=0 src1=1 src2=0
	v_mul_i32_i24_e32 v210, v113, v19 /*v275*/
	v_mul_i32_i24_e32 v151, v211, v37 /*v293*/
	s_set_vgpr_msb 5                        ;  msbs: dst=0 src0=1 src1=1 src2=0
	v_mul_i32_i24_e32 v211, v129 /*v385*/, v53 /*v309*/
	s_set_vgpr_msb 4                        ;  msbs: dst=0 src0=0 src1=1 src2=0
	v_mul_i32_i24_e32 v208, v212, v91 /*v347*/
	v_mul_i32_i24_e32 v217, v113, v134 /*v390*/
	s_set_vgpr_msb 5                        ;  msbs: dst=0 src0=1 src1=1 src2=0
	v_mul_i32_i24_e32 v209, v60 /*v316*/, v109 /*v365*/
	s_set_vgpr_msb 1                        ;  msbs: dst=0 src0=1 src1=0 src2=0
	v_mul_i32_i24_e32 v212, v61 /*v317*/, v109
	s_set_vgpr_msb 20                       ;  msbs: dst=0 src0=0 src1=1 src2=1
	v_add3_u32 v101, v225, v23 /*v279*/, v20 /*v276*/
	v_mul_i32_i24_e32 v213, v219, v59 /*v315*/
	v_mul_i32_i24_e32 v214, v221, v103 /*v359*/
	s_set_vgpr_msb 0                        ;  msbs: dst=0 src0=0 src1=0 src2=0
	v_mul_i32_i24_e32 v215, v219, v237
	v_mul_i32_i24_e32 v218, v221, v249
	s_set_vgpr_msb 4                        ;  msbs: dst=0 src0=0 src1=1 src2=0
	v_mul_i32_i24_e32 v216, v219, v132 /*v388*/
	s_set_vgpr_msb 5                        ;  msbs: dst=0 src0=1 src1=1 src2=0
	v_mul_i32_i24_e32 v220, v144 /*v400*/, v17 /*v273*/
	s_set_vgpr_msb 4                        ;  msbs: dst=0 src0=0 src1=1 src2=0
	v_mul_i32_i24_e32 v219, v221, v51 /*v307*/
	v_mul_i32_i24_e32 v221, v107, v19 /*v275*/
	s_set_vgpr_msb 0x55                     ;  msbs: dst=1 src0=1 src1=1 src2=1
	v_add3_u32 v132 /*v388*/, v24 /*v280*/, v54 /*v310*/, v47 /*v303*/
	s_set_vgpr_msb 5                        ;  msbs: dst=0 src0=1 src1=1 src2=0
	v_mul_i32_i24_e32 v224, v144 /*v400*/, v109 /*v365*/
	s_set_vgpr_msb 0                        ;  msbs: dst=0 src0=0 src1=0 src2=0
	v_mul_i32_i24_e32 v225, v107, v109
	s_set_vgpr_msb 0x54                     ;  msbs: dst=1 src0=0 src1=1 src2=1
	v_add3_u32 v191 /*v447*/, v236, v64 /*v320*/, v58 /*v314*/
	s_set_vgpr_msb 5                        ;  msbs: dst=0 src0=1 src1=1 src2=0
	v_mul_i32_i24_e32 v226, v126 /*v382*/, v109 /*v365*/
	s_set_vgpr_msb 0                        ;  msbs: dst=0 src0=0 src1=0 src2=0
	v_add3_u32 v235, v230, v234, v232
	s_set_vgpr_msb 5                        ;  msbs: dst=0 src0=1 src1=1 src2=0
	v_mul_i32_i24_e32 v228, v129 /*v385*/, v109 /*v365*/
	s_set_vgpr_msb 64                       ;  msbs: dst=1 src0=0 src1=0 src2=0
	v_add3_u32 v192 /*v448*/, v239, v243, v251
	s_set_vgpr_msb 21                       ;  msbs: dst=0 src0=1 src1=1 src2=1
	v_mul_i32_i24_e32 v230, v145 /*v401*/, v109 /*v365*/
	v_add3_u32 v246, v40 /*v296*/, v75 /*v331*/, v80 /*v336*/
	v_mul_i32_i24_e32 v232, v146 /*v402*/, v109 /*v365*/
	s_set_vgpr_msb 0                        ;  msbs: dst=0 src0=0 src1=0 src2=0
	v_add3_u32 v251, v244, v242, v247
	s_set_vgpr_msb 5                        ;  msbs: dst=0 src0=1 src1=1 src2=0
	v_mul_i32_i24_e32 v234, v145 /*v401*/, v17 /*v273*/
	s_set_vgpr_msb 0x55                     ;  msbs: dst=1 src0=1 src1=1 src2=1
	v_add3_u32 v193 /*v449*/, v11 /*v267*/, v68 /*v324*/, v63 /*v319*/
	s_set_vgpr_msb 5                        ;  msbs: dst=0 src0=1 src1=1 src2=0
	v_mul_i32_i24_e32 v242, v145 /*v401*/, v53 /*v309*/
	s_set_vgpr_msb 0x44                     ;  msbs: dst=1 src0=0 src1=1 src2=0
	v_add3_u32 v3 /*v259*/, v255, v0 /*v256*/, v241
	s_set_vgpr_msb 4                        ;  msbs: dst=0 src0=0 src1=1 src2=0
	v_mul_i32_i24_e32 v238, v238, v9 /*v265*/
	s_set_vgpr_msb 5                        ;  msbs: dst=0 src0=1 src1=1 src2=0
	v_mul_i32_i24_e32 v241, v44 /*v300*/, v9 /*v265*/
	v_mul_i32_i24_e32 v243, v62 /*v318*/, v13 /*v269*/
	v_mul_i32_i24_e32 v244, v89 /*v345*/, v9 /*v265*/
	v_mul_i32_i24_e32 v247, v100 /*v356*/, v13 /*v269*/
	s_set_vgpr_msb 0x55                     ;  msbs: dst=1 src0=1 src1=1 src2=1
	v_add3_u32 v194 /*v450*/, v16 /*v272*/, v57 /*v313*/, v56 /*v312*/
	v_add3_u32 v24 /*v280*/, v31 /*v287*/, v83 /*v339*/, v1 /*v257*/
	v_mul_i32_i24_e32 v0 /*v256*/, v93 /*v349*/, v9 /*v265*/
	v_add3_u32 v58 /*v314*/, v81 /*v337*/, v85 /*v341*/, v50 /*v306*/
	v_add3_u32 v62 /*v318*/, v82 /*v338*/, v111 /*v367*/, v108 /*v364*/
	v_mul_i32_i24_e32 v8 /*v264*/, v114 /*v370*/, v9 /*v265*/
	v_mul_i32_i24_e32 v10 /*v266*/, v87 /*v343*/, v13 /*v269*/
	;; [unrolled: 1-line block ×5, first 2 shown]
	v_add3_u32 v95 /*v351*/, v35 /*v291*/, v101 /*v357*/, v97 /*v353*/
	v_add3_u32 v75 /*v331*/, v41 /*v297*/, v117 /*v373*/, v115 /*v371*/
	;; [unrolled: 1-line block ×7, first 2 shown]
	s_set_vgpr_msb 0x54                     ;  msbs: dst=1 src0=0 src1=1 src2=1
	v_add3_u32 v117 /*v373*/, v108, v128 /*v384*/, v88 /*v344*/
	s_set_vgpr_msb 0x55                     ;  msbs: dst=1 src0=1 src1=1 src2=1
	v_add3_u32 v116 /*v372*/, v72 /*v328*/, v135 /*v391*/, v131 /*v387*/
	v_add3_u32 v118 /*v374*/, v78 /*v334*/, v136 /*v392*/, v66 /*v322*/
	s_set_vgpr_msb 0x54                     ;  msbs: dst=1 src0=0 src1=1 src2=1
	v_add3_u32 v115 /*v371*/, v105, v138 /*v394*/, v137 /*v393*/
	s_set_vgpr_msb 0x41                     ;  msbs: dst=1 src0=1 src1=0 src2=0
	v_mul_i32_i24_e32 v65 /*v321*/, v148 /*v404*/, v110
	s_set_vgpr_msb 0x44                     ;  msbs: dst=1 src0=0 src1=1 src2=0
	v_mul_i32_i24_e32 v83 /*v339*/, v110, v165 /*v421*/
	v_mul_i32_i24_e32 v88 /*v344*/, v110, v162 /*v418*/
	s_set_vgpr_msb 0x45                     ;  msbs: dst=1 src0=1 src1=1 src2=0
	v_mul_i32_i24_e32 v87 /*v343*/, v145 /*v401*/, v34 /*v290*/
	s_set_vgpr_msb 0x54                     ;  msbs: dst=1 src0=0 src1=1 src2=1
	v_mul_i32_i24_e32 v100 /*v356*/, v110, v163 /*v419*/
	v_add3_u32 v145 /*v401*/, v103, v133 /*v389*/, v177 /*v433*/
	s_set_vgpr_msb 0x41                     ;  msbs: dst=1 src0=1 src1=0 src2=0
	v_mul_i32_i24_e32 v101 /*v357*/, v166 /*v422*/, v110
	v_mul_i32_i24_e32 v133 /*v389*/, v167 /*v423*/, v110
	s_set_vgpr_msb 64                       ;  msbs: dst=1 src0=0 src1=0 src2=0
	v_mul_i32_i24_e32 v135 /*v391*/, v112, v110
	s_set_vgpr_msb 0x44                     ;  msbs: dst=1 src0=0 src1=1 src2=0
	v_mul_i32_i24_e32 v136 /*v392*/, v112, v99 /*v355*/
	v_mul_i32_i24_e32 v137 /*v393*/, v112, v105 /*v361*/
	s_set_vgpr_msb 5                        ;  msbs: dst=0 src0=1 src1=1 src2=0
	v_dual_lshrrev_b32 v110, 16, v152 /*v408*/ :: v_dual_lshrrev_b32 v112, 16, v149 /*v405*/
	v_mul_i32_i24_e32 v131, v127 /*v383*/, v71 /*v327*/
	v_mul_i32_i24_e32 v127, v30 /*v286*/, v19 /*v275*/
	s_set_vgpr_msb 1                        ;  msbs: dst=0 src0=1 src1=0 src2=0
	v_mul_i32_i24_e32 v128, v32 /*v288*/, v249
	s_set_vgpr_msb 5                        ;  msbs: dst=0 src0=1 src1=1 src2=0
	v_mul_i32_i24_e32 v129, v148 /*v404*/, v99 /*v355*/
	v_mul_i32_i24_e32 v139, v119 /*v375*/, v73 /*v329*/
	;; [unrolled: 1-line block ×5, first 2 shown]
	s_set_vgpr_msb 20                       ;  msbs: dst=0 src0=0 src1=1 src2=1
	v_add3_u32 v99, v229, v28 /*v284*/, v29 /*v285*/
	s_set_vgpr_msb 5                        ;  msbs: dst=0 src0=1 src1=1 src2=0
	v_mul_i32_i24_e32 v222, v144 /*v400*/, v53 /*v309*/
	s_set_vgpr_msb 0                        ;  msbs: dst=0 src0=0 src1=0 src2=0
	v_mul_i32_i24_e32 v227, v117, v109
	v_mul_i32_i24_e32 v231, v111, v109
	;; [unrolled: 1-line block ×3, first 2 shown]
	s_set_vgpr_msb 20                       ;  msbs: dst=0 src0=0 src1=1 src2=1
	v_mul_i32_i24_e32 v236, v111, v19 /*v275*/
	v_add3_u32 v253, v250, v38 /*v294*/, v79 /*v335*/
	s_set_vgpr_msb 5                        ;  msbs: dst=0 src0=1 src1=1 src2=0
	v_mul_i32_i24_e32 v237, v146 /*v402*/, v17 /*v273*/
	s_set_vgpr_msb 4                        ;  msbs: dst=0 src0=0 src1=1 src2=0
	v_mul_i32_i24_e32 v239, v115, v19 /*v275*/
	v_mul_i32_i24_e32 v245, v111, v134 /*v390*/
	s_set_vgpr_msb 5                        ;  msbs: dst=0 src0=1 src1=1 src2=0
	v_mul_i32_i24_e32 v248, v146 /*v402*/, v53 /*v309*/
	s_set_vgpr_msb 4                        ;  msbs: dst=0 src0=0 src1=1 src2=0
	v_mul_i32_i24_e32 v240, v240, v13 /*v269*/
	s_set_vgpr_msb 5                        ;  msbs: dst=0 src0=1 src1=1 src2=0
	v_mul_i32_i24_e32 v249, v153 /*v409*/, v70 /*v326*/
	v_mul_i32_i24_e32 v252, v154 /*v410*/, v71 /*v327*/
	;; [unrolled: 1-line block ×4, first 2 shown]
	s_set_vgpr_msb 0x45                     ;  msbs: dst=1 src0=1 src1=1 src2=0
	v_mul_i32_i24_e32 v1 /*v257*/, v104 /*v360*/, v13 /*v269*/
	v_mul_i32_i24_e32 v2 /*v258*/, v155 /*v411*/, v70 /*v326*/
	;; [unrolled: 1-line block ×6, first 2 shown]
	s_set_vgpr_msb 0x44                     ;  msbs: dst=1 src0=0 src1=1 src2=0
	v_mul_i32_i24_e32 v11 /*v267*/, v106, v119 /*v375*/
	s_set_vgpr_msb 0x45                     ;  msbs: dst=1 src0=1 src1=1 src2=0
	v_mul_i32_i24_e32 v14 /*v270*/, v69 /*v325*/, v127 /*v383*/
	v_mul_i32_i24_e32 v13 /*v269*/, v96 /*v352*/, v13 /*v269*/
	s_set_vgpr_msb 0x41                     ;  msbs: dst=1 src0=1 src1=0 src2=0
	v_mul_i32_i24_e32 v16 /*v272*/, v21 /*v277*/, v109
	s_set_vgpr_msb 0x45                     ;  msbs: dst=1 src0=1 src1=1 src2=0
	v_mul_i32_i24_e32 v17 /*v273*/, v18 /*v274*/, v17 /*v273*/
	v_mul_i32_i24_e32 v19 /*v275*/, v21 /*v277*/, v19 /*v275*/
	;; [unrolled: 1-line block ×5, first 2 shown]
	s_set_vgpr_msb 0x44                     ;  msbs: dst=1 src0=0 src1=1 src2=0
	v_mul_i32_i24_e32 v26 /*v282*/, v106, v157 /*v413*/
	s_set_vgpr_msb 0x45                     ;  msbs: dst=1 src0=1 src1=1 src2=0
	v_mul_i32_i24_e32 v27 /*v283*/, v69 /*v325*/, v158 /*v414*/
	s_set_vgpr_msb 0x41                     ;  msbs: dst=1 src0=1 src1=0 src2=0
	v_mul_i32_i24_e32 v53 /*v309*/, v107 /*v363*/, v104
	s_set_vgpr_msb 0x45                     ;  msbs: dst=1 src0=1 src1=1 src2=0
	v_mul_i32_i24_e32 v50 /*v306*/, v32 /*v288*/, v103 /*v359*/
	s_set_vgpr_msb 0x41                     ;  msbs: dst=1 src0=1 src1=0 src2=0
	v_mul_i32_i24_e32 v63 /*v319*/, v107 /*v363*/, v102
	;; [unrolled: 4-line block ×3, first 2 shown]
	s_set_vgpr_msb 0x45                     ;  msbs: dst=1 src0=1 src1=1 src2=0
	v_mul_i32_i24_e32 v66 /*v322*/, v146 /*v402*/, v34 /*v290*/
	v_mul_i32_i24_e32 v79 /*v335*/, v125 /*v381*/, v107 /*v363*/
	;; [unrolled: 1-line block ×3, first 2 shown]
	s_set_vgpr_msb 0x54                     ;  msbs: dst=1 src0=0 src1=1 src2=1
	v_mul_i32_i24_e32 v81 /*v337*/, v116, v125 /*v381*/
	v_mul_i32_i24_e32 v84 /*v340*/, v117, v36 /*v292*/
	v_add3_u32 v144 /*v400*/, v101, v147 /*v403*/, v102 /*v358*/
	s_set_vgpr_msb 64                       ;  msbs: dst=1 src0=0 src1=0 src2=0
	v_mul_i32_i24_e32 v85 /*v341*/, v116, v104
	v_mul_i32_i24_e32 v91 /*v347*/, v116, v102
	s_set_vgpr_msb 0x44                     ;  msbs: dst=1 src0=0 src1=1 src2=0
	v_mul_i32_i24_e32 v93 /*v349*/, v111, v36 /*v292*/
	s_set_vgpr_msb 0x55                     ;  msbs: dst=1 src0=1 src1=1 src2=1
	v_add3_u32 v146 /*v402*/, v132 /*v388*/, v110 /*v366*/, v98 /*v354*/
	s_set_vgpr_msb 0x41                     ;  msbs: dst=1 src0=1 src1=0 src2=0
	v_mul_i32_i24_e32 v103 /*v359*/, v168 /*v424*/, v116
	s_set_vgpr_msb 0x55                     ;  msbs: dst=1 src0=1 src1=1 src2=1
	v_add3_u32 v147 /*v403*/, v191 /*v447*/, v112 /*v368*/, v121 /*v377*/
	s_set_vgpr_msb 64                       ;  msbs: dst=1 src0=0 src1=0 src2=0
	v_mul_i32_i24_e32 v96 /*v352*/, v116, v114
	s_set_vgpr_msb 0x44                     ;  msbs: dst=1 src0=0 src1=1 src2=0
	v_mul_i32_i24_e32 v97 /*v353*/, v114, v42 /*v298*/
	v_mul_i32_i24_e32 v98 /*v354*/, v114, v107 /*v363*/
	s_set_vgpr_msb 0x45                     ;  msbs: dst=1 src0=1 src1=1 src2=0
	v_mul_i32_i24_e32 v112 /*v368*/, v168 /*v424*/, v107 /*v363*/
	s_set_vgpr_msb 1                        ;  msbs: dst=0 src0=1 src1=0 src2=0
	v_cvt_f32_f16_e64 v108, v149 /*v405*/
	s_set_vgpr_msb 0                        ;  msbs: dst=0 src0=0 src1=0 src2=0
	v_cvt_f32_f16_e32 v111, v110
	v_cvt_f32_f16_e32 v110, v112
	s_set_vgpr_msb 0x55                     ;  msbs: dst=1 src0=1 src1=1 src2=1
	v_add3_u32 v149 /*v405*/, v193 /*v449*/, v187 /*v443*/, v188 /*v444*/
	s_set_vgpr_msb 1                        ;  msbs: dst=0 src0=1 src1=0 src2=0
	v_cvt_f32_f16_e64 v112, v150 /*v406*/
	s_set_vgpr_msb 4                        ;  msbs: dst=0 src0=0 src1=1 src2=0
	v_lshrrev_b32_e32 v114, 16, v151 /*v407*/
	v_cvt_f32_f16_e32 v117, v119
	s_set_vgpr_msb 0                        ;  msbs: dst=0 src0=0 src1=0 src2=0
	v_lshrrev_b32_e32 v119, 16, v119
	s_set_vgpr_msb 64                       ;  msbs: dst=1 src0=0 src1=0 src2=0
	v_mul_i32_i24_e32 v102 /*v358*/, v100, v116
	s_set_vgpr_msb 0x44                     ;  msbs: dst=1 src0=0 src1=1 src2=0
	v_mul_i32_i24_e32 v110 /*v366*/, v100, v107 /*v363*/
	s_set_vgpr_msb 0x55                     ;  msbs: dst=1 src0=1 src1=1 src2=1
	v_mul_i32_i24_e32 v107 /*v363*/, v148 /*v404*/, v90 /*v346*/
	v_add3_u32 v148 /*v404*/, v192 /*v448*/, v185 /*v441*/, v186 /*v442*/
	s_set_vgpr_msb 4                        ;  msbs: dst=0 src0=0 src1=1 src2=0
	v_lshrrev_b32_e32 v116, 16, v150 /*v406*/
	s_set_vgpr_msb 0x55                     ;  msbs: dst=1 src0=1 src1=1 src2=1
	v_add3_u32 v150 /*v406*/, v194 /*v450*/, v189 /*v445*/, v190 /*v446*/
	s_set_vgpr_msb 1                        ;  msbs: dst=0 src0=1 src1=0 src2=0
	v_add3_u32 v143, v58 /*v314*/, v143, v144
	v_add3_u32 v144, v62 /*v318*/, v145, v148
	;; [unrolled: 1-line block ×9, first 2 shown]
	s_set_vgpr_msb 0                        ;  msbs: dst=0 src0=0 src1=0 src2=0
	v_add3_u32 v150, v235, v209, v212
	v_add3_u32 v151, v246, v214, v213
	;; [unrolled: 1-line block ×3, first 2 shown]
	s_set_vgpr_msb 1                        ;  msbs: dst=0 src0=1 src1=0 src2=0
	v_add3_u32 v153, v116 /*v372*/, v220, v221
	v_add3_u32 v208, v3 /*v259*/, v224, v225
	s_set_vgpr_msb 5                        ;  msbs: dst=0 src0=1 src1=1 src2=0
	v_mul_i32_i24_e32 v132, v120 /*v376*/, v42 /*v298*/
	v_mul_i32_i24_e32 v135, v30 /*v286*/, v134 /*v390*/
	;; [unrolled: 1-line block ×3, first 2 shown]
	s_set_vgpr_msb 4                        ;  msbs: dst=0 src0=0 src1=1 src2=0
	v_mul_i32_i24_e32 v223, v107, v134 /*v390*/
	s_set_vgpr_msb 0                        ;  msbs: dst=0 src0=0 src1=0 src2=0
	v_mul_i32_i24_e32 v229, v113, v109
	s_set_vgpr_msb 4                        ;  msbs: dst=0 src0=0 src1=1 src2=0
	v_mul_i32_i24_e32 v250, v115, v134 /*v390*/
	s_set_vgpr_msb 0x45                     ;  msbs: dst=1 src0=1 src1=1 src2=0
	v_mul_i32_i24_e32 v21 /*v277*/, v21 /*v277*/, v134 /*v390*/
	v_mul_i32_i24_e32 v29 /*v285*/, v69 /*v325*/, v154 /*v410*/
	;; [unrolled: 1-line block ×3, first 2 shown]
	s_set_vgpr_msb 0x41                     ;  msbs: dst=1 src0=1 src1=0 src2=0
	v_mul_i32_i24_e32 v35 /*v291*/, v159 /*v415*/, v106
	s_set_vgpr_msb 0x55                     ;  msbs: dst=1 src0=1 src1=1 src2=1
	v_mul_i32_i24_e32 v37 /*v293*/, v160 /*v416*/, v69 /*v325*/
	v_mul_i32_i24_e32 v39 /*v295*/, v164 /*v420*/, v69 /*v325*/
	;; [unrolled: 1-line block ×4, first 2 shown]
	v_add3_u32 v123 /*v379*/, v55 /*v311*/, v141 /*v397*/, v140 /*v396*/
	v_add3_u32 v124 /*v380*/, v67 /*v323*/, v178 /*v434*/, v143 /*v399*/
	s_set_vgpr_msb 0x41                     ;  msbs: dst=1 src0=1 src1=0 src2=0
	v_mul_i32_i24_e32 v56 /*v312*/, v30 /*v286*/, v109
	s_set_vgpr_msb 0x55                     ;  msbs: dst=1 src0=1 src1=1 src2=1
	v_mul_i32_i24_e32 v60 /*v316*/, v60 /*v316*/, v34 /*v290*/
	v_add3_u32 v134 /*v390*/, v139 /*v395*/, v180 /*v436*/, v179 /*v435*/
	s_set_vgpr_msb 0x44                     ;  msbs: dst=1 src0=0 src1=1 src2=0
	v_mul_i32_i24_e32 v68 /*v324*/, v115, v36 /*v292*/
	s_set_vgpr_msb 0x41                     ;  msbs: dst=1 src0=1 src1=0 src2=0
	v_mul_i32_i24_e32 v67 /*v323*/, v77 /*v333*/, v106
	s_set_vgpr_msb 0x45                     ;  msbs: dst=1 src0=1 src1=1 src2=0
	v_mul_i32_i24_e32 v69 /*v325*/, v76 /*v332*/, v69 /*v325*/
	v_mul_i32_i24_e32 v70 /*v326*/, v77 /*v333*/, v70 /*v326*/
	;; [unrolled: 1-line block ×3, first 2 shown]
	s_set_vgpr_msb 0x54                     ;  msbs: dst=1 src0=0 src1=1 src2=1
	v_add3_u32 v139 /*v395*/, v99, v182 /*v438*/, v181 /*v437*/
	v_mul_i32_i24_e32 v80 /*v336*/, v107, v36 /*v292*/
	s_set_vgpr_msb 0x55                     ;  msbs: dst=1 src0=1 src1=1 src2=1
	v_add3_u32 v143 /*v399*/, v142 /*v398*/, v184 /*v440*/, v183 /*v439*/
	v_mul_i32_i24_e32 v82 /*v338*/, v126 /*v382*/, v34 /*v290*/
	v_mul_i32_i24_e32 v86 /*v342*/, v129 /*v385*/, v34 /*v290*/
	s_set_vgpr_msb 0x44                     ;  msbs: dst=1 src0=0 src1=1 src2=0
	v_mul_i32_i24_e32 v89 /*v345*/, v113, v36 /*v292*/
	s_set_vgpr_msb 0                        ;  msbs: dst=0 src0=0 src1=0 src2=0
	v_add3_u32 v206, v253, v219, v216
	s_set_vgpr_msb 1                        ;  msbs: dst=0 src0=1 src1=0 src2=0
	v_add3_u32 v212, v115 /*v371*/, v232, v233
	v_add3_u32 v130, v145 /*v401*/, v130, v131
	;; [unrolled: 1-line block ×8, first 2 shown]
	s_set_vgpr_msb 0                        ;  msbs: dst=0 src0=0 src1=0 src2=0
	v_add3_u32 v142, v143, v249, v252
	v_add3_u32 v143, v144, v254, v255
	s_set_vgpr_msb 20                       ;  msbs: dst=0 src0=0 src1=1 src2=1
	v_add3_u32 v144, v145, v1 /*v257*/, v0 /*v256*/
	v_add3_u32 v145, v148, v2 /*v258*/, v4 /*v260*/
	;; [unrolled: 1-line block ×4, first 2 shown]
	s_set_vgpr_msb 0                        ;  msbs: dst=0 src0=0 src1=0 src2=0
	v_add3_u32 v121, v123, v121, v122
	s_set_vgpr_msb 20                       ;  msbs: dst=0 src0=0 src1=1 src2=1
	v_add3_u32 v122, v150, v11 /*v267*/, v14 /*v270*/
	v_add3_u32 v123, v125, v5 /*v261*/, v12 /*v268*/
	v_add3_u32 v125, v147, v13 /*v269*/, v9 /*v265*/
	v_add3_u32 v147, v151, v15 /*v271*/, v16 /*v272*/
	v_add3_u32 v149, v152, v17 /*v273*/, v19 /*v275*/
	v_add3_u32 v150, v153, v20 /*v276*/, v22 /*v278*/
	v_add3_u32 v153, v208, v26 /*v282*/, v27 /*v283*/
	s_set_vgpr_msb 0x45                     ;  msbs: dst=1 src0=1 src1=1 src2=0
	v_mul_i32_i24_e32 v23 /*v279*/, v157 /*v413*/, v73 /*v329*/
	v_mul_i32_i24_e32 v25 /*v281*/, v158 /*v414*/, v74 /*v330*/
	s_set_vgpr_msb 0x44                     ;  msbs: dst=1 src0=0 src1=1 src2=0
	v_mul_i32_i24_e32 v28 /*v284*/, v106, v153 /*v409*/
	v_mul_i32_i24_e32 v31 /*v287*/, v106, v155 /*v411*/
	s_set_vgpr_msb 0x41                     ;  msbs: dst=1 src0=1 src1=0 src2=0
	v_mul_i32_i24_e32 v38 /*v294*/, v161 /*v417*/, v106
	s_set_vgpr_msb 0x45                     ;  msbs: dst=1 src0=1 src1=1 src2=0
	v_mul_i32_i24_e32 v41 /*v297*/, v160 /*v416*/, v71 /*v327*/
	v_mul_i32_i24_e32 v44 /*v300*/, v164 /*v420*/, v71 /*v327*/
	;; [unrolled: 1-line block ×7, first 2 shown]
	s_set_vgpr_msb 0x41                     ;  msbs: dst=1 src0=1 src1=0 src2=0
	v_mul_i32_i24_e32 v47 /*v303*/, v42 /*v298*/, v104
	s_set_vgpr_msb 0x45                     ;  msbs: dst=1 src0=1 src1=1 src2=0
	v_mul_i32_i24_e32 v51 /*v307*/, v162 /*v418*/, v105 /*v361*/
	s_set_vgpr_msb 0x41                     ;  msbs: dst=1 src0=1 src1=0 src2=0
	v_mul_i32_i24_e32 v57 /*v313*/, v42 /*v298*/, v102
	s_set_vgpr_msb 0x45                     ;  msbs: dst=1 src0=1 src1=1 src2=0
	v_mul_i32_i24_e32 v71 /*v327*/, v77 /*v333*/, v73 /*v329*/
	v_mul_i32_i24_e32 v73 /*v329*/, v165 /*v421*/, v99 /*v355*/
	;; [unrolled: 1-line block ×4, first 2 shown]
	s_set_vgpr_msb 0x44                     ;  msbs: dst=1 src0=0 src1=1 src2=0
	v_mul_i32_i24_e32 v104 /*v360*/, v100, v42 /*v298*/
	s_set_vgpr_msb 0x45                     ;  msbs: dst=1 src0=1 src1=1 src2=0
	v_mul_i32_i24_e32 v106 /*v362*/, v168 /*v424*/, v42 /*v298*/
	v_mul_i32_i24_e32 v42 /*v298*/, v120 /*v376*/, v48 /*v304*/
	;; [unrolled: 1-line block ×3, first 2 shown]
	s_set_vgpr_msb 1                        ;  msbs: dst=0 src0=1 src1=0 src2=0
	v_cvt_f32_f16_e64 v101, v122 /*v378*/
	s_set_vgpr_msb 0x45                     ;  msbs: dst=1 src0=1 src1=1 src2=0
	v_mul_i32_i24_e32 v125 /*v381*/, v94 /*v350*/, v119 /*v375*/
	v_mul_i32_i24_e32 v126 /*v382*/, v159 /*v415*/, v94 /*v350*/
	;; [unrolled: 1-line block ×12, first 2 shown]
	s_set_vgpr_msb 1                        ;  msbs: dst=0 src0=1 src1=0 src2=0
	v_add3_u32 v207, v118 /*v374*/, v222, v223
	v_add3_u32 v209, v24 /*v280*/, v226, v227
	;; [unrolled: 1-line block ×8, first 2 shown]
	s_set_vgpr_msb 20                       ;  msbs: dst=0 src0=0 src1=1 src2=1
	v_add3_u32 v151, v206, v18 /*v274*/, v21 /*v277*/
	v_add3_u32 v208, v212, v35 /*v291*/, v37 /*v293*/
	s_set_vgpr_msb 0                        ;  msbs: dst=0 src0=0 src1=0 src2=0
	v_add3_u32 v127, v131, v127, v128
	v_add3_u32 v128, v130, v129, v132
	;; [unrolled: 1-line block ×4, first 2 shown]
	s_set_vgpr_msb 20                       ;  msbs: dst=0 src0=0 src1=1 src2=1
	v_add3_u32 v135, v139, v60 /*v316*/, v64 /*v320*/
	s_set_vgpr_msb 0                        ;  msbs: dst=0 src0=0 src1=0 src2=0
	v_add3_u32 v121, v121, v126, v124
	s_set_vgpr_msb 20                       ;  msbs: dst=0 src0=0 src1=1 src2=1
	v_add3_u32 v126, v123, v56 /*v312*/, v50 /*v306*/
	v_add3_u32 v136, v122, v65 /*v321*/, v61 /*v317*/
	;; [unrolled: 1-line block ×10, first 2 shown]
	s_set_vgpr_msb 0x45                     ;  msbs: dst=1 src0=1 src1=1 src2=0
	v_mul_i32_i24_e32 v55 /*v311*/, v163 /*v419*/, v99 /*v355*/
	v_mul_i32_i24_e32 v59 /*v315*/, v163 /*v419*/, v105 /*v361*/
	;; [unrolled: 1-line block ×3, first 2 shown]
	s_set_vgpr_msb 1                        ;  msbs: dst=0 src0=1 src1=0 src2=0
	v_cvt_f32_f16_e64 v107, v170 /*v426*/
	v_cvt_f32_f16_e64 v106, v171 /*v427*/
	s_set_vgpr_msb 0x41                     ;  msbs: dst=1 src0=1 src1=0 src2=0
	v_mul_i32_i24_e32 v34 /*v290*/, v48 /*v304*/, v104
	v_mul_i32_i24_e32 v32 /*v288*/, v48 /*v304*/, v102
	;; [unrolled: 1-line block ×3, first 2 shown]
	s_set_vgpr_msb 0x45                     ;  msbs: dst=1 src0=1 src1=1 src2=0
	v_mul_i32_i24_e32 v48 /*v304*/, v48 /*v304*/, v168 /*v424*/
	v_mul_i32_i24_e32 v138 /*v394*/, v166 /*v422*/, v99 /*v355*/
	v_mul_i32_i24_e32 v140 /*v396*/, v167 /*v423*/, v99 /*v355*/
	v_mul_i32_i24_e32 v142 /*v398*/, v166 /*v422*/, v105 /*v361*/
	v_mul_i32_i24_e32 v141 /*v397*/, v167 /*v423*/, v105 /*v361*/
	v_mul_i32_i24_e32 v105 /*v361*/, v167 /*v423*/, v90 /*v346*/
	v_mul_i32_i24_e32 v99 /*v355*/, v90 /*v346*/, v165 /*v421*/
	v_mul_i32_i24_e32 v94 /*v350*/, v90 /*v346*/, v162 /*v418*/
	v_mul_i32_i24_e32 v92 /*v348*/, v90 /*v346*/, v163 /*v419*/
	v_mul_i32_i24_e32 v90 /*v346*/, v90 /*v346*/, v166 /*v422*/
	s_set_vgpr_msb 20                       ;  msbs: dst=0 src0=0 src1=1 src2=1
	v_add3_u32 v152, v207, v23 /*v279*/, v25 /*v281*/
	v_add3_u32 v206, v209, v28 /*v284*/, v29 /*v285*/
	;; [unrolled: 1-line block ×13, first 2 shown]
	v_cvt_f32_i32_e32 v123, v128
	v_cvt_f32_i32_e32 v122, v127
	;; [unrolled: 1-line block ×4, first 2 shown]
	v_add3_u32 v129, v135, v125 /*v381*/, v131 /*v387*/
	v_add3_u32 v130, v137, v126 /*v382*/, v132 /*v388*/
	;; [unrolled: 1-line block ×7, first 2 shown]
	v_cvt_f32_i32_e32 v127, v136
	v_cvt_f32_i32_e32 v126, v126
	;; [unrolled: 1-line block ×4, first 2 shown]
	s_set_vgpr_msb 1                        ;  msbs: dst=0 src0=1 src1=0 src2=0
	v_cvt_f32_f16_e64 v103, v173 /*v429*/
	v_cvt_f32_f16_e64 v102, v174 /*v430*/
	s_set_vgpr_msb 0                        ;  msbs: dst=0 src0=0 src1=0 src2=0
	v_cvt_f32_f16_e32 v115, v114
	v_cvt_f32_f16_e32 v114, v116
	;; [unrolled: 1-line block ×3, first 2 shown]
	v_lshrrev_b32_e32 v118, 16, v118
	s_set_vgpr_msb 20                       ;  msbs: dst=0 src0=0 src1=1 src2=1
	v_add3_u32 v133, v145, v55 /*v311*/, v57 /*v313*/
	v_add3_u32 v134, v148, v59 /*v315*/, v63 /*v319*/
	;; [unrolled: 1-line block ×12, first 2 shown]
	v_cvt_f32_i32_e32 v209, v131
	v_cvt_f32_i32_e32 v131, v142
	s_set_vgpr_msb 0                        ;  msbs: dst=0 src0=0 src1=0 src2=0
	v_pk_fma_f32 v[80:81], v[80:81], v[122:123], v[94:95]
	s_set_vgpr_msb 20                       ;  msbs: dst=0 src0=0 src1=1 src2=1
	v_add3_u32 v122, v129, v107 /*v363*/, v42 /*v298*/
	s_set_vgpr_msb 0                        ;  msbs: dst=0 src0=0 src1=0 src2=0
	v_pk_fma_f32 v[88:89], v[88:89], v[126:127], v[106:107]
	s_set_vgpr_msb 20                       ;  msbs: dst=0 src0=0 src1=1 src2=1
	v_add3_u32 v106, v130, v105 /*v361*/, v48 /*v304*/
	v_cvt_f32_i32_e32 v130, v208
	v_add3_u32 v126, v140, v99 /*v355*/, v36 /*v292*/
	s_set_vgpr_msb 0                        ;  msbs: dst=0 src0=0 src1=0 src2=0
	v_fma_mix_f32 v123, v199, v121, v199 op_sel:[0,0,1] op_sel_hi:[1,0,1]
	s_set_vgpr_msb 20                       ;  msbs: dst=0 src0=0 src1=1 src2=1
	v_add3_u32 v121, v141, v94 /*v350*/, v34 /*v290*/
	v_add3_u32 v127, v144, v92 /*v348*/, v32 /*v288*/
	v_add3_u32 v140, v146, v90 /*v346*/, v30 /*v286*/
	v_cvt_f32_f16_e32 v99, v98
	s_set_vgpr_msb 1                        ;  msbs: dst=0 src0=1 src1=0 src2=0
	v_cvt_f32_f16_e64 v98, v169 /*v425*/
	v_cvt_f32_f16_e64 v100, v172 /*v428*/
	;; [unrolled: 1-line block ×6, first 2 shown]
	s_set_vgpr_msb 0                        ;  msbs: dst=0 src0=0 src1=0 src2=0
	v_cvt_f32_f16_e32 v119, v119
	v_cvt_f32_f16_e32 v118, v118
	v_cvt_f32_i32_e32 v210, v133
	v_cvt_f32_i32_e32 v211, v132
	;; [unrolled: 1-line block ×12, first 2 shown]
	v_pk_fma_f32 v[82:83], v[82:83], v[124:125], v[96:97]
	v_cvt_f32_i32_e32 v107, v138
	v_cvt_f32_i32_e32 v138, v143
	v_pk_add_f32 v[74:75], v[74:75], v[80:81]
	v_cvt_f32_i32_e32 v129, v122
	v_pk_add_f32 v[72:73], v[72:73], v[88:89]
	v_cvt_f32_i32_e32 v106, v106
	v_pk_fma_f32 v[80:81], v[90:91], v[130:131], v[102:103]
	v_cvt_f32_i32_e32 v88, v126
	v_cvt_f32_i32_e32 v89, v121
	v_cvt_f32_i32_e32 v90, v127
	v_cvt_f32_i32_e32 v91, v140
	v_fma_mix_f32 v94, v203, v209, v203 op_sel:[0,0,1] op_sel_hi:[1,0,1]
	v_fma_mix_f32 v95, v205, v210, v205 op_sel:[0,0,1] op_sel_hi:[1,0,1]
	;; [unrolled: 1-line block ×6, first 2 shown]
	v_pk_fma_f32 v[108:109], v[108:109], v[132:133], v[110:111]
	v_pk_fma_f32 v[110:111], v[112:113], v[134:135], v[114:115]
	;; [unrolled: 1-line block ×3, first 2 shown]
	v_pk_add_f32 v[76:77], v[76:77], v[82:83]
	v_pk_fma_f32 v[82:83], v[92:93], v[138:139], v[104:105]
	v_pk_fma_f32 v[84:85], v[84:85], v[128:129], v[98:99]
	v_pk_fma_f32 v[86:87], v[86:87], v[106:107], v[100:101]
	v_pk_add_f32 v[58:59], v[58:59], v[80:81]
	v_fma_mix_f32 v121, v195, v88, v195 op_sel:[0,0,1] op_sel_hi:[1,0,1]
	v_fma_mix_f32 v80, v196, v89, v196 op_sel:[0,0,1] op_sel_hi:[1,0,1]
	;; [unrolled: 1-line block ×4, first 2 shown]
	v_pk_add_f32 v[62:63], v[62:63], v[94:95]
	v_pk_add_f32 v[64:65], v[64:65], v[96:97]
	v_pk_add_f32 v[60:61], v[60:61], v[124:125]
	v_pk_add_f32 v[16:17], v[16:17], v[108:109]
	v_pk_add_f32 v[20:21], v[20:21], v[110:111]
	v_pk_add_f32 v[24:25], v[24:25], v[112:113]
	v_pk_add_f32 v[68:69], v[68:69], v[82:83]
	v_pk_add_f32 v[70:71], v[70:71], v[84:85]
	v_pk_add_f32 v[78:79], v[78:79], v[120:121]
	v_pk_add_f32 v[54:55], v[54:55], v[80:81]
	v_pk_add_f32 v[46:47], v[46:47], v[122:123]
	v_pk_add_f32 v[14:15], v[14:15], v[86:87]
	s_cbranch_scc1 .LBB140_8
; %bb.9:                                ;   in Loop: Header=BB140_6 Depth=1
	s_and_b32 s4, s7, -4
	s_delay_alu instid0(SALU_CYCLE_1)
	s_cmp_eq_u32 s4, 4
	s_barrier_signal -1
	s_barrier_wait -1
	s_cbranch_scc1 .LBB140_5
; %bb.10:                               ;   in Loop: Header=BB140_6 Depth=1
	v_dual_add_nc_u32 v80, s10, v166 :: v_dual_add_nc_u32 v96, 4, v187
	v_dual_mov_b32 v98, v185 :: v_dual_mov_b32 v99, v175
	v_dual_mov_b32 v100, v183 :: v_dual_mov_b32 v101, v181
	s_delay_alu instid0(VALU_DEP_3) | instskip(SKIP_3) | instid1(VALU_DEP_4)
	v_dual_add_nc_u32 v86, v80, v160 :: v_dual_add_nc_u32 v81, v80, v165
	v_dual_add_nc_u32 v82, v80, v158 :: v_dual_add_nc_u32 v84, v80, v159
	;; [unrolled: 1-line block ×4, first 2 shown]
	v_mad_nc_i64_i32 v[80:81], v81, 36, v[0:1]
	s_delay_alu instid0(VALU_DEP_4)
	v_mad_nc_i64_i32 v[82:83], v82, 36, v[0:1]
	v_mad_nc_i64_i32 v[84:85], v84, 36, v[0:1]
	;; [unrolled: 1-line block ×7, first 2 shown]
	v_mad_nc_u64_u32 v[96:97], v96, 36, s[2:3]
	s_clause 0x8
	global_load_b32 v105, v[80:81], off offset:4
	global_load_b32 v106, v[82:83], off offset:4
	;; [unrolled: 1-line block ×8, first 2 shown]
	global_load_b32 v113, v[96:97], off
	v_dual_mov_b32 v102, v179 :: v_dual_mov_b32 v103, v177
	v_mov_b32_e32 v104, v186
	s_mov_b32 s4, 12
	s_wait_loadcnt 0x8
	ds_store_b32 v173, v105
	s_wait_loadcnt 0x7
	ds_store_b32 v174, v106
	;; [unrolled: 2-line block ×9, first 2 shown]
	s_wait_dscnt 0x0
	s_barrier_signal -1
	s_barrier_wait -1
.LBB140_11:                             ;   Parent Loop BB140_6 Depth=1
                                        ; =>  This Inner Loop Header: Depth=2
	ds_load_2addr_b32 v[80:81], v99 offset0:1 offset1:2
	ds_load_2addr_b32 v[82:83], v99 offset0:5 offset1:6
	ds_load_2addr_b32 v[86:87], v99 offset1:3
	ds_load_2addr_b32 v[88:89], v99 offset0:4 offset1:7
	ds_load_2addr_b32 v[84:85], v98 offset1:32
	s_add_co_i32 s4, s4, 4
	s_delay_alu instid0(SALU_CYCLE_1)
	s_cmp_lt_u32 s4, 28
	s_wait_dscnt 0x3
	s_set_vgpr_msb 64                       ;  msbs: dst=1 src0=0 src1=0 src2=0
	v_dual_ashrrev_i32 v18 /*v274*/, 24, v80 :: v_dual_ashrrev_i32 v16 /*v272*/, 24, v82
	s_set_vgpr_msb 0                        ;  msbs: dst=0 src0=0 src1=0 src2=0
	v_bfe_i32 v255, v82, 0, 8
	s_set_vgpr_msb 64                       ;  msbs: dst=1 src0=0 src1=0 src2=0
	v_bfe_i32 v0 /*v256*/, v82, 8, 8
	v_bfe_i32 v1 /*v257*/, v82, 16, 8
	v_dual_ashrrev_i32 v14 /*v270*/, 24, v81 :: v_dual_ashrrev_i32 v11 /*v267*/, 24, v83
	v_bfe_i32 v4 /*v260*/, v83, 0, 8
	v_bfe_i32 v5 /*v261*/, v83, 8, 8
	;; [unrolled: 1-line block ×3, first 2 shown]
	s_set_vgpr_msb 0                        ;  msbs: dst=0 src0=0 src1=0 src2=0
	ds_load_b32 v105, v100
	ds_load_2addr_b32 v[82:83], v104 offset1:1
	v_bfe_i32 v252, v80, 0, 8
	v_bfe_i32 v253, v80, 8, 8
	;; [unrolled: 1-line block ×3, first 2 shown]
	s_set_vgpr_msb 64                       ;  msbs: dst=1 src0=0 src1=0 src2=0
	v_bfe_i32 v2 /*v258*/, v81, 0, 8
	v_bfe_i32 v3 /*v259*/, v81, 8, 8
	v_bfe_i32 v13 /*v269*/, v81, 16, 8
	s_wait_dscnt 0x4
	s_set_vgpr_msb 0                        ;  msbs: dst=0 src0=0 src1=0 src2=0
	v_bfe_i32 v199, v86, 0, 8
	v_bfe_i32 v247, v86, 8, 8
	;; [unrolled: 1-line block ×3, first 2 shown]
	s_wait_dscnt 0x3
	s_set_vgpr_msb 64                       ;  msbs: dst=1 src0=0 src1=0 src2=0
	v_dual_ashrrev_i32 v58 /*v314*/, 24, v86 :: v_dual_ashrrev_i32 v19 /*v275*/, 24, v88
	s_set_vgpr_msb 0                        ;  msbs: dst=0 src0=0 src1=0 src2=0
	v_bfe_i32 v249, v88, 0, 8
	v_bfe_i32 v250, v88, 8, 8
	;; [unrolled: 1-line block ×3, first 2 shown]
	v_add_nc_u32_e32 v88, 0x404, v99
	s_set_vgpr_msb 64                       ;  msbs: dst=1 src0=0 src1=0 src2=0
	v_bfe_i32 v7 /*v263*/, v87, 0, 8
	v_bfe_i32 v8 /*v264*/, v87, 8, 8
	;; [unrolled: 1-line block ×3, first 2 shown]
	s_wait_dscnt 0x1
	s_set_vgpr_msb 0                        ;  msbs: dst=0 src0=0 src1=0 src2=0
	v_pk_mul_f16 v234, v84, v105
	s_wait_dscnt 0x0
	v_dual_lshrrev_b32 v80, 4, v82 :: v_dual_lshrrev_b32 v106, 28, v82
	s_set_vgpr_msb 64                       ;  msbs: dst=1 src0=0 src1=0 src2=0
	v_dual_ashrrev_i32 v10 /*v266*/, 24, v87 :: v_dual_ashrrev_i32 v59 /*v315*/, 24, v89
	v_bfe_i32 v62 /*v318*/, v89, 0, 8
	s_set_vgpr_msb 0                        ;  msbs: dst=0 src0=0 src1=0 src2=0
	v_lshrrev_b16 v80, 8, v80
	s_set_vgpr_msb 64                       ;  msbs: dst=1 src0=0 src1=0 src2=0
	v_bfe_i32 v61 /*v317*/, v89, 8, 8
	v_bfe_i32 v60 /*v316*/, v89, 16, 8
	s_set_vgpr_msb 0                        ;  msbs: dst=0 src0=0 src1=0 src2=0
	v_dual_lshrrev_b32 v107, 28, v83 :: v_dual_bitop2_b32 v113, 15, v82 bitop3:0x40
	v_and_b32_e32 v246, 15, v80
	v_and_b32_e32 v80, 0xf0f0f0f, v83
	v_bfe_u32 v230, v82, 8, 4
	s_delay_alu instid0(VALU_DEP_4)
	v_mul_i32_i24_e32 v233, v113, v199
	v_bfe_u32 v231, v82, 24, 4
	v_bfe_u32 v232, v82, 16, 4
	s_set_vgpr_msb 64                       ;  msbs: dst=1 src0=0 src1=0 src2=0
	v_lshrrev_b16 v21 /*v277*/, 8, v80
	s_set_vgpr_msb 0                        ;  msbs: dst=0 src0=0 src1=0 src2=0
	v_lshrrev_b32_e32 v80, 4, v83
	v_bfe_u32 v111, v83, 24, 4
	v_add_nc_u32_e32 v100, 4, v100
	s_delay_alu instid0(VALU_DEP_3) | instskip(SKIP_1) | instid1(VALU_DEP_1)
	v_lshrrev_b16 v80, 8, v80
	s_set_vgpr_msb 64                       ;  msbs: dst=1 src0=0 src1=0 src2=0
	v_and_b32_e32 v20 /*v276*/, 15, v80
	s_set_vgpr_msb 0                        ;  msbs: dst=0 src0=0 src1=0 src2=0
	ds_load_2addr_b32 v[80:81], v104 offset0:2 offset1:3
	s_wait_dscnt 0x0
	v_and_b32_e32 v86, 0xf0f0f0f, v80
	v_lshrrev_b32_e32 v108, 28, v80
	v_bfe_u32 v110, v81, 4, 4
	v_bfe_u32 v225, v81, 12, 4
	;; [unrolled: 1-line block ×3, first 2 shown]
	s_set_vgpr_msb 64                       ;  msbs: dst=1 src0=0 src1=0 src2=0
	v_lshrrev_b16 v17 /*v273*/, 8, v86
	s_set_vgpr_msb 0                        ;  msbs: dst=0 src0=0 src1=0 src2=0
	v_lshrrev_b32_e32 v86, 4, v80
	s_set_vgpr_msb 0x41                     ;  msbs: dst=1 src0=1 src1=0 src2=0
	v_mul_i32_i24_e32 v27 /*v283*/, v62 /*v318*/, v110
	v_mul_i32_i24_e32 v30 /*v286*/, v61 /*v317*/, v225
	s_set_vgpr_msb 0                        ;  msbs: dst=0 src0=0 src1=0 src2=0
	v_bfe_u32 v109, v81, 24, 4
	v_lshrrev_b16 v86, 8, v86
	s_set_vgpr_msb 64                       ;  msbs: dst=1 src0=0 src1=0 src2=0
	s_delay_alu instid0(VALU_DEP_1) | instskip(SKIP_3) | instid1(VALU_DEP_1)
	v_and_b32_e32 v15 /*v271*/, 15, v86
	s_set_vgpr_msb 0                        ;  msbs: dst=0 src0=0 src1=0 src2=0
	v_and_b32_e32 v86, 0xf0f0f0f, v81
	s_set_vgpr_msb 64                       ;  msbs: dst=1 src0=0 src1=0 src2=0
	v_lshrrev_b16 v12 /*v268*/, 8, v86
	s_set_vgpr_msb 0                        ;  msbs: dst=0 src0=0 src1=0 src2=0
	v_add_nc_u32_e32 v86, 0x1080, v104
	ds_load_b32 v114, v101
	ds_load_2addr_b32 v[90:91], v86 offset1:1
	v_add_nc_u32_e32 v86, 0x1088, v104
	v_add_nc_u32_e32 v101, 4, v101
	ds_load_2addr_b32 v[92:93], v86 offset1:1
	v_add_nc_u32_e32 v86, 0x2100, v104
	ds_load_b32 v140, v102
	ds_load_2addr_b32 v[94:95], v86 offset1:1
	v_add_nc_u32_e32 v86, 0x2108, v104
	v_add_nc_u32_e32 v102, 4, v102
	ds_load_2addr_b32 v[96:97], v86 offset1:1
	v_add_nc_u32_e32 v86, 0x3180, v104
	ds_load_b32 v198, v103
	s_set_vgpr_msb 64                       ;  msbs: dst=1 src0=0 src1=0 src2=0
	ds_load_2addr_b32 v[64:65] /*v[320:321]*/, v86 offset1:1
	s_wait_dscnt 0x7
	v_pk_mul_f16 v82 /*v338*/, v84, v114
	s_set_vgpr_msb 0                        ;  msbs: dst=0 src0=0 src1=0 src2=0
	v_add_nc_u32_e32 v86, 0x3188, v104
	s_wait_dscnt 0x6
	v_bfe_u32 v117, v91, 20, 4
	v_dual_lshrrev_b32 v127, 28, v91 :: v_dual_bitop2_b32 v121, 15, v91 bitop3:0x40
	v_bfe_u32 v122, v91, 8, 4
	v_bfe_u32 v123, v91, 16, 4
	s_wait_dscnt 0x4
	s_set_vgpr_msb 64                       ;  msbs: dst=1 src0=0 src1=0 src2=0
	v_pk_mul_f16 v108 /*v364*/, v84, v140
	s_set_vgpr_msb 0                        ;  msbs: dst=0 src0=0 src1=0 src2=0
	v_bfe_u32 v124, v91, 24, 4
	v_bfe_u32 v125, v91, 4, 4
	;; [unrolled: 1-line block ×3, first 2 shown]
	ds_load_2addr_b32 v[244:245], v86 offset1:1
	ds_load_2addr_b32 v[88:89], v88 offset1:1
	v_add_nc_u32_e32 v91, 0x414, v99
	v_bfe_u32 v119, v90, 12, 4
	v_bfe_u32 v116, v90, 20, 4
	v_dual_lshrrev_b32 v120, 28, v90 :: v_dual_bitop2_b32 v118, 15, v90 bitop3:0x40
	s_wait_dscnt 0x3
	s_set_vgpr_msb 64                       ;  msbs: dst=1 src0=0 src1=0 src2=0
	v_pk_mul_f16 v133 /*v389*/, v84, v198
	s_set_vgpr_msb 0                        ;  msbs: dst=0 src0=0 src1=0 src2=0
	v_add_nc_u32_e32 v84, 0x400, v99
	v_bfe_u32 v115, v90, 4, 4
	v_and_b32_e32 v194, 15, v97
	v_mul_i32_i24_e32 v236, v118, v199
	v_mul_i32_i24_e32 v238, v119, v250
	ds_load_2addr_b32 v[86:87], v84 offset0:4 offset1:7
	ds_load_2addr_b32 v[226:227], v91 offset1:1
	ds_load_2addr_b32 v[228:229], v84 offset1:3
	v_mul_i32_i24_e32 v237, v115, v249
	v_mul_i32_i24_e32 v239, v116, v251
	s_set_vgpr_msb 4                        ;  msbs: dst=0 src0=0 src1=1 src2=0
	v_mul_i32_i24_e32 v240, v120, v19 /*v275*/
	s_set_vgpr_msb 0                        ;  msbs: dst=0 src0=0 src1=0 src2=0
	v_mul_i32_i24_e32 v241, v252, v121
	v_mul_i32_i24_e32 v242, v253, v122
	s_wait_dscnt 0x4
	v_bfe_u32 v212, v244, 8, 4
	v_and_b32_e32 v213, 15, v244
	v_bfe_u32 v214, v244, 24, 4
	v_bfe_u32 v215, v244, 16, 4
	;; [unrolled: 1-line block ×4, first 2 shown]
	v_lshrrev_b32_e32 v218, 28, v244
	v_bfe_u32 v219, v244, 20, 4
	s_wait_dscnt 0x3
	s_set_vgpr_msb 64                       ;  msbs: dst=1 src0=0 src1=0 src2=0
	v_bfe_i32 v49 /*v305*/, v88, 0, 8
	v_bfe_i32 v50 /*v306*/, v88, 8, 8
	;; [unrolled: 1-line block ×3, first 2 shown]
	v_ashrrev_i32_e32 v52 /*v308*/, 24, v88
	v_bfe_i32 v41 /*v297*/, v89, 0, 8
	s_wait_dscnt 0x2
	v_bfe_i32 v54 /*v310*/, v86, 8, 8
	s_wait_dscnt 0x0
	s_set_vgpr_msb 0                        ;  msbs: dst=0 src0=0 src1=0 src2=0
	v_bfe_i32 v84, v228, 0, 8
	s_set_vgpr_msb 64                       ;  msbs: dst=1 src0=0 src1=0 src2=0
	v_bfe_i32 v134 /*v390*/, v228, 8, 8
	v_bfe_i32 v135 /*v391*/, v228, 16, 8
	v_ashrrev_i32_e32 v136 /*v392*/, 24, v228
	v_bfe_i32 v53 /*v309*/, v86, 0, 8
	v_bfe_i32 v55 /*v311*/, v86, 16, 8
	v_ashrrev_i32_e32 v56 /*v312*/, 24, v86
	s_set_vgpr_msb 1                        ;  msbs: dst=0 src0=1 src1=0 src2=0
	v_mul_i32_i24_e32 v228, v54 /*v310*/, v119
	s_set_vgpr_msb 64                       ;  msbs: dst=1 src0=0 src1=0 src2=0
	v_bfe_i32 v42 /*v298*/, v89, 8, 8
	v_bfe_i32 v43 /*v299*/, v89, 16, 8
	v_dual_ashrrev_i32 v44 /*v300*/, 24, v89 :: v_dual_ashrrev_i32 v39 /*v295*/, 24, v227
	v_bfe_i32 v22 /*v278*/, v229, 0, 8
	v_bfe_i32 v23 /*v279*/, v229, 8, 8
	;; [unrolled: 1-line block ×3, first 2 shown]
	v_dual_ashrrev_i32 v25 /*v281*/, 24, v229 :: v_dual_ashrrev_i32 v139 /*v395*/, 24, v87
	s_set_vgpr_msb 0                        ;  msbs: dst=0 src0=0 src1=0 src2=0
	v_bfe_i32 v244, v87, 0, 8
	s_set_vgpr_msb 64                       ;  msbs: dst=1 src0=0 src1=0 src2=0
	v_bfe_i32 v137 /*v393*/, v87, 8, 8
	v_bfe_i32 v138 /*v394*/, v87, 16, 8
	s_set_vgpr_msb 0                        ;  msbs: dst=0 src0=0 src1=0 src2=0
	v_pk_mul_f16 v88, v105, v85
	v_mul_i32_i24_e32 v86, v232, v248
	s_set_vgpr_msb 4                        ;  msbs: dst=0 src0=0 src1=1 src2=0
	v_mul_i32_i24_e32 v87, v231, v58 /*v314*/
	s_set_vgpr_msb 0                        ;  msbs: dst=0 src0=0 src1=0 src2=0
	v_mad_i32_i24 v89, v230, v247, v233
	s_set_vgpr_msb 1                        ;  msbs: dst=0 src0=1 src1=0 src2=0
	v_mul_i32_i24_e32 v229, v55 /*v311*/, v116
	v_mul_i32_i24_e32 v233, v56 /*v312*/, v120
	v_mad_i32_i24 v228, v53 /*v309*/, v115, v228
	v_and_b32_e32 v221, 15, v245
	s_set_vgpr_msb 64                       ;  msbs: dst=1 src0=0 src1=0 src2=0
	v_ashrrev_i32_e32 v48 /*v304*/, 24, v226
	v_add3_u32 v57 /*v313*/, v89, v86, v87
	s_set_vgpr_msb 0                        ;  msbs: dst=0 src0=0 src1=0 src2=0
	v_cvt_f32_f16_e32 v87, v88
	v_lshrrev_b32_e32 v88, 16, v88
	s_set_vgpr_msb 1                        ;  msbs: dst=0 src0=1 src1=0 src2=0
	v_mul_i32_i24_e32 v235, v50 /*v306*/, v122
	s_set_vgpr_msb 0x41                     ;  msbs: dst=1 src0=1 src1=0 src2=0
	v_mul_i32_i24_e32 v141 /*v397*/, v52 /*v308*/, v124
	s_set_vgpr_msb 0                        ;  msbs: dst=0 src0=0 src1=0 src2=0
	v_add3_u32 v228, v228, v229, v233
	s_set_vgpr_msb 64                       ;  msbs: dst=1 src0=0 src1=0 src2=0
	v_bfe_i32 v45 /*v301*/, v226, 0, 8
	s_set_vgpr_msb 0                        ;  msbs: dst=0 src0=0 src1=0 src2=0
	v_cvt_f32_f16_e64 v86, v234
	v_cvt_f32_f16_e32 v89, v88
	v_lshrrev_b32_e32 v88, 16, v234
	s_set_vgpr_msb 1                        ;  msbs: dst=0 src0=1 src1=0 src2=0
	v_mul_i32_i24_e32 v234, v49 /*v305*/, v121
	s_set_vgpr_msb 0x41                     ;  msbs: dst=1 src0=1 src1=0 src2=0
	v_mul_i32_i24_e32 v140 /*v396*/, v51 /*v307*/, v123
	s_set_vgpr_msb 4                        ;  msbs: dst=0 src0=0 src1=1 src2=0
	v_add3_u32 v228, v228, v141 /*v397*/, v235
	s_set_vgpr_msb 0x41                     ;  msbs: dst=1 src0=1 src1=0 src2=0
	v_mul_i32_i24_e32 v142 /*v398*/, v45 /*v301*/, v125
	v_mul_i32_i24_e32 v145 /*v401*/, v48 /*v304*/, v127
	s_set_vgpr_msb 16                       ;  msbs: dst=0 src0=0 src1=0 src2=1
	v_bfe_u32 v233, v90, 8, 4
	v_bfe_u32 v235, v90, 16, 4
	v_add3_u32 v228, v228, v234, v140 /*v396*/
	v_bfe_u32 v234, v90, 24, 4
	s_set_vgpr_msb 64                       ;  msbs: dst=1 src0=0 src1=0 src2=0
	v_bfe_i32 v46 /*v302*/, v226, 8, 8
	s_set_vgpr_msb 0                        ;  msbs: dst=0 src0=0 src1=0 src2=0
	v_mad_i32_i24 v236, v233, v247, v236
	v_mul_i32_i24_e32 v90, v235, v248
	s_set_vgpr_msb 20                       ;  msbs: dst=0 src0=0 src1=1 src2=1
	v_add3_u32 v228, v228, v145 /*v401*/, v142 /*v398*/
	s_set_vgpr_msb 0x44                     ;  msbs: dst=1 src0=0 src1=1 src2=0
	v_mul_i32_i24_e32 v142 /*v398*/, v234, v58 /*v314*/
	v_bfe_i32 v47 /*v303*/, v226, 16, 8
	s_set_vgpr_msb 0                        ;  msbs: dst=0 src0=0 src1=0 src2=0
	v_mul_i32_i24_e32 v243, v254, v123
	s_set_vgpr_msb 0x41                     ;  msbs: dst=1 src0=1 src1=0 src2=0
	v_mul_i32_i24_e32 v63 /*v319*/, v18 /*v274*/, v124
	s_set_vgpr_msb 16                       ;  msbs: dst=0 src0=0 src1=0 src2=1
	v_bfe_u32 v128, v92, 8, 4
	v_add3_u32 v90, v236, v90, v142 /*v398*/
	v_bfe_u32 v130, v92, 24, 4
	s_set_vgpr_msb 0x41                     ;  msbs: dst=1 src0=1 src1=0 src2=0
	v_mul_i32_i24_e32 v143 /*v399*/, v46 /*v302*/, v126
	v_mul_i32_i24_e32 v144 /*v400*/, v47 /*v303*/, v117
	s_set_vgpr_msb 64                       ;  msbs: dst=1 src0=0 src1=0 src2=0
	v_mul_i32_i24_e32 v66 /*v322*/, v255, v125
	s_set_vgpr_msb 0                        ;  msbs: dst=0 src0=0 src1=0 src2=0
	v_add3_u32 v90, v90, v238, v237
	s_set_vgpr_msb 0x41                     ;  msbs: dst=1 src0=1 src1=0 src2=0
	v_mul_i32_i24_e32 v67 /*v323*/, v0 /*v256*/, v126
	s_set_vgpr_msb 0                        ;  msbs: dst=0 src0=0 src1=0 src2=0
	v_dual_lshrrev_b32 v134, 28, v92 :: v_dual_bitop2_b32 v129, 15, v92 bitop3:0x40
	v_bfe_u32 v131, v92, 16, 4
	v_add3_u32 v90, v90, v239, v240
	s_set_vgpr_msb 0x41                     ;  msbs: dst=1 src0=1 src1=0 src2=0
	v_mul_i32_i24_e32 v147 /*v403*/, v42 /*v298*/, v128
	v_mul_i32_i24_e32 v149 /*v405*/, v44 /*v300*/, v130
	s_set_vgpr_msb 20                       ;  msbs: dst=0 src0=0 src1=1 src2=1
	v_add3_u32 v228, v228, v143 /*v399*/, v144 /*v400*/
	s_set_vgpr_msb 0x41                     ;  msbs: dst=1 src0=1 src1=0 src2=0
	v_mul_i32_i24_e32 v68 /*v324*/, v1 /*v257*/, v117
	s_set_vgpr_msb 0                        ;  msbs: dst=0 src0=0 src1=0 src2=0
	v_add3_u32 v90, v90, v242, v241
	s_set_vgpr_msb 0x41                     ;  msbs: dst=1 src0=1 src1=0 src2=0
	v_mul_i32_i24_e32 v69 /*v325*/, v16 /*v272*/, v127
	s_set_vgpr_msb 0                        ;  msbs: dst=0 src0=0 src1=0 src2=0
	v_bfe_u32 v132, v92, 4, 4
	s_set_vgpr_msb 64                       ;  msbs: dst=1 src0=0 src1=0 src2=0
	v_bfe_i32 v36 /*v292*/, v227, 0, 8
	s_set_vgpr_msb 0x41                     ;  msbs: dst=1 src0=1 src1=0 src2=0
	v_mul_i32_i24_e32 v146 /*v402*/, v41 /*v297*/, v129
	s_set_vgpr_msb 16                       ;  msbs: dst=0 src0=0 src1=0 src2=1
	v_add3_u32 v90, v90, v243, v63 /*v319*/
	s_set_vgpr_msb 0x41                     ;  msbs: dst=1 src0=1 src1=0 src2=0
	v_mul_i32_i24_e32 v148 /*v404*/, v43 /*v299*/, v131
	s_set_vgpr_msb 20                       ;  msbs: dst=0 src0=0 src1=1 src2=1
	v_add3_u32 v228, v228, v149 /*v405*/, v147 /*v403*/
	s_set_vgpr_msb 0x41                     ;  msbs: dst=1 src0=1 src1=0 src2=0
	v_mul_i32_i24_e32 v70 /*v326*/, v2 /*v258*/, v129
	v_mul_i32_i24_e32 v71 /*v327*/, v3 /*v259*/, v128
	s_set_vgpr_msb 20                       ;  msbs: dst=0 src0=0 src1=1 src2=1
	v_add3_u32 v90, v90, v66 /*v322*/, v67 /*v323*/
	v_bfe_u32 v133, v92, 12, 4
	v_bfe_u32 v92, v92, 20, 4
	s_set_vgpr_msb 64                       ;  msbs: dst=1 src0=0 src1=0 src2=0
	v_bfe_i32 v37 /*v293*/, v227, 8, 8
	v_bfe_i32 v38 /*v294*/, v227, 16, 8
	s_set_vgpr_msb 0x41                     ;  msbs: dst=1 src0=1 src1=0 src2=0
	v_mul_i32_i24_e32 v150 /*v406*/, v36 /*v292*/, v132
	v_mul_i32_i24_e32 v153 /*v409*/, v39 /*v295*/, v134
	s_set_vgpr_msb 20                       ;  msbs: dst=0 src0=0 src1=1 src2=1
	v_add3_u32 v228, v228, v146 /*v402*/, v148 /*v404*/
	v_add3_u32 v90, v90, v68 /*v324*/, v69 /*v325*/
	s_set_vgpr_msb 0x41                     ;  msbs: dst=1 src0=1 src1=0 src2=0
	v_mul_i32_i24_e32 v72 /*v328*/, v14 /*v270*/, v130
	v_mul_i32_i24_e32 v73 /*v329*/, v13 /*v269*/, v131
	s_set_vgpr_msb 0                        ;  msbs: dst=0 src0=0 src1=0 src2=0
	v_bfe_u32 v135, v93, 8, 4
	v_bfe_u32 v138, v93, 24, 4
	s_set_vgpr_msb 0x41                     ;  msbs: dst=1 src0=1 src1=0 src2=0
	v_mul_i32_i24_e32 v151 /*v407*/, v37 /*v293*/, v133
	v_mul_i32_i24_e32 v152 /*v408*/, v38 /*v294*/, v92
	s_set_vgpr_msb 20                       ;  msbs: dst=0 src0=0 src1=1 src2=1
	v_add3_u32 v228, v228, v153 /*v409*/, v150 /*v406*/
	v_add3_u32 v90, v90, v71 /*v327*/, v70 /*v326*/
	s_set_vgpr_msb 0x41                     ;  msbs: dst=1 src0=1 src1=0 src2=0
	v_mul_i32_i24_e32 v74 /*v330*/, v5 /*v261*/, v133
	v_mul_i32_i24_e32 v75 /*v331*/, v4 /*v260*/, v132
	s_set_vgpr_msb 0                        ;  msbs: dst=0 src0=0 src1=0 src2=0
	v_dual_lshrrev_b32 v146, 28, v94 :: v_dual_bitop2_b32 v136, 15, v93 bitop3:0x40
	v_bfe_u32 v137, v93, 16, 4
	s_set_vgpr_msb 0x41                     ;  msbs: dst=1 src0=1 src1=0 src2=0
	v_mul_i32_i24_e32 v155 /*v411*/, v23 /*v279*/, v135
	v_mul_i32_i24_e32 v157 /*v413*/, v25 /*v281*/, v138
	s_set_vgpr_msb 20                       ;  msbs: dst=0 src0=0 src1=1 src2=1
	v_add3_u32 v228, v228, v151 /*v407*/, v152 /*v408*/
	v_add3_u32 v90, v90, v73 /*v329*/, v72 /*v328*/
	s_set_vgpr_msb 0x41                     ;  msbs: dst=1 src0=1 src1=0 src2=0
	v_mul_i32_i24_e32 v76 /*v332*/, v11 /*v267*/, v134
	v_mul_i32_i24_e32 v77 /*v333*/, v6 /*v262*/, v92
	s_set_vgpr_msb 0                        ;  msbs: dst=0 src0=0 src1=0 src2=0
	v_bfe_u32 v139, v93, 4, 4
	s_set_vgpr_msb 0x41                     ;  msbs: dst=1 src0=1 src1=0 src2=0
	v_mul_i32_i24_e32 v154 /*v410*/, v22 /*v278*/, v136
	v_mul_i32_i24_e32 v156 /*v412*/, v24 /*v280*/, v137
	s_set_vgpr_msb 20                       ;  msbs: dst=0 src0=0 src1=1 src2=1
	v_add3_u32 v228, v228, v157 /*v413*/, v155 /*v411*/
	s_set_vgpr_msb 0                        ;  msbs: dst=0 src0=0 src1=0 src2=0
	v_lshrrev_b32_e32 v229, 28, v93
	s_set_vgpr_msb 20                       ;  msbs: dst=0 src0=0 src1=1 src2=1
	v_add3_u32 v90, v90, v75 /*v331*/, v74 /*v330*/
	s_set_vgpr_msb 0x41                     ;  msbs: dst=1 src0=1 src1=0 src2=0
	v_mul_i32_i24_e32 v78 /*v334*/, v7 /*v263*/, v136
	v_mul_i32_i24_e32 v79 /*v335*/, v8 /*v264*/, v135
	s_set_vgpr_msb 64                       ;  msbs: dst=1 src0=0 src1=0 src2=0
	v_mul_i32_i24_e32 v158 /*v414*/, v244, v139
	s_set_vgpr_msb 0x54                     ;  msbs: dst=1 src0=0 src1=1 src2=1
	v_add3_u32 v140 /*v396*/, v228, v154 /*v410*/, v156 /*v412*/
	s_set_vgpr_msb 20                       ;  msbs: dst=0 src0=0 src1=1 src2=1
	v_bfe_u32 v228, v93, 12, 4
	v_bfe_u32 v93, v93, 20, 4
	v_add3_u32 v90, v90, v77 /*v333*/, v76 /*v332*/
	s_set_vgpr_msb 0x41                     ;  msbs: dst=1 src0=1 src1=0 src2=0
	v_mul_i32_i24_e32 v67 /*v323*/, v139 /*v395*/, v229
	v_mul_i32_i24_e32 v80 /*v336*/, v9 /*v265*/, v137
	;; [unrolled: 1-line block ×4, first 2 shown]
	s_set_vgpr_msb 20                       ;  msbs: dst=0 src0=0 src1=1 src2=1
	v_add3_u32 v90, v90, v79 /*v335*/, v78 /*v334*/
	s_set_vgpr_msb 0x41                     ;  msbs: dst=1 src0=1 src1=0 src2=0
	v_mul_i32_i24_e32 v66 /*v322*/, v138 /*v394*/, v93
	s_set_vgpr_msb 0x55                     ;  msbs: dst=1 src0=1 src1=1 src2=1
	v_add3_u32 v67 /*v323*/, v140 /*v396*/, v67 /*v323*/, v158 /*v414*/
	s_set_vgpr_msb 64                       ;  msbs: dst=1 src0=0 src1=0 src2=0
	v_pk_mul_f16 v141 /*v397*/, v114, v85
	s_set_vgpr_msb 1                        ;  msbs: dst=0 src0=1 src1=0 src2=0
	v_mul_i32_i24_e32 v236, v62 /*v318*/, v139
	s_set_vgpr_msb 0                        ;  msbs: dst=0 src0=0 src1=0 src2=0
	v_mul_i32_i24_e32 v237, v84, v118
	s_set_vgpr_msb 1                        ;  msbs: dst=0 src0=1 src1=0 src2=0
	v_mul_i32_i24_e32 v238, v61 /*v317*/, v228
	v_mul_i32_i24_e32 v239, v134 /*v390*/, v233
	s_set_vgpr_msb 20                       ;  msbs: dst=0 src0=0 src1=1 src2=1
	v_add3_u32 v90, v90, v80 /*v336*/, v81 /*v337*/
	s_set_vgpr_msb 0x55                     ;  msbs: dst=1 src0=1 src1=1 src2=1
	v_add3_u32 v63 /*v319*/, v67 /*v323*/, v63 /*v319*/, v66 /*v322*/
	s_set_vgpr_msb 1                        ;  msbs: dst=0 src0=1 src1=0 src2=0
	v_mul_i32_i24_e32 v240, v135 /*v391*/, v235
	v_mul_i32_i24_e32 v241, v60 /*v316*/, v93
	;; [unrolled: 1-line block ×4, first 2 shown]
	v_add3_u32 v237, v63 /*v319*/, v237, v239
	s_set_vgpr_msb 0                        ;  msbs: dst=0 src0=0 src1=0 src2=0
	v_add3_u32 v90, v90, v236, v238
	s_set_vgpr_msb 4                        ;  msbs: dst=0 src0=0 src1=1 src2=0
	v_lshrrev_b32_e32 v238, 16, v141 /*v397*/
	v_bfe_u32 v145, v94, 12, 4
	s_set_vgpr_msb 1                        ;  msbs: dst=0 src0=1 src1=0 src2=0
	v_cvt_f32_f16_e64 v236, v82 /*v338*/
	s_set_vgpr_msb 0                        ;  msbs: dst=0 src0=0 src1=0 src2=0
	v_add3_u32 v240, v237, v240, v242
	v_add3_u32 v90, v90, v241, v243
	v_cvt_f32_f16_e64 v239, v238
	s_set_vgpr_msb 4                        ;  msbs: dst=0 src0=0 src1=1 src2=0
	v_lshrrev_b32_e32 v238, 16, v82 /*v338*/
	s_set_vgpr_msb 1                        ;  msbs: dst=0 src0=1 src1=0 src2=0
	v_cvt_f32_f16_e64 v237, v141 /*v397*/
	s_set_vgpr_msb 0                        ;  msbs: dst=0 src0=0 src1=0 src2=0
	v_cvt_f32_i32_e32 v241, v240
	v_cvt_f32_i32_e32 v240, v90
	v_bfe_u32 v142, v94, 20, 4
	v_cvt_f32_f16_e64 v238, v238
	v_bfe_u32 v141, v94, 4, 4
	s_set_vgpr_msb 1                        ;  msbs: dst=0 src0=1 src1=0 src2=0
	v_mul_i32_i24_e32 v90, v54 /*v310*/, v145
	s_set_vgpr_msb 0                        ;  msbs: dst=0 src0=0 src1=0 src2=0
	v_bfe_u32 v148, v95, 8, 4
	v_bfe_u32 v150, v95, 24, 4
	v_pk_fma_f32 v[236:237], v[236:237], v[240:241], v[238:239]
	v_dual_lshrrev_b32 v192, 28, v96 :: v_dual_bitop2_b32 v147, 15, v95 bitop3:0x40
	s_set_vgpr_msb 1                        ;  msbs: dst=0 src0=1 src1=0 src2=0
	v_mad_i32_i24 v90, v53 /*v309*/, v141, v90
	s_set_vgpr_msb 0                        ;  msbs: dst=0 src0=0 src1=0 src2=0
	v_bfe_u32 v149, v95, 16, 4
	v_pk_add_f32 v[72:73], v[72:73], v[236:237]
	s_set_vgpr_msb 1                        ;  msbs: dst=0 src0=1 src1=0 src2=0
	v_mul_i32_i24_e32 v236, v55 /*v311*/, v142
	v_mul_i32_i24_e32 v237, v56 /*v312*/, v146
	;; [unrolled: 1-line block ×4, first 2 shown]
	v_and_b32_e32 v144, 15, v94
	s_set_vgpr_msb 0                        ;  msbs: dst=0 src0=0 src1=0 src2=0
	v_bfe_u32 v143, v95, 20, 4
	v_add3_u32 v90, v90, v236, v237
	v_bfe_u32 v151, v95, 4, 4
	v_bfe_u32 v152, v95, 12, 4
	v_lshrrev_b32_e32 v95, 28, v95
	s_set_vgpr_msb 1                        ;  msbs: dst=0 src0=1 src1=0 src2=0
	v_mul_i32_i24_e32 v238, v49 /*v305*/, v147
	v_mul_i32_i24_e32 v240, v51 /*v307*/, v149
	s_set_vgpr_msb 0                        ;  msbs: dst=0 src0=0 src1=0 src2=0
	v_add3_u32 v90, v90, v241, v239
	s_set_vgpr_msb 1                        ;  msbs: dst=0 src0=1 src1=0 src2=0
	v_mul_i32_i24_e32 v242, v45 /*v301*/, v151
	s_set_vgpr_msb 0x41                     ;  msbs: dst=1 src0=1 src1=0 src2=0
	v_mul_i32_i24_e32 v66 /*v322*/, v48 /*v304*/, v95
	s_set_vgpr_msb 64                       ;  msbs: dst=1 src0=0 src1=0 src2=0
	v_mul_i32_i24_e32 v83 /*v339*/, v144, v199
	s_set_vgpr_msb 1                        ;  msbs: dst=0 src0=1 src1=0 src2=0
	v_mul_i32_i24_e32 v243, v46 /*v302*/, v152
	s_set_vgpr_msb 0                        ;  msbs: dst=0 src0=0 src1=0 src2=0
	v_add3_u32 v90, v90, v238, v240
	s_set_vgpr_msb 0x41                     ;  msbs: dst=1 src0=1 src1=0 src2=0
	v_mul_i32_i24_e32 v63 /*v319*/, v47 /*v303*/, v143
	s_set_vgpr_msb 4                        ;  msbs: dst=0 src0=0 src1=1 src2=0
	v_bfe_u32 v238, v94, 8, 4
	v_bfe_u32 v239, v94, 24, 4
	;; [unrolled: 1-line block ×3, first 2 shown]
	v_add3_u32 v90, v90, v66 /*v322*/, v242
	s_set_vgpr_msb 64                       ;  msbs: dst=1 src0=0 src1=0 src2=0
	v_mul_i32_i24_e32 v84 /*v340*/, v141, v249
	v_mul_i32_i24_e32 v85 /*v341*/, v145, v250
	s_set_vgpr_msb 4                        ;  msbs: dst=0 src0=0 src1=1 src2=0
	v_mul_i32_i24_e32 v241, v239, v58 /*v314*/
	s_set_vgpr_msb 16                       ;  msbs: dst=0 src0=0 src1=0 src2=1
	v_mul_i32_i24_e32 v240, v94, v248
	v_add3_u32 v90, v90, v243, v63 /*v319*/
	v_mad_i32_i24 v243, v238, v247, v83 /*v339*/
	s_set_vgpr_msb 64                       ;  msbs: dst=1 src0=0 src1=0 src2=0
	v_mul_i32_i24_e32 v86 /*v342*/, v142, v251
	s_set_vgpr_msb 0x44                     ;  msbs: dst=1 src0=0 src1=1 src2=0
	v_mul_i32_i24_e32 v87 /*v343*/, v146, v19 /*v275*/
	s_set_vgpr_msb 64                       ;  msbs: dst=1 src0=0 src1=0 src2=0
	v_mul_i32_i24_e32 v88 /*v344*/, v252, v147
	v_mul_i32_i24_e32 v89 /*v345*/, v253, v148
	s_set_vgpr_msb 0                        ;  msbs: dst=0 src0=0 src1=0 src2=0
	v_add3_u32 v240, v243, v240, v241
	s_set_vgpr_msb 64                       ;  msbs: dst=1 src0=0 src1=0 src2=0
	v_mul_i32_i24_e32 v90 /*v346*/, v254, v149
	s_set_vgpr_msb 0x41                     ;  msbs: dst=1 src0=1 src1=0 src2=0
	v_mul_i32_i24_e32 v91 /*v347*/, v18 /*v274*/, v150
	s_set_vgpr_msb 20                       ;  msbs: dst=0 src0=0 src1=1 src2=1
	v_bfe_u32 v153, v96, 8, 4
	v_bfe_u32 v188, v96, 24, 4
	v_add3_u32 v240, v240, v85 /*v341*/, v84 /*v340*/
	s_set_vgpr_msb 64                       ;  msbs: dst=1 src0=0 src1=0 src2=0
	v_mul_i32_i24_e32 v92 /*v348*/, v255, v151
	s_set_vgpr_msb 0x41                     ;  msbs: dst=1 src0=1 src1=0 src2=0
	v_mul_i32_i24_e32 v93 /*v349*/, v0 /*v256*/, v152
	s_set_vgpr_msb 0                        ;  msbs: dst=0 src0=0 src1=0 src2=0
	v_dual_lshrrev_b32 v226, 28, v81 :: v_dual_bitop2_b32 v187, 15, v96 bitop3:0x40
	s_set_vgpr_msb 20                       ;  msbs: dst=0 src0=0 src1=1 src2=1
	v_add3_u32 v240, v240, v86 /*v342*/, v87 /*v343*/
	v_bfe_u32 v189, v96, 16, 4
	s_set_vgpr_msb 0x41                     ;  msbs: dst=1 src0=1 src1=0 src2=0
	v_mul_i32_i24_e32 v68 /*v324*/, v42 /*v298*/, v153
	v_mul_i32_i24_e32 v70 /*v326*/, v44 /*v300*/, v188
	;; [unrolled: 1-line block ×3, first 2 shown]
	s_set_vgpr_msb 20                       ;  msbs: dst=0 src0=0 src1=1 src2=1
	v_add3_u32 v240, v240, v89 /*v345*/, v88 /*v344*/
	s_set_vgpr_msb 0x41                     ;  msbs: dst=1 src0=1 src1=0 src2=0
	v_mul_i32_i24_e32 v95 /*v351*/, v16 /*v272*/, v95
	s_set_vgpr_msb 0                        ;  msbs: dst=0 src0=0 src1=0 src2=0
	v_bfe_u32 v190, v96, 4, 4
	s_set_vgpr_msb 0x41                     ;  msbs: dst=1 src0=1 src1=0 src2=0
	v_mul_i32_i24_e32 v67 /*v323*/, v41 /*v297*/, v187
	v_mul_i32_i24_e32 v69 /*v325*/, v43 /*v299*/, v189
	s_set_vgpr_msb 20                       ;  msbs: dst=0 src0=0 src1=1 src2=1
	v_add3_u32 v240, v240, v90 /*v346*/, v91 /*v347*/
	v_add3_u32 v90, v90, v70 /*v326*/, v68 /*v324*/
	s_set_vgpr_msb 0x41                     ;  msbs: dst=1 src0=1 src1=0 src2=0
	v_mul_i32_i24_e32 v96 /*v352*/, v2 /*v258*/, v187
	v_mul_i32_i24_e32 v97 /*v353*/, v3 /*v259*/, v153
	s_set_vgpr_msb 20                       ;  msbs: dst=0 src0=0 src1=1 src2=1
	v_bfe_u32 v191, v96, 12, 4
	v_add3_u32 v240, v240, v92 /*v348*/, v93 /*v349*/
	v_bfe_u32 v96, v96, 20, 4
	s_set_vgpr_msb 0x41                     ;  msbs: dst=1 src0=1 src1=0 src2=0
	v_mul_i32_i24_e32 v71 /*v327*/, v36 /*v292*/, v190
	v_mul_i32_i24_e32 v74 /*v330*/, v39 /*v295*/, v192
	s_set_vgpr_msb 20                       ;  msbs: dst=0 src0=0 src1=1 src2=1
	v_add3_u32 v90, v90, v67 /*v323*/, v69 /*v325*/
	v_add3_u32 v240, v240, v94 /*v350*/, v95 /*v351*/
	s_set_vgpr_msb 0x41                     ;  msbs: dst=1 src0=1 src1=0 src2=0
	v_mul_i32_i24_e32 v98 /*v354*/, v14 /*v270*/, v188
	v_mul_i32_i24_e32 v99 /*v355*/, v13 /*v269*/, v189
	s_set_vgpr_msb 0                        ;  msbs: dst=0 src0=0 src1=0 src2=0
	v_bfe_u32 v193, v97, 8, 4
	v_bfe_u32 v196, v97, 24, 4
	s_set_vgpr_msb 0x41                     ;  msbs: dst=1 src0=1 src1=0 src2=0
	v_mul_i32_i24_e32 v72 /*v328*/, v37 /*v293*/, v191
	v_mul_i32_i24_e32 v73 /*v329*/, v38 /*v294*/, v96
	s_set_vgpr_msb 20                       ;  msbs: dst=0 src0=0 src1=1 src2=1
	v_add3_u32 v90, v90, v74 /*v330*/, v71 /*v327*/
	v_add3_u32 v240, v240, v97 /*v353*/, v96 /*v352*/
	s_set_vgpr_msb 0x41                     ;  msbs: dst=1 src0=1 src1=0 src2=0
	v_mul_i32_i24_e32 v100 /*v356*/, v5 /*v261*/, v191
	v_mul_i32_i24_e32 v101 /*v357*/, v4 /*v260*/, v190
	s_set_vgpr_msb 0                        ;  msbs: dst=0 src0=0 src1=0 src2=0
	v_bfe_u32 v195, v97, 16, 4
	s_set_vgpr_msb 0x41                     ;  msbs: dst=1 src0=1 src1=0 src2=0
	v_mul_i32_i24_e32 v76 /*v332*/, v23 /*v279*/, v193
	v_mul_i32_i24_e32 v78 /*v334*/, v25 /*v281*/, v196
	s_set_vgpr_msb 20                       ;  msbs: dst=0 src0=0 src1=1 src2=1
	v_add3_u32 v90, v90, v72 /*v328*/, v73 /*v329*/
	v_add3_u32 v240, v240, v99 /*v355*/, v98 /*v354*/
	s_set_vgpr_msb 0x41                     ;  msbs: dst=1 src0=1 src1=0 src2=0
	v_mul_i32_i24_e32 v102 /*v358*/, v11 /*v267*/, v192
	v_mul_i32_i24_e32 v103 /*v359*/, v6 /*v262*/, v96
	s_set_vgpr_msb 0                        ;  msbs: dst=0 src0=0 src1=0 src2=0
	v_bfe_u32 v197, v97, 4, 4
	s_set_vgpr_msb 0x41                     ;  msbs: dst=1 src0=1 src1=0 src2=0
	v_mul_i32_i24_e32 v75 /*v331*/, v22 /*v278*/, v194
	v_mul_i32_i24_e32 v77 /*v333*/, v24 /*v280*/, v195
	s_set_vgpr_msb 20                       ;  msbs: dst=0 src0=0 src1=1 src2=1
	v_add3_u32 v90, v90, v78 /*v334*/, v76 /*v332*/
	s_set_vgpr_msb 0                        ;  msbs: dst=0 src0=0 src1=0 src2=0
	v_lshrrev_b32_e32 v237, 28, v97
	s_set_vgpr_msb 20                       ;  msbs: dst=0 src0=0 src1=1 src2=1
	v_add3_u32 v240, v240, v101 /*v357*/, v100 /*v356*/
	s_set_vgpr_msb 0x41                     ;  msbs: dst=1 src0=1 src1=0 src2=0
	v_mul_i32_i24_e32 v104 /*v360*/, v7 /*v263*/, v194
	v_mul_i32_i24_e32 v105 /*v361*/, v8 /*v264*/, v193
	s_set_vgpr_msb 64                       ;  msbs: dst=1 src0=0 src1=0 src2=0
	v_mul_i32_i24_e32 v79 /*v335*/, v244, v197
	s_set_vgpr_msb 20                       ;  msbs: dst=0 src0=0 src1=1 src2=1
	v_add3_u32 v90, v90, v75 /*v331*/, v77 /*v333*/
	v_bfe_u32 v236, v97, 12, 4
	v_bfe_u32 v97, v97, 20, 4
	v_add3_u32 v240, v240, v103 /*v359*/, v102 /*v358*/
	s_set_vgpr_msb 0x41                     ;  msbs: dst=1 src0=1 src1=0 src2=0
	v_mul_i32_i24_e32 v73 /*v329*/, v139 /*v395*/, v237
	v_mul_i32_i24_e32 v106 /*v362*/, v9 /*v265*/, v195
	;; [unrolled: 1-line block ×4, first 2 shown]
	s_set_vgpr_msb 20                       ;  msbs: dst=0 src0=0 src1=1 src2=1
	v_add3_u32 v240, v240, v105 /*v361*/, v104 /*v360*/
	s_set_vgpr_msb 0x41                     ;  msbs: dst=1 src0=1 src1=0 src2=0
	v_mul_i32_i24_e32 v72 /*v328*/, v138 /*v394*/, v97
	s_set_vgpr_msb 20                       ;  msbs: dst=0 src0=0 src1=1 src2=1
	v_add3_u32 v90, v90, v73 /*v329*/, v79 /*v335*/
	s_set_vgpr_msb 0                        ;  msbs: dst=0 src0=0 src1=0 src2=0
	v_pk_mul_f16 v242, v140, v85
	s_set_vgpr_msb 1                        ;  msbs: dst=0 src0=1 src1=0 src2=0
	v_mul_i32_i24_e32 v241, v62 /*v318*/, v197
	s_set_vgpr_msb 0                        ;  msbs: dst=0 src0=0 src1=0 src2=0
	v_mul_i32_i24_e32 v243, v84, v144
	s_set_vgpr_msb 0x41                     ;  msbs: dst=1 src0=1 src1=0 src2=0
	v_mul_i32_i24_e32 v63 /*v319*/, v61 /*v317*/, v236
	v_mul_i32_i24_e32 v66 /*v322*/, v134 /*v390*/, v238
	s_set_vgpr_msb 20                       ;  msbs: dst=0 src0=0 src1=1 src2=1
	v_add3_u32 v240, v240, v106 /*v362*/, v107 /*v363*/
	v_add3_u32 v90, v90, v71 /*v327*/, v72 /*v328*/
	s_set_vgpr_msb 0x41                     ;  msbs: dst=1 src0=1 src1=0 src2=0
	v_mul_i32_i24_e32 v67 /*v323*/, v135 /*v391*/, v94
	v_mul_i32_i24_e32 v68 /*v324*/, v60 /*v316*/, v97
	v_mul_i32_i24_e32 v69 /*v325*/, v136 /*v392*/, v239
	v_mul_i32_i24_e32 v70 /*v326*/, v59 /*v315*/, v237
	s_set_vgpr_msb 16                       ;  msbs: dst=0 src0=0 src1=0 src2=1
	v_add3_u32 v90, v90, v243, v66 /*v322*/
	v_add3_u32 v240, v240, v241, v63 /*v319*/
	v_cvt_f32_f16_e64 v241, v242
	v_lshrrev_b32_e32 v242, 16, v242
	s_set_vgpr_msb 4                        ;  msbs: dst=0 src0=0 src1=1 src2=0
	v_dual_lshrrev_b32 v204, 28, v64 /*v320*/ :: v_dual_bitop2_b32 v202, 15, v64 /*v320*/ bitop3:0x40
	s_set_vgpr_msb 0x54                     ;  msbs: dst=1 src0=0 src1=1 src2=1
	v_add3_u32 v63 /*v319*/, v240, v68 /*v324*/, v70 /*v326*/
	s_set_vgpr_msb 20                       ;  msbs: dst=0 src0=0 src1=1 src2=1
	v_add3_u32 v90, v90, v67 /*v323*/, v69 /*v325*/
	v_cvt_f32_f16_e64 v243, v242
	v_lshrrev_b32_e32 v242, 16, v108 /*v364*/
	s_set_vgpr_msb 1                        ;  msbs: dst=0 src0=1 src1=0 src2=0
	v_bfe_u32 v203, v64 /*v320*/, 12, 4
	v_cvt_f32_f16_e64 v240, v108 /*v364*/
	s_set_vgpr_msb 64                       ;  msbs: dst=1 src0=0 src1=0 src2=0
	v_cvt_f32_i32_e32 v67 /*v323*/, v90
	s_set_vgpr_msb 0x41                     ;  msbs: dst=1 src0=1 src1=0 src2=0
	v_cvt_f32_i32_e32 v66 /*v322*/, v63 /*v319*/
	s_set_vgpr_msb 0                        ;  msbs: dst=0 src0=0 src1=0 src2=0
	v_cvt_f32_f16_e64 v242, v242
	s_set_vgpr_msb 1                        ;  msbs: dst=0 src0=1 src1=0 src2=0
	v_bfe_u32 v200, v64 /*v320*/, 20, 4
	s_set_vgpr_msb 64                       ;  msbs: dst=1 src0=0 src1=0 src2=0
	v_mul_i32_i24_e32 v109 /*v365*/, v202, v199
	s_set_vgpr_msb 1                        ;  msbs: dst=0 src0=1 src1=0 src2=0
	v_bfe_u32 v199, v64 /*v320*/, 4, 4
	v_mul_i32_i24_e32 v90, v54 /*v310*/, v203
	s_set_vgpr_msb 4                        ;  msbs: dst=0 src0=0 src1=1 src2=0
	v_pk_fma_f32 v[240:241], v[240:241], v[66:67] /*v[322:323]*/, v[242:243]
	s_set_vgpr_msb 1                        ;  msbs: dst=0 src0=1 src1=0 src2=0
	v_bfe_u32 v206, v65 /*v321*/, 8, 4
	v_bfe_u32 v208, v65 /*v321*/, 24, 4
	s_set_vgpr_msb 4                        ;  msbs: dst=0 src0=0 src1=1 src2=0
	v_dual_lshrrev_b32 v211, 28, v65 /*v321*/ :: v_dual_bitop2_b32 v205, 15, v65 /*v321*/ bitop3:0x40
	s_set_vgpr_msb 0                        ;  msbs: dst=0 src0=0 src1=0 src2=0
	v_pk_add_f32 v[74:75], v[74:75], v[240:241]
	s_set_vgpr_msb 1                        ;  msbs: dst=0 src0=1 src1=0 src2=0
	v_mul_i32_i24_e32 v240, v55 /*v311*/, v200
	v_mul_i32_i24_e32 v241, v56 /*v312*/, v204
	v_mad_i32_i24 v90, v53 /*v309*/, v199, v90
	v_bfe_u32 v207, v65 /*v321*/, 16, 4
	v_mul_i32_i24_e32 v243, v50 /*v306*/, v206
	s_set_vgpr_msb 0x41                     ;  msbs: dst=1 src0=1 src1=0 src2=0
	v_mul_i32_i24_e32 v66 /*v322*/, v52 /*v308*/, v208
	s_set_vgpr_msb 0                        ;  msbs: dst=0 src0=0 src1=0 src2=0
	v_bfe_u32 v224, v245, 4, 4
	v_add3_u32 v90, v90, v240, v241
	s_set_vgpr_msb 1                        ;  msbs: dst=0 src0=1 src1=0 src2=0
	v_mul_i32_i24_e32 v242, v49 /*v305*/, v205
	s_set_vgpr_msb 0x41                     ;  msbs: dst=1 src0=1 src1=0 src2=0
	v_mul_i32_i24_e32 v63 /*v319*/, v51 /*v307*/, v207
	s_set_vgpr_msb 4                        ;  msbs: dst=0 src0=0 src1=1 src2=0
	v_bfe_u32 v220, v245, 8, 4
	v_bfe_u32 v222, v245, 16, 4
	v_add3_u32 v90, v90, v66 /*v322*/, v243
	v_bfe_u32 v223, v245, 24, 4
	s_set_vgpr_msb 0                        ;  msbs: dst=0 src0=0 src1=0 src2=0
	v_mul_i32_i24_e32 v91, v244, v110
	s_set_vgpr_msb 64                       ;  msbs: dst=1 src0=0 src1=0 src2=0
	v_mul_i32_i24_e32 v83 /*v339*/, v244, v224
	s_set_vgpr_msb 16                       ;  msbs: dst=0 src0=0 src1=0 src2=1
	v_bfe_u32 v240, v245, 12, 4
	v_add3_u32 v90, v90, v242, v63 /*v319*/
	s_set_vgpr_msb 1                        ;  msbs: dst=0 src0=1 src1=0 src2=0
	v_bfe_u32 v243, v64 /*v320*/, 8, 4
	v_lshrrev_b32_e32 v241, 28, v245
	v_bfe_u32 v244, v64 /*v320*/, 24, 4
	s_set_vgpr_msb 0                        ;  msbs: dst=0 src0=0 src1=0 src2=0
	v_bfe_u32 v242, v245, 20, 4
	s_set_vgpr_msb 1                        ;  msbs: dst=0 src0=1 src1=0 src2=0
	v_bfe_u32 v245, v64 /*v320*/, 16, 4
	s_set_vgpr_msb 64                       ;  msbs: dst=1 src0=0 src1=0 src2=0
	v_pk_mul_f16 v63 /*v319*/, v198, v85
	s_set_vgpr_msb 16                       ;  msbs: dst=0 src0=0 src1=0 src2=1
	v_mad_i32_i24 v247, v243, v247, v109 /*v365*/
	s_set_vgpr_msb 64                       ;  msbs: dst=1 src0=0 src1=0 src2=0
	v_mul_i32_i24_e32 v110 /*v366*/, v199, v249
	v_mul_i32_i24_e32 v111 /*v367*/, v203, v250
	s_set_vgpr_msb 0                        ;  msbs: dst=0 src0=0 src1=0 src2=0
	v_mul_i32_i24_e32 v85, v245, v248
	s_set_vgpr_msb 4                        ;  msbs: dst=0 src0=0 src1=1 src2=0
	v_mul_i32_i24_e32 v248, v244, v58 /*v314*/
	s_set_vgpr_msb 64                       ;  msbs: dst=1 src0=0 src1=0 src2=0
	v_mul_i32_i24_e32 v112 /*v368*/, v200, v251
	s_set_vgpr_msb 0x44                     ;  msbs: dst=1 src0=0 src1=1 src2=0
	v_mul_i32_i24_e32 v113 /*v369*/, v204, v19 /*v275*/
	s_set_vgpr_msb 1                        ;  msbs: dst=0 src0=1 src1=0 src2=0
	v_bfe_u32 v209, v65 /*v321*/, 4, 4
	v_bfe_u32 v201, v65 /*v321*/, 20, 4
	s_set_vgpr_msb 0                        ;  msbs: dst=0 src0=0 src1=0 src2=0
	v_add3_u32 v85, v247, v85, v248
	s_set_vgpr_msb 64                       ;  msbs: dst=1 src0=0 src1=0 src2=0
	v_mul_i32_i24_e32 v114 /*v370*/, v252, v205
	v_mul_i32_i24_e32 v115 /*v371*/, v253, v206
	s_set_vgpr_msb 1                        ;  msbs: dst=0 src0=1 src1=0 src2=0
	v_bfe_u32 v210, v65 /*v321*/, 12, 4
	s_set_vgpr_msb 0x41                     ;  msbs: dst=1 src0=1 src1=0 src2=0
	v_mul_i32_i24_e32 v67 /*v323*/, v45 /*v301*/, v209
	s_set_vgpr_msb 20                       ;  msbs: dst=0 src0=0 src1=1 src2=1
	v_add3_u32 v85, v85, v111 /*v367*/, v110 /*v366*/
	s_set_vgpr_msb 0x41                     ;  msbs: dst=1 src0=1 src1=0 src2=0
	v_mul_i32_i24_e32 v70 /*v326*/, v48 /*v304*/, v211
	s_set_vgpr_msb 64                       ;  msbs: dst=1 src0=0 src1=0 src2=0
	v_mul_i32_i24_e32 v116 /*v372*/, v254, v207
	s_set_vgpr_msb 0x41                     ;  msbs: dst=1 src0=1 src1=0 src2=0
	v_mul_i32_i24_e32 v117 /*v373*/, v18 /*v274*/, v208
	v_mul_i32_i24_e32 v68 /*v324*/, v46 /*v302*/, v210
	s_set_vgpr_msb 20                       ;  msbs: dst=0 src0=0 src1=1 src2=1
	v_add3_u32 v85, v85, v112 /*v368*/, v113 /*v369*/
	s_set_vgpr_msb 0x41                     ;  msbs: dst=1 src0=1 src1=0 src2=0
	v_mul_i32_i24_e32 v69 /*v325*/, v47 /*v303*/, v201
	s_set_vgpr_msb 20                       ;  msbs: dst=0 src0=0 src1=1 src2=1
	v_add3_u32 v90, v90, v70 /*v326*/, v67 /*v323*/
	s_set_vgpr_msb 64                       ;  msbs: dst=1 src0=0 src1=0 src2=0
	v_mul_i32_i24_e32 v118 /*v374*/, v255, v209
	s_set_vgpr_msb 0x41                     ;  msbs: dst=1 src0=1 src1=0 src2=0
	v_mul_i32_i24_e32 v119 /*v375*/, v0 /*v256*/, v210
	s_set_vgpr_msb 20                       ;  msbs: dst=0 src0=0 src1=1 src2=1
	v_add3_u32 v85, v85, v115 /*v371*/, v114 /*v370*/
	s_set_vgpr_msb 0x41                     ;  msbs: dst=1 src0=1 src1=0 src2=0
	v_mul_i32_i24_e32 v72 /*v328*/, v42 /*v298*/, v212
	v_mul_i32_i24_e32 v74 /*v330*/, v44 /*v300*/, v214
	s_set_vgpr_msb 20                       ;  msbs: dst=0 src0=0 src1=1 src2=1
	v_add3_u32 v90, v90, v68 /*v324*/, v69 /*v325*/
	s_set_vgpr_msb 0x41                     ;  msbs: dst=1 src0=1 src1=0 src2=0
	v_mul_i32_i24_e32 v120 /*v376*/, v1 /*v257*/, v201
	s_set_vgpr_msb 20                       ;  msbs: dst=0 src0=0 src1=1 src2=1
	v_add3_u32 v85, v85, v116 /*v372*/, v117 /*v373*/
	s_set_vgpr_msb 0x41                     ;  msbs: dst=1 src0=1 src1=0 src2=0
	v_mul_i32_i24_e32 v65 /*v321*/, v16 /*v272*/, v211
	v_mul_i32_i24_e32 v71 /*v327*/, v41 /*v297*/, v213
	v_mul_i32_i24_e32 v73 /*v329*/, v43 /*v299*/, v215
	s_set_vgpr_msb 20                       ;  msbs: dst=0 src0=0 src1=1 src2=1
	v_add3_u32 v90, v90, v74 /*v330*/, v72 /*v328*/
	v_add3_u32 v85, v85, v118 /*v374*/, v119 /*v375*/
	s_set_vgpr_msb 0x41                     ;  msbs: dst=1 src0=1 src1=0 src2=0
	v_mul_i32_i24_e32 v121 /*v377*/, v2 /*v258*/, v213
	v_mul_i32_i24_e32 v122 /*v378*/, v3 /*v259*/, v212
	v_mul_i32_i24_e32 v75 /*v331*/, v36 /*v292*/, v216
	v_mul_i32_i24_e32 v78 /*v334*/, v39 /*v295*/, v218
	s_set_vgpr_msb 20                       ;  msbs: dst=0 src0=0 src1=1 src2=1
	v_add3_u32 v90, v90, v71 /*v327*/, v73 /*v329*/
	v_add3_u32 v85, v85, v120 /*v376*/, v65 /*v321*/
	s_set_vgpr_msb 0x41                     ;  msbs: dst=1 src0=1 src1=0 src2=0
	v_mul_i32_i24_e32 v123 /*v379*/, v14 /*v270*/, v214
	;; [unrolled: 8-line block ×5, first 2 shown]
	v_mul_i32_i24_e32 v130 /*v386*/, v8 /*v264*/, v220
	v_mul_i32_i24_e32 v66 /*v322*/, v139 /*v395*/, v241
	s_set_vgpr_msb 20                       ;  msbs: dst=0 src0=0 src1=1 src2=1
	v_add3_u32 v90, v90, v79 /*v335*/, v81 /*v337*/
	v_add3_u32 v85, v85, v128 /*v384*/, v127 /*v383*/
	s_set_vgpr_msb 0x41                     ;  msbs: dst=1 src0=1 src1=0 src2=0
	v_mul_i32_i24_e32 v131 /*v387*/, v9 /*v265*/, v222
	v_mul_i32_i24_e32 v132 /*v388*/, v10 /*v266*/, v223
	;; [unrolled: 1-line block ×4, first 2 shown]
	s_set_vgpr_msb 20                       ;  msbs: dst=0 src0=0 src1=1 src2=1
	v_add3_u32 v85, v85, v130 /*v386*/, v129 /*v385*/
	v_add3_u32 v90, v90, v66 /*v322*/, v83 /*v339*/
	v_bfe_u32 v227, v81, 20, 4
	s_set_vgpr_msb 64                       ;  msbs: dst=1 src0=0 src1=0 src2=0
	v_mul_i32_i24_e32 v26 /*v282*/, v84, v113
	s_set_vgpr_msb 1                        ;  msbs: dst=0 src0=1 src1=0 src2=0
	v_mul_i32_i24_e32 v247, v62 /*v318*/, v224
	s_set_vgpr_msb 0                        ;  msbs: dst=0 src0=0 src1=0 src2=0
	v_mul_i32_i24_e32 v84, v84, v202
	s_set_vgpr_msb 1                        ;  msbs: dst=0 src0=1 src1=0 src2=0
	v_mul_i32_i24_e32 v248, v61 /*v317*/, v240
	s_set_vgpr_msb 0x41                     ;  msbs: dst=1 src0=1 src1=0 src2=0
	v_mul_i32_i24_e32 v58 /*v314*/, v134 /*v390*/, v243
	s_set_vgpr_msb 20                       ;  msbs: dst=0 src0=0 src1=1 src2=1
	v_add3_u32 v85, v85, v131 /*v387*/, v132 /*v388*/
	v_add3_u32 v90, v90, v64 /*v320*/, v65 /*v321*/
	s_set_vgpr_msb 0x41                     ;  msbs: dst=1 src0=1 src1=0 src2=0
	v_mul_i32_i24_e32 v29 /*v285*/, v60 /*v316*/, v227
	v_mul_i32_i24_e32 v32 /*v288*/, v59 /*v315*/, v226
	;; [unrolled: 1-line block ×6, first 2 shown]
	s_set_vgpr_msb 16                       ;  msbs: dst=0 src0=0 src1=0 src2=1
	v_add3_u32 v84, v90, v84, v58 /*v314*/
	s_set_vgpr_msb 0                        ;  msbs: dst=0 src0=0 src1=0 src2=0
	v_add3_u32 v85, v85, v247, v248
	s_set_vgpr_msb 4                        ;  msbs: dst=0 src0=0 src1=1 src2=0
	v_lshrrev_b32_e32 v248, 16, v63 /*v319*/
	s_set_vgpr_msb 0x41                     ;  msbs: dst=1 src0=1 src1=0 src2=0
	v_mul_i32_i24_e32 v18 /*v274*/, v18 /*v274*/, v111
	v_mul_i32_i24_e32 v40 /*v296*/, v139 /*v395*/, v226
	s_set_vgpr_msb 20                       ;  msbs: dst=0 src0=0 src1=1 src2=1
	v_add3_u32 v247, v84, v61 /*v317*/, v62 /*v318*/
	v_add3_u32 v90, v85, v60 /*v316*/, v59 /*v315*/
	s_set_vgpr_msb 64                       ;  msbs: dst=1 src0=0 src1=0 src2=0
	v_cvt_f32_f16_e64 v59 /*v315*/, v248
	s_set_vgpr_msb 4                        ;  msbs: dst=0 src0=0 src1=1 src2=0
	v_lshrrev_b32_e32 v248, 16, v133 /*v389*/
	s_set_vgpr_msb 1                        ;  msbs: dst=0 src0=1 src1=0 src2=0
	v_cvt_f32_f16_e64 v85, v63 /*v319*/
	v_cvt_f32_f16_e64 v84, v133 /*v389*/
	s_set_vgpr_msb 64                       ;  msbs: dst=1 src0=0 src1=0 src2=0
	v_cvt_f32_i32_e32 v61 /*v317*/, v247
	v_cvt_f32_i32_e32 v60 /*v316*/, v90
	v_cvt_f32_f16_e64 v58 /*v314*/, v248
	s_set_vgpr_msb 0                        ;  msbs: dst=0 src0=0 src1=0 src2=0
	v_bfe_u32 v248, v82, 20, 4
	s_set_vgpr_msb 0x41                     ;  msbs: dst=1 src0=1 src1=0 src2=0
	v_mul_i32_i24_e32 v34 /*v290*/, v137 /*v393*/, v225
	v_mul_i32_i24_e32 v35 /*v291*/, v138 /*v394*/, v227
	;; [unrolled: 1-line block ×3, first 2 shown]
	s_set_vgpr_msb 20                       ;  msbs: dst=0 src0=0 src1=1 src2=1
	v_pk_fma_f32 v[84:85], v[84:85], v[60:61] /*v[316:317]*/, v[58:59] /*v[314:315]*/
	s_set_vgpr_msb 0x41                     ;  msbs: dst=1 src0=1 src1=0 src2=0
	v_mul_i32_i24_e32 v31 /*v287*/, v135 /*v391*/, v232
	v_mul_i32_i24_e32 v33 /*v289*/, v136 /*v392*/, v231
	s_set_vgpr_msb 0                        ;  msbs: dst=0 src0=0 src1=0 src2=0
	v_cvt_f32_f16_e32 v88, v88
	v_add_nc_u32_e32 v104, 16, v104
	v_pk_add_f32 v[76:77], v[76:77], v[84:85]
	v_add_nc_u32_e32 v85, 0x804, v99
	v_add_nc_u32_e32 v84, 0x800, v99
	;; [unrolled: 1-line block ×3, first 2 shown]
	s_set_vgpr_msb 64                       ;  msbs: dst=1 src0=0 src1=0 src2=0
	ds_load_2addr_b32 v[60:61] /*v[316:317]*/, v85 offset1:1
	s_set_vgpr_msb 0                        ;  msbs: dst=0 src0=0 src1=0 src2=0
	v_add_nc_u32_e32 v85, 0x814, v99
	s_set_vgpr_msb 64                       ;  msbs: dst=1 src0=0 src1=0 src2=0
	ds_load_2addr_b32 v[58:59] /*v[314:315]*/, v84 offset0:4 offset1:7
	ds_load_2addr_b32 v[62:63] /*v[318:319]*/, v85 offset1:1
	ds_load_2addr_b32 v[64:65] /*v[320:321]*/, v84 offset1:3
	s_set_vgpr_msb 0                        ;  msbs: dst=0 src0=0 src1=0 src2=0
	ds_load_2addr_b32 v[84:85], v98 offset0:64 offset1:96
	s_wait_dscnt 0x4
	s_set_vgpr_msb 0x41                     ;  msbs: dst=1 src0=1 src1=0 src2=0
	v_bfe_i32 v76 /*v332*/, v60 /*v316*/, 8, 8
	v_bfe_i32 v77 /*v333*/, v61 /*v317*/, 8, 8
	s_wait_dscnt 0x3
	s_set_vgpr_msb 4                        ;  msbs: dst=0 src0=0 src1=1 src2=0
	v_lshrrev_b16 v90, 8, v58 /*v314*/
	s_set_vgpr_msb 0x41                     ;  msbs: dst=1 src0=1 src1=0 src2=0
	v_bfe_i32 v66 /*v322*/, v59 /*v315*/, 0, 8
	v_bfe_i32 v67 /*v323*/, v59 /*v315*/, 8, 8
	s_wait_dscnt 0x1
	s_set_vgpr_msb 4                        ;  msbs: dst=0 src0=0 src1=1 src2=0
	v_lshrrev_b16 v247, 8, v64 /*v320*/
	s_set_vgpr_msb 0x41                     ;  msbs: dst=1 src0=1 src1=0 src2=0
	v_bfe_i32 v68 /*v324*/, v59 /*v315*/, 16, 8
	s_set_vgpr_msb 0                        ;  msbs: dst=0 src0=0 src1=0 src2=0
	v_bfe_i32 v90, v90, 0, 8
	s_set_vgpr_msb 0x44                     ;  msbs: dst=1 src0=0 src1=1 src2=0
	v_dual_ashrrev_i32 v59 /*v315*/, 24, v59 /*v315*/ :: v_dual_ashrrev_i32 v69 /*v325*/, 24, v64 /*v320*/
	v_bfe_i32 v70 /*v326*/, v247, 0, 8
	s_set_vgpr_msb 0                        ;  msbs: dst=0 src0=0 src1=0 src2=0
	v_and_b32_e32 v247, 0xffff, v246
	v_bfe_u32 v246, v82, 4, 4
	s_set_vgpr_msb 0x41                     ;  msbs: dst=1 src0=1 src1=0 src2=0
	v_bfe_i32 v71 /*v327*/, v64 /*v320*/, 16, 8
	v_bfe_i32 v64 /*v320*/, v64 /*v320*/, 0, 8
	s_set_vgpr_msb 0x44                     ;  msbs: dst=1 src0=0 src1=1 src2=0
	v_mul_i32_i24_e32 v75 /*v331*/, v231, v69 /*v325*/
	v_mul_i32_i24_e32 v72 /*v328*/, v230, v70 /*v326*/
	s_set_vgpr_msb 0                        ;  msbs: dst=0 src0=0 src1=0 src2=0
	v_mul_i32_i24_e32 v82, v246, v249
	v_mul_i32_i24_e32 v249, v247, v250
	;; [unrolled: 1-line block ×3, first 2 shown]
	s_set_vgpr_msb 4                        ;  msbs: dst=0 src0=0 src1=1 src2=0
	v_mul_i32_i24_e32 v251, v106, v19 /*v275*/
	s_set_vgpr_msb 0x44                     ;  msbs: dst=1 src0=0 src1=1 src2=0
	v_mul_i32_i24_e32 v19 /*v275*/, v247, v54 /*v310*/
	v_mul_i32_i24_e32 v54 /*v310*/, v248, v55 /*v311*/
	s_set_vgpr_msb 1                        ;  msbs: dst=0 src0=1 src1=0 src2=0
	v_add3_u32 v82, v57 /*v313*/, v249, v82
	s_set_vgpr_msb 4                        ;  msbs: dst=0 src0=0 src1=1 src2=0
	v_and_b32_e32 v249, 0xffff, v21 /*v277*/
	s_set_vgpr_msb 0x54                     ;  msbs: dst=1 src0=0 src1=1 src2=1
	v_mul_i32_i24_e32 v55 /*v311*/, v106, v56 /*v312*/
	v_mad_i32_i24 v19 /*v275*/, v246, v53 /*v309*/, v19 /*v275*/
	v_ashrrev_i32_e32 v53 /*v309*/, 24, v58 /*v314*/
	s_set_vgpr_msb 0                        ;  msbs: dst=0 src0=0 src1=0 src2=0
	v_add3_u32 v82, v82, v250, v251
	v_and_b32_e32 v251, 15, v83
	v_bfe_u32 v250, v83, 16, 4
	v_mul_i32_i24_e32 v253, v253, v249
	s_set_vgpr_msb 0x55                     ;  msbs: dst=1 src0=1 src1=1 src2=1
	v_add3_u32 v19 /*v275*/, v19 /*v275*/, v54 /*v310*/, v55 /*v311*/
	v_bfe_i32 v54 /*v310*/, v58 /*v314*/, 0, 8
	s_set_vgpr_msb 0                        ;  msbs: dst=0 src0=0 src1=0 src2=0
	v_mul_i32_i24_e32 v252, v252, v251
	v_mul_i32_i24_e32 v254, v254, v250
	s_set_vgpr_msb 0x41                     ;  msbs: dst=1 src0=1 src1=0 src2=0
	v_mul_i32_i24_e32 v21 /*v277*/, v49 /*v305*/, v251
	v_mul_i32_i24_e32 v49 /*v305*/, v50 /*v306*/, v249
	v_mul_i32_i24_e32 v50 /*v306*/, v51 /*v307*/, v250
	s_set_vgpr_msb 0                        ;  msbs: dst=0 src0=0 src1=0 src2=0
	v_add3_u32 v82, v82, v253, v252
	s_set_vgpr_msb 4                        ;  msbs: dst=0 src0=0 src1=1 src2=0
	v_and_b32_e32 v252, 0xffff, v20 /*v276*/
	v_bfe_u32 v253, v83, 20, 4
	s_set_vgpr_msb 0x41                     ;  msbs: dst=1 src0=1 src1=0 src2=0
	v_mul_i32_i24_e32 v51 /*v307*/, v52 /*v308*/, v111
	v_bfe_i32 v55 /*v311*/, v58 /*v314*/, 16, 8
	s_set_vgpr_msb 16                       ;  msbs: dst=0 src0=0 src1=0 src2=1
	v_add3_u32 v82, v82, v254, v18 /*v274*/
	v_bfe_u32 v254, v83, 4, 4
	s_set_vgpr_msb 0x41                     ;  msbs: dst=1 src0=1 src1=0 src2=0
	v_mul_i32_i24_e32 v20 /*v276*/, v46 /*v302*/, v252
	s_set_vgpr_msb 0x55                     ;  msbs: dst=1 src0=1 src1=1 src2=1
	v_add3_u32 v19 /*v275*/, v19 /*v275*/, v51 /*v307*/, v49 /*v305*/
	s_set_vgpr_msb 0x41                     ;  msbs: dst=1 src0=1 src1=0 src2=0
	v_mul_i32_i24_e32 v46 /*v302*/, v48 /*v304*/, v107
	s_set_vgpr_msb 0x44                     ;  msbs: dst=1 src0=0 src1=1 src2=0
	v_ashrrev_i32_e32 v52 /*v308*/, 24, v60 /*v316*/
	s_set_vgpr_msb 0                        ;  msbs: dst=0 src0=0 src1=0 src2=0
	v_mul_i32_i24_e32 v83, v255, v254
	s_set_vgpr_msb 1                        ;  msbs: dst=0 src0=1 src1=0 src2=0
	v_mul_i32_i24_e32 v255, v0 /*v256*/, v252
	s_set_vgpr_msb 0x41                     ;  msbs: dst=1 src0=1 src1=0 src2=0
	v_mul_i32_i24_e32 v0 /*v256*/, v1 /*v257*/, v253
	v_mul_i32_i24_e32 v1 /*v257*/, v16 /*v272*/, v107
	s_set_vgpr_msb 0x55                     ;  msbs: dst=1 src0=1 src1=1 src2=1
	v_add3_u32 v19 /*v275*/, v19 /*v275*/, v21 /*v277*/, v50 /*v306*/
	s_set_vgpr_msb 0x41                     ;  msbs: dst=1 src0=1 src1=0 src2=0
	v_mul_i32_i24_e32 v16 /*v272*/, v45 /*v301*/, v254
	s_set_vgpr_msb 0                        ;  msbs: dst=0 src0=0 src1=0 src2=0
	v_add3_u32 v82, v82, v83, v255
	s_set_vgpr_msb 4                        ;  msbs: dst=0 src0=0 src1=1 src2=0
	v_and_b32_e32 v255, 0xffff, v17 /*v273*/
	s_set_vgpr_msb 0x41                     ;  msbs: dst=1 src0=1 src1=0 src2=0
	v_mul_i32_i24_e32 v45 /*v301*/, v47 /*v303*/, v253
	v_bfe_i32 v58 /*v314*/, v60 /*v316*/, 16, 8
	s_set_vgpr_msb 0x55                     ;  msbs: dst=1 src0=1 src1=1 src2=1
	v_add3_u32 v16 /*v272*/, v19 /*v275*/, v46 /*v302*/, v16 /*v272*/
	s_set_vgpr_msb 20                       ;  msbs: dst=0 src0=0 src1=1 src2=1
	v_add3_u32 v82, v82, v0 /*v256*/, v1 /*v257*/
	s_set_vgpr_msb 64                       ;  msbs: dst=1 src0=0 src1=0 src2=0
	v_and_b32_e32 v1 /*v257*/, 15, v80
	v_bfe_u32 v0 /*v256*/, v80, 16, 4
	s_set_vgpr_msb 0x41                     ;  msbs: dst=1 src0=1 src1=0 src2=0
	v_mul_i32_i24_e32 v17 /*v273*/, v42 /*v298*/, v255
	s_set_vgpr_msb 0x55                     ;  msbs: dst=1 src0=1 src1=1 src2=1
	v_add3_u32 v16 /*v272*/, v16 /*v272*/, v20 /*v276*/, v45 /*v301*/
	s_set_vgpr_msb 0x41                     ;  msbs: dst=1 src0=1 src1=0 src2=0
	v_mul_i32_i24_e32 v42 /*v298*/, v44 /*v300*/, v112
	s_set_vgpr_msb 5                        ;  msbs: dst=0 src0=1 src1=1 src2=0
	v_mul_i32_i24_e32 v83, v2 /*v258*/, v1 /*v257*/
	s_set_vgpr_msb 0x41                     ;  msbs: dst=1 src0=1 src1=0 src2=0
	v_mul_i32_i24_e32 v2 /*v258*/, v3 /*v259*/, v255
	s_set_vgpr_msb 0x45                     ;  msbs: dst=1 src0=1 src1=1 src2=0
	v_mul_i32_i24_e32 v3 /*v259*/, v13 /*v269*/, v0 /*v256*/
	s_set_vgpr_msb 0x41                     ;  msbs: dst=1 src0=1 src1=0 src2=0
	v_mul_i32_i24_e32 v13 /*v269*/, v14 /*v270*/, v112
	s_set_vgpr_msb 0x45                     ;  msbs: dst=1 src0=1 src1=1 src2=0
	v_mul_i32_i24_e32 v14 /*v270*/, v41 /*v297*/, v1 /*v257*/
	v_mul_i32_i24_e32 v41 /*v297*/, v43 /*v299*/, v0 /*v256*/
	s_set_vgpr_msb 4                        ;  msbs: dst=0 src0=0 src1=1 src2=0
	v_add3_u32 v82, v82, v2 /*v258*/, v83
	s_set_vgpr_msb 0x55                     ;  msbs: dst=1 src0=1 src1=1 src2=1
	v_and_b32_e32 v2 /*v258*/, 0xffff, v15 /*v271*/
	v_add3_u32 v16 /*v272*/, v16 /*v272*/, v42 /*v298*/, v17 /*v273*/
	v_bfe_i32 v60 /*v316*/, v60 /*v316*/, 0, 8
	v_dual_ashrrev_i32 v47 /*v303*/, 24, v62 /*v318*/ :: v_dual_ashrrev_i32 v43 /*v299*/, 24, v61 /*v317*/
	s_set_vgpr_msb 20                       ;  msbs: dst=0 src0=0 src1=1 src2=1
	v_add3_u32 v82, v82, v3 /*v259*/, v13 /*v269*/
	s_set_vgpr_msb 64                       ;  msbs: dst=1 src0=0 src1=0 src2=0
	v_bfe_u32 v3 /*v259*/, v80, 20, 4
	s_set_vgpr_msb 0                        ;  msbs: dst=0 src0=0 src1=0 src2=0
	v_bfe_u32 v80, v80, 4, 4
	s_set_vgpr_msb 0x55                     ;  msbs: dst=1 src0=1 src1=1 src2=1
	v_add3_u32 v14 /*v270*/, v16 /*v272*/, v14 /*v270*/, v41 /*v297*/
	v_mul_i32_i24_e32 v15 /*v271*/, v37 /*v293*/, v2 /*v258*/
	s_set_vgpr_msb 0x41                     ;  msbs: dst=1 src0=1 src1=0 src2=0
	v_mul_i32_i24_e32 v37 /*v293*/, v39 /*v295*/, v108
	v_bfe_i32 v48 /*v304*/, v62 /*v318*/, 16, 8
	s_set_vgpr_msb 1                        ;  msbs: dst=0 src0=1 src1=0 src2=0
	v_mul_i32_i24_e32 v83, v4 /*v260*/, v80
	s_set_vgpr_msb 0x45                     ;  msbs: dst=1 src0=1 src1=1 src2=0
	v_mul_i32_i24_e32 v4 /*v260*/, v5 /*v261*/, v2 /*v258*/
	v_mul_i32_i24_e32 v5 /*v261*/, v6 /*v262*/, v3 /*v259*/
	s_set_vgpr_msb 0x41                     ;  msbs: dst=1 src0=1 src1=0 src2=0
	v_mul_i32_i24_e32 v6 /*v262*/, v11 /*v267*/, v108
	v_mul_i32_i24_e32 v11 /*v267*/, v36 /*v292*/, v80
	s_set_vgpr_msb 0x45                     ;  msbs: dst=1 src0=1 src1=1 src2=0
	v_mul_i32_i24_e32 v36 /*v292*/, v38 /*v294*/, v3 /*v259*/
	s_set_vgpr_msb 16                       ;  msbs: dst=0 src0=0 src1=0 src2=1
	v_add3_u32 v82, v82, v83, v4 /*v260*/
	s_set_vgpr_msb 0x44                     ;  msbs: dst=1 src0=0 src1=1 src2=0
	v_and_b32_e32 v4 /*v260*/, 0xffff, v12 /*v268*/
	s_set_vgpr_msb 0x41                     ;  msbs: dst=1 src0=1 src1=0 src2=0
	v_mul_i32_i24_e32 v56 /*v312*/, v55 /*v311*/, v248
	s_set_vgpr_msb 0x55                     ;  msbs: dst=1 src0=1 src1=1 src2=1
	v_add3_u32 v11 /*v267*/, v14 /*v270*/, v37 /*v293*/, v11 /*v267*/
	s_set_vgpr_msb 0x41                     ;  msbs: dst=1 src0=1 src1=0 src2=0
	v_mul_i32_i24_e32 v57 /*v313*/, v53 /*v309*/, v106
	s_set_vgpr_msb 20                       ;  msbs: dst=0 src0=0 src1=1 src2=1
	v_add3_u32 v82, v82, v5 /*v261*/, v6 /*v262*/
	s_set_vgpr_msb 64                       ;  msbs: dst=1 src0=0 src1=0 src2=0
	v_and_b32_e32 v6 /*v262*/, 15, v81
	v_bfe_u32 v5 /*v261*/, v81, 16, 4
	s_set_vgpr_msb 0x55                     ;  msbs: dst=1 src0=1 src1=1 src2=1
	v_add3_u32 v11 /*v267*/, v11 /*v267*/, v15 /*v271*/, v36 /*v292*/
	s_set_vgpr_msb 5                        ;  msbs: dst=0 src0=1 src1=1 src2=0
	v_mul_i32_i24_e32 v83, v8 /*v264*/, v4 /*v260*/
	s_set_vgpr_msb 0x41                     ;  msbs: dst=1 src0=1 src1=0 src2=0
	v_mul_i32_i24_e32 v8 /*v264*/, v10 /*v266*/, v109
	s_set_vgpr_msb 5                        ;  msbs: dst=0 src0=1 src1=1 src2=0
	v_mul_i32_i24_e32 v81, v7 /*v263*/, v6 /*v262*/
	s_set_vgpr_msb 0x45                     ;  msbs: dst=1 src0=1 src1=1 src2=0
	v_mul_i32_i24_e32 v7 /*v263*/, v9 /*v265*/, v5 /*v261*/
	v_mul_i32_i24_e32 v9 /*v265*/, v22 /*v278*/, v6 /*v262*/
	;; [unrolled: 1-line block ×3, first 2 shown]
	s_set_vgpr_msb 0x41                     ;  msbs: dst=1 src0=1 src1=0 src2=0
	v_mul_i32_i24_e32 v22 /*v278*/, v25 /*v281*/, v109
	s_set_vgpr_msb 0x45                     ;  msbs: dst=1 src0=1 src1=1 src2=0
	v_mul_i32_i24_e32 v12 /*v268*/, v24 /*v280*/, v5 /*v261*/
	s_set_vgpr_msb 0                        ;  msbs: dst=0 src0=0 src1=0 src2=0
	v_add3_u32 v81, v82, v83, v81
	s_set_vgpr_msb 0x41                     ;  msbs: dst=1 src0=1 src1=0 src2=0
	v_mul_i32_i24_e32 v18 /*v274*/, v60 /*v316*/, v251
	v_mul_i32_i24_e32 v21 /*v277*/, v76 /*v332*/, v249
	s_set_vgpr_msb 0x55                     ;  msbs: dst=1 src0=1 src1=1 src2=1
	v_add3_u32 v10 /*v266*/, v11 /*v267*/, v22 /*v278*/, v10 /*v266*/
	s_set_vgpr_msb 0x41                     ;  msbs: dst=1 src0=1 src1=0 src2=0
	v_mul_i32_i24_e32 v49 /*v305*/, v58 /*v314*/, v250
	s_set_vgpr_msb 20                       ;  msbs: dst=0 src0=0 src1=1 src2=1
	v_add3_u32 v81, v81, v7 /*v263*/, v8 /*v264*/
	s_set_vgpr_msb 0x41                     ;  msbs: dst=1 src0=1 src1=0 src2=0
	v_mul_i32_i24_e32 v50 /*v306*/, v52 /*v308*/, v111
	v_bfe_i32 v51 /*v307*/, v62 /*v318*/, 8, 8
	s_set_vgpr_msb 0x55                     ;  msbs: dst=1 src0=1 src1=1 src2=1
	v_add3_u32 v9 /*v265*/, v10 /*v266*/, v9 /*v265*/, v12 /*v268*/
	v_bfe_i32 v62 /*v318*/, v62 /*v318*/, 0, 8
	s_set_vgpr_msb 20                       ;  msbs: dst=0 src0=0 src1=1 src2=1
	v_add3_u32 v81, v81, v27 /*v283*/, v30 /*v286*/
	s_set_vgpr_msb 0x41                     ;  msbs: dst=1 src0=1 src1=0 src2=0
	v_mul_i32_i24_e32 v45 /*v301*/, v48 /*v304*/, v253
	v_mul_i32_i24_e32 v46 /*v302*/, v47 /*v303*/, v107
	s_set_vgpr_msb 5                        ;  msbs: dst=0 src0=1 src1=1 src2=0
	v_add3_u32 v82, v9 /*v265*/, v40 /*v296*/, v91
	s_set_vgpr_msb 0x41                     ;  msbs: dst=1 src0=1 src1=0 src2=0
	v_bfe_i32 v44 /*v300*/, v61 /*v317*/, 16, 8
	s_set_vgpr_msb 20                       ;  msbs: dst=0 src0=0 src1=1 src2=1
	v_add3_u32 v81, v81, v29 /*v285*/, v32 /*v288*/
	s_set_vgpr_msb 0x41                     ;  msbs: dst=1 src0=1 src1=0 src2=0
	v_bfe_i32 v61 /*v317*/, v61 /*v317*/, 0, 8
	s_set_vgpr_msb 0x44                     ;  msbs: dst=1 src0=0 src1=1 src2=0
	v_dual_ashrrev_i32 v38 /*v294*/, 24, v63 /*v319*/ :: v_dual_ashrrev_i32 v23 /*v279*/, 24, v65 /*v321*/
	s_set_vgpr_msb 20                       ;  msbs: dst=0 src0=0 src1=1 src2=1
	v_add3_u32 v82, v82, v34 /*v290*/, v35 /*v291*/
	s_set_vgpr_msb 0x41                     ;  msbs: dst=1 src0=1 src1=0 src2=0
	v_bfe_i32 v39 /*v295*/, v63 /*v319*/, 16, 8
	v_mul_i32_i24_e32 v19 /*v275*/, v62 /*v318*/, v254
	v_mul_i32_i24_e32 v20 /*v276*/, v51 /*v307*/, v252
	s_set_vgpr_msb 0x45                     ;  msbs: dst=1 src0=1 src1=1 src2=0
	v_mul_i32_i24_e32 v13 /*v269*/, v61 /*v317*/, v1 /*v257*/
	s_set_vgpr_msb 20                       ;  msbs: dst=0 src0=0 src1=1 src2=1
	v_add3_u32 v82, v82, v26 /*v282*/, v28 /*v284*/
	s_set_vgpr_msb 0x41                     ;  msbs: dst=1 src0=1 src1=0 src2=0
	v_mul_i32_i24_e32 v16 /*v272*/, v77 /*v333*/, v255
	s_set_vgpr_msb 0x45                     ;  msbs: dst=1 src0=1 src1=1 src2=0
	v_mul_i32_i24_e32 v17 /*v273*/, v44 /*v300*/, v0 /*v256*/
	s_set_vgpr_msb 0x41                     ;  msbs: dst=1 src0=1 src1=0 src2=0
	v_mul_i32_i24_e32 v41 /*v297*/, v43 /*v299*/, v112
	v_bfe_i32 v42 /*v298*/, v63 /*v319*/, 8, 8
	s_set_vgpr_msb 20                       ;  msbs: dst=0 src0=0 src1=1 src2=1
	v_add3_u32 v83, v82, v31 /*v287*/, v33 /*v289*/
	v_cvt_f32_i32_e32 v82, v81
	s_set_vgpr_msb 0x45                     ;  msbs: dst=1 src0=1 src1=1 src2=0
	v_bfe_i32 v63 /*v319*/, v63 /*v319*/, 0, 8
	v_mul_i32_i24_e32 v36 /*v292*/, v39 /*v295*/, v3 /*v259*/
	s_set_vgpr_msb 0x41                     ;  msbs: dst=1 src0=1 src1=0 src2=0
	v_mul_i32_i24_e32 v37 /*v293*/, v38 /*v294*/, v108
	s_set_vgpr_msb 0                        ;  msbs: dst=0 src0=0 src1=0 src2=0
	v_cvt_f32_i32_e32 v83, v83
	s_set_vgpr_msb 0x41                     ;  msbs: dst=1 src0=1 src1=0 src2=0
	v_bfe_i32 v24 /*v280*/, v65 /*v321*/, 16, 8
	v_bfe_i32 v25 /*v281*/, v65 /*v321*/, 8, 8
	;; [unrolled: 1-line block ×3, first 2 shown]
	s_set_vgpr_msb 17                       ;  msbs: dst=0 src0=1 src1=0 src2=1
	v_mad_i32_i24 v91, v54 /*v310*/, v246, v18 /*v274*/
	s_set_vgpr_msb 0                        ;  msbs: dst=0 src0=0 src1=0 src2=0
	v_pk_fma_f32 v[82:83], v[86:87], v[82:83], v[88:89]
	s_set_vgpr_msb 0x50                     ;  msbs: dst=1 src0=0 src1=0 src2=1
	v_mad_i32_i24 v7 /*v263*/, v90, v247, v21 /*v277*/
	s_set_vgpr_msb 0x55                     ;  msbs: dst=1 src0=1 src1=1 src2=1
	v_add3_u32 v8 /*v264*/, v57 /*v313*/, v50 /*v306*/, v46 /*v302*/
	v_add3_u32 v9 /*v265*/, v56 /*v312*/, v49 /*v305*/, v45 /*v301*/
	s_set_vgpr_msb 0x44                     ;  msbs: dst=1 src0=0 src1=1 src2=0
	v_mul_i32_i24_e32 v74 /*v330*/, v232, v71 /*v327*/
	s_set_vgpr_msb 0x41                     ;  msbs: dst=1 src0=1 src1=0 src2=0
	v_mul_i32_i24_e32 v14 /*v270*/, v63 /*v319*/, v80
	s_set_vgpr_msb 0x45                     ;  msbs: dst=1 src0=1 src1=1 src2=0
	v_mul_i32_i24_e32 v15 /*v271*/, v42 /*v298*/, v2 /*v258*/
	s_set_vgpr_msb 0                        ;  msbs: dst=0 src0=0 src1=0 src2=0
	v_pk_add_f32 v[70:71], v[70:71], v[82:83]
	s_set_vgpr_msb 5                        ;  msbs: dst=0 src0=1 src1=1 src2=0
	v_mul_i32_i24_e32 v81, v65 /*v321*/, v6 /*v262*/
	v_mul_i32_i24_e32 v82, v25 /*v281*/, v4 /*v260*/
	;; [unrolled: 1-line block ×3, first 2 shown]
	s_set_vgpr_msb 1                        ;  msbs: dst=0 src0=1 src1=0 src2=0
	v_mul_i32_i24_e32 v86, v23 /*v279*/, v109
	s_set_vgpr_msb 0x55                     ;  msbs: dst=1 src0=1 src1=1 src2=1
	v_add3_u32 v7 /*v263*/, v7 /*v263*/, v20 /*v276*/, v16 /*v272*/
	s_set_vgpr_msb 20                       ;  msbs: dst=0 src0=0 src1=1 src2=1
	v_add3_u32 v91, v91, v19 /*v275*/, v13 /*v269*/
	s_set_vgpr_msb 0x55                     ;  msbs: dst=1 src0=1 src1=1 src2=1
	v_add3_u32 v9 /*v265*/, v9 /*v265*/, v17 /*v273*/, v36 /*v292*/
	v_add3_u32 v8 /*v264*/, v8 /*v264*/, v41 /*v297*/, v37 /*v293*/
	s_set_vgpr_msb 0x44                     ;  msbs: dst=1 src0=0 src1=1 src2=0
	v_mul_i32_i24_e32 v73 /*v329*/, v113, v64 /*v320*/
	s_set_vgpr_msb 5                        ;  msbs: dst=0 src0=1 src1=1 src2=0
	v_add3_u32 v82, v7 /*v263*/, v15 /*v271*/, v82
	s_set_vgpr_msb 4                        ;  msbs: dst=0 src0=0 src1=1 src2=0
	v_add3_u32 v81, v91, v14 /*v270*/, v81
	s_set_vgpr_msb 17                       ;  msbs: dst=0 src0=1 src1=0 src2=1
	v_add3_u32 v83, v9 /*v265*/, v83, v74 /*v330*/
	v_add3_u32 v86, v8 /*v264*/, v86, v75 /*v331*/
	v_mul_i32_i24_e32 v87, v67 /*v323*/, v225
	v_mul_i32_i24_e32 v89, v59 /*v315*/, v226
	;; [unrolled: 1-line block ×3, first 2 shown]
	s_set_vgpr_msb 4                        ;  msbs: dst=0 src0=0 src1=1 src2=0
	v_add3_u32 v81, v81, v73 /*v329*/, v83
	v_add3_u32 v82, v82, v72 /*v328*/, v86
	s_set_vgpr_msb 1                        ;  msbs: dst=0 src0=1 src1=0 src2=0
	v_mul_i32_i24_e32 v91, v53 /*v309*/, v120
	s_set_vgpr_msb 0x41                     ;  msbs: dst=1 src0=1 src1=0 src2=0
	v_mul_i32_i24_e32 v8 /*v264*/, v76 /*v332*/, v122
	v_mul_i32_i24_e32 v10 /*v266*/, v52 /*v308*/, v124
	;; [unrolled: 1-line block ×3, first 2 shown]
	s_set_vgpr_msb 0                        ;  msbs: dst=0 src0=0 src1=0 src2=0
	v_add3_u32 v81, v81, v82, v89
	s_set_vgpr_msb 1                        ;  msbs: dst=0 src0=1 src1=0 src2=0
	v_mad_i32_i24 v82, v66 /*v322*/, v110, v87
	v_mul_i32_i24_e32 v89, v55 /*v311*/, v116
	s_set_vgpr_msb 0x41                     ;  msbs: dst=1 src0=1 src1=0 src2=0
	v_mul_i32_i24_e32 v9 /*v265*/, v58 /*v314*/, v123
	v_mul_i32_i24_e32 v11 /*v267*/, v62 /*v318*/, v125
	;; [unrolled: 1-line block ×3, first 2 shown]
	s_set_vgpr_msb 0                        ;  msbs: dst=0 src0=0 src1=0 src2=0
	v_add3_u32 v81, v81, v82, v88
	v_mul_i32_i24_e32 v88, v90, v119
	s_set_vgpr_msb 0x41                     ;  msbs: dst=1 src0=1 src1=0 src2=0
	v_mul_i32_i24_e32 v12 /*v268*/, v51 /*v307*/, v126
	v_mul_i32_i24_e32 v13 /*v269*/, v48 /*v304*/, v117
	;; [unrolled: 1-line block ×4, first 2 shown]
	s_set_vgpr_msb 1                        ;  msbs: dst=0 src0=1 src1=0 src2=0
	v_mad_i32_i24 v88, v54 /*v310*/, v115, v88
	s_set_vgpr_msb 0x41                     ;  msbs: dst=1 src0=1 src1=0 src2=0
	v_mul_i32_i24_e32 v15 /*v271*/, v61 /*v317*/, v129
	v_mul_i32_i24_e32 v17 /*v273*/, v44 /*v300*/, v131
	v_mul_i32_i24_e32 v19 /*v275*/, v63 /*v319*/, v132
	v_mul_i32_i24_e32 v22 /*v278*/, v38 /*v294*/, v134
	s_set_vgpr_msb 0                        ;  msbs: dst=0 src0=0 src1=0 src2=0
	v_add3_u32 v88, v88, v89, v91
	v_mul_i32_i24_e32 v89, v90, v145
	s_set_vgpr_msb 1                        ;  msbs: dst=0 src0=1 src1=0 src2=0
	v_mul_i32_i24_e32 v91, v55 /*v311*/, v142
	s_set_vgpr_msb 0                        ;  msbs: dst=0 src0=0 src1=0 src2=0
	v_mul_i32_i24_e32 v90, v90, v203
	s_set_vgpr_msb 0x41                     ;  msbs: dst=1 src0=1 src1=0 src2=0
	v_mul_i32_i24_e32 v20 /*v276*/, v42 /*v298*/, v133
	s_set_vgpr_msb 20                       ;  msbs: dst=0 src0=0 src1=1 src2=1
	v_add3_u32 v88, v88, v10 /*v266*/, v8 /*v264*/
	s_set_vgpr_msb 1                        ;  msbs: dst=0 src0=1 src1=0 src2=0
	v_mad_i32_i24 v89, v54 /*v310*/, v141, v89
	s_set_vgpr_msb 0x41                     ;  msbs: dst=1 src0=1 src1=0 src2=0
	v_mul_i32_i24_e32 v8 /*v264*/, v60 /*v316*/, v147
	v_mul_i32_i24_e32 v10 /*v266*/, v58 /*v314*/, v149
	;; [unrolled: 1-line block ×3, first 2 shown]
	s_set_vgpr_msb 20                       ;  msbs: dst=0 src0=0 src1=1 src2=1
	v_add3_u32 v88, v88, v7 /*v263*/, v9 /*v265*/
	s_set_vgpr_msb 0x41                     ;  msbs: dst=1 src0=1 src1=0 src2=0
	v_mul_i32_i24_e32 v7 /*v263*/, v53 /*v309*/, v146
	v_mul_i32_i24_e32 v9 /*v265*/, v76 /*v332*/, v148
	s_set_vgpr_msb 1                        ;  msbs: dst=0 src0=1 src1=0 src2=0
	v_mad_i32_i24 v90, v54 /*v310*/, v199, v90
	s_set_vgpr_msb 0x41                     ;  msbs: dst=1 src0=1 src1=0 src2=0
	v_mul_i32_i24_e32 v27 /*v283*/, v25 /*v281*/, v135
	s_set_vgpr_msb 20                       ;  msbs: dst=0 src0=0 src1=1 src2=1
	v_add3_u32 v88, v88, v14 /*v270*/, v11 /*v267*/
	s_set_vgpr_msb 0x41                     ;  msbs: dst=1 src0=1 src1=0 src2=0
	v_mul_i32_i24_e32 v11 /*v267*/, v52 /*v308*/, v150
	s_set_vgpr_msb 16                       ;  msbs: dst=0 src0=0 src1=0 src2=1
	v_add3_u32 v89, v89, v91, v7 /*v263*/
	s_set_vgpr_msb 0x41                     ;  msbs: dst=1 src0=1 src1=0 src2=0
	v_mul_i32_i24_e32 v14 /*v270*/, v48 /*v304*/, v143
	s_set_vgpr_msb 1                        ;  msbs: dst=0 src0=1 src1=0 src2=0
	v_mul_i32_i24_e32 v91, v55 /*v311*/, v200
	s_set_vgpr_msb 20                       ;  msbs: dst=0 src0=0 src1=1 src2=1
	v_add3_u32 v88, v88, v12 /*v268*/, v13 /*v269*/
	s_set_vgpr_msb 0x41                     ;  msbs: dst=1 src0=1 src1=0 src2=0
	v_mul_i32_i24_e32 v12 /*v268*/, v62 /*v318*/, v151
	s_set_vgpr_msb 20                       ;  msbs: dst=0 src0=0 src1=1 src2=1
	v_add3_u32 v89, v89, v11 /*v267*/, v9 /*v265*/
	s_set_vgpr_msb 0x41                     ;  msbs: dst=1 src0=1 src1=0 src2=0
	v_mul_i32_i24_e32 v13 /*v269*/, v51 /*v307*/, v152
	v_mul_i32_i24_e32 v7 /*v263*/, v53 /*v309*/, v204
	s_set_vgpr_msb 20                       ;  msbs: dst=0 src0=0 src1=1 src2=1
	v_add3_u32 v88, v88, v18 /*v274*/, v16 /*v272*/
	s_set_vgpr_msb 0x41                     ;  msbs: dst=1 src0=1 src1=0 src2=0
	v_mul_i32_i24_e32 v29 /*v285*/, v23 /*v279*/, v138
	s_set_vgpr_msb 20                       ;  msbs: dst=0 src0=0 src1=1 src2=1
	v_add3_u32 v89, v89, v8 /*v264*/, v10 /*v266*/
	s_set_vgpr_msb 0x41                     ;  msbs: dst=1 src0=1 src1=0 src2=0
	v_mul_i32_i24_e32 v9 /*v265*/, v76 /*v332*/, v206
	v_mul_i32_i24_e32 v11 /*v267*/, v52 /*v308*/, v208
	s_set_vgpr_msb 20                       ;  msbs: dst=0 src0=0 src1=1 src2=1
	v_add3_u32 v88, v88, v15 /*v271*/, v17 /*v273*/
	s_set_vgpr_msb 0x41                     ;  msbs: dst=1 src0=1 src1=0 src2=0
	v_mul_i32_i24_e32 v15 /*v271*/, v47 /*v303*/, v95
	v_mul_i32_i24_e32 v17 /*v273*/, v77 /*v333*/, v153
	s_set_vgpr_msb 16                       ;  msbs: dst=0 src0=0 src1=0 src2=1
	v_add3_u32 v90, v90, v91, v7 /*v263*/
	s_set_vgpr_msb 0x41                     ;  msbs: dst=1 src0=1 src1=0 src2=0
	v_mul_i32_i24_e32 v26 /*v282*/, v65 /*v321*/, v136
	s_set_vgpr_msb 20                       ;  msbs: dst=0 src0=0 src1=1 src2=1
	v_add3_u32 v88, v88, v22 /*v278*/, v19 /*v275*/
	v_add3_u32 v89, v89, v15 /*v271*/, v12 /*v268*/
	s_set_vgpr_msb 0x41                     ;  msbs: dst=1 src0=1 src1=0 src2=0
	v_mul_i32_i24_e32 v19 /*v275*/, v43 /*v299*/, v188
	v_mul_i32_i24_e32 v28 /*v284*/, v24 /*v280*/, v137
	;; [unrolled: 1-line block ×3, first 2 shown]
	s_set_vgpr_msb 20                       ;  msbs: dst=0 src0=0 src1=1 src2=1
	v_add3_u32 v88, v88, v20 /*v276*/, v21 /*v277*/
	v_add3_u32 v89, v89, v13 /*v269*/, v14 /*v270*/
	s_set_vgpr_msb 0x41                     ;  msbs: dst=1 src0=1 src1=0 src2=0
	v_mul_i32_i24_e32 v18 /*v274*/, v44 /*v300*/, v189
	v_mul_i32_i24_e32 v8 /*v264*/, v60 /*v316*/, v205
	;; [unrolled: 1-line block ×3, first 2 shown]
	s_set_vgpr_msb 20                       ;  msbs: dst=0 src0=0 src1=1 src2=1
	v_add3_u32 v88, v88, v29 /*v285*/, v27 /*v283*/
	v_add3_u32 v89, v89, v19 /*v275*/, v17 /*v273*/
	;; [unrolled: 1-line block ×3, first 2 shown]
	s_set_vgpr_msb 0x41                     ;  msbs: dst=1 src0=1 src1=0 src2=0
	v_mul_i32_i24_e32 v30 /*v286*/, v66 /*v322*/, v139
	v_mul_i32_i24_e32 v33 /*v289*/, v59 /*v315*/, v229
	s_set_vgpr_msb 20                       ;  msbs: dst=0 src0=0 src1=1 src2=1
	v_add3_u32 v88, v88, v26 /*v282*/, v28 /*v284*/
	s_set_vgpr_msb 0x41                     ;  msbs: dst=1 src0=1 src1=0 src2=0
	v_mul_i32_i24_e32 v20 /*v276*/, v63 /*v319*/, v190
	v_mul_i32_i24_e32 v26 /*v282*/, v38 /*v294*/, v192
	s_set_vgpr_msb 20                       ;  msbs: dst=0 src0=0 src1=1 src2=1
	v_add3_u32 v89, v89, v16 /*v272*/, v18 /*v274*/
	;; [unrolled: 5-line block ×3, first 2 shown]
	s_wait_dscnt 0x0
	s_set_vgpr_msb 0                        ;  msbs: dst=0 src0=0 src1=0 src2=0
	v_pk_mul_f16 v82, v105, v84
	v_cvt_f32_i32_e32 v81, v81
	s_set_vgpr_msb 0x41                     ;  msbs: dst=1 src0=1 src1=0 src2=0
	v_mul_i32_i24_e32 v31 /*v287*/, v67 /*v323*/, v228
	v_mul_i32_i24_e32 v32 /*v288*/, v68 /*v324*/, v93
	s_set_vgpr_msb 20                       ;  msbs: dst=0 src0=0 src1=1 src2=1
	v_add3_u32 v88, v88, v33 /*v289*/, v30 /*v286*/
	s_set_vgpr_msb 0x41                     ;  msbs: dst=1 src0=1 src1=0 src2=0
	v_mul_i32_i24_e32 v21 /*v277*/, v42 /*v298*/, v191
	v_mul_i32_i24_e32 v22 /*v278*/, v39 /*v295*/, v96
	s_set_vgpr_msb 20                       ;  msbs: dst=0 src0=0 src1=1 src2=1
	v_add3_u32 v89, v89, v26 /*v282*/, v20 /*v276*/
	;; [unrolled: 5-line block ×3, first 2 shown]
	s_set_vgpr_msb 0                        ;  msbs: dst=0 src0=0 src1=0 src2=0
	v_fma_mix_f32 v82, v82, v81, v82 op_sel:[0,0,1] op_sel_hi:[1,0,1]
	s_set_vgpr_msb 1                        ;  msbs: dst=0 src0=1 src1=0 src2=0
	v_mul_i32_i24_e32 v81, v64 /*v320*/, v118
	v_mul_i32_i24_e32 v83, v70 /*v326*/, v233
	s_set_vgpr_msb 20                       ;  msbs: dst=0 src0=0 src1=1 src2=1
	v_add3_u32 v88, v88, v31 /*v287*/, v32 /*v288*/
	s_set_vgpr_msb 0x41                     ;  msbs: dst=1 src0=1 src1=0 src2=0
	v_mul_i32_i24_e32 v28 /*v284*/, v25 /*v281*/, v193
	v_mul_i32_i24_e32 v30 /*v286*/, v23 /*v279*/, v196
	s_set_vgpr_msb 20                       ;  msbs: dst=0 src0=0 src1=1 src2=1
	v_add3_u32 v89, v89, v21 /*v277*/, v22 /*v278*/
	s_set_vgpr_msb 0x41                     ;  msbs: dst=1 src0=1 src1=0 src2=0
	v_mul_i32_i24_e32 v17 /*v273*/, v77 /*v333*/, v212
	v_mul_i32_i24_e32 v19 /*v275*/, v43 /*v299*/, v214
	s_set_vgpr_msb 20                       ;  msbs: dst=0 src0=0 src1=1 src2=1
	v_add3_u32 v90, v90, v13 /*v269*/, v14 /*v270*/
	s_set_vgpr_msb 1                        ;  msbs: dst=0 src0=1 src1=0 src2=0
	v_mul_i32_i24_e32 v86, v71 /*v327*/, v235
	v_mul_i32_i24_e32 v87, v69 /*v325*/, v234
	s_set_vgpr_msb 0                        ;  msbs: dst=0 src0=0 src1=0 src2=0
	v_add3_u32 v81, v88, v81, v83
	s_set_vgpr_msb 0x41                     ;  msbs: dst=1 src0=1 src1=0 src2=0
	v_mul_i32_i24_e32 v27 /*v283*/, v65 /*v321*/, v194
	v_mul_i32_i24_e32 v29 /*v285*/, v24 /*v280*/, v195
	s_set_vgpr_msb 20                       ;  msbs: dst=0 src0=0 src1=1 src2=1
	v_add3_u32 v89, v89, v30 /*v286*/, v28 /*v284*/
	s_set_vgpr_msb 0x41                     ;  msbs: dst=1 src0=1 src1=0 src2=0
	v_mul_i32_i24_e32 v16 /*v272*/, v61 /*v317*/, v213
	v_mul_i32_i24_e32 v18 /*v274*/, v44 /*v300*/, v215
	s_set_vgpr_msb 20                       ;  msbs: dst=0 src0=0 src1=1 src2=1
	v_add3_u32 v90, v90, v19 /*v275*/, v17 /*v273*/
	s_set_vgpr_msb 0                        ;  msbs: dst=0 src0=0 src1=0 src2=0
	v_add3_u32 v81, v81, v86, v87
	s_set_vgpr_msb 0x41                     ;  msbs: dst=1 src0=1 src1=0 src2=0
	v_mul_i32_i24_e32 v31 /*v287*/, v66 /*v322*/, v197
	v_mul_i32_i24_e32 v34 /*v290*/, v59 /*v315*/, v237
	s_set_vgpr_msb 20                       ;  msbs: dst=0 src0=0 src1=1 src2=1
	v_add3_u32 v89, v89, v27 /*v283*/, v29 /*v285*/
	s_set_vgpr_msb 0x41                     ;  msbs: dst=1 src0=1 src1=0 src2=0
	v_mul_i32_i24_e32 v20 /*v276*/, v63 /*v319*/, v216
	v_mul_i32_i24_e32 v26 /*v282*/, v38 /*v294*/, v218
	s_set_vgpr_msb 20                       ;  msbs: dst=0 src0=0 src1=1 src2=1
	v_add3_u32 v90, v90, v16 /*v272*/, v18 /*v274*/
	s_set_vgpr_msb 0                        ;  msbs: dst=0 src0=0 src1=0 src2=0
	v_pk_mul_f16 v83, v114, v84
	v_cvt_f32_i32_e32 v81, v81
	s_set_vgpr_msb 0x41                     ;  msbs: dst=1 src0=1 src1=0 src2=0
	v_mul_i32_i24_e32 v32 /*v288*/, v67 /*v323*/, v236
	v_mul_i32_i24_e32 v33 /*v289*/, v68 /*v324*/, v97
	s_set_vgpr_msb 20                       ;  msbs: dst=0 src0=0 src1=1 src2=1
	v_add3_u32 v89, v89, v34 /*v290*/, v31 /*v287*/
	s_set_vgpr_msb 0x41                     ;  msbs: dst=1 src0=1 src1=0 src2=0
	v_mul_i32_i24_e32 v21 /*v277*/, v42 /*v298*/, v217
	v_mul_i32_i24_e32 v22 /*v278*/, v39 /*v295*/, v219
	s_set_vgpr_msb 20                       ;  msbs: dst=0 src0=0 src1=1 src2=1
	v_add3_u32 v90, v90, v26 /*v282*/, v20 /*v276*/
	s_set_vgpr_msb 0                        ;  msbs: dst=0 src0=0 src1=0 src2=0
	v_fma_mix_f32 v81, v83, v81, v83 op_sel:[0,0,1] op_sel_hi:[1,0,1]
	s_set_vgpr_msb 1                        ;  msbs: dst=0 src0=1 src1=0 src2=0
	v_mul_i32_i24_e32 v83, v64 /*v320*/, v144
	v_mul_i32_i24_e32 v86, v70 /*v326*/, v238
	s_set_vgpr_msb 20                       ;  msbs: dst=0 src0=0 src1=1 src2=1
	v_add3_u32 v89, v89, v32 /*v288*/, v33 /*v289*/
	s_set_vgpr_msb 0x41                     ;  msbs: dst=1 src0=1 src1=0 src2=0
	v_mul_i32_i24_e32 v25 /*v281*/, v25 /*v281*/, v220
	v_mul_i32_i24_e32 v23 /*v279*/, v23 /*v279*/, v223
	s_set_vgpr_msb 20                       ;  msbs: dst=0 src0=0 src1=1 src2=1
	v_add3_u32 v90, v90, v21 /*v277*/, v22 /*v278*/
	s_set_vgpr_msb 1                        ;  msbs: dst=0 src0=1 src1=0 src2=0
	v_mul_i32_i24_e32 v87, v71 /*v327*/, v94
	v_mul_i32_i24_e32 v88, v69 /*v325*/, v239
	s_set_vgpr_msb 0                        ;  msbs: dst=0 src0=0 src1=0 src2=0
	v_add3_u32 v83, v89, v83, v86
	s_set_vgpr_msb 0x41                     ;  msbs: dst=1 src0=1 src1=0 src2=0
	v_mul_i32_i24_e32 v27 /*v283*/, v65 /*v321*/, v221
	v_mul_i32_i24_e32 v24 /*v280*/, v24 /*v280*/, v222
	s_set_vgpr_msb 20                       ;  msbs: dst=0 src0=0 src1=1 src2=1
	v_add3_u32 v90, v90, v23 /*v279*/, v25 /*v281*/
	s_set_vgpr_msb 0x41                     ;  msbs: dst=1 src0=1 src1=0 src2=0
	v_mul_i32_i24_e32 v28 /*v284*/, v66 /*v322*/, v224
	s_set_vgpr_msb 0                        ;  msbs: dst=0 src0=0 src1=0 src2=0
	v_add3_u32 v83, v83, v87, v88
	s_set_vgpr_msb 0x41                     ;  msbs: dst=1 src0=1 src1=0 src2=0
	v_mul_i32_i24_e32 v31 /*v287*/, v59 /*v315*/, v241
	s_set_vgpr_msb 0                        ;  msbs: dst=0 src0=0 src1=0 src2=0
	v_pk_mul_f16 v86, v140, v84
	s_set_vgpr_msb 20                       ;  msbs: dst=0 src0=0 src1=1 src2=1
	v_add3_u32 v90, v90, v27 /*v283*/, v24 /*v280*/
	s_set_vgpr_msb 0x41                     ;  msbs: dst=1 src0=1 src1=0 src2=0
	v_mul_i32_i24_e32 v29 /*v285*/, v67 /*v323*/, v240
	s_set_vgpr_msb 0                        ;  msbs: dst=0 src0=0 src1=0 src2=0
	v_cvt_f32_i32_e32 v83, v83
	s_set_vgpr_msb 0x41                     ;  msbs: dst=1 src0=1 src1=0 src2=0
	v_mul_i32_i24_e32 v30 /*v286*/, v68 /*v324*/, v242
	s_set_vgpr_msb 1                        ;  msbs: dst=0 src0=1 src1=0 src2=0
	v_mul_i32_i24_e32 v87, v70 /*v326*/, v243
	s_set_vgpr_msb 20                       ;  msbs: dst=0 src0=0 src1=1 src2=1
	v_add3_u32 v90, v90, v31 /*v287*/, v28 /*v284*/
	s_set_vgpr_msb 1                        ;  msbs: dst=0 src0=1 src1=0 src2=0
	v_mul_i32_i24_e32 v88, v71 /*v327*/, v245
	s_set_vgpr_msb 0                        ;  msbs: dst=0 src0=0 src1=0 src2=0
	v_fma_mix_f32 v86, v86, v83, v86 op_sel:[0,0,1] op_sel_hi:[1,0,1]
	s_set_vgpr_msb 1                        ;  msbs: dst=0 src0=1 src1=0 src2=0
	v_mul_i32_i24_e32 v83, v64 /*v320*/, v202
	v_mul_i32_i24_e32 v89, v69 /*v325*/, v244
	s_set_vgpr_msb 20                       ;  msbs: dst=0 src0=0 src1=1 src2=1
	v_add3_u32 v90, v90, v29 /*v285*/, v30 /*v286*/
	s_set_vgpr_msb 0                        ;  msbs: dst=0 src0=0 src1=0 src2=0
	v_pk_mul_f16 v84, v198, v84
	s_delay_alu instid0(VALU_DEP_2) | instskip(SKIP_1) | instid1(VALU_DEP_2)
	v_add3_u32 v83, v90, v83, v87
	v_add_nc_u32_e32 v87, 0xc04, v99
	v_add3_u32 v83, v83, v88, v89
	ds_load_2addr_b32 v[90:91], v87 offset1:1
	v_add_nc_u32_e32 v87, 0xc14, v99
	v_cvt_f32_i32_e32 v83, v83
	s_delay_alu instid0(VALU_DEP_1)
	v_fma_mix_f32 v84, v84, v83, v84 op_sel:[0,0,1] op_sel_hi:[1,0,1]
	v_add_nc_u32_e32 v83, 0xc00, v99
	ds_load_2addr_b32 v[88:89], v83 offset0:4 offset1:7
	s_set_vgpr_msb 64                       ;  msbs: dst=1 src0=0 src1=0 src2=0
	ds_load_2addr_b32 v[8:9] /*v[264:265]*/, v87 offset1:1
	ds_load_2addr_b32 v[10:11] /*v[266:267]*/, v83 offset1:3
	s_wait_dscnt 0x3
	v_bfe_i32 v17 /*v273*/, v90, 0, 8
	v_bfe_i32 v18 /*v274*/, v90, 8, 8
	;; [unrolled: 1-line block ×3, first 2 shown]
	s_set_vgpr_msb 0                        ;  msbs: dst=0 src0=0 src1=0 src2=0
	v_ashrrev_i32_e32 v90, 24, v90
	s_set_vgpr_msb 64                       ;  msbs: dst=1 src0=0 src1=0 src2=0
	v_bfe_i32 v23 /*v279*/, v91, 0, 8
	v_bfe_i32 v24 /*v280*/, v91, 8, 8
	;; [unrolled: 1-line block ×3, first 2 shown]
	s_set_vgpr_msb 0                        ;  msbs: dst=0 src0=0 src1=0 src2=0
	v_ashrrev_i32_e32 v91, 24, v91
	s_set_vgpr_msb 0x41                     ;  msbs: dst=1 src0=1 src1=0 src2=0
	v_mul_i32_i24_e32 v41 /*v297*/, v18 /*v274*/, v249
	s_set_vgpr_msb 64                       ;  msbs: dst=1 src0=0 src1=0 src2=0
	v_mul_i32_i24_e32 v43 /*v299*/, v90, v111
	s_set_vgpr_msb 0x41                     ;  msbs: dst=1 src0=1 src1=0 src2=0
	v_mul_i32_i24_e32 v40 /*v296*/, v17 /*v273*/, v251
	v_mul_i32_i24_e32 v42 /*v298*/, v19 /*v275*/, v250
	;; [unrolled: 1-line block ×3, first 2 shown]
	s_set_vgpr_msb 64                       ;  msbs: dst=1 src0=0 src1=0 src2=0
	v_mul_i32_i24_e32 v51 /*v307*/, v91, v112
	s_set_vgpr_msb 0x45                     ;  msbs: dst=1 src0=1 src1=1 src2=0
	v_mul_i32_i24_e32 v48 /*v304*/, v23 /*v279*/, v1 /*v257*/
	s_wait_dscnt 0x2
	s_set_vgpr_msb 64                       ;  msbs: dst=1 src0=0 src1=0 src2=0
	v_bfe_i32 v15 /*v271*/, v88, 8, 8
	v_bfe_i32 v14 /*v270*/, v88, 0, 8
	;; [unrolled: 1-line block ×3, first 2 shown]
	s_set_vgpr_msb 0                        ;  msbs: dst=0 src0=0 src1=0 src2=0
	v_ashrrev_i32_e32 v88, 24, v88
	s_wait_dscnt 0x0
	s_set_vgpr_msb 0x41                     ;  msbs: dst=1 src0=1 src1=0 src2=0
	v_bfe_i32 v7 /*v263*/, v10 /*v266*/, 0, 8
	s_set_vgpr_msb 0x44                     ;  msbs: dst=1 src0=0 src1=1 src2=0
	v_mul_i32_i24_e32 v37 /*v293*/, v247, v15 /*v271*/
	s_set_vgpr_msb 0x41                     ;  msbs: dst=1 src0=1 src1=0 src2=0
	v_bfe_i32 v12 /*v268*/, v10 /*v266*/, 8, 8
	s_set_vgpr_msb 0x44                     ;  msbs: dst=1 src0=0 src1=1 src2=0
	v_mul_i32_i24_e32 v38 /*v294*/, v248, v16 /*v272*/
	s_set_vgpr_msb 64                       ;  msbs: dst=1 src0=0 src1=0 src2=0
	v_mul_i32_i24_e32 v39 /*v295*/, v106, v88
	s_set_vgpr_msb 0x41                     ;  msbs: dst=1 src0=1 src1=0 src2=0
	v_bfe_i32 v13 /*v269*/, v10 /*v266*/, 16, 8
	s_set_vgpr_msb 0x54                     ;  msbs: dst=1 src0=0 src1=1 src2=1
	v_mad_i32_i24 v37 /*v293*/, v246, v14 /*v270*/, v37 /*v293*/
	v_ashrrev_i32_e32 v10 /*v266*/, 24, v10 /*v266*/
	s_set_vgpr_msb 0x55                     ;  msbs: dst=1 src0=1 src1=1 src2=1
	v_bfe_i32 v20 /*v276*/, v8 /*v264*/, 0, 8
	v_bfe_i32 v21 /*v277*/, v8 /*v264*/, 8, 8
	;; [unrolled: 1-line block ×3, first 2 shown]
	v_add3_u32 v37 /*v293*/, v37 /*v293*/, v38 /*v294*/, v39 /*v295*/
	v_ashrrev_i32_e32 v8 /*v264*/, 24, v8 /*v264*/
	s_set_vgpr_msb 0x41                     ;  msbs: dst=1 src0=1 src1=0 src2=0
	v_mul_i32_i24_e32 v44 /*v300*/, v20 /*v276*/, v254
	v_mul_i32_i24_e32 v45 /*v301*/, v21 /*v277*/, v252
	;; [unrolled: 1-line block ×3, first 2 shown]
	s_set_vgpr_msb 0x55                     ;  msbs: dst=1 src0=1 src1=1 src2=1
	v_add3_u32 v37 /*v293*/, v37 /*v293*/, v43 /*v299*/, v41 /*v297*/
	s_set_vgpr_msb 0x41                     ;  msbs: dst=1 src0=1 src1=0 src2=0
	v_mul_i32_i24_e32 v47 /*v303*/, v8 /*v264*/, v107
	v_bfe_i32 v26 /*v282*/, v9 /*v265*/, 0, 8
	v_bfe_i32 v27 /*v283*/, v9 /*v265*/, 8, 8
	;; [unrolled: 1-line block ×3, first 2 shown]
	s_set_vgpr_msb 0x55                     ;  msbs: dst=1 src0=1 src1=1 src2=1
	v_add3_u32 v37 /*v293*/, v37 /*v293*/, v40 /*v296*/, v42 /*v298*/
	v_ashrrev_i32_e32 v9 /*v265*/, 24, v9 /*v265*/
	v_mul_i32_i24_e32 v50 /*v306*/, v25 /*v281*/, v0 /*v256*/
	v_bfe_i32 v29 /*v285*/, v11 /*v267*/, 0, 8
	v_bfe_i32 v30 /*v286*/, v11 /*v267*/, 8, 8
	v_add3_u32 v37 /*v293*/, v37 /*v293*/, v47 /*v303*/, v44 /*v300*/
	v_bfe_i32 v31 /*v287*/, v11 /*v267*/, 16, 8
	v_ashrrev_i32_e32 v11 /*v267*/, 24, v11 /*v267*/
	s_set_vgpr_msb 0x41                     ;  msbs: dst=1 src0=1 src1=0 src2=0
	v_mul_i32_i24_e32 v52 /*v308*/, v26 /*v282*/, v80
	v_mul_i32_i24_e32 v55 /*v311*/, v9 /*v265*/, v108
	s_set_vgpr_msb 0x55                     ;  msbs: dst=1 src0=1 src1=1 src2=1
	v_add3_u32 v37 /*v293*/, v37 /*v293*/, v45 /*v301*/, v46 /*v302*/
	v_mul_i32_i24_e32 v53 /*v309*/, v27 /*v283*/, v2 /*v258*/
	v_mul_i32_i24_e32 v54 /*v310*/, v28 /*v284*/, v3 /*v259*/
	;; [unrolled: 1-line block ×3, first 2 shown]
	s_set_vgpr_msb 0x41                     ;  msbs: dst=1 src0=1 src1=0 src2=0
	v_mul_i32_i24_e32 v59 /*v315*/, v11 /*v267*/, v109
	s_set_vgpr_msb 0x55                     ;  msbs: dst=1 src0=1 src1=1 src2=1
	v_add3_u32 v37 /*v293*/, v37 /*v293*/, v51 /*v307*/, v49 /*v305*/
	s_set_vgpr_msb 64                       ;  msbs: dst=1 src0=0 src1=0 src2=0
	v_bfe_i32 v32 /*v288*/, v89, 0, 8
	v_bfe_i32 v33 /*v289*/, v89, 8, 8
	;; [unrolled: 1-line block ×3, first 2 shown]
	s_set_vgpr_msb 0                        ;  msbs: dst=0 src0=0 src1=0 src2=0
	v_ashrrev_i32_e32 v89, 24, v89
	s_set_vgpr_msb 0x55                     ;  msbs: dst=1 src0=1 src1=1 src2=1
	v_add3_u32 v37 /*v293*/, v37 /*v293*/, v48 /*v304*/, v50 /*v306*/
	v_mul_i32_i24_e32 v56 /*v312*/, v29 /*v285*/, v6 /*v262*/
	v_mul_i32_i24_e32 v58 /*v314*/, v31 /*v287*/, v5 /*v261*/
	s_set_vgpr_msb 0x41                     ;  msbs: dst=1 src0=1 src1=0 src2=0
	v_mul_i32_i24_e32 v60 /*v316*/, v32 /*v288*/, v110
	s_set_vgpr_msb 64                       ;  msbs: dst=1 src0=0 src1=0 src2=0
	v_mul_i32_i24_e32 v63 /*v319*/, v89, v226
	s_set_vgpr_msb 0x55                     ;  msbs: dst=1 src0=1 src1=1 src2=1
	v_add3_u32 v37 /*v293*/, v37 /*v293*/, v55 /*v311*/, v52 /*v308*/
	s_set_vgpr_msb 0x41                     ;  msbs: dst=1 src0=1 src1=0 src2=0
	v_mul_i32_i24_e32 v61 /*v317*/, v33 /*v289*/, v225
	v_mul_i32_i24_e32 v62 /*v318*/, v34 /*v290*/, v227
	s_set_vgpr_msb 1                        ;  msbs: dst=0 src0=1 src1=0 src2=0
	v_mul_i32_i24_e32 v83, v7 /*v263*/, v113
	s_set_vgpr_msb 4                        ;  msbs: dst=0 src0=0 src1=1 src2=0
	v_mul_i32_i24_e32 v87, v230, v12 /*v268*/
	s_set_vgpr_msb 0x55                     ;  msbs: dst=1 src0=1 src1=1 src2=1
	v_add3_u32 v37 /*v293*/, v37 /*v293*/, v53 /*v309*/, v54 /*v310*/
	s_set_vgpr_msb 0x44                     ;  msbs: dst=1 src0=0 src1=1 src2=0
	v_mul_i32_i24_e32 v35 /*v291*/, v232, v13 /*v269*/
	v_mul_i32_i24_e32 v36 /*v292*/, v231, v10 /*v266*/
	s_set_vgpr_msb 64                       ;  msbs: dst=1 src0=0 src1=0 src2=0
	v_mul_i32_i24_e32 v38 /*v294*/, v88, v120
	s_set_vgpr_msb 0x41                     ;  msbs: dst=1 src0=1 src1=0 src2=0
	v_mul_i32_i24_e32 v40 /*v296*/, v18 /*v274*/, v122
	s_set_vgpr_msb 0x55                     ;  msbs: dst=1 src0=1 src1=1 src2=1
	v_add3_u32 v37 /*v293*/, v37 /*v293*/, v59 /*v315*/, v57 /*v313*/
	s_set_vgpr_msb 64                       ;  msbs: dst=1 src0=0 src1=0 src2=0
	v_mul_i32_i24_e32 v42 /*v298*/, v90, v124
	s_set_vgpr_msb 0x41                     ;  msbs: dst=1 src0=1 src1=0 src2=0
	v_mul_i32_i24_e32 v39 /*v295*/, v17 /*v273*/, v121
	v_mul_i32_i24_e32 v41 /*v297*/, v19 /*v275*/, v123
	;; [unrolled: 1-line block ×3, first 2 shown]
	s_set_vgpr_msb 0x55                     ;  msbs: dst=1 src0=1 src1=1 src2=1
	v_add3_u32 v37 /*v293*/, v37 /*v293*/, v56 /*v312*/, v58 /*v314*/
	s_set_vgpr_msb 0x41                     ;  msbs: dst=1 src0=1 src1=0 src2=0
	v_mul_i32_i24_e32 v46 /*v302*/, v8 /*v264*/, v127
	v_mul_i32_i24_e32 v44 /*v300*/, v21 /*v277*/, v126
	;; [unrolled: 1-line block ×4, first 2 shown]
	s_set_vgpr_msb 0x55                     ;  msbs: dst=1 src0=1 src1=1 src2=1
	v_add3_u32 v37 /*v293*/, v37 /*v293*/, v63 /*v319*/, v60 /*v316*/
	s_set_vgpr_msb 64                       ;  msbs: dst=1 src0=0 src1=0 src2=0
	v_mul_i32_i24_e32 v50 /*v306*/, v91, v130
	s_set_vgpr_msb 0x41                     ;  msbs: dst=1 src0=1 src1=0 src2=0
	v_mul_i32_i24_e32 v47 /*v303*/, v23 /*v279*/, v129
	v_mul_i32_i24_e32 v49 /*v305*/, v25 /*v281*/, v131
	;; [unrolled: 1-line block ×3, first 2 shown]
	s_set_vgpr_msb 0x55                     ;  msbs: dst=1 src0=1 src1=1 src2=1
	v_add3_u32 v37 /*v293*/, v37 /*v293*/, v61 /*v317*/, v62 /*v318*/
	s_set_vgpr_msb 0x41                     ;  msbs: dst=1 src0=1 src1=0 src2=0
	v_mul_i32_i24_e32 v54 /*v310*/, v9 /*v265*/, v134
	v_mul_i32_i24_e32 v52 /*v308*/, v27 /*v283*/, v133
	;; [unrolled: 1-line block ×4, first 2 shown]
	s_set_vgpr_msb 1                        ;  msbs: dst=0 src0=1 src1=0 src2=0
	v_add3_u32 v83, v37 /*v293*/, v83, v87
	s_set_vgpr_msb 0x41                     ;  msbs: dst=1 src0=1 src1=0 src2=0
	v_mul_i32_i24_e32 v37 /*v293*/, v16 /*v272*/, v116
	v_mul_i32_i24_e32 v58 /*v314*/, v11 /*v267*/, v138
	;; [unrolled: 1-line block ×4, first 2 shown]
	s_set_vgpr_msb 20                       ;  msbs: dst=0 src0=0 src1=1 src2=1
	v_add3_u32 v83, v83, v35 /*v291*/, v36 /*v292*/
	s_set_vgpr_msb 0x41                     ;  msbs: dst=1 src0=1 src1=0 src2=0
	v_mul_i32_i24_e32 v36 /*v292*/, v15 /*v271*/, v119
	s_set_vgpr_msb 0                        ;  msbs: dst=0 src0=0 src1=0 src2=0
	v_pk_mul_f16 v87, v105, v85
	s_set_vgpr_msb 0x41                     ;  msbs: dst=1 src0=1 src1=0 src2=0
	v_mul_i32_i24_e32 v59 /*v315*/, v32 /*v288*/, v139
	s_set_vgpr_msb 64                       ;  msbs: dst=1 src0=0 src1=0 src2=0
	v_mul_i32_i24_e32 v62 /*v318*/, v89, v229
	s_set_vgpr_msb 0                        ;  msbs: dst=0 src0=0 src1=0 src2=0
	v_cvt_f32_i32_e32 v83, v83
	s_set_vgpr_msb 0x51                     ;  msbs: dst=1 src0=1 src1=0 src2=1
	v_mad_i32_i24 v36 /*v292*/, v14 /*v270*/, v115, v36 /*v292*/
	v_mul_i32_i24_e32 v60 /*v316*/, v33 /*v289*/, v228
	v_mul_i32_i24_e32 v61 /*v317*/, v34 /*v290*/, v93
	s_set_vgpr_msb 0x44                     ;  msbs: dst=1 src0=0 src1=1 src2=0
	v_mul_i32_i24_e32 v35 /*v291*/, v234, v10 /*v266*/
	s_set_vgpr_msb 0                        ;  msbs: dst=0 src0=0 src1=0 src2=0
	v_fma_mix_f32 v83, v87, v83, v87 op_sel:[0,0,1] op_sel_hi:[1,0,1]
	s_set_vgpr_msb 0x55                     ;  msbs: dst=1 src0=1 src1=1 src2=1
	v_add3_u32 v36 /*v292*/, v36 /*v292*/, v37 /*v293*/, v38 /*v294*/
	s_set_vgpr_msb 0x41                     ;  msbs: dst=1 src0=1 src1=0 src2=0
	v_mul_i32_i24_e32 v37 /*v293*/, v15 /*v271*/, v145
	v_mul_i32_i24_e32 v38 /*v294*/, v16 /*v272*/, v142
	s_set_vgpr_msb 4                        ;  msbs: dst=0 src0=0 src1=1 src2=0
	v_mul_i32_i24_e32 v87, v235, v13 /*v269*/
	s_set_vgpr_msb 0                        ;  msbs: dst=0 src0=0 src1=0 src2=0
	v_pk_add_f32 v[78:79], v[78:79], v[82:83]
	s_set_vgpr_msb 0x55                     ;  msbs: dst=1 src0=1 src1=1 src2=1
	v_add3_u32 v36 /*v292*/, v36 /*v292*/, v42 /*v298*/, v40 /*v296*/
	s_set_vgpr_msb 0x51                     ;  msbs: dst=1 src0=1 src1=0 src2=1
	v_mad_i32_i24 v37 /*v293*/, v14 /*v270*/, v141, v37 /*v293*/
	v_mul_i32_i24_e32 v40 /*v296*/, v17 /*v273*/, v147
	v_mul_i32_i24_e32 v42 /*v298*/, v19 /*v275*/, v149
	s_set_vgpr_msb 1                        ;  msbs: dst=0 src0=1 src1=0 src2=0
	v_mul_i32_i24_e32 v82, v7 /*v263*/, v118
	s_set_vgpr_msb 0x55                     ;  msbs: dst=1 src0=1 src1=1 src2=1
	v_add3_u32 v36 /*v292*/, v36 /*v292*/, v39 /*v295*/, v41 /*v297*/
	s_set_vgpr_msb 64                       ;  msbs: dst=1 src0=0 src1=0 src2=0
	v_mul_i32_i24_e32 v39 /*v295*/, v88, v146
	s_set_vgpr_msb 0x41                     ;  msbs: dst=1 src0=1 src1=0 src2=0
	v_mul_i32_i24_e32 v41 /*v297*/, v18 /*v274*/, v148
	s_set_vgpr_msb 4                        ;  msbs: dst=0 src0=0 src1=1 src2=0
	v_mul_i32_i24_e32 v83, v233, v12 /*v268*/
	s_set_vgpr_msb 64                       ;  msbs: dst=1 src0=0 src1=0 src2=0
	v_mul_i32_i24_e32 v63 /*v319*/, v89, v237
	s_set_vgpr_msb 0x55                     ;  msbs: dst=1 src0=1 src1=1 src2=1
	v_add3_u32 v36 /*v292*/, v36 /*v292*/, v46 /*v302*/, v43 /*v299*/
	s_set_vgpr_msb 64                       ;  msbs: dst=1 src0=0 src1=0 src2=0
	v_mul_i32_i24_e32 v43 /*v299*/, v90, v150
	s_set_vgpr_msb 0x55                     ;  msbs: dst=1 src0=1 src1=1 src2=1
	v_add3_u32 v37 /*v293*/, v37 /*v293*/, v38 /*v294*/, v39 /*v295*/
	s_set_vgpr_msb 0x41                     ;  msbs: dst=1 src0=1 src1=0 src2=0
	v_mul_i32_i24_e32 v46 /*v302*/, v22 /*v278*/, v143
	s_set_vgpr_msb 0                        ;  msbs: dst=0 src0=0 src1=0 src2=0
	v_mul_i32_i24_e32 v88, v88, v204
	s_set_vgpr_msb 0x55                     ;  msbs: dst=1 src0=1 src1=1 src2=1
	v_add3_u32 v36 /*v292*/, v36 /*v292*/, v44 /*v300*/, v45 /*v301*/
	s_set_vgpr_msb 0x41                     ;  msbs: dst=1 src0=1 src1=0 src2=0
	v_mul_i32_i24_e32 v44 /*v300*/, v20 /*v276*/, v151
	s_set_vgpr_msb 0x55                     ;  msbs: dst=1 src0=1 src1=1 src2=1
	v_add3_u32 v37 /*v293*/, v37 /*v293*/, v43 /*v299*/, v41 /*v297*/
	s_set_vgpr_msb 0x41                     ;  msbs: dst=1 src0=1 src1=0 src2=0
	v_mul_i32_i24_e32 v45 /*v301*/, v21 /*v277*/, v152
	s_set_vgpr_msb 0                        ;  msbs: dst=0 src0=0 src1=0 src2=0
	v_mul_i32_i24_e32 v90, v90, v208
	s_set_vgpr_msb 0x55                     ;  msbs: dst=1 src0=1 src1=1 src2=1
	v_add3_u32 v36 /*v292*/, v36 /*v292*/, v50 /*v306*/, v48 /*v304*/
	s_set_vgpr_msb 0x41                     ;  msbs: dst=1 src0=1 src1=0 src2=0
	v_mul_i32_i24_e32 v48 /*v304*/, v23 /*v279*/, v187
	;; [unrolled: 10-line block ×3, first 2 shown]
	v_mul_i32_i24_e32 v49 /*v305*/, v24 /*v280*/, v153
	v_mul_i32_i24_e32 v8 /*v264*/, v8 /*v264*/, v211
	s_set_vgpr_msb 0x55                     ;  msbs: dst=1 src0=1 src1=1 src2=1
	v_add3_u32 v36 /*v292*/, v36 /*v292*/, v54 /*v310*/, v51 /*v307*/
	v_add3_u32 v37 /*v293*/, v37 /*v293*/, v47 /*v303*/, v44 /*v300*/
	s_set_vgpr_msb 64                       ;  msbs: dst=1 src0=0 src1=0 src2=0
	v_mul_i32_i24_e32 v51 /*v307*/, v91, v188
	s_set_vgpr_msb 0x41                     ;  msbs: dst=1 src0=1 src1=0 src2=0
	v_mul_i32_i24_e32 v54 /*v310*/, v28 /*v284*/, v96
	s_set_vgpr_msb 0                        ;  msbs: dst=0 src0=0 src1=0 src2=0
	v_mul_i32_i24_e32 v91, v91, v214
	s_set_vgpr_msb 0x55                     ;  msbs: dst=1 src0=1 src1=1 src2=1
	v_add3_u32 v36 /*v292*/, v36 /*v292*/, v52 /*v308*/, v53 /*v309*/
	v_add3_u32 v37 /*v293*/, v37 /*v293*/, v45 /*v301*/, v46 /*v302*/
	s_set_vgpr_msb 0x41                     ;  msbs: dst=1 src0=1 src1=0 src2=0
	v_mul_i32_i24_e32 v52 /*v308*/, v26 /*v282*/, v190
	v_mul_i32_i24_e32 v53 /*v309*/, v27 /*v283*/, v191
	s_set_vgpr_msb 0x55                     ;  msbs: dst=1 src0=1 src1=1 src2=1
	v_add3_u32 v36 /*v292*/, v36 /*v292*/, v58 /*v314*/, v56 /*v312*/
	v_add3_u32 v37 /*v293*/, v37 /*v293*/, v51 /*v307*/, v49 /*v305*/
	s_set_vgpr_msb 0x41                     ;  msbs: dst=1 src0=1 src1=0 src2=0
	v_mul_i32_i24_e32 v56 /*v312*/, v29 /*v285*/, v194
	v_mul_i32_i24_e32 v58 /*v314*/, v31 /*v287*/, v195
	s_set_vgpr_msb 0x55                     ;  msbs: dst=1 src0=1 src1=1 src2=1
	v_add3_u32 v36 /*v292*/, v36 /*v292*/, v55 /*v311*/, v57 /*v313*/
	s_set_vgpr_msb 0x41                     ;  msbs: dst=1 src0=1 src1=0 src2=0
	v_mul_i32_i24_e32 v55 /*v311*/, v9 /*v265*/, v192
	s_set_vgpr_msb 0x55                     ;  msbs: dst=1 src0=1 src1=1 src2=1
	v_add3_u32 v37 /*v293*/, v37 /*v293*/, v48 /*v304*/, v50 /*v306*/
	s_set_vgpr_msb 0x41                     ;  msbs: dst=1 src0=1 src1=0 src2=0
	v_mul_i32_i24_e32 v57 /*v313*/, v30 /*v286*/, v193
	v_mul_i32_i24_e32 v9 /*v265*/, v9 /*v265*/, v218
	s_set_vgpr_msb 0x55                     ;  msbs: dst=1 src0=1 src1=1 src2=1
	v_add3_u32 v36 /*v292*/, v36 /*v292*/, v62 /*v318*/, v59 /*v315*/
	s_set_vgpr_msb 0x41                     ;  msbs: dst=1 src0=1 src1=0 src2=0
	v_mul_i32_i24_e32 v59 /*v315*/, v11 /*v267*/, v196
	s_set_vgpr_msb 0x55                     ;  msbs: dst=1 src0=1 src1=1 src2=1
	;; [unrolled: 9-line block ×3, first 2 shown]
	v_add3_u32 v37 /*v293*/, v37 /*v293*/, v53 /*v309*/, v54 /*v310*/
	s_set_vgpr_msb 0x41                     ;  msbs: dst=1 src0=1 src1=0 src2=0
	v_mul_i32_i24_e32 v61 /*v317*/, v33 /*v289*/, v236
	s_set_vgpr_msb 1                        ;  msbs: dst=0 src0=1 src1=0 src2=0
	v_add3_u32 v82, v36 /*v292*/, v82, v83
	s_set_vgpr_msb 0                        ;  msbs: dst=0 src0=0 src1=0 src2=0
	v_pk_mul_f16 v83, v114, v85
	s_set_vgpr_msb 0x55                     ;  msbs: dst=1 src0=1 src1=1 src2=1
	v_add3_u32 v37 /*v293*/, v37 /*v293*/, v59 /*v315*/, v57 /*v313*/
	s_set_vgpr_msb 0x44                     ;  msbs: dst=1 src0=0 src1=1 src2=0
	v_mul_i32_i24_e32 v36 /*v292*/, v239, v10 /*v266*/
	s_set_vgpr_msb 16                       ;  msbs: dst=0 src0=0 src1=0 src2=1
	v_add3_u32 v82, v82, v87, v35 /*v291*/
	s_set_vgpr_msb 4                        ;  msbs: dst=0 src0=0 src1=1 src2=0
	v_mul_i32_i24_e32 v87, v238, v12 /*v268*/
	s_set_vgpr_msb 0x55                     ;  msbs: dst=1 src0=1 src1=1 src2=1
	v_add3_u32 v37 /*v293*/, v37 /*v293*/, v56 /*v312*/, v58 /*v314*/
	s_set_vgpr_msb 0x44                     ;  msbs: dst=1 src0=0 src1=1 src2=0
	v_mul_i32_i24_e32 v35 /*v291*/, v94, v13 /*v269*/
	s_set_vgpr_msb 0                        ;  msbs: dst=0 src0=0 src1=0 src2=0
	v_cvt_f32_i32_e32 v82, v82
	s_set_vgpr_msb 0x55                     ;  msbs: dst=1 src0=1 src1=1 src2=1
	v_add3_u32 v37 /*v293*/, v37 /*v293*/, v63 /*v319*/, v60 /*v316*/
	s_set_vgpr_msb 0                        ;  msbs: dst=0 src0=0 src1=0 src2=0
	s_delay_alu instid0(VALU_DEP_2)
	v_fma_mix_f32 v83, v83, v82, v83 op_sel:[0,0,1] op_sel_hi:[1,0,1]
	s_set_vgpr_msb 1                        ;  msbs: dst=0 src0=1 src1=0 src2=0
	v_mul_i32_i24_e32 v82, v7 /*v263*/, v144
	s_set_vgpr_msb 0x55                     ;  msbs: dst=1 src0=1 src1=1 src2=1
	v_add3_u32 v37 /*v293*/, v37 /*v293*/, v61 /*v317*/, v62 /*v318*/
	s_set_vgpr_msb 1                        ;  msbs: dst=0 src0=1 src1=0 src2=0
	s_delay_alu instid0(VALU_DEP_1)
	v_add3_u32 v82, v37 /*v293*/, v82, v87
	s_set_vgpr_msb 0                        ;  msbs: dst=0 src0=0 src1=0 src2=0
	v_pk_mul_f16 v87, v140, v85
	v_pk_mul_f16 v85, v198, v85
	s_set_vgpr_msb 20                       ;  msbs: dst=0 src0=0 src1=1 src2=1
	v_add3_u32 v82, v82, v35 /*v291*/, v36 /*v292*/
	s_delay_alu instid0(VALU_DEP_1) | instskip(SKIP_1) | instid1(VALU_DEP_1)
	v_cvt_f32_i32_e32 v82, v82
	s_set_vgpr_msb 0                        ;  msbs: dst=0 src0=0 src1=0 src2=0
	v_fma_mix_f32 v87, v87, v82, v87 op_sel:[0,0,1] op_sel_hi:[1,0,1]
	s_set_vgpr_msb 1                        ;  msbs: dst=0 src0=1 src1=0 src2=0
	v_mul_i32_i24_e32 v82, v7 /*v263*/, v202
	s_set_vgpr_msb 0x44                     ;  msbs: dst=1 src0=0 src1=1 src2=0
	v_mul_i32_i24_e32 v7 /*v263*/, v244, v10 /*v266*/
	s_set_vgpr_msb 0x41                     ;  msbs: dst=1 src0=1 src1=0 src2=0
	v_mul_i32_i24_e32 v10 /*v266*/, v15 /*v271*/, v203
	v_mul_i32_i24_e32 v15 /*v271*/, v18 /*v274*/, v206
	s_set_vgpr_msb 0                        ;  msbs: dst=0 src0=0 src1=0 src2=0
	v_pk_add_f32 v[58:59], v[58:59], v[86:87]
	s_set_vgpr_msb 4                        ;  msbs: dst=0 src0=0 src1=1 src2=0
	v_mul_i32_i24_e32 v86, v243, v12 /*v268*/
	s_set_vgpr_msb 0x51                     ;  msbs: dst=1 src0=1 src1=0 src2=1
	v_mul_i32_i24_e32 v12 /*v268*/, v16 /*v272*/, v200
	v_mad_i32_i24 v10 /*v266*/, v14 /*v270*/, v199, v10 /*v266*/
	s_set_vgpr_msb 4                        ;  msbs: dst=0 src0=0 src1=1 src2=0
	v_mul_i32_i24_e32 v87, v245, v13 /*v269*/
	s_set_vgpr_msb 0x41                     ;  msbs: dst=1 src0=1 src1=0 src2=0
	v_mul_i32_i24_e32 v13 /*v269*/, v17 /*v273*/, v205
	v_mul_i32_i24_e32 v16 /*v272*/, v19 /*v275*/, v207
	v_mul_i32_i24_e32 v17 /*v273*/, v20 /*v276*/, v209
	s_set_vgpr_msb 5                        ;  msbs: dst=0 src0=1 src1=1 src2=0
	v_add3_u32 v88, v10 /*v266*/, v12 /*v268*/, v88
	s_set_vgpr_msb 0x41                     ;  msbs: dst=1 src0=1 src1=0 src2=0
	v_mul_i32_i24_e32 v18 /*v274*/, v21 /*v277*/, v210
	v_mul_i32_i24_e32 v19 /*v275*/, v22 /*v278*/, v201
	;; [unrolled: 1-line block ×4, first 2 shown]
	s_set_vgpr_msb 16                       ;  msbs: dst=0 src0=0 src1=0 src2=1
	v_add3_u32 v88, v88, v90, v15 /*v271*/
	s_set_vgpr_msb 0x41                     ;  msbs: dst=1 src0=1 src1=0 src2=0
	v_mul_i32_i24_e32 v22 /*v278*/, v25 /*v281*/, v215
	v_mul_i32_i24_e32 v23 /*v279*/, v26 /*v282*/, v216
	;; [unrolled: 1-line block ×4, first 2 shown]
	s_set_vgpr_msb 20                       ;  msbs: dst=0 src0=0 src1=1 src2=1
	v_add3_u32 v88, v88, v13 /*v269*/, v16 /*v272*/
	s_set_vgpr_msb 0x41                     ;  msbs: dst=1 src0=1 src1=0 src2=0
	v_mul_i32_i24_e32 v27 /*v283*/, v30 /*v286*/, v220
	v_mul_i32_i24_e32 v26 /*v282*/, v29 /*v285*/, v221
	;; [unrolled: 1-line block ×4, first 2 shown]
	s_set_vgpr_msb 20                       ;  msbs: dst=0 src0=0 src1=1 src2=1
	v_add3_u32 v88, v88, v8 /*v264*/, v17 /*v273*/
	s_set_vgpr_msb 0x41                     ;  msbs: dst=1 src0=1 src1=0 src2=0
	v_mul_i32_i24_e32 v30 /*v286*/, v33 /*v289*/, v240
	v_mul_i32_i24_e32 v31 /*v287*/, v34 /*v290*/, v242
	s_set_vgpr_msb 20                       ;  msbs: dst=0 src0=0 src1=1 src2=1
	v_add3_u32 v88, v88, v18 /*v274*/, v19 /*v275*/
	s_set_vgpr_msb 16                       ;  msbs: dst=0 src0=0 src1=0 src2=1
	s_delay_alu instid0(VALU_DEP_1) | instskip(SKIP_1) | instid1(VALU_DEP_1)
	v_add3_u32 v88, v88, v91, v21 /*v277*/
	s_set_vgpr_msb 20                       ;  msbs: dst=0 src0=0 src1=1 src2=1
	v_add3_u32 v88, v88, v20 /*v276*/, v22 /*v278*/
	s_delay_alu instid0(VALU_DEP_1) | instskip(NEXT) | instid1(VALU_DEP_1)
	v_add3_u32 v88, v88, v9 /*v265*/, v23 /*v279*/
	v_add3_u32 v88, v88, v24 /*v280*/, v25 /*v281*/
	s_delay_alu instid0(VALU_DEP_1) | instskip(NEXT) | instid1(VALU_DEP_1)
	v_add3_u32 v88, v88, v11 /*v267*/, v27 /*v283*/
	v_add3_u32 v88, v88, v26 /*v282*/, v28 /*v284*/
	s_set_vgpr_msb 16                       ;  msbs: dst=0 src0=0 src1=0 src2=1
	s_delay_alu instid0(VALU_DEP_1) | instskip(SKIP_1) | instid1(VALU_DEP_1)
	v_add3_u32 v88, v88, v89, v29 /*v285*/
	s_set_vgpr_msb 20                       ;  msbs: dst=0 src0=0 src1=1 src2=1
	v_add3_u32 v88, v88, v30 /*v286*/, v31 /*v287*/
	s_set_vgpr_msb 0                        ;  msbs: dst=0 src0=0 src1=0 src2=0
	s_delay_alu instid0(VALU_DEP_1) | instskip(SKIP_1) | instid1(VALU_DEP_1)
	v_add3_u32 v82, v88, v82, v86
	s_set_vgpr_msb 16                       ;  msbs: dst=0 src0=0 src1=0 src2=1
	v_add3_u32 v82, v82, v87, v7 /*v263*/
	s_delay_alu instid0(VALU_DEP_1) | instskip(SKIP_1) | instid1(VALU_DEP_1)
	v_cvt_f32_i32_e32 v82, v82
	s_set_vgpr_msb 0                        ;  msbs: dst=0 src0=0 src1=0 src2=0
	v_fma_mix_f32 v85, v85, v82, v85 op_sel:[0,0,1] op_sel_hi:[1,0,1]
	v_add_nc_u32_e32 v82, 0x1000, v99
	s_delay_alu instid0(VALU_DEP_2)
	v_pk_add_f32 v[68:69], v[68:69], v[84:85]
	ds_load_2addr_b32 v[86:87], v82 offset0:4 offset1:7
	v_add_nc_u32_e32 v84, 0x1004, v99
	ds_load_2addr_b32 v[88:89], v84 offset1:1
	v_add_nc_u32_e32 v84, 0x1014, v99
	ds_load_2addr_b32 v[90:91], v84 offset1:1
	s_set_vgpr_msb 64                       ;  msbs: dst=1 src0=0 src1=0 src2=0
	ds_load_2addr_b32 v[8:9] /*v[264:265]*/, v82 offset1:3
	s_set_vgpr_msb 0                        ;  msbs: dst=0 src0=0 src1=0 src2=0
	ds_load_2addr_b32 v[84:85], v98 offset0:128 offset1:160
	s_wait_dscnt 0x4
	s_set_vgpr_msb 64                       ;  msbs: dst=1 src0=0 src1=0 src2=0
	v_bfe_i32 v12 /*v268*/, v86, 8, 8
	v_bfe_i32 v11 /*v267*/, v86, 0, 8
	v_bfe_i32 v13 /*v269*/, v86, 16, 8
	v_ashrrev_i32_e32 v14 /*v270*/, 24, v86
	v_bfe_i32 v32 /*v288*/, v87, 0, 8
	s_set_vgpr_msb 0x44                     ;  msbs: dst=1 src0=0 src1=1 src2=0
	v_mul_i32_i24_e32 v36 /*v292*/, v247, v12 /*v268*/
	s_wait_dscnt 0x3
	v_bfe_i32 v16 /*v272*/, v88, 8, 8
	s_set_vgpr_msb 64                       ;  msbs: dst=1 src0=0 src1=0 src2=0
	v_ashrrev_i32_e32 v18 /*v274*/, 24, v88
	s_set_vgpr_msb 0x54                     ;  msbs: dst=1 src0=0 src1=1 src2=1
	v_mul_i32_i24_e32 v37 /*v293*/, v248, v13 /*v269*/
	v_mul_i32_i24_e32 v38 /*v294*/, v106, v14 /*v270*/
	v_mad_i32_i24 v36 /*v292*/, v246, v11 /*v267*/, v36 /*v292*/
	v_bfe_i32 v15 /*v271*/, v88, 0, 8
	v_bfe_i32 v17 /*v273*/, v88, 16, 8
	s_set_vgpr_msb 0x41                     ;  msbs: dst=1 src0=1 src1=0 src2=0
	v_mul_i32_i24_e32 v40 /*v296*/, v16 /*v272*/, v249
	v_mul_i32_i24_e32 v42 /*v298*/, v18 /*v274*/, v111
	s_set_vgpr_msb 0x55                     ;  msbs: dst=1 src0=1 src1=1 src2=1
	v_add3_u32 v36 /*v292*/, v36 /*v292*/, v37 /*v293*/, v38 /*v294*/
	s_wait_dscnt 0x2
	s_set_vgpr_msb 64                       ;  msbs: dst=1 src0=0 src1=0 src2=0
	v_bfe_i32 v19 /*v275*/, v90, 0, 8
	v_ashrrev_i32_e32 v22 /*v278*/, 24, v90
	s_set_vgpr_msb 0x41                     ;  msbs: dst=1 src0=1 src1=0 src2=0
	v_mul_i32_i24_e32 v39 /*v295*/, v15 /*v271*/, v251
	v_mul_i32_i24_e32 v41 /*v297*/, v17 /*v273*/, v250
	s_set_vgpr_msb 0x55                     ;  msbs: dst=1 src0=1 src1=1 src2=1
	v_add3_u32 v36 /*v292*/, v36 /*v292*/, v42 /*v298*/, v40 /*v296*/
	s_set_vgpr_msb 64                       ;  msbs: dst=1 src0=0 src1=0 src2=0
	v_bfe_i32 v20 /*v276*/, v90, 8, 8
	v_bfe_i32 v21 /*v277*/, v90, 16, 8
	s_set_vgpr_msb 0x41                     ;  msbs: dst=1 src0=1 src1=0 src2=0
	v_mul_i32_i24_e32 v43 /*v299*/, v19 /*v275*/, v254
	v_mul_i32_i24_e32 v46 /*v302*/, v22 /*v278*/, v107
	s_set_vgpr_msb 0x55                     ;  msbs: dst=1 src0=1 src1=1 src2=1
	v_add3_u32 v36 /*v292*/, v36 /*v292*/, v39 /*v295*/, v41 /*v297*/
	s_set_vgpr_msb 0x41                     ;  msbs: dst=1 src0=1 src1=0 src2=0
	v_mul_i32_i24_e32 v37 /*v293*/, v12 /*v268*/, v119
	s_set_vgpr_msb 64                       ;  msbs: dst=1 src0=0 src1=0 src2=0
	v_bfe_i32 v23 /*v279*/, v89, 0, 8
	v_bfe_i32 v24 /*v280*/, v89, 8, 8
	;; [unrolled: 1-line block ×3, first 2 shown]
	s_set_vgpr_msb 0                        ;  msbs: dst=0 src0=0 src1=0 src2=0
	v_ashrrev_i32_e32 v89, 24, v89
	s_set_vgpr_msb 0x41                     ;  msbs: dst=1 src0=1 src1=0 src2=0
	v_mul_i32_i24_e32 v44 /*v300*/, v20 /*v276*/, v252
	v_mul_i32_i24_e32 v45 /*v301*/, v21 /*v277*/, v253
	s_set_vgpr_msb 0x55                     ;  msbs: dst=1 src0=1 src1=1 src2=1
	v_add3_u32 v36 /*v292*/, v36 /*v292*/, v46 /*v302*/, v43 /*v299*/
	s_set_vgpr_msb 0x51                     ;  msbs: dst=1 src0=1 src1=0 src2=1
	v_mul_i32_i24_e32 v38 /*v294*/, v13 /*v269*/, v116
	v_mul_i32_i24_e32 v39 /*v295*/, v14 /*v270*/, v120
	v_mad_i32_i24 v37 /*v293*/, v11 /*v267*/, v115, v37 /*v293*/
	s_set_vgpr_msb 64                       ;  msbs: dst=1 src0=0 src1=0 src2=0
	v_bfe_i32 v33 /*v289*/, v87, 8, 8
	v_bfe_i32 v34 /*v290*/, v87, 16, 8
	s_set_vgpr_msb 0                        ;  msbs: dst=0 src0=0 src1=0 src2=0
	v_ashrrev_i32_e32 v87, 24, v87
	s_set_vgpr_msb 0x41                     ;  msbs: dst=1 src0=1 src1=0 src2=0
	v_mul_i32_i24_e32 v48 /*v304*/, v24 /*v280*/, v255
	s_set_vgpr_msb 64                       ;  msbs: dst=1 src0=0 src1=0 src2=0
	v_mul_i32_i24_e32 v50 /*v306*/, v89, v112
	s_set_vgpr_msb 0x55                     ;  msbs: dst=1 src0=1 src1=1 src2=1
	v_add3_u32 v36 /*v292*/, v36 /*v292*/, v44 /*v300*/, v45 /*v301*/
	s_set_vgpr_msb 0x41                     ;  msbs: dst=1 src0=1 src1=0 src2=0
	v_mul_i32_i24_e32 v41 /*v297*/, v16 /*v272*/, v122
	v_mul_i32_i24_e32 v43 /*v299*/, v18 /*v274*/, v124
	s_set_vgpr_msb 0x55                     ;  msbs: dst=1 src0=1 src1=1 src2=1
	v_add3_u32 v37 /*v293*/, v37 /*v293*/, v38 /*v294*/, v39 /*v295*/
	s_set_vgpr_msb 64                       ;  msbs: dst=1 src0=0 src1=0 src2=0
	v_bfe_i32 v26 /*v282*/, v91, 0, 8
	v_bfe_i32 v27 /*v283*/, v91, 8, 8
	;; [unrolled: 1-line block ×3, first 2 shown]
	s_set_vgpr_msb 0                        ;  msbs: dst=0 src0=0 src1=0 src2=0
	v_ashrrev_i32_e32 v91, 24, v91
	s_set_vgpr_msb 0x55                     ;  msbs: dst=1 src0=1 src1=1 src2=1
	v_mul_i32_i24_e32 v47 /*v303*/, v23 /*v279*/, v1 /*v257*/
	v_mul_i32_i24_e32 v49 /*v305*/, v25 /*v281*/, v0 /*v256*/
	v_add3_u32 v36 /*v292*/, v36 /*v292*/, v50 /*v306*/, v48 /*v304*/
	s_set_vgpr_msb 0x41                     ;  msbs: dst=1 src0=1 src1=0 src2=0
	v_mul_i32_i24_e32 v40 /*v296*/, v15 /*v271*/, v121
	v_mul_i32_i24_e32 v42 /*v298*/, v17 /*v273*/, v123
	s_set_vgpr_msb 0x55                     ;  msbs: dst=1 src0=1 src1=1 src2=1
	v_add3_u32 v37 /*v293*/, v37 /*v293*/, v43 /*v299*/, v41 /*v297*/
	s_set_vgpr_msb 0x41                     ;  msbs: dst=1 src0=1 src1=0 src2=0
	v_mul_i32_i24_e32 v51 /*v307*/, v26 /*v282*/, v80
	s_set_vgpr_msb 64                       ;  msbs: dst=1 src0=0 src1=0 src2=0
	v_mul_i32_i24_e32 v54 /*v310*/, v91, v108
	s_set_vgpr_msb 0x55                     ;  msbs: dst=1 src0=1 src1=1 src2=1
	v_add3_u32 v36 /*v292*/, v36 /*v292*/, v47 /*v303*/, v49 /*v305*/
	s_set_vgpr_msb 0x41                     ;  msbs: dst=1 src0=1 src1=0 src2=0
	v_mul_i32_i24_e32 v44 /*v300*/, v19 /*v275*/, v125
	v_mul_i32_i24_e32 v47 /*v303*/, v22 /*v278*/, v127
	s_set_vgpr_msb 0x55                     ;  msbs: dst=1 src0=1 src1=1 src2=1
	v_add3_u32 v37 /*v293*/, v37 /*v293*/, v40 /*v296*/, v42 /*v298*/
	s_set_vgpr_msb 0x41                     ;  msbs: dst=1 src0=1 src1=0 src2=0
	v_mul_i32_i24_e32 v38 /*v294*/, v12 /*v268*/, v145
	v_mul_i32_i24_e32 v12 /*v268*/, v12 /*v268*/, v203
	s_wait_dscnt 0x1
	s_set_vgpr_msb 1                        ;  msbs: dst=0 src0=1 src1=0 src2=0
	v_bfe_i32 v82, v8 /*v264*/, 0, 8
	s_set_vgpr_msb 0x41                     ;  msbs: dst=1 src0=1 src1=0 src2=0
	v_bfe_i32 v7 /*v263*/, v8 /*v264*/, 8, 8
	v_bfe_i32 v10 /*v266*/, v8 /*v264*/, 16, 8
	s_set_vgpr_msb 0x44                     ;  msbs: dst=1 src0=0 src1=1 src2=0
	v_ashrrev_i32_e32 v8 /*v264*/, 24, v8 /*v264*/
	s_set_vgpr_msb 0x41                     ;  msbs: dst=1 src0=1 src1=0 src2=0
	v_bfe_i32 v29 /*v285*/, v9 /*v265*/, 0, 8
	v_bfe_i32 v30 /*v286*/, v9 /*v265*/, 8, 8
	;; [unrolled: 1-line block ×3, first 2 shown]
	s_set_vgpr_msb 0x55                     ;  msbs: dst=1 src0=1 src1=1 src2=1
	v_ashrrev_i32_e32 v9 /*v265*/, 24, v9 /*v265*/
	v_mul_i32_i24_e32 v52 /*v308*/, v27 /*v283*/, v2 /*v258*/
	v_mul_i32_i24_e32 v53 /*v309*/, v28 /*v284*/, v3 /*v259*/
	v_add3_u32 v36 /*v292*/, v36 /*v292*/, v54 /*v310*/, v51 /*v307*/
	s_set_vgpr_msb 0x41                     ;  msbs: dst=1 src0=1 src1=0 src2=0
	v_mul_i32_i24_e32 v45 /*v301*/, v20 /*v276*/, v126
	v_mul_i32_i24_e32 v46 /*v302*/, v21 /*v277*/, v117
	s_set_vgpr_msb 0x55                     ;  msbs: dst=1 src0=1 src1=1 src2=1
	v_add3_u32 v37 /*v293*/, v37 /*v293*/, v47 /*v303*/, v44 /*v300*/
	s_set_vgpr_msb 0x51                     ;  msbs: dst=1 src0=1 src1=0 src2=1
	v_mul_i32_i24_e32 v39 /*v295*/, v13 /*v269*/, v142
	v_mul_i32_i24_e32 v40 /*v296*/, v14 /*v270*/, v146
	v_mad_i32_i24 v38 /*v294*/, v11 /*v267*/, v141, v38 /*v294*/
	v_mul_i32_i24_e32 v13 /*v269*/, v13 /*v269*/, v200
	v_mul_i32_i24_e32 v14 /*v270*/, v14 /*v270*/, v204
	v_mad_i32_i24 v11 /*v267*/, v11 /*v267*/, v199, v12 /*v268*/
	s_set_vgpr_msb 0x45                     ;  msbs: dst=1 src0=1 src1=1 src2=0
	v_mul_i32_i24_e32 v56 /*v312*/, v30 /*v286*/, v4 /*v260*/
	s_set_vgpr_msb 0x41                     ;  msbs: dst=1 src0=1 src1=0 src2=0
	v_mul_i32_i24_e32 v58 /*v314*/, v9 /*v265*/, v109
	s_set_vgpr_msb 0x55                     ;  msbs: dst=1 src0=1 src1=1 src2=1
	v_add3_u32 v36 /*v292*/, v36 /*v292*/, v52 /*v308*/, v53 /*v309*/
	s_set_vgpr_msb 0x41                     ;  msbs: dst=1 src0=1 src1=0 src2=0
	v_mul_i32_i24_e32 v49 /*v305*/, v24 /*v280*/, v128
	s_set_vgpr_msb 64                       ;  msbs: dst=1 src0=0 src1=0 src2=0
	v_mul_i32_i24_e32 v51 /*v307*/, v89, v130
	s_set_vgpr_msb 0x55                     ;  msbs: dst=1 src0=1 src1=1 src2=1
	v_add3_u32 v37 /*v293*/, v37 /*v293*/, v45 /*v301*/, v46 /*v302*/
	s_set_vgpr_msb 0x41                     ;  msbs: dst=1 src0=1 src1=0 src2=0
	v_mul_i32_i24_e32 v42 /*v298*/, v16 /*v272*/, v148
	v_mul_i32_i24_e32 v44 /*v300*/, v18 /*v274*/, v150
	;; [unrolled: 1-line block ×4, first 2 shown]
	s_set_vgpr_msb 0x55                     ;  msbs: dst=1 src0=1 src1=1 src2=1
	v_add3_u32 v11 /*v267*/, v11 /*v267*/, v13 /*v269*/, v14 /*v270*/
	v_mul_i32_i24_e32 v55 /*v311*/, v29 /*v285*/, v6 /*v262*/
	v_mul_i32_i24_e32 v57 /*v313*/, v31 /*v287*/, v5 /*v261*/
	v_add3_u32 v36 /*v292*/, v36 /*v292*/, v58 /*v314*/, v56 /*v312*/
	s_set_vgpr_msb 0x41                     ;  msbs: dst=1 src0=1 src1=0 src2=0
	v_mul_i32_i24_e32 v48 /*v304*/, v23 /*v279*/, v129
	v_mul_i32_i24_e32 v50 /*v306*/, v25 /*v281*/, v131
	s_set_vgpr_msb 0x55                     ;  msbs: dst=1 src0=1 src1=1 src2=1
	v_add3_u32 v37 /*v293*/, v37 /*v293*/, v51 /*v307*/, v49 /*v305*/
	s_set_vgpr_msb 0x41                     ;  msbs: dst=1 src0=1 src1=0 src2=0
	v_mul_i32_i24_e32 v41 /*v297*/, v15 /*v271*/, v147
	v_mul_i32_i24_e32 v43 /*v299*/, v17 /*v273*/, v149
	;; [unrolled: 1-line block ×4, first 2 shown]
	s_set_vgpr_msb 0x55                     ;  msbs: dst=1 src0=1 src1=1 src2=1
	v_add3_u32 v11 /*v267*/, v11 /*v267*/, v18 /*v274*/, v16 /*v272*/
	s_set_vgpr_msb 0x41                     ;  msbs: dst=1 src0=1 src1=0 src2=0
	v_mul_i32_i24_e32 v59 /*v315*/, v32 /*v288*/, v110
	s_set_vgpr_msb 64                       ;  msbs: dst=1 src0=0 src1=0 src2=0
	v_mul_i32_i24_e32 v62 /*v318*/, v87, v226
	s_set_vgpr_msb 0x55                     ;  msbs: dst=1 src0=1 src1=1 src2=1
	v_add3_u32 v36 /*v292*/, v36 /*v292*/, v55 /*v311*/, v57 /*v313*/
	s_set_vgpr_msb 0x41                     ;  msbs: dst=1 src0=1 src1=0 src2=0
	v_mul_i32_i24_e32 v52 /*v308*/, v26 /*v282*/, v132
	s_set_vgpr_msb 64                       ;  msbs: dst=1 src0=0 src1=0 src2=0
	v_mul_i32_i24_e32 v55 /*v311*/, v91, v134
	s_set_vgpr_msb 0x55                     ;  msbs: dst=1 src0=1 src1=1 src2=1
	v_add3_u32 v37 /*v293*/, v37 /*v293*/, v48 /*v304*/, v50 /*v306*/
	s_set_vgpr_msb 0x41                     ;  msbs: dst=1 src0=1 src1=0 src2=0
	v_mul_i32_i24_e32 v45 /*v301*/, v19 /*v275*/, v151
	v_mul_i32_i24_e32 v48 /*v304*/, v22 /*v278*/, v95
	s_set_vgpr_msb 0x55                     ;  msbs: dst=1 src0=1 src1=1 src2=1
	v_add3_u32 v38 /*v294*/, v38 /*v294*/, v39 /*v295*/, v40 /*v296*/
	s_set_vgpr_msb 0x41                     ;  msbs: dst=1 src0=1 src1=0 src2=0
	v_mul_i32_i24_e32 v19 /*v275*/, v19 /*v275*/, v209
	v_mul_i32_i24_e32 v22 /*v278*/, v22 /*v278*/, v211
	;; [unrolled: 5-line block ×6, first 2 shown]
	s_set_vgpr_msb 0x55                     ;  msbs: dst=1 src0=1 src1=1 src2=1
	v_add3_u32 v11 /*v267*/, v11 /*v267*/, v22 /*v278*/, v19 /*v275*/
	s_set_vgpr_msb 0                        ;  msbs: dst=0 src0=0 src1=0 src2=0
	v_mul_i32_i24_e32 v86, v82, v113
	s_set_vgpr_msb 4                        ;  msbs: dst=0 src0=0 src1=1 src2=0
	v_mul_i32_i24_e32 v88, v230, v7 /*v263*/
	s_set_vgpr_msb 0x55                     ;  msbs: dst=1 src0=1 src1=1 src2=1
	v_add3_u32 v36 /*v292*/, v36 /*v292*/, v60 /*v316*/, v61 /*v317*/
	s_set_vgpr_msb 0x41                     ;  msbs: dst=1 src0=1 src1=0 src2=0
	v_mul_i32_i24_e32 v57 /*v313*/, v30 /*v286*/, v135
	v_mul_i32_i24_e32 v59 /*v315*/, v9 /*v265*/, v138
	s_set_vgpr_msb 0x55                     ;  msbs: dst=1 src0=1 src1=1 src2=1
	v_add3_u32 v37 /*v293*/, v37 /*v293*/, v53 /*v309*/, v54 /*v310*/
	s_set_vgpr_msb 0x41                     ;  msbs: dst=1 src0=1 src1=0 src2=0
	v_mul_i32_i24_e32 v50 /*v306*/, v24 /*v280*/, v153
	s_set_vgpr_msb 64                       ;  msbs: dst=1 src0=0 src1=0 src2=0
	v_mul_i32_i24_e32 v52 /*v308*/, v89, v188
	s_set_vgpr_msb 0x55                     ;  msbs: dst=1 src0=1 src1=1 src2=1
	v_add3_u32 v38 /*v294*/, v38 /*v294*/, v41 /*v297*/, v43 /*v299*/
	s_set_vgpr_msb 0x41                     ;  msbs: dst=1 src0=1 src1=0 src2=0
	v_mul_i32_i24_e32 v24 /*v280*/, v24 /*v280*/, v212
	s_set_vgpr_msb 0                        ;  msbs: dst=0 src0=0 src1=0 src2=0
	v_mul_i32_i24_e32 v89, v89, v214
	s_set_vgpr_msb 0x55                     ;  msbs: dst=1 src0=1 src1=1 src2=1
	v_add3_u32 v11 /*v267*/, v11 /*v267*/, v20 /*v276*/, v21 /*v277*/
	s_set_vgpr_msb 4                        ;  msbs: dst=0 src0=0 src1=1 src2=0
	v_mul_i32_i24_e32 v90, v232, v10 /*v266*/
	s_set_vgpr_msb 0x44                     ;  msbs: dst=1 src0=0 src1=1 src2=0
	v_mul_i32_i24_e32 v35 /*v291*/, v231, v8 /*v264*/
	s_set_vgpr_msb 1                        ;  msbs: dst=0 src0=1 src1=0 src2=0
	v_add3_u32 v86, v36 /*v292*/, v86, v88
	s_set_vgpr_msb 0x41                     ;  msbs: dst=1 src0=1 src1=0 src2=0
	v_mul_i32_i24_e32 v56 /*v312*/, v29 /*v285*/, v136
	v_mul_i32_i24_e32 v58 /*v314*/, v31 /*v287*/, v137
	s_set_vgpr_msb 0x55                     ;  msbs: dst=1 src0=1 src1=1 src2=1
	v_add3_u32 v37 /*v293*/, v37 /*v293*/, v59 /*v315*/, v57 /*v313*/
	s_set_vgpr_msb 0x41                     ;  msbs: dst=1 src0=1 src1=0 src2=0
	v_mul_i32_i24_e32 v49 /*v305*/, v23 /*v279*/, v187
	v_mul_i32_i24_e32 v51 /*v307*/, v25 /*v281*/, v189
	s_set_vgpr_msb 0x55                     ;  msbs: dst=1 src0=1 src1=1 src2=1
	v_add3_u32 v38 /*v294*/, v38 /*v294*/, v48 /*v304*/, v45 /*v301*/
	s_set_vgpr_msb 0x41                     ;  msbs: dst=1 src0=1 src1=0 src2=0
	v_mul_i32_i24_e32 v23 /*v279*/, v23 /*v279*/, v213
	v_mul_i32_i24_e32 v25 /*v281*/, v25 /*v281*/, v215
	s_set_vgpr_msb 17                       ;  msbs: dst=0 src0=1 src1=0 src2=1
	v_add3_u32 v89, v11 /*v267*/, v89, v24 /*v280*/
	s_set_vgpr_msb 16                       ;  msbs: dst=0 src0=0 src1=0 src2=1
	v_add3_u32 v86, v86, v90, v35 /*v291*/
	s_set_vgpr_msb 0x41                     ;  msbs: dst=1 src0=1 src1=0 src2=0
	v_mul_i32_i24_e32 v60 /*v316*/, v32 /*v288*/, v139
	s_set_vgpr_msb 64                       ;  msbs: dst=1 src0=0 src1=0 src2=0
	v_mul_i32_i24_e32 v63 /*v319*/, v87, v229
	s_set_vgpr_msb 0x55                     ;  msbs: dst=1 src0=1 src1=1 src2=1
	v_add3_u32 v37 /*v293*/, v37 /*v293*/, v56 /*v312*/, v58 /*v314*/
	s_set_vgpr_msb 0x41                     ;  msbs: dst=1 src0=1 src1=0 src2=0
	v_mul_i32_i24_e32 v53 /*v309*/, v26 /*v282*/, v190
	s_set_vgpr_msb 64                       ;  msbs: dst=1 src0=0 src1=0 src2=0
	v_mul_i32_i24_e32 v56 /*v312*/, v91, v192
	s_set_vgpr_msb 0x55                     ;  msbs: dst=1 src0=1 src1=1 src2=1
	v_add3_u32 v38 /*v294*/, v38 /*v294*/, v46 /*v302*/, v47 /*v303*/
	s_set_vgpr_msb 0x41                     ;  msbs: dst=1 src0=1 src1=0 src2=0
	v_mul_i32_i24_e32 v26 /*v282*/, v26 /*v282*/, v216
	s_set_vgpr_msb 0                        ;  msbs: dst=0 src0=0 src1=0 src2=0
	v_mul_i32_i24_e32 v91, v91, v218
	s_set_vgpr_msb 20                       ;  msbs: dst=0 src0=0 src1=1 src2=1
	v_add3_u32 v89, v89, v23 /*v279*/, v25 /*v281*/
	s_wait_dscnt 0x0
	s_set_vgpr_msb 0                        ;  msbs: dst=0 src0=0 src1=0 src2=0
	v_pk_mul_f16 v88, v105, v84
	v_cvt_f32_i32_e32 v86, v86
	s_set_vgpr_msb 0x41                     ;  msbs: dst=1 src0=1 src1=0 src2=0
	v_mul_i32_i24_e32 v61 /*v317*/, v33 /*v289*/, v228
	v_mul_i32_i24_e32 v62 /*v318*/, v34 /*v290*/, v93
	s_set_vgpr_msb 0x55                     ;  msbs: dst=1 src0=1 src1=1 src2=1
	v_add3_u32 v37 /*v293*/, v37 /*v293*/, v63 /*v319*/, v60 /*v316*/
	s_set_vgpr_msb 0x41                     ;  msbs: dst=1 src0=1 src1=0 src2=0
	v_mul_i32_i24_e32 v54 /*v310*/, v27 /*v283*/, v191
	v_mul_i32_i24_e32 v55 /*v311*/, v28 /*v284*/, v96
	s_set_vgpr_msb 0x55                     ;  msbs: dst=1 src0=1 src1=1 src2=1
	v_add3_u32 v38 /*v294*/, v38 /*v294*/, v52 /*v308*/, v50 /*v306*/
	s_set_vgpr_msb 0x41                     ;  msbs: dst=1 src0=1 src1=0 src2=0
	v_mul_i32_i24_e32 v27 /*v283*/, v27 /*v283*/, v217
	v_mul_i32_i24_e32 v28 /*v284*/, v28 /*v284*/, v219
	s_set_vgpr_msb 16                       ;  msbs: dst=0 src0=0 src1=0 src2=1
	v_add3_u32 v89, v89, v91, v26 /*v282*/
	s_set_vgpr_msb 0                        ;  msbs: dst=0 src0=0 src1=0 src2=0
	v_fma_mix_f32 v90, v88, v86, v88 op_sel:[0,0,1] op_sel_hi:[1,0,1]
	v_mul_i32_i24_e32 v86, v82, v118
	s_set_vgpr_msb 4                        ;  msbs: dst=0 src0=0 src1=1 src2=0
	v_mul_i32_i24_e32 v88, v233, v7 /*v263*/
	s_set_vgpr_msb 0x55                     ;  msbs: dst=1 src0=1 src1=1 src2=1
	v_add3_u32 v37 /*v293*/, v37 /*v293*/, v61 /*v317*/, v62 /*v318*/
	s_set_vgpr_msb 0x41                     ;  msbs: dst=1 src0=1 src1=0 src2=0
	v_mul_i32_i24_e32 v58 /*v314*/, v30 /*v286*/, v193
	v_mul_i32_i24_e32 v60 /*v316*/, v9 /*v265*/, v196
	s_set_vgpr_msb 0x55                     ;  msbs: dst=1 src0=1 src1=1 src2=1
	v_add3_u32 v38 /*v294*/, v38 /*v294*/, v49 /*v305*/, v51 /*v307*/
	s_set_vgpr_msb 0x41                     ;  msbs: dst=1 src0=1 src1=0 src2=0
	v_mul_i32_i24_e32 v30 /*v286*/, v30 /*v286*/, v220
	v_mul_i32_i24_e32 v9 /*v265*/, v9 /*v265*/, v223
	s_set_vgpr_msb 20                       ;  msbs: dst=0 src0=0 src1=1 src2=1
	v_add3_u32 v89, v89, v27 /*v283*/, v28 /*v284*/
	s_set_vgpr_msb 0x44                     ;  msbs: dst=1 src0=0 src1=1 src2=0
	v_mul_i32_i24_e32 v35 /*v291*/, v235, v10 /*v266*/
	v_mul_i32_i24_e32 v36 /*v292*/, v234, v8 /*v264*/
	s_set_vgpr_msb 1                        ;  msbs: dst=0 src0=1 src1=0 src2=0
	v_add3_u32 v86, v37 /*v293*/, v86, v88
	s_set_vgpr_msb 0x41                     ;  msbs: dst=1 src0=1 src1=0 src2=0
	v_mul_i32_i24_e32 v57 /*v313*/, v29 /*v285*/, v194
	v_mul_i32_i24_e32 v59 /*v315*/, v31 /*v287*/, v195
	s_set_vgpr_msb 0x55                     ;  msbs: dst=1 src0=1 src1=1 src2=1
	v_add3_u32 v38 /*v294*/, v38 /*v294*/, v56 /*v312*/, v53 /*v309*/
	s_set_vgpr_msb 0x41                     ;  msbs: dst=1 src0=1 src1=0 src2=0
	v_mul_i32_i24_e32 v29 /*v285*/, v29 /*v285*/, v221
	v_mul_i32_i24_e32 v31 /*v287*/, v31 /*v287*/, v222
	s_set_vgpr_msb 20                       ;  msbs: dst=0 src0=0 src1=1 src2=1
	v_add3_u32 v89, v89, v9 /*v265*/, v30 /*v286*/
	v_add3_u32 v86, v86, v35 /*v291*/, v36 /*v292*/
	s_set_vgpr_msb 0x41                     ;  msbs: dst=1 src0=1 src1=0 src2=0
	v_mul_i32_i24_e32 v61 /*v317*/, v32 /*v288*/, v197
	s_set_vgpr_msb 64                       ;  msbs: dst=1 src0=0 src1=0 src2=0
	v_mul_i32_i24_e32 v64 /*v320*/, v87, v237
	s_set_vgpr_msb 0x55                     ;  msbs: dst=1 src0=1 src1=1 src2=1
	v_add3_u32 v38 /*v294*/, v38 /*v294*/, v54 /*v310*/, v55 /*v311*/
	s_set_vgpr_msb 0x41                     ;  msbs: dst=1 src0=1 src1=0 src2=0
	v_mul_i32_i24_e32 v32 /*v288*/, v32 /*v288*/, v224
	s_set_vgpr_msb 0                        ;  msbs: dst=0 src0=0 src1=0 src2=0
	v_mul_i32_i24_e32 v87, v87, v241
	s_set_vgpr_msb 20                       ;  msbs: dst=0 src0=0 src1=1 src2=1
	v_add3_u32 v89, v89, v29 /*v285*/, v31 /*v287*/
	s_set_vgpr_msb 0                        ;  msbs: dst=0 src0=0 src1=0 src2=0
	v_pk_mul_f16 v88, v114, v84
	v_cvt_f32_i32_e32 v86, v86
	s_set_vgpr_msb 0x41                     ;  msbs: dst=1 src0=1 src1=0 src2=0
	v_mul_i32_i24_e32 v62 /*v318*/, v33 /*v289*/, v236
	v_mul_i32_i24_e32 v63 /*v319*/, v34 /*v290*/, v97
	s_set_vgpr_msb 0x55                     ;  msbs: dst=1 src0=1 src1=1 src2=1
	v_add3_u32 v38 /*v294*/, v38 /*v294*/, v60 /*v316*/, v58 /*v314*/
	s_set_vgpr_msb 0x41                     ;  msbs: dst=1 src0=1 src1=0 src2=0
	v_mul_i32_i24_e32 v33 /*v289*/, v33 /*v289*/, v240
	v_mul_i32_i24_e32 v34 /*v290*/, v34 /*v290*/, v242
	s_set_vgpr_msb 16                       ;  msbs: dst=0 src0=0 src1=0 src2=1
	v_add3_u32 v87, v89, v87, v32 /*v288*/
	s_set_vgpr_msb 0                        ;  msbs: dst=0 src0=0 src1=0 src2=0
	v_fma_mix_f32 v88, v88, v86, v88 op_sel:[0,0,1] op_sel_hi:[1,0,1]
	v_mul_i32_i24_e32 v86, v82, v144
	s_set_vgpr_msb 0x44                     ;  msbs: dst=1 src0=0 src1=1 src2=0
	v_mul_i32_i24_e32 v35 /*v291*/, v238, v7 /*v263*/
	s_set_vgpr_msb 0x55                     ;  msbs: dst=1 src0=1 src1=1 src2=1
	v_add3_u32 v38 /*v294*/, v38 /*v294*/, v57 /*v313*/, v59 /*v315*/
	s_set_vgpr_msb 0                        ;  msbs: dst=0 src0=0 src1=0 src2=0
	v_mul_i32_i24_e32 v82, v82, v202
	s_set_vgpr_msb 0x44                     ;  msbs: dst=1 src0=0 src1=1 src2=0
	v_mul_i32_i24_e32 v7 /*v263*/, v243, v7 /*v263*/
	s_set_vgpr_msb 20                       ;  msbs: dst=0 src0=0 src1=1 src2=1
	v_add3_u32 v87, v87, v33 /*v289*/, v34 /*v290*/
	s_set_vgpr_msb 0x44                     ;  msbs: dst=1 src0=0 src1=1 src2=0
	v_mul_i32_i24_e32 v36 /*v292*/, v94, v10 /*v266*/
	v_mul_i32_i24_e32 v37 /*v293*/, v239, v8 /*v264*/
	s_set_vgpr_msb 0x55                     ;  msbs: dst=1 src0=1 src1=1 src2=1
	v_add3_u32 v38 /*v294*/, v38 /*v294*/, v64 /*v320*/, v61 /*v317*/
	s_set_vgpr_msb 0x44                     ;  msbs: dst=1 src0=0 src1=1 src2=0
	v_mul_i32_i24_e32 v10 /*v266*/, v245, v10 /*v266*/
	v_mul_i32_i24_e32 v8 /*v264*/, v244, v8 /*v264*/
	s_set_vgpr_msb 16                       ;  msbs: dst=0 src0=0 src1=0 src2=1
	v_add3_u32 v82, v87, v82, v7 /*v263*/
	v_add_nc_u32_e32 v87, 0x1404, v99
	s_set_vgpr_msb 0x55                     ;  msbs: dst=1 src0=1 src1=1 src2=1
	v_add3_u32 v38 /*v294*/, v38 /*v294*/, v62 /*v318*/, v63 /*v319*/
	s_set_vgpr_msb 20                       ;  msbs: dst=0 src0=0 src1=1 src2=1
	v_add3_u32 v82, v82, v10 /*v266*/, v8 /*v264*/
	s_set_vgpr_msb 64                       ;  msbs: dst=1 src0=0 src1=0 src2=0
	ds_load_2addr_b32 v[10:11] /*v[266:267]*/, v87 offset1:1
	s_set_vgpr_msb 17                       ;  msbs: dst=0 src0=1 src1=0 src2=1
	v_add3_u32 v86, v38 /*v294*/, v86, v35 /*v291*/
	s_set_vgpr_msb 64                       ;  msbs: dst=1 src0=0 src1=0 src2=0
	v_pk_mul_f16 v35 /*v291*/, v140, v84
	s_set_vgpr_msb 0                        ;  msbs: dst=0 src0=0 src1=0 src2=0
	v_pk_mul_f16 v84, v198, v84
	v_cvt_f32_i32_e32 v82, v82
	v_add_nc_u32_e32 v87, 0x1414, v99
	s_set_vgpr_msb 20                       ;  msbs: dst=0 src0=0 src1=1 src2=1
	v_add3_u32 v86, v86, v36 /*v292*/, v37 /*v293*/
	s_set_vgpr_msb 0                        ;  msbs: dst=0 src0=0 src1=0 src2=0
	v_fma_mix_f32 v84, v84, v82, v84 op_sel:[0,0,1] op_sel_hi:[1,0,1]
	v_add_nc_u32_e32 v82, 0x1400, v99
	s_delay_alu instid0(VALU_DEP_3)
	v_cvt_f32_i32_e32 v86, v86
	s_set_vgpr_msb 64                       ;  msbs: dst=1 src0=0 src1=0 src2=0
	ds_load_2addr_b32 v[8:9] /*v[264:265]*/, v82 offset0:4 offset1:7
	ds_load_2addr_b32 v[12:13] /*v[268:269]*/, v87 offset1:1
	ds_load_2addr_b32 v[14:15] /*v[270:271]*/, v82 offset1:3
	s_set_vgpr_msb 17                       ;  msbs: dst=0 src0=1 src1=0 src2=1
	v_fma_mix_f32 v86, v35 /*v291*/, v86, v35 /*v291*/ op_sel:[0,0,1] op_sel_hi:[1,0,1]
	s_wait_dscnt 0x3
	s_set_vgpr_msb 0x41                     ;  msbs: dst=1 src0=1 src1=0 src2=0
	v_bfe_i32 v20 /*v276*/, v10 /*v266*/, 0, 8
	v_bfe_i32 v21 /*v277*/, v10 /*v266*/, 8, 8
	;; [unrolled: 1-line block ×3, first 2 shown]
	s_set_vgpr_msb 0x44                     ;  msbs: dst=1 src0=0 src1=1 src2=0
	v_ashrrev_i32_e32 v10 /*v266*/, 24, v10 /*v266*/
	s_set_vgpr_msb 0x41                     ;  msbs: dst=1 src0=1 src1=0 src2=0
	v_bfe_i32 v26 /*v282*/, v11 /*v267*/, 0, 8
	v_mul_i32_i24_e32 v42 /*v298*/, v20 /*v276*/, v251
	v_mul_i32_i24_e32 v43 /*v299*/, v21 /*v277*/, v249
	;; [unrolled: 1-line block ×3, first 2 shown]
	v_bfe_i32 v27 /*v283*/, v11 /*v267*/, 8, 8
	v_bfe_i32 v28 /*v284*/, v11 /*v267*/, 16, 8
	s_set_vgpr_msb 0x45                     ;  msbs: dst=1 src0=1 src1=1 src2=0
	v_ashrrev_i32_e32 v11 /*v267*/, 24, v11 /*v267*/
	v_mul_i32_i24_e32 v50 /*v306*/, v26 /*v282*/, v1 /*v257*/
	s_set_vgpr_msb 0x41                     ;  msbs: dst=1 src0=1 src1=0 src2=0
	v_mul_i32_i24_e32 v51 /*v307*/, v27 /*v283*/, v255
	s_set_vgpr_msb 0x45                     ;  msbs: dst=1 src0=1 src1=1 src2=0
	v_mul_i32_i24_e32 v52 /*v308*/, v28 /*v284*/, v0 /*v256*/
	s_wait_dscnt 0x2
	v_bfe_i32 v18 /*v274*/, v8 /*v264*/, 8, 8
	s_wait_dscnt 0x0
	s_set_vgpr_msb 1                        ;  msbs: dst=0 src0=1 src1=0 src2=0
	v_bfe_i32 v82, v14 /*v270*/, 0, 8
	s_set_vgpr_msb 0x41                     ;  msbs: dst=1 src0=1 src1=0 src2=0
	v_bfe_i32 v7 /*v263*/, v14 /*v270*/, 8, 8
	v_bfe_i32 v16 /*v272*/, v14 /*v270*/, 16, 8
	s_set_vgpr_msb 0x44                     ;  msbs: dst=1 src0=0 src1=1 src2=0
	v_ashrrev_i32_e32 v14 /*v270*/, 24, v14 /*v270*/
	s_set_vgpr_msb 0x41                     ;  msbs: dst=1 src0=1 src1=0 src2=0
	v_bfe_i32 v17 /*v273*/, v8 /*v264*/, 0, 8
	v_bfe_i32 v19 /*v275*/, v8 /*v264*/, 16, 8
	s_set_vgpr_msb 0x44                     ;  msbs: dst=1 src0=0 src1=1 src2=0
	v_ashrrev_i32_e32 v8 /*v264*/, 24, v8 /*v264*/
	v_mul_i32_i24_e32 v39 /*v295*/, v247, v18 /*v274*/
	s_set_vgpr_msb 0x41                     ;  msbs: dst=1 src0=1 src1=0 src2=0
	v_bfe_i32 v23 /*v279*/, v12 /*v268*/, 0, 8
	v_bfe_i32 v24 /*v280*/, v12 /*v268*/, 8, 8
	s_set_vgpr_msb 0x54                     ;  msbs: dst=1 src0=0 src1=1 src2=1
	v_mul_i32_i24_e32 v40 /*v296*/, v248, v19 /*v275*/
	v_mul_i32_i24_e32 v41 /*v297*/, v106, v8 /*v264*/
	v_mad_i32_i24 v39 /*v295*/, v246, v17 /*v273*/, v39 /*v295*/
	s_set_vgpr_msb 0x41                     ;  msbs: dst=1 src0=1 src1=0 src2=0
	v_bfe_i32 v25 /*v281*/, v12 /*v268*/, 16, 8
	s_set_vgpr_msb 0x44                     ;  msbs: dst=1 src0=0 src1=1 src2=0
	v_ashrrev_i32_e32 v12 /*v268*/, 24, v12 /*v268*/
	s_set_vgpr_msb 0x41                     ;  msbs: dst=1 src0=1 src1=0 src2=0
	v_mul_i32_i24_e32 v45 /*v301*/, v10 /*v266*/, v111
	v_mul_i32_i24_e32 v46 /*v302*/, v23 /*v279*/, v254
	s_set_vgpr_msb 0x55                     ;  msbs: dst=1 src0=1 src1=1 src2=1
	v_add3_u32 v39 /*v295*/, v39 /*v295*/, v40 /*v296*/, v41 /*v297*/
	s_set_vgpr_msb 0x41                     ;  msbs: dst=1 src0=1 src1=0 src2=0
	v_mul_i32_i24_e32 v47 /*v303*/, v24 /*v280*/, v252
	v_mul_i32_i24_e32 v49 /*v305*/, v12 /*v268*/, v107
	;; [unrolled: 1-line block ×3, first 2 shown]
	v_bfe_i32 v29 /*v285*/, v13 /*v269*/, 0, 8
	s_set_vgpr_msb 0x55                     ;  msbs: dst=1 src0=1 src1=1 src2=1
	v_add3_u32 v39 /*v295*/, v39 /*v295*/, v45 /*v301*/, v43 /*v299*/
	v_bfe_i32 v30 /*v286*/, v13 /*v269*/, 8, 8
	v_bfe_i32 v31 /*v287*/, v13 /*v269*/, 16, 8
	v_ashrrev_i32_e32 v13 /*v269*/, 24, v13 /*v269*/
	s_set_vgpr_msb 0x41                     ;  msbs: dst=1 src0=1 src1=0 src2=0
	v_mul_i32_i24_e32 v53 /*v309*/, v11 /*v267*/, v112
	s_set_vgpr_msb 0x55                     ;  msbs: dst=1 src0=1 src1=1 src2=1
	v_add3_u32 v39 /*v295*/, v39 /*v295*/, v42 /*v298*/, v44 /*v300*/
	s_set_vgpr_msb 0x41                     ;  msbs: dst=1 src0=1 src1=0 src2=0
	v_mul_i32_i24_e32 v54 /*v310*/, v29 /*v285*/, v80
	v_bfe_i32 v32 /*v288*/, v15 /*v271*/, 0, 8
	v_mul_i32_i24_e32 v57 /*v313*/, v13 /*v269*/, v108
	v_bfe_i32 v33 /*v289*/, v15 /*v271*/, 8, 8
	s_set_vgpr_msb 0x55                     ;  msbs: dst=1 src0=1 src1=1 src2=1
	v_add3_u32 v39 /*v295*/, v39 /*v295*/, v49 /*v305*/, v46 /*v302*/
	v_bfe_i32 v34 /*v290*/, v15 /*v271*/, 16, 8
	v_ashrrev_i32_e32 v15 /*v271*/, 24, v15 /*v271*/
	v_mul_i32_i24_e32 v55 /*v311*/, v30 /*v286*/, v2 /*v258*/
	v_mul_i32_i24_e32 v56 /*v312*/, v31 /*v287*/, v3 /*v259*/
	v_add3_u32 v39 /*v295*/, v39 /*v295*/, v47 /*v303*/, v48 /*v304*/
	v_bfe_i32 v35 /*v291*/, v9 /*v265*/, 0, 8
	v_bfe_i32 v36 /*v292*/, v9 /*v265*/, 8, 8
	;; [unrolled: 1-line block ×3, first 2 shown]
	v_ashrrev_i32_e32 v9 /*v265*/, 24, v9 /*v265*/
	v_add3_u32 v39 /*v295*/, v39 /*v295*/, v53 /*v309*/, v51 /*v307*/
	v_mul_i32_i24_e32 v59 /*v315*/, v33 /*v289*/, v4 /*v260*/
	s_set_vgpr_msb 0x41                     ;  msbs: dst=1 src0=1 src1=0 src2=0
	v_mul_i32_i24_e32 v61 /*v317*/, v15 /*v271*/, v109
	s_set_vgpr_msb 0x55                     ;  msbs: dst=1 src0=1 src1=1 src2=1
	v_mul_i32_i24_e32 v58 /*v314*/, v32 /*v288*/, v6 /*v262*/
	v_mul_i32_i24_e32 v60 /*v316*/, v34 /*v290*/, v5 /*v261*/
	v_add3_u32 v39 /*v295*/, v39 /*v295*/, v50 /*v306*/, v52 /*v308*/
	s_set_vgpr_msb 0x41                     ;  msbs: dst=1 src0=1 src1=0 src2=0
	v_mul_i32_i24_e32 v62 /*v318*/, v35 /*v291*/, v110
	v_mul_i32_i24_e32 v65 /*v321*/, v9 /*v265*/, v226
	;; [unrolled: 1-line block ×4, first 2 shown]
	s_set_vgpr_msb 0x55                     ;  msbs: dst=1 src0=1 src1=1 src2=1
	v_add3_u32 v39 /*v295*/, v39 /*v295*/, v57 /*v313*/, v54 /*v310*/
	s_set_vgpr_msb 0                        ;  msbs: dst=0 src0=0 src1=0 src2=0
	v_mul_i32_i24_e32 v87, v82, v113
	s_set_vgpr_msb 4                        ;  msbs: dst=0 src0=0 src1=1 src2=0
	v_mul_i32_i24_e32 v89, v230, v7 /*v263*/
	v_mul_i32_i24_e32 v91, v232, v16 /*v272*/
	s_set_vgpr_msb 0x44                     ;  msbs: dst=1 src0=0 src1=1 src2=0
	v_mul_i32_i24_e32 v38 /*v294*/, v231, v14 /*v270*/
	s_set_vgpr_msb 0x55                     ;  msbs: dst=1 src0=1 src1=1 src2=1
	v_add3_u32 v39 /*v295*/, v39 /*v295*/, v55 /*v311*/, v56 /*v312*/
	s_set_vgpr_msb 0x41                     ;  msbs: dst=1 src0=1 src1=0 src2=0
	v_mul_i32_i24_e32 v40 /*v296*/, v8 /*v264*/, v120
	v_mul_i32_i24_e32 v42 /*v298*/, v21 /*v277*/, v122
	v_mul_i32_i24_e32 v44 /*v300*/, v10 /*v266*/, v124
	v_mul_i32_i24_e32 v41 /*v297*/, v20 /*v276*/, v121
	s_set_vgpr_msb 0x55                     ;  msbs: dst=1 src0=1 src1=1 src2=1
	v_add3_u32 v39 /*v295*/, v39 /*v295*/, v61 /*v317*/, v59 /*v315*/
	s_set_vgpr_msb 0x41                     ;  msbs: dst=1 src0=1 src1=0 src2=0
	v_mul_i32_i24_e32 v43 /*v299*/, v22 /*v278*/, v123
	v_mul_i32_i24_e32 v45 /*v301*/, v23 /*v279*/, v125
	v_mul_i32_i24_e32 v48 /*v304*/, v12 /*v268*/, v127
	v_mul_i32_i24_e32 v46 /*v302*/, v24 /*v280*/, v126
	;; [unrolled: 7-line block ×5, first 2 shown]
	s_set_vgpr_msb 1                        ;  msbs: dst=0 src0=1 src1=0 src2=0
	v_add3_u32 v87, v39 /*v295*/, v87, v89
	s_set_vgpr_msb 0x41                     ;  msbs: dst=1 src0=1 src1=0 src2=0
	v_mul_i32_i24_e32 v39 /*v295*/, v19 /*v275*/, v116
	v_mul_i32_i24_e32 v59 /*v315*/, v34 /*v290*/, v137
	;; [unrolled: 1-line block ×4, first 2 shown]
	s_set_vgpr_msb 16                       ;  msbs: dst=0 src0=0 src1=0 src2=1
	v_add3_u32 v87, v87, v91, v38 /*v294*/
	s_set_vgpr_msb 0x41                     ;  msbs: dst=1 src0=1 src1=0 src2=0
	v_mul_i32_i24_e32 v38 /*v294*/, v18 /*v274*/, v119
	s_set_vgpr_msb 0                        ;  msbs: dst=0 src0=0 src1=0 src2=0
	v_pk_mul_f16 v89, v105, v85
	s_set_vgpr_msb 0x41                     ;  msbs: dst=1 src0=1 src1=0 src2=0
	v_mul_i32_i24_e32 v62 /*v318*/, v36 /*v292*/, v228
	v_mul_i32_i24_e32 v63 /*v319*/, v37 /*v293*/, v93
	s_set_vgpr_msb 0                        ;  msbs: dst=0 src0=0 src1=0 src2=0
	v_cvt_f32_i32_e32 v87, v87
	s_set_vgpr_msb 0x51                     ;  msbs: dst=1 src0=1 src1=0 src2=1
	v_mad_i32_i24 v38 /*v294*/, v17 /*v273*/, v115, v38 /*v294*/
	s_set_vgpr_msb 0                        ;  msbs: dst=0 src0=0 src1=0 src2=0
	s_delay_alu instid0(VALU_DEP_2) | instskip(SKIP_1) | instid1(VALU_DEP_2)
	v_fma_mix_f32 v91, v89, v87, v89 op_sel:[0,0,1] op_sel_hi:[1,0,1]
	s_set_vgpr_msb 0x55                     ;  msbs: dst=1 src0=1 src1=1 src2=1
	v_add3_u32 v38 /*v294*/, v38 /*v294*/, v39 /*v295*/, v40 /*v296*/
	s_set_vgpr_msb 0                        ;  msbs: dst=0 src0=0 src1=0 src2=0
	v_mul_i32_i24_e32 v87, v82, v118
	s_set_vgpr_msb 4                        ;  msbs: dst=0 src0=0 src1=1 src2=0
	v_mul_i32_i24_e32 v89, v233, v7 /*v263*/
	s_set_vgpr_msb 0x41                     ;  msbs: dst=1 src0=1 src1=0 src2=0
	v_mul_i32_i24_e32 v39 /*v295*/, v8 /*v264*/, v146
	s_set_vgpr_msb 0                        ;  msbs: dst=0 src0=0 src1=0 src2=0
	v_pk_add_f32 v[54:55], v[54:55], v[90:91]
	s_set_vgpr_msb 0x55                     ;  msbs: dst=1 src0=1 src1=1 src2=1
	v_add3_u32 v38 /*v294*/, v38 /*v294*/, v44 /*v300*/, v42 /*v298*/
	s_set_vgpr_msb 4                        ;  msbs: dst=0 src0=0 src1=1 src2=0
	v_mul_i32_i24_e32 v90, v235, v16 /*v272*/
	v_mul_i32_i24_e32 v91, v234, v14 /*v270*/
	s_set_vgpr_msb 0x41                     ;  msbs: dst=1 src0=1 src1=0 src2=0
	v_mul_i32_i24_e32 v40 /*v296*/, v20 /*v276*/, v147
	v_mul_i32_i24_e32 v42 /*v298*/, v22 /*v278*/, v149
	s_set_vgpr_msb 0x55                     ;  msbs: dst=1 src0=1 src1=1 src2=1
	v_add3_u32 v38 /*v294*/, v38 /*v294*/, v41 /*v297*/, v43 /*v299*/
	s_set_vgpr_msb 0x41                     ;  msbs: dst=1 src0=1 src1=0 src2=0
	v_mul_i32_i24_e32 v41 /*v297*/, v21 /*v277*/, v148
	v_mul_i32_i24_e32 v43 /*v299*/, v10 /*v266*/, v150
	;; [unrolled: 1-line block ×4, first 2 shown]
	s_set_vgpr_msb 0x55                     ;  msbs: dst=1 src0=1 src1=1 src2=1
	v_add3_u32 v38 /*v294*/, v38 /*v294*/, v48 /*v304*/, v45 /*v301*/
	s_set_vgpr_msb 0x41                     ;  msbs: dst=1 src0=1 src1=0 src2=0
	v_mul_i32_i24_e32 v45 /*v301*/, v24 /*v280*/, v152
	v_mul_i32_i24_e32 v48 /*v304*/, v26 /*v282*/, v187
	s_set_vgpr_msb 0x55                     ;  msbs: dst=1 src0=1 src1=1 src2=1
	v_add3_u32 v38 /*v294*/, v38 /*v294*/, v46 /*v302*/, v47 /*v303*/
	s_set_vgpr_msb 0x41                     ;  msbs: dst=1 src0=1 src1=0 src2=0
	v_mul_i32_i24_e32 v47 /*v303*/, v12 /*v268*/, v95
	v_mul_i32_i24_e32 v46 /*v302*/, v25 /*v281*/, v143
	v_mul_i32_i24_e32 v12 /*v268*/, v12 /*v268*/, v211
	s_set_vgpr_msb 0x55                     ;  msbs: dst=1 src0=1 src1=1 src2=1
	v_add3_u32 v38 /*v294*/, v38 /*v294*/, v52 /*v308*/, v50 /*v306*/
	s_set_vgpr_msb 0x41                     ;  msbs: dst=1 src0=1 src1=0 src2=0
	v_mul_i32_i24_e32 v50 /*v306*/, v28 /*v284*/, v189
	v_mul_i32_i24_e32 v52 /*v308*/, v29 /*v285*/, v190
	s_set_vgpr_msb 0x55                     ;  msbs: dst=1 src0=1 src1=1 src2=1
	v_add3_u32 v38 /*v294*/, v38 /*v294*/, v49 /*v305*/, v51 /*v307*/
	s_set_vgpr_msb 0x41                     ;  msbs: dst=1 src0=1 src1=0 src2=0
	v_mul_i32_i24_e32 v49 /*v305*/, v27 /*v283*/, v153
	v_mul_i32_i24_e32 v51 /*v307*/, v11 /*v267*/, v188
	v_mul_i32_i24_e32 v11 /*v267*/, v11 /*v267*/, v214
	;; [unrolled: 11-line block ×4, first 2 shown]
	s_set_vgpr_msb 0x55                     ;  msbs: dst=1 src0=1 src1=1 src2=1
	v_add3_u32 v38 /*v294*/, v38 /*v294*/, v64 /*v320*/, v61 /*v317*/
	s_set_vgpr_msb 0x41                     ;  msbs: dst=1 src0=1 src1=0 src2=0
	v_mul_i32_i24_e32 v61 /*v317*/, v36 /*v292*/, v236
	s_set_vgpr_msb 0x55                     ;  msbs: dst=1 src0=1 src1=1 src2=1
	s_delay_alu instid0(VALU_DEP_2)
	v_add3_u32 v38 /*v294*/, v38 /*v294*/, v62 /*v318*/, v63 /*v319*/
	s_set_vgpr_msb 0x41                     ;  msbs: dst=1 src0=1 src1=0 src2=0
	v_mul_i32_i24_e32 v63 /*v319*/, v9 /*v265*/, v237
	v_mul_i32_i24_e32 v62 /*v318*/, v37 /*v293*/, v97
	;; [unrolled: 1-line block ×3, first 2 shown]
	s_set_vgpr_msb 1                        ;  msbs: dst=0 src0=1 src1=0 src2=0
	v_add3_u32 v87, v38 /*v294*/, v87, v89
	s_set_vgpr_msb 0x41                     ;  msbs: dst=1 src0=1 src1=0 src2=0
	v_mul_i32_i24_e32 v38 /*v294*/, v19 /*v275*/, v142
	s_set_vgpr_msb 0                        ;  msbs: dst=0 src0=0 src1=0 src2=0
	v_pk_mul_f16 v89, v114, v85
	v_add3_u32 v87, v87, v90, v91
	s_set_vgpr_msb 1                        ;  msbs: dst=0 src0=1 src1=0 src2=0
	v_mul_i32_i24_e32 v91, v18 /*v274*/, v145
	s_set_vgpr_msb 4                        ;  msbs: dst=0 src0=0 src1=1 src2=0
	v_mul_i32_i24_e32 v90, v239, v14 /*v270*/
	v_cvt_f32_i32_e32 v87, v87
	s_set_vgpr_msb 1                        ;  msbs: dst=0 src0=1 src1=0 src2=0
	v_mad_i32_i24 v91, v17 /*v273*/, v141, v91
	s_set_vgpr_msb 0                        ;  msbs: dst=0 src0=0 src1=0 src2=0
	s_delay_alu instid0(VALU_DEP_2) | instskip(SKIP_1) | instid1(VALU_DEP_2)
	v_fma_mix_f32 v89, v89, v87, v89 op_sel:[0,0,1] op_sel_hi:[1,0,1]
	s_set_vgpr_msb 20                       ;  msbs: dst=0 src0=0 src1=1 src2=1
	v_add3_u32 v91, v91, v38 /*v294*/, v39 /*v295*/
	s_set_vgpr_msb 0                        ;  msbs: dst=0 src0=0 src1=0 src2=0
	v_mul_i32_i24_e32 v87, v82, v144
	v_mul_i32_i24_e32 v82, v82, v202
	v_pk_add_f32 v[60:61], v[60:61], v[88:89]
	s_set_vgpr_msb 20                       ;  msbs: dst=0 src0=0 src1=1 src2=1
	v_add3_u32 v91, v91, v43 /*v299*/, v41 /*v297*/
	v_mul_i32_i24_e32 v88, v238, v7 /*v263*/
	v_mul_i32_i24_e32 v89, v94, v16 /*v272*/
	s_delay_alu instid0(VALU_DEP_3) | instskip(NEXT) | instid1(VALU_DEP_1)
	v_add3_u32 v91, v91, v40 /*v296*/, v42 /*v298*/
	v_add3_u32 v91, v91, v47 /*v303*/, v44 /*v300*/
	s_delay_alu instid0(VALU_DEP_1) | instskip(NEXT) | instid1(VALU_DEP_1)
	v_add3_u32 v91, v91, v45 /*v301*/, v46 /*v302*/
	v_add3_u32 v91, v91, v51 /*v307*/, v49 /*v305*/
	s_delay_alu instid0(VALU_DEP_1) | instskip(NEXT) | instid1(VALU_DEP_1)
	;; [unrolled: 3-line block ×4, first 2 shown]
	v_add3_u32 v91, v91, v56 /*v312*/, v58 /*v314*/
	v_add3_u32 v91, v91, v63 /*v319*/, v60 /*v316*/
	s_delay_alu instid0(VALU_DEP_1) | instskip(SKIP_1) | instid1(VALU_DEP_1)
	v_add3_u32 v91, v91, v61 /*v317*/, v62 /*v318*/
	s_set_vgpr_msb 0                        ;  msbs: dst=0 src0=0 src1=0 src2=0
	v_add3_u32 v87, v91, v87, v88
	v_pk_mul_f16 v88, v140, v85
	s_set_vgpr_msb 1                        ;  msbs: dst=0 src0=1 src1=0 src2=0
	v_mul_i32_i24_e32 v91, v8 /*v264*/, v204
	s_set_vgpr_msb 0x41                     ;  msbs: dst=1 src0=1 src1=0 src2=0
	v_mul_i32_i24_e32 v8 /*v264*/, v21 /*v277*/, v206
	v_mul_i32_i24_e32 v21 /*v277*/, v27 /*v283*/, v212
	s_set_vgpr_msb 0                        ;  msbs: dst=0 src0=0 src1=0 src2=0
	v_add3_u32 v87, v87, v89, v90
	s_set_vgpr_msb 1                        ;  msbs: dst=0 src0=1 src1=0 src2=0
	v_mul_i32_i24_e32 v89, v18 /*v274*/, v203
	v_mul_i32_i24_e32 v90, v19 /*v275*/, v200
	s_set_vgpr_msb 0x41                     ;  msbs: dst=1 src0=1 src1=0 src2=0
	v_mul_i32_i24_e32 v18 /*v274*/, v24 /*v280*/, v210
	v_mul_i32_i24_e32 v19 /*v275*/, v25 /*v281*/, v201
	s_set_vgpr_msb 0                        ;  msbs: dst=0 src0=0 src1=0 src2=0
	v_cvt_f32_i32_e32 v87, v87
	s_set_vgpr_msb 1                        ;  msbs: dst=0 src0=1 src1=0 src2=0
	v_mad_i32_i24 v89, v17 /*v273*/, v199, v89
	s_set_vgpr_msb 0x41                     ;  msbs: dst=1 src0=1 src1=0 src2=0
	v_mul_i32_i24_e32 v24 /*v280*/, v30 /*v286*/, v217
	v_mul_i32_i24_e32 v25 /*v281*/, v31 /*v287*/, v219
	;; [unrolled: 1-line block ×3, first 2 shown]
	s_set_vgpr_msb 0                        ;  msbs: dst=0 src0=0 src1=0 src2=0
	v_fma_mix_f32 v87, v88, v87, v88 op_sel:[0,0,1] op_sel_hi:[1,0,1]
	v_add3_u32 v89, v89, v90, v91
	s_set_vgpr_msb 4                        ;  msbs: dst=0 src0=0 src1=1 src2=0
	v_mul_i32_i24_e32 v88, v244, v14 /*v270*/
	s_set_vgpr_msb 0x41                     ;  msbs: dst=1 src0=1 src1=0 src2=0
	v_mul_i32_i24_e32 v14 /*v270*/, v22 /*v278*/, v207
	v_mul_i32_i24_e32 v22 /*v278*/, v28 /*v284*/, v215
	s_set_vgpr_msb 0                        ;  msbs: dst=0 src0=0 src1=0 src2=0
	v_pk_add_f32 v[62:63], v[62:63], v[86:87]
	s_set_vgpr_msb 4                        ;  msbs: dst=0 src0=0 src1=1 src2=0
	v_mul_i32_i24_e32 v86, v243, v7 /*v263*/
	s_set_vgpr_msb 0x41                     ;  msbs: dst=1 src0=1 src1=0 src2=0
	v_mul_i32_i24_e32 v7 /*v263*/, v20 /*v276*/, v205
	s_set_vgpr_msb 20                       ;  msbs: dst=0 src0=0 src1=1 src2=1
	v_add3_u32 v89, v89, v10 /*v266*/, v8 /*v264*/
	v_mul_i32_i24_e32 v87, v245, v16 /*v272*/
	s_set_vgpr_msb 0x41                     ;  msbs: dst=1 src0=1 src1=0 src2=0
	v_mul_i32_i24_e32 v16 /*v272*/, v23 /*v279*/, v209
	v_mul_i32_i24_e32 v20 /*v276*/, v26 /*v282*/, v213
	v_mul_i32_i24_e32 v23 /*v279*/, v29 /*v285*/, v216
	s_set_vgpr_msb 20                       ;  msbs: dst=0 src0=0 src1=1 src2=1
	v_add3_u32 v89, v89, v7 /*v263*/, v14 /*v270*/
	s_set_vgpr_msb 0x41                     ;  msbs: dst=1 src0=1 src1=0 src2=0
	v_mul_i32_i24_e32 v26 /*v282*/, v32 /*v288*/, v221
	v_mul_i32_i24_e32 v28 /*v284*/, v34 /*v290*/, v222
	;; [unrolled: 1-line block ×4, first 2 shown]
	s_set_vgpr_msb 20                       ;  msbs: dst=0 src0=0 src1=1 src2=1
	v_add3_u32 v89, v89, v12 /*v268*/, v16 /*v272*/
	s_set_vgpr_msb 0x41                     ;  msbs: dst=1 src0=1 src1=0 src2=0
	v_mul_i32_i24_e32 v31 /*v287*/, v37 /*v293*/, v242
	s_set_vgpr_msb 0                        ;  msbs: dst=0 src0=0 src1=0 src2=0
	v_pk_mul_f16 v85, v198, v85
	s_set_vgpr_msb 20                       ;  msbs: dst=0 src0=0 src1=1 src2=1
	v_add3_u32 v89, v89, v18 /*v274*/, v19 /*v275*/
	s_delay_alu instid0(VALU_DEP_1) | instskip(NEXT) | instid1(VALU_DEP_1)
	v_add3_u32 v89, v89, v11 /*v267*/, v21 /*v277*/
	v_add3_u32 v89, v89, v20 /*v276*/, v22 /*v278*/
	s_delay_alu instid0(VALU_DEP_1) | instskip(NEXT) | instid1(VALU_DEP_1)
	v_add3_u32 v89, v89, v13 /*v269*/, v23 /*v279*/
	;; [unrolled: 3-line block ×4, first 2 shown]
	v_add3_u32 v89, v89, v30 /*v286*/, v31 /*v287*/
	s_set_vgpr_msb 0                        ;  msbs: dst=0 src0=0 src1=0 src2=0
	s_delay_alu instid0(VALU_DEP_1) | instskip(NEXT) | instid1(VALU_DEP_1)
	v_add3_u32 v82, v89, v82, v86
	v_add3_u32 v82, v82, v87, v88
	s_delay_alu instid0(VALU_DEP_1) | instskip(NEXT) | instid1(VALU_DEP_1)
	v_cvt_f32_i32_e32 v82, v82
	v_fma_mix_f32 v85, v85, v82, v85 op_sel:[0,0,1] op_sel_hi:[1,0,1]
	v_add_nc_u32_e32 v82, 0x1800, v99
	s_delay_alu instid0(VALU_DEP_2)
	v_pk_add_f32 v[64:65], v[64:65], v[84:85]
	ds_load_2addr_b32 v[86:87], v82 offset0:4 offset1:7
	v_add_nc_u32_e32 v84, 0x1804, v99
	ds_load_2addr_b32 v[88:89], v84 offset1:1
	v_add_nc_u32_e32 v84, 0x1814, v99
	ds_load_2addr_b32 v[90:91], v84 offset1:1
	s_set_vgpr_msb 64                       ;  msbs: dst=1 src0=0 src1=0 src2=0
	ds_load_2addr_b32 v[8:9] /*v[264:265]*/, v82 offset1:3
	s_set_vgpr_msb 0                        ;  msbs: dst=0 src0=0 src1=0 src2=0
	ds_load_2addr_b32 v[84:85], v98 offset0:192 offset1:224
	v_add_nc_u32_e32 v98, 4, v98
	s_wait_dscnt 0x4
	s_set_vgpr_msb 64                       ;  msbs: dst=1 src0=0 src1=0 src2=0
	v_bfe_i32 v13 /*v269*/, v86, 8, 8
	v_bfe_i32 v12 /*v268*/, v86, 0, 8
	;; [unrolled: 1-line block ×3, first 2 shown]
	v_ashrrev_i32_e32 v15 /*v271*/, 24, v86
	v_bfe_i32 v32 /*v288*/, v87, 0, 8
	s_set_vgpr_msb 0x44                     ;  msbs: dst=1 src0=0 src1=1 src2=0
	v_mul_i32_i24_e32 v36 /*v292*/, v247, v13 /*v269*/
	s_wait_dscnt 0x3
	v_bfe_i32 v17 /*v273*/, v88, 8, 8
	s_set_vgpr_msb 64                       ;  msbs: dst=1 src0=0 src1=0 src2=0
	v_ashrrev_i32_e32 v19 /*v275*/, 24, v88
	s_set_vgpr_msb 0x54                     ;  msbs: dst=1 src0=0 src1=1 src2=1
	v_mul_i32_i24_e32 v37 /*v293*/, v248, v14 /*v270*/
	v_mul_i32_i24_e32 v38 /*v294*/, v106, v15 /*v271*/
	v_mad_i32_i24 v36 /*v292*/, v246, v12 /*v268*/, v36 /*v292*/
	v_bfe_i32 v16 /*v272*/, v88, 0, 8
	v_bfe_i32 v18 /*v274*/, v88, 16, 8
	s_set_vgpr_msb 0x41                     ;  msbs: dst=1 src0=1 src1=0 src2=0
	v_mul_i32_i24_e32 v40 /*v296*/, v17 /*v273*/, v249
	v_mul_i32_i24_e32 v42 /*v298*/, v19 /*v275*/, v111
	s_set_vgpr_msb 0x55                     ;  msbs: dst=1 src0=1 src1=1 src2=1
	v_add3_u32 v36 /*v292*/, v36 /*v292*/, v37 /*v293*/, v38 /*v294*/
	s_wait_dscnt 0x2
	s_set_vgpr_msb 64                       ;  msbs: dst=1 src0=0 src1=0 src2=0
	v_bfe_i32 v20 /*v276*/, v90, 0, 8
	v_bfe_i32 v21 /*v277*/, v90, 8, 8
	;; [unrolled: 1-line block ×3, first 2 shown]
	s_set_vgpr_msb 0                        ;  msbs: dst=0 src0=0 src1=0 src2=0
	v_ashrrev_i32_e32 v90, 24, v90
	s_set_vgpr_msb 0x41                     ;  msbs: dst=1 src0=1 src1=0 src2=0
	v_mul_i32_i24_e32 v39 /*v295*/, v16 /*v272*/, v251
	v_mul_i32_i24_e32 v41 /*v297*/, v18 /*v274*/, v250
	s_set_vgpr_msb 0x55                     ;  msbs: dst=1 src0=1 src1=1 src2=1
	v_add3_u32 v36 /*v292*/, v36 /*v292*/, v42 /*v298*/, v40 /*v296*/
	s_set_vgpr_msb 64                       ;  msbs: dst=1 src0=0 src1=0 src2=0
	v_bfe_i32 v23 /*v279*/, v89, 0, 8
	v_bfe_i32 v24 /*v280*/, v89, 8, 8
	;; [unrolled: 1-line block ×3, first 2 shown]
	s_set_vgpr_msb 0                        ;  msbs: dst=0 src0=0 src1=0 src2=0
	v_ashrrev_i32_e32 v89, 24, v89
	s_set_vgpr_msb 0x41                     ;  msbs: dst=1 src0=1 src1=0 src2=0
	v_mul_i32_i24_e32 v43 /*v299*/, v20 /*v276*/, v254
	s_set_vgpr_msb 64                       ;  msbs: dst=1 src0=0 src1=0 src2=0
	v_mul_i32_i24_e32 v46 /*v302*/, v90, v107
	s_set_vgpr_msb 0x55                     ;  msbs: dst=1 src0=1 src1=1 src2=1
	v_add3_u32 v36 /*v292*/, v36 /*v292*/, v39 /*v295*/, v41 /*v297*/
	s_set_vgpr_msb 0x41                     ;  msbs: dst=1 src0=1 src1=0 src2=0
	v_mul_i32_i24_e32 v44 /*v300*/, v21 /*v277*/, v252
	v_mul_i32_i24_e32 v45 /*v301*/, v22 /*v278*/, v253
	;; [unrolled: 1-line block ×3, first 2 shown]
	s_set_vgpr_msb 64                       ;  msbs: dst=1 src0=0 src1=0 src2=0
	v_mul_i32_i24_e32 v50 /*v306*/, v89, v112
	s_set_vgpr_msb 0x55                     ;  msbs: dst=1 src0=1 src1=1 src2=1
	v_add3_u32 v36 /*v292*/, v36 /*v292*/, v46 /*v302*/, v43 /*v299*/
	s_set_vgpr_msb 64                       ;  msbs: dst=1 src0=0 src1=0 src2=0
	v_bfe_i32 v26 /*v282*/, v91, 0, 8
	v_bfe_i32 v27 /*v283*/, v91, 8, 8
	;; [unrolled: 1-line block ×3, first 2 shown]
	s_set_vgpr_msb 0                        ;  msbs: dst=0 src0=0 src1=0 src2=0
	v_ashrrev_i32_e32 v91, 24, v91
	s_set_vgpr_msb 0x55                     ;  msbs: dst=1 src0=1 src1=1 src2=1
	v_add3_u32 v36 /*v292*/, v36 /*v292*/, v44 /*v300*/, v45 /*v301*/
	v_mul_i32_i24_e32 v47 /*v303*/, v23 /*v279*/, v1 /*v257*/
	v_mul_i32_i24_e32 v49 /*v305*/, v25 /*v281*/, v0 /*v256*/
	s_set_vgpr_msb 0x41                     ;  msbs: dst=1 src0=1 src1=0 src2=0
	v_mul_i32_i24_e32 v51 /*v307*/, v26 /*v282*/, v80
	s_set_vgpr_msb 64                       ;  msbs: dst=1 src0=0 src1=0 src2=0
	v_mul_i32_i24_e32 v54 /*v310*/, v91, v108
	s_set_vgpr_msb 0x55                     ;  msbs: dst=1 src0=1 src1=1 src2=1
	v_add3_u32 v36 /*v292*/, v36 /*v292*/, v50 /*v306*/, v48 /*v304*/
	s_wait_dscnt 0x1
	v_bfe_i32 v7 /*v263*/, v8 /*v264*/, 0, 8
	v_bfe_i32 v10 /*v266*/, v8 /*v264*/, 8, 8
	;; [unrolled: 1-line block ×3, first 2 shown]
	v_ashrrev_i32_e32 v8 /*v264*/, 24, v8 /*v264*/
	v_add3_u32 v36 /*v292*/, v36 /*v292*/, v47 /*v303*/, v49 /*v305*/
	v_bfe_i32 v29 /*v285*/, v9 /*v265*/, 0, 8
	v_bfe_i32 v30 /*v286*/, v9 /*v265*/, 8, 8
	;; [unrolled: 1-line block ×3, first 2 shown]
	v_ashrrev_i32_e32 v9 /*v265*/, 24, v9 /*v265*/
	v_mul_i32_i24_e32 v52 /*v308*/, v27 /*v283*/, v2 /*v258*/
	v_mul_i32_i24_e32 v53 /*v309*/, v28 /*v284*/, v3 /*v259*/
	v_add3_u32 v36 /*v292*/, v36 /*v292*/, v54 /*v310*/, v51 /*v307*/
	v_mul_i32_i24_e32 v56 /*v312*/, v30 /*v286*/, v4 /*v260*/
	s_set_vgpr_msb 0x41                     ;  msbs: dst=1 src0=1 src1=0 src2=0
	v_mul_i32_i24_e32 v58 /*v314*/, v9 /*v265*/, v109
	s_set_vgpr_msb 64                       ;  msbs: dst=1 src0=0 src1=0 src2=0
	v_bfe_i32 v33 /*v289*/, v87, 8, 8
	v_bfe_i32 v34 /*v290*/, v87, 16, 8
	s_set_vgpr_msb 0x55                     ;  msbs: dst=1 src0=1 src1=1 src2=1
	v_add3_u32 v36 /*v292*/, v36 /*v292*/, v52 /*v308*/, v53 /*v309*/
	s_set_vgpr_msb 0                        ;  msbs: dst=0 src0=0 src1=0 src2=0
	v_ashrrev_i32_e32 v87, 24, v87
	s_set_vgpr_msb 0x45                     ;  msbs: dst=1 src0=1 src1=1 src2=0
	v_mul_i32_i24_e32 v55 /*v311*/, v29 /*v285*/, v6 /*v262*/
	v_mul_i32_i24_e32 v57 /*v313*/, v31 /*v287*/, v5 /*v261*/
	s_set_vgpr_msb 0x41                     ;  msbs: dst=1 src0=1 src1=0 src2=0
	v_mul_i32_i24_e32 v59 /*v315*/, v32 /*v288*/, v110
	s_set_vgpr_msb 0x55                     ;  msbs: dst=1 src0=1 src1=1 src2=1
	v_add3_u32 v36 /*v292*/, v36 /*v292*/, v58 /*v314*/, v56 /*v312*/
	s_set_vgpr_msb 64                       ;  msbs: dst=1 src0=0 src1=0 src2=0
	v_mul_i32_i24_e32 v62 /*v318*/, v87, v226
	s_set_vgpr_msb 0x41                     ;  msbs: dst=1 src0=1 src1=0 src2=0
	v_mul_i32_i24_e32 v60 /*v316*/, v33 /*v289*/, v225
	v_mul_i32_i24_e32 v61 /*v317*/, v34 /*v290*/, v227
	s_set_vgpr_msb 1                        ;  msbs: dst=0 src0=1 src1=0 src2=0
	v_mul_i32_i24_e32 v82, v7 /*v263*/, v113
	s_set_vgpr_msb 0x55                     ;  msbs: dst=1 src0=1 src1=1 src2=1
	v_add3_u32 v36 /*v292*/, v36 /*v292*/, v55 /*v311*/, v57 /*v313*/
	s_set_vgpr_msb 4                        ;  msbs: dst=0 src0=0 src1=1 src2=0
	v_mul_i32_i24_e32 v86, v230, v10 /*v266*/
	v_mul_i32_i24_e32 v88, v232, v11 /*v267*/
	s_set_vgpr_msb 0x44                     ;  msbs: dst=1 src0=0 src1=1 src2=0
	v_mul_i32_i24_e32 v35 /*v291*/, v231, v8 /*v264*/
	s_set_vgpr_msb 0x41                     ;  msbs: dst=1 src0=1 src1=0 src2=0
	v_mul_i32_i24_e32 v37 /*v293*/, v15 /*v271*/, v120
	s_set_vgpr_msb 0x55                     ;  msbs: dst=1 src0=1 src1=1 src2=1
	v_add3_u32 v36 /*v292*/, v36 /*v292*/, v62 /*v318*/, v59 /*v315*/
	s_set_vgpr_msb 0x41                     ;  msbs: dst=1 src0=1 src1=0 src2=0
	v_mul_i32_i24_e32 v39 /*v295*/, v17 /*v273*/, v122
	v_mul_i32_i24_e32 v41 /*v297*/, v19 /*v275*/, v124
	;; [unrolled: 1-line block ×4, first 2 shown]
	s_set_vgpr_msb 0x55                     ;  msbs: dst=1 src0=1 src1=1 src2=1
	v_add3_u32 v36 /*v292*/, v36 /*v292*/, v60 /*v316*/, v61 /*v317*/
	s_set_vgpr_msb 0x41                     ;  msbs: dst=1 src0=1 src1=0 src2=0
	v_mul_i32_i24_e32 v42 /*v298*/, v20 /*v276*/, v125
	s_set_vgpr_msb 64                       ;  msbs: dst=1 src0=0 src1=0 src2=0
	v_mul_i32_i24_e32 v45 /*v301*/, v90, v127
	s_set_vgpr_msb 0x41                     ;  msbs: dst=1 src0=1 src1=0 src2=0
	v_mul_i32_i24_e32 v43 /*v299*/, v21 /*v277*/, v126
	v_mul_i32_i24_e32 v44 /*v300*/, v22 /*v278*/, v117
	s_set_vgpr_msb 1                        ;  msbs: dst=0 src0=1 src1=0 src2=0
	v_add3_u32 v82, v36 /*v292*/, v82, v86
	s_set_vgpr_msb 0x41                     ;  msbs: dst=1 src0=1 src1=0 src2=0
	v_mul_i32_i24_e32 v36 /*v292*/, v14 /*v270*/, v116
	v_mul_i32_i24_e32 v47 /*v303*/, v24 /*v280*/, v128
	s_set_vgpr_msb 64                       ;  msbs: dst=1 src0=0 src1=0 src2=0
	v_mul_i32_i24_e32 v49 /*v305*/, v89, v130
	s_set_vgpr_msb 0x41                     ;  msbs: dst=1 src0=1 src1=0 src2=0
	v_mul_i32_i24_e32 v46 /*v302*/, v23 /*v279*/, v129
	s_set_vgpr_msb 16                       ;  msbs: dst=0 src0=0 src1=0 src2=1
	v_add3_u32 v82, v82, v88, v35 /*v291*/
	s_set_vgpr_msb 0x41                     ;  msbs: dst=1 src0=1 src1=0 src2=0
	v_mul_i32_i24_e32 v35 /*v291*/, v13 /*v269*/, v119
	v_mul_i32_i24_e32 v48 /*v304*/, v25 /*v281*/, v131
	;; [unrolled: 1-line block ×3, first 2 shown]
	s_set_vgpr_msb 64                       ;  msbs: dst=1 src0=0 src1=0 src2=0
	v_mul_i32_i24_e32 v53 /*v309*/, v91, v134
	s_set_vgpr_msb 0x51                     ;  msbs: dst=1 src0=1 src1=0 src2=1
	v_mul_i32_i24_e32 v51 /*v307*/, v27 /*v283*/, v133
	v_mad_i32_i24 v35 /*v291*/, v12 /*v268*/, v115, v35 /*v291*/
	v_mul_i32_i24_e32 v52 /*v308*/, v28 /*v284*/, v92
	v_mul_i32_i24_e32 v55 /*v311*/, v30 /*v286*/, v135
	;; [unrolled: 1-line block ×4, first 2 shown]
	s_set_vgpr_msb 0x55                     ;  msbs: dst=1 src0=1 src1=1 src2=1
	v_add3_u32 v35 /*v291*/, v35 /*v291*/, v36 /*v292*/, v37 /*v293*/
	s_set_vgpr_msb 0x41                     ;  msbs: dst=1 src0=1 src1=0 src2=0
	v_mul_i32_i24_e32 v36 /*v292*/, v13 /*v269*/, v145
	v_mul_i32_i24_e32 v37 /*v293*/, v14 /*v270*/, v142
	;; [unrolled: 1-line block ×3, first 2 shown]
	s_wait_dscnt 0x0
	s_set_vgpr_msb 0                        ;  msbs: dst=0 src0=0 src1=0 src2=0
	v_pk_mul_f16 v86, v105, v84
	s_set_vgpr_msb 0x55                     ;  msbs: dst=1 src0=1 src1=1 src2=1
	v_add3_u32 v35 /*v291*/, v35 /*v291*/, v41 /*v297*/, v39 /*v295*/
	s_set_vgpr_msb 0x51                     ;  msbs: dst=1 src0=1 src1=0 src2=1
	v_mad_i32_i24 v36 /*v292*/, v12 /*v268*/, v141, v36 /*v292*/
	v_mul_i32_i24_e32 v39 /*v295*/, v16 /*v272*/, v147
	v_mul_i32_i24_e32 v41 /*v297*/, v18 /*v274*/, v149
	s_set_vgpr_msb 0                        ;  msbs: dst=0 src0=0 src1=0 src2=0
	v_cvt_f32_i32_e32 v82, v82
	s_set_vgpr_msb 0x55                     ;  msbs: dst=1 src0=1 src1=1 src2=1
	v_add3_u32 v35 /*v291*/, v35 /*v291*/, v38 /*v294*/, v40 /*v296*/
	s_set_vgpr_msb 0x41                     ;  msbs: dst=1 src0=1 src1=0 src2=0
	v_mul_i32_i24_e32 v38 /*v294*/, v15 /*v271*/, v146
	v_mul_i32_i24_e32 v40 /*v296*/, v17 /*v273*/, v148
	;; [unrolled: 1-line block ×3, first 2 shown]
	s_set_vgpr_msb 64                       ;  msbs: dst=1 src0=0 src1=0 src2=0
	v_mul_i32_i24_e32 v61 /*v317*/, v87, v229
	s_set_vgpr_msb 0x55                     ;  msbs: dst=1 src0=1 src1=1 src2=1
	v_add3_u32 v35 /*v291*/, v35 /*v291*/, v45 /*v301*/, v42 /*v298*/
	s_set_vgpr_msb 0x41                     ;  msbs: dst=1 src0=1 src1=0 src2=0
	v_mul_i32_i24_e32 v42 /*v298*/, v19 /*v275*/, v150
	s_set_vgpr_msb 0x55                     ;  msbs: dst=1 src0=1 src1=1 src2=1
	v_add3_u32 v36 /*v292*/, v36 /*v292*/, v37 /*v293*/, v38 /*v294*/
	s_set_vgpr_msb 0x41                     ;  msbs: dst=1 src0=1 src1=0 src2=0
	v_mul_i32_i24_e32 v45 /*v301*/, v22 /*v278*/, v143
	s_set_vgpr_msb 0                        ;  msbs: dst=0 src0=0 src1=0 src2=0
	v_fma_mix_f32 v82, v86, v82, v86 op_sel:[0,0,1] op_sel_hi:[1,0,1]
	s_set_vgpr_msb 0x55                     ;  msbs: dst=1 src0=1 src1=1 src2=1
	v_add3_u32 v35 /*v291*/, v35 /*v291*/, v43 /*v299*/, v44 /*v300*/
	s_set_vgpr_msb 0x41                     ;  msbs: dst=1 src0=1 src1=0 src2=0
	v_mul_i32_i24_e32 v43 /*v299*/, v20 /*v276*/, v151
	s_set_vgpr_msb 0x55                     ;  msbs: dst=1 src0=1 src1=1 src2=1
	v_add3_u32 v36 /*v292*/, v36 /*v292*/, v42 /*v298*/, v40 /*v296*/
	s_set_vgpr_msb 0x41                     ;  msbs: dst=1 src0=1 src1=0 src2=0
	v_mul_i32_i24_e32 v44 /*v300*/, v21 /*v277*/, v152
	v_mul_i32_i24_e32 v59 /*v315*/, v33 /*v289*/, v228
	s_set_vgpr_msb 0x55                     ;  msbs: dst=1 src0=1 src1=1 src2=1
	v_add3_u32 v35 /*v291*/, v35 /*v291*/, v49 /*v305*/, v47 /*v303*/
	s_set_vgpr_msb 0x41                     ;  msbs: dst=1 src0=1 src1=0 src2=0
	v_mul_i32_i24_e32 v47 /*v303*/, v23 /*v279*/, v187
	s_set_vgpr_msb 0x55                     ;  msbs: dst=1 src0=1 src1=1 src2=1
	v_add3_u32 v36 /*v292*/, v36 /*v292*/, v39 /*v295*/, v41 /*v297*/
	s_set_vgpr_msb 0x41                     ;  msbs: dst=1 src0=1 src1=0 src2=0
	v_mul_i32_i24_e32 v49 /*v305*/, v25 /*v281*/, v189
	v_mul_i32_i24_e32 v60 /*v316*/, v34 /*v290*/, v93
	s_set_vgpr_msb 0x55                     ;  msbs: dst=1 src0=1 src1=1 src2=1
	v_add3_u32 v35 /*v291*/, v35 /*v291*/, v46 /*v302*/, v48 /*v304*/
	s_set_vgpr_msb 64                       ;  msbs: dst=1 src0=0 src1=0 src2=0
	v_mul_i32_i24_e32 v46 /*v302*/, v90, v95
	s_set_vgpr_msb 0x41                     ;  msbs: dst=1 src0=1 src1=0 src2=0
	v_mul_i32_i24_e32 v48 /*v304*/, v24 /*v280*/, v153
	s_set_vgpr_msb 0                        ;  msbs: dst=0 src0=0 src1=0 src2=0
	v_pk_add_f32 v[46:47], v[46:47], v[82:83]
	s_set_vgpr_msb 1                        ;  msbs: dst=0 src0=1 src1=0 src2=0
	v_mul_i32_i24_e32 v82, v7 /*v263*/, v118
	s_set_vgpr_msb 0x55                     ;  msbs: dst=1 src0=1 src1=1 src2=1
	v_add3_u32 v35 /*v291*/, v35 /*v291*/, v53 /*v309*/, v50 /*v306*/
	v_add3_u32 v36 /*v292*/, v36 /*v292*/, v46 /*v302*/, v43 /*v299*/
	s_set_vgpr_msb 64                       ;  msbs: dst=1 src0=0 src1=0 src2=0
	v_mul_i32_i24_e32 v50 /*v306*/, v89, v188
	s_set_vgpr_msb 0x41                     ;  msbs: dst=1 src0=1 src1=0 src2=0
	v_mul_i32_i24_e32 v53 /*v309*/, v28 /*v284*/, v96
	s_set_vgpr_msb 4                        ;  msbs: dst=0 src0=0 src1=1 src2=0
	v_mul_i32_i24_e32 v83, v233, v10 /*v266*/
	s_set_vgpr_msb 0x55                     ;  msbs: dst=1 src0=1 src1=1 src2=1
	v_add3_u32 v35 /*v291*/, v35 /*v291*/, v51 /*v307*/, v52 /*v308*/
	v_add3_u32 v36 /*v292*/, v36 /*v292*/, v44 /*v300*/, v45 /*v301*/
	s_set_vgpr_msb 0x41                     ;  msbs: dst=1 src0=1 src1=0 src2=0
	v_mul_i32_i24_e32 v51 /*v307*/, v26 /*v282*/, v190
	v_mul_i32_i24_e32 v52 /*v308*/, v27 /*v283*/, v191
	s_set_vgpr_msb 4                        ;  msbs: dst=0 src0=0 src1=1 src2=0
	v_mul_i32_i24_e32 v86, v235, v11 /*v267*/
	s_set_vgpr_msb 0x55                     ;  msbs: dst=1 src0=1 src1=1 src2=1
	v_add3_u32 v35 /*v291*/, v35 /*v291*/, v57 /*v313*/, v55 /*v311*/
	v_add3_u32 v36 /*v292*/, v36 /*v292*/, v50 /*v306*/, v48 /*v304*/
	s_set_vgpr_msb 4                        ;  msbs: dst=0 src0=0 src1=1 src2=0
	v_mul_i32_i24_e32 v88, v234, v8 /*v264*/
	s_set_vgpr_msb 0x41                     ;  msbs: dst=1 src0=1 src1=0 src2=0
	v_mul_i32_i24_e32 v55 /*v311*/, v29 /*v285*/, v194
	v_mul_i32_i24_e32 v57 /*v313*/, v31 /*v287*/, v195
	s_set_vgpr_msb 0x55                     ;  msbs: dst=1 src0=1 src1=1 src2=1
	v_add3_u32 v35 /*v291*/, v35 /*v291*/, v54 /*v310*/, v56 /*v312*/
	s_set_vgpr_msb 64                       ;  msbs: dst=1 src0=0 src1=0 src2=0
	v_mul_i32_i24_e32 v54 /*v310*/, v91, v192
	s_set_vgpr_msb 0x55                     ;  msbs: dst=1 src0=1 src1=1 src2=1
	v_add3_u32 v36 /*v292*/, v36 /*v292*/, v47 /*v303*/, v49 /*v305*/
	s_set_vgpr_msb 0x41                     ;  msbs: dst=1 src0=1 src1=0 src2=0
	v_mul_i32_i24_e32 v56 /*v312*/, v30 /*v286*/, v193
	s_set_vgpr_msb 64                       ;  msbs: dst=1 src0=0 src1=0 src2=0
	v_mul_i32_i24_e32 v62 /*v318*/, v87, v237
	s_set_vgpr_msb 0x55                     ;  msbs: dst=1 src0=1 src1=1 src2=1
	v_add3_u32 v35 /*v291*/, v35 /*v291*/, v61 /*v317*/, v58 /*v314*/
	s_set_vgpr_msb 0x41                     ;  msbs: dst=1 src0=1 src1=0 src2=0
	v_mul_i32_i24_e32 v58 /*v314*/, v9 /*v265*/, v196
	s_set_vgpr_msb 0x55                     ;  msbs: dst=1 src0=1 src1=1 src2=1
	v_add3_u32 v36 /*v292*/, v36 /*v292*/, v54 /*v310*/, v51 /*v307*/
	s_set_vgpr_msb 0x41                     ;  msbs: dst=1 src0=1 src1=0 src2=0
	v_mul_i32_i24_e32 v61 /*v317*/, v34 /*v290*/, v97
	s_set_vgpr_msb 0                        ;  msbs: dst=0 src0=0 src1=0 src2=0
	v_mul_i32_i24_e32 v90, v90, v211
	s_set_vgpr_msb 0x55                     ;  msbs: dst=1 src0=1 src1=1 src2=1
	v_add3_u32 v35 /*v291*/, v35 /*v291*/, v59 /*v315*/, v60 /*v316*/
	s_set_vgpr_msb 0x41                     ;  msbs: dst=1 src0=1 src1=0 src2=0
	v_mul_i32_i24_e32 v59 /*v315*/, v32 /*v288*/, v197
	s_set_vgpr_msb 0x55                     ;  msbs: dst=1 src0=1 src1=1 src2=1
	v_add3_u32 v36 /*v292*/, v36 /*v292*/, v52 /*v308*/, v53 /*v309*/
	s_set_vgpr_msb 0x41                     ;  msbs: dst=1 src0=1 src1=0 src2=0
	v_mul_i32_i24_e32 v60 /*v316*/, v33 /*v289*/, v236
	s_set_vgpr_msb 0                        ;  msbs: dst=0 src0=0 src1=0 src2=0
	v_mul_i32_i24_e32 v89, v89, v214
	s_set_vgpr_msb 1                        ;  msbs: dst=0 src0=1 src1=0 src2=0
	v_add3_u32 v82, v35 /*v291*/, v82, v83
	s_set_vgpr_msb 0                        ;  msbs: dst=0 src0=0 src1=0 src2=0
	v_pk_mul_f16 v83, v114, v84
	s_set_vgpr_msb 0x55                     ;  msbs: dst=1 src0=1 src1=1 src2=1
	v_add3_u32 v36 /*v292*/, v36 /*v292*/, v58 /*v314*/, v56 /*v312*/
	s_set_vgpr_msb 0x44                     ;  msbs: dst=1 src0=0 src1=1 src2=0
	v_mul_i32_i24_e32 v35 /*v291*/, v239, v8 /*v264*/
	s_set_vgpr_msb 0                        ;  msbs: dst=0 src0=0 src1=0 src2=0
	v_mul_i32_i24_e32 v91, v91, v218
	v_add3_u32 v82, v82, v86, v88
	s_set_vgpr_msb 4                        ;  msbs: dst=0 src0=0 src1=1 src2=0
	v_mul_i32_i24_e32 v86, v94, v11 /*v267*/
	s_set_vgpr_msb 0x55                     ;  msbs: dst=1 src0=1 src1=1 src2=1
	v_add3_u32 v36 /*v292*/, v36 /*v292*/, v55 /*v311*/, v57 /*v313*/
	s_set_vgpr_msb 0x41                     ;  msbs: dst=1 src0=1 src1=0 src2=0
	v_mul_i32_i24_e32 v9 /*v265*/, v9 /*v265*/, v223
	s_set_vgpr_msb 0                        ;  msbs: dst=0 src0=0 src1=0 src2=0
	v_mul_i32_i24_e32 v87, v87, v241
	v_cvt_f32_i32_e32 v82, v82
	s_set_vgpr_msb 0x44                     ;  msbs: dst=1 src0=0 src1=1 src2=0
	v_mul_i32_i24_e32 v8 /*v264*/, v244, v8 /*v264*/
	s_set_vgpr_msb 0x55                     ;  msbs: dst=1 src0=1 src1=1 src2=1
	v_add3_u32 v36 /*v292*/, v36 /*v292*/, v62 /*v318*/, v59 /*v315*/
	s_set_vgpr_msb 0                        ;  msbs: dst=0 src0=0 src1=0 src2=0
	v_fma_mix_f32 v88, v83, v82, v83 op_sel:[0,0,1] op_sel_hi:[1,0,1]
	s_set_vgpr_msb 1                        ;  msbs: dst=0 src0=1 src1=0 src2=0
	v_mul_i32_i24_e32 v82, v7 /*v263*/, v144
	s_set_vgpr_msb 4                        ;  msbs: dst=0 src0=0 src1=1 src2=0
	v_mul_i32_i24_e32 v83, v238, v10 /*v266*/
	s_set_vgpr_msb 0x55                     ;  msbs: dst=1 src0=1 src1=1 src2=1
	v_add3_u32 v36 /*v292*/, v36 /*v292*/, v60 /*v316*/, v61 /*v317*/
	s_set_vgpr_msb 1                        ;  msbs: dst=0 src0=1 src1=0 src2=0
	s_delay_alu instid0(VALU_DEP_1) | instskip(SKIP_2) | instid1(VALU_DEP_2)
	v_add3_u32 v82, v36 /*v292*/, v82, v83
	s_set_vgpr_msb 16                       ;  msbs: dst=0 src0=0 src1=0 src2=1
	v_pk_mul_f16 v83, v140, v84
	v_add3_u32 v82, v82, v86, v35 /*v291*/
	s_delay_alu instid0(VALU_DEP_1) | instskip(SKIP_1) | instid1(VALU_DEP_1)
	v_cvt_f32_i32_e32 v82, v82
	s_set_vgpr_msb 0                        ;  msbs: dst=0 src0=0 src1=0 src2=0
	v_fma_mix_f32 v86, v83, v82, v83 op_sel:[0,0,1] op_sel_hi:[1,0,1]
	s_set_vgpr_msb 4                        ;  msbs: dst=0 src0=0 src1=1 src2=0
	v_mul_i32_i24_e32 v83, v243, v10 /*v266*/
	s_set_vgpr_msb 0x41                     ;  msbs: dst=1 src0=1 src1=0 src2=0
	v_mul_i32_i24_e32 v10 /*v266*/, v13 /*v269*/, v203
	s_set_vgpr_msb 1                        ;  msbs: dst=0 src0=1 src1=0 src2=0
	v_mul_i32_i24_e32 v82, v7 /*v263*/, v202
	s_set_vgpr_msb 0x44                     ;  msbs: dst=1 src0=0 src1=1 src2=0
	v_mul_i32_i24_e32 v7 /*v263*/, v245, v11 /*v267*/
	s_set_vgpr_msb 0x51                     ;  msbs: dst=1 src0=1 src1=0 src2=1
	v_mul_i32_i24_e32 v11 /*v267*/, v14 /*v270*/, v200
	v_mul_i32_i24_e32 v13 /*v269*/, v15 /*v271*/, v204
	v_mad_i32_i24 v10 /*v266*/, v12 /*v268*/, v199, v10 /*v266*/
	v_mul_i32_i24_e32 v15 /*v271*/, v17 /*v273*/, v206
	v_mul_i32_i24_e32 v17 /*v273*/, v19 /*v275*/, v208
	v_mul_i32_i24_e32 v14 /*v270*/, v16 /*v272*/, v205
	v_mul_i32_i24_e32 v16 /*v272*/, v18 /*v274*/, v207
	s_set_vgpr_msb 0x55                     ;  msbs: dst=1 src0=1 src1=1 src2=1
	v_add3_u32 v10 /*v266*/, v10 /*v266*/, v11 /*v267*/, v13 /*v269*/
	s_set_vgpr_msb 0x41                     ;  msbs: dst=1 src0=1 src1=0 src2=0
	v_mul_i32_i24_e32 v18 /*v274*/, v20 /*v276*/, v209
	v_mul_i32_i24_e32 v19 /*v275*/, v21 /*v277*/, v210
	v_mul_i32_i24_e32 v20 /*v276*/, v22 /*v278*/, v201
	v_mul_i32_i24_e32 v22 /*v278*/, v24 /*v280*/, v212
	s_set_vgpr_msb 0x55                     ;  msbs: dst=1 src0=1 src1=1 src2=1
	v_add3_u32 v10 /*v266*/, v10 /*v266*/, v17 /*v273*/, v15 /*v271*/
	s_set_vgpr_msb 0x41                     ;  msbs: dst=1 src0=1 src1=0 src2=0
	;; [unrolled: 7-line block ×3, first 2 shown]
	v_mul_i32_i24_e32 v26 /*v282*/, v28 /*v284*/, v219
	v_mul_i32_i24_e32 v28 /*v284*/, v30 /*v286*/, v220
	;; [unrolled: 1-line block ×4, first 2 shown]
	s_set_vgpr_msb 17                       ;  msbs: dst=0 src0=1 src1=0 src2=1
	v_add3_u32 v90, v10 /*v266*/, v90, v18 /*v274*/
	s_set_vgpr_msb 0x41                     ;  msbs: dst=1 src0=1 src1=0 src2=0
	v_mul_i32_i24_e32 v30 /*v286*/, v32 /*v288*/, v224
	v_mul_i32_i24_e32 v31 /*v287*/, v33 /*v289*/, v240
	;; [unrolled: 1-line block ×3, first 2 shown]
	s_set_vgpr_msb 20                       ;  msbs: dst=0 src0=0 src1=1 src2=1
	v_add3_u32 v90, v90, v19 /*v275*/, v20 /*v276*/
	s_set_vgpr_msb 16                       ;  msbs: dst=0 src0=0 src1=0 src2=1
	s_delay_alu instid0(VALU_DEP_1) | instskip(SKIP_1) | instid1(VALU_DEP_1)
	v_add3_u32 v89, v90, v89, v22 /*v278*/
	s_set_vgpr_msb 20                       ;  msbs: dst=0 src0=0 src1=1 src2=1
	v_add3_u32 v89, v89, v21 /*v277*/, v23 /*v279*/
	s_set_vgpr_msb 16                       ;  msbs: dst=0 src0=0 src1=0 src2=1
	s_delay_alu instid0(VALU_DEP_1) | instskip(SKIP_1) | instid1(VALU_DEP_1)
	v_add3_u32 v89, v89, v91, v24 /*v280*/
	s_set_vgpr_msb 20                       ;  msbs: dst=0 src0=0 src1=1 src2=1
	v_add3_u32 v89, v89, v25 /*v281*/, v26 /*v282*/
	s_delay_alu instid0(VALU_DEP_1) | instskip(NEXT) | instid1(VALU_DEP_1)
	v_add3_u32 v89, v89, v9 /*v265*/, v28 /*v284*/
	v_add3_u32 v89, v89, v27 /*v283*/, v29 /*v285*/
	s_set_vgpr_msb 16                       ;  msbs: dst=0 src0=0 src1=0 src2=1
	s_delay_alu instid0(VALU_DEP_1) | instskip(SKIP_1) | instid1(VALU_DEP_1)
	v_add3_u32 v87, v89, v87, v30 /*v286*/
	s_set_vgpr_msb 20                       ;  msbs: dst=0 src0=0 src1=1 src2=1
	v_add3_u32 v87, v87, v31 /*v287*/, v32 /*v288*/
	s_set_vgpr_msb 0                        ;  msbs: dst=0 src0=0 src1=0 src2=0
	s_delay_alu instid0(VALU_DEP_1) | instskip(SKIP_3) | instid1(VALU_DEP_3)
	v_add3_u32 v82, v87, v82, v83
	v_pk_mul_f16 v83, v198, v84
	v_add_nc_u32_e32 v84, 0x1c04, v99
	s_set_vgpr_msb 20                       ;  msbs: dst=0 src0=0 src1=1 src2=1
	v_add3_u32 v82, v82, v7 /*v263*/, v8 /*v264*/
	s_set_vgpr_msb 64                       ;  msbs: dst=1 src0=0 src1=0 src2=0
	ds_load_2addr_b32 v[8:9] /*v[264:265]*/, v84 offset1:1
	s_set_vgpr_msb 0                        ;  msbs: dst=0 src0=0 src1=0 src2=0
	v_add_nc_u32_e32 v84, 0x1c14, v99
	v_cvt_f32_i32_e32 v82, v82
	s_delay_alu instid0(VALU_DEP_1)
	v_fma_mix_f32 v82, v83, v82, v83 op_sel:[0,0,1] op_sel_hi:[1,0,1]
	v_add_nc_u32_e32 v83, 0x1c00, v99
	v_add_nc_u32_e32 v99, 32, v99
	ds_load_2addr_b32 v[90:91], v83 offset0:4 offset1:7
	s_set_vgpr_msb 64                       ;  msbs: dst=1 src0=0 src1=0 src2=0
	ds_load_2addr_b32 v[10:11] /*v[266:267]*/, v84 offset1:1
	ds_load_2addr_b32 v[12:13] /*v[268:269]*/, v83 offset1:3
	s_wait_dscnt 0x3
	s_set_vgpr_msb 0x41                     ;  msbs: dst=1 src0=1 src1=0 src2=0
	v_bfe_i32 v17 /*v273*/, v8 /*v264*/, 0, 8
	v_bfe_i32 v18 /*v274*/, v8 /*v264*/, 8, 8
	;; [unrolled: 1-line block ×3, first 2 shown]
	s_set_vgpr_msb 0x44                     ;  msbs: dst=1 src0=0 src1=1 src2=0
	v_ashrrev_i32_e32 v8 /*v264*/, 24, v8 /*v264*/
	s_set_vgpr_msb 0x41                     ;  msbs: dst=1 src0=1 src1=0 src2=0
	v_bfe_i32 v23 /*v279*/, v9 /*v265*/, 0, 8
	v_bfe_i32 v24 /*v280*/, v9 /*v265*/, 8, 8
	;; [unrolled: 1-line block ×3, first 2 shown]
	s_set_vgpr_msb 0x44                     ;  msbs: dst=1 src0=0 src1=1 src2=0
	v_ashrrev_i32_e32 v9 /*v265*/, 24, v9 /*v265*/
	s_set_vgpr_msb 1                        ;  msbs: dst=0 src0=1 src1=0 src2=0
	v_mul_i32_i24_e32 v111, v8 /*v264*/, v111
	s_delay_alu instid0(VALU_DEP_2)
	v_mul_i32_i24_e32 v112, v9 /*v265*/, v112
	s_wait_dscnt 0x2
	s_set_vgpr_msb 64                       ;  msbs: dst=1 src0=0 src1=0 src2=0
	v_bfe_i32 v15 /*v271*/, v90, 8, 8
	s_wait_dscnt 0x0
	s_set_vgpr_msb 1                        ;  msbs: dst=0 src0=1 src1=0 src2=0
	v_bfe_i32 v83, v12 /*v268*/, 0, 8
	v_bfe_i32 v84, v12 /*v268*/, 8, 8
	s_set_vgpr_msb 0x41                     ;  msbs: dst=1 src0=1 src1=0 src2=0
	v_bfe_i32 v7 /*v263*/, v12 /*v268*/, 16, 8
	s_set_vgpr_msb 0x44                     ;  msbs: dst=1 src0=0 src1=1 src2=0
	v_ashrrev_i32_e32 v12 /*v268*/, 24, v12 /*v268*/
	v_bfe_i32 v14 /*v270*/, v90, 0, 8
	v_bfe_i32 v16 /*v272*/, v90, 16, 8
	s_set_vgpr_msb 0                        ;  msbs: dst=0 src0=0 src1=0 src2=0
	v_ashrrev_i32_e32 v90, 24, v90
	s_set_vgpr_msb 0x41                     ;  msbs: dst=1 src0=1 src1=0 src2=0
	v_bfe_i32 v20 /*v276*/, v10 /*v266*/, 0, 8
	v_bfe_i32 v21 /*v277*/, v10 /*v266*/, 8, 8
	;; [unrolled: 1-line block ×3, first 2 shown]
	s_set_vgpr_msb 0x44                     ;  msbs: dst=1 src0=0 src1=1 src2=0
	v_ashrrev_i32_e32 v10 /*v266*/, 24, v10 /*v266*/
	s_set_vgpr_msb 0                        ;  msbs: dst=0 src0=0 src1=0 src2=0
	v_mul_i32_i24_e32 v89, v230, v84
	s_set_vgpr_msb 4                        ;  msbs: dst=0 src0=0 src1=1 src2=0
	v_mul_i32_i24_e32 v230, v231, v12 /*v268*/
	v_mul_i32_i24_e32 v231, v247, v15 /*v271*/
	s_set_vgpr_msb 0                        ;  msbs: dst=0 src0=0 src1=0 src2=0
	v_mul_i32_i24_e32 v87, v83, v113
	s_set_vgpr_msb 4                        ;  msbs: dst=0 src0=0 src1=1 src2=0
	v_mul_i32_i24_e32 v113, v232, v7 /*v263*/
	v_mul_i32_i24_e32 v232, v248, v16 /*v272*/
	s_set_vgpr_msb 0                        ;  msbs: dst=0 src0=0 src1=0 src2=0
	v_mul_i32_i24_e32 v106, v106, v90
	s_set_vgpr_msb 4                        ;  msbs: dst=0 src0=0 src1=1 src2=0
	v_mad_i32_i24 v231, v246, v14 /*v270*/, v231
	s_set_vgpr_msb 1                        ;  msbs: dst=0 src0=1 src1=0 src2=0
	v_mul_i32_i24_e32 v248, v18 /*v274*/, v249
	v_mul_i32_i24_e32 v247, v17 /*v273*/, v251
	;; [unrolled: 1-line block ×4, first 2 shown]
	s_set_vgpr_msb 0                        ;  msbs: dst=0 src0=0 src1=0 src2=0
	v_add3_u32 v106, v231, v232, v106
	s_set_vgpr_msb 1                        ;  msbs: dst=0 src0=1 src1=0 src2=0
	v_mul_i32_i24_e32 v107, v10 /*v266*/, v107
	v_mul_i32_i24_e32 v251, v21 /*v277*/, v252
	;; [unrolled: 1-line block ×4, first 2 shown]
	s_set_vgpr_msb 0                        ;  msbs: dst=0 src0=0 src1=0 src2=0
	v_add3_u32 v106, v106, v111, v248
	s_set_vgpr_msb 0x41                     ;  msbs: dst=1 src0=1 src1=0 src2=0
	v_bfe_i32 v26 /*v282*/, v11 /*v267*/, 0, 8
	v_bfe_i32 v27 /*v283*/, v11 /*v267*/, 8, 8
	;; [unrolled: 1-line block ×3, first 2 shown]
	s_set_vgpr_msb 0x44                     ;  msbs: dst=1 src0=0 src1=1 src2=0
	v_ashrrev_i32_e32 v11 /*v267*/, 24, v11 /*v267*/
	s_set_vgpr_msb 0                        ;  msbs: dst=0 src0=0 src1=0 src2=0
	v_add3_u32 v106, v106, v247, v249
	s_set_vgpr_msb 5                        ;  msbs: dst=0 src0=1 src1=1 src2=0
	v_mul_i32_i24_e32 v253, v23 /*v279*/, v1 /*v257*/
	v_mul_i32_i24_e32 v255, v25 /*v281*/, v0 /*v256*/
	s_set_vgpr_msb 0x41                     ;  msbs: dst=1 src0=1 src1=0 src2=0
	v_bfe_i32 v29 /*v285*/, v13 /*v269*/, 0, 8
	v_bfe_i32 v30 /*v286*/, v13 /*v269*/, 8, 8
	s_set_vgpr_msb 0                        ;  msbs: dst=0 src0=0 src1=0 src2=0
	v_add3_u32 v106, v106, v107, v250
	s_set_vgpr_msb 0x41                     ;  msbs: dst=1 src0=1 src1=0 src2=0
	v_bfe_i32 v31 /*v287*/, v13 /*v269*/, 16, 8
	s_set_vgpr_msb 0x44                     ;  msbs: dst=1 src0=0 src1=1 src2=0
	v_ashrrev_i32_e32 v13 /*v269*/, 24, v13 /*v269*/
	s_set_vgpr_msb 1                        ;  msbs: dst=0 src0=1 src1=0 src2=0
	v_mul_i32_i24_e32 v80, v26 /*v282*/, v80
	v_mul_i32_i24_e32 v108, v11 /*v267*/, v108
	s_set_vgpr_msb 0                        ;  msbs: dst=0 src0=0 src1=0 src2=0
	v_add3_u32 v106, v106, v251, v252
	s_set_vgpr_msb 0x45                     ;  msbs: dst=1 src0=1 src1=1 src2=0
	v_mul_i32_i24_e32 v0 /*v256*/, v27 /*v283*/, v2 /*v258*/
	v_mul_i32_i24_e32 v1 /*v257*/, v28 /*v284*/, v3 /*v259*/
	;; [unrolled: 1-line block ×3, first 2 shown]
	s_set_vgpr_msb 1                        ;  msbs: dst=0 src0=1 src1=0 src2=0
	v_mul_i32_i24_e32 v109, v13 /*v269*/, v109
	s_set_vgpr_msb 0                        ;  msbs: dst=0 src0=0 src1=0 src2=0
	v_add3_u32 v106, v106, v112, v254
	s_set_vgpr_msb 64                       ;  msbs: dst=1 src0=0 src1=0 src2=0
	v_bfe_i32 v32 /*v288*/, v91, 0, 8
	v_bfe_i32 v33 /*v289*/, v91, 8, 8
	v_bfe_i32 v34 /*v290*/, v91, 16, 8
	s_set_vgpr_msb 0                        ;  msbs: dst=0 src0=0 src1=0 src2=0
	v_ashrrev_i32_e32 v91, 24, v91
	v_add3_u32 v106, v106, v253, v255
	s_set_vgpr_msb 0x45                     ;  msbs: dst=1 src0=1 src1=1 src2=0
	v_mul_i32_i24_e32 v2 /*v258*/, v29 /*v285*/, v6 /*v262*/
	v_mul_i32_i24_e32 v4 /*v260*/, v31 /*v287*/, v5 /*v261*/
	s_set_vgpr_msb 1                        ;  msbs: dst=0 src0=1 src1=0 src2=0
	v_mul_i32_i24_e32 v110, v32 /*v288*/, v110
	s_set_vgpr_msb 0                        ;  msbs: dst=0 src0=0 src1=0 src2=0
	v_mul_i32_i24_e32 v226, v91, v226
	v_add3_u32 v80, v106, v108, v80
	s_set_vgpr_msb 1                        ;  msbs: dst=0 src0=1 src1=0 src2=0
	v_mul_i32_i24_e32 v225, v33 /*v289*/, v225
	v_mul_i32_i24_e32 v227, v34 /*v290*/, v227
	;; [unrolled: 1-line block ×3, first 2 shown]
	s_set_vgpr_msb 0                        ;  msbs: dst=0 src0=0 src1=0 src2=0
	v_mul_i32_i24_e32 v107, v90, v120
	s_set_vgpr_msb 20                       ;  msbs: dst=0 src0=0 src1=1 src2=1
	v_add3_u32 v80, v80, v0 /*v256*/, v1 /*v257*/
	s_set_vgpr_msb 1                        ;  msbs: dst=0 src0=1 src1=0 src2=0
	v_mul_i32_i24_e32 v111, v8 /*v264*/, v124
	v_mul_i32_i24_e32 v108, v17 /*v273*/, v121
	;; [unrolled: 1-line block ×4, first 2 shown]
	s_set_vgpr_msb 16                       ;  msbs: dst=0 src0=0 src1=0 src2=1
	v_add3_u32 v80, v80, v109, v3 /*v259*/
	s_set_vgpr_msb 1                        ;  msbs: dst=0 src0=1 src1=0 src2=0
	v_mul_i32_i24_e32 v109, v18 /*v274*/, v122
	v_mul_i32_i24_e32 v117, v10 /*v266*/, v127
	;; [unrolled: 1-line block ×4, first 2 shown]
	s_set_vgpr_msb 20                       ;  msbs: dst=0 src0=0 src1=1 src2=1
	v_add3_u32 v80, v80, v2 /*v258*/, v4 /*v260*/
	s_set_vgpr_msb 1                        ;  msbs: dst=0 src0=1 src1=0 src2=0
	v_mul_i32_i24_e32 v122, v26 /*v282*/, v132
	v_mul_i32_i24_e32 v124, v11 /*v267*/, v134
	v_mul_i32_i24_e32 v92, v28 /*v284*/, v92
	v_mul_i32_i24_e32 v125, v29 /*v285*/, v136
	s_set_vgpr_msb 0                        ;  msbs: dst=0 src0=0 src1=0 src2=0
	v_add3_u32 v80, v80, v226, v110
	s_set_vgpr_msb 1                        ;  msbs: dst=0 src0=1 src1=0 src2=0
	v_mul_i32_i24_e32 v110, v19 /*v275*/, v123
	v_mul_i32_i24_e32 v123, v27 /*v283*/, v133
	;; [unrolled: 1-line block ×3, first 2 shown]
	s_set_vgpr_msb 0                        ;  msbs: dst=0 src0=0 src1=0 src2=0
	v_mul_i32_i24_e32 v131, v91, v229
	v_add3_u32 v80, v80, v225, v227
	s_set_vgpr_msb 1                        ;  msbs: dst=0 src0=1 src1=0 src2=0
	v_mul_i32_i24_e32 v130, v33 /*v289*/, v228
	v_mul_i32_i24_e32 v93, v34 /*v290*/, v93
	;; [unrolled: 1-line block ×4, first 2 shown]
	s_set_vgpr_msb 0                        ;  msbs: dst=0 src0=0 src1=0 src2=0
	v_add3_u32 v80, v80, v87, v89
	v_pk_mul_f16 v87, v105, v85
	s_set_vgpr_msb 1                        ;  msbs: dst=0 src0=1 src1=0 src2=0
	v_mul_i32_i24_e32 v105, v15 /*v271*/, v119
	v_mul_i32_i24_e32 v119, v24 /*v280*/, v128
	;; [unrolled: 1-line block ×3, first 2 shown]
	s_set_vgpr_msb 0                        ;  msbs: dst=0 src0=0 src1=0 src2=0
	v_add3_u32 v80, v80, v113, v230
	s_set_vgpr_msb 1                        ;  msbs: dst=0 src0=1 src1=0 src2=0
	v_mul_i32_i24_e32 v113, v21 /*v277*/, v126
	v_mad_i32_i24 v105, v14 /*v270*/, v115, v105
	v_mul_i32_i24_e32 v126, v30 /*v286*/, v135
	s_set_vgpr_msb 4                        ;  msbs: dst=0 src0=0 src1=1 src2=0
	v_mul_i32_i24_e32 v89, v234, v12 /*v268*/
	v_cvt_f32_i32_e32 v80, v80
	s_set_vgpr_msb 1                        ;  msbs: dst=0 src0=1 src1=0 src2=0
	v_mul_i32_i24_e32 v115, v26 /*v282*/, v190
	s_set_vgpr_msb 0                        ;  msbs: dst=0 src0=0 src1=0 src2=0
	v_add3_u32 v105, v105, v106, v107
	s_set_vgpr_msb 1                        ;  msbs: dst=0 src0=1 src1=0 src2=0
	v_mul_i32_i24_e32 v107, v8 /*v264*/, v150
	v_mul_i32_i24_e32 v106, v19 /*v275*/, v149
	s_set_vgpr_msb 0                        ;  msbs: dst=0 src0=0 src1=0 src2=0
	v_fma_mix_f32 v80, v87, v80, v87 op_sel:[0,0,1] op_sel_hi:[1,0,1]
	s_set_vgpr_msb 4                        ;  msbs: dst=0 src0=0 src1=1 src2=0
	v_mul_i32_i24_e32 v87, v235, v7 /*v263*/
	s_set_vgpr_msb 0                        ;  msbs: dst=0 src0=0 src1=0 src2=0
	v_add3_u32 v105, v105, v111, v109
	s_set_vgpr_msb 1                        ;  msbs: dst=0 src0=1 src1=0 src2=0
	v_mul_i32_i24_e32 v109, v21 /*v277*/, v152
	v_mul_i32_i24_e32 v111, v23 /*v279*/, v187
	s_set_vgpr_msb 0                        ;  msbs: dst=0 src0=0 src1=0 src2=0
	v_pk_add_f32 v[14:15], v[14:15], v[80:81]
	v_mul_i32_i24_e32 v80, v83, v118
	v_add3_u32 v105, v105, v108, v110
	s_set_vgpr_msb 1                        ;  msbs: dst=0 src0=1 src1=0 src2=0
	v_mul_i32_i24_e32 v118, v23 /*v279*/, v129
	v_mul_i32_i24_e32 v129, v32 /*v288*/, v139
	s_set_vgpr_msb 0                        ;  msbs: dst=0 src0=0 src1=0 src2=0
	v_mul_i32_i24_e32 v81, v233, v84
	s_set_vgpr_msb 1                        ;  msbs: dst=0 src0=1 src1=0 src2=0
	v_mul_i32_i24_e32 v108, v20 /*v276*/, v151
	s_set_vgpr_msb 0                        ;  msbs: dst=0 src0=0 src1=0 src2=0
	v_add3_u32 v105, v105, v117, v112
	s_set_vgpr_msb 1                        ;  msbs: dst=0 src0=1 src1=0 src2=0
	v_mul_i32_i24_e32 v110, v22 /*v278*/, v143
	v_mul_i32_i24_e32 v112, v24 /*v280*/, v153
	;; [unrolled: 1-line block ×4, first 2 shown]
	s_set_vgpr_msb 0                        ;  msbs: dst=0 src0=0 src1=0 src2=0
	v_add3_u32 v105, v105, v113, v116
	s_set_vgpr_msb 1                        ;  msbs: dst=0 src0=1 src1=0 src2=0
	v_mul_i32_i24_e32 v113, v25 /*v281*/, v189
	v_mul_i32_i24_e32 v116, v27 /*v283*/, v191
	s_set_vgpr_msb 0                        ;  msbs: dst=0 src0=0 src1=0 src2=0
	v_add3_u32 v105, v105, v121, v119
	s_set_vgpr_msb 1                        ;  msbs: dst=0 src0=1 src1=0 src2=0
	v_mul_i32_i24_e32 v119, v30 /*v286*/, v193
	v_mul_i32_i24_e32 v121, v13 /*v269*/, v196
	;; [unrolled: 5-line block ×3, first 2 shown]
	s_set_vgpr_msb 0                        ;  msbs: dst=0 src0=0 src1=0 src2=0
	v_add3_u32 v105, v105, v124, v122
	s_set_vgpr_msb 1                        ;  msbs: dst=0 src0=1 src1=0 src2=0
	v_mul_i32_i24_e32 v122, v32 /*v288*/, v197
	s_set_vgpr_msb 0                        ;  msbs: dst=0 src0=0 src1=0 src2=0
	v_mul_i32_i24_e32 v124, v91, v237
	v_mul_i32_i24_e32 v91, v91, v241
	v_add3_u32 v92, v105, v123, v92
	s_set_vgpr_msb 1                        ;  msbs: dst=0 src0=1 src1=0 src2=0
	v_mul_i32_i24_e32 v105, v18 /*v274*/, v148
	v_mul_i32_i24_e32 v123, v33 /*v289*/, v236
	s_set_vgpr_msb 0                        ;  msbs: dst=0 src0=0 src1=0 src2=0
	v_add3_u32 v92, v92, v128, v126
	s_delay_alu instid0(VALU_DEP_1) | instskip(NEXT) | instid1(VALU_DEP_1)
	v_add3_u32 v92, v92, v125, v127
	v_add3_u32 v92, v92, v131, v129
	s_delay_alu instid0(VALU_DEP_1) | instskip(SKIP_1) | instid1(VALU_DEP_2)
	v_add3_u32 v92, v92, v130, v93
	v_mul_i32_i24_e32 v93, v90, v146
	v_add3_u32 v80, v92, v80, v81
	v_pk_mul_f16 v81, v114, v85
	s_set_vgpr_msb 1                        ;  msbs: dst=0 src0=1 src1=0 src2=0
	v_mul_i32_i24_e32 v92, v16 /*v272*/, v142
	v_mul_i32_i24_e32 v114, v9 /*v265*/, v188
	s_set_vgpr_msb 0                        ;  msbs: dst=0 src0=0 src1=0 src2=0
	v_add3_u32 v80, v80, v87, v89
	s_set_vgpr_msb 4                        ;  msbs: dst=0 src0=0 src1=1 src2=0
	v_mul_i32_i24_e32 v87, v94, v7 /*v263*/
	s_set_vgpr_msb 1                        ;  msbs: dst=0 src0=1 src1=0 src2=0
	v_mul_i32_i24_e32 v94, v17 /*v273*/, v147
	s_set_vgpr_msb 0                        ;  msbs: dst=0 src0=0 src1=0 src2=0
	v_cvt_f32_i32_e32 v80, v80
	s_delay_alu instid0(VALU_DEP_1) | instskip(SKIP_2) | instid1(VALU_DEP_3)
	v_fma_mix_f32 v89, v81, v80, v81 op_sel:[0,0,1] op_sel_hi:[1,0,1]
	v_mul_i32_i24_e32 v80, v83, v144
	v_mul_i32_i24_e32 v81, v238, v84
	v_pk_add_f32 v[16:17], v[16:17], v[88:89]
	s_set_vgpr_msb 1                        ;  msbs: dst=0 src0=1 src1=0 src2=0
	v_mul_i32_i24_e32 v89, v15 /*v271*/, v145
	s_set_vgpr_msb 4                        ;  msbs: dst=0 src0=0 src1=1 src2=0
	v_mul_i32_i24_e32 v88, v239, v12 /*v268*/
	s_set_vgpr_msb 1                        ;  msbs: dst=0 src0=1 src1=0 src2=0
	s_delay_alu instid0(VALU_DEP_2) | instskip(SKIP_1) | instid1(VALU_DEP_1)
	v_mad_i32_i24 v89, v14 /*v270*/, v141, v89
	s_set_vgpr_msb 0                        ;  msbs: dst=0 src0=0 src1=0 src2=0
	v_add3_u32 v89, v89, v92, v93
	s_set_vgpr_msb 1                        ;  msbs: dst=0 src0=1 src1=0 src2=0
	v_mul_i32_i24_e32 v93, v8 /*v264*/, v208
	v_mul_i32_i24_e32 v92, v19 /*v275*/, v207
	s_set_vgpr_msb 0                        ;  msbs: dst=0 src0=0 src1=0 src2=0
	v_add3_u32 v89, v89, v107, v105
	s_set_vgpr_msb 1                        ;  msbs: dst=0 src0=1 src1=0 src2=0
	v_mul_i32_i24_e32 v105, v23 /*v279*/, v213
	v_mul_i32_i24_e32 v107, v25 /*v281*/, v215
	;; [unrolled: 5-line block ×9, first 2 shown]
	s_set_vgpr_msb 0                        ;  msbs: dst=0 src0=0 src1=0 src2=0
	v_add3_u32 v89, v89, v121, v119
	s_set_vgpr_msb 1                        ;  msbs: dst=0 src0=1 src1=0 src2=0
	v_mul_i32_i24_e32 v119, v34 /*v290*/, v242
	s_set_vgpr_msb 0                        ;  msbs: dst=0 src0=0 src1=0 src2=0
	s_delay_alu instid0(VALU_DEP_2) | instskip(SKIP_3) | instid1(VALU_DEP_2)
	v_add3_u32 v89, v89, v118, v120
	s_set_vgpr_msb 1                        ;  msbs: dst=0 src0=1 src1=0 src2=0
	v_mul_i32_i24_e32 v118, v33 /*v289*/, v240
	s_set_vgpr_msb 0                        ;  msbs: dst=0 src0=0 src1=0 src2=0
	v_add3_u32 v89, v89, v124, v122
	s_delay_alu instid0(VALU_DEP_1) | instskip(SKIP_3) | instid1(VALU_DEP_2)
	v_add3_u32 v89, v89, v123, v97
	s_set_vgpr_msb 1                        ;  msbs: dst=0 src0=1 src1=0 src2=0
	v_mul_i32_i24_e32 v97, v10 /*v266*/, v211
	s_set_vgpr_msb 0                        ;  msbs: dst=0 src0=0 src1=0 src2=0
	v_add3_u32 v80, v89, v80, v81
	v_pk_mul_f16 v81, v140, v85
	s_set_vgpr_msb 1                        ;  msbs: dst=0 src0=1 src1=0 src2=0
	v_mul_i32_i24_e32 v89, v17 /*v273*/, v205
	s_set_vgpr_msb 0                        ;  msbs: dst=0 src0=0 src1=0 src2=0
	v_add3_u32 v80, v80, v87, v88
	v_mul_i32_i24_e32 v88, v90, v204
	s_set_vgpr_msb 1                        ;  msbs: dst=0 src0=1 src1=0 src2=0
	v_mul_i32_i24_e32 v90, v18 /*v274*/, v206
	s_set_vgpr_msb 0                        ;  msbs: dst=0 src0=0 src1=0 src2=0
	v_cvt_f32_i32_e32 v80, v80
	s_delay_alu instid0(VALU_DEP_1)
	v_fma_mix_f32 v87, v81, v80, v81 op_sel:[0,0,1] op_sel_hi:[1,0,1]
	v_mul_i32_i24_e32 v80, v83, v202
	v_mul_i32_i24_e32 v81, v243, v84
	s_set_vgpr_msb 4                        ;  msbs: dst=0 src0=0 src1=1 src2=0
	v_mul_i32_i24_e32 v83, v245, v7 /*v263*/
	v_mul_i32_i24_e32 v84, v244, v12 /*v268*/
	s_set_vgpr_msb 0                        ;  msbs: dst=0 src0=0 src1=0 src2=0
	v_pk_add_f32 v[20:21], v[20:21], v[86:87]
	s_set_vgpr_msb 1                        ;  msbs: dst=0 src0=1 src1=0 src2=0
	v_mul_i32_i24_e32 v86, v15 /*v271*/, v203
	v_mul_i32_i24_e32 v87, v16 /*v272*/, v200
	s_delay_alu instid0(VALU_DEP_2) | instskip(SKIP_1) | instid1(VALU_DEP_1)
	v_mad_i32_i24 v86, v14 /*v270*/, v199, v86
	s_set_vgpr_msb 0                        ;  msbs: dst=0 src0=0 src1=0 src2=0
	v_add3_u32 v86, v86, v87, v88
	s_delay_alu instid0(VALU_DEP_1) | instskip(NEXT) | instid1(VALU_DEP_1)
	v_add3_u32 v86, v86, v93, v90
	v_add3_u32 v86, v86, v89, v92
	s_delay_alu instid0(VALU_DEP_1) | instskip(NEXT) | instid1(VALU_DEP_1)
	v_add3_u32 v86, v86, v97, v94
	;; [unrolled: 3-line block ×6, first 2 shown]
	v_add3_u32 v86, v86, v118, v119
	s_delay_alu instid0(VALU_DEP_1) | instskip(SKIP_1) | instid1(VALU_DEP_2)
	v_add3_u32 v80, v86, v80, v81
	v_pk_mul_f16 v81, v198, v85
	v_add3_u32 v80, v80, v83, v84
	s_delay_alu instid0(VALU_DEP_1) | instskip(NEXT) | instid1(VALU_DEP_1)
	v_cvt_f32_i32_e32 v80, v80
	v_fma_mix_f32 v83, v81, v80, v81 op_sel:[0,0,1] op_sel_hi:[1,0,1]
	s_delay_alu instid0(VALU_DEP_1)
	v_pk_add_f32 v[24:25], v[24:25], v[82:83]
	s_cbranch_scc1 .LBB140_11
; %bb.12:                               ;   in Loop: Header=BB140_6 Depth=1
	s_barrier_signal -1
	s_barrier_wait -1
	s_branch .LBB140_5
.LBB140_13:
	v_dual_mov_b32 v0, 0 :: v_dual_mov_b32 v34, 0
	v_dual_mov_b32 v36, 0 :: v_dual_mov_b32 v37, 0
	;; [unrolled: 1-line block ×14, first 2 shown]
	s_wait_xcnt 0x0
	s_mov_b32 s0, exec_lo
	v_cmpx_gt_u32_e64 s6, v9
	s_cbranch_execnz .LBB140_16
.LBB140_14:
	s_sendmsg sendmsg(MSG_DEALLOC_VGPRS)
	s_endpgm
.LBB140_15:
	v_cvt_pk_f16_f32 v38, v70, v71
	v_cvt_pk_f16_f32 v37, v72, v73
	;; [unrolled: 1-line block ×4, first 2 shown]
	v_cvt_f16_f32_e32 v35, v78
	v_cvt_f16_f32_e32 v33, v15
	;; [unrolled: 1-line block ×24, first 2 shown]
	v_dual_mov_b32 v4, v3 :: v_dual_mov_b32 v14, v7
	s_mov_b32 s0, exec_lo
	s_wait_xcnt 0x0
	v_cmpx_gt_u32_e64 s6, v9
	s_cbranch_execz .LBB140_14
.LBB140_16:
	v_mul_lo_u32 v16, v9, s12
	v_add_nc_u32_e32 v3, s14, v14
	s_delay_alu instid0(VALU_DEP_1)
	v_cmp_gt_u32_e32 vcc_lo, s12, v3
	s_and_saveexec_b32 s0, vcc_lo
	s_cbranch_execz .LBB140_18
; %bb.17:
	s_delay_alu instid0(VALU_DEP_3)
	v_add_nc_u32_e32 v7, v3, v16
	s_wait_kmcnt 0x0
	global_store_b16 v7, v38, s[8:9] scale_offset
.LBB140_18:
	s_wait_xcnt 0x0
	s_or_b32 exec_lo, exec_lo, s0
	v_add_nc_u32_e32 v7, 32, v3
	s_delay_alu instid0(VALU_DEP_1)
	v_cmp_gt_u32_e64 s0, s12, v7
	s_and_saveexec_b32 s1, s0
	s_cbranch_execz .LBB140_20
; %bb.19:
	v_add_nc_u32_e32 v9, v7, v16
	s_wait_kmcnt 0x0
	global_store_b16 v9, v37, s[8:9] scale_offset
.LBB140_20:
	s_wait_xcnt 0x0
	s_or_b32 exec_lo, exec_lo, s1
	v_add_nc_u32_e32 v9, 64, v3
	s_delay_alu instid0(VALU_DEP_1)
	v_cmp_gt_u32_e64 s1, s12, v9
	s_and_saveexec_b32 s2, s1
	s_cbranch_execz .LBB140_22
; %bb.21:
	v_add_nc_u32_e32 v14, v9, v16
	s_wait_kmcnt 0x0
	global_store_b16 v14, v36, s[8:9] scale_offset
.LBB140_22:
	;; [unrolled: 12-line block ×3, first 2 shown]
	s_wait_xcnt 0x0
	s_or_b32 exec_lo, exec_lo, s3
	v_add3_u32 v16, v4, s13, 8
	s_delay_alu instid0(VALU_DEP_1)
	v_cmp_gt_u32_e64 s3, s6, v16
	s_and_b32 exec_lo, exec_lo, s3
	s_cbranch_execz .LBB140_14
; %bb.25:
	v_mul_lo_u32 v16, v16, s12
	s_and_saveexec_b32 s3, vcc_lo
	s_cbranch_execnz .LBB140_65
; %bb.26:
	s_or_b32 exec_lo, exec_lo, s3
	s_and_saveexec_b32 s3, s0
	s_cbranch_execnz .LBB140_66
.LBB140_27:
	s_or_b32 exec_lo, exec_lo, s3
	s_and_saveexec_b32 s3, s1
	s_cbranch_execnz .LBB140_67
.LBB140_28:
	s_or_b32 exec_lo, exec_lo, s3
	s_and_saveexec_b32 s3, s2
	s_cbranch_execz .LBB140_30
.LBB140_29:
	v_add_nc_u32_e32 v16, v16, v14
	s_wait_kmcnt 0x0
	global_store_d16_hi_b16 v16, v34, s[8:9] scale_offset
.LBB140_30:
	s_wait_xcnt 0x0
	s_or_b32 exec_lo, exec_lo, s3
	v_add3_u32 v16, v4, s13, 16
	s_delay_alu instid0(VALU_DEP_1)
	v_cmp_gt_u32_e64 s3, s6, v16
	s_and_b32 exec_lo, exec_lo, s3
	s_cbranch_execz .LBB140_14
; %bb.31:
	v_mul_lo_u32 v16, v16, s12
	s_and_saveexec_b32 s3, vcc_lo
	s_cbranch_execnz .LBB140_68
; %bb.32:
	s_or_b32 exec_lo, exec_lo, s3
	s_and_saveexec_b32 s3, s0
	s_cbranch_execnz .LBB140_69
.LBB140_33:
	s_or_b32 exec_lo, exec_lo, s3
	s_and_saveexec_b32 s3, s1
	s_cbranch_execnz .LBB140_70
.LBB140_34:
	s_or_b32 exec_lo, exec_lo, s3
	s_and_saveexec_b32 s3, s2
	s_cbranch_execz .LBB140_36
.LBB140_35:
	v_add_nc_u32_e32 v16, v16, v14
	s_wait_kmcnt 0x0
	global_store_b16 v16, v31, s[8:9] scale_offset
.LBB140_36:
	s_wait_xcnt 0x0
	s_or_b32 exec_lo, exec_lo, s3
	v_add3_u32 v16, v4, s13, 24
	s_delay_alu instid0(VALU_DEP_1)
	v_cmp_gt_u32_e64 s3, s6, v16
	s_and_b32 exec_lo, exec_lo, s3
	s_cbranch_execz .LBB140_14
; %bb.37:
	v_mul_lo_u32 v16, v16, s12
	s_and_saveexec_b32 s3, vcc_lo
	s_cbranch_execnz .LBB140_71
; %bb.38:
	s_or_b32 exec_lo, exec_lo, s3
	s_and_saveexec_b32 s3, s0
	s_cbranch_execnz .LBB140_72
.LBB140_39:
	s_or_b32 exec_lo, exec_lo, s3
	s_and_saveexec_b32 s3, s1
	s_cbranch_execnz .LBB140_73
.LBB140_40:
	s_or_b32 exec_lo, exec_lo, s3
	s_and_saveexec_b32 s3, s2
	s_cbranch_execz .LBB140_42
.LBB140_41:
	v_add_nc_u32_e32 v16, v16, v14
	s_wait_kmcnt 0x0
	global_store_b16 v16, v27, s[8:9] scale_offset
.LBB140_42:
	s_wait_xcnt 0x0
	s_or_b32 exec_lo, exec_lo, s3
	v_add3_u32 v16, v4, s13, 32
	s_delay_alu instid0(VALU_DEP_1)
	v_cmp_gt_u32_e64 s3, s6, v16
	s_and_b32 exec_lo, exec_lo, s3
	s_cbranch_execz .LBB140_14
; %bb.43:
	v_mul_lo_u32 v16, v16, s12
	s_and_saveexec_b32 s3, vcc_lo
	s_cbranch_execnz .LBB140_74
; %bb.44:
	s_or_b32 exec_lo, exec_lo, s3
	s_and_saveexec_b32 s3, s0
	s_cbranch_execnz .LBB140_75
.LBB140_45:
	s_or_b32 exec_lo, exec_lo, s3
	s_and_saveexec_b32 s3, s1
	s_cbranch_execnz .LBB140_76
.LBB140_46:
	s_or_b32 exec_lo, exec_lo, s3
	s_and_saveexec_b32 s3, s2
	s_cbranch_execz .LBB140_48
.LBB140_47:
	v_add_nc_u32_e32 v16, v16, v14
	s_wait_kmcnt 0x0
	global_store_b16 v16, v19, s[8:9] scale_offset
.LBB140_48:
	s_wait_xcnt 0x0
	s_or_b32 exec_lo, exec_lo, s3
	v_add3_u32 v16, v4, s13, 40
	s_delay_alu instid0(VALU_DEP_1)
	v_cmp_gt_u32_e64 s3, s6, v16
	s_and_b32 exec_lo, exec_lo, s3
	s_cbranch_execz .LBB140_14
; %bb.49:
	v_mul_lo_u32 v16, v16, s12
	s_and_saveexec_b32 s3, vcc_lo
	s_cbranch_execnz .LBB140_77
; %bb.50:
	s_or_b32 exec_lo, exec_lo, s3
	s_and_saveexec_b32 s3, s0
	s_cbranch_execnz .LBB140_78
.LBB140_51:
	s_or_b32 exec_lo, exec_lo, s3
	s_and_saveexec_b32 s3, s1
	s_cbranch_execnz .LBB140_79
.LBB140_52:
	s_or_b32 exec_lo, exec_lo, s3
	s_and_saveexec_b32 s3, s2
	s_cbranch_execz .LBB140_54
.LBB140_53:
	v_add_nc_u32_e32 v13, v16, v14
	s_wait_kmcnt 0x0
	global_store_b16 v13, v12, s[8:9] scale_offset
.LBB140_54:
	s_wait_xcnt 0x0
	s_or_b32 exec_lo, exec_lo, s3
	v_add3_u32 v12, v4, s13, 48
	s_delay_alu instid0(VALU_DEP_1)
	v_cmp_gt_u32_e64 s3, s6, v12
	s_and_b32 exec_lo, exec_lo, s3
	s_cbranch_execz .LBB140_14
; %bb.55:
	v_mul_lo_u32 v12, v12, s12
	s_and_saveexec_b32 s3, vcc_lo
	s_cbranch_execnz .LBB140_80
; %bb.56:
	s_or_b32 exec_lo, exec_lo, s3
	s_and_saveexec_b32 s3, s0
	s_cbranch_execnz .LBB140_81
.LBB140_57:
	s_or_b32 exec_lo, exec_lo, s3
	s_and_saveexec_b32 s3, s1
	s_cbranch_execnz .LBB140_82
.LBB140_58:
	s_or_b32 exec_lo, exec_lo, s3
	s_and_saveexec_b32 s3, s2
	s_cbranch_execz .LBB140_60
.LBB140_59:
	v_add_nc_u32_e32 v8, v12, v14
	s_wait_kmcnt 0x0
	global_store_b16 v8, v6, s[8:9] scale_offset
.LBB140_60:
	s_wait_xcnt 0x0
	s_or_b32 exec_lo, exec_lo, s3
	v_add3_u32 v4, v4, s13, 56
	s_delay_alu instid0(VALU_DEP_1)
	v_cmp_gt_u32_e64 s3, s6, v4
	s_and_b32 exec_lo, exec_lo, s3
	s_cbranch_execz .LBB140_14
; %bb.61:
	v_mul_lo_u32 v4, v4, s12
	s_and_saveexec_b32 s3, vcc_lo
	s_cbranch_execnz .LBB140_83
; %bb.62:
	s_or_b32 exec_lo, exec_lo, s3
	s_and_saveexec_b32 s3, s0
	s_cbranch_execnz .LBB140_84
.LBB140_63:
	s_or_b32 exec_lo, exec_lo, s3
	s_and_saveexec_b32 s0, s1
	s_cbranch_execnz .LBB140_85
.LBB140_64:
	s_or_b32 exec_lo, exec_lo, s0
	s_delay_alu instid0(SALU_CYCLE_1)
	s_and_b32 exec_lo, exec_lo, s2
	s_cbranch_execz .LBB140_14
	s_branch .LBB140_86
.LBB140_65:
	s_delay_alu instid0(VALU_DEP_1)
	v_add_nc_u32_e32 v17, v16, v3
	s_wait_kmcnt 0x0
	global_store_d16_hi_b16 v17, v38, s[8:9] scale_offset
	s_wait_xcnt 0x0
	s_or_b32 exec_lo, exec_lo, s3
	s_and_saveexec_b32 s3, s0
	s_cbranch_execz .LBB140_27
.LBB140_66:
	s_delay_alu instid0(VALU_DEP_1)
	v_add_nc_u32_e32 v17, v16, v7
	s_wait_kmcnt 0x0
	global_store_d16_hi_b16 v17, v37, s[8:9] scale_offset
	s_wait_xcnt 0x0
	s_or_b32 exec_lo, exec_lo, s3
	s_and_saveexec_b32 s3, s1
	s_cbranch_execz .LBB140_28
.LBB140_67:
	s_delay_alu instid0(VALU_DEP_1)
	v_add_nc_u32_e32 v17, v16, v9
	s_wait_kmcnt 0x0
	global_store_d16_hi_b16 v17, v36, s[8:9] scale_offset
	s_wait_xcnt 0x0
	s_or_b32 exec_lo, exec_lo, s3
	s_and_saveexec_b32 s3, s2
	s_cbranch_execnz .LBB140_29
	s_branch .LBB140_30
.LBB140_68:
	s_delay_alu instid0(VALU_DEP_1)
	v_add_nc_u32_e32 v17, v16, v3
	s_wait_kmcnt 0x0
	global_store_b16 v17, v35, s[8:9] scale_offset
	s_wait_xcnt 0x0
	s_or_b32 exec_lo, exec_lo, s3
	s_and_saveexec_b32 s3, s0
	s_cbranch_execz .LBB140_33
.LBB140_69:
	s_delay_alu instid0(VALU_DEP_1)
	v_add_nc_u32_e32 v17, v16, v7
	s_wait_kmcnt 0x0
	global_store_b16 v17, v33, s[8:9] scale_offset
	s_wait_xcnt 0x0
	s_or_b32 exec_lo, exec_lo, s3
	s_and_saveexec_b32 s3, s1
	s_cbranch_execz .LBB140_34
.LBB140_70:
	s_delay_alu instid0(VALU_DEP_1)
	v_add_nc_u32_e32 v17, v16, v9
	s_wait_kmcnt 0x0
	global_store_b16 v17, v32, s[8:9] scale_offset
	s_wait_xcnt 0x0
	s_or_b32 exec_lo, exec_lo, s3
	s_and_saveexec_b32 s3, s2
	s_cbranch_execnz .LBB140_35
	s_branch .LBB140_36
.LBB140_71:
	s_delay_alu instid0(VALU_DEP_1)
	v_add_nc_u32_e32 v17, v16, v3
	s_wait_kmcnt 0x0
	global_store_b16 v17, v30, s[8:9] scale_offset
	s_wait_xcnt 0x0
	s_or_b32 exec_lo, exec_lo, s3
	s_and_saveexec_b32 s3, s0
	s_cbranch_execz .LBB140_39
.LBB140_72:
	s_delay_alu instid0(VALU_DEP_1)
	v_add_nc_u32_e32 v17, v16, v7
	s_wait_kmcnt 0x0
	global_store_b16 v17, v29, s[8:9] scale_offset
	s_wait_xcnt 0x0
	s_or_b32 exec_lo, exec_lo, s3
	s_and_saveexec_b32 s3, s1
	s_cbranch_execz .LBB140_40
.LBB140_73:
	s_delay_alu instid0(VALU_DEP_1)
	v_add_nc_u32_e32 v17, v16, v9
	s_wait_kmcnt 0x0
	global_store_b16 v17, v28, s[8:9] scale_offset
	s_wait_xcnt 0x0
	s_or_b32 exec_lo, exec_lo, s3
	s_and_saveexec_b32 s3, s2
	s_cbranch_execnz .LBB140_41
	s_branch .LBB140_42
.LBB140_74:
	s_delay_alu instid0(VALU_DEP_1)
	v_add_nc_u32_e32 v17, v16, v3
	s_wait_kmcnt 0x0
	global_store_b16 v17, v26, s[8:9] scale_offset
	s_wait_xcnt 0x0
	s_or_b32 exec_lo, exec_lo, s3
	s_and_saveexec_b32 s3, s0
	s_cbranch_execz .LBB140_45
.LBB140_75:
	s_delay_alu instid0(VALU_DEP_1)
	v_add_nc_u32_e32 v17, v16, v7
	s_wait_kmcnt 0x0
	global_store_b16 v17, v23, s[8:9] scale_offset
	s_wait_xcnt 0x0
	s_or_b32 exec_lo, exec_lo, s3
	s_and_saveexec_b32 s3, s1
	s_cbranch_execz .LBB140_46
.LBB140_76:
	s_delay_alu instid0(VALU_DEP_1)
	v_add_nc_u32_e32 v17, v16, v9
	s_wait_kmcnt 0x0
	global_store_b16 v17, v22, s[8:9] scale_offset
	s_wait_xcnt 0x0
	s_or_b32 exec_lo, exec_lo, s3
	s_and_saveexec_b32 s3, s2
	s_cbranch_execnz .LBB140_47
	s_branch .LBB140_48
.LBB140_77:
	s_delay_alu instid0(VALU_DEP_1)
	v_add_nc_u32_e32 v17, v16, v3
	s_wait_kmcnt 0x0
	global_store_b16 v17, v18, s[8:9] scale_offset
	s_wait_xcnt 0x0
	s_or_b32 exec_lo, exec_lo, s3
	s_and_saveexec_b32 s3, s0
	s_cbranch_execz .LBB140_51
.LBB140_78:
	s_delay_alu instid0(VALU_DEP_1)
	v_add_nc_u32_e32 v17, v16, v7
	s_wait_kmcnt 0x0
	global_store_b16 v17, v15, s[8:9] scale_offset
	s_wait_xcnt 0x0
	s_or_b32 exec_lo, exec_lo, s3
	s_and_saveexec_b32 s3, s1
	s_cbranch_execz .LBB140_52
.LBB140_79:
	s_delay_alu instid0(VALU_DEP_1)
	v_add_nc_u32_e32 v15, v16, v9
	s_wait_kmcnt 0x0
	global_store_b16 v15, v13, s[8:9] scale_offset
	s_wait_xcnt 0x0
	s_or_b32 exec_lo, exec_lo, s3
	s_and_saveexec_b32 s3, s2
	s_cbranch_execnz .LBB140_53
	s_branch .LBB140_54
.LBB140_80:
	s_delay_alu instid0(VALU_DEP_1)
	v_add_nc_u32_e32 v13, v12, v3
	s_wait_kmcnt 0x0
	global_store_b16 v13, v11, s[8:9] scale_offset
	s_wait_xcnt 0x0
	s_or_b32 exec_lo, exec_lo, s3
	s_and_saveexec_b32 s3, s0
	s_cbranch_execz .LBB140_57
.LBB140_81:
	s_delay_alu instid0(VALU_DEP_1)
	v_add_nc_u32_e32 v11, v12, v7
	s_wait_kmcnt 0x0
	global_store_b16 v11, v10, s[8:9] scale_offset
	s_wait_xcnt 0x0
	s_or_b32 exec_lo, exec_lo, s3
	s_and_saveexec_b32 s3, s1
	s_cbranch_execz .LBB140_58
.LBB140_82:
	s_delay_alu instid0(VALU_DEP_1)
	v_add_nc_u32_e32 v10, v12, v9
	s_wait_kmcnt 0x0
	global_store_b16 v10, v8, s[8:9] scale_offset
	s_wait_xcnt 0x0
	s_or_b32 exec_lo, exec_lo, s3
	s_and_saveexec_b32 s3, s2
	s_cbranch_execnz .LBB140_59
	s_branch .LBB140_60
.LBB140_83:
	s_delay_alu instid0(VALU_DEP_1)
	v_add_nc_u32_e32 v3, v4, v3
	s_wait_kmcnt 0x0
	global_store_b16 v3, v5, s[8:9] scale_offset
	s_wait_xcnt 0x0
	s_or_b32 exec_lo, exec_lo, s3
	s_and_saveexec_b32 s3, s0
	s_cbranch_execz .LBB140_63
.LBB140_84:
	s_delay_alu instid0(VALU_DEP_1)
	v_add_nc_u32_e32 v3, v4, v7
	s_wait_kmcnt 0x0
	global_store_b16 v3, v2, s[8:9] scale_offset
	s_wait_xcnt 0x0
	s_or_b32 exec_lo, exec_lo, s3
	s_and_saveexec_b32 s0, s1
	s_cbranch_execz .LBB140_64
.LBB140_85:
	s_delay_alu instid0(VALU_DEP_1) | instskip(SKIP_4) | instid1(SALU_CYCLE_1)
	v_add_nc_u32_e32 v2, v4, v9
	s_wait_kmcnt 0x0
	global_store_b16 v2, v1, s[8:9] scale_offset
	s_wait_xcnt 0x0
	s_or_b32 exec_lo, exec_lo, s0
	s_and_b32 exec_lo, exec_lo, s2
	s_cbranch_execz .LBB140_14
.LBB140_86:
	v_add_nc_u32_e32 v1, v4, v14
	s_wait_kmcnt 0x0
	global_store_b16 v1, v0, s[8:9] scale_offset
	s_sendmsg sendmsg(MSG_DEALLOC_VGPRS)
	s_endpgm
	.section	.rodata,"a",@progbits
	.p2align	6, 0x0
	.amdhsa_kernel _ZL12mul_mat_q4_1IN3c104HalfELb1EEvPKvS3_PT_iiiii
		.amdhsa_group_segment_fixed_size 30336
		.amdhsa_private_segment_fixed_size 0
		.amdhsa_kernarg_size 44
		.amdhsa_user_sgpr_count 2
		.amdhsa_user_sgpr_dispatch_ptr 0
		.amdhsa_user_sgpr_queue_ptr 0
		.amdhsa_user_sgpr_kernarg_segment_ptr 1
		.amdhsa_user_sgpr_dispatch_id 0
		.amdhsa_user_sgpr_kernarg_preload_length 0
		.amdhsa_user_sgpr_kernarg_preload_offset 0
		.amdhsa_user_sgpr_private_segment_size 0
		.amdhsa_wavefront_size32 1
		.amdhsa_uses_dynamic_stack 0
		.amdhsa_enable_private_segment 0
		.amdhsa_system_sgpr_workgroup_id_x 1
		.amdhsa_system_sgpr_workgroup_id_y 1
		.amdhsa_system_sgpr_workgroup_id_z 0
		.amdhsa_system_sgpr_workgroup_info 0
		.amdhsa_system_vgpr_workitem_id 1
		.amdhsa_next_free_vgpr 451
		.amdhsa_next_free_sgpr 18
		.amdhsa_named_barrier_count 0
		.amdhsa_reserve_vcc 1
		.amdhsa_float_round_mode_32 0
		.amdhsa_float_round_mode_16_64 0
		.amdhsa_float_denorm_mode_32 3
		.amdhsa_float_denorm_mode_16_64 3
		.amdhsa_fp16_overflow 0
		.amdhsa_memory_ordered 1
		.amdhsa_forward_progress 1
		.amdhsa_inst_pref_size 255
		.amdhsa_round_robin_scheduling 0
		.amdhsa_exception_fp_ieee_invalid_op 0
		.amdhsa_exception_fp_denorm_src 0
		.amdhsa_exception_fp_ieee_div_zero 0
		.amdhsa_exception_fp_ieee_overflow 0
		.amdhsa_exception_fp_ieee_underflow 0
		.amdhsa_exception_fp_ieee_inexact 0
		.amdhsa_exception_int_div_zero 0
	.end_amdhsa_kernel
	.section	.text._ZL12mul_mat_q4_1IN3c104HalfELb1EEvPKvS3_PT_iiiii,"axG",@progbits,_ZL12mul_mat_q4_1IN3c104HalfELb1EEvPKvS3_PT_iiiii,comdat
.Lfunc_end140:
	.size	_ZL12mul_mat_q4_1IN3c104HalfELb1EEvPKvS3_PT_iiiii, .Lfunc_end140-_ZL12mul_mat_q4_1IN3c104HalfELb1EEvPKvS3_PT_iiiii
                                        ; -- End function
	.set _ZL12mul_mat_q4_1IN3c104HalfELb1EEvPKvS3_PT_iiiii.num_vgpr, 451
	.set _ZL12mul_mat_q4_1IN3c104HalfELb1EEvPKvS3_PT_iiiii.num_agpr, 0
	.set _ZL12mul_mat_q4_1IN3c104HalfELb1EEvPKvS3_PT_iiiii.numbered_sgpr, 18
	.set _ZL12mul_mat_q4_1IN3c104HalfELb1EEvPKvS3_PT_iiiii.num_named_barrier, 0
	.set _ZL12mul_mat_q4_1IN3c104HalfELb1EEvPKvS3_PT_iiiii.private_seg_size, 0
	.set _ZL12mul_mat_q4_1IN3c104HalfELb1EEvPKvS3_PT_iiiii.uses_vcc, 1
	.set _ZL12mul_mat_q4_1IN3c104HalfELb1EEvPKvS3_PT_iiiii.uses_flat_scratch, 0
	.set _ZL12mul_mat_q4_1IN3c104HalfELb1EEvPKvS3_PT_iiiii.has_dyn_sized_stack, 0
	.set _ZL12mul_mat_q4_1IN3c104HalfELb1EEvPKvS3_PT_iiiii.has_recursion, 0
	.set _ZL12mul_mat_q4_1IN3c104HalfELb1EEvPKvS3_PT_iiiii.has_indirect_call, 0
	.section	.AMDGPU.csdata,"",@progbits
; Kernel info:
; codeLenInByte = 41072
; TotalNumSgprs: 20
; NumVgprs: 451
; ScratchSize: 0
; MemoryBound: 0
; FloatMode: 240
; IeeeMode: 1
; LDSByteSize: 30336 bytes/workgroup (compile time only)
; SGPRBlocks: 0
; VGPRBlocks: 28
; NumSGPRsForWavesPerEU: 20
; NumVGPRsForWavesPerEU: 451
; NamedBarCnt: 0
; Occupancy: 2
; WaveLimiterHint : 0
; COMPUTE_PGM_RSRC2:SCRATCH_EN: 0
; COMPUTE_PGM_RSRC2:USER_SGPR: 2
; COMPUTE_PGM_RSRC2:TRAP_HANDLER: 0
; COMPUTE_PGM_RSRC2:TGID_X_EN: 1
; COMPUTE_PGM_RSRC2:TGID_Y_EN: 1
; COMPUTE_PGM_RSRC2:TGID_Z_EN: 0
; COMPUTE_PGM_RSRC2:TIDIG_COMP_CNT: 1
	.section	.text._ZL12mul_mat_q5_0IN3c104HalfELb0EEvPKvS3_PT_iiiii,"axG",@progbits,_ZL12mul_mat_q5_0IN3c104HalfELb0EEvPKvS3_PT_iiiii,comdat
	.globl	_ZL12mul_mat_q5_0IN3c104HalfELb0EEvPKvS3_PT_iiiii ; -- Begin function _ZL12mul_mat_q5_0IN3c104HalfELb0EEvPKvS3_PT_iiiii
	.p2align	8
	.type	_ZL12mul_mat_q5_0IN3c104HalfELb0EEvPKvS3_PT_iiiii,@function
_ZL12mul_mat_q5_0IN3c104HalfELb0EEvPKvS3_PT_iiiii: ; @_ZL12mul_mat_q5_0IN3c104HalfELb0EEvPKvS3_PT_iiiii
; %bb.0:
	s_clause 0x1
	s_load_b32 s12, s[0:1], 0x18
	s_load_b96 s[4:6], s[0:1], 0x20
	s_bfe_u32 s2, ttmp6, 0x4000c
	s_bfe_u32 s7, ttmp6, 0x40010
	s_add_co_i32 s2, s2, 1
	s_and_b32 s3, ttmp6, 15
	s_mul_i32 s2, ttmp9, s2
	s_add_co_i32 s7, s7, 1
	s_add_co_i32 s3, s3, s2
	s_mul_i32 s2, ttmp7, s7
	s_bfe_u32 s7, ttmp6, 0x40004
	s_getreg_b32 s8, hwreg(HW_REG_IB_STS2, 6, 4)
	s_add_co_i32 s7, s7, s2
	s_cmp_eq_u32 s8, 0
	v_bfe_u32 v1, v0, 10, 10
	s_cselect_b32 s7, ttmp7, s7
	v_and_b32_e32 v3, 0x3ff, v0
	s_cselect_b32 s2, ttmp9, s3
	s_lshl_b32 s7, s7, 6
	s_mov_b32 s3, 0
	s_wait_kmcnt 0x0
	s_cmp_gt_i32 s12, 31
	s_cbranch_scc1 .LBB141_2
; %bb.1:
	v_bfe_u32 v6, v0, 10, 10
	v_and_b32_e32 v12, 0x3ff, v0
	s_delay_alu instid0(VALU_DEP_2)
	v_add_nc_u32_e32 v7, s7, v6
	s_branch .LBB141_3
.LBB141_2:
	s_mov_b32 s3, -1
                                        ; implicit-def: $vgpr6
                                        ; implicit-def: $vgpr12
                                        ; implicit-def: $vgpr7
.LBB141_3:
	s_load_b64 s[8:9], s[0:1], 0x10
	s_lshl_b32 s14, s2, 7
	s_and_not1_b32 vcc_lo, exec_lo, s3
	s_mov_b32 s11, 0
	s_cbranch_vccnz .LBB141_13
; %bb.4:
	v_dual_add_nc_u32 v7, s7, v1 :: v_dual_bitop2_b32 v38, 3, v0 bitop3:0x40
	s_add_co_i32 s10, s4, -1
	v_dual_lshlrev_b32 v30, 2, v3 :: v_dual_bitop2_b32 v10, 31, v0 bitop3:0x40
	s_delay_alu instid0(VALU_DEP_2) | instskip(SKIP_3) | instid1(VALU_DEP_4)
	v_dual_add_nc_u32 v2, 8, v7 :: v_dual_add_nc_u32 v4, 16, v7
	v_cvt_f64_i32_e32 v[20:21], s10
	v_dual_add_nc_u32 v8, 40, v7 :: v_dual_add_nc_u32 v5, 24, v7
	v_add_nc_u32_e32 v6, 32, v7
	v_cvt_f64_u32_e32 v[14:15], v2
	v_add_nc_u32_e32 v2, 48, v7
	v_lshl_or_b32 v54, v10, 2, 0x8200
	v_cvt_f64_u32_e32 v[18:19], v5
	v_cvt_f64_u32_e32 v[22:23], v6
	v_bfe_u32 v9, v0, 3, 7
	v_cvt_f64_u32_e32 v[26:27], v2
	v_bfe_u32 v2, v0, 2, 8
	v_cvt_f64_u32_e32 v[12:13], v7
	v_cvt_f64_u32_e32 v[24:25], v8
	v_lshl_add_u32 v40, v1, 2, v9
	v_cvt_f64_u32_e32 v[16:17], v4
	v_lshl_add_u32 v10, v1, 3, v2
	v_dual_add_nc_u32 v4, 56, v7 :: v_dual_bitop2_b32 v6, 7, v0 bitop3:0x40
	v_and_b32_e32 v30, 28, v30
	s_ashr_i32 s13, s12, 31
	s_ashr_i32 s15, s5, 31
	s_lshr_b32 s13, s13, 27
	v_cvt_f64_u32_e32 v[28:29], v4
	s_lshr_b32 s15, s15, 27
	s_add_co_i32 s12, s12, s13
	s_add_co_i32 s13, s5, s15
	s_ashr_i32 s5, s12, 5
	v_dual_mov_b32 v5, 0 :: v_dual_lshlrev_b32 v8, 3, v3
	s_lshl_b32 s16, s5, 3
	v_dual_lshlrev_b32 v44, 7, v1 :: v_dual_lshlrev_b32 v4, 2, v38
	s_ashr_i32 s17, s13, 5
	s_delay_alu instid0(VALU_DEP_2)
	v_mad_u32_u24 v11, 0x104, v1, v8
	v_dual_min_num_f64 v[34:35], v[14:15], v[20:21] :: v_dual_bitop2_b32 v10, 63, v10 bitop3:0x40
	v_mul_lo_u32 v8, s5, v1
	v_dual_mov_b32 v31, v5 :: v_dual_lshlrev_b32 v52, 2, v6
	v_min_num_f64_e32 v[46:47], v[22:23], v[20:21]
	v_add_nc_u32_e32 v56, 0x400, v44
	v_min_num_f64_e32 v[50:51], v[26:27], v[20:21]
	v_lshlrev_b32_e32 v26, 5, v40
	v_min_num_f64_e32 v[32:33], v[12:13], v[20:21]
	v_add_nc_u32_e32 v57, 0x800, v44
	s_wait_xcnt 0x0
	s_load_b128 s[0:3], s[0:1], 0x0
	s_and_b32 s15, s12, 0xffffffe0
	v_add_nc_u32_e32 v221, v54, v44
	v_add_nc_u32_e32 v222, 0x8200, v44
	s_mul_i32 s12, s5, s14
	v_mov_b64_e32 v[60:61], 0
	v_mov_b64_e32 v[66:67], 0
	;; [unrolled: 1-line block ×7, first 2 shown]
	s_ashr_i32 s13, s12, 31
	v_add_nc_u32_e32 v13, 0x820, v11
	v_add_nc_u32_e32 v15, 0x1040, v11
	;; [unrolled: 1-line block ×9, first 2 shown]
	v_cvt_i32_f64_e32 v14, v[34:35]
	v_add_nc_u32_e32 v35, 0x60, v40
	v_min_num_f64_e32 v[42:43], v[18:19], v[20:21]
	v_add_nc_u32_e32 v34, 64, v40
	v_min_num_f64_e32 v[36:37], v[16:17], v[20:21]
	v_add_nc_u32_e32 v17, 0x1860, v11
	v_add_nc_u32_e32 v19, 0x2080, v11
	;; [unrolled: 1-line block ×3, first 2 shown]
	v_cvt_i32_f64_e32 v12, v[32:33]
	v_add_nc_u32_e32 v32, 32, v40
	v_add_nc_u32_e32 v227, 0x79e0, v11
	v_mul_u32_u24_e32 v228, 0x104, v3
	v_lshl_add_u32 v229, v1, 4, 0xb280
	s_mul_u64 s[12:13], s[12:13], 22
	v_add_nc_u32_e32 v214, v54, v56
	s_wait_kmcnt 0x0
	s_add_nc_u64 s[0:1], s[0:1], s[12:13]
	v_mul_lo_u32 v198, s17, v14
	v_cvt_i32_f64_e32 v18, v[42:43]
	v_dual_min_num_f64 v[48:49], v[24:25], v[20:21] :: v_dual_bitop2_b32 v42, s7, v10 bitop3:0x54
	v_min_num_f64_e32 v[20:21], v[28:29], v[20:21]
	v_cvt_i32_f64_e32 v22, v[46:47]
	v_cvt_i32_f64_e32 v16, v[36:37]
	s_delay_alu instid0(VALU_DEP_4)
	v_min_i32_e32 v42, s10, v42
	v_mul_lo_u32 v79, s17, v12
	v_and_b32_e32 v36, 0xffc, v32
	v_lshlrev_b32_e32 v32, 5, v32
	v_and_b32_e32 v24, 0x7fc, v40
	v_and_b32_e32 v43, 0xffc, v35
	v_lshlrev_b32_e32 v35, 5, v35
	v_add3_u32 v36, v36, v52, 0xa200
	v_mad_u32 v77, v42, s17, v38
	v_add3_u32 v24, v24, v52, 0xa200
	v_add3_u32 v43, v43, v52, 0xa200
	v_add_nc_u32_e32 v38, 0xc00, v44
	v_add_nc_u32_e32 v46, 0x1400, v44
	s_delay_alu instid0(VALU_DEP_4) | instskip(NEXT) | instid1(VALU_DEP_3)
	v_dual_add_nc_u32 v215, v54, v57 :: v_dual_add_nc_u32 v206, v24, v26
	v_dual_add_nc_u32 v212, v43, v35 :: v_dual_add_nc_u32 v216, v54, v38
	v_mul_lo_u32 v38, s5, v40
	v_add_nc_u32_e32 v42, 0x1000, v44
	s_movk_i32 s10, 0x80
	v_mov_b64_e32 v[56:57], 0
	v_add_nc_u32_e32 v25, 0x30c0, v11
	v_add_nc_u32_e32 v29, 0x4100, v11
	v_mad_u32_u24 v230, 0x104, v3, s10
	s_mov_b32 s10, s11
	v_mul_lo_u32 v200, s17, v18
	v_add_nc_u32_e32 v18, 0x60, v3
	v_cvt_i32_f64_e32 v28, v[48:49]
	v_and_b32_e32 v48, 0xfc, v0
	v_mul_lo_u32 v201, s17, v22
	v_add_nc_u32_e32 v22, 32, v3
	v_cvt_i32_f64_e32 v20, v[20:21]
	v_lshl_or_b32 v21, v10, 4, v4
	v_add_nc_u32_e32 v10, s16, v8
	v_and_b32_e32 v18, 0x1fc, v18
	v_mul_lo_u32 v199, s17, v16
	v_and_b32_e32 v47, 0x1fc, v22
	v_add_nc_u32_e32 v65, 0xb280, v21
	v_dual_add_nc_u32 v12, s16, v10 :: v_dual_add_nc_u32 v21, 64, v3
	v_cvt_i32_f64_e32 v33, v[50:51]
	v_and_b32_e32 v37, 0xffc, v34
	v_lshrrev_b32_e32 v205, 3, v22
	v_lshlrev_b32_e32 v34, 5, v34
	v_and_b32_e32 v21, 0x1fc, v21
	v_add_nc_u32_e32 v51, 0x1c00, v44
	v_add3_u32 v37, v37, v52, 0xa200
	s_delay_alu instid0(VALU_DEP_2) | instskip(SKIP_4) | instid1(VALU_DEP_3)
	v_add_nc_u32_e32 v220, v54, v51
	v_mul_lo_u32 v202, s17, v28
	v_dual_lshlrev_b32 v28, 5, v3 :: v_dual_add_nc_u32 v14, s16, v12
	v_add_nc_u32_e32 v208, v36, v32
	v_mul_lo_u32 v204, s17, v20
	v_add_nc_u32_e32 v49, v28, v18
	s_delay_alu instid0(VALU_DEP_4) | instskip(SKIP_2) | instid1(VALU_DEP_4)
	v_dual_add_nc_u32 v16, s16, v14 :: v_dual_add_nc_u32 v50, v28, v21
	v_add_nc_u32_e32 v48, v28, v48
	v_add_nc_u64_e32 v[20:21], s[2:3], v[30:31]
	v_add_nc_u32_e32 v207, 0xae00, v49
	s_delay_alu instid0(VALU_DEP_4) | instskip(SKIP_2) | instid1(VALU_DEP_3)
	v_dual_add_nc_u32 v0, s16, v16 :: v_dual_add_nc_u32 v47, v28, v47
	v_mul_lo_u32 v203, s17, v33
	v_add_nc_u32_e32 v33, 0x1800, v44
	v_dual_add_nc_u32 v217, v54, v42 :: v_dual_add_nc_u32 v18, s16, v0
	v_add_nc_u32_e32 v209, 0xaa00, v50
	v_add_nc_u32_e32 v211, 0xa600, v47
	s_delay_alu instid0(VALU_DEP_4)
	v_add_nc_u32_e32 v219, v54, v33
	v_add_nc_u32_e32 v213, 0xa200, v48
	;; [unrolled: 1-line block ×9, first 2 shown]
	v_mov_b64_e32 v[30:31], 0
	v_mov_b64_e32 v[32:33], 0
	;; [unrolled: 1-line block ×3, first 2 shown]
	v_add_nc_u32_e32 v26, s16, v24
	v_mov_b64_e32 v[36:37], 0
	v_mov_b64_e32 v[42:43], 0
	;; [unrolled: 1-line block ×4, first 2 shown]
	v_add_nc_u32_e32 v28, s16, v26
	v_add_nc_u32_e32 v218, v54, v46
	v_mov_b64_e32 v[46:47], 0
	s_delay_alu instid0(VALU_DEP_3) | instskip(NEXT) | instid1(VALU_DEP_1)
	v_dual_add_nc_u32 v54, s15, v38 :: v_dual_add_nc_u32 v40, s16, v28
	v_dual_add_nc_u32 v64, s15, v54 :: v_dual_add_nc_u32 v44, s16, v40
	s_delay_alu instid0(VALU_DEP_1) | instskip(SKIP_1) | instid1(VALU_DEP_2)
	v_add_nc_u32_e32 v78, s15, v64
	s_add_co_i32 s15, s5, 3
	v_add_nc_u32_e32 v52, s16, v44
	s_delay_alu instid0(VALU_DEP_1) | instskip(NEXT) | instid1(VALU_DEP_1)
	v_add_nc_u32_e32 v58, s16, v52
	v_add_nc_u32_e32 v76, s16, v58
	s_branch .LBB141_6
.LBB141_5:                              ;   in Loop: Header=BB141_6 Depth=1
	s_add_co_i32 s10, s10, 8
	s_add_co_i32 s15, s15, -8
	s_cmp_ge_i32 s10, s5
	s_cbranch_scc1 .LBB141_15
.LBB141_6:                              ; =>This Loop Header: Depth=1
                                        ;     Child Loop BB141_8 Depth 2
                                        ;     Child Loop BB141_11 Depth 2
	s_mul_u64 s[12:13], s[10:11], 22
	s_cmp_gt_u32 s15, 3
	s_add_nc_u64 s[12:13], s[0:1], s[12:13]
	s_delay_alu instid0(SALU_CYCLE_1) | instskip(NEXT) | instid1(VALU_DEP_1)
	v_mad_nc_u64_u32 v[80:81], v2, 22, s[12:13]
	v_mad_nc_u64_u32 v[82:83], v8, 22, v[80:81]
	;; [unrolled: 1-line block ×12, first 2 shown]
	v_add_nc_u64_e32 v[102:103], v[82:83], v[4:5]
	v_add_nc_u64_e32 v[104:105], v[86:87], v[4:5]
	;; [unrolled: 1-line block ×4, first 2 shown]
	s_clause 0x7
	global_load_b32 v91, v[100:101], off offset:2
	global_load_b32 v92, v[88:89], off offset:2
	;; [unrolled: 1-line block ×8, first 2 shown]
	s_wait_xcnt 0x4
	v_add_nc_u64_e32 v[82:83], v[108:109], v[4:5]
	v_add_nc_u64_e32 v[86:87], v[110:111], v[4:5]
	;; [unrolled: 1-line block ×3, first 2 shown]
	s_clause 0x6
	global_load_b32 v100, v[84:85], off offset:2
	global_load_b32 v101, v[112:113], off offset:2
	;; [unrolled: 1-line block ×7, first 2 shown]
	s_wait_xcnt 0x6
	v_add_nc_u64_e32 v[84:85], v[84:85], v[4:5]
	s_wait_xcnt 0x2
	v_mad_nc_u64_u32 v[82:83], v6, 22, s[12:13]
	v_mad_nc_u64_u32 v[110:111], v24, 22, v[80:81]
	;; [unrolled: 1-line block ×6, first 2 shown]
	global_load_b32 v144, v[84:85], off offset:6
	v_add_nc_u64_e32 v[134:135], v[116:117], v[4:5]
	v_add_nc_u64_e32 v[136:137], v[118:119], v[4:5]
	;; [unrolled: 1-line block ×3, first 2 shown]
	v_mad_nc_u64_u32 v[126:127], v38, 22, v[82:83]
	v_add_nc_u64_e32 v[128:129], v[110:111], v[4:5]
	v_add_nc_u64_e32 v[130:131], v[112:113], v[4:5]
	;; [unrolled: 1-line block ×5, first 2 shown]
	s_clause 0x10
	global_load_u16 v108, v[126:127], off
	global_load_b32 v145, v[128:129], off offset:6
	global_load_b32 v146, v[130:131], off offset:6
	;; [unrolled: 1-line block ×14, first 2 shown]
	; meta instruction
	; meta instruction
	;; [unrolled: 1-line block ×15, first 2 shown]
	global_load_b32 v87, v[120:121], off offset:2
	global_load_b32 v89, v[118:119], off offset:2
	s_wait_loadcnt 0x1f
	v_dual_ashrrev_i32 v91, v4, v91 :: v_dual_ashrrev_i32 v92, v4, v92
	s_wait_loadcnt 0x1d
	v_dual_ashrrev_i32 v96, v4, v96 :: v_dual_ashrrev_i32 v99, v4, v99
	s_wait_loadcnt 0x1c
	s_wait_xcnt 0x8
	v_and_b32_e32 v110, 0xf0f0f0f, v98
	v_lshrrev_b32_e32 v98, 4, v98
	s_wait_loadcnt 0x1b
	v_and_b32_e32 v111, 0xf0f0f0f, v97
	v_lshrrev_b32_e32 v97, 4, v97
	s_wait_loadcnt 0x19
	;; [unrolled: 3-line block ×3, first 2 shown]
	v_dual_ashrrev_i32 v101, v4, v101 :: v_dual_ashrrev_i32 v100, v4, v100
	s_wait_xcnt 0x0
	v_dual_lshlrev_b32 v117, 4, v99 :: v_dual_lshlrev_b32 v118, 11, v99
	v_dual_lshlrev_b32 v119, 18, v99 :: v_dual_lshlrev_b32 v120, 25, v99
	v_dual_lshrrev_b32 v121, 12, v99 :: v_dual_lshrrev_b32 v122, 5, v99
	v_dual_lshlrev_b32 v123, 2, v99 :: v_dual_lshlrev_b32 v99, 9, v99
	v_dual_lshlrev_b32 v124, 4, v96 :: v_dual_lshlrev_b32 v125, 11, v96
	;; [unrolled: 1-line block ×3, first 2 shown]
	v_dual_lshrrev_b32 v128, 12, v96 :: v_dual_lshrrev_b32 v129, 5, v96
	v_dual_lshlrev_b32 v130, 2, v96 :: v_dual_lshlrev_b32 v96, 9, v96
	v_lshlrev_b32_e32 v138, 4, v91
	v_and_b32_e32 v112, 0xf0f0f0f, v95
	v_lshrrev_b32_e32 v95, 4, v95
	s_wait_loadcnt 0x12
	v_and_b32_e32 v116, 0xf0f0f0f, v102
	v_lshrrev_b32_e32 v102, 4, v102
	v_and_b32_e32 v98, 0xf0f0f0f, v98
	v_and_b32_e32 v97, 0xf0f0f0f, v97
	v_dual_lshlrev_b32 v131, 4, v92 :: v_dual_lshlrev_b32 v132, 11, v92
	v_dual_lshlrev_b32 v133, 18, v92 :: v_dual_lshlrev_b32 v134, 25, v92
	v_dual_lshrrev_b32 v135, 12, v92 :: v_dual_lshrrev_b32 v136, 5, v92
	v_dual_lshlrev_b32 v137, 2, v92 :: v_dual_lshlrev_b32 v92, 9, v92
	v_dual_lshlrev_b32 v139, 11, v91 :: v_dual_lshlrev_b32 v140, 18, v91
	v_dual_lshlrev_b32 v141, 25, v91 :: v_dual_lshrrev_b32 v142, 12, v91
	v_dual_lshrrev_b32 v143, 5, v91 :: v_dual_lshlrev_b32 v149, 2, v91
	v_dual_lshlrev_b32 v91, 9, v91 :: v_dual_lshlrev_b32 v164, 4, v101
	v_dual_lshlrev_b32 v165, 11, v101 :: v_dual_lshlrev_b32 v166, 18, v101
	v_dual_lshlrev_b32 v167, 25, v101 :: v_dual_lshrrev_b32 v168, 12, v101
	v_dual_lshrrev_b32 v169, 5, v101 :: v_dual_lshlrev_b32 v170, 2, v101
	v_dual_lshlrev_b32 v101, 9, v101 :: v_dual_bitop2_b32 v124, 16, v124 bitop3:0x40
	v_and_b32_e32 v117, 16, v117
	v_and_b32_e32 v118, 0x1000, v118
	;; [unrolled: 1-line block ×20, first 2 shown]
	v_or3_b32 v117, v117, v110, v118
	v_or3_b32 v118, v121, v98, v122
	;; [unrolled: 1-line block ×5, first 2 shown]
	v_and_b32_e32 v128, 16, v128
	v_or3_b32 v96, v97, v130, v96
	v_and_b32_e32 v131, 16, v131
	v_and_b32_e32 v102, 0xf0f0f0f, v102
	;; [unrolled: 1-line block ×6, first 2 shown]
	v_or3_b32 v110, v110, v119, v120
	v_or3_b32 v92, v95, v137, v92
	v_dual_lshrrev_b32 v111, 16, v111 :: v_dual_bitop2_b32 v138, 16, v138 bitop3:0x40
	v_or3_b32 v119, v128, v97, v129
	v_lshrrev_b32_e32 v96, 16, v96
	v_or3_b32 v97, v131, v112, v132
	v_or3_b32 v112, v112, v133, v134
	v_and_b32_e32 v135, 16, v135
	v_ashrrev_i32_e32 v107, v4, v107
	v_and_b32_e32 v169, 0x1000, v169
	v_or3_b32 v101, v102, v170, v101
	v_and_b32_e32 v168, 16, v168
	v_and_b32_e32 v140, 0x100000, v140
	;; [unrolled: 1-line block ×3, first 2 shown]
	v_lshrrev_b32_e32 v112, 16, v112
	v_or3_b32 v120, v135, v95, v136
	v_lshrrev_b32_e32 v92, 16, v92
	v_or3_b32 v95, v138, v113, v139
	v_and_b32_e32 v114, 0xf0f0f0f, v105
	v_dual_lshrrev_b32 v105, 4, v105 :: v_dual_ashrrev_i32 v103, v4, v103
	v_and_b32_e32 v93, 0xf0f0f0f, v93
	v_dual_lshlrev_b32 v150, 4, v107 :: v_dual_lshlrev_b32 v151, 11, v107
	v_dual_lshlrev_b32 v152, 18, v107 :: v_dual_lshlrev_b32 v153, 25, v107
	v_and_b32_e32 v149, 0x100000, v149
	v_and_b32_e32 v91, 0x10000000, v91
	v_lshlrev_b16 v125, 8, v118
	v_lshrrev_b32_e32 v101, 16, v101
	v_or3_b32 v124, v168, v102, v169
	v_lshrrev_b32_e32 v102, 16, v110
	v_and_b32_e32 v110, 0x1f00, v117
	v_lshlrev_b16 v117, 8, v117
	v_lshlrev_b16 v126, 8, v99
	;; [unrolled: 1-line block ×3, first 2 shown]
	v_and_b32_e32 v143, 0x1000, v143
	v_or3_b32 v113, v113, v140, v141
	v_and_b32_e32 v142, 16, v142
	v_lshlrev_b16 v130, 8, v95
	v_and_b32_e32 v115, 0xf0f0f0f, v104
	v_dual_lshrrev_b32 v104, 4, v104 :: v_dual_lshrrev_b32 v154, 12, v107
	v_dual_lshrrev_b32 v155, 5, v107 :: v_dual_lshlrev_b32 v156, 2, v107
	v_lshlrev_b32_e32 v107, 9, v107
	v_dual_lshlrev_b32 v157, 4, v103 :: v_dual_lshlrev_b32 v158, 11, v103
	v_dual_lshlrev_b32 v159, 18, v103 :: v_dual_lshlrev_b32 v160, 25, v103
	v_and_b32_e32 v151, 0x1000, v151
	v_and_b32_e32 v152, 0x100000, v152
	;; [unrolled: 1-line block ×3, first 2 shown]
	v_or3_b32 v91, v93, v149, v91
	v_and_b32_e32 v150, 16, v150
	v_add_nc_u16 v110, 0xf000, v110
	v_add_nc_u16 v117, 0xf000, v117
	v_and_b32_e32 v138, 0x1f00, v102
	v_lshlrev_b16 v102, 8, v102
	v_add_nc_u16 v125, 0xf000, v125
	v_add_nc_u16 v126, 0xf000, v126
	;; [unrolled: 1-line block ×3, first 2 shown]
	v_lshrrev_b32_e32 v113, 16, v113
	v_or3_b32 v121, v142, v93, v143
	v_add_nc_u16 v130, 0xf000, v130
	v_and_b32_e32 v105, 0xf0f0f0f, v105
	v_dual_lshrrev_b32 v161, 12, v103 :: v_dual_lshrrev_b32 v162, 5, v103
	v_dual_lshlrev_b32 v163, 2, v103 :: v_dual_lshlrev_b32 v103, 9, v103
	v_and_b32_e32 v154, 16, v154
	v_and_b32_e32 v155, 0x1000, v155
	;; [unrolled: 1-line block ×7, first 2 shown]
	v_dual_lshrrev_b32 v98, 16, v98 :: v_dual_lshrrev_b32 v91, 16, v91
	v_or3_b32 v93, v150, v114, v151
	v_or3_b32 v114, v114, v152, v153
	v_and_b32_e32 v157, 16, v157
	v_perm_b32 v110, v117, v110, 0xc0c0105
	v_add_nc_u16 v117, 0xf000, v138
	v_add_nc_u16 v102, 0xf000, v102
	v_lshrrev_b16 v125, 8, v125
	v_and_b32_e32 v127, 0x1f00, v119
	v_lshlrev_b16 v119, 8, v119
	v_lshrrev_b16 v126, 8, v126
	v_and_b32_e32 v129, 0x1f00, v120
	v_lshlrev_b16 v120, 8, v120
	v_lshrrev_b16 v128, 8, v128
	v_and_b32_e32 v131, 0x1f00, v121
	v_lshlrev_b16 v121, 8, v121
	v_lshrrev_b16 v130, 8, v130
	v_and_b32_e32 v104, 0xf0f0f0f, v104
	v_and_b32_e32 v162, 0x1000, v162
	;; [unrolled: 1-line block ×4, first 2 shown]
	v_or3_b32 v122, v154, v105, v155
	v_or3_b32 v105, v105, v156, v107
	v_lshrrev_b32_e32 v114, 16, v114
	v_or3_b32 v107, v157, v115, v158
	v_or3_b32 v115, v115, v159, v160
	v_and_b32_e32 v161, 16, v161
	v_lshlrev_b16 v137, 8, v124
	v_and_b32_e32 v139, 0x1f00, v98
	v_lshlrev_b16 v98, 8, v98
	v_perm_b32 v102, v102, v117, 0xc0c0105
	v_bitop3_b16 v117, v118, v125, 0x1f00 bitop3:0xec
	v_and_b32_e32 v140, 0x1f00, v111
	v_lshlrev_b16 v111, 8, v111
	v_add_nc_u16 v127, 0xf000, v127
	v_add_nc_u16 v119, 0xf000, v119
	v_and_b32_e32 v141, 0x1f00, v96
	v_lshlrev_b16 v96, 8, v96
	v_bitop3_b16 v99, v99, v126, 0x1f00 bitop3:0xec
	v_and_b32_e32 v142, 0x1f00, v112
	v_lshlrev_b16 v112, 8, v112
	v_add_nc_u16 v129, 0xf000, v129
	v_add_nc_u16 v120, 0xf000, v120
	v_and_b32_e32 v143, 0x1f00, v92
	v_lshlrev_b16 v92, 8, v92
	;; [unrolled: 7-line block ×3, first 2 shown]
	v_bitop3_b16 v95, v95, v130, 0x1f00 bitop3:0xec
	v_or3_b32 v103, v104, v163, v103
	v_lshrrev_b32_e32 v115, 16, v115
	v_or3_b32 v123, v161, v104, v162
	v_add_nc_u16 v137, 0xf000, v137
	v_add_nc_u16 v138, 0xf000, v139
	v_add_nc_u16 v98, 0xf000, v98
	v_lshl_or_b32 v102, v102, 16, v110
	v_add_nc_u16 v110, 0xf000, v117
	v_add_nc_u16 v139, 0xf000, v140
	v_add_nc_u16 v111, 0xf000, v111
	v_perm_b32 v119, v119, v127, 0xc0c0105
	v_add_nc_u16 v127, 0xf000, v141
	v_add_nc_u16 v96, 0xf000, v96
	v_add_nc_u16 v99, 0xf000, v99
	v_add_nc_u16 v140, 0xf000, v142
	v_add_nc_u16 v112, 0xf000, v112
	v_perm_b32 v120, v120, v129, 0xc0c0105
	v_add_nc_u16 v129, 0xf000, v143
	v_add_nc_u16 v92, 0xf000, v92
	;; [unrolled: 6-line block ×3, first 2 shown]
	v_add_nc_u16 v95, 0xf000, v95
	v_dual_lshrrev_b32 v103, 16, v103 :: v_dual_bitop2_b32 v164, 16, v164 bitop3:0x40
	v_and_b32_e32 v135, 0x1f00, v123
	v_lshlrev_b16 v123, 8, v123
	v_lshrrev_b16 v137, 8, v137
	v_perm_b32 v98, v98, v138, 0xc0c0105
	v_and_b32_e32 v110, 0xffff, v110
	v_perm_b32 v111, v111, v139, 0xc0c0105
	v_perm_b32 v96, v96, v127, 0xc0c0105
	v_and_b32_e32 v99, 0xffff, v99
	v_perm_b32 v112, v112, v140, 0xc0c0105
	;; [unrolled: 3-line block ×3, first 2 shown]
	v_perm_b32 v91, v91, v131, 0xc0c0105
	v_and_b32_e32 v95, 0xffff, v95
	v_and_b32_e32 v165, 0x1000, v165
	;; [unrolled: 1-line block ×4, first 2 shown]
	v_add_nc_u16 v135, 0xf000, v135
	v_add_nc_u16 v123, 0xf000, v123
	v_and_b32_e32 v154, 0x1f00, v103
	v_lshlrev_b16 v103, 8, v103
	v_and_b32_e32 v156, 0x1f00, v101
	v_lshlrev_b16 v101, 8, v101
	v_bitop3_b16 v118, v124, v137, 0x1f00 bitop3:0xec
	v_lshl_or_b32 v98, v98, 16, v110
	v_lshl_or_b32 v96, v96, 16, v119
	;; [unrolled: 1-line block ×7, first 2 shown]
	v_or3_b32 v104, v164, v116, v165
	v_or3_b32 v116, v116, v166, v167
	v_perm_b32 v123, v123, v135, 0xc0c0105
	v_add_nc_u16 v135, 0xf000, v154
	v_add_nc_u16 v103, 0xf000, v103
	ds_store_2addr_b32 v11, v102, v98 offset1:1
	ds_store_2addr_b32 v13, v99, v96 offset1:1
	;; [unrolled: 1-line block ×4, first 2 shown]
	v_add_nc_u16 v92, 0xf000, v156
	v_dual_lshlrev_b32 v95, 4, v100 :: v_dual_lshlrev_b32 v98, 11, v100
	v_add_nc_u16 v96, 0xf000, v101
	v_add_nc_u16 v97, 0xf000, v118
	v_dual_lshlrev_b32 v101, 18, v100 :: v_dual_lshlrev_b32 v102, 25, v100
	s_delay_alu instid0(VALU_DEP_4)
	v_dual_lshrrev_b32 v116, 16, v116 :: v_dual_bitop2_b32 v95, 16, v95 bitop3:0x40
	v_perm_b32 v103, v103, v135, 0xc0c0105
	s_wait_loadcnt 0x11
	v_and_b32_e32 v99, 0xf0f0f0f, v144
	v_and_b32_e32 v98, 0x1000, v98
	v_perm_b32 v92, v96, v92, 0xc0c0105
	v_and_b32_e32 v96, 0xffff, v97
	v_and_b32_e32 v97, 0x100000, v101
	;; [unrolled: 1-line block ×3, first 2 shown]
	v_or3_b32 v95, v95, v99, v98
	v_lshl_or_b32 v98, v103, 16, v123
	v_lshl_or_b32 v92, v92, 16, v96
	v_lshlrev_b32_e32 v102, 2, v100
	v_or3_b32 v96, v99, v97, v101
	v_lshrrev_b32_e32 v101, 12, v100
	v_lshrrev_b32_e32 v99, 4, v144
	v_dual_lshlrev_b32 v103, 9, v100 :: v_dual_lshrrev_b32 v100, 5, v100
	v_and_b32_e32 v102, 0x100000, v102
	s_delay_alu instid0(VALU_DEP_4) | instskip(NEXT) | instid1(VALU_DEP_4)
	v_and_b32_e32 v101, 16, v101
	v_and_b32_e32 v99, 0xf0f0f0f, v99
	s_delay_alu instid0(VALU_DEP_4)
	v_and_b32_e32 v103, 0x10000000, v103
	v_and_b32_e32 v100, 0x1000, v100
	v_and_b32_e32 v136, 0x1f00, v104
	v_lshlrev_b16 v104, 8, v104
	v_and_b32_e32 v97, 0x1f00, v95
	v_or3_b32 v102, v99, v102, v103
	v_lshrrev_b32_e32 v96, 16, v96
	v_or3_b32 v99, v101, v99, v100
	v_lshlrev_b16 v95, 8, v95
	v_add_nc_u16 v136, 0xf000, v136
	v_lshrrev_b32_e32 v101, 16, v102
	v_and_b32_e32 v100, 0x1f00, v96
	v_lshlrev_b16 v96, 8, v96
	v_lshlrev_b16 v102, 8, v99
	v_add_nc_u16 v104, 0xf000, v104
	v_and_b32_e32 v155, 0x1f00, v116
	v_add_nc_u16 v100, 0xf000, v100
	v_add_nc_u16 v96, 0xf000, v96
	v_lshlrev_b16 v116, 8, v116
	v_add_nc_u16 v97, 0xf000, v97
	v_add_nc_u16 v95, 0xf000, v95
	;; [unrolled: 1-line block ×3, first 2 shown]
	v_perm_b32 v96, v96, v100, 0xc0c0105
	s_wait_loadcnt 0x8
	v_ashrrev_i32_e32 v100, v4, v148
	v_perm_b32 v104, v104, v136, 0xc0c0105
	v_add_nc_u16 v136, 0xf000, v155
	v_add_nc_u16 v116, 0xf000, v116
	v_perm_b32 v95, v95, v97, 0xc0c0105
	v_and_b32_e32 v97, 0x1f00, v101
	v_lshlrev_b16 v101, 8, v101
	v_lshrrev_b16 v102, 8, v102
	v_lshlrev_b32_e32 v103, 11, v100
	v_perm_b32 v91, v116, v136, 0xc0c0105
	v_add_nc_u16 v97, 0xf000, v97
	v_add_nc_u16 v101, 0xf000, v101
	v_lshl_or_b32 v95, v96, 16, v95
	v_bitop3_b16 v99, v99, v102, 0x1f00 bitop3:0xec
	v_and_b32_e32 v102, 0x1000, v103
	v_dual_lshrrev_b32 v103, 4, v145 :: v_dual_lshlrev_b32 v96, 4, v100
	v_lshlrev_b16 v132, 8, v93
	v_lshlrev_b16 v134, 8, v107
	v_lshl_or_b32 v91, v91, 16, v104
	v_perm_b32 v97, v101, v97, 0xc0c0105
	v_and_b32_e32 v101, 0xf0f0f0f, v145
	v_lshrrev_b32_e32 v104, 12, v100
	v_and_b32_e32 v96, 16, v96
	v_lshrrev_b32_e32 v110, 5, v100
	v_add_nc_u16 v132, 0xf000, v132
	v_add_nc_u16 v134, 0xf000, v134
	v_and_b32_e32 v103, 0xf0f0f0f, v103
	v_or3_b32 v96, v96, v101, v102
	v_dual_lshlrev_b32 v102, 18, v100 :: v_dual_lshlrev_b32 v111, 25, v100
	v_and_b32_e32 v104, 16, v104
	v_and_b32_e32 v110, 0x1000, v110
	v_lshrrev_b32_e32 v105, 16, v105
	v_and_b32_e32 v133, 0x1f00, v122
	v_lshlrev_b16 v122, 8, v122
	v_lshrrev_b16 v132, 8, v132
	v_lshrrev_b16 v134, 8, v134
	v_dual_lshlrev_b32 v112, 2, v100 :: v_dual_lshlrev_b32 v100, 9, v100
	v_and_b32_e32 v102, 0x100000, v102
	v_or3_b32 v104, v104, v103, v110
	v_and_b32_e32 v110, 0x10000000, v111
	v_and_b32_e32 v151, 0x1f00, v114
	v_lshlrev_b16 v114, 8, v114
	v_add_nc_u16 v133, 0xf000, v133
	v_add_nc_u16 v122, 0xf000, v122
	v_and_b32_e32 v152, 0x1f00, v105
	v_lshlrev_b16 v105, 8, v105
	v_bitop3_b16 v93, v93, v132, 0x1f00 bitop3:0xec
	v_and_b32_e32 v153, 0x1f00, v115
	v_lshlrev_b16 v115, 8, v115
	v_bitop3_b16 v107, v107, v134, 0x1f00 bitop3:0xec
	v_and_b32_e32 v111, 0x100000, v112
	v_and_b32_e32 v100, 0x10000000, v100
	v_lshlrev_b16 v112, 8, v104
	v_or3_b32 v101, v101, v102, v110
	v_add_nc_u16 v142, 0xf000, v151
	v_add_nc_u16 v114, 0xf000, v114
	v_perm_b32 v122, v122, v133, 0xc0c0105
	v_add_nc_u16 v133, 0xf000, v152
	v_add_nc_u16 v105, 0xf000, v105
	;; [unrolled: 1-line block ×3, first 2 shown]
	v_and_b32_e32 v102, 0x1f00, v96
	v_lshlrev_b16 v96, 8, v96
	v_add_nc_u16 v143, 0xf000, v153
	v_add_nc_u16 v115, 0xf000, v115
	;; [unrolled: 1-line block ×4, first 2 shown]
	v_or3_b32 v100, v103, v111, v100
	v_add_nc_u16 v103, 0xf000, v112
	v_lshrrev_b32_e32 v101, 16, v101
	v_perm_b32 v114, v114, v142, 0xc0c0105
	v_perm_b32 v105, v105, v133, 0xc0c0105
	v_and_b32_e32 v93, 0xffff, v93
	v_add_nc_u16 v102, 0xf000, v102
	v_add_nc_u16 v96, 0xf000, v96
	v_perm_b32 v115, v115, v143, 0xc0c0105
	v_and_b32_e32 v107, 0xffff, v107
	v_and_b32_e32 v99, 0xffff, v99
	v_lshrrev_b16 v103, 8, v103
	v_and_b32_e32 v110, 0x1f00, v101
	v_lshlrev_b16 v101, 8, v101
	v_lshl_or_b32 v105, v105, 16, v122
	v_lshl_or_b32 v93, v114, 16, v93
	v_perm_b32 v96, v96, v102, 0xc0c0105
	v_dual_ashrrev_i32 v102, v4, v147 :: v_dual_lshrrev_b32 v100, 16, v100
	v_lshl_or_b32 v107, v115, 16, v107
	v_lshl_or_b32 v97, v97, 16, v99
	v_bitop3_b16 v103, v104, v103, 0x1f00 bitop3:0xec
	v_add_nc_u16 v104, 0xf000, v110
	v_add_nc_u16 v101, 0xf000, v101
	ds_store_2addr_b32 v19, v93, v105 offset1:1
	ds_store_2addr_b32 v23, v107, v98 offset1:1
	;; [unrolled: 1-line block ×4, first 2 shown]
	v_lshlrev_b32_e32 v92, 4, v102
	v_and_b32_e32 v111, 0x1f00, v100
	v_lshlrev_b16 v100, 8, v100
	v_perm_b32 v99, v101, v104, 0xc0c0105
	v_add_nc_u16 v103, 0xf000, v103
	v_lshlrev_b32_e32 v93, 18, v102
	v_add_nc_u16 v110, 0xf000, v111
	v_add_nc_u16 v100, 0xf000, v100
	v_lshl_or_b32 v91, v99, 16, v96
	v_lshlrev_b32_e32 v96, 25, v102
	v_and_b32_e32 v101, 0xffff, v103
	v_dual_lshlrev_b32 v97, 11, v102 :: v_dual_bitop2_b32 v92, 16, v92 bitop3:0x40
	v_perm_b32 v100, v100, v110, 0xc0c0105
	v_and_b32_e32 v98, 0xf0f0f0f, v146
	v_and_b32_e32 v93, 0x100000, v93
	;; [unrolled: 1-line block ×4, first 2 shown]
	v_lshl_or_b32 v95, v100, 16, v101
	v_dual_lshrrev_b32 v100, 12, v102 :: v_dual_lshrrev_b32 v101, 5, v102
	v_lshrrev_b32_e32 v99, 4, v146
	v_or3_b32 v93, v98, v93, v96
	v_or3_b32 v92, v92, v98, v97
	s_delay_alu instid0(VALU_DEP_4)
	v_and_b32_e32 v96, 16, v100
	v_and_b32_e32 v97, 0x1000, v101
	;; [unrolled: 1-line block ×3, first 2 shown]
	v_dual_lshrrev_b32 v99, 16, v93 :: v_dual_lshlrev_b32 v93, 2, v102
	v_lshlrev_b32_e32 v100, 9, v102
	v_and_b32_e32 v101, 0x1f00, v92
	s_delay_alu instid0(VALU_DEP_4)
	v_or3_b32 v102, v96, v98, v97
	v_lshlrev_b16 v103, 8, v92
	v_and_b32_e32 v104, 0x100000, v93
	v_mad_nc_u64_u32 v[92:93], v54, 22, v[82:83]
	v_mad_nc_u64_u32 v[96:97], v64, 22, v[82:83]
	v_and_b32_e32 v100, 0x10000000, v100
	v_lshlrev_b16 v105, 8, v102
	v_mad_nc_u64_u32 v[82:83], v78, 22, v[82:83]
	v_add_nc_u16 v101, 0xf000, v101
	v_ashrrev_i32_e32 v94, v4, v94
	v_or3_b32 v98, v98, v104, v100
	v_add_nc_u16 v100, 0xf000, v103
	v_add_nc_u16 v103, 0xf000, v105
	v_and_b32_e32 v104, 0x1f00, v99
	global_load_u16 v92, v[92:93], off
	v_lshlrev_b16 v99, 8, v99
	s_wait_loadcnt 0x1
	v_ashrrev_i32_e32 v89, v4, v89
	s_wait_xcnt 0x0
	v_lshrrev_b16 v93, 8, v103
	s_clause 0x1
	global_load_u16 v103, v[96:97], off
	global_load_u16 v105, v[82:83], off
	s_wait_xcnt 0x1
	v_add_nc_u16 v96, 0xf000, v104
	v_add_nc_u16 v97, 0xf000, v99
	ds_store_2addr_b32 v29, v91, v95 offset1:1
	v_bitop3_b16 v93, v102, v93, 0x1f00 bitop3:0xec
	v_dual_ashrrev_i32 v87, v4, v87 :: v_dual_ashrrev_i32 v85, v4, v85
	v_perm_b32 v96, v97, v96, 0xc0c0105
	v_dual_ashrrev_i32 v97, v4, v109 :: v_dual_lshrrev_b32 v98, 16, v98
	s_delay_alu instid0(VALU_DEP_4) | instskip(SKIP_1) | instid1(VALU_DEP_3)
	v_add_nc_u16 v93, 0xf000, v93
	v_ashrrev_i32_e32 v81, v4, v81
	v_lshlrev_b32_e32 v91, 4, v97
	s_wait_xcnt 0x0
	v_and_b32_e32 v82, 0x1f00, v98
	v_lshlrev_b16 v83, 8, v98
	v_perm_b32 v98, v100, v101, 0xc0c0105
	v_dual_lshlrev_b32 v95, 11, v97 :: v_dual_bitop2_b32 v91, 16, v91 bitop3:0x40
	s_delay_alu instid0(VALU_DEP_4) | instskip(NEXT) | instid1(VALU_DEP_4)
	v_add_nc_u16 v82, 0xf000, v82
	v_add_nc_u16 v83, 0xf000, v83
	s_delay_alu instid0(VALU_DEP_4) | instskip(SKIP_2) | instid1(VALU_DEP_4)
	v_lshl_or_b32 v96, v96, 16, v98
	v_dual_lshlrev_b32 v98, 18, v97 :: v_dual_lshlrev_b32 v99, 25, v97
	v_and_b32_e32 v95, 0x1000, v95
	v_perm_b32 v82, v83, v82, 0xc0c0105
	v_and_b32_e32 v83, 0xffff, v93
	v_dual_lshrrev_b32 v100, 4, v106 :: v_dual_lshrrev_b32 v101, 12, v97
	v_lshrrev_b32_e32 v102, 5, v97
	v_and_b32_e32 v98, 0x100000, v98
	s_delay_alu instid0(VALU_DEP_4) | instskip(SKIP_4) | instid1(VALU_DEP_4)
	v_lshl_or_b32 v82, v82, 16, v83
	v_and_b32_e32 v83, 0xf0f0f0f, v106
	v_and_b32_e32 v99, 0x10000000, v99
	;; [unrolled: 1-line block ×3, first 2 shown]
	v_cvt_f32_f16_e32 v93, v108
	v_or3_b32 v91, v91, v83, v95
	v_lshlrev_b32_e32 v95, 2, v97
	v_and_b32_e32 v102, 0x1000, v102
	v_lshlrev_b32_e32 v97, 9, v97
	v_or3_b32 v83, v83, v98, v99
	v_and_b32_e32 v101, 16, v101
	v_and_b32_e32 v95, 0x100000, v95
	;; [unrolled: 1-line block ×4, first 2 shown]
	v_lshrrev_b32_e32 v83, 16, v83
	v_or3_b32 v98, v101, v100, v102
	v_lshlrev_b16 v91, 8, v91
	v_add_nc_u16 v99, 0xf000, v99
	v_or3_b32 v95, v100, v95, v97
	v_and_b32_e32 v97, 0x1f00, v83
	v_lshlrev_b16 v101, 8, v98
	v_lshlrev_b16 v83, 8, v83
	v_add_nc_u16 v91, 0xf000, v91
	v_lshrrev_b32_e32 v95, 16, v95
	v_add_nc_u16 v97, 0xf000, v97
	v_add_nc_u16 v100, 0xf000, v101
	;; [unrolled: 1-line block ×3, first 2 shown]
	v_perm_b32 v91, v91, v99, 0xc0c0105
	v_and_b32_e32 v99, 0x1f00, v95
	v_lshlrev_b16 v95, 8, v95
	v_lshrrev_b16 v100, 8, v100
	v_perm_b32 v83, v83, v97, 0xc0c0105
	s_delay_alu instid0(VALU_DEP_4) | instskip(NEXT) | instid1(VALU_DEP_4)
	v_add_nc_u16 v97, 0xf000, v99
	v_add_nc_u16 v95, 0xf000, v95
	s_delay_alu instid0(VALU_DEP_4) | instskip(NEXT) | instid1(VALU_DEP_4)
	v_bitop3_b16 v98, v98, v100, 0x1f00 bitop3:0xec
	v_lshl_or_b32 v83, v83, 16, v91
	v_lshlrev_b32_e32 v91, 4, v94
	s_delay_alu instid0(VALU_DEP_4) | instskip(NEXT) | instid1(VALU_DEP_4)
	v_perm_b32 v95, v95, v97, 0xc0c0105
	v_add_nc_u16 v98, 0xf000, v98
	s_delay_alu instid0(VALU_DEP_3) | instskip(SKIP_1) | instid1(VALU_DEP_3)
	v_dual_lshlrev_b32 v99, 11, v94 :: v_dual_bitop2_b32 v91, 16, v91 bitop3:0x40
	v_dual_lshlrev_b32 v100, 18, v94 :: v_dual_lshlrev_b32 v101, 25, v94
	v_and_b32_e32 v97, 0xffff, v98
	v_and_b32_e32 v98, 0xf0f0f0f, v90
	s_delay_alu instid0(VALU_DEP_4) | instskip(NEXT) | instid1(VALU_DEP_4)
	v_and_b32_e32 v99, 0x1000, v99
	v_and_b32_e32 v100, 0x100000, v100
	;; [unrolled: 1-line block ×3, first 2 shown]
	v_lshrrev_b32_e32 v90, 4, v90
	v_dual_lshrrev_b32 v102, 12, v94 :: v_dual_lshrrev_b32 v104, 5, v94
	v_or3_b32 v91, v91, v98, v99
	s_delay_alu instid0(VALU_DEP_4)
	v_or3_b32 v98, v98, v100, v101
	v_lshl_or_b32 v95, v95, 16, v97
	v_and_b32_e32 v90, 0xf0f0f0f, v90
	v_and_b32_e32 v102, 16, v102
	;; [unrolled: 1-line block ×3, first 2 shown]
	v_lshrrev_b32_e32 v98, 16, v98
	v_dual_lshlrev_b32 v99, 2, v94 :: v_dual_lshlrev_b32 v94, 9, v94
	v_and_b32_e32 v101, 0x1f00, v91
	v_lshlrev_b16 v91, 8, v91
	s_delay_alu instid0(VALU_DEP_4)
	v_and_b32_e32 v97, 0x1f00, v98
	v_lshlrev_b16 v98, 8, v98
	v_and_b32_e32 v99, 0x100000, v99
	v_and_b32_e32 v94, 0x10000000, v94
	v_add_nc_u16 v101, 0xf000, v101
	v_add_nc_u16 v97, 0xf000, v97
	;; [unrolled: 1-line block ×4, first 2 shown]
	ds_store_2addr_b32 v39, v96, v82 offset1:1
	ds_store_2addr_b32 v41, v83, v95 offset1:1
	v_dual_lshrrev_b32 v95, 12, v89 :: v_dual_lshrrev_b32 v96, 5, v89
	v_perm_b32 v97, v98, v97, 0xc0c0105
	v_lshlrev_b32_e32 v98, 4, v89
	v_or3_b32 v100, v102, v90, v104
	v_or3_b32 v90, v90, v99, v94
	v_perm_b32 v91, v91, v101, 0xc0c0105
	v_and_b32_e32 v95, 16, v95
	v_and_b32_e32 v98, 16, v98
	v_lshlrev_b16 v102, 8, v100
	v_lshrrev_b32_e32 v90, 16, v90
	v_lshl_or_b32 v82, v97, 16, v91
	v_lshlrev_b32_e32 v91, 18, v89
	v_and_b32_e32 v96, 0x1000, v96
	v_add_nc_u16 v94, 0xf000, v102
	v_and_b32_e32 v99, 0x1f00, v90
	v_lshlrev_b16 v90, 8, v90
	v_and_b32_e32 v91, 0x100000, v91
	v_lshlrev_b32_e32 v97, 2, v89
	v_lshrrev_b16 v94, 8, v94
	v_add_nc_u16 v99, 0xf000, v99
	v_add_nc_u16 v90, 0xf000, v90
	s_delay_alu instid0(VALU_DEP_3) | instskip(SKIP_1) | instid1(VALU_DEP_3)
	v_bitop3_b16 v94, v100, v94, 0x1f00 bitop3:0xec
	v_lshlrev_b32_e32 v100, 11, v89
	v_perm_b32 v90, v90, v99, 0xc0c0105
	v_and_b32_e32 v99, 0xf0f0f0f, v88
	v_lshrrev_b32_e32 v88, 4, v88
	v_add_nc_u16 v94, 0xf000, v94
	v_and_b32_e32 v100, 0x1000, v100
	s_delay_alu instid0(VALU_DEP_3) | instskip(NEXT) | instid1(VALU_DEP_3)
	v_and_b32_e32 v88, 0xf0f0f0f, v88
	v_and_b32_e32 v94, 0xffff, v94
	s_delay_alu instid0(VALU_DEP_2) | instskip(NEXT) | instid1(VALU_DEP_2)
	v_or3_b32 v95, v95, v88, v96
	v_lshl_or_b32 v83, v90, 16, v94
	v_lshlrev_b32_e32 v94, 25, v89
	v_or3_b32 v90, v98, v99, v100
	v_lshlrev_b32_e32 v89, 9, v89
	v_and_b32_e32 v96, 0x100000, v97
	v_lshlrev_b16 v97, 8, v95
	v_and_b32_e32 v94, 0x10000000, v94
	ds_store_2addr_b32 v45, v82, v83 offset1:1
	v_and_b32_e32 v89, 0x10000000, v89
	v_or3_b32 v91, v99, v91, v94
	v_and_b32_e32 v94, 0x1f00, v90
	v_lshlrev_b16 v90, 8, v90
	s_delay_alu instid0(VALU_DEP_4)
	v_or3_b32 v88, v88, v96, v89
	v_add_nc_u16 v96, 0xf000, v97
	v_lshrrev_b32_e32 v91, 16, v91
	v_add_nc_u16 v94, 0xf000, v94
	v_add_nc_u16 v89, 0xf000, v90
	v_lshrrev_b32_e32 v88, 16, v88
	v_and_b32_e32 v97, 0xf0f0f0f, v86
	v_and_b32_e32 v90, 0x1f00, v91
	v_lshlrev_b16 v91, 8, v91
	v_perm_b32 v89, v89, v94, 0xc0c0105
	v_lshrrev_b16 v94, 8, v96
	v_and_b32_e32 v96, 0x1f00, v88
	v_add_nc_u16 v90, 0xf000, v90
	v_add_nc_u16 v91, 0xf000, v91
	v_lshlrev_b16 v88, 8, v88
	v_bitop3_b16 v94, v95, v94, 0x1f00 bitop3:0xec
	v_dual_lshrrev_b32 v86, 4, v86 :: v_dual_lshlrev_b32 v98, 18, v87
	v_lshlrev_b32_e32 v99, 25, v87
	v_perm_b32 v90, v91, v90, 0xc0c0105
	v_add_nc_u16 v91, 0xf000, v96
	v_add_nc_u16 v88, 0xf000, v88
	;; [unrolled: 1-line block ×3, first 2 shown]
	v_dual_lshlrev_b32 v95, 4, v87 :: v_dual_lshlrev_b32 v96, 11, v87
	v_lshl_or_b32 v82, v90, 16, v89
	s_delay_alu instid0(VALU_DEP_4) | instskip(NEXT) | instid1(VALU_DEP_4)
	v_perm_b32 v88, v88, v91, 0xc0c0105
	v_and_b32_e32 v91, 0xffff, v94
	v_and_b32_e32 v94, 0x100000, v98
	;; [unrolled: 1-line block ×5, first 2 shown]
	v_lshl_or_b32 v83, v88, 16, v91
	v_lshlrev_b32_e32 v91, 2, v87
	v_or3_b32 v88, v97, v94, v98
	v_and_b32_e32 v95, 16, v95
	v_dual_lshlrev_b32 v94, 9, v87 :: v_dual_lshlrev_b32 v98, 11, v85
	s_delay_alu instid0(VALU_DEP_4) | instskip(NEXT) | instid1(VALU_DEP_4)
	v_and_b32_e32 v91, 0x100000, v91
	v_lshrrev_b32_e32 v88, 16, v88
	s_delay_alu instid0(VALU_DEP_4) | instskip(NEXT) | instid1(VALU_DEP_4)
	v_or3_b32 v95, v95, v97, v96
	v_and_b32_e32 v94, 0x10000000, v94
	v_and_b32_e32 v96, 0xf0f0f0f, v84
	v_dual_lshlrev_b32 v97, 4, v85 :: v_dual_lshrrev_b32 v84, 4, v84
	s_delay_alu instid0(VALU_DEP_4) | instskip(SKIP_3) | instid1(VALU_DEP_4)
	v_and_b32_e32 v89, 0x1f00, v95
	v_lshlrev_b16 v90, 8, v95
	v_dual_lshrrev_b32 v95, 12, v87 :: v_dual_lshrrev_b32 v87, 5, v87
	v_or3_b32 v91, v86, v91, v94
	v_add_nc_u16 v89, 0xf000, v89
	s_delay_alu instid0(VALU_DEP_4) | instskip(NEXT) | instid1(VALU_DEP_4)
	v_add_nc_u16 v90, 0xf000, v90
	v_and_b32_e32 v95, 16, v95
	v_and_b32_e32 v87, 0x1000, v87
	v_lshrrev_b32_e32 v91, 16, v91
	v_and_b32_e32 v84, 0xf0f0f0f, v84
	v_perm_b32 v89, v90, v89, 0xc0c0105
	s_delay_alu instid0(VALU_DEP_4)
	v_or3_b32 v86, v95, v86, v87
	v_and_b32_e32 v87, 0x1f00, v88
	v_lshlrev_b16 v88, 8, v88
	v_and_b32_e32 v94, 0x1f00, v91
	v_lshlrev_b32_e32 v95, 25, v85
	v_lshlrev_b16 v90, 8, v86
	v_add_nc_u16 v87, 0xf000, v87
	v_add_nc_u16 v88, 0xf000, v88
	s_delay_alu instid0(VALU_DEP_4) | instskip(NEXT) | instid1(VALU_DEP_4)
	v_and_b32_e32 v95, 0x10000000, v95
	v_add_nc_u16 v90, 0xf000, v90
	s_delay_alu instid0(VALU_DEP_3)
	v_perm_b32 v87, v88, v87, 0xc0c0105
	v_add_nc_u16 v88, 0xf000, v94
	v_lshlrev_b32_e32 v94, 18, v85
	v_lshlrev_b16 v91, 8, v91
	v_lshrrev_b16 v90, 8, v90
	v_lshl_or_b32 v87, v87, 16, v89
	s_delay_alu instid0(VALU_DEP_4) | instskip(NEXT) | instid1(VALU_DEP_4)
	v_and_b32_e32 v94, 0x100000, v94
	v_add_nc_u16 v91, 0xf000, v91
	s_delay_alu instid0(VALU_DEP_4) | instskip(NEXT) | instid1(VALU_DEP_3)
	v_bitop3_b16 v86, v86, v90, 0x1f00 bitop3:0xec
	v_or3_b32 v89, v96, v94, v95
	s_delay_alu instid0(VALU_DEP_3) | instskip(SKIP_1) | instid1(VALU_DEP_4)
	v_perm_b32 v88, v91, v88, 0xc0c0105
	v_dual_lshlrev_b32 v91, 2, v85 :: v_dual_lshlrev_b32 v94, 9, v85
	v_add_nc_u16 v86, 0xf000, v86
	s_delay_alu instid0(VALU_DEP_2) | instskip(NEXT) | instid1(VALU_DEP_3)
	v_and_b32_e32 v91, 0x100000, v91
	v_and_b32_e32 v94, 0x10000000, v94
	s_delay_alu instid0(VALU_DEP_3) | instskip(NEXT) | instid1(VALU_DEP_2)
	v_and_b32_e32 v86, 0xffff, v86
	v_or3_b32 v91, v84, v91, v94
	v_and_b32_e32 v90, 16, v97
	v_and_b32_e32 v97, 0x1000, v98
	s_delay_alu instid0(VALU_DEP_4) | instskip(NEXT) | instid1(VALU_DEP_4)
	v_lshl_or_b32 v86, v88, 16, v86
	v_lshrrev_b32_e32 v91, 16, v91
	s_delay_alu instid0(VALU_DEP_3) | instskip(SKIP_2) | instid1(VALU_DEP_3)
	v_or3_b32 v90, v90, v96, v97
	v_dual_lshrrev_b32 v96, 12, v85 :: v_dual_lshrrev_b32 v85, 5, v85
	v_lshrrev_b32_e32 v89, 16, v89
	v_and_b32_e32 v95, 0x1f00, v90
	v_lshlrev_b16 v90, 8, v90
	s_delay_alu instid0(VALU_DEP_4)
	v_and_b32_e32 v96, 16, v96
	v_and_b32_e32 v85, 0x1000, v85
	;; [unrolled: 1-line block ×3, first 2 shown]
	v_add_nc_u16 v95, 0xf000, v95
	v_add_nc_u16 v90, 0xf000, v90
	v_lshlrev_b16 v89, 8, v89
	v_or3_b32 v84, v96, v84, v85
	s_delay_alu instid0(VALU_DEP_3) | instskip(SKIP_1) | instid1(VALU_DEP_3)
	v_perm_b32 v85, v90, v95, 0xc0c0105
	v_add_nc_u16 v90, 0xf000, v94
	v_lshlrev_b16 v95, 8, v84
	v_add_nc_u16 v89, 0xf000, v89
	v_and_b32_e32 v94, 0x1f00, v91
	v_lshlrev_b16 v91, 8, v91
	s_delay_alu instid0(VALU_DEP_4) | instskip(NEXT) | instid1(VALU_DEP_4)
	v_add_nc_u16 v95, 0xf000, v95
	v_perm_b32 v89, v89, v90, 0xc0c0105
	v_lshlrev_b32_e32 v90, 4, v81
	v_add_nc_u16 v94, 0xf000, v94
	v_add_nc_u16 v91, 0xf000, v91
	v_lshrrev_b16 v95, 8, v95
	v_lshl_or_b32 v85, v89, 16, v85
	v_dual_lshlrev_b32 v96, 11, v81 :: v_dual_bitop2_b32 v90, 16, v90 bitop3:0x40
	s_delay_alu instid0(VALU_DEP_4)
	v_perm_b32 v91, v91, v94, 0xc0c0105
	v_and_b32_e32 v94, 0xf0f0f0f, v80
	v_bitop3_b16 v84, v84, v95, 0x1f00 bitop3:0xec
	v_dual_lshrrev_b32 v80, 4, v80 :: v_dual_lshrrev_b32 v95, 12, v81
	v_and_b32_e32 v96, 0x1000, v96
	v_dual_lshrrev_b32 v97, 5, v81 :: v_dual_lshlrev_b32 v98, 25, v81
	s_delay_alu instid0(VALU_DEP_3) | instskip(NEXT) | instid1(VALU_DEP_4)
	v_and_b32_e32 v80, 0xf0f0f0f, v80
	v_and_b32_e32 v95, 16, v95
	s_delay_alu instid0(VALU_DEP_4) | instskip(SKIP_4) | instid1(VALU_DEP_4)
	v_or3_b32 v90, v90, v94, v96
	v_lshlrev_b32_e32 v96, 18, v81
	v_and_b32_e32 v97, 0x1000, v97
	v_dual_lshlrev_b32 v99, 2, v81 :: v_dual_lshlrev_b32 v81, 9, v81
	v_add_nc_u16 v84, 0xf000, v84
	v_and_b32_e32 v96, 0x100000, v96
	s_delay_alu instid0(VALU_DEP_4)
	v_or3_b32 v95, v95, v80, v97
	v_and_b32_e32 v97, 0x10000000, v98
	v_and_b32_e32 v98, 0x100000, v99
	;; [unrolled: 1-line block ×4, first 2 shown]
	v_lshlrev_b16 v99, 8, v95
	v_or3_b32 v94, v94, v96, v97
	v_and_b32_e32 v96, 0x1f00, v90
	v_or3_b32 v80, v80, v98, v81
	v_lshlrev_b16 v81, 8, v90
	v_add_nc_u16 v90, 0xf000, v99
	v_lshrrev_b32_e32 v94, 16, v94
	v_add_nc_u16 v96, 0xf000, v96
	v_lshrrev_b32_e32 v80, 16, v80
	v_add_nc_u16 v81, 0xf000, v81
	v_lshrrev_b16 v90, 8, v90
	v_and_b32_e32 v97, 0x1f00, v94
	v_lshlrev_b16 v94, 8, v94
	v_and_b32_e32 v98, 0x1f00, v80
	v_lshlrev_b16 v80, 8, v80
	v_bitop3_b16 v90, v95, v90, 0x1f00 bitop3:0xec
	v_add_nc_u16 v95, 0xf000, v97
	v_add_nc_u16 v94, 0xf000, v94
	;; [unrolled: 1-line block ×5, first 2 shown]
	v_perm_b32 v81, v81, v96, 0xc0c0105
	v_perm_b32 v94, v94, v95, 0xc0c0105
	v_lshl_or_b32 v84, v91, 16, v84
	v_perm_b32 v80, v80, v97, 0xc0c0105
	v_and_b32_e32 v90, 0xffff, v90
	ds_store_2addr_b32 v53, v82, v83 offset1:1
	ds_store_2addr_b32 v55, v87, v86 offset1:1
	;; [unrolled: 1-line block ×3, first 2 shown]
	v_lshl_or_b32 v81, v94, 16, v81
	s_wait_loadcnt 0x2
	v_cvt_f32_f16_e32 v82, v92
	v_lshl_or_b32 v80, v80, 16, v90
	ds_store_2addr_b32 v227, v81, v80 offset1:1
	s_wait_loadcnt 0x1
	v_cvt_f32_f16_e32 v80, v103
	s_wait_loadcnt 0x0
	v_cvt_f32_f16_e32 v81, v105
	ds_store_b32 v206, v93
	ds_store_b32 v208, v82
	;; [unrolled: 1-line block ×4, first 2 shown]
	s_cbranch_scc0 .LBB141_5
; %bb.7:                                ;   in Loop: Header=BB141_6 Depth=1
	v_dual_add_nc_u32 v82, s10, v9 :: v_dual_mov_b32 v232, v222
	v_add_nc_u32_e32 v231, s10, v77
	s_mov_b32 s12, -4
	s_delay_alu instid0(VALU_DEP_2) | instskip(SKIP_2) | instid1(VALU_DEP_3)
	v_dual_mov_b32 v233, v228 :: v_dual_add_nc_u32 v80, v82, v79
	v_dual_mov_b32 v234, v229 :: v_dual_mov_b32 v235, v213
	v_dual_mov_b32 v236, v211 :: v_dual_mov_b32 v237, v209
	v_mad_nc_i64_i32 v[80:81], v80, 36, v[20:21]
	v_mov_b32_e32 v238, v207
	global_load_b32 v80, v[80:81], off offset:4
	s_wait_loadcnt 0x0
	ds_store_b32 v221, v80
	v_add_nc_u32_e32 v80, v82, v198
	s_delay_alu instid0(VALU_DEP_1) | instskip(SKIP_4) | instid1(VALU_DEP_1)
	v_mad_nc_i64_i32 v[80:81], v80, 36, v[20:21]
	global_load_b32 v80, v[80:81], off offset:4
	s_wait_loadcnt 0x0
	ds_store_b32 v214, v80
	v_add_nc_u32_e32 v80, v82, v199
	v_mad_nc_i64_i32 v[80:81], v80, 36, v[20:21]
	global_load_b32 v80, v[80:81], off offset:4
	s_wait_loadcnt 0x0
	ds_store_b32 v215, v80
	v_add_nc_u32_e32 v80, v82, v200
	s_delay_alu instid0(VALU_DEP_1) | instskip(SKIP_4) | instid1(VALU_DEP_1)
	v_mad_nc_i64_i32 v[80:81], v80, 36, v[20:21]
	global_load_b32 v80, v[80:81], off offset:4
	s_wait_loadcnt 0x0
	ds_store_b32 v216, v80
	v_add_nc_u32_e32 v80, v82, v201
	v_mad_nc_i64_i32 v[80:81], v80, 36, v[20:21]
	;; [unrolled: 11-line block ×3, first 2 shown]
	global_load_b32 v80, v[80:81], off offset:4
	s_wait_loadcnt 0x0
	ds_store_b32 v219, v80
	v_add_nc_u32_e32 v80, v82, v204
	s_delay_alu instid0(VALU_DEP_1)
	v_mad_nc_i64_i32 v[80:81], v80, 36, v[20:21]
	global_load_b32 v80, v[80:81], off offset:4
	s_wait_loadcnt 0x0
	ds_store_b32 v220, v80
	v_mad_nc_u64_u32 v[80:81], v231, 36, s[2:3]
	global_load_b32 v80, v[80:81], off
	s_wait_loadcnt 0x0
	v_cvt_f32_f16_e32 v80, v80
	ds_store_b32 v65, v80
	s_wait_dscnt 0x0
	s_barrier_signal -1
	s_barrier_wait -1
.LBB141_8:                              ;   Parent Loop BB141_6 Depth=1
                                        ; =>  This Inner Loop Header: Depth=2
	ds_load_2addr_b32 v[86:87], v234 offset1:32
	ds_load_2addr_b32 v[80:81], v233 offset1:1
	ds_load_2addr_b32 v[82:83], v233 offset0:2 offset1:3
	ds_load_2addr_b32 v[92:93], v233 offset0:4 offset1:5
	;; [unrolled: 1-line block ×3, first 2 shown]
	ds_load_b32 v90, v235
	ds_load_b32 v84, v236
	;; [unrolled: 1-line block ×4, first 2 shown]
	ds_load_2addr_b32 v[98:99], v234 offset0:64 offset1:96
	ds_load_2addr_b32 v[130:131], v234 offset0:128 offset1:160
	;; [unrolled: 1-line block ×6, first 2 shown]
	ds_load_2addr_b32 v[168:169], v232 offset1:7
	v_add_nc_u32_e32 v97, 0x2080, v233
	v_add_nc_u32_e32 v91, 0x4108, v233
	;; [unrolled: 1-line block ×39, first 2 shown]
	ds_load_2addr_b32 v[106:107], v97 offset1:1
	ds_load_2addr_b32 v[254:255], v100 offset1:1
	;; [unrolled: 1-line block ×16, first 2 shown]
	s_set_vgpr_msb 64                       ;  msbs: dst=1 src0=0 src1=0 src2=0
	ds_load_2addr_b32 v[0:1] /*v[256:257]*/, v91 offset1:1
	s_set_vgpr_msb 0                        ;  msbs: dst=0 src0=0 src1=0 src2=0
	ds_load_2addr_b32 v[182:183], v95 offset1:1
	ds_load_2addr_b32 v[162:163], v116 offset1:1
	;; [unrolled: 1-line block ×3, first 2 shown]
	s_set_vgpr_msb 64                       ;  msbs: dst=1 src0=0 src1=0 src2=0
	ds_load_2addr_b32 v[2:3] /*v[258:259]*/, v120 offset1:1
	s_set_vgpr_msb 0                        ;  msbs: dst=0 src0=0 src1=0 src2=0
	ds_load_2addr_b32 v[184:185], v121 offset1:1
	ds_load_2addr_b32 v[166:167], v122 offset1:1
	;; [unrolled: 1-line block ×18, first 2 shown]
	s_wait_dscnt 0x31
	v_pk_mul_f32 v[102:103], v[90:91], v[86:87] op_sel_hi:[0,1]
	s_wait_dscnt 0x2f
	v_pk_mul_f32 v[100:101], v[94:95], v[86:87] op_sel_hi:[0,1]
	;; [unrolled: 2-line block ×3, first 2 shown]
	v_mov_b32_e32 v85, v90
	s_wait_dscnt 0x2c
	s_set_vgpr_msb 64                       ;  msbs: dst=1 src0=0 src1=0 src2=0
	v_dual_mov_b32 v5 /*v261*/, v87 :: v_dual_mov_b32 v6 /*v262*/, v131
	s_wait_dscnt 0x2b
	s_set_vgpr_msb 0                        ;  msbs: dst=0 src0=0 src1=0 src2=0
	v_mov_b32_e32 v87, v133
	v_add_nc_u32_e32 v239, 0x1800, v232
	v_add_nc_u32_e32 v232, 32, v232
	s_set_vgpr_msb 64                       ;  msbs: dst=1 src0=0 src1=0 src2=0
	v_dual_ashrrev_i32 v10 /*v266*/, 24, v81 :: v_dual_mov_b32 v4 /*v260*/, v132
	s_set_vgpr_msb 0                        ;  msbs: dst=0 src0=0 src1=0 src2=0
	v_mov_b32_e32 v91, v84
	s_set_vgpr_msb 64                       ;  msbs: dst=1 src0=0 src1=0 src2=0
	v_dual_mov_b32 v7 /*v263*/, v98 :: v_dual_mov_b32 v8 /*v264*/, v130
	s_set_vgpr_msb 0                        ;  msbs: dst=0 src0=0 src1=0 src2=0
	v_pk_mul_f32 v[110:111], v[94:95], v[130:131] op_sel_hi:[0,1]
	v_pk_mul_f32 v[116:117], v[94:95], v[132:133] op_sel_hi:[0,1]
	s_wait_dscnt 0x2a
	v_lshlrev_b32_e32 v95, 8, v181
	s_wait_dscnt 0x29
	s_set_vgpr_msb 64                       ;  msbs: dst=1 src0=0 src1=0 src2=0
	v_dual_lshlrev_b32 v22 /*v278*/, 8, v176 :: v_dual_lshlrev_b32 v23 /*v279*/, 16, v177
	v_dual_lshlrev_b32 v24 /*v280*/, 8, v177 :: v_dual_lshlrev_b32 v25 /*v281*/, 16, v176
	s_wait_dscnt 0x26
	v_dual_lshlrev_b32 v37 /*v293*/, 8, v169 :: v_dual_ashrrev_i32 v39 /*v295*/, 24, v107
	s_wait_dscnt 0x22
	v_dual_ashrrev_i32 v41 /*v297*/, 24, v147 :: v_dual_lshlrev_b32 v48 /*v304*/, 16, v147
	s_set_vgpr_msb 0                        ;  msbs: dst=0 src0=0 src1=0 src2=0
	v_pk_mul_f32 v[86:87], v[86:87], v[84:85]
	v_mov_b32_e32 v85, v94
	v_bfe_i32 v253, v81, 0, 8
	s_set_vgpr_msb 64                       ;  msbs: dst=1 src0=0 src1=0 src2=0
	v_dual_mov_b32 v9 /*v265*/, v99 :: v_dual_lshlrev_b32 v15 /*v271*/, 16, v180
	v_perm_b32 v27 /*v283*/, v92, v92, 0xc0c0100
	v_perm_b32 v28 /*v284*/, v92, v83, 0x7020100
	;; [unrolled: 1-line block ×6, first 2 shown]
	s_set_vgpr_msb 0                        ;  msbs: dst=0 src0=0 src1=0 src2=0
	v_perm_b32 v251, v93, v93, 0xc0c0100
	v_perm_b32 v250, v88, v93, 0x7020100
	;; [unrolled: 1-line block ×4, first 2 shown]
	s_set_vgpr_msb 64                       ;  msbs: dst=1 src0=0 src1=0 src2=0
	v_bfe_i32 v38 /*v294*/, v107, 0, 8
	v_bfe_i32 v40 /*v296*/, v147, 0, 8
	s_wait_dscnt 0xd
	v_dual_ashrrev_i32 v45 /*v301*/, 24, v151 :: v_dual_ashrrev_i32 v54 /*v310*/, 24, v145
	s_set_vgpr_msb 4                        ;  msbs: dst=0 src0=0 src1=1 src2=0
	v_pk_mul_f32 v[92:93], v[90:91], v[4:5] /*v[260:261]*/
	s_set_vgpr_msb 64                       ;  msbs: dst=1 src0=0 src1=0 src2=0
	v_dual_ashrrev_i32 v5 /*v261*/, 24, v135 :: v_dual_lshlrev_b32 v59 /*v315*/, 16, v141
	v_dual_ashrrev_i32 v46 /*v302*/, 24, v115 :: v_dual_lshlrev_b32 v60 /*v316*/, 8, v141
	;; [unrolled: 1-line block ×3, first 2 shown]
	v_perm_b32 v74 /*v330*/, v181, v95, 0x7030c04
	s_set_vgpr_msb 0x44                     ;  msbs: dst=1 src0=0 src1=1 src2=0
	v_perm_b32 v22 /*v278*/, v176, v22 /*v278*/, 0x7030c04
	s_set_vgpr_msb 4                        ;  msbs: dst=0 src0=0 src1=1 src2=0
	v_perm_b32 v176, v177, v24 /*v280*/, 0xc0c0703
	v_pk_mul_f32 v[94:95], v[84:85], v[6:7] /*v[262:263]*/
	s_set_vgpr_msb 0x45                     ;  msbs: dst=1 src0=1 src1=1 src2=0
	v_mul_i32_i24_e32 v6 /*v262*/, v41 /*v297*/, v39 /*v295*/
	v_mul_i32_i24_e32 v24 /*v280*/, v41 /*v297*/, v10 /*v266*/
	s_set_vgpr_msb 0                        ;  msbs: dst=0 src0=0 src1=0 src2=0
	v_pk_mul_f32 v[112:113], v[96:97], v[130:131] op_sel_hi:[0,1]
	v_perm_b32 v247, v89, v88, 0x7020100
	s_set_vgpr_msb 64                       ;  msbs: dst=1 src0=0 src1=0 src2=0
	v_perm_b32 v33 /*v289*/, v88, v88, 0xc0c0201
	v_perm_b32 v34 /*v290*/, v89, v89, 0x4030c0c
	s_set_vgpr_msb 0                        ;  msbs: dst=0 src0=0 src1=0 src2=0
	v_perm_b32 v246, v88, v88, 0xc0c0100
	v_perm_b32 v245, v89, v89, 0xc0c0100
	s_set_vgpr_msb 64                       ;  msbs: dst=1 src0=0 src1=0 src2=0
	v_perm_b32 v35 /*v291*/, v80, v89, 0x504020c
	v_perm_b32 v36 /*v292*/, v89, v89, 0xc0c0c01
	s_set_vgpr_msb 0                        ;  msbs: dst=0 src0=0 src1=0 src2=0
	v_perm_b32 v244, v88, v88, 0xc0c0302
	v_bfe_i32 v243, v89, 16, 8
	v_bfe_i32 v242, v89, 0, 8
	v_perm_b32 v240, v89, v89, 0xc070601
	s_set_vgpr_msb 64                       ;  msbs: dst=1 src0=0 src1=0 src2=0
	v_bfe_i32 v44 /*v300*/, v151, 0, 8
	s_set_vgpr_msb 0                        ;  msbs: dst=0 src0=0 src1=0 src2=0
	v_pk_mul_f32 v[88:89], v[90:91], v[130:131] op_sel_hi:[0,1]
	s_set_vgpr_msb 64                       ;  msbs: dst=1 src0=0 src1=0 src2=0
	v_bfe_i32 v4 /*v260*/, v135, 0, 8
	v_dual_lshlrev_b32 v49 /*v305*/, 8, v147 :: v_dual_lshlrev_b32 v62 /*v318*/, 8, v145
	s_set_vgpr_msb 4                        ;  msbs: dst=0 src0=0 src1=1 src2=0
	v_pk_mul_f32 v[130:131], v[84:85], v[8:9] /*v[264:265]*/
	s_set_vgpr_msb 0x55                     ;  msbs: dst=1 src0=1 src1=1 src2=1
	v_mad_i32_i24 v6 /*v262*/, v40 /*v296*/, v38 /*v294*/, v6 /*v262*/
	v_mul_i32_i24_e32 v8 /*v264*/, v41 /*v297*/, v46 /*v302*/
	v_mul_i32_i24_e32 v9 /*v265*/, v41 /*v297*/, v47 /*v303*/
	s_set_vgpr_msb 0x51                     ;  msbs: dst=1 src0=1 src1=0 src2=1
	v_mad_i32_i24 v24 /*v280*/, v40 /*v296*/, v253, v24 /*v280*/
	s_set_vgpr_msb 0x45                     ;  msbs: dst=1 src0=1 src1=1 src2=0
	v_mul_i32_i24_e32 v40 /*v296*/, v45 /*v301*/, v10 /*v266*/
	v_mul_i32_i24_e32 v41 /*v297*/, v5 /*v261*/, v10 /*v266*/
	s_set_vgpr_msb 0x51                     ;  msbs: dst=1 src0=1 src1=0 src2=1
	v_dual_ashrrev_i32 v52 /*v308*/, 24, v139 :: v_dual_lshlrev_b32 v55 /*v311*/, 16, v139
	v_dual_lshlrev_b32 v56 /*v312*/, 8, v139 :: v_dual_lshlrev_b32 v69 /*v325*/, 16, v188
	v_mad_i32_i24 v40 /*v296*/, v44 /*v300*/, v253, v40 /*v296*/
	s_set_vgpr_msb 17                       ;  msbs: dst=0 src0=1 src1=0 src2=1
	v_mad_i32_i24 v253, v4 /*v260*/, v253, v41 /*v297*/
	v_perm_b32 v147, v48 /*v304*/, v147, 0xc0c0700
	s_set_vgpr_msb 0x44                     ;  msbs: dst=1 src0=0 src1=1 src2=0
	v_perm_b32 v4 /*v260*/, v188, v49 /*v305*/, 0x7030c0c
	s_set_vgpr_msb 0                        ;  msbs: dst=0 src0=0 src1=0 src2=0
	v_pk_mul_f32 v[108:109], v[96:97], v[98:99] op_sel_hi:[0,1]
	v_pk_mul_f32 v[96:97], v[96:97], v[132:133] op_sel_hi:[0,1]
	;; [unrolled: 1-line block ×3, first 2 shown]
	s_set_vgpr_msb 0x41                     ;  msbs: dst=1 src0=1 src1=0 src2=0
	v_perm_b32 v50 /*v306*/, v0 /*v256*/, v115, 0x7020100
	v_perm_b32 v51 /*v307*/, v2 /*v258*/, v119, 0x7020100
	v_dual_lshlrev_b32 v57 /*v313*/, 16, v143 :: v_dual_lshlrev_b32 v58 /*v314*/, 8, v143
	s_set_vgpr_msb 0                        ;  msbs: dst=0 src0=0 src1=0 src2=0
	v_pk_mul_f32 v[98:99], v[84:85], v[98:99] op_sel_hi:[0,1]
	v_pk_mul_f32 v[84:85], v[84:85], v[132:133] op_sel_hi:[0,1]
	s_wait_dscnt 0x7
	s_set_vgpr_msb 1                        ;  msbs: dst=0 src0=1 src1=0 src2=0
	v_dual_lshlrev_b32 v132, 8, v194 :: v_dual_bitop2_b32 v147, v4 /*v260*/, v147 bitop3:0x54
	s_set_vgpr_msb 0x41                     ;  msbs: dst=1 src0=1 src1=0 src2=0
	v_perm_b32 v44 /*v300*/, v55 /*v311*/, v139, 0xc0c0700
	s_set_vgpr_msb 0x44                     ;  msbs: dst=1 src0=0 src1=1 src2=0
	v_perm_b32 v4 /*v260*/, v192, v56 /*v312*/, 0x7030c0c
	s_set_vgpr_msb 64                       ;  msbs: dst=1 src0=0 src1=0 src2=0
	v_dual_ashrrev_i32 v43 /*v299*/, 24, v143 :: v_dual_ashrrev_i32 v53 /*v309*/, 24, v141
	s_set_vgpr_msb 0x54                     ;  msbs: dst=1 src0=0 src1=1 src2=1
	v_dot4_i32_iu8 v8 /*v264*/, v147, v50 /*v306*/, v8 /*v264*/ neg_lo:[1,1,0]
	s_set_vgpr_msb 0x41                     ;  msbs: dst=1 src0=1 src1=0 src2=0
	v_perm_b32 v45 /*v301*/, v57 /*v313*/, v143, 0xc0c0700
	s_set_vgpr_msb 20                       ;  msbs: dst=0 src0=0 src1=1 src2=1
	v_dot4_i32_iu8 v147, v147, v51 /*v307*/, v9 /*v265*/ neg_lo:[1,1,0]
	s_set_vgpr_msb 0x44                     ;  msbs: dst=1 src0=0 src1=1 src2=0
	v_perm_b32 v9 /*v265*/, v186, v58 /*v314*/, 0x7030c0c
	s_set_vgpr_msb 0x41                     ;  msbs: dst=1 src0=1 src1=0 src2=0
	v_perm_b32 v46 /*v302*/, v59 /*v315*/, v141, 0xc0c0700
	s_set_vgpr_msb 0x45                     ;  msbs: dst=1 src0=1 src1=1 src2=0
	v_or_b32_e32 v4 /*v260*/, v4 /*v260*/, v44 /*v300*/
	s_set_vgpr_msb 0x44                     ;  msbs: dst=1 src0=0 src1=1 src2=0
	v_perm_b32 v44 /*v300*/, v190, v60 /*v316*/, 0x7030c0c
	v_bfe_i32 v42 /*v298*/, v143, 0, 8
	s_set_vgpr_msb 5                        ;  msbs: dst=0 src0=1 src1=1 src2=0
	v_mul_i32_i24_e32 v133, v43 /*v299*/, v39 /*v295*/
	s_set_vgpr_msb 0x45                     ;  msbs: dst=1 src0=1 src1=1 src2=0
	v_or_b32_e32 v9 /*v265*/, v9 /*v265*/, v45 /*v301*/
	s_set_vgpr_msb 0x41                     ;  msbs: dst=1 src0=1 src1=0 src2=0
	v_perm_b32 v45 /*v301*/, v61 /*v317*/, v145, 0xc0c0700
	s_set_vgpr_msb 0x45                     ;  msbs: dst=1 src0=1 src1=1 src2=0
	v_or_b32_e32 v44 /*v300*/, v44 /*v300*/, v46 /*v302*/
	s_set_vgpr_msb 0x44                     ;  msbs: dst=1 src0=0 src1=1 src2=0
	v_perm_b32 v46 /*v302*/, v194, v62 /*v318*/, 0x7030c0c
	s_set_vgpr_msb 64                       ;  msbs: dst=1 src0=0 src1=0 src2=0
	v_perm_b32 v11 /*v267*/, v82, v81, 0x7020100
	v_dual_lshlrev_b32 v63 /*v319*/, 8, v151 :: v_dual_lshlrev_b32 v64 /*v320*/, 16, v151
	s_set_vgpr_msb 5                        ;  msbs: dst=0 src0=1 src1=1 src2=0
	v_mad_i32_i24 v133, v42 /*v298*/, v38 /*v294*/, v133
	s_set_vgpr_msb 0x45                     ;  msbs: dst=1 src0=1 src1=1 src2=0
	v_mul_i32_i24_e32 v41 /*v297*/, v52 /*v308*/, v10 /*v266*/
	v_mul_i32_i24_e32 v42 /*v298*/, v43 /*v299*/, v10 /*v266*/
	;; [unrolled: 1-line block ×4, first 2 shown]
	v_or_b32_e32 v45 /*v301*/, v46 /*v302*/, v45 /*v301*/
	s_set_vgpr_msb 0x44                     ;  msbs: dst=1 src0=0 src1=1 src2=0
	v_perm_b32 v47 /*v303*/, v188, v49 /*v305*/, 0x407030c
	s_set_vgpr_msb 0x45                     ;  msbs: dst=1 src0=1 src1=1 src2=0
	v_perm_b32 v48 /*v304*/, v48 /*v304*/, v48 /*v304*/, 0xc0c0c03
	s_set_vgpr_msb 64                       ;  msbs: dst=1 src0=0 src1=0 src2=0
	v_dual_lshlrev_b32 v65 /*v321*/, 8, v135 :: v_dual_lshlrev_b32 v66 /*v322*/, 16, v135
	s_set_vgpr_msb 0x55                     ;  msbs: dst=1 src0=1 src1=1 src2=1
	v_dot4_i32_iu8 v4 /*v260*/, v4 /*v260*/, v11 /*v267*/, v41 /*v297*/ neg_lo:[1,1,0]
	v_dot4_i32_iu8 v9 /*v265*/, v9 /*v265*/, v11 /*v267*/, v42 /*v298*/ neg_lo:[1,1,0]
	;; [unrolled: 1-line block ×4, first 2 shown]
	s_set_vgpr_msb 0x44                     ;  msbs: dst=1 src0=0 src1=1 src2=0
	v_perm_b32 v11 /*v267*/, v186, v58 /*v314*/, 0x407030c
	s_set_vgpr_msb 0x45                     ;  msbs: dst=1 src0=1 src1=1 src2=0
	v_perm_b32 v45 /*v301*/, v57 /*v313*/, v57 /*v313*/, 0xc0c0c03
	v_mul_i32_i24_e32 v5 /*v261*/, v5 /*v261*/, v39 /*v295*/
	s_set_vgpr_msb 0x44                     ;  msbs: dst=1 src0=0 src1=1 src2=0
	v_perm_b32 v39 /*v295*/, v196, v63 /*v319*/, 0x407030c
	s_set_vgpr_msb 0x45                     ;  msbs: dst=1 src0=1 src1=1 src2=0
	v_or_b32_e32 v47 /*v303*/, v47 /*v303*/, v48 /*v304*/
	v_perm_b32 v48 /*v304*/, v64 /*v320*/, v64 /*v320*/, 0xc0c0c03
	v_or_b32_e32 v11 /*v267*/, v11 /*v267*/, v45 /*v301*/
	s_set_vgpr_msb 0x44                     ;  msbs: dst=1 src0=0 src1=1 src2=0
	v_perm_b32 v45 /*v301*/, v170, v65 /*v321*/, 0x407030c
	s_set_vgpr_msb 64                       ;  msbs: dst=1 src0=0 src1=0 src2=0
	v_perm_b32 v12 /*v268*/, v82, v81, 0x4070201
	v_dual_lshlrev_b32 v16 /*v272*/, 8, v180 :: v_dual_lshlrev_b32 v17 /*v273*/, 16, v181
	s_set_vgpr_msb 0x55                     ;  msbs: dst=1 src0=1 src1=1 src2=1
	v_or_b32_e32 v39 /*v295*/, v39 /*v295*/, v48 /*v304*/
	v_perm_b32 v48 /*v304*/, v66 /*v322*/, v66 /*v322*/, 0xc0c0c03
	v_dot4_i32_iu8 v24 /*v280*/, v47 /*v303*/, v12 /*v268*/, v24 /*v280*/ neg_lo:[1,1,0]
	s_set_vgpr_msb 64                       ;  msbs: dst=1 src0=0 src1=0 src2=0
	v_perm_b32 v68 /*v324*/, v254, v107, 0x7020100
	v_lshlrev_b32_e32 v70 /*v326*/, 8, v188
	s_set_vgpr_msb 0x55                     ;  msbs: dst=1 src0=1 src1=1 src2=1
	v_dot4_i32_iu8 v39 /*v295*/, v39 /*v295*/, v12 /*v268*/, v40 /*v296*/ neg_lo:[1,1,0]
	v_or_b32_e32 v45 /*v301*/, v45 /*v301*/, v48 /*v304*/
	s_set_vgpr_msb 0x44                     ;  msbs: dst=1 src0=0 src1=1 src2=0
	v_perm_b32 v40 /*v296*/, v170, v65 /*v321*/, 0x7030c0c
	s_set_vgpr_msb 64                       ;  msbs: dst=1 src0=0 src1=0 src2=0
	v_dual_lshlrev_b32 v18 /*v274*/, 8, v178 :: v_dual_lshlrev_b32 v19 /*v275*/, 16, v179
	v_perm_b32 v67 /*v323*/, v254, v107, 0x4070201
	s_set_vgpr_msb 5                        ;  msbs: dst=0 src0=1 src1=1 src2=0
	v_dot4_i32_iu8 v253, v45 /*v301*/, v12 /*v268*/, v253 neg_lo:[1,1,0]
	s_set_vgpr_msb 0x41                     ;  msbs: dst=1 src0=1 src1=0 src2=0
	v_perm_b32 v12 /*v268*/, v66 /*v322*/, v135, 0xc0c0700
	v_lshlrev_b32_e32 v73 /*v329*/, 16, v192
	s_set_vgpr_msb 1                        ;  msbs: dst=0 src0=1 src1=0 src2=0
	v_perm_b32 v181, v15 /*v271*/, v180, 0xc0c0700
	s_set_vgpr_msb 4                        ;  msbs: dst=0 src0=0 src1=1 src2=0
	v_perm_b32 v180, v180, v16 /*v272*/, 0xc0c0703
	s_set_vgpr_msb 64                       ;  msbs: dst=1 src0=0 src1=0 src2=0
	v_lshlrev_b32_e32 v15 /*v271*/, 8, v192
	s_set_vgpr_msb 0x45                     ;  msbs: dst=1 src0=1 src1=1 src2=0
	v_or_b32_e32 v12 /*v268*/, v40 /*v296*/, v12 /*v268*/
	s_set_vgpr_msb 64                       ;  msbs: dst=1 src0=0 src1=0 src2=0
	v_lshlrev_b32_e32 v16 /*v272*/, 16, v186
	s_set_vgpr_msb 1                        ;  msbs: dst=0 src0=1 src1=0 src2=0
	v_perm_b32 v188, v69 /*v325*/, v188, 0xc0c0700
	s_set_vgpr_msb 64                       ;  msbs: dst=1 src0=0 src1=0 src2=0
	v_dual_lshlrev_b32 v20 /*v276*/, 8, v179 :: v_dual_lshlrev_b32 v21 /*v277*/, 16, v178
	s_set_vgpr_msb 0x55                     ;  msbs: dst=1 src0=1 src1=1 src2=1
	v_dot4_i32_iu8 v5 /*v261*/, v12 /*v268*/, v68 /*v324*/, v5 /*v261*/ neg_lo:[1,1,0]
	s_set_vgpr_msb 0x44                     ;  msbs: dst=1 src0=0 src1=1 src2=0
	v_perm_b32 v12 /*v268*/, v164, v70 /*v326*/, 0x7030c0c
	s_set_vgpr_msb 0                        ;  msbs: dst=0 src0=0 src1=0 src2=0
	v_lshlrev_b32_e32 v252, 16, v169
	s_set_vgpr_msb 0x44                     ;  msbs: dst=1 src0=0 src1=1 src2=0
	v_perm_b32 v18 /*v274*/, v178, v18 /*v274*/, 0x7030c04
	s_set_vgpr_msb 64                       ;  msbs: dst=1 src0=0 src1=0 src2=0
	v_dual_lshlrev_b32 v75 /*v331*/, 16, v190 :: v_dual_lshlrev_b32 v38 /*v294*/, 16, v196
	s_set_vgpr_msb 1                        ;  msbs: dst=0 src0=1 src1=0 src2=0
	v_perm_b32 v178, v23 /*v279*/, v177, 0xc0c0700
	v_lshlrev_b32_e32 v177, 8, v190
	s_set_vgpr_msb 5                        ;  msbs: dst=0 src0=1 src1=1 src2=0
	v_dot4_i32_iu8 v133, v11 /*v267*/, v67 /*v323*/, v133 neg_lo:[1,1,0]
	s_set_vgpr_msb 64                       ;  msbs: dst=1 src0=0 src1=0 src2=0
	v_perm_b32 v11 /*v267*/, v192, v192, 0xc0c0003
	s_set_vgpr_msb 1                        ;  msbs: dst=0 src0=1 src1=0 src2=0
	v_perm_b32 v192, v73 /*v329*/, v192, 0xc0c0700
	v_or_b32_e32 v188, v12 /*v268*/, v188
	s_set_vgpr_msb 0x44                     ;  msbs: dst=1 src0=0 src1=1 src2=0
	v_perm_b32 v12 /*v268*/, v156, v15 /*v271*/, 0x7030c0c
	s_set_vgpr_msb 0x45                     ;  msbs: dst=1 src0=1 src1=1 src2=0
	v_perm_b32 v71 /*v327*/, v1 /*v257*/, v0 /*v256*/, 0x7020100
	v_perm_b32 v72 /*v328*/, v3 /*v259*/, v2 /*v258*/, 0x7020100
	s_set_vgpr_msb 0x41                     ;  msbs: dst=1 src0=1 src1=0 src2=0
	v_perm_b32 v19 /*v275*/, v19 /*v275*/, v179, 0xc0c0700
	s_set_vgpr_msb 4                        ;  msbs: dst=0 src0=0 src1=1 src2=0
	v_perm_b32 v179, v179, v20 /*v276*/, 0xc0c0703
	s_set_vgpr_msb 0x41                     ;  msbs: dst=1 src0=1 src1=0 src2=0
	v_dual_lshlrev_b32 v20 /*v276*/, 8, v186 :: v_dual_lshlrev_b32 v7 /*v263*/, 8, v196
	v_perm_b32 v40 /*v296*/, v75 /*v331*/, v190, 0xc0c0700
	s_set_vgpr_msb 1                        ;  msbs: dst=0 src0=1 src1=0 src2=0
	v_or_b32_e32 v192, v12 /*v268*/, v192
	s_set_vgpr_msb 64                       ;  msbs: dst=1 src0=0 src1=0 src2=0
	v_perm_b32 v12 /*v268*/, v154, v177, 0x7030c0c
	s_set_vgpr_msb 0                        ;  msbs: dst=0 src0=0 src1=0 src2=0
	v_perm_b32 v190, v190, v190, 0xc0c0003
	s_set_vgpr_msb 4                        ;  msbs: dst=0 src0=0 src1=1 src2=0
	v_perm_b32 v177, v177, v75 /*v331*/, 0x7030c0c
	s_set_vgpr_msb 64                       ;  msbs: dst=1 src0=0 src1=0 src2=0
	v_lshlrev_b32_e32 v23 /*v279*/, 16, v194
	s_set_vgpr_msb 0x55                     ;  msbs: dst=1 src0=1 src1=1 src2=1
	v_dot4_i32_iu8 v6 /*v262*/, v47 /*v303*/, v67 /*v323*/, v6 /*v262*/ neg_lo:[1,1,0]
	s_set_vgpr_msb 64                       ;  msbs: dst=1 src0=0 src1=0 src2=0
	v_perm_b32 v47 /*v303*/, v186, v186, 0xc0c0003
	s_set_vgpr_msb 1                        ;  msbs: dst=0 src0=1 src1=0 src2=0
	v_perm_b32 v186, v16 /*v272*/, v186, 0xc0c0700
	s_set_vgpr_msb 0                        ;  msbs: dst=0 src0=0 src1=0 src2=0
	v_or_b32_e32 v177, v177, v190
	v_lshlrev_b32_e32 v190, 8, v174
	s_set_vgpr_msb 0x54                     ;  msbs: dst=1 src0=0 src1=1 src2=1
	v_dot4_i32_iu8 v8 /*v264*/, v188, v71 /*v327*/, v8 /*v264*/ neg_lo:[1,1,0]
	s_set_vgpr_msb 4                        ;  msbs: dst=0 src0=0 src1=1 src2=0
	v_dot4_i32_iu8 v147, v188, v72 /*v328*/, v147 neg_lo:[1,1,0]
	s_wait_dscnt 0x6
	v_perm_b32 v188, v158, v20 /*v276*/, 0x7030c0c
	s_set_vgpr_msb 64                       ;  msbs: dst=1 src0=0 src1=0 src2=0
	v_perm_b32 v13 /*v269*/, v83, v82, 0x7020100
	s_set_vgpr_msb 0x45                     ;  msbs: dst=1 src0=1 src1=1 src2=0
	v_or_b32_e32 v12 /*v268*/, v12 /*v268*/, v40 /*v296*/
	s_set_vgpr_msb 64                       ;  msbs: dst=1 src0=0 src1=0 src2=0
	v_perm_b32 v40 /*v296*/, v152, v132, 0x7030c0c
	v_dot4_i32_iu8 v26 /*v282*/, v80, v168, 0 neg_lo:[1,1,0]
	s_set_vgpr_msb 0                        ;  msbs: dst=0 src0=0 src1=0 src2=0
	v_or_b32_e32 v186, v188, v186
	s_set_vgpr_msb 1                        ;  msbs: dst=0 src0=1 src1=0 src2=0
	v_perm_b32 v188, v23 /*v279*/, v194, 0xc0c0700
	s_set_vgpr_msb 20                       ;  msbs: dst=0 src0=0 src1=1 src2=1
	v_dot4_i32_iu8 v192, v192, v13 /*v269*/, v4 /*v260*/ neg_lo:[1,1,0]
	s_set_vgpr_msb 0x55                     ;  msbs: dst=1 src0=1 src1=1 src2=1
	v_dot4_i32_iu8 v4 /*v260*/, v12 /*v268*/, v13 /*v269*/, v43 /*v299*/ neg_lo:[1,1,0]
	v_perm_b32 v12 /*v268*/, v21 /*v277*/, v21 /*v277*/, 0xc0c030c
	s_set_vgpr_msb 20                       ;  msbs: dst=0 src0=0 src1=1 src2=1
	v_dot4_i32_iu8 v186, v186, v13 /*v269*/, v9 /*v265*/ neg_lo:[1,1,0]
	s_set_vgpr_msb 1                        ;  msbs: dst=0 src0=1 src1=0 src2=0
	v_or_b32_e32 v188, v40 /*v296*/, v188
	s_set_vgpr_msb 0x45                     ;  msbs: dst=1 src0=1 src1=1 src2=0
	v_perm_b32 v9 /*v265*/, v17 /*v273*/, v17 /*v273*/, 0xc0c030c
	s_set_vgpr_msb 0x44                     ;  msbs: dst=1 src0=0 src1=1 src2=0
	v_perm_b32 v50 /*v306*/, v164, v70 /*v326*/, 0x407030c
	s_set_vgpr_msb 0x45                     ;  msbs: dst=1 src0=1 src1=1 src2=0
	v_perm_b32 v51 /*v307*/, v69 /*v325*/, v69 /*v325*/, 0xc0c0c03
	s_set_vgpr_msb 64                       ;  msbs: dst=1 src0=0 src1=0 src2=0
	v_dual_lshlrev_b32 v46 /*v302*/, 8, v170 :: v_dual_lshlrev_b32 v41 /*v297*/, 16, v170
	s_set_vgpr_msb 20                       ;  msbs: dst=0 src0=0 src1=1 src2=1
	v_dot4_i32_iu8 v188, v188, v13 /*v269*/, v10 /*v266*/ neg_lo:[1,1,0]
	s_set_vgpr_msb 64                       ;  msbs: dst=1 src0=0 src1=0 src2=0
	v_dot4_i32_iu8 v10 /*v266*/, v114, v168, 0 neg_lo:[1,1,0]
	v_dot4_i32_iu8 v13 /*v269*/, v118, v168, 0 neg_lo:[1,1,0]
	s_set_vgpr_msb 0                        ;  msbs: dst=0 src0=0 src1=0 src2=0
	v_dot4_i32_iu8 v168, v106, v168, 0 neg_lo:[1,1,0]
	s_set_vgpr_msb 0x45                     ;  msbs: dst=1 src0=1 src1=1 src2=0
	v_or_b32_e32 v9 /*v265*/, v74 /*v330*/, v9 /*v265*/
	v_perm_b32 v17 /*v273*/, v25 /*v281*/, v25 /*v281*/, 0xc0c030c
	v_or_b32_e32 v12 /*v268*/, v18 /*v274*/, v12 /*v268*/
	s_set_vgpr_msb 0x44                     ;  msbs: dst=1 src0=0 src1=1 src2=0
	v_perm_b32 v53 /*v309*/, v158, v20 /*v276*/, 0x407030c
	s_set_vgpr_msb 0x45                     ;  msbs: dst=1 src0=1 src1=1 src2=0
	v_perm_b32 v20 /*v276*/, v20 /*v276*/, v16 /*v272*/, 0x7030c0c
	s_set_vgpr_msb 17                       ;  msbs: dst=0 src0=1 src1=0 src2=1
	v_dot4_i32_iu8 v81, v9 /*v265*/, v81, v26 /*v282*/ neg_lo:[1,1,0]
	s_set_vgpr_msb 1                        ;  msbs: dst=0 src0=1 src1=0 src2=0
	v_dot4_i32_iu8 v168, v9 /*v265*/, v107, v168 neg_lo:[1,1,0]
	s_set_vgpr_msb 0x51                     ;  msbs: dst=1 src0=1 src1=0 src2=1
	v_dot4_i32_iu8 v10 /*v266*/, v9 /*v265*/, v115, v10 /*v266*/ neg_lo:[1,1,0]
	v_dot4_i32_iu8 v9 /*v265*/, v9 /*v265*/, v119, v13 /*v269*/ neg_lo:[1,1,0]
	s_set_vgpr_msb 0x45                     ;  msbs: dst=1 src0=1 src1=1 src2=0
	v_perm_b32 v16 /*v272*/, v16 /*v272*/, v16 /*v272*/, 0xc0c0c03
	v_or_b32_e32 v50 /*v306*/, v50 /*v306*/, v51 /*v307*/
	s_set_vgpr_msb 0x44                     ;  msbs: dst=1 src0=0 src1=1 src2=0
	v_perm_b32 v51 /*v307*/, v174, v7 /*v263*/, 0x407030c
	s_set_vgpr_msb 0x45                     ;  msbs: dst=1 src0=1 src1=1 src2=0
	v_perm_b32 v7 /*v263*/, v7 /*v263*/, v38 /*v294*/, 0x7030c0c
	v_perm_b32 v38 /*v294*/, v38 /*v294*/, v38 /*v294*/, 0xc0c0c03
	s_set_vgpr_msb 0                        ;  msbs: dst=0 src0=0 src1=0 src2=0
	v_perm_b32 v139, v139, v139, 0xc0c0003
	s_set_vgpr_msb 0x45                     ;  msbs: dst=1 src0=1 src1=1 src2=0
	v_or_b32_e32 v17 /*v273*/, v22 /*v278*/, v17 /*v273*/
	v_perm_b32 v21 /*v277*/, v0 /*v256*/, v0 /*v256*/, 0x2010003
	s_set_vgpr_msb 1                        ;  msbs: dst=0 src0=1 src1=0 src2=0
	v_dot4_i32_iu8 v81, v12 /*v268*/, v82, v81 neg_lo:[1,1,0]
	v_dot4_i32_iu8 v168, v12 /*v268*/, v254, v168 neg_lo:[1,1,0]
	s_set_vgpr_msb 0x55                     ;  msbs: dst=1 src0=1 src1=1 src2=1
	v_dot4_i32_iu8 v0 /*v256*/, v12 /*v268*/, v0 /*v256*/, v10 /*v266*/ neg_lo:[1,1,0]
	s_set_vgpr_msb 64                       ;  msbs: dst=1 src0=0 src1=0 src2=0
	v_perm_b32 v10 /*v266*/, v170, v170, 0xc0c0003
	s_set_vgpr_msb 0x55                     ;  msbs: dst=1 src0=1 src1=1 src2=1
	v_dot4_i32_iu8 v9 /*v265*/, v12 /*v268*/, v2 /*v258*/, v9 /*v265*/ neg_lo:[1,1,0]
	v_perm_b32 v13 /*v269*/, v56 /*v312*/, v55 /*v311*/, 0x7030c0c
	v_or_b32_e32 v16 /*v272*/, v53 /*v309*/, v16 /*v272*/
	s_set_vgpr_msb 0x44                     ;  msbs: dst=1 src0=0 src1=1 src2=0
	v_perm_b32 v53 /*v309*/, v148, v46 /*v302*/, 0x407030c
	s_set_vgpr_msb 0x45                     ;  msbs: dst=1 src0=1 src1=1 src2=0
	v_or_b32_e32 v38 /*v294*/, v51 /*v307*/, v38 /*v294*/
	v_perm_b32 v51 /*v307*/, v41 /*v297*/, v41 /*v297*/, 0xc0c0c03
	s_set_vgpr_msb 1                        ;  msbs: dst=0 src0=1 src1=0 src2=0
	v_perm_b32 v170, v41 /*v297*/, v170, 0xc0c0700
	s_set_vgpr_msb 0x45                     ;  msbs: dst=1 src0=1 src1=1 src2=0
	v_perm_b32 v41 /*v297*/, v46 /*v302*/, v41 /*v297*/, 0x7030c0c
	s_set_vgpr_msb 0x44                     ;  msbs: dst=1 src0=0 src1=1 src2=0
	v_perm_b32 v46 /*v302*/, v148, v46 /*v302*/, 0x7030c0c
	s_set_vgpr_msb 0                        ;  msbs: dst=0 src0=0 src1=0 src2=0
	v_bfe_i32 v241, v169, 0, 8
	v_perm_b32 v143, v143, v143, 0xc0c0003
	v_perm_b32 v141, v141, v141, 0xc0c0003
	;; [unrolled: 1-line block ×4, first 2 shown]
	s_set_vgpr_msb 4                        ;  msbs: dst=0 src0=0 src1=1 src2=0
	v_perm_b32 v169, v169, v37 /*v293*/, 0xc07030c
	s_set_vgpr_msb 0                        ;  msbs: dst=0 src0=0 src1=0 src2=0
	v_perm_b32 v135, v135, v135, 0xc0c0003
	s_set_vgpr_msb 1                        ;  msbs: dst=0 src0=1 src1=0 src2=0
	v_dot4_i32_iu8 v81, v17 /*v273*/, v83, v81 neg_lo:[1,1,0]
	v_dot4_i32_iu8 v168, v17 /*v273*/, v255, v168 neg_lo:[1,1,0]
	s_set_vgpr_msb 0x55                     ;  msbs: dst=1 src0=1 src1=1 src2=1
	v_dot4_i32_iu8 v0 /*v256*/, v17 /*v273*/, v1 /*v257*/, v0 /*v256*/ neg_lo:[1,1,0]
	v_dot4_i32_iu8 v9 /*v265*/, v17 /*v273*/, v3 /*v259*/, v9 /*v265*/ neg_lo:[1,1,0]
	v_perm_b32 v22 /*v278*/, v58 /*v314*/, v57 /*v313*/, 0x7030c0c
	s_set_vgpr_msb 64                       ;  msbs: dst=1 src0=0 src1=0 src2=0
	v_lshlrev_b32_e32 v25 /*v281*/, 8, v164
	s_set_vgpr_msb 0x45                     ;  msbs: dst=1 src0=1 src1=1 src2=0
	v_perm_b32 v26 /*v282*/, v60 /*v316*/, v59 /*v315*/, 0x7030c0c
	s_set_vgpr_msb 64                       ;  msbs: dst=1 src0=0 src1=0 src2=0
	v_perm_b32 v37 /*v293*/, v182, v182, 0xc0c0100
	v_perm_b32 v40 /*v296*/, v184, v184, 0xc0c0100
	s_set_vgpr_msb 0x45                     ;  msbs: dst=1 src0=1 src1=1 src2=0
	v_perm_b32 v43 /*v299*/, v62 /*v318*/, v61 /*v317*/, 0x7030c0c
	s_set_vgpr_msb 64                       ;  msbs: dst=1 src0=0 src1=0 src2=0
	v_perm_b32 v45 /*v301*/, v172, v172, 0xc0c0100
	s_set_vgpr_msb 0x45                     ;  msbs: dst=1 src0=1 src1=1 src2=0
	v_perm_b32 v48 /*v304*/, v63 /*v319*/, v64 /*v320*/, 0x7030c0c
	v_perm_b32 v52 /*v308*/, v65 /*v321*/, v66 /*v322*/, 0x7030c0c
	s_set_vgpr_msb 1                        ;  msbs: dst=0 src0=1 src1=0 src2=0
	v_or_b32_e32 v170, v46 /*v302*/, v170
	s_set_vgpr_msb 64                       ;  msbs: dst=1 src0=0 src1=0 src2=0
	v_lshlrev_b32_e32 v46 /*v302*/, 16, v158
	s_set_vgpr_msb 1                        ;  msbs: dst=0 src0=1 src1=0 src2=0
	v_or_b32_e32 v139, v13 /*v269*/, v139
	s_set_vgpr_msb 64                       ;  msbs: dst=1 src0=0 src1=0 src2=0
	v_lshlrev_b32_e32 v13 /*v269*/, 8, v158
	v_perm_b32 v14 /*v270*/, v83, v82, 0x4070201
	v_perm_b32 v42 /*v298*/, v255, v254, 0x4070201
	;; [unrolled: 1-line block ×3, first 2 shown]
	s_set_vgpr_msb 0                        ;  msbs: dst=0 src0=0 src1=0 src2=0
	v_perm_b32 v194, v194, v194, 0xc0c0003
	v_perm_b32 v196, v196, v196, 0xc0c0003
	;; [unrolled: 1-line block ×5, first 2 shown]
	s_set_vgpr_msb 0x45                     ;  msbs: dst=1 src0=1 src1=1 src2=0
	v_perm_b32 v15 /*v271*/, v15 /*v271*/, v73 /*v329*/, 0x7030c0c
	s_set_vgpr_msb 64                       ;  msbs: dst=1 src0=0 src1=0 src2=0
	v_lshlrev_b32_e32 v17 /*v273*/, 16, v164
	s_set_vgpr_msb 4                        ;  msbs: dst=0 src0=0 src1=1 src2=0
	v_perm_b32 v132, v132, v23 /*v279*/, 0x7030c0c
	s_set_vgpr_msb 0x45                     ;  msbs: dst=1 src0=1 src1=1 src2=0
	v_or_b32_e32 v51 /*v307*/, v53 /*v309*/, v51 /*v307*/
	s_set_vgpr_msb 1                        ;  msbs: dst=0 src0=1 src1=0 src2=0
	v_or_b32_e32 v143, v22 /*v278*/, v143
	s_set_vgpr_msb 0x45                     ;  msbs: dst=1 src0=1 src1=1 src2=0
	v_or_b32_e32 v20 /*v276*/, v20 /*v276*/, v47 /*v303*/
	s_set_vgpr_msb 64                       ;  msbs: dst=1 src0=0 src1=0 src2=0
	v_lshlrev_b32_e32 v47 /*v303*/, 16, v152
	s_set_vgpr_msb 1                        ;  msbs: dst=0 src0=1 src1=0 src2=0
	v_or_b32_e32 v141, v26 /*v282*/, v141
	v_or_b32_e32 v145, v43 /*v299*/, v145
	;; [unrolled: 1-line block ×4, first 2 shown]
	s_set_vgpr_msb 64                       ;  msbs: dst=1 src0=0 src1=0 src2=0
	v_perm_b32 v52 /*v308*/, v158, v158, 0xc0c0003
	s_set_vgpr_msb 0x55                     ;  msbs: dst=1 src0=1 src1=1 src2=1
	v_dot4_i32_iu8 v0 /*v256*/, v19 /*v275*/, v37 /*v293*/, v0 /*v256*/ neg_lo:[1,1,0]
	v_dot4_i32_iu8 v9 /*v265*/, v19 /*v275*/, v40 /*v296*/, v9 /*v265*/ neg_lo:[1,1,0]
	s_set_vgpr_msb 5                        ;  msbs: dst=0 src0=1 src1=1 src2=0
	v_dot4_i32_iu8 v168, v19 /*v275*/, v45 /*v301*/, v168 neg_lo:[1,1,0]
	s_set_vgpr_msb 1                        ;  msbs: dst=0 src0=1 src1=0 src2=0
	v_perm_b32 v158, v46 /*v302*/, v158, 0xc0c0700
	s_set_vgpr_msb 5                        ;  msbs: dst=0 src0=1 src1=1 src2=0
	v_dot4_i32_iu8 v81, v19 /*v275*/, v27 /*v283*/, v81 neg_lo:[1,1,0]
	s_set_vgpr_msb 0x44                     ;  msbs: dst=1 src0=0 src1=1 src2=0
	v_perm_b32 v19 /*v275*/, v187, v13 /*v269*/, 0x7030c0c
	s_set_vgpr_msb 64                       ;  msbs: dst=1 src0=0 src1=0 src2=0
	v_perm_b32 v18 /*v274*/, v254, v254, 0x2010003
	s_set_vgpr_msb 0x45                     ;  msbs: dst=1 src0=1 src1=1 src2=0
	v_perm_b32 v2 /*v258*/, v2 /*v258*/, v2 /*v258*/, 0x2010003
	v_or_b32_e32 v11 /*v267*/, v15 /*v271*/, v11 /*v267*/
	s_set_vgpr_msb 0                        ;  msbs: dst=0 src0=0 src1=0 src2=0
	v_or_b32_e32 v132, v132, v194
	s_set_vgpr_msb 1                        ;  msbs: dst=0 src0=1 src1=0 src2=0
	v_or_b32_e32 v196, v7 /*v263*/, v196
	s_set_vgpr_msb 0x45                     ;  msbs: dst=1 src0=1 src1=1 src2=0
	v_or_b32_e32 v10 /*v266*/, v41 /*v297*/, v10 /*v266*/
	s_set_vgpr_msb 5                        ;  msbs: dst=0 src0=1 src1=1 src2=0
	v_dot4_i32_iu8 v133, v16 /*v272*/, v42 /*v298*/, v133 neg_lo:[1,1,0]
	s_set_vgpr_msb 64                       ;  msbs: dst=1 src0=0 src1=0 src2=0
	v_dot4_i32_iu8 v16 /*v272*/, v139, v107, 0 neg_lo:[1,1,0]
	s_set_vgpr_msb 0x55                     ;  msbs: dst=1 src0=1 src1=1 src2=1
	v_dot4_i32_iu8 v6 /*v262*/, v50 /*v306*/, v42 /*v298*/, v6 /*v262*/ neg_lo:[1,1,0]
	s_set_vgpr_msb 64                       ;  msbs: dst=1 src0=0 src1=0 src2=0
	v_dot4_i32_iu8 v42 /*v298*/, v139, v115, 0 neg_lo:[1,1,0]
	s_set_vgpr_msb 0                        ;  msbs: dst=0 src0=0 src1=0 src2=0
	v_dot4_i32_iu8 v139, v139, v119, 0 neg_lo:[1,1,0]
	s_set_vgpr_msb 0x55                     ;  msbs: dst=1 src0=1 src1=1 src2=1
	v_dot4_i32_iu8 v24 /*v280*/, v50 /*v306*/, v14 /*v270*/, v24 /*v280*/ neg_lo:[1,1,0]
	s_set_vgpr_msb 64                       ;  msbs: dst=1 src0=0 src1=0 src2=0
	v_dot4_i32_iu8 v50 /*v306*/, v143, v115, 0 neg_lo:[1,1,0]
	s_set_vgpr_msb 0                        ;  msbs: dst=0 src0=0 src1=0 src2=0
	v_dot4_i32_iu8 v143, v143, v119, 0 neg_lo:[1,1,0]
	s_set_vgpr_msb 0x55                     ;  msbs: dst=1 src0=1 src1=1 src2=1
	v_dot4_i32_iu8 v38 /*v294*/, v38 /*v294*/, v14 /*v270*/, v39 /*v295*/ neg_lo:[1,1,0]
	s_set_vgpr_msb 64                       ;  msbs: dst=1 src0=0 src1=0 src2=0
	v_dot4_i32_iu8 v39 /*v295*/, v141, v107, 0 neg_lo:[1,1,0]
	s_set_vgpr_msb 5                        ;  msbs: dst=0 src0=1 src1=1 src2=0
	v_dot4_i32_iu8 v253, v51 /*v307*/, v14 /*v270*/, v253 neg_lo:[1,1,0]
	s_set_vgpr_msb 64                       ;  msbs: dst=1 src0=0 src1=0 src2=0
	v_dot4_i32_iu8 v14 /*v270*/, v141, v115, 0 neg_lo:[1,1,0]
	s_set_vgpr_msb 0                        ;  msbs: dst=0 src0=0 src1=0 src2=0
	v_dot4_i32_iu8 v141, v141, v119, 0 neg_lo:[1,1,0]
	s_set_vgpr_msb 64                       ;  msbs: dst=1 src0=0 src1=0 src2=0
	v_dot4_i32_iu8 v51 /*v307*/, v145, v107, 0 neg_lo:[1,1,0]
	s_set_vgpr_msb 20                       ;  msbs: dst=0 src0=0 src1=1 src2=1
	v_dot4_i32_iu8 v170, v170, v44 /*v300*/, v5 /*v261*/ neg_lo:[1,1,0]
	s_set_vgpr_msb 64                       ;  msbs: dst=1 src0=0 src1=0 src2=0
	v_dot4_i32_iu8 v5 /*v261*/, v145, v115, 0 neg_lo:[1,1,0]
	s_set_vgpr_msb 0                        ;  msbs: dst=0 src0=0 src1=0 src2=0
	v_dot4_i32_iu8 v145, v145, v119, 0 neg_lo:[1,1,0]
	v_dot4_i32_iu8 v107, v151, v107, 0 neg_lo:[1,1,0]
	s_set_vgpr_msb 64                       ;  msbs: dst=1 src0=0 src1=0 src2=0
	v_dot4_i32_iu8 v44 /*v300*/, v151, v115, 0 neg_lo:[1,1,0]
	s_set_vgpr_msb 0                        ;  msbs: dst=0 src0=0 src1=0 src2=0
	v_dot4_i32_iu8 v151, v151, v119, 0 neg_lo:[1,1,0]
	v_dot4_i32_iu8 v119, v135, v119, 0 neg_lo:[1,1,0]
	s_set_vgpr_msb 1                        ;  msbs: dst=0 src0=1 src1=0 src2=0
	v_or_b32_e32 v158, v19 /*v275*/, v158
	s_set_vgpr_msb 0x55                     ;  msbs: dst=1 src0=1 src1=1 src2=1
	v_dot4_i32_iu8 v16 /*v272*/, v11 /*v267*/, v18 /*v274*/, v16 /*v272*/ neg_lo:[1,1,0]
	v_dot4_i32_iu8 v42 /*v298*/, v11 /*v267*/, v21 /*v277*/, v42 /*v298*/ neg_lo:[1,1,0]
	s_set_vgpr_msb 5                        ;  msbs: dst=0 src0=1 src1=1 src2=0
	v_dot4_i32_iu8 v139, v11 /*v267*/, v2 /*v258*/, v139 neg_lo:[1,1,0]
	s_set_vgpr_msb 0x55                     ;  msbs: dst=1 src0=1 src1=1 src2=1
	v_dot4_i32_iu8 v11 /*v267*/, v20 /*v276*/, v21 /*v277*/, v50 /*v306*/ neg_lo:[1,1,0]
	s_set_vgpr_msb 5                        ;  msbs: dst=0 src0=1 src1=1 src2=0
	v_dot4_i32_iu8 v143, v20 /*v276*/, v2 /*v258*/, v143 neg_lo:[1,1,0]
	s_set_vgpr_msb 0x54                     ;  msbs: dst=1 src0=0 src1=1 src2=1
	v_dot4_i32_iu8 v50 /*v306*/, v132, v18 /*v274*/, v51 /*v307*/ neg_lo:[1,1,0]
	v_dot4_i32_iu8 v5 /*v261*/, v132, v21 /*v277*/, v5 /*v261*/ neg_lo:[1,1,0]
	s_set_vgpr_msb 4                        ;  msbs: dst=0 src0=0 src1=1 src2=0
	v_dot4_i32_iu8 v132, v132, v2 /*v258*/, v145 neg_lo:[1,1,0]
	v_dot4_i32_iu8 v151, v196, v2 /*v258*/, v151 neg_lo:[1,1,0]
	s_set_vgpr_msb 5                        ;  msbs: dst=0 src0=1 src1=1 src2=0
	v_dot4_i32_iu8 v119, v10 /*v266*/, v2 /*v258*/, v119 neg_lo:[1,1,0]
	s_set_vgpr_msb 1                        ;  msbs: dst=0 src0=1 src1=0 src2=0
	v_perm_b32 v164, v17 /*v273*/, v164, 0xc0c0700
	s_set_vgpr_msb 4                        ;  msbs: dst=0 src0=0 src1=1 src2=0
	v_dot4_i32_iu8 v158, v158, v28 /*v284*/, v186 neg_lo:[1,1,0]
	s_set_vgpr_msb 0                        ;  msbs: dst=0 src0=0 src1=0 src2=0
	v_lshlrev_b32_e32 v186, 16, v191
	s_set_vgpr_msb 4                        ;  msbs: dst=0 src0=0 src1=1 src2=0
	v_dot4_i32_iu8 v141, v177, v2 /*v258*/, v141 neg_lo:[1,1,0]
	s_set_vgpr_msb 0x44                     ;  msbs: dst=1 src0=0 src1=1 src2=0
	v_perm_b32 v2 /*v258*/, v189, v25 /*v281*/, 0x7030c0c
	v_perm_b32 v12 /*v268*/, v184, v3 /*v259*/, 0x7020100
	s_set_vgpr_msb 64                       ;  msbs: dst=1 src0=0 src1=0 src2=0
	v_dual_lshlrev_b32 v23 /*v279*/, 16, v156 :: v_dual_lshlrev_b32 v49 /*v305*/, 8, v156
	v_dual_lshlrev_b32 v15 /*v271*/, 16, v154 :: v_dual_lshlrev_b32 v22 /*v278*/, 8, v154
	s_set_vgpr_msb 1                        ;  msbs: dst=0 src0=1 src1=0 src2=0
	v_or_b32_e32 v164, v2 /*v258*/, v164
	s_set_vgpr_msb 64                       ;  msbs: dst=1 src0=0 src1=0 src2=0
	v_perm_b32 v7 /*v263*/, v156, v156, 0xc0c0003
	s_set_vgpr_msb 1                        ;  msbs: dst=0 src0=1 src1=0 src2=0
	v_perm_b32 v156, v23 /*v279*/, v156, 0xc0c0700
	s_set_vgpr_msb 64                       ;  msbs: dst=1 src0=0 src1=0 src2=0
	v_dual_lshlrev_b32 v26 /*v282*/, 8, v152 :: v_dual_lshlrev_b32 v43 /*v299*/, 16, v174
	s_set_vgpr_msb 4                        ;  msbs: dst=0 src0=0 src1=1 src2=0
	v_dot4_i32_iu8 v147, v164, v12 /*v268*/, v147 neg_lo:[1,1,0]
	s_set_vgpr_msb 0x44                     ;  msbs: dst=1 src0=0 src1=1 src2=0
	v_perm_b32 v12 /*v268*/, v193, v49 /*v305*/, 0x7030c0c
	s_set_vgpr_msb 64                       ;  msbs: dst=1 src0=0 src1=0 src2=0
	v_perm_b32 v41 /*v297*/, v154, v154, 0xc0c0003
	s_set_vgpr_msb 1                        ;  msbs: dst=0 src0=1 src1=0 src2=0
	v_perm_b32 v154, v15 /*v271*/, v154, 0xc0c0700
	s_set_vgpr_msb 0                        ;  msbs: dst=0 src0=0 src1=0 src2=0
	v_dot4_i32_iu8 v115, v135, v115, 0 neg_lo:[1,1,0]
	v_perm_b32 v135, v152, v152, 0xc0c0003
	s_set_vgpr_msb 1                        ;  msbs: dst=0 src0=1 src1=0 src2=0
	v_or_b32_e32 v156, v12 /*v268*/, v156
	s_set_vgpr_msb 0x44                     ;  msbs: dst=1 src0=0 src1=1 src2=0
	v_perm_b32 v12 /*v268*/, v191, v22 /*v278*/, 0x7030c0c
	s_set_vgpr_msb 1                        ;  msbs: dst=0 src0=1 src1=0 src2=0
	v_perm_b32 v152, v47 /*v303*/, v152, 0xc0c0700
	s_set_vgpr_msb 0x44                     ;  msbs: dst=1 src0=0 src1=1 src2=0
	v_perm_b32 v19 /*v275*/, v189, v25 /*v281*/, 0x407030c
	s_set_vgpr_msb 0x45                     ;  msbs: dst=1 src0=1 src1=1 src2=0
	v_perm_b32 v17 /*v273*/, v17 /*v273*/, v17 /*v273*/, 0xc0c0c03
	s_set_vgpr_msb 1                        ;  msbs: dst=0 src0=1 src1=0 src2=0
	v_dual_lshlrev_b32 v194, 8, v148 :: v_dual_bitop2_b32 v154, v12 /*v268*/, v154 bitop3:0x54
	s_set_vgpr_msb 0x44                     ;  msbs: dst=1 src0=0 src1=1 src2=0
	v_perm_b32 v12 /*v268*/, v195, v26 /*v282*/, 0x7030c0c
	s_set_vgpr_msb 64                       ;  msbs: dst=1 src0=0 src1=0 src2=0
	v_lshlrev_b32_e32 v48 /*v304*/, 16, v148
	v_perm_b32 v25 /*v281*/, v197, v190, 0x407030c
	s_set_vgpr_msb 0x45                     ;  msbs: dst=1 src0=1 src1=1 src2=0
	v_or_b32_e32 v17 /*v273*/, v19 /*v275*/, v17 /*v273*/
	s_set_vgpr_msb 20                       ;  msbs: dst=0 src0=0 src1=1 src2=1
	v_dot4_i32_iu8 v154, v154, v28 /*v284*/, v4 /*v260*/ neg_lo:[1,1,0]
	s_set_vgpr_msb 1                        ;  msbs: dst=0 src0=1 src1=0 src2=0
	v_or_b32_e32 v152, v12 /*v268*/, v152
	s_set_vgpr_msb 0x44                     ;  msbs: dst=1 src0=0 src1=1 src2=0
	v_perm_b32 v4 /*v260*/, v187, v13 /*v269*/, 0x407030c
	s_set_vgpr_msb 0x45                     ;  msbs: dst=1 src0=1 src1=1 src2=0
	v_perm_b32 v19 /*v275*/, v43 /*v299*/, v43 /*v299*/, 0xc0c0c03
	s_set_vgpr_msb 5                        ;  msbs: dst=0 src0=1 src1=1 src2=0
	v_dot4_i32_iu8 v115, v10 /*v266*/, v21 /*v277*/, v115 neg_lo:[1,1,0]
	s_set_vgpr_msb 64                       ;  msbs: dst=1 src0=0 src1=0 src2=0
	v_lshlrev_b32_e32 v10 /*v266*/, 8, v193
	s_set_vgpr_msb 4                        ;  msbs: dst=0 src0=0 src1=1 src2=0
	v_dot4_i32_iu8 v152, v152, v28 /*v284*/, v188 neg_lo:[1,1,0]
	s_set_vgpr_msb 5                        ;  msbs: dst=0 src0=1 src1=1 src2=0
	v_perm_b32 v188, v46 /*v302*/, v46 /*v302*/, 0xc0c0c03
	s_set_vgpr_msb 0x45                     ;  msbs: dst=1 src0=1 src1=1 src2=0
	v_or_b32_e32 v19 /*v275*/, v25 /*v281*/, v19 /*v275*/
	v_perm_b32 v25 /*v281*/, v48 /*v304*/, v48 /*v304*/, 0xc0c0c03
	s_set_vgpr_msb 0                        ;  msbs: dst=0 src0=0 src1=0 src2=0
	v_perm_b32 v174, v174, v174, 0xc0c0003
	s_set_vgpr_msb 4                        ;  msbs: dst=0 src0=0 src1=1 src2=0
	v_perm_b32 v190, v190, v43 /*v299*/, 0x7030c0c
	s_set_vgpr_msb 1                        ;  msbs: dst=0 src0=1 src1=0 src2=0
	v_or_b32_e32 v188, v4 /*v260*/, v188
	s_set_vgpr_msb 64                       ;  msbs: dst=1 src0=0 src1=0 src2=0
	v_perm_b32 v4 /*v260*/, v171, v194, 0x407030c
	s_set_vgpr_msb 0                        ;  msbs: dst=0 src0=0 src1=0 src2=0
	v_perm_b32 v82, v172, v255, 0x4070201
	v_perm_b32 v83, v172, v255, 0x7020100
	;; [unrolled: 1-line block ×3, first 2 shown]
	s_set_vgpr_msb 4                        ;  msbs: dst=0 src0=0 src1=1 src2=0
	v_perm_b32 v255, v182, v1 /*v257*/, 0x7020100
	s_set_vgpr_msb 0x45                     ;  msbs: dst=1 src0=1 src1=1 src2=0
	v_or_b32_e32 v4 /*v260*/, v4 /*v260*/, v25 /*v281*/
	v_perm_b32 v1 /*v257*/, v1 /*v257*/, v1 /*v257*/, 0x2010003
	s_set_vgpr_msb 64                       ;  msbs: dst=1 src0=0 src1=0 src2=0
	v_perm_b32 v20 /*v276*/, v148, v148, 0xc0c0003
	s_set_vgpr_msb 0x54                     ;  msbs: dst=1 src0=0 src1=1 src2=1
	v_dot4_i32_iu8 v39 /*v295*/, v177, v18 /*v274*/, v39 /*v295*/ neg_lo:[1,1,0]
	v_dot4_i32_iu8 v14 /*v270*/, v177, v21 /*v277*/, v14 /*v270*/ neg_lo:[1,1,0]
	s_set_vgpr_msb 0                        ;  msbs: dst=0 src0=0 src1=0 src2=0
	v_dual_lshlrev_b32 v177, 16, v189 :: v_dual_lshlrev_b32 v145, 8, v189
	s_set_vgpr_msb 0x54                     ;  msbs: dst=1 src0=0 src1=1 src2=1
	v_dot4_i32_iu8 v44 /*v300*/, v196, v21 /*v277*/, v44 /*v300*/ neg_lo:[1,1,0]
	s_set_vgpr_msb 5                        ;  msbs: dst=0 src0=1 src1=1 src2=0
	v_dot4_i32_iu8 v253, v4 /*v260*/, v29 /*v285*/, v253 neg_lo:[1,1,0]
	s_set_vgpr_msb 64                       ;  msbs: dst=1 src0=0 src1=0 src2=0
	v_perm_b32 v4 /*v260*/, v171, v194, 0x7030c0c
	s_set_vgpr_msb 4                        ;  msbs: dst=0 src0=0 src1=1 src2=0
	v_perm_b32 v194, v194, v48 /*v304*/, 0x7030c0c
	s_set_vgpr_msb 0                        ;  msbs: dst=0 src0=0 src1=0 src2=0
	v_or_b32_e32 v174, v190, v174
	s_set_vgpr_msb 0x45                     ;  msbs: dst=1 src0=1 src1=1 src2=0
	v_perm_b32 v3 /*v259*/, v3 /*v259*/, v3 /*v259*/, 0x2010003
	s_set_vgpr_msb 0                        ;  msbs: dst=0 src0=0 src1=0 src2=0
	v_perm_b32 v189, v177, v189, 0xc0c0700
	s_set_vgpr_msb 4                        ;  msbs: dst=0 src0=0 src1=1 src2=0
	v_dot4_i32_iu8 v107, v196, v18 /*v274*/, v107 neg_lo:[1,1,0]
	v_or_b32_e32 v194, v194, v20 /*v276*/
	s_set_vgpr_msb 0x54                     ;  msbs: dst=1 src0=0 src1=1 src2=1
	v_dot4_i32_iu8 v43 /*v299*/, v174, v1 /*v257*/, v44 /*v300*/ neg_lo:[1,1,0]
	s_set_vgpr_msb 64                       ;  msbs: dst=1 src0=0 src1=0 src2=0
	v_perm_b32 v44 /*v300*/, v165, v145, 0x7030c0c
	v_perm_b32 v18 /*v274*/, v183, v182, 0x7020100
	s_set_vgpr_msb 0                        ;  msbs: dst=0 src0=0 src1=0 src2=0
	v_perm_b32 v196, v185, v184, 0x7020100
	s_set_vgpr_msb 4                        ;  msbs: dst=0 src0=0 src1=1 src2=0
	v_dot4_i32_iu8 v115, v194, v1 /*v257*/, v115 neg_lo:[1,1,0]
	v_dot4_i32_iu8 v119, v194, v3 /*v259*/, v119 neg_lo:[1,1,0]
	s_set_vgpr_msb 16                       ;  msbs: dst=0 src0=0 src1=0 src2=1
	v_lshlrev_b32_e32 v194, 16, v155
	v_dot4_i32_iu8 v255, v164, v255, v8 /*v264*/ neg_lo:[1,1,0]
	s_set_vgpr_msb 1                        ;  msbs: dst=0 src0=1 src1=0 src2=0
	v_or_b32_e32 v189, v44 /*v300*/, v189
	v_lshlrev_b32_e32 v164, 16, v193
	s_set_vgpr_msb 0x45                     ;  msbs: dst=1 src0=1 src1=1 src2=0
	v_perm_b32 v23 /*v279*/, v49 /*v305*/, v23 /*v279*/, 0x7030c0c
	v_perm_b32 v15 /*v271*/, v22 /*v278*/, v15 /*v271*/, 0x7030c0c
	;; [unrolled: 1-line block ×3, first 2 shown]
	s_set_vgpr_msb 4                        ;  msbs: dst=0 src0=0 src1=1 src2=0
	v_dot4_i32_iu8 v255, v189, v18 /*v274*/, v255 neg_lo:[1,1,0]
	s_set_vgpr_msb 0                        ;  msbs: dst=0 src0=0 src1=0 src2=0
	v_dot4_i32_iu8 v147, v189, v196, v147 neg_lo:[1,1,0]
	v_dual_lshlrev_b32 v189, 8, v175 :: v_dual_lshlrev_b32 v196, 16, v175
	v_dot4_i32_iu8 v133, v188, v82, v133 neg_lo:[1,1,0]
	s_set_vgpr_msb 17                       ;  msbs: dst=0 src0=1 src1=0 src2=1
	v_dot4_i32_iu8 v82, v17 /*v273*/, v82, v6 /*v262*/ neg_lo:[1,1,0]
	s_set_vgpr_msb 0x55                     ;  msbs: dst=1 src0=1 src1=1 src2=1
	v_dot4_i32_iu8 v17 /*v273*/, v17 /*v273*/, v29 /*v285*/, v24 /*v280*/ neg_lo:[1,1,0]
	v_dot4_i32_iu8 v19 /*v275*/, v19 /*v275*/, v29 /*v285*/, v38 /*v294*/ neg_lo:[1,1,0]
	s_set_vgpr_msb 1                        ;  msbs: dst=0 src0=1 src1=0 src2=0
	v_perm_b32 v148, v48 /*v304*/, v148, 0xc0c0700
	s_set_vgpr_msb 64                       ;  msbs: dst=1 src0=0 src1=0 src2=0
	v_perm_b32 v29 /*v285*/, v193, v193, 0xc0c0003
	s_set_vgpr_msb 0x45                     ;  msbs: dst=1 src0=1 src1=1 src2=0
	v_or_b32_e32 v7 /*v263*/, v23 /*v279*/, v7 /*v263*/
	v_or_b32_e32 v15 /*v271*/, v15 /*v271*/, v41 /*v297*/
	s_set_vgpr_msb 1                        ;  msbs: dst=0 src0=1 src1=0 src2=0
	v_or_b32_e32 v135, v26 /*v282*/, v135
	s_set_vgpr_msb 0                        ;  msbs: dst=0 src0=0 src1=0 src2=0
	v_perm_b32 v193, v164, v193, 0xc0c0700
	s_set_vgpr_msb 0x44                     ;  msbs: dst=1 src0=0 src1=1 src2=0
	v_perm_b32 v48 /*v304*/, v157, v10 /*v266*/, 0x7030c0c
	s_set_vgpr_msb 0x45                     ;  msbs: dst=1 src0=1 src1=1 src2=0
	v_or_b32_e32 v33 /*v289*/, v34 /*v290*/, v33 /*v289*/
	s_set_vgpr_msb 64                       ;  msbs: dst=1 src0=0 src1=0 src2=0
	v_lshlrev_b32_e32 v34 /*v290*/, 16, v140
	s_set_vgpr_msb 0x45                     ;  msbs: dst=1 src0=1 src1=1 src2=0
	v_or_b32_e32 v35 /*v291*/, v35 /*v291*/, v36 /*v292*/
	s_set_vgpr_msb 64                       ;  msbs: dst=1 src0=0 src1=0 src2=0
	v_lshlrev_b32_e32 v36 /*v292*/, 8, v150
	s_set_vgpr_msb 1                        ;  msbs: dst=0 src0=1 src1=0 src2=0
	v_perm_b32 v164, v10 /*v266*/, v164, 0x7030c0c
	s_wait_dscnt 0x5
	s_set_vgpr_msb 64                       ;  msbs: dst=1 src0=0 src1=0 src2=0
	v_dual_lshlrev_b32 v10 /*v266*/, 16, v150 :: v_dual_lshlrev_b32 v62 /*v318*/, 16, v137
	v_perm_b32 v58 /*v314*/, v150, v150, 0xc0c0003
	s_set_vgpr_msb 0                        ;  msbs: dst=0 src0=0 src1=0 src2=0
	v_perm_b32 v150, v150, v189, 0x407030c
	v_perm_b32 v189, v189, v196, 0x7030c0c
	;; [unrolled: 1-line block ×3, first 2 shown]
	s_set_vgpr_msb 64                       ;  msbs: dst=1 src0=0 src1=0 src2=0
	v_dual_lshlrev_b32 v12 /*v268*/, 16, v187 :: v_dual_lshlrev_b32 v24 /*v280*/, 8, v197
	s_set_vgpr_msb 4                        ;  msbs: dst=0 src0=0 src1=1 src2=0
	v_dot4_i32_iu8 v156, v156, v28 /*v284*/, v192 neg_lo:[1,1,0]
	s_set_vgpr_msb 0                        ;  msbs: dst=0 src0=0 src1=0 src2=0
	v_lshlrev_b32_e32 v192, 8, v187
	s_set_vgpr_msb 0x45                     ;  msbs: dst=1 src0=1 src1=1 src2=0
	v_perm_b32 v13 /*v269*/, v13 /*v269*/, v46 /*v302*/, 0x7030c0c
	s_set_vgpr_msb 0x51                     ;  msbs: dst=1 src0=1 src1=0 src2=1
	v_dot4_i32_iu8 v16 /*v272*/, v7 /*v263*/, v254, v16 /*v272*/ neg_lo:[1,1,0]
	s_set_vgpr_msb 0x55                     ;  msbs: dst=1 src0=1 src1=1 src2=1
	v_dot4_i32_iu8 v41 /*v297*/, v7 /*v263*/, v1 /*v257*/, v42 /*v298*/ neg_lo:[1,1,0]
	s_set_vgpr_msb 0x51                     ;  msbs: dst=1 src0=1 src1=0 src2=1
	v_dot4_i32_iu8 v39 /*v295*/, v15 /*v271*/, v254, v39 /*v295*/ neg_lo:[1,1,0]
	s_set_vgpr_msb 0                        ;  msbs: dst=0 src0=0 src1=0 src2=0
	v_dot4_i32_iu8 v107, v174, v254, v107 neg_lo:[1,1,0]
	s_wait_dscnt 0x4
	v_dual_lshlrev_b32 v196, 8, v125 :: v_dual_bitop2_b32 v150, v150, v196 bitop3:0x54
	s_set_vgpr_msb 0x50                     ;  msbs: dst=1 src0=0 src1=0 src2=1
	v_dot4_i32_iu8 v42 /*v298*/, v135, v254, v50 /*v306*/ neg_lo:[1,1,0]
	s_set_vgpr_msb 0x54                     ;  msbs: dst=1 src0=0 src1=1 src2=1
	v_dot4_i32_iu8 v5 /*v261*/, v135, v1 /*v257*/, v5 /*v261*/ neg_lo:[1,1,0]
	s_set_vgpr_msb 4                        ;  msbs: dst=0 src0=0 src1=1 src2=0
	v_dot4_i32_iu8 v132, v135, v3 /*v259*/, v132 neg_lo:[1,1,0]
	s_set_vgpr_msb 1                        ;  msbs: dst=0 src0=1 src1=0 src2=0
	v_dual_lshlrev_b32 v135, 16, v157 :: v_dual_lshlrev_b32 v254, 8, v157
	v_or_b32_e32 v148, v4 /*v260*/, v148
	s_set_vgpr_msb 0x45                     ;  msbs: dst=1 src0=1 src1=1 src2=0
	v_or_b32_e32 v13 /*v269*/, v13 /*v269*/, v52 /*v308*/
	s_set_vgpr_msb 4                        ;  msbs: dst=0 src0=0 src1=1 src2=0
	v_dot4_i32_iu8 v81, v179, v30 /*v286*/, v81 neg_lo:[1,1,0]
	s_set_vgpr_msb 64                       ;  msbs: dst=1 src0=0 src1=0 src2=0
	v_perm_b32 v30 /*v286*/, v157, v157, 0xc0c0003
	s_set_vgpr_msb 0                        ;  msbs: dst=0 src0=0 src1=0 src2=0
	v_perm_b32 v145, v165, v145, 0x407030c
	v_perm_b32 v177, v177, v177, 0xc0c0c03
	s_set_vgpr_msb 64                       ;  msbs: dst=1 src0=0 src1=0 src2=0
	v_perm_b32 v51 /*v307*/, v159, v192, 0x407030c
	s_set_vgpr_msb 0x45                     ;  msbs: dst=1 src0=1 src1=1 src2=0
	v_perm_b32 v52 /*v308*/, v12 /*v268*/, v12 /*v268*/, 0xc0c0c03
	s_set_vgpr_msb 0                        ;  msbs: dst=0 src0=0 src1=0 src2=0
	v_perm_b32 v157, v135, v157, 0xc0c0700
	v_perm_b32 v135, v254, v135, 0x7030c0c
	;; [unrolled: 1-line block ×3, first 2 shown]
	s_set_vgpr_msb 64                       ;  msbs: dst=1 src0=0 src1=0 src2=0
	v_dual_lshlrev_b32 v4 /*v260*/, 8, v171 :: v_dual_lshlrev_b32 v26 /*v282*/, 8, v165
	s_set_vgpr_msb 0                        ;  msbs: dst=0 src0=0 src1=0 src2=0
	v_or_b32_e32 v145, v145, v177
	s_set_vgpr_msb 0x45                     ;  msbs: dst=1 src0=1 src1=1 src2=0
	v_or_b32_e32 v51 /*v307*/, v51 /*v307*/, v52 /*v308*/
	s_set_vgpr_msb 0                        ;  msbs: dst=0 src0=0 src1=0 src2=0
	v_or_b32_e32 v157, v254, v157
	s_wait_dscnt 0x2
	v_lshlrev_b32_e32 v254, 16, v121
	v_dot4_i32_iu8 v83, v148, v83, v170 neg_lo:[1,1,0]
	v_lshlrev_b32_e32 v148, 16, v171
	v_perm_b32 v170, v173, v172, 0x4070201
	s_set_vgpr_msb 64                       ;  msbs: dst=1 src0=0 src1=0 src2=0
	v_perm_b32 v40 /*v296*/, v171, v171, 0xc0c0003
	v_dual_lshlrev_b32 v25 /*v281*/, 8, v191 :: v_dual_lshlrev_b32 v27 /*v283*/, 16, v197
	v_perm_b32 v28 /*v284*/, v173, v172, 0x7020100
	s_set_vgpr_msb 1                        ;  msbs: dst=0 src0=1 src1=0 src2=0
	v_dot4_i32_iu8 v133, v51 /*v307*/, v170, v133 neg_lo:[1,1,0]
	s_set_vgpr_msb 0                        ;  msbs: dst=0 src0=0 src1=0 src2=0
	v_dot4_i32_iu8 v170, v145, v170, v82 neg_lo:[1,1,0]
	v_perm_b32 v82, v148, v171, 0xc0c0700
	s_set_vgpr_msb 4                        ;  msbs: dst=0 src0=0 src1=1 src2=0
	v_perm_b32 v171, v149, v4 /*v260*/, 0x7030c0c
	s_set_vgpr_msb 64                       ;  msbs: dst=1 src0=0 src1=0 src2=0
	v_perm_b32 v37 /*v293*/, v187, v187, 0xc0c0003
	s_set_vgpr_msb 1                        ;  msbs: dst=0 src0=1 src1=0 src2=0
	v_perm_b32 v187, v12 /*v268*/, v187, 0xc0c0700
	v_or_b32_e32 v193, v48 /*v304*/, v193
	s_set_vgpr_msb 64                       ;  msbs: dst=1 src0=0 src1=0 src2=0
	v_perm_b32 v48 /*v304*/, v159, v192, 0x7030c0c
	s_set_vgpr_msb 0                        ;  msbs: dst=0 src0=0 src1=0 src2=0
	v_dual_lshlrev_b32 v188, 16, v195 :: v_dual_bitop2_b32 v82, v171, v82 bitop3:0x54
	s_set_vgpr_msb 64                       ;  msbs: dst=1 src0=0 src1=0 src2=0
	v_dual_lshlrev_b32 v6 /*v262*/, 8, v195 :: v_dual_lshlrev_b32 v23 /*v279*/, 16, v165
	v_perm_b32 v22 /*v278*/, v191, v191, 0xc0c0003
	s_set_vgpr_msb 0                        ;  msbs: dst=0 src0=0 src1=0 src2=0
	v_perm_b32 v191, v186, v191, 0xc0c0700
	s_set_vgpr_msb 1                        ;  msbs: dst=0 src0=1 src1=0 src2=0
	v_or_b32_e32 v187, v48 /*v304*/, v187
	s_set_vgpr_msb 0x44                     ;  msbs: dst=1 src0=0 src1=1 src2=0
	v_perm_b32 v48 /*v304*/, v155, v25 /*v281*/, 0x7030c0c
	v_dot4_i32_iu8 v28 /*v284*/, v82, v28 /*v284*/, v83 neg_lo:[1,1,0]
	s_set_vgpr_msb 0                        ;  msbs: dst=0 src0=0 src1=0 src2=0
	v_perm_b32 v82, v160, v160, 0xc0c0201
	v_perm_b32 v83, v161, v161, 0x4030c0c
	s_set_vgpr_msb 64                       ;  msbs: dst=1 src0=0 src1=0 src2=0
	v_perm_b32 v38 /*v294*/, v195, v195, 0xc0c0003
	s_set_vgpr_msb 0                        ;  msbs: dst=0 src0=0 src1=0 src2=0
	v_perm_b32 v195, v188, v195, 0xc0c0700
	s_set_vgpr_msb 1                        ;  msbs: dst=0 src0=1 src1=0 src2=0
	v_or_b32_e32 v191, v48 /*v304*/, v191
	s_set_vgpr_msb 0x44                     ;  msbs: dst=1 src0=0 src1=1 src2=0
	v_perm_b32 v48 /*v304*/, v153, v6 /*v262*/, 0x7030c0c
	s_set_vgpr_msb 64                       ;  msbs: dst=1 src0=0 src1=0 src2=0
	v_or_b32_e32 v66 /*v322*/, v83, v82
	s_set_vgpr_msb 0                        ;  msbs: dst=0 src0=0 src1=0 src2=0
	ds_load_2addr_b32 v[82:83], v239 offset1:7
	s_set_vgpr_msb 5                        ;  msbs: dst=0 src0=1 src1=1 src2=0
	v_perm_b32 v177, v27 /*v283*/, v27 /*v283*/, 0xc0c0c03
	v_dot4_i32_iu8 v139, v7 /*v263*/, v3 /*v259*/, v139 neg_lo:[1,1,0]
	s_set_vgpr_msb 1                        ;  msbs: dst=0 src0=1 src1=0 src2=0
	v_or_b32_e32 v195, v48 /*v304*/, v195
	s_set_vgpr_msb 64                       ;  msbs: dst=1 src0=0 src1=0 src2=0
	v_perm_b32 v48 /*v304*/, v175, v175, 0xc0c0003
	s_set_vgpr_msb 4                        ;  msbs: dst=0 src0=0 src1=1 src2=0
	v_perm_b32 v175, v175, v24 /*v280*/, 0x407030c
	s_set_vgpr_msb 0x55                     ;  msbs: dst=1 src0=1 src1=1 src2=1
	v_dot4_i32_iu8 v11 /*v267*/, v13 /*v269*/, v1 /*v257*/, v11 /*v267*/ neg_lo:[1,1,0]
	s_set_vgpr_msb 5                        ;  msbs: dst=0 src0=1 src1=1 src2=0
	v_dot4_i32_iu8 v143, v13 /*v269*/, v3 /*v259*/, v143 neg_lo:[1,1,0]
	s_set_vgpr_msb 0x55                     ;  msbs: dst=1 src0=1 src1=1 src2=1
	v_dot4_i32_iu8 v14 /*v270*/, v15 /*v271*/, v1 /*v257*/, v14 /*v270*/ neg_lo:[1,1,0]
	s_set_vgpr_msb 5                        ;  msbs: dst=0 src0=1 src1=1 src2=0
	v_dot4_i32_iu8 v141, v15 /*v271*/, v3 /*v259*/, v141 neg_lo:[1,1,0]
	s_set_vgpr_msb 4                        ;  msbs: dst=0 src0=0 src1=1 src2=0
	v_dot4_i32_iu8 v151, v174, v3 /*v259*/, v151 neg_lo:[1,1,0]
	s_set_vgpr_msb 0                        ;  msbs: dst=0 src0=0 src1=0 src2=0
	v_lshlrev_b32_e32 v174, 16, v159
	s_set_vgpr_msb 64                       ;  msbs: dst=1 src0=0 src1=0 src2=0
	v_dual_lshlrev_b32 v1 /*v257*/, 8, v159 :: v_dual_lshlrev_b32 v44 /*v300*/, 16, v153
	v_dual_lshlrev_b32 v3 /*v259*/, 8, v155 :: v_dual_lshlrev_b32 v18 /*v274*/, 8, v153
	s_set_vgpr_msb 0x44                     ;  msbs: dst=1 src0=0 src1=1 src2=0
	v_perm_b32 v52 /*v308*/, v149, v4 /*v260*/, 0x407030c
	s_set_vgpr_msb 0                        ;  msbs: dst=0 src0=0 src1=0 src2=0
	v_or_b32_e32 v175, v175, v177
	v_perm_b32 v177, v148, v148, 0xc0c0c03
	v_lshlrev_b32_e32 v171, 8, v140
	s_set_vgpr_msb 4                        ;  msbs: dst=0 src0=0 src1=1 src2=0
	v_perm_b32 v192, v192, v12 /*v268*/, 0x7030c0c
	s_set_vgpr_msb 64                       ;  msbs: dst=1 src0=0 src1=0 src2=0
	v_perm_b32 v21 /*v277*/, v182, v182, 0xc0c0302
	v_perm_b32 v2 /*v258*/, v184, v184, 0xc0c0302
	;; [unrolled: 1-line block ×3, first 2 shown]
	s_set_vgpr_msb 0                        ;  msbs: dst=0 src0=0 src1=0 src2=0
	v_perm_b32 v197, v197, v197, 0xc0c0003
	v_perm_b32 v172, v172, v172, 0x2010003
	;; [unrolled: 1-line block ×4, first 2 shown]
	s_set_vgpr_msb 64                       ;  msbs: dst=1 src0=0 src1=0 src2=0
	v_perm_b32 v45 /*v301*/, v159, v159, 0xc0c0003
	v_perm_b32 v46 /*v302*/, v155, v155, 0xc0c0003
	;; [unrolled: 1-line block ×3, first 2 shown]
	s_set_vgpr_msb 1                        ;  msbs: dst=0 src0=1 src1=0 src2=0
	v_or_b32_e32 v177, v52 /*v308*/, v177
	s_set_vgpr_msb 0x45                     ;  msbs: dst=1 src0=1 src1=1 src2=0
	v_perm_b32 v24 /*v280*/, v24 /*v280*/, v27 /*v283*/, 0x7030c0c
	s_set_vgpr_msb 1                        ;  msbs: dst=0 src0=1 src1=0 src2=0
	v_perm_b32 v148, v4 /*v260*/, v148, 0x7030c0c
	s_set_vgpr_msb 4                        ;  msbs: dst=0 src0=0 src1=1 src2=0
	v_or_b32_e32 v164, v164, v29 /*v285*/
	v_or_b32_e32 v192, v192, v37 /*v293*/
	s_set_vgpr_msb 64                       ;  msbs: dst=1 src0=0 src1=0 src2=0
	v_perm_b32 v56 /*v312*/, v140, v140, 0xc0c0003
	s_set_vgpr_msb 0                        ;  msbs: dst=0 src0=0 src1=0 src2=0
	v_perm_b32 v155, v194, v155, 0xc0c0700
	s_set_vgpr_msb 1                        ;  msbs: dst=0 src0=1 src1=0 src2=0
	v_perm_b32 v153, v44 /*v300*/, v153, 0xc0c0700
	s_set_vgpr_msb 0x44                     ;  msbs: dst=1 src0=0 src1=1 src2=0
	v_perm_b32 v60 /*v316*/, v142, v1 /*v257*/, 0x7030c0c
	v_perm_b32 v61 /*v317*/, v142, v1 /*v257*/, 0x407030c
	s_set_vgpr_msb 0x45                     ;  msbs: dst=1 src0=1 src1=1 src2=0
	v_perm_b32 v44 /*v300*/, v18 /*v274*/, v44 /*v300*/, 0x7030c0c
	s_set_vgpr_msb 0x44                     ;  msbs: dst=1 src0=0 src1=1 src2=0
	v_perm_b32 v18 /*v274*/, v144, v18 /*v274*/, 0x7030c0c
	s_set_vgpr_msb 1                        ;  msbs: dst=0 src0=1 src1=0 src2=0
	v_perm_b32 v194, v3 /*v259*/, v194, 0x7030c0c
	s_set_vgpr_msb 0x44                     ;  msbs: dst=1 src0=0 src1=1 src2=0
	v_perm_b32 v3 /*v259*/, v140, v3 /*v259*/, 0x7030c0c
	s_set_vgpr_msb 1                        ;  msbs: dst=0 src0=1 src1=0 src2=0
	v_perm_b32 v140, v34 /*v290*/, v140, 0xc0c0700
	s_set_vgpr_msb 0x41                     ;  msbs: dst=1 src0=1 src1=0 src2=0
	v_perm_b32 v1 /*v257*/, v1 /*v257*/, v174, 0x7030c0c
	s_set_vgpr_msb 0x44                     ;  msbs: dst=1 src0=0 src1=1 src2=0
	v_perm_b32 v34 /*v290*/, v171, v34 /*v290*/, 0x7030c0c
	s_wait_dscnt 0x2
	s_set_vgpr_msb 0                        ;  msbs: dst=0 src0=0 src1=0 src2=0
	v_perm_b32 v171, v123, v171, 0x7030c0c
	s_set_vgpr_msb 0x54                     ;  msbs: dst=1 src0=0 src1=1 src2=1
	v_dot4_i32_iu8 v0 /*v256*/, v179, v21 /*v277*/, v0 /*v256*/ neg_lo:[1,1,0]
	s_set_vgpr_msb 64                       ;  msbs: dst=1 src0=0 src1=0 src2=0
	v_lshlrev_b32_e32 v21 /*v277*/, 8, v149
	s_set_vgpr_msb 4                        ;  msbs: dst=0 src0=0 src1=1 src2=0
	v_dot4_i32_iu8 v156, v193, v31 /*v287*/, v156 neg_lo:[1,1,0]
	v_dot4_i32_iu8 v158, v187, v31 /*v287*/, v158 neg_lo:[1,1,0]
	;; [unrolled: 1-line block ×4, first 2 shown]
	s_set_vgpr_msb 64                       ;  msbs: dst=1 src0=0 src1=0 src2=0
	v_dual_lshlrev_b32 v31 /*v287*/, 16, v146 :: v_dual_lshlrev_b32 v49 /*v305*/, 8, v146
	s_set_vgpr_msb 20                       ;  msbs: dst=0 src0=0 src1=1 src2=1
	v_dot4_i32_iu8 v145, v145, v32 /*v288*/, v17 /*v273*/ neg_lo:[1,1,0]
	v_dot4_i32_iu8 v175, v175, v32 /*v288*/, v19 /*v275*/ neg_lo:[1,1,0]
	s_set_vgpr_msb 4                        ;  msbs: dst=0 src0=0 src1=1 src2=0
	v_dot4_i32_iu8 v177, v177, v32 /*v288*/, v253 neg_lo:[1,1,0]
	s_set_vgpr_msb 64                       ;  msbs: dst=1 src0=0 src1=0 src2=0
	v_dual_lshlrev_b32 v32 /*v288*/, 8, v144 :: v_dual_lshlrev_b32 v12 /*v268*/, 8, v134
	s_set_vgpr_msb 1                        ;  msbs: dst=0 src0=1 src1=0 src2=0
	v_perm_b32 v186, v25 /*v281*/, v186, 0x7030c0c
	s_set_vgpr_msb 64                       ;  msbs: dst=1 src0=0 src1=0 src2=0
	v_dual_lshlrev_b32 v25 /*v281*/, 16, v134 :: v_dual_lshlrev_b32 v63 /*v319*/, 8, v137
	s_set_vgpr_msb 1                        ;  msbs: dst=0 src0=1 src1=0 src2=0
	v_perm_b32 v188, v6 /*v262*/, v188, 0x7030c0c
	v_or_b32_e32 v197, v24 /*v280*/, v197
	s_set_vgpr_msb 64                       ;  msbs: dst=1 src0=0 src1=0 src2=0
	v_perm_b32 v24 /*v280*/, v118, v167, 0x4020c0c
	s_set_vgpr_msb 4                        ;  msbs: dst=0 src0=0 src1=1 src2=0
	v_or_b32_e32 v148, v148, v40 /*v296*/
	s_set_vgpr_msb 0x50                     ;  msbs: dst=1 src0=0 src1=0 src2=1
	v_perm_b32 v40 /*v296*/, v167, v167, 0xc0c0100
	v_dot4_i32_iu8 v16 /*v272*/, v164, v172, v16 /*v272*/ neg_lo:[1,1,0]
	v_dot4_i32_iu8 v41 /*v297*/, v164, v182, v41 /*v297*/ neg_lo:[1,1,0]
	s_set_vgpr_msb 0                        ;  msbs: dst=0 src0=0 src1=0 src2=0
	v_dot4_i32_iu8 v139, v164, v184, v139 neg_lo:[1,1,0]
	v_perm_b32 v164, v114, v163, 0x4020c0c
	s_set_vgpr_msb 0x50                     ;  msbs: dst=1 src0=0 src1=0 src2=1
	v_dot4_i32_iu8 v11 /*v267*/, v192, v182, v11 /*v267*/ neg_lo:[1,1,0]
	s_set_vgpr_msb 0                        ;  msbs: dst=0 src0=0 src1=0 src2=0
	v_dot4_i32_iu8 v143, v192, v184, v143 neg_lo:[1,1,0]
	v_perm_b32 v192, v163, v163, 0xc0c0100
	s_set_vgpr_msb 1                        ;  msbs: dst=0 src0=1 src1=0 src2=0
	v_perm_b32 v165, v23 /*v279*/, v165, 0xc0c0700
	s_set_vgpr_msb 0x44                     ;  msbs: dst=1 src0=0 src1=1 src2=0
	v_perm_b32 v54 /*v310*/, v146, v26 /*v282*/, 0x7030c0c
	s_set_vgpr_msb 0                        ;  msbs: dst=0 src0=0 src1=0 src2=0
	v_perm_b32 v159, v174, v159, 0xc0c0700
	s_set_vgpr_msb 0x44                     ;  msbs: dst=1 src0=0 src1=1 src2=0
	v_perm_b32 v26 /*v282*/, v146, v26 /*v282*/, 0x407030c
	s_set_vgpr_msb 1                        ;  msbs: dst=0 src0=1 src1=0 src2=0
	v_or_b32_e32 v155, v3 /*v259*/, v155
	s_wait_dscnt 0x0
	s_set_vgpr_msb 64                       ;  msbs: dst=1 src0=0 src1=0 src2=0
	v_lshlrev_b32_e32 v3 /*v259*/, 8, v83
	s_set_vgpr_msb 1                        ;  msbs: dst=0 src0=1 src1=0 src2=0
	v_or_b32_e32 v153, v18 /*v274*/, v153
	s_set_vgpr_msb 64                       ;  msbs: dst=1 src0=0 src1=0 src2=0
	v_lshlrev_b32_e32 v18 /*v274*/, 16, v83
	s_set_vgpr_msb 0x45                     ;  msbs: dst=1 src0=1 src1=1 src2=0
	v_perm_b32 v23 /*v279*/, v23 /*v279*/, v23 /*v279*/, 0xc0c0c03
	v_or_b32_e32 v1 /*v257*/, v1 /*v257*/, v45 /*v301*/
	s_set_vgpr_msb 64                       ;  msbs: dst=1 src0=0 src1=0 src2=0
	v_perm_b32 v45 /*v301*/, v83, v83, 0xc0c0003
	s_set_vgpr_msb 0                        ;  msbs: dst=0 src0=0 src1=0 src2=0
	v_or_b32_e32 v140, v171, v140
	s_set_vgpr_msb 4                        ;  msbs: dst=0 src0=0 src1=1 src2=0
	v_perm_b32 v83, v83, v36 /*v292*/, 0x407030c
	s_set_vgpr_msb 5                        ;  msbs: dst=0 src0=1 src1=1 src2=0
	v_perm_b32 v171, v36 /*v292*/, v10 /*v266*/, 0x7030c0c
	s_set_vgpr_msb 0x45                     ;  msbs: dst=1 src0=1 src1=1 src2=0
	v_perm_b32 v10 /*v266*/, v10 /*v266*/, v10 /*v266*/, 0xc0c0c03
	s_set_vgpr_msb 0x54                     ;  msbs: dst=1 src0=0 src1=1 src2=1
	v_dot4_i32_iu8 v2 /*v258*/, v179, v2 /*v258*/, v9 /*v265*/ neg_lo:[1,1,0]
	s_set_vgpr_msb 64                       ;  msbs: dst=1 src0=0 src1=0 src2=0
	v_lshlrev_b32_e32 v9 /*v265*/, 16, v149
	s_set_vgpr_msb 4                        ;  msbs: dst=0 src0=0 src1=1 src2=0
	v_or_b32_e32 v186, v186, v22 /*v278*/
	v_or_b32_e32 v188, v188, v38 /*v294*/
	s_set_vgpr_msb 64                       ;  msbs: dst=1 src0=0 src1=0 src2=0
	v_perm_b32 v59 /*v315*/, v134, v134, 0xc0c0003
	v_perm_b32 v64 /*v320*/, v136, v136, 0xc030201
	s_set_vgpr_msb 0x44                     ;  msbs: dst=1 src0=0 src1=1 src2=0
	v_perm_b32 v65 /*v321*/, v134, v21 /*v277*/, 0x407030c
	v_perm_b32 v67 /*v323*/, v134, v21 /*v277*/, 0x7030c0c
	s_set_vgpr_msb 1                        ;  msbs: dst=0 src0=1 src1=0 src2=0
	v_perm_b32 v134, v25 /*v281*/, v134, 0xc0c0700
	s_set_vgpr_msb 64                       ;  msbs: dst=1 src0=0 src1=0 src2=0
	v_perm_b32 v68 /*v324*/, v136, v136, 0xc0c0302
	s_set_vgpr_msb 0x45                     ;  msbs: dst=1 src0=1 src1=1 src2=0
	v_or_b32_e32 v24 /*v280*/, v24 /*v280*/, v40 /*v296*/
	s_set_vgpr_msb 0x44                     ;  msbs: dst=1 src0=0 src1=1 src2=0
	v_perm_b32 v40 /*v296*/, v137, v49 /*v305*/, 0x7030c0c
	v_perm_b32 v49 /*v305*/, v137, v49 /*v305*/, 0x407030c
	s_set_vgpr_msb 0                        ;  msbs: dst=0 src0=0 src1=0 src2=0
	v_or_b32_e32 v164, v164, v192
	s_set_vgpr_msb 4                        ;  msbs: dst=0 src0=0 src1=1 src2=0
	v_perm_b32 v192, v136, v63 /*v319*/, 0x4030c0c
	v_perm_b32 v136, v136, v63 /*v319*/, 0x504030c
	s_set_vgpr_msb 1                        ;  msbs: dst=0 src0=1 src1=0 src2=0
	v_perm_b32 v137, v62 /*v318*/, v137, 0xc0c0700
	s_set_vgpr_msb 0                        ;  msbs: dst=0 src0=0 src1=0 src2=0
	v_perm_b32 v239, v252, v252, 0xc0c0c03
	s_set_vgpr_msb 1                        ;  msbs: dst=0 src0=1 src1=0 src2=0
	v_or_b32_e32 v159, v60 /*v316*/, v159
	s_set_vgpr_msb 0x45                     ;  msbs: dst=1 src0=1 src1=1 src2=0
	v_or_b32_e32 v23 /*v279*/, v26 /*v282*/, v23 /*v279*/
	s_set_vgpr_msb 64                       ;  msbs: dst=1 src0=0 src1=0 src2=0
	v_lshlrev_b32_e32 v26 /*v282*/, 8, v129
	s_set_vgpr_msb 0                        ;  msbs: dst=0 src0=0 src1=0 src2=0
	v_perm_b32 v174, v174, v174, 0xc0c0c03
	s_set_vgpr_msb 64                       ;  msbs: dst=1 src0=0 src1=0 src2=0
	v_lshlrev_b32_e32 v60 /*v316*/, 16, v129
	s_set_vgpr_msb 4                        ;  msbs: dst=0 src0=0 src1=1 src2=0
	v_or_b32_e32 v83, v83, v10 /*v266*/
	s_set_vgpr_msb 0x45                     ;  msbs: dst=1 src0=1 src1=1 src2=0
	v_perm_b32 v10 /*v266*/, v25 /*v281*/, v25 /*v281*/, 0xc0c0c03
	v_perm_b32 v25 /*v281*/, v12 /*v268*/, v25 /*v281*/, 0x7030c0c
	s_set_vgpr_msb 4                        ;  msbs: dst=0 src0=0 src1=1 src2=0
	v_or_b32_e32 v171, v171, v58 /*v314*/
	s_set_vgpr_msb 0x45                     ;  msbs: dst=1 src0=1 src1=1 src2=0
	v_perm_b32 v58 /*v314*/, v62 /*v318*/, v62 /*v318*/, 0xc0c0c03
	s_set_vgpr_msb 0                        ;  msbs: dst=0 src0=0 src1=0 src2=0
	v_perm_b32 v190, v162, v183, 0x7020100
	s_set_vgpr_msb 64                       ;  msbs: dst=1 src0=0 src1=0 src2=0
	v_perm_b32 v20 /*v276*/, v166, v185, 0x7020100
	v_perm_b32 v7 /*v263*/, v183, v183, 0xc0c0100
	;; [unrolled: 1-line block ×4, first 2 shown]
	s_set_vgpr_msb 4                        ;  msbs: dst=0 src0=0 src1=1 src2=0
	v_dot4_i32_iu8 v168, v179, v8 /*v264*/, v168 neg_lo:[1,1,0]
	s_set_vgpr_msb 0                        ;  msbs: dst=0 src0=0 src1=0 src2=0
	v_perm_b32 v193, v149, v149, 0xc0c0003
	s_set_vgpr_msb 64                       ;  msbs: dst=1 src0=0 src1=0 src2=0
	v_dual_lshlrev_b32 v51 /*v307*/, 16, v142 :: v_dual_lshlrev_b32 v53 /*v309*/, 8, v142
	v_dual_lshlrev_b32 v17 /*v273*/, 16, v138 :: v_dual_lshlrev_b32 v19 /*v275*/, 8, v138
	s_set_vgpr_msb 0                        ;  msbs: dst=0 src0=0 src1=0 src2=0
	v_lshlrev_b32_e32 v253, 16, v144
	s_set_vgpr_msb 0x50                     ;  msbs: dst=1 src0=0 src1=0 src2=1
	v_dot4_i32_iu8 v39 /*v295*/, v186, v172, v39 /*v295*/ neg_lo:[1,1,0]
	v_dot4_i32_iu8 v42 /*v298*/, v188, v172, v42 /*v298*/ neg_lo:[1,1,0]
	s_set_vgpr_msb 0                        ;  msbs: dst=0 src0=0 src1=0 src2=0
	v_dot4_i32_iu8 v107, v197, v172, v107 neg_lo:[1,1,0]
	v_perm_b32 v172, v128, v161, 0x4020c0c
	s_set_vgpr_msb 0x50                     ;  msbs: dst=1 src0=0 src1=0 src2=1
	v_dot4_i32_iu8 v43 /*v299*/, v197, v182, v43 /*v299*/ neg_lo:[1,1,0]
	s_set_vgpr_msb 0                        ;  msbs: dst=0 src0=0 src1=0 src2=0
	v_dot4_i32_iu8 v151, v197, v184, v151 neg_lo:[1,1,0]
	v_perm_b32 v197, v161, v161, 0xc0c0100
	s_set_vgpr_msb 1                        ;  msbs: dst=0 src0=1 src1=0 src2=0
	v_or_b32_e32 v165, v54 /*v310*/, v165
	v_perm_b32 v149, v9 /*v265*/, v149, 0xc0c0700
	v_perm_b32 v146, v31 /*v287*/, v146, 0xc0c0700
	s_set_vgpr_msb 0                        ;  msbs: dst=0 src0=0 src1=0 src2=0
	v_dual_lshlrev_b32 v239, 16, v125 :: v_dual_bitop2_b32 v169, v169, v239 bitop3:0x54
	s_set_vgpr_msb 1                        ;  msbs: dst=0 src0=1 src1=0 src2=0
	v_or_b32_e32 v174, v61 /*v317*/, v174
	s_set_vgpr_msb 0x45                     ;  msbs: dst=1 src0=1 src1=1 src2=0
	v_perm_b32 v21 /*v277*/, v21 /*v277*/, v9 /*v265*/, 0x7030c0c
	v_perm_b32 v9 /*v265*/, v9 /*v265*/, v9 /*v265*/, 0xc0c0c03
	s_set_vgpr_msb 64                       ;  msbs: dst=1 src0=0 src1=0 src2=0
	v_lshlrev_b32_e32 v61 /*v317*/, 8, v127
	s_set_vgpr_msb 0x45                     ;  msbs: dst=1 src0=1 src1=1 src2=0
	v_perm_b32 v31 /*v287*/, v31 /*v287*/, v31 /*v287*/, 0xc0c0c03
	v_or_b32_e32 v25 /*v281*/, v25 /*v281*/, v59 /*v315*/
	s_set_vgpr_msb 0x44                     ;  msbs: dst=1 src0=0 src1=1 src2=0
	v_perm_b32 v59 /*v315*/, v82, v3 /*v259*/, 0x504030c
	s_set_vgpr_msb 0x45                     ;  msbs: dst=1 src0=1 src1=1 src2=0
	v_perm_b32 v3 /*v259*/, v3 /*v259*/, v18 /*v274*/, 0x7030c0c
	v_perm_b32 v18 /*v274*/, v18 /*v274*/, v18 /*v274*/, 0xc0c0c03
	s_set_vgpr_msb 0                        ;  msbs: dst=0 src0=0 src1=0 src2=0
	v_or_b32_e32 v137, v192, v137
	s_set_vgpr_msb 4                        ;  msbs: dst=0 src0=0 src1=1 src2=0
	v_perm_b32 v192, v128, v26 /*v282*/, 0x504030c
	v_or_b32_e32 v136, v136, v58 /*v314*/
	s_set_vgpr_msb 0x45                     ;  msbs: dst=1 src0=1 src1=1 src2=0
	v_perm_b32 v58 /*v314*/, v60 /*v316*/, v60 /*v316*/, 0xc0c0c03
	s_set_vgpr_msb 64                       ;  msbs: dst=1 src0=0 src1=0 src2=0
	v_perm_b32 v8 /*v264*/, v160, v173, 0x4070201
	s_set_vgpr_msb 0                        ;  msbs: dst=0 src0=0 src1=0 src2=0
	v_perm_b32 v179, v160, v173, 0x7020100
	v_perm_b32 v187, v173, v173, 0x2010003
	;; [unrolled: 1-line block ×6, first 2 shown]
	s_set_vgpr_msb 64                       ;  msbs: dst=1 src0=0 src1=0 src2=0
	v_perm_b32 v50 /*v306*/, v163, v162, 0x7020100
	s_set_vgpr_msb 0                        ;  msbs: dst=0 src0=0 src1=0 src2=0
	v_perm_b32 v173, v173, v173, 0xc0c0302
	s_set_vgpr_msb 0x50                     ;  msbs: dst=1 src0=0 src1=0 src2=1
	v_perm_b32 v52 /*v308*/, v167, v166, 0x7020100
	v_dot4_i32_iu8 v14 /*v270*/, v186, v182, v14 /*v270*/ neg_lo:[1,1,0]
	s_set_vgpr_msb 0                        ;  msbs: dst=0 src0=0 src1=0 src2=0
	v_dot4_i32_iu8 v141, v186, v184, v141 neg_lo:[1,1,0]
	s_set_vgpr_msb 0x50                     ;  msbs: dst=1 src0=0 src1=0 src2=1
	v_dot4_i32_iu8 v5 /*v261*/, v188, v182, v5 /*v261*/ neg_lo:[1,1,0]
	s_set_vgpr_msb 0                        ;  msbs: dst=0 src0=0 src1=0 src2=0
	v_dot4_i32_iu8 v132, v188, v184, v132 neg_lo:[1,1,0]
	v_dot4_i32_iu8 v115, v148, v182, v115 neg_lo:[1,1,0]
	;; [unrolled: 1-line block ×4, first 2 shown]
	s_set_vgpr_msb 4                        ;  msbs: dst=0 src0=0 src1=1 src2=0
	v_dot4_i32_iu8 v147, v165, v20 /*v276*/, v147 neg_lo:[1,1,0]
	s_set_vgpr_msb 64                       ;  msbs: dst=1 src0=0 src1=0 src2=0
	v_perm_b32 v54 /*v310*/, v138, v138, 0xc0c0003
	v_perm_b32 v55 /*v311*/, v142, v142, 0xc0c0003
	;; [unrolled: 1-line block ×3, first 2 shown]
	s_set_vgpr_msb 1                        ;  msbs: dst=0 src0=1 src1=0 src2=0
	v_perm_b32 v142, v51 /*v307*/, v142, 0xc0c0700
	v_perm_b32 v138, v17 /*v273*/, v138, 0xc0c0700
	s_set_vgpr_msb 0                        ;  msbs: dst=0 src0=0 src1=0 src2=0
	v_perm_b32 v144, v253, v144, 0xc0c0700
	v_dual_lshlrev_b32 v197, 16, v127 :: v_dual_bitop2_b32 v172, v172, v197 bitop3:0x54
	v_lshlrev_b32_e32 v252, 16, v123
	s_set_vgpr_msb 0x45                     ;  msbs: dst=1 src0=1 src1=1 src2=0
	v_or_b32_e32 v9 /*v265*/, v65 /*v321*/, v9 /*v265*/
	s_set_vgpr_msb 1                        ;  msbs: dst=0 src0=1 src1=0 src2=0
	v_or_b32_e32 v149, v67 /*v323*/, v149
	s_set_vgpr_msb 64                       ;  msbs: dst=1 src0=0 src1=0 src2=0
	v_lshlrev_b32_e32 v63 /*v319*/, 8, v123
	s_set_vgpr_msb 4                        ;  msbs: dst=0 src0=0 src1=1 src2=0
	v_or_b32_e32 v135, v135, v30 /*v286*/
	s_set_vgpr_msb 64                       ;  msbs: dst=1 src0=0 src1=0 src2=0
	v_lshlrev_b32_e32 v30 /*v286*/, 8, v121
	s_set_vgpr_msb 4                        ;  msbs: dst=0 src0=0 src1=1 src2=0
	v_or_b32_e32 v194, v194, v46 /*v302*/
	s_set_vgpr_msb 0x45                     ;  msbs: dst=1 src0=1 src1=1 src2=0
	v_or_b32_e32 v44 /*v300*/, v44 /*v300*/, v47 /*v303*/
	s_set_vgpr_msb 4                        ;  msbs: dst=0 src0=0 src1=1 src2=0
	v_or_b32_e32 v189, v189, v48 /*v304*/
	s_set_vgpr_msb 1                        ;  msbs: dst=0 src0=1 src1=0 src2=0
	v_or_b32_e32 v193, v21 /*v277*/, v193
	v_or_b32_e32 v146, v40 /*v296*/, v146
	s_set_vgpr_msb 0x44                     ;  msbs: dst=1 src0=0 src1=1 src2=0
	v_perm_b32 v40 /*v296*/, v125, v53 /*v309*/, 0x7030c0c
	s_set_vgpr_msb 0x45                     ;  msbs: dst=1 src0=1 src1=1 src2=0
	v_perm_b32 v17 /*v273*/, v19 /*v275*/, v17 /*v273*/, 0x7030c0c
	s_set_vgpr_msb 0x44                     ;  msbs: dst=1 src0=0 src1=1 src2=0
	v_perm_b32 v19 /*v275*/, v127, v19 /*v275*/, 0x7030c0c
	s_set_vgpr_msb 1                        ;  msbs: dst=0 src0=1 src1=0 src2=0
	v_perm_b32 v253, v32 /*v288*/, v253, 0x7030c0c
	s_set_vgpr_msb 0x44                     ;  msbs: dst=1 src0=0 src1=1 src2=0
	v_perm_b32 v32 /*v288*/, v121, v32 /*v288*/, 0x7030c0c
	s_set_vgpr_msb 0x45                     ;  msbs: dst=1 src0=1 src1=1 src2=0
	v_or_b32_e32 v31 /*v287*/, v49 /*v305*/, v31 /*v287*/
	s_set_vgpr_msb 0x44                     ;  msbs: dst=1 src0=0 src1=1 src2=0
	v_perm_b32 v36 /*v292*/, v129, v12 /*v268*/, 0x407030c
	s_set_vgpr_msb 0x45                     ;  msbs: dst=1 src0=1 src1=1 src2=0
	v_perm_b32 v49 /*v305*/, v53 /*v309*/, v51 /*v307*/, 0x7030c0c
	s_set_vgpr_msb 0x44                     ;  msbs: dst=1 src0=0 src1=1 src2=0
	v_perm_b32 v12 /*v268*/, v129, v12 /*v268*/, 0x7030c0c
	s_set_vgpr_msb 0x45                     ;  msbs: dst=1 src0=1 src1=1 src2=0
	v_or_b32_e32 v18 /*v274*/, v59 /*v315*/, v18 /*v274*/
	s_set_vgpr_msb 64                       ;  msbs: dst=1 src0=0 src1=0 src2=0
	v_perm_b32 v59 /*v315*/, v124, v196, 0x504030c
	s_set_vgpr_msb 4                        ;  msbs: dst=0 src0=0 src1=1 src2=0
	v_or_b32_e32 v192, v192, v58 /*v314*/
	s_set_vgpr_msb 64                       ;  msbs: dst=1 src0=0 src1=0 src2=0
	v_perm_b32 v58 /*v314*/, v239, v239, 0xc0c0c03
	s_set_vgpr_msb 0x54                     ;  msbs: dst=1 src0=0 src1=1 src2=1
	v_dot4_i32_iu8 v0 /*v256*/, v178, v7 /*v263*/, v0 /*v256*/ neg_lo:[1,1,0]
	v_dot4_i32_iu8 v2 /*v258*/, v178, v13 /*v269*/, v2 /*v258*/ neg_lo:[1,1,0]
	s_set_vgpr_msb 4                        ;  msbs: dst=0 src0=0 src1=1 src2=0
	v_dot4_i32_iu8 v168, v178, v15 /*v271*/, v168 neg_lo:[1,1,0]
	s_set_vgpr_msb 0                        ;  msbs: dst=0 src0=0 src1=0 src2=0
	v_dot4_i32_iu8 v81, v178, v251, v81 neg_lo:[1,1,0]
	s_set_vgpr_msb 64                       ;  msbs: dst=1 src0=0 src1=0 src2=0
	v_perm_b32 v6 /*v262*/, v161, v160, 0x7020100
	v_perm_b32 v27 /*v283*/, v160, v160, 0x2010003
	;; [unrolled: 1-line block ×7, first 2 shown]
	s_set_vgpr_msb 0                        ;  msbs: dst=0 src0=0 src1=0 src2=0
	v_perm_b32 v186, v106, v161, 0x504020c
	v_perm_b32 v188, v161, v161, 0xc0c0c01
	s_set_vgpr_msb 64                       ;  msbs: dst=1 src0=0 src1=0 src2=0
	v_perm_b32 v46 /*v302*/, v127, v127, 0xc0c0003
	v_perm_b32 v47 /*v303*/, v125, v125, 0xc0c0003
	;; [unrolled: 1-line block ×4, first 2 shown]
	s_set_vgpr_msb 1                        ;  msbs: dst=0 src0=1 src1=0 src2=0
	v_or_b32_e32 v142, v40 /*v296*/, v142
	s_set_vgpr_msb 64                       ;  msbs: dst=1 src0=0 src1=0 src2=0
	v_perm_b32 v40 /*v296*/, v129, v129, 0xc0c0003
	s_set_vgpr_msb 1                        ;  msbs: dst=0 src0=1 src1=0 src2=0
	v_or_b32_e32 v138, v19 /*v275*/, v138
	v_or_b32_e32 v144, v32 /*v288*/, v144
	s_set_vgpr_msb 0x45                     ;  msbs: dst=1 src0=1 src1=1 src2=0
	v_or_b32_e32 v10 /*v266*/, v36 /*v292*/, v10 /*v266*/
	s_set_vgpr_msb 0x44                     ;  msbs: dst=1 src0=0 src1=1 src2=0
	v_perm_b32 v36 /*v292*/, v125, v53 /*v309*/, 0x407030c
	s_set_vgpr_msb 0x45                     ;  msbs: dst=1 src0=1 src1=1 src2=0
	v_perm_b32 v51 /*v307*/, v51 /*v307*/, v51 /*v307*/, 0xc0c0c03
	s_set_vgpr_msb 1                        ;  msbs: dst=0 src0=1 src1=0 src2=0
	v_or_b32_e32 v134, v12 /*v268*/, v134
	s_set_vgpr_msb 0x45                     ;  msbs: dst=1 src0=1 src1=1 src2=0
	v_or_b32_e32 v17 /*v273*/, v17 /*v273*/, v54 /*v310*/
	v_or_b32_e32 v49 /*v305*/, v49 /*v305*/, v55 /*v311*/
	;; [unrolled: 1-line block ×3, first 2 shown]
	s_set_vgpr_msb 4                        ;  msbs: dst=0 src0=0 src1=1 src2=0
	v_or_b32_e32 v253, v253, v57 /*v313*/
	s_set_vgpr_msb 0x45                     ;  msbs: dst=1 src0=1 src1=1 src2=0
	v_or_b32_e32 v58 /*v314*/, v59 /*v315*/, v58 /*v314*/
	s_set_vgpr_msb 0x44                     ;  msbs: dst=1 src0=0 src1=1 src2=0
	v_perm_b32 v59 /*v315*/, v106, v26 /*v282*/, 0x4030c0c
	s_set_vgpr_msb 0x45                     ;  msbs: dst=1 src0=1 src1=1 src2=0
	v_perm_b32 v26 /*v282*/, v26 /*v282*/, v60 /*v316*/, 0x7030c0c
	s_set_vgpr_msb 1                        ;  msbs: dst=0 src0=1 src1=0 src2=0
	v_perm_b32 v129, v60 /*v316*/, v129, 0xc0c0700
	s_set_vgpr_msb 0x41                     ;  msbs: dst=1 src0=1 src1=0 src2=0
	v_perm_b32 v60 /*v316*/, v61 /*v317*/, v197, 0x7030c0c
	s_set_vgpr_msb 0                        ;  msbs: dst=0 src0=0 src1=0 src2=0
	v_perm_b32 v196, v196, v239, 0x7030c0c
	s_set_vgpr_msb 0x41                     ;  msbs: dst=1 src0=1 src1=0 src2=0
	v_perm_b32 v61 /*v317*/, v63 /*v319*/, v252, 0x7030c0c
	v_perm_b32 v30 /*v286*/, v30 /*v286*/, v254, 0x7030c0c
	s_set_vgpr_msb 0                        ;  msbs: dst=0 src0=0 src1=0 src2=0
	v_dot4_i32_iu8 v156, v157, v250, v156 neg_lo:[1,1,0]
	v_dot4_i32_iu8 v157, v159, v250, v158 neg_lo:[1,1,0]
	;; [unrolled: 1-line block ×4, first 2 shown]
	s_set_vgpr_msb 4                        ;  msbs: dst=0 src0=0 src1=1 src2=0
	v_dot4_i32_iu8 v133, v174, v8 /*v264*/, v133 neg_lo:[1,1,0]
	s_set_vgpr_msb 5                        ;  msbs: dst=0 src0=1 src1=1 src2=0
	v_dot4_i32_iu8 v153, v23 /*v279*/, v8 /*v264*/, v170 neg_lo:[1,1,0]
	s_set_vgpr_msb 1                        ;  msbs: dst=0 src0=1 src1=0 src2=0
	v_dot4_i32_iu8 v145, v23 /*v279*/, v249, v145 neg_lo:[1,1,0]
	s_set_vgpr_msb 0                        ;  msbs: dst=0 src0=0 src1=0 src2=0
	v_dot4_i32_iu8 v150, v150, v249, v175 neg_lo:[1,1,0]
	s_set_vgpr_msb 1                        ;  msbs: dst=0 src0=1 src1=0 src2=0
	v_dot4_i32_iu8 v155, v9 /*v265*/, v249, v177 neg_lo:[1,1,0]
	s_set_vgpr_msb 16                       ;  msbs: dst=0 src0=0 src1=0 src2=1
	v_dot4_i32_iu8 v149, v149, v179, v28 /*v284*/ neg_lo:[1,1,0]
	v_dot4_i32_iu8 v158, v135, v187, v16 /*v272*/ neg_lo:[1,1,0]
	;; [unrolled: 1-line block ×3, first 2 shown]
	s_set_vgpr_msb 0                        ;  msbs: dst=0 src0=0 src1=0 src2=0
	v_dot4_i32_iu8 v135, v135, v195, v139 neg_lo:[1,1,0]
	s_set_vgpr_msb 17                       ;  msbs: dst=0 src0=1 src1=0 src2=1
	v_dot4_i32_iu8 v139, v1 /*v257*/, v191, v11 /*v267*/ neg_lo:[1,1,0]
	s_set_vgpr_msb 1                        ;  msbs: dst=0 src0=1 src1=0 src2=0
	v_dot4_i32_iu8 v143, v1 /*v257*/, v195, v143 neg_lo:[1,1,0]
	s_set_vgpr_msb 16                       ;  msbs: dst=0 src0=0 src1=0 src2=1
	v_dot4_i32_iu8 v170, v194, v187, v39 /*v295*/ neg_lo:[1,1,0]
	v_dot4_i32_iu8 v174, v194, v191, v14 /*v270*/ neg_lo:[1,1,0]
	s_set_vgpr_msb 0                        ;  msbs: dst=0 src0=0 src1=0 src2=0
	v_dot4_i32_iu8 v141, v194, v195, v141 neg_lo:[1,1,0]
	s_set_vgpr_msb 17                       ;  msbs: dst=0 src0=1 src1=0 src2=1
	v_dot4_i32_iu8 v175, v44 /*v300*/, v187, v42 /*v298*/ neg_lo:[1,1,0]
	v_dot4_i32_iu8 v177, v44 /*v300*/, v191, v5 /*v261*/ neg_lo:[1,1,0]
	s_set_vgpr_msb 1                        ;  msbs: dst=0 src0=1 src1=0 src2=0
	v_dot4_i32_iu8 v132, v44 /*v300*/, v195, v132 neg_lo:[1,1,0]
	s_set_vgpr_msb 0                        ;  msbs: dst=0 src0=0 src1=0 src2=0
	v_dot4_i32_iu8 v107, v189, v187, v107 neg_lo:[1,1,0]
	s_set_vgpr_msb 16                       ;  msbs: dst=0 src0=0 src1=0 src2=1
	v_dot4_i32_iu8 v178, v189, v191, v43 /*v299*/ neg_lo:[1,1,0]
	s_set_vgpr_msb 0                        ;  msbs: dst=0 src0=0 src1=0 src2=0
	v_dot4_i32_iu8 v151, v189, v195, v151 neg_lo:[1,1,0]
	v_dot4_i32_iu8 v115, v193, v191, v115 neg_lo:[1,1,0]
	;; [unrolled: 1-line block ×3, first 2 shown]
	s_set_vgpr_msb 4                        ;  msbs: dst=0 src0=0 src1=1 src2=0
	v_dot4_i32_iu8 v179, v146, v50 /*v306*/, v190 neg_lo:[1,1,0]
	v_dot4_i32_iu8 v146, v146, v52 /*v308*/, v147 neg_lo:[1,1,0]
	s_set_vgpr_msb 16                       ;  msbs: dst=0 src0=0 src1=0 src2=1
	v_dot4_i32_iu8 v147, v176, v183, v0 /*v256*/ neg_lo:[1,1,0]
	v_dot4_i32_iu8 v183, v176, v185, v2 /*v258*/ neg_lo:[1,1,0]
	s_set_vgpr_msb 0                        ;  msbs: dst=0 src0=0 src1=0 src2=0
	v_dot4_i32_iu8 v168, v176, v173, v168 neg_lo:[1,1,0]
	v_dot4_i32_iu8 v81, v176, v248, v81 neg_lo:[1,1,0]
	v_perm_b32 v182, v167, v167, 0x6010007
	v_perm_b32 v148, v163, v163, 0x6010007
	;; [unrolled: 1-line block ×6, first 2 shown]
	v_or_b32_e32 v186, v186, v188
	s_set_vgpr_msb 64                       ;  msbs: dst=1 src0=0 src1=0 src2=0
	v_bfe_i32 v19 /*v275*/, v125, 16, 8
	v_bfe_i32 v32 /*v288*/, v127, 16, 8
	s_set_vgpr_msb 0x45                     ;  msbs: dst=1 src0=1 src1=1 src2=0
	v_or_b32_e32 v36 /*v292*/, v36 /*v292*/, v51 /*v307*/
	s_set_vgpr_msb 64                       ;  msbs: dst=1 src0=0 src1=0 src2=0
	v_bfe_i32 v51 /*v307*/, v121, 16, 8
	v_bfe_i32 v12 /*v268*/, v123, 16, 8
	s_set_vgpr_msb 1                        ;  msbs: dst=0 src0=1 src1=0 src2=0
	v_or_b32_e32 v129, v59 /*v315*/, v129
	s_set_vgpr_msb 0x45                     ;  msbs: dst=1 src0=1 src1=1 src2=0
	v_or_b32_e32 v3 /*v259*/, v3 /*v259*/, v45 /*v301*/
	v_or_b32_e32 v46 /*v302*/, v60 /*v316*/, v46 /*v302*/
	s_set_vgpr_msb 4                        ;  msbs: dst=0 src0=0 src1=1 src2=0
	v_or_b32_e32 v196, v196, v47 /*v303*/
	s_set_vgpr_msb 0x45                     ;  msbs: dst=1 src0=1 src1=1 src2=0
	v_or_b32_e32 v48 /*v304*/, v61 /*v317*/, v48 /*v304*/
	v_or_b32_e32 v21 /*v277*/, v30 /*v286*/, v21 /*v277*/
	;; [unrolled: 1-line block ×3, first 2 shown]
	s_set_vgpr_msb 0                        ;  msbs: dst=0 src0=0 src1=0 src2=0
	v_perm_b32 v127, v197, v127, 0xc0c0700
	v_perm_b32 v125, v239, v125, 0xc0c0700
	;; [unrolled: 1-line block ×4, first 2 shown]
	v_dot4_i32_iu8 v142, v142, v247, v157 neg_lo:[1,1,0]
	v_dot4_i32_iu8 v138, v138, v247, v156 neg_lo:[1,1,0]
	;; [unrolled: 1-line block ×4, first 2 shown]
	s_set_vgpr_msb 4                        ;  msbs: dst=0 src0=0 src1=1 src2=0
	v_dot4_i32_iu8 v83, v83, v33 /*v289*/, v150 neg_lo:[1,1,0]
	s_set_vgpr_msb 5                        ;  msbs: dst=0 src0=1 src1=1 src2=0
	v_dot4_i32_iu8 v150, v10 /*v266*/, v33 /*v289*/, v155 neg_lo:[1,1,0]
	v_dot4_i32_iu8 v145, v31 /*v287*/, v33 /*v289*/, v145 neg_lo:[1,1,0]
	;; [unrolled: 1-line block ×3, first 2 shown]
	s_set_vgpr_msb 4                        ;  msbs: dst=0 src0=0 src1=1 src2=0
	v_dot4_i32_iu8 v134, v134, v6 /*v262*/, v149 neg_lo:[1,1,0]
	s_set_vgpr_msb 5                        ;  msbs: dst=0 src0=1 src1=1 src2=0
	v_dot4_i32_iu8 v149, v17 /*v273*/, v27 /*v283*/, v158 neg_lo:[1,1,0]
	v_dot4_i32_iu8 v153, v17 /*v273*/, v4 /*v260*/, v159 neg_lo:[1,1,0]
	;; [unrolled: 1-line block ×8, first 2 shown]
	s_set_vgpr_msb 4                        ;  msbs: dst=0 src0=0 src1=1 src2=0
	v_dot4_i32_iu8 v156, v253, v27 /*v283*/, v175 neg_lo:[1,1,0]
	v_dot4_i32_iu8 v157, v253, v4 /*v260*/, v177 neg_lo:[1,1,0]
	;; [unrolled: 1-line block ×6, first 2 shown]
	s_set_vgpr_msb 5                        ;  msbs: dst=0 src0=1 src1=1 src2=0
	v_dot4_i32_iu8 v115, v25 /*v281*/, v4 /*v260*/, v115 neg_lo:[1,1,0]
	v_dot4_i32_iu8 v119, v25 /*v281*/, v29 /*v285*/, v119 neg_lo:[1,1,0]
	s_set_vgpr_msb 4                        ;  msbs: dst=0 src0=0 src1=1 src2=0
	v_dot4_i32_iu8 v147, v181, v37 /*v293*/, v147 neg_lo:[1,1,0]
	v_dot4_i32_iu8 v159, v181, v22 /*v278*/, v183 neg_lo:[1,1,0]
	;; [unrolled: 1-line block ×3, first 2 shown]
	s_set_vgpr_msb 0                        ;  msbs: dst=0 src0=0 src1=0 src2=0
	v_dot4_i32_iu8 v81, v181, v246, v81 neg_lo:[1,1,0]
	v_bfe_i32 v165, v167, 0, 8
	v_bfe_i32 v255, v163, 0, 8
	s_set_vgpr_msb 64                       ;  msbs: dst=1 src0=0 src1=0 src2=0
	v_bfe_i32 v20 /*v276*/, v161, 0, 8
	s_set_vgpr_msb 0                        ;  msbs: dst=0 src0=0 src1=0 src2=0
	v_perm_b32 v188, v80, v80, 0xc0c0302
	s_set_vgpr_msb 64                       ;  msbs: dst=1 src0=0 src1=0 src2=0
	v_perm_b32 v53 /*v309*/, v118, v118, 0xc030201
	v_perm_b32 v55 /*v311*/, v124, v124, 0xc0c0100
	;; [unrolled: 1-line block ×10, first 2 shown]
	s_set_vgpr_msb 5                        ;  msbs: dst=0 src0=1 src1=1 src2=0
	v_dot4_i32_iu8 v133, v36 /*v292*/, v66 /*v322*/, v133 neg_lo:[1,1,0]
	s_set_vgpr_msb 0                        ;  msbs: dst=0 src0=0 src1=0 src2=0
	v_dot4_i32_iu8 v127, v127, v245, v138 neg_lo:[1,1,0]
	v_dot4_i32_iu8 v125, v125, v245, v142 neg_lo:[1,1,0]
	;; [unrolled: 1-line block ×4, first 2 shown]
	s_set_vgpr_msb 4                        ;  msbs: dst=0 src0=0 src1=1 src2=0
	v_dot4_i32_iu8 v138, v137, v24 /*v280*/, v146 neg_lo:[1,1,0]
	s_set_vgpr_msb 5                        ;  msbs: dst=0 src0=1 src1=1 src2=0
	v_dot4_i32_iu8 v83, v18 /*v274*/, v35 /*v291*/, v83 neg_lo:[1,1,0]
	s_set_vgpr_msb 4                        ;  msbs: dst=0 src0=0 src1=1 src2=0
	v_dot4_i32_iu8 v140, v192, v35 /*v291*/, v150 neg_lo:[1,1,0]
	v_dot4_i32_iu8 v142, v136, v35 /*v291*/, v145 neg_lo:[1,1,0]
	s_set_vgpr_msb 0                        ;  msbs: dst=0 src0=0 src1=0 src2=0
	v_dot4_i32_iu8 v136, v136, v186, v152 neg_lo:[1,1,0]
	v_dot4_i32_iu8 v129, v129, v172, v134 neg_lo:[1,1,0]
	;; [unrolled: 1-line block ×4, first 2 shown]
	s_set_vgpr_msb 1                        ;  msbs: dst=0 src0=1 src1=0 src2=0
	v_dot4_i32_iu8 v135, v46 /*v302*/, v182, v135 neg_lo:[1,1,0]
	v_dot4_i32_iu8 v143, v46 /*v302*/, v148, v153 neg_lo:[1,1,0]
	;; [unrolled: 1-line block ×14, first 2 shown]
	s_set_vgpr_msb 0                        ;  msbs: dst=0 src0=0 src1=0 src2=0
	v_dot4_i32_iu8 v147, v180, v162, v147 neg_lo:[1,1,0]
	v_dot4_i32_iu8 v148, v180, v166, v159 neg_lo:[1,1,0]
	;; [unrolled: 1-line block ×4, first 2 shown]
	v_perm_b32 v167, v167, v167, 0xc070601
	v_perm_b32 v163, v163, v163, 0xc070601
	;; [unrolled: 1-line block ×3, first 2 shown]
	s_set_vgpr_msb 64                       ;  msbs: dst=1 src0=0 src1=0 src2=0
	v_perm_b32 v54 /*v310*/, v114, v114, 0xc030201
	v_perm_b32 v40 /*v296*/, v118, v118, 0xc0c0302
	;; [unrolled: 1-line block ×5, first 2 shown]
	s_set_vgpr_msb 0                        ;  msbs: dst=0 src0=0 src1=0 src2=0
	v_dot4_i32_iu8 v137, v137, v164, v179 neg_lo:[1,1,0]
	s_set_vgpr_msb 1                        ;  msbs: dst=0 src0=1 src1=0 src2=0
	v_dot4_i32_iu8 v133, v58 /*v314*/, v186, v133 neg_lo:[1,1,0]
	v_mad_i32_i24 v125, v19 /*v275*/, v243, v125
	v_mad_i32_i24 v127, v32 /*v288*/, v243, v127
	;; [unrolled: 1-line block ×4, first 2 shown]
	s_set_vgpr_msb 5                        ;  msbs: dst=0 src0=1 src1=1 src2=0
	v_dot4_i32_iu8 v138, v64 /*v320*/, v53 /*v309*/, v138 neg_lo:[1,1,0]
	v_dot4_i32_iu8 v134, v55 /*v311*/, v56 /*v312*/, v134 neg_lo:[1,1,0]
	;; [unrolled: 1-line block ×5, first 2 shown]
	s_set_vgpr_msb 0                        ;  msbs: dst=0 src0=0 src1=0 src2=0
	v_dot4_i32_iu8 v155, v82, v106, v107 neg_lo:[1,1,0]
	v_dot4_i32_iu8 v146, v82, v114, v146 neg_lo:[1,1,0]
	;; [unrolled: 1-line block ×13, first 2 shown]
	s_set_vgpr_msb 4                        ;  msbs: dst=0 src0=0 src1=1 src2=0
	v_dot4_i32_iu8 v114, v188, v47 /*v303*/, v83 neg_lo:[1,1,0]
	v_dot4_i32_iu8 v119, v188, v30 /*v286*/, v140 neg_lo:[1,1,0]
	s_set_vgpr_msb 1                        ;  msbs: dst=0 src0=1 src1=0 src2=0
	v_dot4_i32_iu8 v83, v68 /*v324*/, v188, v142 neg_lo:[1,1,0]
	s_set_vgpr_msb 5                        ;  msbs: dst=0 src0=1 src1=1 src2=0
	v_dot4_i32_iu8 v115, v61 /*v317*/, v68 /*v324*/, v136 neg_lo:[1,1,0]
	s_set_vgpr_msb 0                        ;  msbs: dst=0 src0=0 src1=0 src2=0
	v_mad_i32_i24 v140, v241, v242, v81
	v_mad_i32_i24 v142, v241, v165, v148
	s_set_vgpr_msb 4                        ;  msbs: dst=0 src0=0 src1=1 src2=0
	v_mad_i32_i24 v148, v241, v20 /*v276*/, v153
	s_set_vgpr_msb 0                        ;  msbs: dst=0 src0=0 src1=0 src2=0
	v_mad_i32_i24 v147, v241, v255, v147
	s_set_vgpr_msb 5                        ;  msbs: dst=0 src0=1 src1=1 src2=0
	v_dot4_i32_iu8 v137, v64 /*v320*/, v54 /*v310*/, v137 neg_lo:[1,1,0]
	v_dot4_i32_iu8 v133, v13 /*v269*/, v61 /*v317*/, v133 neg_lo:[1,1,0]
	s_set_vgpr_msb 0                        ;  msbs: dst=0 src0=0 src1=0 src2=0
	v_cvt_f32_i32_e32 v81, v83
	v_cvt_f32_i32_e32 v83, v138
	v_dot4_i32_iu8 v127, v126, v80, v127 neg_lo:[1,1,0]
	v_cvt_f32_i32_e32 v115, v115
	v_cvt_f32_i32_e32 v114, v114
	v_dot4_i32_iu8 v149, v124, v80, v125 neg_lo:[1,1,0]
	v_cvt_f32_i32_e32 v125, v132
	v_cvt_f32_i32_e32 v124, v129
	s_set_vgpr_msb 5                        ;  msbs: dst=0 src0=1 src1=1 src2=0
	v_dot4_i32_iu8 v150, v13 /*v269*/, v40 /*v296*/, v134 neg_lo:[1,1,0]
	s_set_vgpr_msb 0                        ;  msbs: dst=0 src0=0 src1=0 src2=0
	v_dot4_i32_iu8 v122, v122, v80, v123 neg_lo:[1,1,0]
	v_dot4_i32_iu8 v80, v120, v80, v121 neg_lo:[1,1,0]
	v_cvt_f32_i32_e32 v120, v145
	s_set_vgpr_msb 5                        ;  msbs: dst=0 src0=1 src1=1 src2=0
	v_dot4_i32_iu8 v145, v15 /*v271*/, v7 /*v263*/, v152 neg_lo:[1,1,0]
	v_dot4_i32_iu8 v141, v15 /*v271*/, v40 /*v296*/, v141 neg_lo:[1,1,0]
	s_set_vgpr_msb 0                        ;  msbs: dst=0 src0=0 src1=0 src2=0
	v_cvt_f32_i32_e32 v129, v118
	v_cvt_f32_i32_e32 v132, v106
	;; [unrolled: 1-line block ×3, first 2 shown]
	v_dot4_i32_iu8 v82, v169, v240, v140 neg_lo:[1,1,0]
	v_dot4_i32_iu8 v106, v169, v167, v142 neg_lo:[1,1,0]
	;; [unrolled: 1-line block ×4, first 2 shown]
	v_cvt_f32_i32_e32 v107, v137
	v_cvt_f32_i32_e32 v119, v119
	;; [unrolled: 1-line block ×11, first 2 shown]
	v_pk_fma_f32 v[42:43], v[92:93], v[114:115], v[42:43]
	v_cvt_f32_i32_e32 v93, v149
	v_cvt_f32_i32_e32 v92, v127
	v_cvt_f32_i32_e32 v127, v150
	v_cvt_f32_i32_e32 v115, v80
	v_cvt_f32_i32_e32 v114, v122
	v_cvt_f32_i32_e32 v122, v145
	v_cvt_f32_i32_e32 v128, v141
	v_cvt_f32_i32_e32 v80, v82
	v_cvt_f32_i32_e32 v82, v106
	v_cvt_f32_i32_e32 v106, v118
	v_cvt_f32_i32_e32 v118, v140
	v_dual_add_nc_u32 v238, 4, v238 :: v_dual_add_nc_u32 v237, 4, v237
	v_dual_add_nc_u32 v236, 4, v236 :: v_dual_add_nc_u32 v235, 4, v235
	;; [unrolled: 1-line block ×3, first 2 shown]
	v_pk_fma_f32 v[70:71], v[130:131], v[124:125], v[70:71]
	v_pk_fma_f32 v[74:75], v[98:99], v[132:133], v[74:75]
	;; [unrolled: 1-line block ×15, first 2 shown]
	s_add_co_i32 s12, s12, 4
	s_delay_alu instid0(SALU_CYCLE_1)
	s_cmp_lt_u32 s12, 12
	s_cbranch_scc1 .LBB141_8
; %bb.9:                                ;   in Loop: Header=BB141_6 Depth=1
	s_and_b32 s12, s15, -4
	s_delay_alu instid0(SALU_CYCLE_1)
	s_cmp_eq_u32 s12, 4
	s_barrier_signal -1
	s_barrier_wait -1
	s_cbranch_scc1 .LBB141_5
; %bb.10:                               ;   in Loop: Header=BB141_6 Depth=1
	v_dual_add_nc_u32 v88, s10, v205 :: v_dual_add_nc_u32 v80, 4, v231
	v_dual_mov_b32 v144, v230 :: v_dual_mov_b32 v145, v226
	v_dual_mov_b32 v146, v225 :: v_dual_mov_b32 v147, v224
	s_delay_alu instid0(VALU_DEP_3) | instskip(SKIP_3) | instid1(VALU_DEP_4)
	v_dual_add_nc_u32 v86, v88, v204 :: v_dual_add_nc_u32 v92, v88, v201
	v_dual_add_nc_u32 v82, v88, v79 :: v_dual_add_nc_u32 v84, v88, v198
	;; [unrolled: 1-line block ×3, first 2 shown]
	v_mad_nc_u64_u32 v[80:81], v80, 36, s[2:3]
	v_mad_nc_i64_i32 v[86:87], v86, 36, v[20:21]
	s_delay_alu instid0(VALU_DEP_4)
	v_mad_nc_i64_i32 v[82:83], v82, 36, v[20:21]
	v_dual_add_nc_u32 v94, v88, v202 :: v_dual_add_nc_u32 v96, v88, v203
	v_mad_nc_i64_i32 v[84:85], v84, 36, v[20:21]
	v_mad_nc_i64_i32 v[88:89], v89, 36, v[20:21]
	;; [unrolled: 1-line block ×6, first 2 shown]
	s_clause 0x8
	global_load_b32 v98, v[80:81], off
	global_load_b32 v99, v[86:87], off offset:4
	global_load_b32 v100, v[82:83], off offset:4
	;; [unrolled: 1-line block ×8, first 2 shown]
	s_wait_xcnt 0x6
	v_dual_mov_b32 v81, v229 :: v_dual_mov_b32 v83, v222
	v_mov_b32_e32 v148, v223
	s_mov_b32 s12, 12
	s_wait_loadcnt 0x8
	v_cvt_f32_f16_e32 v80, v98
	s_wait_loadcnt 0x7
	ds_store_b32 v220, v99
	s_wait_loadcnt 0x6
	ds_store_b32 v221, v100
	;; [unrolled: 2-line block ×8, first 2 shown]
	ds_store_b32 v65, v80
	s_wait_dscnt 0x0
	s_barrier_signal -1
	s_barrier_wait -1
.LBB141_11:                             ;   Parent Loop BB141_6 Depth=1
                                        ; =>  This Inner Loop Header: Depth=2
	v_add_nc_u32_e32 v90, 0x2080, v144
	ds_load_2addr_b32 v[114:115], v83 offset0:3 offset1:4
	ds_load_2addr_b32 v[84:85], v83 offset0:1 offset1:2
	;; [unrolled: 1-line block ×3, first 2 shown]
	ds_load_2addr_b32 v[116:117], v83 offset1:7
	ds_load_2addr_b32 v[86:87], v81 offset1:32
	ds_load_b32 v92, v145
	ds_load_2addr_b32 v[96:97], v144 offset1:1
	ds_load_2addr_b32 v[108:109], v144 offset0:2 offset1:3
	ds_load_2addr_b32 v[110:111], v144 offset0:4 offset1:5
	ds_load_2addr_b32 v[100:101], v144 offset0:6 offset1:7
	s_add_co_i32 s12, s12, 4
	ds_load_b32 v88, v146
	ds_load_2addr_b32 v[90:91], v90 offset1:1
	s_cmp_lt_u32 s12, 28
	v_dual_add_nc_u32 v146, 4, v146 :: v_dual_add_nc_u32 v145, 4, v145
	s_wait_dscnt 0xb
	v_dual_lshlrev_b32 v80, 16, v115 :: v_dual_lshlrev_b32 v82, 8, v115
	s_wait_dscnt 0xa
	v_dual_lshlrev_b32 v93, 16, v84 :: v_dual_lshlrev_b32 v102, 8, v84
	s_wait_dscnt 0x8
	v_bfe_i32 v126, v116, 0, 8
	v_bfe_i32 v127, v116, 8, 8
	v_dual_lshlrev_b32 v89, 16, v117 :: v_dual_lshlrev_b32 v170, 8, v117
	s_wait_dscnt 0x0
	v_bfe_i32 v94, v90, 0, 8
	v_bfe_i32 v95, v90, 8, 8
	v_perm_b32 v136, v80, v115, 0x7000c0c
	v_perm_b32 v89, v89, v89, 0xc0c030c
	;; [unrolled: 1-line block ×3, first 2 shown]
	v_mul_i32_i24_e32 v94, v94, v126
	v_perm_b32 v149, v90, v90, 0xc0c0302
	v_dual_lshlrev_b32 v103, 16, v98 :: v_dual_lshlrev_b32 v104, 8, v98
	s_delay_alu instid0(VALU_DEP_4) | instskip(NEXT) | instid1(VALU_DEP_4)
	v_or_b32_e32 v117, v117, v89
	v_mad_i32_i24 v118, v95, v127, v94
	v_dual_mov_b32 v89, v92 :: v_dual_add_nc_u32 v94, 0x2088, v144
	v_dual_ashrrev_i32 v150, 24, v91 :: v_dual_bitop2_b32 v80, v136, v149 bitop3:0x54
	v_perm_b32 v119, v91, v116, 0x5040302
	ds_load_2addr_b32 v[124:125], v94 offset1:1
	v_add_nc_u32_e32 v94, 0x2090, v144
	v_perm_b32 v82, v115, v82, 0xc0c0703
	v_perm_b32 v93, v93, v84, 0x7000c0c
	v_dot4_i32_iu8 v80, v80, v119, v118 neg_lo:[1,1,0]
	v_perm_b32 v84, v84, v102, 0xc0c0703
	ds_load_2addr_b32 v[122:123], v94 offset1:1
	v_dual_lshlrev_b32 v105, 16, v85 :: v_dual_lshlrev_b32 v106, 8, v85
	v_or_b32_e32 v137, v93, v82
	v_perm_b32 v93, v103, v98, 0x7000c0c
	v_add_nc_u32_e32 v94, 0x2098, v144
	v_perm_b32 v176, v98, v104, 0xc0c0703
	v_perm_b32 v178, v105, v85, 0xc0c0700
	v_dual_lshlrev_b32 v107, 16, v99 :: v_dual_lshlrev_b32 v112, 8, v99
	v_or_b32_e32 v173, v93, v84
	ds_load_2addr_b32 v[94:95], v94 offset1:1
	v_perm_b32 v182, v85, v106, 0xc0c0703
	v_perm_b32 v183, v107, v99, 0xc0c0700
	s_wait_dscnt 0x2
	v_perm_b32 v118, v124, v91, 0x5040302
	v_perm_b32 v82, v125, v124, 0x5040302
	v_dual_lshlrev_b32 v113, 16, v114 :: v_dual_lshlrev_b32 v171, 8, v114
	v_perm_b32 v184, v99, v112, 0xc0c0703
	s_delay_alu instid0(VALU_DEP_4) | instskip(SKIP_1) | instid1(VALU_DEP_4)
	v_dot4_i32_iu8 v80, v137, v118, v80 neg_lo:[1,1,0]
	v_dual_mov_b32 v170, v86 :: v_dual_add_nc_u32 v93, 0x6188, v144
	v_perm_b32 v185, v113, v114, 0xc0c0700
	v_add_nc_u32_e32 v84, 0x6180, v144
	s_delay_alu instid0(VALU_DEP_4)
	v_dot4_i32_iu8 v80, v173, v82, v80 neg_lo:[1,1,0]
	v_perm_b32 v82, v125, v125, 0xc0c0302
	v_perm_b32 v174, v97, v97, 0x2010003
	;; [unrolled: 1-line block ×5, first 2 shown]
	v_dot4_i32_iu8 v80, v176, v82, v80 neg_lo:[1,1,0]
	s_wait_dscnt 0x1
	v_perm_b32 v82, v122, v122, 0xc0c0100
	v_perm_b32 v180, v111, v111, 0x2010003
	;; [unrolled: 1-line block ×5, first 2 shown]
	v_dot4_i32_iu8 v80, v178, v82, v80 neg_lo:[1,1,0]
	v_perm_b32 v82, v122, v122, 0xc0c0302
	s_wait_dscnt 0x0
	v_perm_b32 v232, v94, v94, 0x2010003
	v_perm_b32 v114, v114, v171, 0xc0c0703
	;; [unrolled: 1-line block ×3, first 2 shown]
	s_set_vgpr_msb 64                       ;  msbs: dst=1 src0=0 src1=0 src2=0
	v_perm_b32 v11 /*v267*/, v90, v95, 0x4020100
	s_set_vgpr_msb 0                        ;  msbs: dst=0 src0=0 src1=0 src2=0
	v_dot4_i32_iu8 v80, v182, v82, v80 neg_lo:[1,1,0]
	v_perm_b32 v82, v123, v123, 0xc0c0100
	s_set_vgpr_msb 64                       ;  msbs: dst=1 src0=0 src1=0 src2=0
	v_perm_b32 v12 /*v268*/, v90, v90, 0xc030201
	s_set_vgpr_msb 0                        ;  msbs: dst=0 src0=0 src1=0 src2=0
	s_delay_alu instid0(VALU_DEP_2) | instskip(SKIP_1) | instid1(VALU_DEP_1)
	v_dot4_i32_iu8 v80, v183, v82, v80 neg_lo:[1,1,0]
	v_perm_b32 v82, v123, v123, 0xc0c0302
	v_dot4_i32_iu8 v80, v184, v82, v80 neg_lo:[1,1,0]
	v_perm_b32 v82, v94, v94, 0xc0c0100
	s_delay_alu instid0(VALU_DEP_1)
	v_dot4_i32_iu8 v172, v185, v82, v80 neg_lo:[1,1,0]
	v_add_nc_u32_e32 v80, 0x4100, v144
	ds_load_b32 v82, v147
	ds_load_2addr_b32 v[98:99], v80 offset1:1
	v_add_nc_u32_e32 v80, 0x4108, v144
	v_dot4_i32_iu8 v171, v114, v171, v172 neg_lo:[1,1,0]
	v_add_nc_u32_e32 v147, 4, v147
	ds_load_2addr_b32 v[134:135], v80 offset1:1
	v_add_nc_u32_e32 v80, 0x4110, v144
	v_dot4_i32_iu8 v172, v117, v95, v171 neg_lo:[1,1,0]
	ds_load_2addr_b32 v[132:133], v80 offset1:1
	v_add_nc_u32_e32 v80, 0x4118, v144
	ds_load_2addr_b32 v[104:105], v80 offset1:1
	ds_load_b32 v80, v148
	ds_load_2addr_b32 v[84:85], v84 offset1:1
	ds_load_2addr_b32 v[130:131], v93 offset1:1
	v_add_nc_u32_e32 v93, 0x6190, v144
	s_wait_dscnt 0x6
	v_ashrrev_i32_e32 v238, 24, v99
	v_perm_b32 v168, v98, v98, 0xc0c0302
	v_bfe_i32 v138, v99, 0, 8
	v_add_nc_u32_e32 v148, 4, v148
	ds_load_2addr_b32 v[128:129], v93 offset1:1
	v_add_nc_u32_e32 v93, 0x6198, v144
	s_wait_dscnt 0x6
	v_perm_b32 v254, v134, v99, 0x7020100
	v_add_nc_u32_e32 v144, 32, v144
	ds_load_2addr_b32 v[106:107], v93 offset1:1
	v_add_nc_u32_e32 v93, 0x40c, v83
	s_wait_dscnt 0x6
	v_perm_b32 v158, v132, v132, 0x2010003
	v_perm_b32 v159, v133, v133, 0x2010003
	ds_load_2addr_b32 v[112:113], v93 offset1:1
	v_add_nc_u32_e32 v93, 0x404, v83
	s_wait_dscnt 0x4
	v_ashrrev_i32_e32 v239, 24, v85
	v_perm_b32 v160, v104, v104, 0x2010003
	v_perm_b32 v169, v84, v84, 0xc0c0302
	v_bfe_i32 v139, v85, 0, 8
	ds_load_2addr_b32 v[118:119], v93 offset1:1
	v_add_nc_u32_e32 v93, 0x414, v83
	ds_load_2addr_b32 v[120:121], v93 offset1:1
	v_add_nc_u32_e32 v93, 0x400, v83
	ds_load_2addr_b32 v[102:103], v93 offset1:7
	s_wait_dscnt 0x3
	v_dual_lshlrev_b32 v115, 16, v113 :: v_dual_lshlrev_b32 v140, 8, v113
	v_perm_b32 v113, v113, v113, 0xc0c0003
	v_dual_lshlrev_b32 v156, 16, v112 :: v_dual_lshlrev_b32 v157, 8, v112
	v_perm_b32 v112, v112, v112, 0xc0c0003
	s_wait_dscnt 0x2
	v_dual_lshlrev_b32 v141, 16, v118 :: v_dual_lshlrev_b32 v142, 8, v118
	v_perm_b32 v115, v140, v115, 0x7030c0c
	v_perm_b32 v118, v118, v118, 0xc0c0003
	v_dual_lshlrev_b32 v152, 16, v119 :: v_dual_lshlrev_b32 v153, 8, v119
	s_wait_dscnt 0x1
	v_dual_lshlrev_b32 v143, 16, v120 :: v_dual_lshlrev_b32 v151, 8, v120
	v_or_b32_e32 v113, v115, v113
	v_perm_b32 v140, v142, v141, 0x7030c0c
	v_perm_b32 v120, v120, v120, 0xc0c0003
	v_dual_lshlrev_b32 v154, 16, v121 :: v_dual_lshlrev_b32 v155, 8, v121
	s_wait_dscnt 0x0
	v_lshlrev_b32_e32 v93, 16, v103
	v_dot4_i32_iu8 v115, v113, v174, 0 neg_lo:[1,1,0]
	v_or_b32_e32 v118, v140, v118
	v_perm_b32 v140, v151, v143, 0x7030c0c
	v_perm_b32 v119, v119, v119, 0xc0c0003
	;; [unrolled: 1-line block ×3, first 2 shown]
	v_or_b32_e32 v141, v136, v161
	v_dot4_i32_iu8 v115, v118, v175, v115 neg_lo:[1,1,0]
	v_or_b32_e32 v120, v140, v120
	v_perm_b32 v140, v153, v152, 0x7030c0c
	v_perm_b32 v142, v125, v125, 0x6010007
	v_perm_b32 v143, v122, v122, 0x2010003
	v_perm_b32 v151, v131, v131, 0x6010007
	v_dot4_i32_iu8 v115, v120, v177, v115 neg_lo:[1,1,0]
	v_or_b32_e32 v119, v140, v119
	v_perm_b32 v140, v155, v154, 0x7030c0c
	v_perm_b32 v155, v99, v99, 0x2010003
	v_perm_b32 v152, v128, v128, 0x2010003
	v_perm_b32 v153, v129, v129, 0x2010003
	;; [unrolled: 6-line block ×3, first 2 shown]
	v_dot4_i32_iu8 v115, v121, v180, v115 neg_lo:[1,1,0]
	v_or_b32_e32 v112, v140, v112
	v_bfe_i32 v140, v96, 8, 8
	s_delay_alu instid0(VALU_DEP_2) | instskip(SKIP_1) | instid1(VALU_DEP_1)
	v_dot4_i32_iu8 v163, v112, v181, v115 neg_lo:[1,1,0]
	v_bfe_i32 v115, v96, 0, 8
	v_mul_i32_i24_e32 v115, v115, v126
	s_delay_alu instid0(VALU_DEP_1) | instskip(SKIP_3) | instid1(VALU_DEP_3)
	v_mad_i32_i24 v115, v140, v127, v115
	v_perm_b32 v140, v97, v116, 0x5040302
	v_perm_b32 v97, v108, v97, 0x5040302
	;; [unrolled: 1-line block ×3, first 2 shown]
	v_dot4_i32_iu8 v115, v141, v140, v115 neg_lo:[1,1,0]
	v_perm_b32 v140, v91, v91, 0x2010003
	v_perm_b32 v141, v124, v124, 0x2010003
	s_delay_alu instid0(VALU_DEP_3) | instskip(SKIP_1) | instid1(VALU_DEP_2)
	v_dot4_i32_iu8 v97, v137, v97, v115 neg_lo:[1,1,0]
	v_perm_b32 v115, v130, v130, 0x2010003
	v_dot4_i32_iu8 v97, v173, v108, v97 neg_lo:[1,1,0]
	v_perm_b32 v108, v109, v109, 0xc0c0302
	s_delay_alu instid0(VALU_DEP_1) | instskip(SKIP_1) | instid1(VALU_DEP_1)
	v_dot4_i32_iu8 v97, v176, v108, v97 neg_lo:[1,1,0]
	v_perm_b32 v108, v110, v110, 0xc0c0100
	v_dot4_i32_iu8 v97, v178, v108, v97 neg_lo:[1,1,0]
	v_perm_b32 v108, v110, v110, 0xc0c0302
	v_bfe_i32 v110, v98, 8, 8
	s_delay_alu instid0(VALU_DEP_2) | instskip(SKIP_1) | instid1(VALU_DEP_1)
	v_dot4_i32_iu8 v97, v182, v108, v97 neg_lo:[1,1,0]
	v_perm_b32 v108, v111, v111, 0xc0c0100
	v_dot4_i32_iu8 v97, v183, v108, v97 neg_lo:[1,1,0]
	v_perm_b32 v108, v111, v111, 0xc0c0302
	v_perm_b32 v111, v99, v116, 0x5040302
	v_perm_b32 v116, v85, v116, 0x5040302
	s_delay_alu instid0(VALU_DEP_3) | instskip(SKIP_1) | instid1(VALU_DEP_1)
	v_dot4_i32_iu8 v97, v184, v108, v97 neg_lo:[1,1,0]
	v_perm_b32 v108, v100, v100, 0xc0c0100
	v_dot4_i32_iu8 v164, v185, v108, v97 neg_lo:[1,1,0]
	v_dot4_i32_iu8 v97, v113, v140, 0 neg_lo:[1,1,0]
	v_pk_mul_f32 v[108:109], v[92:93], v[86:87] op_sel_hi:[0,1]
	s_delay_alu instid0(VALU_DEP_2) | instskip(NEXT) | instid1(VALU_DEP_1)
	v_dot4_i32_iu8 v97, v118, v141, v97 neg_lo:[1,1,0]
	v_dot4_i32_iu8 v97, v120, v142, v97 neg_lo:[1,1,0]
	s_delay_alu instid0(VALU_DEP_1) | instskip(NEXT) | instid1(VALU_DEP_1)
	v_dot4_i32_iu8 v97, v119, v143, v97 neg_lo:[1,1,0]
	v_dot4_i32_iu8 v97, v121, v231, v97 neg_lo:[1,1,0]
	s_delay_alu instid0(VALU_DEP_1) | instskip(SKIP_1) | instid1(VALU_DEP_1)
	v_dot4_i32_iu8 v162, v112, v232, v97 neg_lo:[1,1,0]
	v_dot4_i32_iu8 v97, v113, v155, 0 neg_lo:[1,1,0]
	v_dot4_i32_iu8 v97, v118, v156, v97 neg_lo:[1,1,0]
	s_delay_alu instid0(VALU_DEP_1) | instskip(NEXT) | instid1(VALU_DEP_1)
	v_dot4_i32_iu8 v97, v120, v157, v97 neg_lo:[1,1,0]
	v_dot4_i32_iu8 v97, v119, v158, v97 neg_lo:[1,1,0]
	s_delay_alu instid0(VALU_DEP_1) | instskip(NEXT) | instid1(VALU_DEP_1)
	v_dot4_i32_iu8 v97, v121, v159, v97 neg_lo:[1,1,0]
	v_dot4_i32_iu8 v165, v112, v160, v97 neg_lo:[1,1,0]
	v_bfe_i32 v97, v98, 0, 8
	s_delay_alu instid0(VALU_DEP_1) | instskip(NEXT) | instid1(VALU_DEP_1)
	v_mul_i32_i24_e32 v97, v97, v126
	v_mad_i32_i24 v97, v110, v127, v97
	v_or_b32_e32 v110, v136, v168
	s_delay_alu instid0(VALU_DEP_1) | instskip(SKIP_2) | instid1(VALU_DEP_2)
	v_dot4_i32_iu8 v97, v110, v111, v97 neg_lo:[1,1,0]
	v_perm_b32 v110, v134, v99, 0x5040302
	v_perm_b32 v99, v134, v99, 0x4070201
	v_dot4_i32_iu8 v97, v137, v110, v97 neg_lo:[1,1,0]
	v_perm_b32 v110, v135, v134, 0x5040302
	s_delay_alu instid0(VALU_DEP_1) | instskip(SKIP_1) | instid1(VALU_DEP_1)
	v_dot4_i32_iu8 v97, v173, v110, v97 neg_lo:[1,1,0]
	v_perm_b32 v110, v135, v135, 0xc0c0302
	v_dot4_i32_iu8 v97, v176, v110, v97 neg_lo:[1,1,0]
	v_perm_b32 v110, v132, v132, 0xc0c0100
	s_delay_alu instid0(VALU_DEP_1) | instskip(SKIP_1) | instid1(VALU_DEP_1)
	v_dot4_i32_iu8 v97, v178, v110, v97 neg_lo:[1,1,0]
	;; [unrolled: 5-line block ×3, first 2 shown]
	v_perm_b32 v110, v133, v133, 0xc0c0302
	v_dot4_i32_iu8 v97, v184, v110, v97 neg_lo:[1,1,0]
	v_perm_b32 v110, v104, v104, 0xc0c0100
	s_delay_alu instid0(VALU_DEP_1) | instskip(SKIP_2) | instid1(VALU_DEP_2)
	v_dot4_i32_iu8 v166, v185, v110, v97 neg_lo:[1,1,0]
	v_perm_b32 v97, v85, v85, 0x2010003
	v_pk_mul_f32 v[110:111], v[82:83], v[86:87] op_sel_hi:[0,1]
	v_dot4_i32_iu8 v113, v113, v97, 0 neg_lo:[1,1,0]
	s_delay_alu instid0(VALU_DEP_1) | instskip(SKIP_1) | instid1(VALU_DEP_2)
	v_dot4_i32_iu8 v113, v118, v115, v113 neg_lo:[1,1,0]
	v_add_nc_u32_e32 v118, 0x80c, v83
	v_dot4_i32_iu8 v113, v120, v151, v113 neg_lo:[1,1,0]
	s_delay_alu instid0(VALU_DEP_1) | instskip(NEXT) | instid1(VALU_DEP_1)
	v_dot4_i32_iu8 v113, v119, v152, v113 neg_lo:[1,1,0]
	v_dot4_i32_iu8 v113, v121, v153, v113 neg_lo:[1,1,0]
	s_delay_alu instid0(VALU_DEP_1) | instskip(SKIP_2) | instid1(VALU_DEP_2)
	v_dot4_i32_iu8 v167, v112, v154, v113 neg_lo:[1,1,0]
	v_bfe_i32 v112, v84, 0, 8
	v_bfe_i32 v113, v84, 8, 8
	v_mul_i32_i24_e32 v112, v112, v126
	s_delay_alu instid0(VALU_DEP_1)
	v_mad_i32_i24 v112, v113, v127, v112
	v_or_b32_e32 v113, v136, v169
	ds_load_2addr_b32 v[126:127], v118 offset1:1
	v_add_nc_u32_e32 v118, 0x804, v83
	v_dot4_i32_iu8 v112, v113, v116, v112 neg_lo:[1,1,0]
	v_perm_b32 v113, v130, v85, 0x5040302
	s_delay_alu instid0(VALU_DEP_1)
	v_dot4_i32_iu8 v112, v137, v113, v112 neg_lo:[1,1,0]
	v_perm_b32 v113, v131, v130, 0x5040302
	ds_load_2addr_b32 v[136:137], v118 offset1:1
	v_add_nc_u32_e32 v118, 0x814, v83
	v_dot4_i32_iu8 v112, v173, v113, v112 neg_lo:[1,1,0]
	v_perm_b32 v113, v131, v131, 0xc0c0302
	s_wait_dscnt 0x1
	v_dual_lshlrev_b32 v173, 16, v127 :: v_dual_lshlrev_b32 v192, 16, v126
	v_lshlrev_b32_e32 v193, 8, v126
	s_delay_alu instid0(VALU_DEP_3) | instskip(SKIP_4) | instid1(VALU_DEP_4)
	v_dot4_i32_iu8 v112, v176, v113, v112 neg_lo:[1,1,0]
	v_perm_b32 v113, v128, v128, 0xc0c0100
	v_lshlrev_b32_e32 v176, 8, v127
	v_perm_b32 v127, v127, v127, 0xc0c0003
	v_perm_b32 v126, v126, v126, 0xc0c0003
	v_dot4_i32_iu8 v112, v178, v113, v112 neg_lo:[1,1,0]
	v_perm_b32 v113, v128, v128, 0xc0c0302
	v_perm_b32 v173, v176, v173, 0x7030c0c
	s_wait_dscnt 0x0
	v_dual_lshlrev_b32 v178, 16, v136 :: v_dual_lshlrev_b32 v187, 16, v137
	s_delay_alu instid0(VALU_DEP_3) | instskip(SKIP_2) | instid1(VALU_DEP_2)
	v_dot4_i32_iu8 v112, v182, v113, v112 neg_lo:[1,1,0]
	v_perm_b32 v113, v129, v129, 0xc0c0100
	v_or_b32_e32 v127, v173, v127
	v_dot4_i32_iu8 v112, v183, v113, v112 neg_lo:[1,1,0]
	ds_load_2addr_b32 v[182:183], v118 offset1:1
	v_add_nc_u32_e32 v118, 0x800, v83
	ds_load_2addr_b32 v[118:119], v118 offset1:7
	ds_load_2addr_b32 v[120:121], v81 offset0:64 offset1:96
	v_perm_b32 v113, v129, v129, 0xc0c0302
	v_lshlrev_b32_e32 v188, 8, v137
	v_dot4_i32_iu8 v173, v127, v174, 0 neg_lo:[1,1,0]
	v_perm_b32 v137, v137, v137, 0xc0c0003
	s_delay_alu instid0(VALU_DEP_4) | instskip(SKIP_3) | instid1(VALU_DEP_3)
	v_dot4_i32_iu8 v112, v184, v113, v112 neg_lo:[1,1,0]
	v_perm_b32 v113, v106, v106, 0xc0c0100
	v_lshlrev_b32_e32 v184, 8, v136
	v_perm_b32 v136, v136, v136, 0xc0c0003
	v_dot4_i32_iu8 v116, v185, v113, v112 neg_lo:[1,1,0]
	s_delay_alu instid0(VALU_DEP_3) | instskip(SKIP_3) | instid1(VALU_DEP_3)
	v_perm_b32 v176, v184, v178, 0x7030c0c
	s_wait_dscnt 0x2
	v_dual_lshlrev_b32 v185, 16, v182 :: v_dual_lshlrev_b32 v186, 8, v182
	v_perm_b32 v178, v182, v182, 0xc0c0003
	v_dual_lshlrev_b32 v190, 16, v183 :: v_dual_bitop2_b32 v136, v176, v136 bitop3:0x54
	s_wait_dscnt 0x1
	v_lshlrev_b32_e32 v189, 16, v119
	v_perm_b32 v176, v186, v185, 0x7030c0c
	v_lshlrev_b32_e32 v191, 8, v183
	v_perm_b32 v182, v183, v183, 0xc0c0003
	v_dot4_i32_iu8 v173, v136, v175, v173 neg_lo:[1,1,0]
	v_perm_b32 v185, v101, v101, 0x2010003
	v_or_b32_e32 v176, v176, v178
	v_perm_b32 v178, v188, v187, 0x7030c0c
	v_pk_mul_f32 v[112:113], v[80:81], v[86:87] op_sel_hi:[0,1]
	s_delay_alu instid0(VALU_DEP_3) | instskip(NEXT) | instid1(VALU_DEP_3)
	v_dot4_i32_iu8 v173, v176, v177, v173 neg_lo:[1,1,0]
	v_or_b32_e32 v137, v178, v137
	v_perm_b32 v178, v191, v190, 0x7030c0c
	s_delay_alu instid0(VALU_DEP_2) | instskip(NEXT) | instid1(VALU_DEP_2)
	v_dot4_i32_iu8 v173, v137, v179, v173 neg_lo:[1,1,0]
	v_or_b32_e32 v178, v178, v182
	v_perm_b32 v182, v193, v192, 0x7030c0c
	s_delay_alu instid0(VALU_DEP_2) | instskip(NEXT) | instid1(VALU_DEP_2)
	v_dot4_i32_iu8 v173, v178, v180, v173 neg_lo:[1,1,0]
	v_or_b32_e32 v126, v182, v126
	v_dot4_i32_iu8 v182, v127, v155, 0 neg_lo:[1,1,0]
	s_delay_alu instid0(VALU_DEP_2) | instskip(SKIP_2) | instid1(VALU_DEP_4)
	v_dot4_i32_iu8 v190, v126, v181, v173 neg_lo:[1,1,0]
	v_dot4_i32_iu8 v173, v127, v140, 0 neg_lo:[1,1,0]
	;; [unrolled: 1-line block ×4, first 2 shown]
	s_delay_alu instid0(VALU_DEP_3) | instskip(NEXT) | instid1(VALU_DEP_3)
	v_dot4_i32_iu8 v173, v136, v141, v173 neg_lo:[1,1,0]
	v_dot4_i32_iu8 v127, v136, v115, v127 neg_lo:[1,1,0]
	s_delay_alu instid0(VALU_DEP_3) | instskip(NEXT) | instid1(VALU_DEP_3)
	v_dot4_i32_iu8 v182, v176, v157, v182 neg_lo:[1,1,0]
	v_dot4_i32_iu8 v173, v176, v142, v173 neg_lo:[1,1,0]
	;; [unrolled: 3-line block ×7, first 2 shown]
	v_add_nc_u32_e32 v126, 0xc0c, v83
	ds_load_2addr_b32 v[136:137], v126 offset1:1
	v_add_nc_u32_e32 v126, 0xc04, v83
	ds_load_2addr_b32 v[234:235], v126 offset1:1
	;; [unrolled: 2-line block ×4, first 2 shown]
	s_wait_dscnt 0x3
	v_dual_lshlrev_b32 v240, 16, v137 :: v_dual_lshlrev_b32 v241, 8, v137
	v_perm_b32 v178, v137, v137, 0xc0c0003
	v_dual_lshlrev_b32 v192, 16, v136 :: v_dual_lshlrev_b32 v193, 8, v136
	v_bfe_i32 v233, v137, 0, 8
	s_wait_dscnt 0x2
	v_dual_lshlrev_b32 v243, 16, v234 :: v_dual_lshlrev_b32 v244, 8, v234
	v_perm_b32 v176, v241, v240, 0x7030c0c
	v_perm_b32 v182, v234, v234, 0xc0c0003
	v_dual_lshlrev_b32 v247, 16, v235 :: v_dual_lshlrev_b32 v248, 8, v235
	s_wait_dscnt 0x1
	s_delay_alu instid0(VALU_DEP_3) | instskip(SKIP_3) | instid1(VALU_DEP_4)
	v_dual_lshlrev_b32 v246, 8, v236 :: v_dual_bitop2_b32 v176, v176, v178 bitop3:0x54
	v_perm_b32 v178, v244, v243, 0x7030c0c
	v_dual_lshlrev_b32 v245, 16, v236 :: v_dual_lshlrev_b32 v249, 16, v237
	v_lshlrev_b32_e32 v250, 8, v237
	v_dot4_i32_iu8 v176, v176, v174, 0 neg_lo:[1,1,0]
	s_delay_alu instid0(VALU_DEP_4)
	v_or_b32_e32 v178, v178, v182
	v_perm_b32 v182, v236, v236, 0xc0c0003
	s_wait_dscnt 0x0
	v_dual_lshlrev_b32 v191, 16, v127 :: v_dual_lshlrev_b32 v187, 8, v127
	v_ashrrev_i32_e32 v242, 24, v137
	v_dot4_i32_iu8 v176, v178, v175, v176 neg_lo:[1,1,0]
	v_perm_b32 v178, v246, v245, 0x7030c0c
	v_perm_b32 v137, v240, v137, 0xc0c0700
	;; [unrolled: 1-line block ×4, first 2 shown]
	v_mul_i32_i24_e32 v253, v242, v238
	v_or_b32_e32 v178, v178, v182
	v_perm_b32 v182, v235, v235, 0xc0c0003
	v_perm_b32 v196, v237, v248, 0x7030c0c
	;; [unrolled: 1-line block ×3, first 2 shown]
	s_set_vgpr_msb 64                       ;  msbs: dst=1 src0=0 src1=0 src2=0
	v_perm_b32 v13 /*v269*/, v126, v126, 0xc030201
	s_set_vgpr_msb 0                        ;  msbs: dst=0 src0=0 src1=0 src2=0
	v_dot4_i32_iu8 v176, v178, v177, v176 neg_lo:[1,1,0]
	v_perm_b32 v178, v248, v247, 0x7030c0c
	s_delay_alu instid0(VALU_DEP_1) | instskip(SKIP_1) | instid1(VALU_DEP_2)
	v_or_b32_e32 v178, v178, v182
	v_perm_b32 v182, v237, v237, 0xc0c0003
	v_dot4_i32_iu8 v176, v178, v179, v176 neg_lo:[1,1,0]
	v_perm_b32 v178, v250, v249, 0x7030c0c
	s_delay_alu instid0(VALU_DEP_1) | instskip(SKIP_1) | instid1(VALU_DEP_2)
	v_or_b32_e32 v178, v178, v182
	v_perm_b32 v182, v136, v136, 0xc0c0003
	;; [unrolled: 5-line block ×3, first 2 shown]
	v_dot4_i32_iu8 v176, v178, v181, v176 neg_lo:[1,1,0]
	v_perm_b32 v178, v187, v191, 0x7030c0c
	s_delay_alu instid0(VALU_DEP_1) | instskip(NEXT) | instid1(VALU_DEP_1)
	v_or_b32_e32 v178, v178, v182
	v_dot4_i32_iu8 v194, v178, v185, v176 neg_lo:[1,1,0]
	v_perm_b32 v176, v234, v241, 0x7030c0c
	v_mul_i32_i24_e32 v178, v242, v150
	s_delay_alu instid0(VALU_DEP_2) | instskip(SKIP_1) | instid1(VALU_DEP_1)
	v_or_b32_e32 v137, v176, v137
	v_perm_b32 v176, v124, v91, 0x7020100
	v_dot4_i32_iu8 v182, v137, v176, v178 neg_lo:[1,1,0]
	v_perm_b32 v178, v243, v234, 0xc0c0700
	v_dot4_i32_iu8 v137, v137, v254, v253 neg_lo:[1,1,0]
	v_perm_b32 v253, v135, v134, 0x7020100
	v_perm_b32 v134, v134, v134, 0xc0c0201
	s_delay_alu instid0(VALU_DEP_4) | instskip(SKIP_1) | instid1(VALU_DEP_2)
	v_or_b32_e32 v195, v183, v178
	v_perm_b32 v178, v125, v124, 0x7020100
	v_dot4_i32_iu8 v137, v195, v253, v137 neg_lo:[1,1,0]
	s_delay_alu instid0(VALU_DEP_2) | instskip(SKIP_3) | instid1(VALU_DEP_3)
	v_dot4_i32_iu8 v183, v195, v178, v182 neg_lo:[1,1,0]
	v_perm_b32 v182, v245, v236, 0xc0c0700
	v_perm_b32 v195, v132, v135, 0x7020c0c
	v_perm_b32 v253, v135, v135, 0xc0c0100
	v_or_b32_e32 v197, v184, v182
	v_perm_b32 v182, v122, v125, 0x7020c0c
	v_perm_b32 v184, v125, v125, 0xc0c0100
	s_delay_alu instid0(VALU_DEP_4) | instskip(NEXT) | instid1(VALU_DEP_2)
	v_or_b32_e32 v195, v195, v253
	v_or_b32_e32 v182, v182, v184
	s_delay_alu instid0(VALU_DEP_2) | instskip(SKIP_1) | instid1(VALU_DEP_3)
	v_dot4_i32_iu8 v137, v197, v195, v137 neg_lo:[1,1,0]
	v_perm_b32 v195, v133, v132, 0x7020100
	v_dot4_i32_iu8 v184, v197, v182, v183 neg_lo:[1,1,0]
	v_perm_b32 v183, v247, v235, 0xc0c0700
	v_perm_b32 v197, v192, v136, 0xc0c0700
	s_delay_alu instid0(VALU_DEP_2) | instskip(SKIP_1) | instid1(VALU_DEP_2)
	v_or_b32_e32 v251, v196, v183
	v_perm_b32 v183, v123, v122, 0x7020100
	v_dot4_i32_iu8 v137, v251, v195, v137 neg_lo:[1,1,0]
	s_delay_alu instid0(VALU_DEP_2) | instskip(SKIP_3) | instid1(VALU_DEP_3)
	v_dot4_i32_iu8 v196, v251, v183, v184 neg_lo:[1,1,0]
	v_perm_b32 v184, v249, v237, 0xc0c0700
	v_perm_b32 v195, v104, v133, 0x7020100
	;; [unrolled: 1-line block ×3, first 2 shown]
	v_or_b32_e32 v252, v252, v184
	v_perm_b32 v184, v94, v123, 0x7020100
	s_delay_alu instid0(VALU_DEP_3)
	v_or_b32_e32 v197, v251, v197
	v_perm_b32 v251, v130, v85, 0x4070201
	v_perm_b32 v85, v234, v241, 0x407030c
	v_dot4_i32_iu8 v137, v252, v195, v137 neg_lo:[1,1,0]
	v_perm_b32 v195, v105, v104, 0x7020100
	v_perm_b32 v130, v130, v130, 0xc0c0201
	v_dot4_i32_iu8 v196, v252, v184, v196 neg_lo:[1,1,0]
	s_delay_alu instid0(VALU_DEP_3) | instskip(SKIP_1) | instid1(VALU_DEP_1)
	v_dot4_i32_iu8 v195, v197, v195, v137 neg_lo:[1,1,0]
	v_mul_i32_i24_e32 v137, v242, v239
	v_mad_i32_i24 v137, v233, v139, v137
	v_perm_b32 v233, v240, v240, 0xc0c0c03
	s_delay_alu instid0(VALU_DEP_1) | instskip(NEXT) | instid1(VALU_DEP_1)
	v_or_b32_e32 v85, v85, v233
	v_dot4_i32_iu8 v85, v85, v251, v137 neg_lo:[1,1,0]
	v_perm_b32 v137, v131, v131, 0x4030c0c
	s_delay_alu instid0(VALU_DEP_1) | instskip(SKIP_2) | instid1(VALU_DEP_1)
	v_or_b32_e32 v252, v137, v130
	v_perm_b32 v130, v236, v244, 0x407030c
	v_perm_b32 v137, v243, v243, 0xc0c0c03
	v_or_b32_e32 v130, v130, v137
	s_delay_alu instid0(VALU_DEP_1) | instskip(SKIP_2) | instid1(VALU_DEP_1)
	v_dot4_i32_iu8 v85, v130, v252, v85 neg_lo:[1,1,0]
	v_perm_b32 v130, v128, v131, 0x407020c
	v_perm_b32 v131, v131, v131, 0xc0c0c01
	v_or_b32_e32 v244, v130, v131
	v_perm_b32 v130, v235, v246, 0x407030c
	v_perm_b32 v131, v245, v245, 0xc0c0c03
	;; [unrolled: 1-line block ×6, first 2 shown]
	v_or_b32_e32 v130, v130, v131
	s_delay_alu instid0(VALU_DEP_1) | instskip(SKIP_1) | instid1(VALU_DEP_1)
	v_dot4_i32_iu8 v85, v130, v244, v85 neg_lo:[1,1,0]
	v_perm_b32 v130, v247, v247, 0xc0c0c03
	v_or_b32_e32 v128, v128, v130
	s_delay_alu instid0(VALU_DEP_1) | instskip(SKIP_1) | instid1(VALU_DEP_1)
	v_dot4_i32_iu8 v85, v128, v245, v85 neg_lo:[1,1,0]
	v_perm_b32 v128, v136, v250, 0x407030c
	v_or_b32_e32 v128, v128, v129
	s_delay_alu instid0(VALU_DEP_1)
	v_dot4_i32_iu8 v85, v128, v246, v85 neg_lo:[1,1,0]
	v_add_nc_u32_e32 v128, 0x100c, v83
	ds_load_2addr_b32 v[136:137], v128 offset1:1
	v_add_nc_u32_e32 v128, 0x1004, v83
	ds_load_2addr_b32 v[240:241], v128 offset1:1
	;; [unrolled: 2-line block ×4, first 2 shown]
	ds_load_2addr_b32 v[128:129], v81 offset0:128 offset1:160
	s_wait_dscnt 0x4
	v_dual_lshlrev_b32 v248, 16, v137 :: v_dual_lshlrev_b32 v249, 8, v137
	s_set_vgpr_msb 64                       ;  msbs: dst=1 src0=0 src1=0 src2=0
	v_perm_b32 v5 /*v261*/, v137, v137, 0xc0c0003
	s_set_vgpr_msb 0                        ;  msbs: dst=0 src0=0 src1=0 src2=0
	v_dual_lshlrev_b32 v235, 16, v136 :: v_dual_lshlrev_b32 v236, 8, v136
	v_bfe_i32 v247, v137, 0, 8
	s_wait_dscnt 0x3
	v_dual_lshlrev_b32 v253, 16, v240 :: v_dual_lshlrev_b32 v254, 8, v240
	v_perm_b32 v237, v249, v248, 0x7030c0c
	s_set_vgpr_msb 64                       ;  msbs: dst=1 src0=0 src1=0 src2=0
	v_perm_b32 v6 /*v262*/, v240, v240, 0xc0c0003
	v_dual_lshlrev_b32 v1 /*v257*/, 16, v241 :: v_dual_lshlrev_b32 v2 /*v258*/, 8, v241
	s_wait_dscnt 0x2
	v_lshlrev_b32_e32 v3 /*v259*/, 16, v243
	s_set_vgpr_msb 4                        ;  msbs: dst=0 src0=0 src1=1 src2=0
	v_or_b32_e32 v237, v237, v5 /*v261*/
	s_set_vgpr_msb 64                       ;  msbs: dst=1 src0=0 src1=0 src2=0
	v_perm_b32 v5 /*v261*/, v254, v253, 0x7030c0c
	s_set_vgpr_msb 0                        ;  msbs: dst=0 src0=0 src1=0 src2=0
	v_lshlrev_b32_e32 v255, 16, v242
	s_set_vgpr_msb 64                       ;  msbs: dst=1 src0=0 src1=0 src2=0
	v_dual_lshlrev_b32 v0 /*v256*/, 8, v242 :: v_dual_lshlrev_b32 v4 /*v260*/, 8, v243
	s_set_vgpr_msb 0                        ;  msbs: dst=0 src0=0 src1=0 src2=0
	v_dot4_i32_iu8 v237, v237, v174, 0 neg_lo:[1,1,0]
	s_set_vgpr_msb 0x45                     ;  msbs: dst=1 src0=1 src1=1 src2=0
	v_or_b32_e32 v5 /*v261*/, v5 /*v261*/, v6 /*v262*/
	s_set_vgpr_msb 64                       ;  msbs: dst=1 src0=0 src1=0 src2=0
	v_perm_b32 v6 /*v262*/, v242, v242, 0xc0c0003
	s_wait_dscnt 0x1
	s_set_vgpr_msb 1                        ;  msbs: dst=0 src0=1 src1=0 src2=0
	v_dual_lshlrev_b32 v233, 16, v131 :: v_dual_lshlrev_b32 v234, 8, v131
	v_ashrrev_i32_e32 v250, 24, v137
	v_dot4_i32_iu8 v237, v5 /*v261*/, v175, v237 neg_lo:[1,1,0]
	s_set_vgpr_msb 0x41                     ;  msbs: dst=1 src0=1 src1=0 src2=0
	v_perm_b32 v5 /*v261*/, v0 /*v256*/, v255, 0x7030c0c
	s_set_vgpr_msb 0                        ;  msbs: dst=0 src0=0 src1=0 src2=0
	v_perm_b32 v137, v248, v137, 0xc0c0700
	s_set_vgpr_msb 0x45                     ;  msbs: dst=1 src0=1 src1=1 src2=0
	s_delay_alu instid0(VALU_DEP_2) | instskip(SKIP_3) | instid1(VALU_DEP_2)
	v_or_b32_e32 v5 /*v261*/, v5 /*v261*/, v6 /*v262*/
	s_set_vgpr_msb 64                       ;  msbs: dst=1 src0=0 src1=0 src2=0
	v_perm_b32 v6 /*v262*/, v241, v241, 0xc0c0003
	s_set_vgpr_msb 1                        ;  msbs: dst=0 src0=1 src1=0 src2=0
	v_dot4_i32_iu8 v237, v5 /*v261*/, v177, v237 neg_lo:[1,1,0]
	s_set_vgpr_msb 0x45                     ;  msbs: dst=1 src0=1 src1=1 src2=0
	v_perm_b32 v5 /*v261*/, v2 /*v258*/, v1 /*v257*/, 0x7030c0c
	s_delay_alu instid0(VALU_DEP_1) | instskip(SKIP_3) | instid1(VALU_DEP_2)
	v_or_b32_e32 v5 /*v261*/, v5 /*v261*/, v6 /*v262*/
	s_set_vgpr_msb 64                       ;  msbs: dst=1 src0=0 src1=0 src2=0
	v_perm_b32 v6 /*v262*/, v243, v243, 0xc0c0003
	s_set_vgpr_msb 1                        ;  msbs: dst=0 src0=1 src1=0 src2=0
	v_dot4_i32_iu8 v237, v5 /*v261*/, v179, v237 neg_lo:[1,1,0]
	s_set_vgpr_msb 0x45                     ;  msbs: dst=1 src0=1 src1=1 src2=0
	v_perm_b32 v5 /*v261*/, v4 /*v260*/, v3 /*v259*/, 0x7030c0c
	s_delay_alu instid0(VALU_DEP_1) | instskip(SKIP_3) | instid1(VALU_DEP_2)
	v_or_b32_e32 v5 /*v261*/, v5 /*v261*/, v6 /*v262*/
	s_set_vgpr_msb 64                       ;  msbs: dst=1 src0=0 src1=0 src2=0
	v_perm_b32 v6 /*v262*/, v136, v136, 0xc0c0003
	s_set_vgpr_msb 1                        ;  msbs: dst=0 src0=1 src1=0 src2=0
	v_dot4_i32_iu8 v237, v5 /*v261*/, v180, v237 neg_lo:[1,1,0]
	s_set_vgpr_msb 64                       ;  msbs: dst=1 src0=0 src1=0 src2=0
	v_perm_b32 v5 /*v261*/, v236, v235, 0x7030c0c
	s_set_vgpr_msb 0x45                     ;  msbs: dst=1 src0=1 src1=1 src2=0
	s_delay_alu instid0(VALU_DEP_1) | instskip(SKIP_3) | instid1(VALU_DEP_2)
	v_or_b32_e32 v5 /*v261*/, v5 /*v261*/, v6 /*v262*/
	s_set_vgpr_msb 64                       ;  msbs: dst=1 src0=0 src1=0 src2=0
	v_perm_b32 v6 /*v262*/, v131, v131, 0xc0c0003
	s_set_vgpr_msb 1                        ;  msbs: dst=0 src0=1 src1=0 src2=0
	v_dot4_i32_iu8 v237, v5 /*v261*/, v181, v237 neg_lo:[1,1,0]
	s_set_vgpr_msb 64                       ;  msbs: dst=1 src0=0 src1=0 src2=0
	v_perm_b32 v5 /*v261*/, v234, v233, 0x7030c0c
	s_set_vgpr_msb 0x45                     ;  msbs: dst=1 src0=1 src1=1 src2=0
	s_delay_alu instid0(VALU_DEP_1) | instskip(SKIP_3) | instid1(VALU_DEP_2)
	v_or_b32_e32 v5 /*v261*/, v5 /*v261*/, v6 /*v262*/
	s_set_vgpr_msb 64                       ;  msbs: dst=1 src0=0 src1=0 src2=0
	v_perm_b32 v6 /*v262*/, v240, v249, 0x7030c0c
	s_set_vgpr_msb 1                        ;  msbs: dst=0 src0=1 src1=0 src2=0
	v_dot4_i32_iu8 v237, v5 /*v261*/, v185, v237 neg_lo:[1,1,0]
	s_set_vgpr_msb 64                       ;  msbs: dst=1 src0=0 src1=0 src2=0
	v_mul_i32_i24_e32 v5 /*v261*/, v250, v150
	s_set_vgpr_msb 1                        ;  msbs: dst=0 src0=1 src1=0 src2=0
	v_or_b32_e32 v137, v6 /*v262*/, v137
	s_set_vgpr_msb 64                       ;  msbs: dst=1 src0=0 src1=0 src2=0
	v_perm_b32 v6 /*v262*/, v242, v254, 0x7030c0c
	s_set_vgpr_msb 16                       ;  msbs: dst=0 src0=0 src1=0 src2=1
	s_delay_alu instid0(VALU_DEP_2) | instskip(SKIP_3) | instid1(VALU_DEP_1)
	v_dot4_i32_iu8 v137, v137, v176, v5 /*v261*/ neg_lo:[1,1,0]
	s_set_vgpr_msb 64                       ;  msbs: dst=1 src0=0 src1=0 src2=0
	v_perm_b32 v5 /*v261*/, v253, v240, 0xc0c0700
	s_set_vgpr_msb 0x45                     ;  msbs: dst=1 src0=1 src1=1 src2=0
	v_or_b32_e32 v5 /*v261*/, v6 /*v262*/, v5 /*v261*/
	s_set_vgpr_msb 0x44                     ;  msbs: dst=1 src0=0 src1=1 src2=0
	v_perm_b32 v6 /*v262*/, v241, v0 /*v256*/, 0x7030c0c
	s_set_vgpr_msb 1                        ;  msbs: dst=0 src0=1 src1=0 src2=0
	s_delay_alu instid0(VALU_DEP_2) | instskip(SKIP_3) | instid1(VALU_DEP_1)
	v_dot4_i32_iu8 v137, v5 /*v261*/, v178, v137 neg_lo:[1,1,0]
	s_set_vgpr_msb 64                       ;  msbs: dst=1 src0=0 src1=0 src2=0
	v_perm_b32 v5 /*v261*/, v255, v242, 0xc0c0700
	s_set_vgpr_msb 0x45                     ;  msbs: dst=1 src0=1 src1=1 src2=0
	v_or_b32_e32 v5 /*v261*/, v6 /*v262*/, v5 /*v261*/
	s_set_vgpr_msb 0x44                     ;  msbs: dst=1 src0=0 src1=1 src2=0
	v_perm_b32 v6 /*v262*/, v243, v2 /*v258*/, 0x7030c0c
	s_set_vgpr_msb 1                        ;  msbs: dst=0 src0=1 src1=0 src2=0
	s_delay_alu instid0(VALU_DEP_2) | instskip(SKIP_3) | instid1(VALU_DEP_1)
	v_dot4_i32_iu8 v137, v5 /*v261*/, v182, v137 neg_lo:[1,1,0]
	s_set_vgpr_msb 0x41                     ;  msbs: dst=1 src0=1 src1=0 src2=0
	v_perm_b32 v5 /*v261*/, v1 /*v257*/, v241, 0xc0c0700
	s_set_vgpr_msb 0x45                     ;  msbs: dst=1 src0=1 src1=1 src2=0
	v_or_b32_e32 v5 /*v261*/, v6 /*v262*/, v5 /*v261*/
	s_set_vgpr_msb 0x44                     ;  msbs: dst=1 src0=0 src1=1 src2=0
	v_perm_b32 v6 /*v262*/, v136, v4 /*v260*/, 0x7030c0c
	s_set_vgpr_msb 1                        ;  msbs: dst=0 src0=1 src1=0 src2=0
	s_delay_alu instid0(VALU_DEP_2) | instskip(SKIP_3) | instid1(VALU_DEP_1)
	v_dot4_i32_iu8 v137, v5 /*v261*/, v183, v137 neg_lo:[1,1,0]
	s_set_vgpr_msb 0x41                     ;  msbs: dst=1 src0=1 src1=0 src2=0
	v_perm_b32 v5 /*v261*/, v3 /*v259*/, v243, 0xc0c0700
	s_set_vgpr_msb 0x45                     ;  msbs: dst=1 src0=1 src1=1 src2=0
	v_or_b32_e32 v5 /*v261*/, v6 /*v262*/, v5 /*v261*/
	s_set_vgpr_msb 0x41                     ;  msbs: dst=1 src0=1 src1=0 src2=0
	s_delay_alu instid0(VALU_DEP_1) | instskip(SKIP_3) | instid1(VALU_DEP_2)
	v_dot4_i32_iu8 v5 /*v261*/, v5 /*v261*/, v184, v137 neg_lo:[1,1,0]
	s_set_vgpr_msb 0                        ;  msbs: dst=0 src0=0 src1=0 src2=0
	v_mul_i32_i24_e32 v137, v250, v238
	v_perm_b32 v238, v248, v248, 0xc0c0c03
	v_mad_i32_i24 v137, v247, v138, v137
	v_perm_b32 v138, v240, v249, 0x407030c
	s_delay_alu instid0(VALU_DEP_1) | instskip(SKIP_1) | instid1(VALU_DEP_2)
	v_or_b32_e32 v138, v138, v238
	v_perm_b32 v238, v253, v253, 0xc0c0c03
	v_dot4_i32_iu8 v99, v138, v99, v137 neg_lo:[1,1,0]
	v_perm_b32 v137, v135, v135, 0x4030c0c
	s_delay_alu instid0(VALU_DEP_1) | instskip(SKIP_1) | instid1(VALU_DEP_1)
	v_or_b32_e32 v134, v137, v134
	v_perm_b32 v137, v242, v254, 0x407030c
	v_or_b32_e32 v238, v137, v238
	v_perm_b32 v137, v255, v255, 0xc0c0c03
	s_delay_alu instid0(VALU_DEP_2) | instskip(SKIP_3) | instid1(VALU_DEP_2)
	v_dot4_i32_iu8 v99, v238, v134, v99 neg_lo:[1,1,0]
	v_perm_b32 v134, v132, v135, 0x407020c
	v_perm_b32 v135, v135, v135, 0xc0c0c01
	;; [unrolled: 1-line block ×3, first 2 shown]
	v_or_b32_e32 v134, v134, v135
	s_set_vgpr_msb 4                        ;  msbs: dst=0 src0=0 src1=1 src2=0
	v_perm_b32 v135, v241, v0 /*v256*/, 0x407030c
	s_set_vgpr_msb 0                        ;  msbs: dst=0 src0=0 src1=0 src2=0
	s_delay_alu instid0(VALU_DEP_1) | instskip(SKIP_3) | instid1(VALU_DEP_2)
	v_or_b32_e32 v135, v135, v137
	s_set_vgpr_msb 5                        ;  msbs: dst=0 src0=1 src1=1 src2=0
	v_perm_b32 v137, v1 /*v257*/, v1 /*v257*/, 0xc0c0c03
	s_set_vgpr_msb 0                        ;  msbs: dst=0 src0=0 src1=0 src2=0
	v_dot4_i32_iu8 v99, v135, v134, v99 neg_lo:[1,1,0]
	s_set_vgpr_msb 4                        ;  msbs: dst=0 src0=0 src1=1 src2=0
	v_perm_b32 v134, v243, v2 /*v258*/, 0x407030c
	s_set_vgpr_msb 0                        ;  msbs: dst=0 src0=0 src1=0 src2=0
	s_delay_alu instid0(VALU_DEP_1) | instskip(SKIP_3) | instid1(VALU_DEP_2)
	v_or_b32_e32 v134, v134, v137
	s_set_vgpr_msb 5                        ;  msbs: dst=0 src0=1 src1=1 src2=0
	v_perm_b32 v137, v3 /*v259*/, v3 /*v259*/, 0xc0c0c03
	s_set_vgpr_msb 0                        ;  msbs: dst=0 src0=0 src1=0 src2=0
	v_dot4_i32_iu8 v99, v134, v132, v99 neg_lo:[1,1,0]
	v_perm_b32 v132, v104, v133, 0x4070201
	s_set_vgpr_msb 4                        ;  msbs: dst=0 src0=0 src1=1 src2=0
	v_perm_b32 v133, v136, v4 /*v260*/, 0x407030c
	s_set_vgpr_msb 0                        ;  msbs: dst=0 src0=0 src1=0 src2=0
	s_delay_alu instid0(VALU_DEP_1) | instskip(NEXT) | instid1(VALU_DEP_1)
	v_or_b32_e32 v133, v133, v137
	v_dot4_i32_iu8 v137, v133, v132, v99 neg_lo:[1,1,0]
	v_mul_i32_i24_e32 v99, v250, v239
	v_add_nc_u32_e32 v132, 0x140c, v83
	s_delay_alu instid0(VALU_DEP_2) | instskip(NEXT) | instid1(VALU_DEP_1)
	v_mad_i32_i24 v99, v247, v139, v99
	v_dot4_i32_iu8 v99, v138, v251, v99 neg_lo:[1,1,0]
	v_add_nc_u32_e32 v138, 0x1414, v83
	s_delay_alu instid0(VALU_DEP_2)
	v_dot4_i32_iu8 v99, v238, v252, v99 neg_lo:[1,1,0]
	ds_load_2addr_b32 v[238:239], v138 offset1:1
	v_add_nc_u32_e32 v138, 0x1400, v83
	v_dot4_i32_iu8 v99, v135, v244, v99 neg_lo:[1,1,0]
	ds_load_2addr_b32 v[138:139], v138 offset1:7
	v_dot4_i32_iu8 v99, v134, v245, v99 neg_lo:[1,1,0]
	v_add_nc_u32_e32 v134, 0x1404, v83
	s_delay_alu instid0(VALU_DEP_2)
	v_dot4_i32_iu8 v99, v133, v246, v99 neg_lo:[1,1,0]
	ds_load_2addr_b32 v[132:133], v132 offset1:1
	ds_load_2addr_b32 v[134:135], v134 offset1:1
	s_wait_dscnt 0x3
	v_dual_lshlrev_b32 v244, 16, v238 :: v_dual_lshlrev_b32 v245, 8, v238
	v_perm_b32 v238, v238, v238, 0xc0c0003
	v_dual_lshlrev_b32 v248, 16, v239 :: v_dual_lshlrev_b32 v249, 8, v239
	v_perm_b32 v239, v239, v239, 0xc0c0003
	s_wait_dscnt 0x1
	v_dual_lshlrev_b32 v252, 16, v139 :: v_dual_lshlrev_b32 v240, 16, v133
	s_wait_dscnt 0x0
	v_dual_lshlrev_b32 v241, 8, v133 :: v_dual_lshlrev_b32 v242, 16, v134
	v_lshlrev_b32_e32 v243, 8, v134
	v_perm_b32 v133, v133, v133, 0xc0c0003
	v_perm_b32 v134, v134, v134, 0xc0c0003
	s_delay_alu instid0(VALU_DEP_4)
	v_perm_b32 v240, v241, v240, 0x7030c0c
	v_lshlrev_b32_e32 v246, 16, v135
	v_perm_b32 v241, v243, v242, 0x7030c0c
	v_lshlrev_b32_e32 v247, 8, v135
	v_perm_b32 v135, v135, v135, 0xc0c0003
	v_dual_lshlrev_b32 v250, 16, v132 :: v_dual_bitop2_b32 v133, v240, v133 bitop3:0x54
	s_delay_alu instid0(VALU_DEP_4) | instskip(SKIP_2) | instid1(VALU_DEP_4)
	v_or_b32_e32 v134, v241, v134
	v_perm_b32 v241, v245, v244, 0x7030c0c
	v_lshlrev_b32_e32 v251, 8, v132
	v_dot4_i32_iu8 v140, v133, v140, 0 neg_lo:[1,1,0]
	v_perm_b32 v132, v132, v132, 0xc0c0003
	v_dot4_i32_iu8 v240, v133, v174, 0 neg_lo:[1,1,0]
	v_or_b32_e32 v238, v241, v238
	v_perm_b32 v241, v247, v246, 0x7030c0c
	v_dot4_i32_iu8 v140, v134, v141, v140 neg_lo:[1,1,0]
	s_delay_alu instid0(VALU_DEP_4) | instskip(NEXT) | instid1(VALU_DEP_3)
	v_dot4_i32_iu8 v240, v134, v175, v240 neg_lo:[1,1,0]
	v_or_b32_e32 v135, v241, v135
	v_perm_b32 v241, v249, v248, 0x7030c0c
	s_delay_alu instid0(VALU_DEP_4) | instskip(NEXT) | instid1(VALU_DEP_4)
	v_dot4_i32_iu8 v140, v238, v142, v140 neg_lo:[1,1,0]
	v_dot4_i32_iu8 v240, v238, v177, v240 neg_lo:[1,1,0]
	s_delay_alu instid0(VALU_DEP_3) | instskip(SKIP_1) | instid1(VALU_DEP_4)
	v_or_b32_e32 v239, v241, v239
	v_perm_b32 v241, v251, v250, 0x7030c0c
	v_dot4_i32_iu8 v140, v135, v143, v140 neg_lo:[1,1,0]
	s_delay_alu instid0(VALU_DEP_4) | instskip(NEXT) | instid1(VALU_DEP_3)
	v_dot4_i32_iu8 v240, v135, v179, v240 neg_lo:[1,1,0]
	v_or_b32_e32 v132, v241, v132
	s_delay_alu instid0(VALU_DEP_3) | instskip(NEXT) | instid1(VALU_DEP_3)
	v_dot4_i32_iu8 v140, v239, v231, v140 neg_lo:[1,1,0]
	v_dot4_i32_iu8 v240, v239, v180, v240 neg_lo:[1,1,0]
	s_delay_alu instid0(VALU_DEP_2) | instskip(SKIP_2) | instid1(VALU_DEP_4)
	v_dot4_i32_iu8 v241, v132, v232, v140 neg_lo:[1,1,0]
	v_dot4_i32_iu8 v140, v133, v155, 0 neg_lo:[1,1,0]
	;; [unrolled: 1-line block ×4, first 2 shown]
	s_delay_alu instid0(VALU_DEP_3) | instskip(NEXT) | instid1(VALU_DEP_3)
	v_dot4_i32_iu8 v140, v134, v156, v140 neg_lo:[1,1,0]
	v_dot4_i32_iu8 v133, v134, v115, v133 neg_lo:[1,1,0]
	s_delay_alu instid0(VALU_DEP_2) | instskip(NEXT) | instid1(VALU_DEP_2)
	v_dot4_i32_iu8 v140, v238, v157, v140 neg_lo:[1,1,0]
	v_dot4_i32_iu8 v133, v238, v151, v133 neg_lo:[1,1,0]
	s_delay_alu instid0(VALU_DEP_2) | instskip(NEXT) | instid1(VALU_DEP_2)
	v_dot4_i32_iu8 v140, v135, v158, v140 neg_lo:[1,1,0]
	v_dot4_i32_iu8 v133, v135, v152, v133 neg_lo:[1,1,0]
	s_delay_alu instid0(VALU_DEP_2) | instskip(NEXT) | instid1(VALU_DEP_2)
	v_dot4_i32_iu8 v140, v239, v159, v140 neg_lo:[1,1,0]
	v_dot4_i32_iu8 v133, v239, v153, v133 neg_lo:[1,1,0]
	s_delay_alu instid0(VALU_DEP_2) | instskip(NEXT) | instid1(VALU_DEP_2)
	v_dot4_i32_iu8 v242, v132, v160, v140 neg_lo:[1,1,0]
	v_dot4_i32_iu8 v243, v132, v154, v133 neg_lo:[1,1,0]
	v_add_nc_u32_e32 v132, 0x180c, v83
	ds_load_2addr_b32 v[140:141], v132 offset1:1
	v_add_nc_u32_e32 v132, 0x1804, v83
	ds_load_2addr_b32 v[142:143], v132 offset1:1
	;; [unrolled: 2-line block ×4, first 2 shown]
	ds_load_2addr_b32 v[132:133], v81 offset0:192 offset1:224
	s_wait_dscnt 0x4
	v_dual_lshlrev_b32 v244, 16, v141 :: v_dual_lshlrev_b32 v245, 8, v141
	v_ashrrev_i32_e32 v246, 24, v141
	s_set_vgpr_msb 64                       ;  msbs: dst=1 src0=0 src1=0 src2=0
	v_perm_b32 v2 /*v258*/, v141, v141, 0xc0c0003
	v_lshlrev_b32_e32 v0 /*v256*/, 16, v140
	s_set_vgpr_msb 0                        ;  msbs: dst=0 src0=0 src1=0 src2=0
	v_perm_b32 v141, v244, v141, 0xc0c0700
	s_wait_dscnt 0x3
	v_lshlrev_b32_e32 v247, 16, v142
	s_set_vgpr_msb 64                       ;  msbs: dst=1 src0=0 src1=0 src2=0
	v_perm_b32 v1 /*v257*/, v245, v244, 0x7030c0c
	s_set_vgpr_msb 0                        ;  msbs: dst=0 src0=0 src1=0 src2=0
	v_mul_i32_i24_e32 v246, v246, v150
	v_perm_b32 v244, v91, v91, 0xc0c0100
	v_lshlrev_b32_e32 v248, 8, v142
	s_set_vgpr_msb 64                       ;  msbs: dst=1 src0=0 src1=0 src2=0
	v_perm_b32 v4 /*v260*/, v142, v142, 0xc0c0003
	s_set_vgpr_msb 0                        ;  msbs: dst=0 src0=0 src1=0 src2=0
	v_perm_b32 v142, v247, v142, 0x700030c
	v_perm_b32 v91, v124, v91, 0x5040702
	v_dot4_i32_iu8 v141, v141, v244, v246 neg_lo:[1,1,0]
	v_perm_b32 v244, v245, v245, 0xc0c0c03
	s_wait_dscnt 0x1
	v_dual_lshlrev_b32 v249, 16, v238 :: v_dual_lshlrev_b32 v232, 16, v135
	v_perm_b32 v124, v124, v124, 0xc0c0c02
	s_delay_alu instid0(VALU_DEP_3) | instskip(SKIP_2) | instid1(VALU_DEP_3)
	v_dual_lshlrev_b32 v250, 8, v238 :: v_dual_bitop2_b32 v142, v142, v244 bitop3:0x54
	v_dual_lshlrev_b32 v251, 16, v143 :: v_dual_lshlrev_b32 v253, 8, v143
	v_dual_lshlrev_b32 v254, 16, v239 :: v_dual_lshlrev_b32 v255, 8, v239
	v_dot4_i32_iu8 v91, v142, v91, v141 neg_lo:[1,1,0]
	v_perm_b32 v141, v125, v125, 0x504030c
	v_perm_b32 v142, v248, v248, 0xc0c0c03
	s_set_vgpr_msb 0x45                     ;  msbs: dst=1 src0=1 src1=1 src2=0
	v_or_b32_e32 v1 /*v257*/, v1 /*v257*/, v2 /*v258*/
	s_set_vgpr_msb 64                       ;  msbs: dst=1 src0=0 src1=0 src2=0
	v_perm_b32 v3 /*v259*/, v248, v247, 0x7030c0c
	v_perm_b32 v6 /*v262*/, v238, v238, 0xc0c0003
	s_set_vgpr_msb 0                        ;  msbs: dst=0 src0=0 src1=0 src2=0
	v_or_b32_e32 v124, v141, v124
	v_perm_b32 v141, v249, v238, 0x700030c
	s_set_vgpr_msb 64                       ;  msbs: dst=1 src0=0 src1=0 src2=0
	v_perm_b32 v7 /*v263*/, v143, v143, 0xc0c0003
	s_set_vgpr_msb 0x45                     ;  msbs: dst=1 src0=1 src1=1 src2=0
	v_or_b32_e32 v3 /*v259*/, v3 /*v259*/, v4 /*v260*/
	s_set_vgpr_msb 64                       ;  msbs: dst=1 src0=0 src1=0 src2=0
	v_perm_b32 v4 /*v260*/, v250, v249, 0x7030c0c
	s_set_vgpr_msb 0                        ;  msbs: dst=0 src0=0 src1=0 src2=0
	v_dual_lshlrev_b32 v231, 8, v140 :: v_dual_bitop2_b32 v141, v141, v142 bitop3:0x54
	s_set_vgpr_msb 64                       ;  msbs: dst=1 src0=0 src1=0 src2=0
	v_perm_b32 v8 /*v264*/, v239, v239, 0xc0c0003
	v_perm_b32 v9 /*v265*/, v140, v140, 0xc0c0003
	s_set_vgpr_msb 0x45                     ;  msbs: dst=1 src0=1 src1=1 src2=0
	v_or_b32_e32 v4 /*v260*/, v4 /*v260*/, v6 /*v262*/
	s_set_vgpr_msb 64                       ;  msbs: dst=1 src0=0 src1=0 src2=0
	v_perm_b32 v6 /*v262*/, v253, v251, 0x7030c0c
	s_set_vgpr_msb 0                        ;  msbs: dst=0 src0=0 src1=0 src2=0
	v_dot4_i32_iu8 v91, v141, v124, v91 neg_lo:[1,1,0]
	v_perm_b32 v124, v122, v125, 0x5040702
	v_perm_b32 v125, v251, v143, 0x700030c
	;; [unrolled: 1-line block ×4, first 2 shown]
	s_set_vgpr_msb 0x45                     ;  msbs: dst=1 src0=1 src1=1 src2=0
	v_or_b32_e32 v6 /*v262*/, v6 /*v262*/, v7 /*v263*/
	s_set_vgpr_msb 64                       ;  msbs: dst=1 src0=0 src1=0 src2=0
	v_perm_b32 v7 /*v263*/, v255, v254, 0x7030c0c
	s_set_vgpr_msb 0x41                     ;  msbs: dst=1 src0=1 src1=0 src2=0
	v_dot4_i32_iu8 v2 /*v258*/, v1 /*v257*/, v174, 0 neg_lo:[1,1,0]
	s_set_vgpr_msb 0                        ;  msbs: dst=0 src0=0 src1=0 src2=0
	v_or_b32_e32 v125, v125, v141
	s_wait_dscnt 0x0
	v_mov_b32_e32 v171, v133
	s_set_vgpr_msb 0x45                     ;  msbs: dst=1 src0=1 src1=1 src2=0
	v_or_b32_e32 v7 /*v263*/, v7 /*v263*/, v8 /*v264*/
	s_set_vgpr_msb 0x44                     ;  msbs: dst=1 src0=0 src1=1 src2=0
	v_perm_b32 v8 /*v264*/, v231, v0 /*v256*/, 0x7030c0c
	s_set_vgpr_msb 0                        ;  msbs: dst=0 src0=0 src1=0 src2=0
	v_dot4_i32_iu8 v91, v125, v124, v91 neg_lo:[1,1,0]
	v_perm_b32 v124, v254, v239, 0x700030c
	v_perm_b32 v125, v253, v253, 0xc0c0c03
	s_set_vgpr_msb 0x51                     ;  msbs: dst=1 src0=1 src1=0 src2=1
	v_dot4_i32_iu8 v2 /*v258*/, v3 /*v259*/, v175, v2 /*v258*/ neg_lo:[1,1,0]
	s_set_vgpr_msb 0x45                     ;  msbs: dst=1 src0=1 src1=1 src2=0
	v_or_b32_e32 v8 /*v264*/, v8 /*v264*/, v9 /*v265*/
	s_set_vgpr_msb 0                        ;  msbs: dst=0 src0=0 src1=0 src2=0
	v_pk_mul_f32 v[170:171], v[170:171], v[88:89]
	v_perm_b32 v89, v235, v136, 0xc0c0700
	v_or_b32_e32 v124, v124, v125
	s_set_vgpr_msb 0x51                     ;  msbs: dst=1 src0=1 src1=0 src2=1
	v_dot4_i32_iu8 v2 /*v258*/, v4 /*v260*/, v177, v2 /*v258*/ neg_lo:[1,1,0]
	s_set_vgpr_msb 0                        ;  msbs: dst=0 src0=0 src1=0 src2=0
	v_perm_b32 v136, v131, v236, 0x7030c0c
	v_dot4_i32_iu8 v91, v124, v122, v91 neg_lo:[1,1,0]
	v_perm_b32 v122, v94, v123, 0x5040702
	s_set_vgpr_msb 1                        ;  msbs: dst=0 src0=1 src1=0 src2=0
	v_perm_b32 v123, v0 /*v256*/, v140, 0x700030c
	s_set_vgpr_msb 0                        ;  msbs: dst=0 src0=0 src1=0 src2=0
	v_perm_b32 v124, v255, v255, 0xc0c0c03
	s_set_vgpr_msb 0x51                     ;  msbs: dst=1 src0=1 src1=0 src2=1
	v_dot4_i32_iu8 v2 /*v258*/, v6 /*v262*/, v179, v2 /*v258*/ neg_lo:[1,1,0]
	s_set_vgpr_msb 0                        ;  msbs: dst=0 src0=0 src1=0 src2=0
	v_or_b32_e32 v89, v136, v89
	v_or_b32_e32 v123, v123, v124
	v_add_nc_u32_e32 v124, 0x1c0c, v83
	s_set_vgpr_msb 0x51                     ;  msbs: dst=1 src0=1 src1=0 src2=1
	v_dot4_i32_iu8 v2 /*v258*/, v7 /*v263*/, v180, v2 /*v258*/ neg_lo:[1,1,0]
	s_set_vgpr_msb 0                        ;  msbs: dst=0 src0=0 src1=0 src2=0
	v_dot4_i32_iu8 v238, v123, v122, v91 neg_lo:[1,1,0]
	s_set_vgpr_msb 1                        ;  msbs: dst=0 src0=1 src1=0 src2=0
	v_dot4_i32_iu8 v91, v1 /*v257*/, v155, 0 neg_lo:[1,1,0]
	v_add_nc_u32_e32 v122, 0x1c04, v83
	v_add_nc_u32_e32 v123, 0x1c14, v83
	s_set_vgpr_msb 0                        ;  msbs: dst=0 src0=0 src1=0 src2=0
	ds_load_2addr_b32 v[124:125], v124 offset1:1
	ds_load_2addr_b32 v[142:143], v122 offset1:1
	;; [unrolled: 1-line block ×3, first 2 shown]
	s_set_vgpr_msb 1                        ;  msbs: dst=0 src0=1 src1=0 src2=0
	v_dot4_i32_iu8 v91, v3 /*v259*/, v156, v91 neg_lo:[1,1,0]
	s_set_vgpr_msb 0x51                     ;  msbs: dst=1 src0=1 src1=0 src2=1
	v_dot4_i32_iu8 v2 /*v258*/, v8 /*v264*/, v181, v2 /*v258*/ neg_lo:[1,1,0]
	s_set_vgpr_msb 1                        ;  msbs: dst=0 src0=1 src1=0 src2=0
	v_add_nc_u32_e32 v122, 0x1c00, v83
	v_dot4_i32_iu8 v91, v4 /*v260*/, v157, v91 neg_lo:[1,1,0]
	s_set_vgpr_msb 0                        ;  msbs: dst=0 src0=0 src1=0 src2=0
	ds_load_2addr_b32 v[122:123], v122 offset1:7
	s_set_vgpr_msb 1                        ;  msbs: dst=0 src0=1 src1=0 src2=0
	v_dot4_i32_iu8 v91, v6 /*v262*/, v158, v91 neg_lo:[1,1,0]
	s_delay_alu instid0(VALU_DEP_1)
	v_dot4_i32_iu8 v91, v7 /*v263*/, v159, v91 neg_lo:[1,1,0]
	s_wait_dscnt 0x3
	v_dual_lshlrev_b32 v244, 16, v125 :: v_dual_lshlrev_b32 v245, 8, v125
	s_wait_dscnt 0x2
	v_lshlrev_b32_e32 v247, 16, v142
	v_dot4_i32_iu8 v239, v8 /*v264*/, v160, v91 neg_lo:[1,1,0]
	v_dot4_i32_iu8 v91, v1 /*v257*/, v97, 0 neg_lo:[1,1,0]
	s_wait_dscnt 0x1
	v_dual_lshlrev_b32 v248, 8, v142 :: v_dual_lshlrev_b32 v249, 16, v140
	v_dual_lshlrev_b32 v250, 8, v140 :: v_dual_lshlrev_b32 v251, 16, v143
	s_delay_alu instid0(VALU_DEP_3)
	v_dot4_i32_iu8 v91, v3 /*v259*/, v115, v91 neg_lo:[1,1,0]
	v_dual_lshlrev_b32 v253, 8, v143 :: v_dual_lshlrev_b32 v254, 16, v141
	s_set_vgpr_msb 64                       ;  msbs: dst=1 src0=0 src1=0 src2=0
	v_dual_lshlrev_b32 v0 /*v256*/, 16, v124 :: v_dual_lshlrev_b32 v1 /*v257*/, 8, v124
	s_set_vgpr_msb 1                        ;  msbs: dst=0 src0=1 src1=0 src2=0
	v_dot4_i32_iu8 v91, v4 /*v260*/, v151, v91 neg_lo:[1,1,0]
	s_wait_dscnt 0x0
	s_set_vgpr_msb 64                       ;  msbs: dst=1 src0=0 src1=0 src2=0
	v_dual_lshlrev_b32 v3 /*v259*/, 16, v123 :: v_dual_lshlrev_b32 v4 /*v260*/, 8, v123
	s_set_vgpr_msb 1                        ;  msbs: dst=0 src0=1 src1=0 src2=0
	v_ashrrev_i32_e32 v246, 24, v125
	v_dot4_i32_iu8 v91, v6 /*v262*/, v152, v91 neg_lo:[1,1,0]
	s_set_vgpr_msb 64                       ;  msbs: dst=1 src0=0 src1=0 src2=0
	v_perm_b32 v6 /*v262*/, v245, v244, 0x7030c0c
	s_set_vgpr_msb 1                        ;  msbs: dst=0 src0=1 src1=0 src2=0
	s_delay_alu instid0(VALU_DEP_2) | instskip(SKIP_3) | instid1(VALU_DEP_2)
	v_dot4_i32_iu8 v91, v7 /*v263*/, v153, v91 neg_lo:[1,1,0]
	s_set_vgpr_msb 64                       ;  msbs: dst=1 src0=0 src1=0 src2=0
	v_perm_b32 v7 /*v263*/, v125, v125, 0xc0c0003
	s_set_vgpr_msb 1                        ;  msbs: dst=0 src0=1 src1=0 src2=0
	v_dot4_i32_iu8 v91, v8 /*v264*/, v154, v91 neg_lo:[1,1,0]
	s_set_vgpr_msb 0x45                     ;  msbs: dst=1 src0=1 src1=1 src2=0
	s_delay_alu instid0(VALU_DEP_2)
	v_or_b32_e32 v6 /*v262*/, v6 /*v262*/, v7 /*v263*/
	s_set_vgpr_msb 64                       ;  msbs: dst=1 src0=0 src1=0 src2=0
	v_perm_b32 v7 /*v263*/, v248, v247, 0x7030c0c
	v_perm_b32 v8 /*v264*/, v142, v142, 0xc0c0003
	s_set_vgpr_msb 1                        ;  msbs: dst=0 src0=1 src1=0 src2=0
	v_dot4_i32_iu8 v174, v6 /*v262*/, v174, 0 neg_lo:[1,1,0]
	s_set_vgpr_msb 0x45                     ;  msbs: dst=1 src0=1 src1=1 src2=0
	s_delay_alu instid0(VALU_DEP_2) | instskip(SKIP_3) | instid1(VALU_DEP_2)
	v_or_b32_e32 v7 /*v263*/, v7 /*v263*/, v8 /*v264*/
	s_set_vgpr_msb 64                       ;  msbs: dst=1 src0=0 src1=0 src2=0
	v_perm_b32 v8 /*v264*/, v140, v140, 0xc0c0003
	s_set_vgpr_msb 1                        ;  msbs: dst=0 src0=1 src1=0 src2=0
	v_dot4_i32_iu8 v174, v7 /*v263*/, v175, v174 neg_lo:[1,1,0]
	s_set_vgpr_msb 0                        ;  msbs: dst=0 src0=0 src1=0 src2=0
	v_perm_b32 v175, v250, v249, 0x7030c0c
	s_set_vgpr_msb 0x44                     ;  msbs: dst=1 src0=0 src1=1 src2=0
	s_delay_alu instid0(VALU_DEP_1) | instskip(SKIP_3) | instid1(VALU_DEP_2)
	v_or_b32_e32 v8 /*v264*/, v175, v8 /*v264*/
	s_set_vgpr_msb 0                        ;  msbs: dst=0 src0=0 src1=0 src2=0
	v_perm_b32 v175, v253, v251, 0x7030c0c
	s_set_vgpr_msb 1                        ;  msbs: dst=0 src0=1 src1=0 src2=0
	v_dot4_i32_iu8 v174, v8 /*v264*/, v177, v174 neg_lo:[1,1,0]
	s_set_vgpr_msb 0                        ;  msbs: dst=0 src0=0 src1=0 src2=0
	v_perm_b32 v177, v143, v143, 0xc0c0003
	s_delay_alu instid0(VALU_DEP_1) | instskip(NEXT) | instid1(VALU_DEP_1)
	v_or_b32_e32 v177, v175, v177
	v_dot4_i32_iu8 v174, v177, v179, v174 neg_lo:[1,1,0]
	v_perm_b32 v179, v141, v141, 0xc0c0003
	v_lshlrev_b32_e32 v255, 8, v141
	s_delay_alu instid0(VALU_DEP_1) | instskip(NEXT) | instid1(VALU_DEP_1)
	v_perm_b32 v175, v255, v254, 0x7030c0c
	v_or_b32_e32 v179, v175, v179
	s_set_vgpr_msb 5                        ;  msbs: dst=0 src0=1 src1=1 src2=0
	v_perm_b32 v175, v1 /*v257*/, v0 /*v256*/, 0x7030c0c
	s_set_vgpr_msb 0                        ;  msbs: dst=0 src0=0 src1=0 src2=0
	s_delay_alu instid0(VALU_DEP_2) | instskip(SKIP_2) | instid1(VALU_DEP_1)
	v_dot4_i32_iu8 v174, v179, v180, v174 neg_lo:[1,1,0]
	v_perm_b32 v180, v124, v124, 0xc0c0003
	s_set_vgpr_msb 64                       ;  msbs: dst=1 src0=0 src1=0 src2=0
	v_or_b32_e32 v9 /*v265*/, v175, v180
	s_set_vgpr_msb 5                        ;  msbs: dst=0 src0=1 src1=1 src2=0
	v_perm_b32 v175, v4 /*v260*/, v3 /*v259*/, 0x7030c0c
	s_set_vgpr_msb 0                        ;  msbs: dst=0 src0=0 src1=0 src2=0
	v_perm_b32 v180, v123, v123, 0xc0c0003
	s_set_vgpr_msb 1                        ;  msbs: dst=0 src0=1 src1=0 src2=0
	v_dot4_i32_iu8 v174, v9 /*v265*/, v181, v174 neg_lo:[1,1,0]
	s_set_vgpr_msb 0                        ;  msbs: dst=0 src0=0 src1=0 src2=0
	v_mov_b32_e32 v181, v121
	s_set_vgpr_msb 64                       ;  msbs: dst=1 src0=0 src1=0 src2=0
	v_or_b32_e32 v10 /*v266*/, v175, v180
	s_set_vgpr_msb 0                        ;  msbs: dst=0 src0=0 src1=0 src2=0
	v_mov_b32_e32 v180, v128
	s_set_vgpr_msb 1                        ;  msbs: dst=0 src0=1 src1=0 src2=0
	s_delay_alu instid0(VALU_DEP_2) | instskip(SKIP_1) | instid1(VALU_DEP_1)
	v_dot4_i32_iu8 v174, v10 /*v266*/, v185, v174 neg_lo:[1,1,0]
	s_set_vgpr_msb 0                        ;  msbs: dst=0 src0=0 src1=0 src2=0
	v_dot4_i32_iu8 v174, v96, v122, v174 neg_lo:[1,1,0]
	s_delay_alu instid0(VALU_DEP_1) | instskip(SKIP_2) | instid1(VALU_DEP_2)
	v_cvt_f32_i32_e32 v175, v174
	v_cvt_f32_i32_e32 v174, v172
	v_perm_b32 v172, v95, v94, 0x7020100
	v_pk_fma_f32 v[30:31], v[170:171], v[174:175], v[30:31]
	s_delay_alu instid0(VALU_DEP_2)
	v_dot4_i32_iu8 v86, v197, v172, v196 neg_lo:[1,1,0]
	s_set_vgpr_msb 16                       ;  msbs: dst=0 src0=0 src1=0 src2=1
	v_dot4_i32_iu8 v136, v89, v172, v5 /*v261*/ neg_lo:[1,1,0]
	v_perm_b32 v196, v98, v187, 0x4030c0c
	s_set_vgpr_msb 64                       ;  msbs: dst=1 src0=0 src1=0 src2=0
	v_perm_b32 v5 /*v261*/, v191, v127, 0xc0c0700
	s_set_vgpr_msb 0                        ;  msbs: dst=0 src0=0 src1=0 src2=0
	v_perm_b32 v197, v126, v105, 0x4020100
	v_mov_b32_e32 v89, v82
	v_perm_b32 v127, v127, v193, 0x407030c
	v_perm_b32 v191, v191, v191, 0xc0c0c03
	s_set_vgpr_msb 4                        ;  msbs: dst=0 src0=0 src1=1 src2=0
	v_or_b32_e32 v196, v196, v5 /*v261*/
	s_set_vgpr_msb 0                        ;  msbs: dst=0 src0=0 src1=0 src2=0
	v_pk_mul_f32 v[180:181], v[88:89], v[180:181]
	s_delay_alu instid0(VALU_DEP_2) | instskip(SKIP_3) | instid1(VALU_DEP_2)
	v_dot4_i32_iu8 v195, v196, v197, v195 neg_lo:[1,1,0]
	v_perm_b32 v196, v233, v131, 0xc0c0700
	v_perm_b32 v197, v130, v234, 0x4030c0c
	;; [unrolled: 1-line block ×3, first 2 shown]
	v_or_b32_e32 v196, v197, v196
	s_set_vgpr_msb 4                        ;  msbs: dst=0 src0=0 src1=1 src2=0
	s_delay_alu instid0(VALU_DEP_1) | instskip(SKIP_3) | instid1(VALU_DEP_1)
	v_dot4_i32_iu8 v136, v196, v11 /*v267*/, v136 neg_lo:[1,1,0]
	s_set_vgpr_msb 0                        ;  msbs: dst=0 src0=0 src1=0 src2=0
	v_perm_b32 v196, v130, v130, 0xc030201
	s_set_vgpr_msb 1                        ;  msbs: dst=0 src0=1 src1=0 src2=0
	v_dot4_i32_iu8 v136, v12 /*v268*/, v196, v136 neg_lo:[1,1,0]
	s_set_vgpr_msb 0                        ;  msbs: dst=0 src0=0 src1=0 src2=0
	v_perm_b32 v196, v98, v98, 0xc030201
	s_set_vgpr_msb 4                        ;  msbs: dst=0 src0=0 src1=1 src2=0
	s_delay_alu instid0(VALU_DEP_1)
	v_dot4_i32_iu8 v195, v196, v13 /*v269*/, v195 neg_lo:[1,1,0]
	v_cvt_f32_i32_e32 v196, v136
	s_set_vgpr_msb 0                        ;  msbs: dst=0 src0=0 src1=0 src2=0
	v_lshlrev_b32_e32 v136, 8, v139
	v_perm_b32 v139, v139, v139, 0xc0c0003
	v_cvt_f32_i32_e32 v197, v195
	s_delay_alu instid0(VALU_DEP_3) | instskip(NEXT) | instid1(VALU_DEP_2)
	v_perm_b32 v136, v136, v252, 0x7030c0c
	v_pk_fma_f32 v[70:71], v[180:181], v[196:197], v[70:71]
	v_lshlrev_b32_e32 v180, 8, v119
	v_perm_b32 v119, v119, v119, 0xc0c0003
	s_delay_alu instid0(VALU_DEP_4) | instskip(NEXT) | instid1(VALU_DEP_3)
	v_or_b32_e32 v139, v136, v139
	v_perm_b32 v180, v180, v189, 0x7030c0c
	s_delay_alu instid0(VALU_DEP_1) | instskip(SKIP_1) | instid1(VALU_DEP_2)
	v_or_b32_e32 v119, v180, v119
	v_pk_mul_f32 v[180:181], v[92:93], v[120:121] op_sel_hi:[0,1]
	v_dot4_i32_iu8 v189, v119, v185, v190 neg_lo:[1,1,0]
	v_dot4_i32_iu8 v190, v126, v96, v194 neg_lo:[1,1,0]
	s_delay_alu instid0(VALU_DEP_2) | instskip(NEXT) | instid1(VALU_DEP_2)
	v_dot4_i32_iu8 v189, v118, v96, v189 neg_lo:[1,1,0]
	v_cvt_f32_i32_e32 v195, v190
	v_perm_b32 v190, v126, v187, 0x504030c
	s_delay_alu instid0(VALU_DEP_3) | instskip(NEXT) | instid1(VALU_DEP_2)
	v_cvt_f32_i32_e32 v194, v189
	v_or_b32_e32 v190, v190, v191
	s_delay_alu instid0(VALU_DEP_2) | instskip(SKIP_3) | instid1(VALU_DEP_3)
	v_pk_fma_f32 v[72:73], v[180:181], v[194:195], v[72:73]
	v_perm_b32 v195, v95, v95, 0x2010003
	v_dual_mov_b32 v180, v129 :: v_dual_mov_b32 v181, v120
	v_perm_b32 v194, v105, v105, 0x2010003
	v_dot4_i32_iu8 v136, v139, v195, v241 neg_lo:[1,1,0]
	s_delay_alu instid0(VALU_DEP_3) | instskip(NEXT) | instid1(VALU_DEP_3)
	v_pk_mul_f32 v[180:181], v[88:89], v[180:181]
	v_dot4_i32_iu8 v89, v119, v194, v188 neg_lo:[1,1,0]
	s_delay_alu instid0(VALU_DEP_3) | instskip(NEXT) | instid1(VALU_DEP_2)
	v_dot4_i32_iu8 v136, v90, v138, v136 neg_lo:[1,1,0]
	v_dot4_i32_iu8 v89, v98, v118, v89 neg_lo:[1,1,0]
	s_delay_alu instid0(VALU_DEP_2) | instskip(SKIP_2) | instid1(VALU_DEP_4)
	v_cvt_f32_i32_e32 v188, v136
	v_perm_b32 v136, v192, v192, 0xc0c0c03
	v_pk_mul_f32 v[192:193], v[80:81], v[120:121] op_sel_hi:[0,1]
	v_cvt_f32_i32_e32 v189, v89
	v_perm_b32 v89, v107, v106, 0x4070201
	s_delay_alu instid0(VALU_DEP_4) | instskip(NEXT) | instid1(VALU_DEP_3)
	v_or_b32_e32 v127, v127, v136
	v_pk_fma_f32 v[46:47], v[180:181], v[188:189], v[46:47]
	s_delay_alu instid0(VALU_DEP_2) | instskip(SKIP_1) | instid1(VALU_DEP_1)
	v_dot4_i32_iu8 v85, v127, v89, v85 neg_lo:[1,1,0]
	v_perm_b32 v127, v107, v107, 0x2010003
	v_dot4_i32_iu8 v136, v119, v127, v186 neg_lo:[1,1,0]
	v_perm_b32 v186, v84, v107, 0x5040201
	s_delay_alu instid0(VALU_DEP_2) | instskip(NEXT) | instid1(VALU_DEP_2)
	v_dot4_i32_iu8 v136, v118, v84, v136 neg_lo:[1,1,0]
	v_dot4_i32_iu8 v85, v190, v186, v85 neg_lo:[1,1,0]
	v_perm_b32 v190, v126, v126, 0xc0c0302
	s_delay_alu instid0(VALU_DEP_1) | instskip(NEXT) | instid1(VALU_DEP_4)
	v_dot4_i32_iu8 v85, v190, v169, v85 neg_lo:[1,1,0]
	v_cvt_f32_i32_e32 v190, v136
	v_dot4_i32_iu8 v136, v130, v96, v237 neg_lo:[1,1,0]
	s_delay_alu instid0(VALU_DEP_3) | instskip(SKIP_1) | instid1(VALU_DEP_2)
	v_cvt_f32_i32_e32 v191, v85
	v_dot4_i32_iu8 v85, v139, v185, v240 neg_lo:[1,1,0]
	v_pk_fma_f32 v[62:63], v[192:193], v[190:191], v[62:63]
	s_delay_alu instid0(VALU_DEP_2) | instskip(SKIP_3) | instid1(VALU_DEP_4)
	v_dot4_i32_iu8 v85, v138, v96, v85 neg_lo:[1,1,0]
	v_pk_mul_f32 v[190:191], v[92:93], v[128:129] op_sel_hi:[0,1]
	v_cvt_f32_i32_e32 v192, v136
	v_perm_b32 v136, v235, v235, 0xc0c0c03
	v_cvt_f32_i32_e32 v193, v85
	v_perm_b32 v85, v105, v104, 0x4070201
	s_delay_alu instid0(VALU_DEP_2) | instskip(NEXT) | instid1(VALU_DEP_4)
	v_pk_fma_f32 v[56:57], v[190:191], v[192:193], v[56:57]
	v_or_b32_e32 v190, v131, v136
	v_perm_b32 v192, v130, v234, 0x504030c
	v_perm_b32 v193, v233, v233, 0xc0c0c03
	;; [unrolled: 1-line block ×3, first 2 shown]
	v_dot4_i32_iu8 v131, v139, v194, v242 neg_lo:[1,1,0]
	v_dot4_i32_iu8 v85, v190, v85, v137 neg_lo:[1,1,0]
	v_pk_mul_f32 v[136:137], v[82:83], v[128:129] op_sel_hi:[0,1]
	v_or_b32_e32 v192, v192, v193
	v_pk_mul_f32 v[128:129], v[80:81], v[128:129] op_sel_hi:[0,1]
	v_dot4_i32_iu8 v131, v138, v98, v131 neg_lo:[1,1,0]
	s_delay_alu instid0(VALU_DEP_3) | instskip(SKIP_1) | instid1(VALU_DEP_3)
	v_dot4_i32_iu8 v85, v192, v191, v85 neg_lo:[1,1,0]
	v_perm_b32 v191, v130, v130, 0xc0c0302
	v_cvt_f32_i32_e32 v131, v131
	s_delay_alu instid0(VALU_DEP_2) | instskip(NEXT) | instid1(VALU_DEP_1)
	v_dot4_i32_iu8 v85, v191, v168, v85 neg_lo:[1,1,0]
	v_cvt_f32_i32_e32 v130, v85
	v_dot4_i32_iu8 v85, v190, v89, v99 neg_lo:[1,1,0]
	v_dot4_i32_iu8 v89, v139, v127, v243 neg_lo:[1,1,0]
	s_delay_alu instid0(VALU_DEP_3) | instskip(NEXT) | instid1(VALU_DEP_3)
	v_pk_fma_f32 v[48:49], v[136:137], v[130:131], v[48:49]
	v_dot4_i32_iu8 v85, v192, v186, v85 neg_lo:[1,1,0]
	s_delay_alu instid0(VALU_DEP_3) | instskip(NEXT) | instid1(VALU_DEP_2)
	v_dot4_i32_iu8 v89, v138, v84, v89 neg_lo:[1,1,0]
	v_dot4_i32_iu8 v85, v191, v169, v85 neg_lo:[1,1,0]
	s_delay_alu instid0(VALU_DEP_2) | instskip(SKIP_2) | instid1(VALU_DEP_4)
	v_cvt_f32_i32_e32 v131, v89
	v_pk_mul_f32 v[120:121], v[88:89], v[120:121] op_sel_hi:[0,1]
	v_perm_b32 v89, v126, v187, 0x4030c0c
	v_cvt_f32_i32_e32 v130, v85
	v_dot4_i32_iu8 v85, v119, v195, v173 neg_lo:[1,1,0]
	s_set_vgpr_msb 4                        ;  msbs: dst=0 src0=0 src1=1 src2=0
	s_delay_alu instid0(VALU_DEP_3)
	v_or_b32_e32 v89, v89, v5 /*v261*/
	s_set_vgpr_msb 0                        ;  msbs: dst=0 src0=0 src1=0 src2=0
	v_pk_fma_f32 v[50:51], v[128:129], v[130:131], v[50:51]
	v_dot4_i32_iu8 v85, v118, v90, v85 neg_lo:[1,1,0]
	s_set_vgpr_msb 4                        ;  msbs: dst=0 src0=0 src1=1 src2=0
	v_dot4_i32_iu8 v86, v89, v11 /*v267*/, v86 neg_lo:[1,1,0]
	s_set_vgpr_msb 0                        ;  msbs: dst=0 src0=0 src1=0 src2=0
	v_perm_b32 v89, v103, v103, 0xc0c0003
	v_cvt_f32_i32_e32 v118, v85
	v_lshlrev_b32_e32 v85, 8, v135
	s_set_vgpr_msb 5                        ;  msbs: dst=0 src0=1 src1=1 src2=0
	v_dot4_i32_iu8 v86, v13 /*v269*/, v12 /*v268*/, v86 neg_lo:[1,1,0]
	s_set_vgpr_msb 0                        ;  msbs: dst=0 src0=0 src1=0 src2=0
	s_delay_alu instid0(VALU_DEP_1) | instskip(SKIP_1) | instid1(VALU_DEP_2)
	v_cvt_f32_i32_e32 v119, v86
	v_lshlrev_b32_e32 v86, 8, v103
	v_pk_fma_f32 v[74:75], v[120:121], v[118:119], v[74:75]
	s_delay_alu instid0(VALU_DEP_2) | instskip(SKIP_1) | instid1(VALU_DEP_2)
	v_perm_b32 v86, v86, v93, 0x7030c0c
	v_perm_b32 v93, v100, v100, 0xc0c0302
	v_or_b32_e32 v89, v86, v89
	s_delay_alu instid0(VALU_DEP_2) | instskip(NEXT) | instid1(VALU_DEP_2)
	v_dot4_i32_iu8 v93, v114, v93, v164 neg_lo:[1,1,0]
	v_dot4_i32_iu8 v86, v89, v185, v163 neg_lo:[1,1,0]
	s_delay_alu instid0(VALU_DEP_2) | instskip(NEXT) | instid1(VALU_DEP_2)
	v_dot4_i32_iu8 v93, v117, v101, v93 neg_lo:[1,1,0]
	v_dot4_i32_iu8 v86, v102, v96, v86 neg_lo:[1,1,0]
	s_delay_alu instid0(VALU_DEP_2) | instskip(SKIP_2) | instid1(VALU_DEP_4)
	v_cvt_f32_i32_e32 v100, v93
	v_perm_b32 v93, v104, v104, 0xc0c0302
	v_perm_b32 v96, v96, v96, 0xc0c0100
	v_cvt_f32_i32_e32 v101, v86
	v_dot4_i32_iu8 v86, v89, v194, v165 neg_lo:[1,1,0]
	s_delay_alu instid0(VALU_DEP_4) | instskip(NEXT) | instid1(VALU_DEP_3)
	v_dot4_i32_iu8 v93, v114, v93, v166 neg_lo:[1,1,0]
	v_pk_fma_f32 v[60:61], v[108:109], v[100:101], v[60:61]
	s_delay_alu instid0(VALU_DEP_3) | instskip(NEXT) | instid1(VALU_DEP_3)
	v_dot4_i32_iu8 v86, v102, v98, v86 neg_lo:[1,1,0]
	v_dot4_i32_iu8 v93, v117, v105, v93 neg_lo:[1,1,0]
	s_delay_alu instid0(VALU_DEP_2) | instskip(NEXT) | instid1(VALU_DEP_2)
	v_cvt_f32_i32_e32 v101, v86
	v_cvt_f32_i32_e32 v100, v93
	v_perm_b32 v93, v106, v106, 0xc0c0302
	v_dot4_i32_iu8 v86, v89, v127, v167 neg_lo:[1,1,0]
	v_dot4_i32_iu8 v89, v89, v195, v162 neg_lo:[1,1,0]
	s_delay_alu instid0(VALU_DEP_4) | instskip(NEXT) | instid1(VALU_DEP_4)
	v_pk_fma_f32 v[66:67], v[110:111], v[100:101], v[66:67]
	v_dot4_i32_iu8 v93, v114, v93, v116 neg_lo:[1,1,0]
	s_delay_alu instid0(VALU_DEP_4) | instskip(NEXT) | instid1(VALU_DEP_4)
	v_dot4_i32_iu8 v86, v102, v84, v86 neg_lo:[1,1,0]
	v_dot4_i32_iu8 v89, v90, v102, v89 neg_lo:[1,1,0]
	s_delay_alu instid0(VALU_DEP_3) | instskip(NEXT) | instid1(VALU_DEP_3)
	v_dot4_i32_iu8 v93, v117, v107, v93 neg_lo:[1,1,0]
	v_cvt_f32_i32_e32 v101, v86
	v_mov_b32_e32 v86, v132
	s_delay_alu instid0(VALU_DEP_3) | instskip(SKIP_1) | instid1(VALU_DEP_2)
	v_cvt_f32_i32_e32 v100, v93
	v_mov_b32_e32 v93, v88
	v_pk_fma_f32 v[68:69], v[112:113], v[100:101], v[68:69]
	s_delay_alu instid0(VALU_DEP_2) | instskip(SKIP_3) | instid1(VALU_DEP_2)
	v_pk_mul_f32 v[86:87], v[92:93], v[86:87]
	v_perm_b32 v92, v85, v232, 0x7030c0c
	v_perm_b32 v93, v135, v135, 0xc0c0003
	v_perm_b32 v85, v134, v85, 0xc050403
	v_or_b32_e32 v99, v92, v93
	v_perm_b32 v93, v134, v134, 0xc0c0100
	s_set_vgpr_msb 16                       ;  msbs: dst=0 src0=0 src1=0 src2=1
	s_delay_alu instid0(VALU_DEP_2) | instskip(SKIP_1) | instid1(VALU_DEP_1)
	v_dot4_i32_iu8 v92, v99, v185, v2 /*v258*/ neg_lo:[1,1,0]
	s_set_vgpr_msb 0                        ;  msbs: dst=0 src0=0 src1=0 src2=0
	v_dot4_i32_iu8 v92, v96, v93, v92 neg_lo:[1,1,0]
	v_perm_b32 v96, v134, v134, 0xc0c0302
	v_cvt_f32_i32_e32 v93, v89
	v_perm_b32 v89, v142, v245, 0x7030c0c
	s_delay_alu instid0(VALU_DEP_3) | instskip(NEXT) | instid1(VALU_DEP_1)
	v_dot4_i32_iu8 v92, v161, v96, v92 neg_lo:[1,1,0]
	v_cvt_f32_i32_e32 v92, v92
	s_delay_alu instid0(VALU_DEP_1) | instskip(SKIP_3) | instid1(VALU_DEP_3)
	v_pk_fma_f32 v[42:43], v[86:87], v[92:93], v[42:43]
	v_perm_b32 v87, v244, v125, 0xc0c0700
	v_mul_i32_i24_e32 v86, v246, v150
	v_perm_b32 v92, v231, v231, 0xc0c0c03
	v_or_b32_e32 v87, v89, v87
	v_perm_b32 v89, v140, v248, 0x7030c0c
	s_delay_alu instid0(VALU_DEP_2) | instskip(SKIP_1) | instid1(VALU_DEP_1)
	v_dot4_i32_iu8 v86, v87, v176, v86 neg_lo:[1,1,0]
	v_perm_b32 v87, v247, v142, 0xc0c0700
	v_or_b32_e32 v87, v89, v87
	v_perm_b32 v89, v143, v250, 0x7030c0c
	s_delay_alu instid0(VALU_DEP_2) | instskip(SKIP_1) | instid1(VALU_DEP_1)
	v_dot4_i32_iu8 v86, v87, v178, v86 neg_lo:[1,1,0]
	;; [unrolled: 5-line block ×4, first 2 shown]
	v_perm_b32 v87, v254, v141, 0xc0c0700
	v_or_b32_e32 v87, v89, v87
	s_set_vgpr_msb 4                        ;  msbs: dst=0 src0=0 src1=1 src2=0
	v_perm_b32 v89, v123, v1 /*v257*/, 0x7030c0c
	s_set_vgpr_msb 0                        ;  msbs: dst=0 src0=0 src1=0 src2=0
	s_delay_alu instid0(VALU_DEP_2) | instskip(SKIP_3) | instid1(VALU_DEP_1)
	v_dot4_i32_iu8 v86, v87, v184, v86 neg_lo:[1,1,0]
	s_set_vgpr_msb 1                        ;  msbs: dst=0 src0=1 src1=0 src2=0
	v_perm_b32 v87, v0 /*v256*/, v124, 0xc0c0700
	s_set_vgpr_msb 0                        ;  msbs: dst=0 src0=0 src1=0 src2=0
	v_or_b32_e32 v87, v89, v87
	v_perm_b32 v89, v232, v135, 0x700030c
	s_delay_alu instid0(VALU_DEP_2) | instskip(SKIP_1) | instid1(VALU_DEP_3)
	v_dot4_i32_iu8 v86, v87, v172, v86 neg_lo:[1,1,0]
	v_perm_b32 v87, v95, v94, 0x5040702
	v_or_b32_e32 v89, v89, v92
	s_set_vgpr_msb 4                        ;  msbs: dst=0 src0=0 src1=1 src2=0
	v_perm_b32 v92, v122, v4 /*v260*/, 0x4030c0c
	s_set_vgpr_msb 0                        ;  msbs: dst=0 src0=0 src1=0 src2=0
	s_delay_alu instid0(VALU_DEP_2) | instskip(SKIP_3) | instid1(VALU_DEP_1)
	v_dot4_i32_iu8 v87, v89, v87, v238 neg_lo:[1,1,0]
	s_set_vgpr_msb 1                        ;  msbs: dst=0 src0=1 src1=0 src2=0
	v_perm_b32 v89, v3 /*v259*/, v123, 0xc0c0700
	s_set_vgpr_msb 0                        ;  msbs: dst=0 src0=0 src1=0 src2=0
	v_or_b32_e32 v89, v92, v89
	s_set_vgpr_msb 4                        ;  msbs: dst=0 src0=0 src1=1 src2=0
	s_delay_alu instid0(VALU_DEP_1) | instskip(SKIP_2) | instid1(VALU_DEP_1)
	v_dot4_i32_iu8 v86, v89, v11 /*v267*/, v86 neg_lo:[1,1,0]
	s_set_vgpr_msb 0                        ;  msbs: dst=0 src0=0 src1=0 src2=0
	v_perm_b32 v89, v90, v95, 0xc050402
	v_dot4_i32_iu8 v85, v85, v89, v87 neg_lo:[1,1,0]
	v_perm_b32 v87, v122, v122, 0xc030201
	s_delay_alu instid0(VALU_DEP_2) | instskip(SKIP_1) | instid1(VALU_DEP_2)
	v_dot4_i32_iu8 v85, v96, v149, v85 neg_lo:[1,1,0]
	s_set_vgpr_msb 4                        ;  msbs: dst=0 src0=0 src1=1 src2=0
	v_dot4_i32_iu8 v89, v87, v12 /*v268*/, v86 neg_lo:[1,1,0]
	s_set_vgpr_msb 0                        ;  msbs: dst=0 src0=0 src1=0 src2=0
	s_delay_alu instid0(VALU_DEP_1)
	v_pk_mul_f32 v[86:87], v[88:89], v[132:133] op_sel_hi:[0,1]
	v_cvt_f32_i32_e32 v89, v89
	v_cvt_f32_i32_e32 v88, v85
	s_set_vgpr_msb 1                        ;  msbs: dst=0 src0=1 src1=0 src2=0
	v_dot4_i32_iu8 v85, v6 /*v262*/, v155, 0 neg_lo:[1,1,0]
	s_set_vgpr_msb 0                        ;  msbs: dst=0 src0=0 src1=0 src2=0
	s_delay_alu instid0(VALU_DEP_2) | instskip(SKIP_1) | instid1(VALU_DEP_2)
	v_pk_fma_f32 v[32:33], v[86:87], v[88:89], v[32:33]
	s_set_vgpr_msb 1                        ;  msbs: dst=0 src0=1 src1=0 src2=0
	v_dot4_i32_iu8 v85, v7 /*v263*/, v156, v85 neg_lo:[1,1,0]
	s_set_vgpr_msb 0                        ;  msbs: dst=0 src0=0 src1=0 src2=0
	v_dot4_i32_iu8 v86, v99, v194, v239 neg_lo:[1,1,0]
	s_set_vgpr_msb 1                        ;  msbs: dst=0 src0=1 src1=0 src2=0
	s_delay_alu instid0(VALU_DEP_2) | instskip(SKIP_1) | instid1(VALU_DEP_2)
	v_dot4_i32_iu8 v85, v8 /*v264*/, v157, v85 neg_lo:[1,1,0]
	s_set_vgpr_msb 0                        ;  msbs: dst=0 src0=0 src1=0 src2=0
	v_dot4_i32_iu8 v88, v134, v98, v86 neg_lo:[1,1,0]
	v_pk_mul_f32 v[86:87], v[82:83], v[132:133] op_sel_hi:[0,1]
	s_set_vgpr_msb 1                        ;  msbs: dst=0 src0=1 src1=0 src2=0
	v_dot4_i32_iu8 v82, v6 /*v262*/, v97, 0 neg_lo:[1,1,0]
	v_add_nc_u32_e32 v83, 32, v83
	s_set_vgpr_msb 0                        ;  msbs: dst=0 src0=0 src1=0 src2=0
	v_dot4_i32_iu8 v85, v177, v158, v85 neg_lo:[1,1,0]
	v_cvt_f32_i32_e32 v88, v88
	s_set_vgpr_msb 1                        ;  msbs: dst=0 src0=1 src1=0 src2=0
	v_dot4_i32_iu8 v82, v7 /*v263*/, v115, v82 neg_lo:[1,1,0]
	s_set_vgpr_msb 0                        ;  msbs: dst=0 src0=0 src1=0 src2=0
	v_dot4_i32_iu8 v85, v179, v159, v85 neg_lo:[1,1,0]
	s_set_vgpr_msb 1                        ;  msbs: dst=0 src0=1 src1=0 src2=0
	s_delay_alu instid0(VALU_DEP_2) | instskip(NEXT) | instid1(VALU_DEP_2)
	v_dot4_i32_iu8 v82, v8 /*v264*/, v151, v82 neg_lo:[1,1,0]
	v_dot4_i32_iu8 v85, v9 /*v265*/, v160, v85 neg_lo:[1,1,0]
	s_set_vgpr_msb 0                        ;  msbs: dst=0 src0=0 src1=0 src2=0
	s_delay_alu instid0(VALU_DEP_2) | instskip(SKIP_1) | instid1(VALU_DEP_2)
	v_dot4_i32_iu8 v82, v177, v152, v82 neg_lo:[1,1,0]
	s_set_vgpr_msb 1                        ;  msbs: dst=0 src0=1 src1=0 src2=0
	v_dot4_i32_iu8 v85, v10 /*v266*/, v194, v85 neg_lo:[1,1,0]
	s_set_vgpr_msb 0                        ;  msbs: dst=0 src0=0 src1=0 src2=0
	s_delay_alu instid0(VALU_DEP_2) | instskip(NEXT) | instid1(VALU_DEP_2)
	v_dot4_i32_iu8 v82, v179, v153, v82 neg_lo:[1,1,0]
	v_dot4_i32_iu8 v85, v122, v98, v85 neg_lo:[1,1,0]
	s_set_vgpr_msb 1                        ;  msbs: dst=0 src0=1 src1=0 src2=0
	s_delay_alu instid0(VALU_DEP_2) | instskip(SKIP_1) | instid1(VALU_DEP_2)
	v_dot4_i32_iu8 v82, v9 /*v265*/, v154, v82 neg_lo:[1,1,0]
	s_set_vgpr_msb 0                        ;  msbs: dst=0 src0=0 src1=0 src2=0
	v_cvt_f32_i32_e32 v89, v85
	v_dot4_i32_iu8 v85, v99, v127, v91 neg_lo:[1,1,0]
	s_set_vgpr_msb 1                        ;  msbs: dst=0 src0=1 src1=0 src2=0
	v_dot4_i32_iu8 v82, v10 /*v266*/, v127, v82 neg_lo:[1,1,0]
	s_set_vgpr_msb 0                        ;  msbs: dst=0 src0=0 src1=0 src2=0
	v_pk_fma_f32 v[34:35], v[86:87], v[88:89], v[34:35]
	v_dot4_i32_iu8 v86, v134, v84, v85 neg_lo:[1,1,0]
	s_delay_alu instid0(VALU_DEP_3) | instskip(SKIP_2) | instid1(VALU_DEP_4)
	v_dot4_i32_iu8 v82, v122, v84, v82 neg_lo:[1,1,0]
	v_pk_mul_f32 v[84:85], v[80:81], v[132:133] op_sel_hi:[0,1]
	v_add_nc_u32_e32 v81, 4, v81
	v_cvt_f32_i32_e32 v86, v86
	s_delay_alu instid0(VALU_DEP_4) | instskip(NEXT) | instid1(VALU_DEP_1)
	v_cvt_f32_i32_e32 v87, v82
	v_pk_fma_f32 v[36:37], v[84:85], v[86:87], v[36:37]
	s_cbranch_scc1 .LBB141_11
; %bb.12:                               ;   in Loop: Header=BB141_6 Depth=1
	s_barrier_signal -1
	s_barrier_wait -1
	s_branch .LBB141_5
.LBB141_13:
	v_dual_mov_b32 v8, 0 :: v_dual_mov_b32 v0, 0
	v_dual_mov_b32 v25, 0 :: v_dual_mov_b32 v2, 0
	;; [unrolled: 1-line block ×12, first 2 shown]
	v_mov_b32_e32 v26, 0
	s_wait_xcnt 0x0
	s_mov_b32 s0, exec_lo
	v_cmpx_gt_u32_e64 s4, v7
	s_cbranch_execnz .LBB141_16
.LBB141_14:
	s_sendmsg sendmsg(MSG_DEALLOC_VGPRS)
	s_endpgm
.LBB141_15:
	v_cvt_pk_f16_f32 v28, v60, v61
	v_cvt_f16_f32_e32 v29, v43
	v_cvt_pk_f16_f32 v27, v66, v67
	v_cvt_pk_f16_f32 v25, v68, v69
	v_cvt_f16_f32_e32 v26, v72
	v_cvt_f16_f32_e32 v24, v74
	;; [unrolled: 1-line block ×17, first 2 shown]
	v_cvt_pk_f16_f32 v5, v30, v31
	v_cvt_pk_f16_f32 v4, v32, v33
	;; [unrolled: 1-line block ×4, first 2 shown]
	v_dual_mov_b32 v6, v1 :: v_dual_mov_b32 v12, v3
	s_mov_b32 s0, exec_lo
	v_cmpx_gt_u32_e64 s4, v7
	s_cbranch_execz .LBB141_14
.LBB141_16:
	v_mul_lo_u32 v30, v7, s6
	v_add_nc_u32_e32 v1, s14, v12
	s_delay_alu instid0(VALU_DEP_1)
	v_cmp_gt_u32_e32 vcc_lo, s6, v1
	s_and_saveexec_b32 s0, vcc_lo
	s_cbranch_execz .LBB141_18
; %bb.17:
	s_delay_alu instid0(VALU_DEP_3)
	v_add_nc_u32_e32 v3, v1, v30
	s_wait_kmcnt 0x0
	global_store_b16 v3, v28, s[8:9] scale_offset
.LBB141_18:
	s_wait_xcnt 0x0
	s_or_b32 exec_lo, exec_lo, s0
	v_add_nc_u32_e32 v3, 32, v1
	s_delay_alu instid0(VALU_DEP_1)
	v_cmp_gt_u32_e64 s0, s6, v3
	s_and_saveexec_b32 s1, s0
	s_cbranch_execz .LBB141_20
; %bb.19:
	v_add_nc_u32_e32 v7, v3, v30
	s_wait_kmcnt 0x0
	global_store_b16 v7, v5, s[8:9] scale_offset
.LBB141_20:
	s_wait_xcnt 0x0
	s_or_b32 exec_lo, exec_lo, s1
	v_add_nc_u32_e32 v7, 64, v1
	s_delay_alu instid0(VALU_DEP_1)
	v_cmp_gt_u32_e64 s1, s6, v7
	s_and_saveexec_b32 s2, s1
	s_cbranch_execz .LBB141_22
; %bb.21:
	v_add_nc_u32_e32 v12, v7, v30
	s_wait_kmcnt 0x0
	global_store_b16 v12, v27, s[8:9] scale_offset
.LBB141_22:
	s_wait_xcnt 0x0
	s_or_b32 exec_lo, exec_lo, s2
	v_add_nc_u32_e32 v12, 0x60, v1
	s_delay_alu instid0(VALU_DEP_1)
	v_cmp_gt_u32_e64 s2, s6, v12
	s_and_saveexec_b32 s3, s2
	s_cbranch_execz .LBB141_24
; %bb.23:
	v_add_nc_u32_e32 v30, v12, v30
	s_wait_kmcnt 0x0
	global_store_b16 v30, v25, s[8:9] scale_offset
.LBB141_24:
	s_wait_xcnt 0x0
	s_or_b32 exec_lo, exec_lo, s3
	v_add3_u32 v30, v6, s7, 8
	s_delay_alu instid0(VALU_DEP_1)
	v_cmp_gt_u32_e64 s3, s4, v30
	s_and_b32 exec_lo, exec_lo, s3
	s_cbranch_execz .LBB141_14
; %bb.25:
	v_mul_lo_u32 v30, v30, s6
	s_and_saveexec_b32 s3, vcc_lo
	s_cbranch_execnz .LBB141_65
; %bb.26:
	s_or_b32 exec_lo, exec_lo, s3
	s_and_saveexec_b32 s3, s0
	s_cbranch_execnz .LBB141_66
.LBB141_27:
	s_or_b32 exec_lo, exec_lo, s3
	s_and_saveexec_b32 s3, s1
	s_cbranch_execnz .LBB141_67
.LBB141_28:
	s_or_b32 exec_lo, exec_lo, s3
	s_and_saveexec_b32 s3, s2
	s_cbranch_execz .LBB141_30
.LBB141_29:
	v_add_nc_u32_e32 v27, v30, v12
	s_wait_kmcnt 0x0
	global_store_d16_hi_b16 v27, v25, s[8:9] scale_offset
.LBB141_30:
	s_wait_xcnt 0x0
	s_or_b32 exec_lo, exec_lo, s3
	v_add3_u32 v25, v6, s7, 16
	s_delay_alu instid0(VALU_DEP_1)
	v_cmp_gt_u32_e64 s3, s4, v25
	s_and_b32 exec_lo, exec_lo, s3
	s_cbranch_execz .LBB141_14
; %bb.31:
	v_mul_lo_u32 v25, v25, s6
	s_and_saveexec_b32 s3, vcc_lo
	s_cbranch_execnz .LBB141_68
; %bb.32:
	s_or_b32 exec_lo, exec_lo, s3
	s_and_saveexec_b32 s3, s0
	s_cbranch_execnz .LBB141_69
.LBB141_33:
	s_or_b32 exec_lo, exec_lo, s3
	s_and_saveexec_b32 s3, s1
	s_cbranch_execnz .LBB141_70
.LBB141_34:
	s_or_b32 exec_lo, exec_lo, s3
	s_and_saveexec_b32 s3, s2
	s_cbranch_execz .LBB141_36
.LBB141_35:
	v_add_nc_u32_e32 v23, v25, v12
	s_wait_kmcnt 0x0
	global_store_b16 v23, v22, s[8:9] scale_offset
.LBB141_36:
	s_wait_xcnt 0x0
	s_or_b32 exec_lo, exec_lo, s3
	v_add3_u32 v22, v6, s7, 24
	s_delay_alu instid0(VALU_DEP_1)
	v_cmp_gt_u32_e64 s3, s4, v22
	s_and_b32 exec_lo, exec_lo, s3
	s_cbranch_execz .LBB141_14
; %bb.37:
	v_mul_lo_u32 v22, v22, s6
	s_and_saveexec_b32 s3, vcc_lo
	s_cbranch_execnz .LBB141_71
; %bb.38:
	s_or_b32 exec_lo, exec_lo, s3
	s_and_saveexec_b32 s3, s0
	s_cbranch_execnz .LBB141_72
.LBB141_39:
	s_or_b32 exec_lo, exec_lo, s3
	s_and_saveexec_b32 s3, s1
	s_cbranch_execnz .LBB141_73
.LBB141_40:
	s_or_b32 exec_lo, exec_lo, s3
	s_and_saveexec_b32 s3, s2
	s_cbranch_execz .LBB141_42
.LBB141_41:
	v_add_nc_u32_e32 v19, v22, v12
	s_wait_kmcnt 0x0
	global_store_b16 v19, v18, s[8:9] scale_offset
.LBB141_42:
	s_wait_xcnt 0x0
	s_or_b32 exec_lo, exec_lo, s3
	v_add3_u32 v18, v6, s7, 32
	s_delay_alu instid0(VALU_DEP_1)
	v_cmp_gt_u32_e64 s3, s4, v18
	s_and_b32 exec_lo, exec_lo, s3
	s_cbranch_execz .LBB141_14
; %bb.43:
	v_mul_lo_u32 v18, v18, s6
	s_and_saveexec_b32 s3, vcc_lo
	s_cbranch_execnz .LBB141_74
; %bb.44:
	s_or_b32 exec_lo, exec_lo, s3
	s_and_saveexec_b32 s3, s0
	s_cbranch_execnz .LBB141_75
.LBB141_45:
	s_or_b32 exec_lo, exec_lo, s3
	s_and_saveexec_b32 s3, s1
	s_cbranch_execnz .LBB141_76
.LBB141_46:
	s_or_b32 exec_lo, exec_lo, s3
	s_and_saveexec_b32 s3, s2
	s_cbranch_execz .LBB141_48
.LBB141_47:
	v_add_nc_u32_e32 v15, v18, v12
	s_wait_kmcnt 0x0
	global_store_b16 v15, v14, s[8:9] scale_offset
.LBB141_48:
	s_wait_xcnt 0x0
	s_or_b32 exec_lo, exec_lo, s3
	v_add3_u32 v14, v6, s7, 40
	s_delay_alu instid0(VALU_DEP_1)
	v_cmp_gt_u32_e64 s3, s4, v14
	s_and_b32 exec_lo, exec_lo, s3
	s_cbranch_execz .LBB141_14
; %bb.49:
	v_mul_lo_u32 v14, v14, s6
	s_and_saveexec_b32 s3, vcc_lo
	s_cbranch_execnz .LBB141_77
; %bb.50:
	s_or_b32 exec_lo, exec_lo, s3
	s_and_saveexec_b32 s3, s0
	s_cbranch_execnz .LBB141_78
.LBB141_51:
	s_or_b32 exec_lo, exec_lo, s3
	s_and_saveexec_b32 s3, s1
	s_cbranch_execnz .LBB141_79
.LBB141_52:
	s_or_b32 exec_lo, exec_lo, s3
	s_and_saveexec_b32 s3, s2
	s_cbranch_execz .LBB141_54
.LBB141_53:
	v_add_nc_u32_e32 v10, v14, v12
	s_wait_kmcnt 0x0
	global_store_b16 v10, v8, s[8:9] scale_offset
.LBB141_54:
	s_wait_xcnt 0x0
	s_or_b32 exec_lo, exec_lo, s3
	v_add3_u32 v8, v6, s7, 48
	s_delay_alu instid0(VALU_DEP_1)
	v_cmp_gt_u32_e64 s3, s4, v8
	s_and_b32 exec_lo, exec_lo, s3
	s_cbranch_execz .LBB141_14
; %bb.55:
	v_mul_lo_u32 v8, v8, s6
	s_and_saveexec_b32 s3, vcc_lo
	s_cbranch_execnz .LBB141_80
; %bb.56:
	s_or_b32 exec_lo, exec_lo, s3
	s_and_saveexec_b32 s3, s0
	s_cbranch_execnz .LBB141_81
.LBB141_57:
	s_or_b32 exec_lo, exec_lo, s3
	s_and_saveexec_b32 s3, s1
	s_cbranch_execnz .LBB141_82
.LBB141_58:
	s_or_b32 exec_lo, exec_lo, s3
	s_and_saveexec_b32 s3, s2
	s_cbranch_execz .LBB141_60
.LBB141_59:
	v_add_nc_u32_e32 v8, v8, v12
	s_wait_kmcnt 0x0
	global_store_b16 v8, v0, s[8:9] scale_offset
.LBB141_60:
	s_wait_xcnt 0x0
	s_or_b32 exec_lo, exec_lo, s3
	v_add3_u32 v6, v6, s7, 56
	s_delay_alu instid0(VALU_DEP_1)
	v_cmp_gt_u32_e64 s3, s4, v6
	s_and_b32 exec_lo, exec_lo, s3
	s_cbranch_execz .LBB141_14
; %bb.61:
	v_mul_lo_u32 v6, v6, s6
	s_and_saveexec_b32 s3, vcc_lo
	s_cbranch_execnz .LBB141_83
; %bb.62:
	s_or_b32 exec_lo, exec_lo, s3
	s_and_saveexec_b32 s3, s0
	s_cbranch_execnz .LBB141_84
.LBB141_63:
	s_or_b32 exec_lo, exec_lo, s3
	s_and_saveexec_b32 s0, s1
	s_cbranch_execnz .LBB141_85
.LBB141_64:
	s_or_b32 exec_lo, exec_lo, s0
	s_delay_alu instid0(SALU_CYCLE_1)
	s_and_b32 exec_lo, exec_lo, s2
	s_cbranch_execz .LBB141_14
	s_branch .LBB141_86
.LBB141_65:
	s_delay_alu instid0(VALU_DEP_1)
	v_add_nc_u32_e32 v31, v30, v1
	s_wait_kmcnt 0x0
	global_store_d16_hi_b16 v31, v28, s[8:9] scale_offset
	s_wait_xcnt 0x0
	s_or_b32 exec_lo, exec_lo, s3
	s_and_saveexec_b32 s3, s0
	s_cbranch_execz .LBB141_27
.LBB141_66:
	s_delay_alu instid0(VALU_DEP_1)
	v_add_nc_u32_e32 v28, v30, v3
	s_wait_kmcnt 0x0
	global_store_b16 v28, v29, s[8:9] scale_offset
	s_wait_xcnt 0x0
	s_or_b32 exec_lo, exec_lo, s3
	s_and_saveexec_b32 s3, s1
	s_cbranch_execz .LBB141_28
.LBB141_67:
	s_delay_alu instid0(VALU_DEP_1)
	v_add_nc_u32_e32 v28, v30, v7
	s_wait_kmcnt 0x0
	global_store_d16_hi_b16 v28, v27, s[8:9] scale_offset
	s_wait_xcnt 0x0
	s_or_b32 exec_lo, exec_lo, s3
	s_and_saveexec_b32 s3, s2
	s_cbranch_execnz .LBB141_29
	s_branch .LBB141_30
.LBB141_68:
	s_delay_alu instid0(VALU_DEP_1)
	v_add_nc_u32_e32 v27, v25, v1
	s_wait_kmcnt 0x0
	global_store_b16 v27, v26, s[8:9] scale_offset
	s_wait_xcnt 0x0
	s_or_b32 exec_lo, exec_lo, s3
	s_and_saveexec_b32 s3, s0
	s_cbranch_execz .LBB141_33
.LBB141_69:
	s_delay_alu instid0(VALU_DEP_1)
	v_add_nc_u32_e32 v26, v25, v3
	s_wait_kmcnt 0x0
	global_store_b16 v26, v24, s[8:9] scale_offset
	s_wait_xcnt 0x0
	s_or_b32 exec_lo, exec_lo, s3
	s_and_saveexec_b32 s3, s1
	s_cbranch_execz .LBB141_34
.LBB141_70:
	s_delay_alu instid0(VALU_DEP_1)
	v_add_nc_u32_e32 v24, v25, v7
	s_wait_kmcnt 0x0
	global_store_b16 v24, v23, s[8:9] scale_offset
	s_wait_xcnt 0x0
	s_or_b32 exec_lo, exec_lo, s3
	s_and_saveexec_b32 s3, s2
	s_cbranch_execnz .LBB141_35
	s_branch .LBB141_36
.LBB141_71:
	s_delay_alu instid0(VALU_DEP_1)
	v_add_nc_u32_e32 v23, v22, v1
	s_wait_kmcnt 0x0
	global_store_b16 v23, v21, s[8:9] scale_offset
	s_wait_xcnt 0x0
	s_or_b32 exec_lo, exec_lo, s3
	s_and_saveexec_b32 s3, s0
	s_cbranch_execz .LBB141_39
.LBB141_72:
	s_delay_alu instid0(VALU_DEP_1)
	v_add_nc_u32_e32 v21, v22, v3
	s_wait_kmcnt 0x0
	global_store_b16 v21, v20, s[8:9] scale_offset
	s_wait_xcnt 0x0
	s_or_b32 exec_lo, exec_lo, s3
	s_and_saveexec_b32 s3, s1
	s_cbranch_execz .LBB141_40
.LBB141_73:
	s_delay_alu instid0(VALU_DEP_1)
	v_add_nc_u32_e32 v20, v22, v7
	s_wait_kmcnt 0x0
	global_store_b16 v20, v19, s[8:9] scale_offset
	s_wait_xcnt 0x0
	s_or_b32 exec_lo, exec_lo, s3
	s_and_saveexec_b32 s3, s2
	s_cbranch_execnz .LBB141_41
	s_branch .LBB141_42
.LBB141_74:
	s_delay_alu instid0(VALU_DEP_1)
	v_add_nc_u32_e32 v19, v18, v1
	s_wait_kmcnt 0x0
	global_store_b16 v19, v17, s[8:9] scale_offset
	s_wait_xcnt 0x0
	s_or_b32 exec_lo, exec_lo, s3
	s_and_saveexec_b32 s3, s0
	s_cbranch_execz .LBB141_45
.LBB141_75:
	s_delay_alu instid0(VALU_DEP_1)
	v_add_nc_u32_e32 v17, v18, v3
	s_wait_kmcnt 0x0
	global_store_b16 v17, v16, s[8:9] scale_offset
	s_wait_xcnt 0x0
	s_or_b32 exec_lo, exec_lo, s3
	s_and_saveexec_b32 s3, s1
	s_cbranch_execz .LBB141_46
.LBB141_76:
	s_delay_alu instid0(VALU_DEP_1)
	v_add_nc_u32_e32 v16, v18, v7
	s_wait_kmcnt 0x0
	global_store_b16 v16, v15, s[8:9] scale_offset
	s_wait_xcnt 0x0
	s_or_b32 exec_lo, exec_lo, s3
	s_and_saveexec_b32 s3, s2
	s_cbranch_execnz .LBB141_47
	s_branch .LBB141_48
.LBB141_77:
	s_delay_alu instid0(VALU_DEP_1)
	v_add_nc_u32_e32 v15, v14, v1
	s_wait_kmcnt 0x0
	global_store_b16 v15, v13, s[8:9] scale_offset
	s_wait_xcnt 0x0
	s_or_b32 exec_lo, exec_lo, s3
	s_and_saveexec_b32 s3, s0
	s_cbranch_execz .LBB141_51
.LBB141_78:
	s_delay_alu instid0(VALU_DEP_1)
	v_add_nc_u32_e32 v13, v14, v3
	s_wait_kmcnt 0x0
	global_store_b16 v13, v11, s[8:9] scale_offset
	s_wait_xcnt 0x0
	s_or_b32 exec_lo, exec_lo, s3
	s_and_saveexec_b32 s3, s1
	s_cbranch_execz .LBB141_52
.LBB141_79:
	s_delay_alu instid0(VALU_DEP_1)
	v_add_nc_u32_e32 v11, v14, v7
	s_wait_kmcnt 0x0
	global_store_b16 v11, v10, s[8:9] scale_offset
	s_wait_xcnt 0x0
	s_or_b32 exec_lo, exec_lo, s3
	s_and_saveexec_b32 s3, s2
	s_cbranch_execnz .LBB141_53
	s_branch .LBB141_54
.LBB141_80:
	s_delay_alu instid0(VALU_DEP_1)
	v_add_nc_u32_e32 v10, v8, v1
	s_wait_kmcnt 0x0
	global_store_b16 v10, v9, s[8:9] scale_offset
	s_wait_xcnt 0x0
	s_or_b32 exec_lo, exec_lo, s3
	s_and_saveexec_b32 s3, s0
	s_cbranch_execz .LBB141_57
.LBB141_81:
	s_delay_alu instid0(VALU_DEP_1)
	v_add_nc_u32_e32 v9, v8, v3
	s_wait_kmcnt 0x0
	global_store_b16 v9, v4, s[8:9] scale_offset
	s_wait_xcnt 0x0
	s_or_b32 exec_lo, exec_lo, s3
	s_and_saveexec_b32 s3, s1
	s_cbranch_execz .LBB141_58
.LBB141_82:
	s_delay_alu instid0(VALU_DEP_1)
	v_add_nc_u32_e32 v9, v8, v7
	s_wait_kmcnt 0x0
	global_store_b16 v9, v2, s[8:9] scale_offset
	s_wait_xcnt 0x0
	s_or_b32 exec_lo, exec_lo, s3
	s_and_saveexec_b32 s3, s2
	s_cbranch_execnz .LBB141_59
	s_branch .LBB141_60
.LBB141_83:
	s_delay_alu instid0(VALU_DEP_1)
	v_add_nc_u32_e32 v1, v6, v1
	s_wait_kmcnt 0x0
	global_store_d16_hi_b16 v1, v5, s[8:9] scale_offset
	s_wait_xcnt 0x0
	s_or_b32 exec_lo, exec_lo, s3
	s_and_saveexec_b32 s3, s0
	s_cbranch_execz .LBB141_63
.LBB141_84:
	s_delay_alu instid0(VALU_DEP_1)
	v_add_nc_u32_e32 v1, v6, v3
	s_wait_kmcnt 0x0
	global_store_d16_hi_b16 v1, v4, s[8:9] scale_offset
	s_wait_xcnt 0x0
	s_or_b32 exec_lo, exec_lo, s3
	s_and_saveexec_b32 s0, s1
	s_cbranch_execz .LBB141_64
.LBB141_85:
	s_delay_alu instid0(VALU_DEP_1) | instskip(SKIP_4) | instid1(SALU_CYCLE_1)
	v_add_nc_u32_e32 v1, v6, v7
	s_wait_kmcnt 0x0
	global_store_d16_hi_b16 v1, v2, s[8:9] scale_offset
	s_wait_xcnt 0x0
	s_or_b32 exec_lo, exec_lo, s0
	s_and_b32 exec_lo, exec_lo, s2
	s_cbranch_execz .LBB141_14
.LBB141_86:
	v_add_nc_u32_e32 v1, v6, v12
	s_wait_kmcnt 0x0
	global_store_d16_hi_b16 v1, v0, s[8:9] scale_offset
	s_sendmsg sendmsg(MSG_DEALLOC_VGPRS)
	s_endpgm
	.section	.rodata,"a",@progbits
	.p2align	6, 0x0
	.amdhsa_kernel _ZL12mul_mat_q5_0IN3c104HalfELb0EEvPKvS3_PT_iiiii
		.amdhsa_group_segment_fixed_size 46720
		.amdhsa_private_segment_fixed_size 0
		.amdhsa_kernarg_size 44
		.amdhsa_user_sgpr_count 2
		.amdhsa_user_sgpr_dispatch_ptr 0
		.amdhsa_user_sgpr_queue_ptr 0
		.amdhsa_user_sgpr_kernarg_segment_ptr 1
		.amdhsa_user_sgpr_dispatch_id 0
		.amdhsa_user_sgpr_kernarg_preload_length 0
		.amdhsa_user_sgpr_kernarg_preload_offset 0
		.amdhsa_user_sgpr_private_segment_size 0
		.amdhsa_wavefront_size32 1
		.amdhsa_uses_dynamic_stack 0
		.amdhsa_enable_private_segment 0
		.amdhsa_system_sgpr_workgroup_id_x 1
		.amdhsa_system_sgpr_workgroup_id_y 1
		.amdhsa_system_sgpr_workgroup_id_z 0
		.amdhsa_system_sgpr_workgroup_info 0
		.amdhsa_system_vgpr_workitem_id 1
		.amdhsa_next_free_vgpr 332
		.amdhsa_next_free_sgpr 18
		.amdhsa_named_barrier_count 0
		.amdhsa_reserve_vcc 1
		.amdhsa_float_round_mode_32 0
		.amdhsa_float_round_mode_16_64 0
		.amdhsa_float_denorm_mode_32 3
		.amdhsa_float_denorm_mode_16_64 3
		.amdhsa_fp16_overflow 0
		.amdhsa_memory_ordered 1
		.amdhsa_forward_progress 1
		.amdhsa_inst_pref_size 255
		.amdhsa_round_robin_scheduling 0
		.amdhsa_exception_fp_ieee_invalid_op 0
		.amdhsa_exception_fp_denorm_src 0
		.amdhsa_exception_fp_ieee_div_zero 0
		.amdhsa_exception_fp_ieee_overflow 0
		.amdhsa_exception_fp_ieee_underflow 0
		.amdhsa_exception_fp_ieee_inexact 0
		.amdhsa_exception_int_div_zero 0
	.end_amdhsa_kernel
	.section	.text._ZL12mul_mat_q5_0IN3c104HalfELb0EEvPKvS3_PT_iiiii,"axG",@progbits,_ZL12mul_mat_q5_0IN3c104HalfELb0EEvPKvS3_PT_iiiii,comdat
.Lfunc_end141:
	.size	_ZL12mul_mat_q5_0IN3c104HalfELb0EEvPKvS3_PT_iiiii, .Lfunc_end141-_ZL12mul_mat_q5_0IN3c104HalfELb0EEvPKvS3_PT_iiiii
                                        ; -- End function
	.set _ZL12mul_mat_q5_0IN3c104HalfELb0EEvPKvS3_PT_iiiii.num_vgpr, 332
	.set _ZL12mul_mat_q5_0IN3c104HalfELb0EEvPKvS3_PT_iiiii.num_agpr, 0
	.set _ZL12mul_mat_q5_0IN3c104HalfELb0EEvPKvS3_PT_iiiii.numbered_sgpr, 18
	.set _ZL12mul_mat_q5_0IN3c104HalfELb0EEvPKvS3_PT_iiiii.num_named_barrier, 0
	.set _ZL12mul_mat_q5_0IN3c104HalfELb0EEvPKvS3_PT_iiiii.private_seg_size, 0
	.set _ZL12mul_mat_q5_0IN3c104HalfELb0EEvPKvS3_PT_iiiii.uses_vcc, 1
	.set _ZL12mul_mat_q5_0IN3c104HalfELb0EEvPKvS3_PT_iiiii.uses_flat_scratch, 0
	.set _ZL12mul_mat_q5_0IN3c104HalfELb0EEvPKvS3_PT_iiiii.has_dyn_sized_stack, 0
	.set _ZL12mul_mat_q5_0IN3c104HalfELb0EEvPKvS3_PT_iiiii.has_recursion, 0
	.set _ZL12mul_mat_q5_0IN3c104HalfELb0EEvPKvS3_PT_iiiii.has_indirect_call, 0
	.section	.AMDGPU.csdata,"",@progbits
; Kernel info:
; codeLenInByte = 33408
; TotalNumSgprs: 20
; NumVgprs: 332
; ScratchSize: 0
; MemoryBound: 0
; FloatMode: 240
; IeeeMode: 1
; LDSByteSize: 46720 bytes/workgroup (compile time only)
; SGPRBlocks: 0
; VGPRBlocks: 20
; NumSGPRsForWavesPerEU: 20
; NumVGPRsForWavesPerEU: 332
; NamedBarCnt: 0
; Occupancy: 3
; WaveLimiterHint : 0
; COMPUTE_PGM_RSRC2:SCRATCH_EN: 0
; COMPUTE_PGM_RSRC2:USER_SGPR: 2
; COMPUTE_PGM_RSRC2:TRAP_HANDLER: 0
; COMPUTE_PGM_RSRC2:TGID_X_EN: 1
; COMPUTE_PGM_RSRC2:TGID_Y_EN: 1
; COMPUTE_PGM_RSRC2:TGID_Z_EN: 0
; COMPUTE_PGM_RSRC2:TIDIG_COMP_CNT: 1
	.section	.text._ZL12mul_mat_q5_0IN3c104HalfELb1EEvPKvS3_PT_iiiii,"axG",@progbits,_ZL12mul_mat_q5_0IN3c104HalfELb1EEvPKvS3_PT_iiiii,comdat
	.globl	_ZL12mul_mat_q5_0IN3c104HalfELb1EEvPKvS3_PT_iiiii ; -- Begin function _ZL12mul_mat_q5_0IN3c104HalfELb1EEvPKvS3_PT_iiiii
	.p2align	8
	.type	_ZL12mul_mat_q5_0IN3c104HalfELb1EEvPKvS3_PT_iiiii,@function
_ZL12mul_mat_q5_0IN3c104HalfELb1EEvPKvS3_PT_iiiii: ; @_ZL12mul_mat_q5_0IN3c104HalfELb1EEvPKvS3_PT_iiiii
; %bb.0:
	s_clause 0x1
	s_load_b128 s[4:7], s[0:1], 0x18
	s_load_b32 s12, s[0:1], 0x28
	s_bfe_u32 s2, ttmp6, 0x4000c
	s_bfe_u32 s8, ttmp6, 0x40010
	s_add_co_i32 s2, s2, 1
	s_and_b32 s3, ttmp6, 15
	s_mul_i32 s2, ttmp9, s2
	s_add_co_i32 s8, s8, 1
	s_add_co_i32 s3, s3, s2
	s_mul_i32 s2, ttmp7, s8
	s_bfe_u32 s8, ttmp6, 0x40004
	s_getreg_b32 s9, hwreg(HW_REG_IB_STS2, 6, 4)
	s_add_co_i32 s8, s8, s2
	s_cmp_eq_u32 s9, 0
	v_bfe_u32 v3, v0, 10, 10
	s_cselect_b32 s8, ttmp7, s8
	v_and_b32_e32 v7, 0x3ff, v0
	s_cselect_b32 s2, ttmp9, s3
	s_lshl_b32 s13, s8, 6
	s_mov_b32 s3, 0
	s_wait_kmcnt 0x0
	s_cmp_gt_i32 s4, 31
	s_cbranch_scc1 .LBB142_2
; %bb.1:
	v_bfe_u32 v5, v0, 10, 10
	v_and_b32_e32 v12, 0x3ff, v0
	s_delay_alu instid0(VALU_DEP_2)
	v_add_nc_u32_e32 v9, s13, v5
	s_branch .LBB142_3
.LBB142_2:
	s_mov_b32 s3, -1
                                        ; implicit-def: $vgpr5
                                        ; implicit-def: $vgpr12
                                        ; implicit-def: $vgpr9
.LBB142_3:
	s_load_b64 s[8:9], s[0:1], 0x10
	s_lshl_b32 s14, s2, 7
	s_and_not1_b32 vcc_lo, exec_lo, s3
	s_mov_b32 s11, 0
	s_cbranch_vccnz .LBB142_13
; %bb.4:
	v_dual_mov_b32 v5, 0 :: v_dual_bitop2_b32 v1, 3, v0 bitop3:0x40
	s_ashr_i32 s10, s4, 31
	s_not_b32 s16, s14
	s_lshr_b32 s10, s10, 27
	s_delay_alu instid0(VALU_DEP_1)
	v_dual_add_nc_u32 v22, 16, v3 :: v_dual_lshlrev_b32 v4, 2, v1
	s_add_co_i32 s4, s4, s10
	s_add_co_i32 s10, s5, s16
	s_delay_alu instid0(VALU_DEP_1) | instid1(SALU_CYCLE_1)
	v_dual_add_nc_u32 v9, s13, v3 :: v_dual_min_i32 v26, s10, v22
	s_add_co_i32 s16, s6, -1
	v_bfe_u32 v19, v0, 3, 7
	v_cvt_f64_i32_e32 v[14:15], s16
	s_delay_alu instid0(VALU_DEP_3) | instskip(SKIP_2) | instid1(VALU_DEP_3)
	v_dual_add_nc_u32 v6, 8, v9 :: v_dual_add_nc_u32 v23, 16, v9
	v_cvt_f64_u32_e32 v[16:17], v9
	v_dual_add_nc_u32 v27, 32, v9 :: v_dual_add_nc_u32 v28, 40, v9
	v_cvt_f64_u32_e32 v[20:21], v6
	v_add_nc_u32_e32 v6, 24, v9
	v_cvt_f64_u32_e32 v[24:25], v23
	v_add_nc_u32_e32 v23, 48, v9
	v_cvt_f64_u32_e32 v[34:35], v27
	v_cvt_f64_u32_e32 v[36:37], v28
	v_cvt_f64_u32_e32 v[32:33], v6
	v_dual_add_nc_u32 v6, 56, v9 :: v_dual_add_nc_u32 v28, 24, v3
	v_cvt_f64_u32_e32 v[38:39], v23
	v_lshl_add_u32 v30, v3, 2, v19
	v_dual_add_nc_u32 v44, 32, v3 :: v_dual_add_nc_u32 v46, 40, v3
	s_delay_alu instid0(VALU_DEP_4) | instskip(NEXT) | instid1(VALU_DEP_3)
	v_cvt_f64_u32_e32 v[40:41], v6
	v_dual_add_nc_u32 v52, 48, v3 :: v_dual_min_i32 v47, s10, v30
	v_min_i32_e32 v48, s10, v28
	v_add_min_i32_e64 v58, v30, 32, s10
	v_bfe_u32 v2, v0, 2, 8
	v_add_min_i32_e64 v60, v30, 64, s10
	v_dual_ashrrev_i32 v6, 31, v47 :: v_dual_min_i32 v49, s10, v44
	s_delay_alu instid0(VALU_DEP_4) | instskip(SKIP_1) | instid1(VALU_DEP_3)
	v_ashrrev_i32_e32 v51, 31, v58
	v_add_min_i32_e64 v62, 0x60, v30, s10
	v_dual_ashrrev_i32 v55, 31, v60 :: v_dual_lshrrev_b32 v42, 30, v6
	v_and_b32_e32 v6, 7, v0
	s_delay_alu instid0(VALU_DEP_3) | instskip(SKIP_1) | instid1(VALU_DEP_4)
	v_dual_ashrrev_i32 v30, 31, v62 :: v_dual_min_i32 v53, s10, v52
	v_min_num_f64_e32 v[16:17], v[16:17], v[14:15]
	v_add_nc_u32_e32 v45, v47, v42
	s_ashr_i32 s15, s7, 31
	v_min_num_f64_e32 v[20:21], v[20:21], v[14:15]
	s_lshr_b32 s17, s15, 27
	v_dual_add_nc_u32 v54, 56, v3 :: v_dual_min_i32 v50, s10, v46
	v_min_num_f64_e32 v[34:35], v[34:35], v[14:15]
	s_add_co_i32 s7, s7, s17
	v_min_num_f64_e32 v[42:43], v[32:33], v[14:15]
	v_lshrrev_b32_e32 v32, 30, v51
	v_lshl_add_u32 v33, v3, 3, v2
	v_min_num_f64_e32 v[24:25], v[24:25], v[14:15]
	v_lshrrev_b32_e32 v30, 30, v30
	s_ashr_i32 s7, s7, 5
	v_add_nc_u32_e32 v32, v58, v32
	v_dual_min_num_f64 v[38:39], v[38:39], v[14:15] :: v_dual_bitop2_b32 v56, 63, v33 bitop3:0x40
	v_min_num_f64_e32 v[36:37], v[36:37], v[14:15]
	v_min_num_f64_e32 v[14:15], v[40:41], v[14:15]
	v_dual_lshrrev_b32 v40, 30, v55 :: v_dual_bitop2_b32 v41, -4, v45 bitop3:0x40
	s_delay_alu instid0(VALU_DEP_4) | instskip(SKIP_1) | instid1(VALU_DEP_3)
	v_dual_add_nc_u32 v30, v62, v30 :: v_dual_bitop2_b32 v45, s13, v56 bitop3:0x54
	v_and_b32_e32 v32, -4, v32
	v_dual_add_nc_u32 v33, v60, v40 :: v_dual_lshlrev_b32 v40, 2, v6
	s_delay_alu instid0(VALU_DEP_3) | instskip(NEXT) | instid1(VALU_DEP_4)
	v_min_i32_e32 v45, s16, v45
	v_dual_add_nc_u32 v10, 8, v3 :: v_dual_bitop2_b32 v30, -4, v30 bitop3:0x40
	v_min_i32_e32 v12, s10, v3
	s_delay_alu instid0(VALU_DEP_4)
	v_and_b32_e32 v33, -4, v33
	v_cvt_i32_f64_e32 v16, v[16:17]
	s_wait_xcnt 0x0
	s_load_b128 s[0:3], s[0:1], 0x0
	v_dual_lshlrev_b32 v8, 3, v7 :: v_dual_min_i32 v18, s10, v10
	v_cvt_i32_f64_e32 v17, v[20:21]
	v_add3_u32 v51, v33, v40, 0xa200
	v_mad_u32 v33, v45, s7, v1
	v_lshlrev_b32_e32 v1, 5, v47
	v_add3_u32 v41, v41, v40, 0xa200
	v_cvt_i32_f64_e32 v21, v[42:43]
	v_add3_u32 v32, v32, v40, 0xa200
	v_lshlrev_b32_e32 v42, 5, v58
	v_cvt_i32_f64_e32 v20, v[24:25]
	v_cvt_i32_f64_e32 v24, v[34:35]
	v_add_nc_u32_e32 v35, 0x60, v7
	v_lshlrev_b32_e32 v43, 5, v60
	v_cvt_i32_f64_e32 v34, v[38:39]
	v_and_b32_e32 v39, 0xfc, v0
	v_cvt_i32_f64_e32 v25, v[36:37]
	v_cvt_i32_f64_e32 v14, v[14:15]
	v_add_nc_u32_e32 v36, 64, v7
	v_add3_u32 v30, v30, v40, 0xa200
	v_dual_add_nc_u32 v37, 32, v7 :: v_dual_min_i32 v40, s10, v54
	v_lshlrev_b32_e32 v15, 5, v7
	v_and_b32_e32 v35, 0x1fc, v35
	v_and_b32_e32 v36, 0x1fc, v36
	v_add_min_i32_e64 v64, v3, 64, s10
	v_and_b32_e32 v38, 0x1fc, v37
	v_add_min_i32_e64 v66, 0x50, v3, s10
	s_delay_alu instid0(VALU_DEP_4) | instskip(SKIP_3) | instid1(VALU_DEP_3)
	v_dual_add_nc_u32 v65, v15, v35 :: v_dual_add_nc_u32 v36, v15, v36
	v_dual_add_nc_u32 v35, v41, v1 :: v_dual_lshlrev_b32 v1, 5, v62
	v_add_nc_u32_e32 v41, v51, v43
	v_dual_add_nc_u32 v38, v15, v38 :: v_dual_add_nc_u32 v15, v15, v39
	v_dual_add_nc_u32 v39, v32, v42 :: v_dual_add_nc_u32 v43, v30, v1
	v_add_min_i32_e64 v42, 0x48, v3, s10
	v_add_min_i32_e64 v67, 0x58, v3, s10
	;; [unrolled: 1-line block ×6, first 2 shown]
	v_dual_lshlrev_b32 v1, 2, v7 :: v_dual_bitop2_b32 v30, 31, v0 bitop3:0x40
	v_mad_u32 v11, 0x104, v12, v8
	v_mad_u32 v13, 0x104, v18, v8
	;; [unrolled: 1-line block ×16, first 2 shown]
	v_lshl_or_b32 v8, v30, 2, 0x8200
	v_mul_lo_u32 v203, s7, v17
	v_dual_lshlrev_b32 v10, 7, v10 :: v_dual_lshlrev_b32 v17, 7, v28
	v_lshl_or_b32 v32, v56, 4, v4
	v_mul_lo_u32 v202, s7, v16
	v_mul_lo_u32 v204, s7, v20
	v_dual_lshlrev_b32 v16, 7, v22 :: v_dual_lshlrev_b32 v20, 7, v44
	v_mul_lo_u32 v205, s7, v21
	v_dual_lshlrev_b32 v21, 7, v46 :: v_dual_lshlrev_b32 v22, 7, v52
	v_mul_lo_u32 v209, s7, v14
	v_dual_lshlrev_b32 v14, 7, v54 :: v_dual_lshrrev_b32 v210, 3, v37
	v_dual_add_nc_u32 v211, v8, v10 :: v_dual_add_nc_u32 v212, v8, v16
	v_dual_add_nc_u32 v213, v8, v17 :: v_dual_lshlrev_b32 v10, 7, v3
	s_ashr_i32 s15, s4, 5
	v_dual_mov_b32 v1, v5 :: v_dual_bitop2_b32 v0, 28, v1 bitop3:0x40
	v_add_nc_u32_e32 v201, 0xb280, v32
	v_mul_lo_u32 v206, s7, v24
	v_mul_lo_u32 v207, s7, v25
	;; [unrolled: 1-line block ×3, first 2 shown]
	v_dual_add_nc_u32 v214, v8, v20 :: v_dual_add_nc_u32 v215, v8, v21
	v_add_nc_u32_e32 v216, v8, v22
	v_add_nc_u32_e32 v217, v8, v14
	;; [unrolled: 1-line block ×6, first 2 shown]
	v_mul_lo_u32 v8, v12, s15
	v_mul_lo_u32 v10, v18, s15
	;; [unrolled: 1-line block ×20, first 2 shown]
	s_mul_i32 s4, s15, s14
	s_wait_kmcnt 0x0
	v_add_nc_u64_e32 v[0:1], s[2:3], v[0:1]
	v_add_nc_u32_e32 v220, 0xae00, v65
	v_add_nc_u32_e32 v221, 0xae10, v65
	;; [unrolled: 1-line block ×6, first 2 shown]
	s_movk_i32 s7, 0x80
	v_mov_b64_e32 v[66:67], 0
	v_mov_b64_e32 v[14:15], 0
	;; [unrolled: 1-line block ×16, first 2 shown]
	s_ashr_i32 s5, s4, 31
	v_mul_u32_u24_e32 v228, 0x104, v7
	v_lshl_add_u32 v229, v3, 4, 0xb280
	v_mad_u32_u24 v230, 0x104, v7, s7
	s_mul_u64 s[4:5], s[4:5], 22
	s_add_co_i32 s7, s15, 3
	s_add_nc_u64 s[0:1], s[0:1], s[4:5]
	s_mov_b32 s10, s11
	s_branch .LBB142_6
.LBB142_5:                              ;   in Loop: Header=BB142_6 Depth=1
	s_add_co_i32 s10, s10, 8
	s_add_co_i32 s7, s7, -8
	s_cmp_ge_i32 s10, s15
	s_cbranch_scc1 .LBB142_15
.LBB142_6:                              ; =>This Loop Header: Depth=1
                                        ;     Child Loop BB142_8 Depth 2
                                        ;     Child Loop BB142_11 Depth 2
	s_mul_u64 s[4:5], s[10:11], 22
	s_cmp_gt_u32 s7, 3
	s_add_nc_u64 s[4:5], s[0:1], s[4:5]
	s_delay_alu instid0(SALU_CYCLE_1) | instskip(SKIP_1) | instid1(VALU_DEP_2)
	v_mad_nc_u64_u32 v[80:81], v2, 22, s[4:5]
	v_mad_nc_u64_u32 v[82:83], v6, 22, s[4:5]
	v_mad_nc_i64_i32 v[84:85], v8, 22, v[80:81]
	v_mad_nc_i64_i32 v[86:87], v10, 22, v[80:81]
	;; [unrolled: 1-line block ×12, first 2 shown]
	v_add_nc_u64_e32 v[106:107], v[84:85], v[4:5]
	v_add_nc_u64_e32 v[108:109], v[86:87], v[4:5]
	;; [unrolled: 1-line block ×4, first 2 shown]
	s_clause 0xb
	global_load_u16 v114, v[94:95], off
	global_load_u16 v115, v[96:97], off
	global_load_u16 v116, v[98:99], off
	global_load_u16 v117, v[82:83], off
	global_load_b32 v118, v[90:91], off offset:2
	global_load_b32 v119, v[88:89], off offset:2
	;; [unrolled: 1-line block ×8, first 2 shown]
	s_wait_xcnt 0x8
	v_add_nc_u64_e32 v[82:83], v[92:93], v[4:5]
	s_wait_xcnt 0x6
	v_mad_nc_i64_i32 v[88:89], v40, 22, v[80:81]
	v_mad_nc_i64_i32 v[94:95], v44, 22, v[80:81]
	s_wait_xcnt 0x4
	v_add_nc_u64_e32 v[84:85], v[100:101], v[4:5]
	v_add_nc_u64_e32 v[86:87], v[102:103], v[4:5]
	s_clause 0x6
	global_load_b32 v112, v[104:105], off offset:2
	global_load_b32 v113, v[102:103], off offset:2
	;; [unrolled: 1-line block ×7, first 2 shown]
	v_add_nc_u64_e32 v[90:91], v[104:105], v[4:5]
	s_wait_xcnt 0x2
	v_mad_nc_i64_i32 v[82:83], v32, 22, v[80:81]
	s_wait_xcnt 0x1
	v_mad_nc_i64_i32 v[84:85], v34, 22, v[80:81]
	;; [unrolled: 2-line block ×3, first 2 shown]
	v_mad_nc_i64_i32 v[92:93], v42, 22, v[80:81]
	v_mad_nc_i64_i32 v[96:97], v50, 22, v[80:81]
	v_mad_nc_i64_i32 v[80:81], v54, 22, v[80:81]
	global_load_b32 v131, v[90:91], off offset:6
	v_add_nc_u64_e32 v[102:103], v[88:89], v[4:5]
	v_add_nc_u64_e32 v[106:107], v[94:95], v[4:5]
	s_wait_xcnt 0x0
	v_add_nc_u64_e32 v[90:91], v[82:83], v[4:5]
	v_add_nc_u64_e32 v[98:99], v[84:85], v[4:5]
	;; [unrolled: 1-line block ×6, first 2 shown]
	s_clause 0xf
	global_load_b32 v132, v[90:91], off offset:6
	global_load_b32 v133, v[98:99], off offset:6
	;; [unrolled: 1-line block ×15, first 2 shown]
	; meta instruction
	; meta instruction
	;; [unrolled: 1-line block ×15, first 2 shown]
	global_load_b32 v81, v[92:93], off offset:2
	s_wait_loadcnt 0x23
	v_cvt_f32_f16_e32 v82, v114
	s_wait_loadcnt 0x22
	v_cvt_f32_f16_e32 v83, v115
	;; [unrolled: 2-line block ×4, first 2 shown]
	s_wait_loadcnt 0x1e
	s_wait_xcnt 0x1
	v_dual_ashrrev_i32 v94, v4, v118 :: v_dual_ashrrev_i32 v91, v4, v119
	s_wait_loadcnt 0x1c
	v_dual_ashrrev_i32 v88, v4, v120 :: v_dual_ashrrev_i32 v85, v4, v121
	s_wait_loadcnt 0x1a
	v_dual_lshrrev_b32 v87, 4, v122 :: v_dual_lshrrev_b32 v90, 4, v123
	v_and_b32_e32 v86, 0xf0f0f0f, v122
	s_delay_alu instid0(VALU_DEP_3)
	v_dual_lshlrev_b32 v114, 4, v88 :: v_dual_lshlrev_b32 v115, 11, v88
	s_wait_loadcnt 0x16
	v_ashrrev_i32_e32 v103, v4, v113
	v_dual_lshlrev_b32 v106, 4, v85 :: v_dual_lshlrev_b32 v107, 11, v85
	v_dual_lshlrev_b32 v108, 18, v85 :: v_dual_lshlrev_b32 v109, 25, v85
	v_dual_lshrrev_b32 v110, 12, v85 :: v_dual_lshrrev_b32 v111, 5, v85
	v_dual_lshlrev_b32 v113, 2, v85 :: v_dual_lshlrev_b32 v85, 9, v85
	s_wait_loadcnt 0x13
	v_dual_ashrrev_i32 v97, v4, v127 :: v_dual_lshrrev_b32 v99, 4, v128
	s_wait_loadcnt 0x12
	v_dual_ashrrev_i32 v100, v4, v126 :: v_dual_lshrrev_b32 v102, 4, v129
	v_dual_lshlrev_b32 v116, 18, v88 :: v_dual_lshlrev_b32 v117, 25, v88
	v_dual_lshrrev_b32 v118, 12, v88 :: v_dual_lshrrev_b32 v119, 5, v88
	v_dual_lshlrev_b32 v120, 2, v88 :: v_dual_lshlrev_b32 v88, 9, v88
	v_and_b32_e32 v87, 0xf0f0f0f, v87
	v_and_b32_e32 v113, 0x100000, v113
	;; [unrolled: 1-line block ×4, first 2 shown]
	s_wait_xcnt 0x0
	v_and_b32_e32 v92, 0xf0f0f0f, v124
	v_lshrrev_b32_e32 v93, 4, v124
	v_and_b32_e32 v95, 0xf0f0f0f, v125
	v_lshrrev_b32_e32 v96, 4, v125
	v_and_b32_e32 v98, 0xf0f0f0f, v128
	v_and_b32_e32 v101, 0xf0f0f0f, v129
	s_wait_loadcnt 0x11
	v_and_b32_e32 v104, 0xf0f0f0f, v130
	v_dual_lshrrev_b32 v105, 4, v130 :: v_dual_lshlrev_b32 v121, 4, v91
	v_dual_lshlrev_b32 v122, 11, v91 :: v_dual_lshlrev_b32 v123, 18, v91
	v_dual_lshlrev_b32 v124, 25, v91 :: v_dual_lshrrev_b32 v125, 12, v91
	v_dual_lshrrev_b32 v126, 5, v91 :: v_dual_lshlrev_b32 v127, 2, v91
	v_dual_lshlrev_b32 v91, 9, v91 :: v_dual_lshlrev_b32 v128, 4, v94
	v_dual_lshlrev_b32 v129, 11, v94 :: v_dual_lshlrev_b32 v130, 18, v94
	v_dual_lshlrev_b32 v147, 25, v94 :: v_dual_lshrrev_b32 v148, 12, v94
	v_dual_lshrrev_b32 v149, 5, v94 :: v_dual_lshlrev_b32 v150, 2, v94
	v_dual_lshlrev_b32 v94, 9, v94 :: v_dual_lshlrev_b32 v151, 4, v97
	;; [unrolled: 4-line block ×3, first 2 shown]
	v_dual_lshlrev_b32 v159, 11, v100 :: v_dual_lshlrev_b32 v160, 18, v100
	v_dual_lshlrev_b32 v161, 25, v100 :: v_dual_lshrrev_b32 v162, 12, v100
	v_dual_lshrrev_b32 v163, 5, v100 :: v_dual_lshlrev_b32 v164, 2, v100
	v_lshlrev_b32_e32 v100, 9, v100
	v_and_b32_e32 v90, 0xf0f0f0f, v90
	v_and_b32_e32 v120, 0x100000, v120
	;; [unrolled: 1-line block ×6, first 2 shown]
	v_or3_b32 v85, v87, v113, v85
	v_and_b32_e32 v106, 16, v106
	v_and_b32_e32 v93, 0xf0f0f0f, v93
	;; [unrolled: 1-line block ×16, first 2 shown]
	v_or3_b32 v88, v90, v120, v88
	v_and_b32_e32 v114, 16, v114
	v_and_b32_e32 v118, 16, v118
	;; [unrolled: 1-line block ×4, first 2 shown]
	v_lshrrev_b32_e32 v85, 16, v85
	v_or3_b32 v106, v106, v86, v107
	v_or3_b32 v86, v86, v108, v109
	v_and_b32_e32 v121, 16, v121
	v_and_b32_e32 v126, 0x1000, v126
	;; [unrolled: 1-line block ×13, first 2 shown]
	v_or3_b32 v107, v110, v87, v111
	v_or3_b32 v91, v93, v127, v91
	v_and_b32_e32 v125, 16, v125
	v_or3_b32 v94, v96, v150, v94
	v_and_b32_e32 v148, 16, v148
	v_or3_b32 v97, v99, v157, v97
	v_and_b32_e32 v155, 16, v155
	v_or3_b32 v100, v102, v164, v100
	v_and_b32_e32 v162, 16, v162
	v_and_b32_e32 v116, 0x100000, v116
	v_and_b32_e32 v117, 0x10000000, v117
	v_lshrrev_b32_e32 v88, 16, v88
	v_or3_b32 v87, v114, v89, v115
	v_or3_b32 v108, v118, v90, v119
	v_lshrrev_b32_e32 v86, 16, v86
	v_or3_b32 v90, v121, v92, v122
	v_and_b32_e32 v123, 0x100000, v123
	v_and_b32_e32 v124, 0x10000000, v124
	;; [unrolled: 1-line block ×3, first 2 shown]
	v_lshlrev_b16 v106, 8, v106
	v_lshlrev_b16 v115, 8, v107
	v_lshrrev_b32_e32 v91, 16, v91
	v_or3_b32 v109, v125, v93, v126
	v_or3_b32 v93, v128, v95, v129
	v_lshrrev_b32_e32 v94, 16, v94
	v_or3_b32 v110, v148, v96, v149
	v_or3_b32 v96, v151, v98, v152
	;; [unrolled: 3-line block ×3, first 2 shown]
	v_or3_b32 v101, v101, v160, v161
	v_lshrrev_b32_e32 v100, 16, v100
	v_or3_b32 v113, v162, v102, v163
	v_or3_b32 v89, v89, v116, v117
	v_lshlrev_b16 v116, 8, v87
	v_lshlrev_b16 v118, 8, v90
	v_and_b32_e32 v130, 0x100000, v130
	v_and_b32_e32 v147, 0x10000000, v147
	v_and_b32_e32 v153, 0x100000, v153
	v_and_b32_e32 v154, 0x10000000, v154
	v_or3_b32 v92, v92, v123, v124
	v_lshlrev_b16 v120, 8, v93
	v_lshlrev_b16 v122, 8, v96
	v_lshrrev_b32_e32 v101, 16, v101
	v_and_b32_e32 v124, 0x1f00, v99
	v_lshlrev_b16 v99, 8, v99
	v_lshlrev_b16 v125, 8, v113
	v_add_nc_u16 v114, 0xf000, v114
	v_add_nc_u16 v106, 0xf000, v106
	v_and_b32_e32 v127, 0x1f00, v86
	v_lshlrev_b16 v86, 8, v86
	v_add_nc_u16 v115, 0xf000, v115
	v_add_nc_u16 v116, 0xf000, v116
	;; [unrolled: 1-line block ×3, first 2 shown]
	v_or3_b32 v95, v95, v130, v147
	v_or3_b32 v98, v98, v153, v154
	v_add_nc_u16 v120, 0xf000, v120
	v_add_nc_u16 v122, 0xf000, v122
	;; [unrolled: 1-line block ×4, first 2 shown]
	v_and_b32_e32 v153, 0x1f00, v101
	v_lshlrev_b16 v101, 8, v101
	v_add_nc_u16 v125, 0xf000, v125
	v_perm_b32 v106, v106, v114, 0xc0c0105
	v_add_nc_u16 v114, 0xf000, v127
	v_add_nc_u16 v86, 0xf000, v86
	v_lshrrev_b16 v115, 8, v115
	v_lshrrev_b32_e32 v89, 16, v89
	v_and_b32_e32 v117, 0x1f00, v108
	v_lshlrev_b16 v108, 8, v108
	v_lshrrev_b16 v116, 8, v116
	v_lshrrev_b32_e32 v92, 16, v92
	v_and_b32_e32 v119, 0x1f00, v109
	v_lshlrev_b16 v109, 8, v109
	v_lshrrev_b16 v118, 8, v118
	v_dual_lshlrev_b32 v165, 4, v103 :: v_dual_lshlrev_b32 v166, 11, v103
	v_dual_lshlrev_b32 v167, 18, v103 :: v_dual_lshlrev_b32 v168, 25, v103
	v_lshrrev_b32_e32 v95, 16, v95
	v_and_b32_e32 v121, 0x1f00, v110
	v_lshlrev_b16 v110, 8, v110
	v_lshrrev_b32_e32 v98, 16, v98
	v_and_b32_e32 v123, 0x1f00, v111
	v_lshlrev_b16 v111, 8, v111
	v_and_b32_e32 v128, 0x1f00, v85
	v_lshlrev_b16 v85, 8, v85
	v_lshrrev_b16 v120, 8, v120
	v_lshrrev_b16 v122, 8, v122
	v_perm_b32 v99, v99, v124, 0xc0c0105
	v_add_nc_u16 v124, 0xf000, v153
	v_add_nc_u16 v101, 0xf000, v101
	v_lshrrev_b16 v125, 8, v125
	v_perm_b32 v86, v86, v114, 0xc0c0105
	v_bitop3_b16 v107, v107, v115, 0x1f00 bitop3:0xec
	v_and_b32_e32 v129, 0x1f00, v89
	v_lshlrev_b16 v89, 8, v89
	v_add_nc_u16 v117, 0xf000, v117
	v_add_nc_u16 v108, 0xf000, v108
	v_and_b32_e32 v130, 0x1f00, v88
	v_lshlrev_b16 v88, 8, v88
	v_bitop3_b16 v87, v87, v116, 0x1f00 bitop3:0xec
	v_and_b32_e32 v147, 0x1f00, v92
	v_lshlrev_b16 v92, 8, v92
	v_add_nc_u16 v119, 0xf000, v119
	v_add_nc_u16 v109, 0xf000, v109
	v_and_b32_e32 v148, 0x1f00, v91
	v_lshlrev_b16 v91, 8, v91
	v_bitop3_b16 v90, v90, v118, 0x1f00 bitop3:0xec
	v_and_b32_e32 v165, 16, v165
	v_and_b32_e32 v166, 0x1000, v166
	;; [unrolled: 1-line block ×5, first 2 shown]
	v_lshlrev_b16 v95, 8, v95
	v_add_nc_u16 v121, 0xf000, v121
	v_add_nc_u16 v110, 0xf000, v110
	v_and_b32_e32 v150, 0x1f00, v94
	v_lshlrev_b16 v94, 8, v94
	v_and_b32_e32 v151, 0x1f00, v98
	v_lshlrev_b16 v98, 8, v98
	v_add_nc_u16 v123, 0xf000, v123
	v_add_nc_u16 v111, 0xf000, v111
	v_and_b32_e32 v152, 0x1f00, v97
	v_lshlrev_b16 v97, 8, v97
	v_and_b32_e32 v154, 0x1f00, v100
	v_lshlrev_b16 v100, 8, v100
	v_add_nc_u16 v127, 0xf000, v128
	v_add_nc_u16 v85, 0xf000, v85
	v_bitop3_b16 v93, v93, v120, 0x1f00 bitop3:0xec
	v_bitop3_b16 v96, v96, v122, 0x1f00 bitop3:0xec
	v_perm_b32 v101, v101, v124, 0xc0c0105
	v_bitop3_b16 v113, v113, v125, 0x1f00 bitop3:0xec
	v_lshl_or_b32 v86, v86, 16, v106
	v_add_nc_u16 v106, 0xf000, v107
	v_add_nc_u16 v128, 0xf000, v129
	;; [unrolled: 1-line block ×3, first 2 shown]
	v_perm_b32 v108, v108, v117, 0xc0c0105
	v_add_nc_u16 v117, 0xf000, v130
	v_add_nc_u16 v88, 0xf000, v88
	v_add_nc_u16 v87, 0xf000, v87
	v_add_nc_u16 v129, 0xf000, v147
	v_add_nc_u16 v92, 0xf000, v92
	v_perm_b32 v109, v109, v119, 0xc0c0105
	v_add_nc_u16 v119, 0xf000, v148
	v_add_nc_u16 v91, 0xf000, v91
	;; [unrolled: 1-line block ×3, first 2 shown]
	v_dual_lshrrev_b32 v169, 12, v103 :: v_dual_lshrrev_b32 v170, 5, v103
	v_dual_lshlrev_b32 v171, 2, v103 :: v_dual_lshlrev_b32 v103, 9, v103
	v_or3_b32 v102, v165, v104, v166
	v_or3_b32 v104, v104, v167, v168
	v_add_nc_u16 v130, 0xf000, v149
	v_add_nc_u16 v95, 0xf000, v95
	v_perm_b32 v110, v110, v121, 0xc0c0105
	v_add_nc_u16 v121, 0xf000, v150
	v_add_nc_u16 v94, 0xf000, v94
	v_add_nc_u16 v147, 0xf000, v151
	v_add_nc_u16 v98, 0xf000, v98
	v_perm_b32 v111, v111, v123, 0xc0c0105
	v_add_nc_u16 v123, 0xf000, v152
	v_add_nc_u16 v97, 0xf000, v97
	v_add_nc_u16 v148, 0xf000, v154
	v_add_nc_u16 v100, 0xf000, v100
	v_perm_b32 v85, v85, v127, 0xc0c0105
	v_add_nc_u16 v93, 0xf000, v93
	v_add_nc_u16 v96, 0xf000, v96
	v_lshl_or_b32 v99, v101, 16, v99
	v_add_nc_u16 v101, 0xf000, v113
	v_and_b32_e32 v106, 0xffff, v106
	v_perm_b32 v89, v89, v128, 0xc0c0105
	v_perm_b32 v88, v88, v117, 0xc0c0105
	v_and_b32_e32 v87, 0xffff, v87
	v_perm_b32 v92, v92, v129, 0xc0c0105
	v_perm_b32 v91, v91, v119, 0xc0c0105
	v_and_b32_e32 v90, 0xffff, v90
	v_and_b32_e32 v105, 0xf0f0f0f, v105
	;; [unrolled: 1-line block ×4, first 2 shown]
	v_lshrrev_b32_e32 v104, 16, v104
	v_perm_b32 v95, v95, v130, 0xc0c0105
	v_perm_b32 v94, v94, v121, 0xc0c0105
	;; [unrolled: 1-line block ×5, first 2 shown]
	v_and_b32_e32 v93, 0xffff, v93
	v_and_b32_e32 v96, 0xffff, v96
	;; [unrolled: 1-line block ×3, first 2 shown]
	v_lshl_or_b32 v85, v85, 16, v106
	v_lshl_or_b32 v88, v88, 16, v108
	;; [unrolled: 1-line block ×5, first 2 shown]
	v_and_b32_e32 v170, 0x1000, v170
	v_and_b32_e32 v126, 0x1f00, v102
	v_lshlrev_b16 v102, 8, v102
	v_lshl_or_b32 v94, v94, 16, v110
	v_lshl_or_b32 v97, v97, 16, v111
	;; [unrolled: 1-line block ×5, first 2 shown]
	ds_store_2addr_b32 v11, v86, v85 offset1:1
	ds_store_b32 v35, v82
	ds_store_2addr_b32 v13, v87, v88 offset1:1
	ds_store_b32 v39, v83
	;; [unrolled: 2-line block ×3, first 2 shown]
	ds_store_2addr_b32 v27, v90, v94 offset1:1
	ds_store_2addr_b32 v29, v92, v97 offset1:1
	;; [unrolled: 1-line block ×3, first 2 shown]
	v_or3_b32 v82, v105, v171, v103
	v_and_b32_e32 v169, 16, v169
	v_and_b32_e32 v84, 0x1f00, v104
	v_lshlrev_b16 v85, 8, v104
	v_add_nc_u16 v126, 0xf000, v126
	v_add_nc_u16 v86, 0xf000, v102
	v_lshrrev_b32_e32 v82, 16, v82
	v_or3_b32 v83, v169, v105, v170
	v_add_nc_u16 v84, 0xf000, v84
	v_add_nc_u16 v85, 0xf000, v85
	v_perm_b32 v86, v86, v126, 0xc0c0105
	v_and_b32_e32 v88, 0x1f00, v82
	v_lshlrev_b16 v87, 8, v83
	v_lshlrev_b16 v82, 8, v82
	v_perm_b32 v84, v85, v84, 0xc0c0105
	v_ashrrev_i32_e32 v85, v4, v112
	v_add_nc_u16 v88, 0xf000, v88
	v_add_nc_u16 v87, 0xf000, v87
	;; [unrolled: 1-line block ×3, first 2 shown]
	v_lshl_or_b32 v84, v84, 16, v86
	v_lshlrev_b32_e32 v86, 4, v85
	s_wait_loadcnt 0x0
	v_ashrrev_i32_e32 v81, v4, v81
	v_lshrrev_b16 v87, 8, v87
	v_perm_b32 v82, v82, v88, 0xc0c0105
	v_dual_lshlrev_b32 v89, 11, v85 :: v_dual_bitop2_b32 v86, 16, v86 bitop3:0x40
	s_delay_alu instid0(VALU_DEP_3) | instskip(SKIP_2) | instid1(VALU_DEP_4)
	v_bitop3_b16 v83, v83, v87, 0x1f00 bitop3:0xec
	v_and_b32_e32 v87, 0xf0f0f0f, v131
	v_dual_lshrrev_b32 v90, 12, v85 :: v_dual_lshrrev_b32 v91, 5, v85
	v_and_b32_e32 v88, 0x1000, v89
	v_dual_lshrrev_b32 v89, 4, v131 :: v_dual_lshlrev_b32 v92, 25, v85
	s_delay_alu instid0(VALU_DEP_3) | instskip(NEXT) | instid1(VALU_DEP_3)
	v_dual_lshlrev_b32 v93, 2, v85 :: v_dual_bitop2_b32 v90, 16, v90 bitop3:0x40
	v_or3_b32 v86, v86, v87, v88
	v_lshlrev_b32_e32 v88, 18, v85
	s_delay_alu instid0(VALU_DEP_4) | instskip(SKIP_4) | instid1(VALU_DEP_4)
	v_and_b32_e32 v89, 0xf0f0f0f, v89
	v_and_b32_e32 v91, 0x1000, v91
	v_lshlrev_b32_e32 v85, 9, v85
	v_add_nc_u16 v83, 0xf000, v83
	v_and_b32_e32 v88, 0x100000, v88
	v_or3_b32 v90, v90, v89, v91
	v_and_b32_e32 v91, 0x10000000, v92
	v_and_b32_e32 v92, 0x100000, v93
	;; [unrolled: 1-line block ×4, first 2 shown]
	v_lshlrev_b16 v93, 8, v90
	v_or3_b32 v87, v87, v88, v91
	v_and_b32_e32 v88, 0x1f00, v86
	v_or3_b32 v85, v89, v92, v85
	v_lshlrev_b16 v86, 8, v86
	v_add_nc_u16 v89, 0xf000, v93
	v_lshrrev_b32_e32 v87, 16, v87
	v_add_nc_u16 v88, 0xf000, v88
	v_lshrrev_b32_e32 v85, 16, v85
	v_add_nc_u16 v86, 0xf000, v86
	v_lshrrev_b16 v89, 8, v89
	v_and_b32_e32 v91, 0x1f00, v87
	v_lshlrev_b16 v87, 8, v87
	v_and_b32_e32 v92, 0x1f00, v85
	v_lshlrev_b16 v85, 8, v85
	v_bitop3_b16 v89, v90, v89, 0x1f00 bitop3:0xec
	v_add_nc_u16 v90, 0xf000, v91
	v_add_nc_u16 v87, 0xf000, v87
	;; [unrolled: 1-line block ×5, first 2 shown]
	v_perm_b32 v86, v86, v88, 0xc0c0105
	v_perm_b32 v87, v87, v90, 0xc0c0105
	v_ashrrev_i32_e32 v88, v4, v139
	v_perm_b32 v85, v85, v91, 0xc0c0105
	v_and_b32_e32 v89, 0xffff, v89
	v_lshl_or_b32 v82, v82, 16, v83
	v_lshl_or_b32 v86, v87, 16, v86
	v_and_b32_e32 v87, 0xf0f0f0f, v132
	s_delay_alu instid0(VALU_DEP_4)
	v_lshl_or_b32 v85, v85, 16, v89
	ds_store_2addr_b32 v45, v84, v82 offset1:1
	ds_store_2addr_b32 v51, v86, v85 offset1:1
	v_lshrrev_b32_e32 v85, 4, v132
	v_dual_lshlrev_b32 v83, 4, v88 :: v_dual_lshlrev_b32 v90, 11, v88
	v_dual_lshlrev_b32 v82, 18, v88 :: v_dual_lshlrev_b32 v84, 25, v88
	s_delay_alu instid0(VALU_DEP_2) | instskip(NEXT) | instid1(VALU_DEP_3)
	v_dual_lshrrev_b32 v86, 12, v88 :: v_dual_bitop2_b32 v83, 16, v83 bitop3:0x40
	v_and_b32_e32 v89, 0x1000, v90
	s_delay_alu instid0(VALU_DEP_3) | instskip(NEXT) | instid1(VALU_DEP_4)
	v_and_b32_e32 v82, 0x100000, v82
	v_and_b32_e32 v84, 0x10000000, v84
	v_lshlrev_b32_e32 v90, 2, v88
	v_and_b32_e32 v85, 0xf0f0f0f, v85
	v_or3_b32 v83, v83, v87, v89
	v_dual_lshrrev_b32 v89, 5, v88 :: v_dual_bitop2_b32 v86, 16, v86 bitop3:0x40
	v_lshlrev_b32_e32 v88, 9, v88
	v_or3_b32 v82, v87, v82, v84
	v_and_b32_e32 v87, 0x100000, v90
	s_delay_alu instid0(VALU_DEP_4) | instskip(SKIP_3) | instid1(VALU_DEP_4)
	v_and_b32_e32 v89, 0x1000, v89
	v_and_b32_e32 v84, 0x1f00, v83
	;; [unrolled: 1-line block ×3, first 2 shown]
	v_lshlrev_b16 v83, 8, v83
	v_or3_b32 v86, v86, v85, v89
	s_delay_alu instid0(VALU_DEP_4) | instskip(NEXT) | instid1(VALU_DEP_4)
	v_add_nc_u16 v84, 0xf000, v84
	v_or3_b32 v85, v85, v87, v88
	v_lshrrev_b32_e32 v82, 16, v82
	v_add_nc_u16 v83, 0xf000, v83
	v_lshlrev_b16 v87, 8, v86
	s_delay_alu instid0(VALU_DEP_4) | instskip(NEXT) | instid1(VALU_DEP_4)
	v_lshrrev_b32_e32 v85, 16, v85
	v_and_b32_e32 v88, 0x1f00, v82
	v_lshlrev_b16 v82, 8, v82
	s_delay_alu instid0(VALU_DEP_4)
	v_add_nc_u16 v87, 0xf000, v87
	v_perm_b32 v83, v83, v84, 0xc0c0105
	v_and_b32_e32 v84, 0x1f00, v85
	v_add_nc_u16 v88, 0xf000, v88
	v_add_nc_u16 v82, 0xf000, v82
	v_lshrrev_b16 v87, 8, v87
	v_lshlrev_b16 v85, 8, v85
	v_add_nc_u16 v84, 0xf000, v84
	s_delay_alu instid0(VALU_DEP_4) | instskip(SKIP_3) | instid1(VALU_DEP_4)
	v_perm_b32 v82, v82, v88, 0xc0c0105
	v_ashrrev_i32_e32 v88, v4, v138
	v_bitop3_b16 v86, v86, v87, 0x1f00 bitop3:0xec
	v_add_nc_u16 v85, 0xf000, v85
	v_lshl_or_b32 v82, v82, 16, v83
	s_delay_alu instid0(VALU_DEP_4) | instskip(NEXT) | instid1(VALU_DEP_4)
	v_lshlrev_b32_e32 v83, 4, v88
	v_add_nc_u16 v86, 0xf000, v86
	s_delay_alu instid0(VALU_DEP_4) | instskip(SKIP_1) | instid1(VALU_DEP_4)
	v_perm_b32 v84, v85, v84, 0xc0c0105
	v_and_b32_e32 v85, 0xf0f0f0f, v133
	v_dual_lshlrev_b32 v87, 11, v88 :: v_dual_bitop2_b32 v83, 16, v83 bitop3:0x40
	v_dual_lshrrev_b32 v89, 4, v133 :: v_dual_lshrrev_b32 v90, 12, v88
	v_lshrrev_b32_e32 v91, 5, v88
	v_and_b32_e32 v86, 0xffff, v86
	s_delay_alu instid0(VALU_DEP_4) | instskip(NEXT) | instid1(VALU_DEP_4)
	v_and_b32_e32 v87, 0x1000, v87
	v_and_b32_e32 v89, 0xf0f0f0f, v89
	v_dual_lshlrev_b32 v92, 25, v88 :: v_dual_bitop2_b32 v90, 16, v90 bitop3:0x40
	v_lshlrev_b32_e32 v93, 2, v88
	s_delay_alu instid0(VALU_DEP_4) | instskip(SKIP_4) | instid1(VALU_DEP_4)
	v_or3_b32 v83, v83, v85, v87
	v_lshlrev_b32_e32 v87, 18, v88
	v_and_b32_e32 v91, 0x1000, v91
	v_lshlrev_b32_e32 v88, 9, v88
	v_lshl_or_b32 v84, v84, 16, v86
	v_and_b32_e32 v87, 0x100000, v87
	s_delay_alu instid0(VALU_DEP_4)
	v_or3_b32 v90, v90, v89, v91
	v_and_b32_e32 v91, 0x10000000, v92
	v_and_b32_e32 v92, 0x100000, v93
	;; [unrolled: 1-line block ×3, first 2 shown]
	ds_store_2addr_b32 v55, v82, v84 offset1:1
	v_lshlrev_b16 v86, 8, v90
	v_or3_b32 v85, v85, v87, v91
	v_and_b32_e32 v87, 0x1f00, v83
	v_or3_b32 v88, v89, v92, v88
	v_lshlrev_b16 v83, 8, v83
	v_add_nc_u16 v86, 0xf000, v86
	v_lshrrev_b32_e32 v85, 16, v85
	v_add_nc_u16 v87, 0xf000, v87
	v_lshrrev_b32_e32 v88, 16, v88
	v_add_nc_u16 v83, 0xf000, v83
	v_lshrrev_b16 v86, 8, v86
	v_and_b32_e32 v89, 0x1f00, v85
	v_lshlrev_b16 v85, 8, v85
	v_and_b32_e32 v91, 0x1f00, v88
	v_lshlrev_b16 v88, 8, v88
	v_bitop3_b16 v86, v90, v86, 0x1f00 bitop3:0xec
	v_add_nc_u16 v89, 0xf000, v89
	v_add_nc_u16 v85, 0xf000, v85
	;; [unrolled: 1-line block ×5, first 2 shown]
	v_perm_b32 v83, v83, v87, 0xc0c0105
	v_ashrrev_i32_e32 v87, v4, v137
	v_perm_b32 v85, v85, v89, 0xc0c0105
	v_perm_b32 v88, v88, v90, 0xc0c0105
	v_and_b32_e32 v86, 0xffff, v86
	s_delay_alu instid0(VALU_DEP_4) | instskip(NEXT) | instid1(VALU_DEP_4)
	v_lshlrev_b32_e32 v82, 4, v87
	v_lshl_or_b32 v83, v85, 16, v83
	s_delay_alu instid0(VALU_DEP_3) | instskip(SKIP_1) | instid1(VALU_DEP_4)
	v_lshl_or_b32 v85, v88, 16, v86
	v_and_b32_e32 v86, 0xf0f0f0f, v134
	v_dual_lshlrev_b32 v84, 11, v87 :: v_dual_bitop2_b32 v82, 16, v82 bitop3:0x40
	v_dual_lshlrev_b32 v88, 18, v87 :: v_dual_lshlrev_b32 v89, 25, v87
	v_dual_lshrrev_b32 v90, 4, v134 :: v_dual_lshrrev_b32 v91, 12, v87
	s_delay_alu instid0(VALU_DEP_3) | instskip(NEXT) | instid1(VALU_DEP_3)
	v_and_b32_e32 v84, 0x1000, v84
	v_and_b32_e32 v88, 0x100000, v88
	s_delay_alu instid0(VALU_DEP_4)
	v_and_b32_e32 v89, 0x10000000, v89
	v_lshrrev_b32_e32 v92, 5, v87
	v_and_b32_e32 v90, 0xf0f0f0f, v90
	v_or3_b32 v82, v82, v86, v84
	v_dual_lshlrev_b32 v84, 2, v87 :: v_dual_lshlrev_b32 v87, 9, v87
	v_or3_b32 v86, v86, v88, v89
	v_and_b32_e32 v91, 16, v91
	v_and_b32_e32 v92, 0x1000, v92
	s_delay_alu instid0(VALU_DEP_4)
	v_and_b32_e32 v84, 0x100000, v84
	v_and_b32_e32 v87, 0x10000000, v87
	v_lshrrev_b32_e32 v86, 16, v86
	v_and_b32_e32 v89, 0x1f00, v82
	v_or3_b32 v88, v91, v90, v92
	v_lshlrev_b16 v82, 8, v82
	v_or3_b32 v84, v90, v84, v87
	v_and_b32_e32 v87, 0x1f00, v86
	v_lshlrev_b16 v86, 8, v86
	v_lshlrev_b16 v91, 8, v88
	v_add_nc_u16 v89, 0xf000, v89
	v_add_nc_u16 v82, 0xf000, v82
	;; [unrolled: 1-line block ×5, first 2 shown]
	v_lshrrev_b32_e32 v84, 16, v84
	v_perm_b32 v82, v82, v89, 0xc0c0105
	s_delay_alu instid0(VALU_DEP_4)
	v_perm_b32 v86, v86, v87, 0xc0c0105
	v_ashrrev_i32_e32 v87, v4, v136
	v_lshrrev_b16 v90, 8, v90
	v_and_b32_e32 v89, 0x1f00, v84
	v_lshlrev_b16 v84, 8, v84
	v_lshl_or_b32 v82, v86, 16, v82
	v_lshlrev_b32_e32 v86, 4, v87
	v_bitop3_b16 v88, v88, v90, 0x1f00 bitop3:0xec
	v_add_nc_u16 v89, 0xf000, v89
	v_add_nc_u16 v84, 0xf000, v84
	s_delay_alu instid0(VALU_DEP_4)
	v_dual_lshlrev_b32 v90, 11, v87 :: v_dual_bitop2_b32 v86, 16, v86 bitop3:0x40
	v_dual_lshlrev_b32 v91, 18, v87 :: v_dual_lshlrev_b32 v92, 25, v87
	v_dual_lshrrev_b32 v94, 12, v87 :: v_dual_lshrrev_b32 v95, 5, v87
	v_lshrrev_b32_e32 v93, 4, v135
	v_perm_b32 v84, v84, v89, 0xc0c0105
	v_and_b32_e32 v89, 0xf0f0f0f, v135
	v_and_b32_e32 v90, 0x1000, v90
	;; [unrolled: 1-line block ×7, first 2 shown]
	v_or3_b32 v86, v86, v89, v90
	v_dual_lshlrev_b32 v90, 2, v87 :: v_dual_lshlrev_b32 v87, 9, v87
	v_or3_b32 v89, v89, v91, v92
	s_delay_alu instid0(VALU_DEP_4) | instskip(NEXT) | instid1(VALU_DEP_4)
	v_or3_b32 v91, v94, v93, v95
	v_and_b32_e32 v92, 0x1f00, v86
	s_delay_alu instid0(VALU_DEP_4)
	v_and_b32_e32 v90, 0x100000, v90
	v_and_b32_e32 v87, 0x10000000, v87
	v_lshlrev_b16 v86, 8, v86
	v_lshlrev_b16 v94, 8, v91
	v_add_nc_u16 v88, 0xf000, v88
	v_add_nc_u16 v92, 0xf000, v92
	v_or3_b32 v87, v93, v90, v87
	v_lshrrev_b32_e32 v89, 16, v89
	v_add_nc_u16 v90, 0xf000, v94
	v_add_nc_u16 v86, 0xf000, v86
	v_and_b32_e32 v88, 0xffff, v88
	v_lshrrev_b32_e32 v87, 16, v87
	s_delay_alu instid0(VALU_DEP_4) | instskip(NEXT) | instid1(VALU_DEP_4)
	v_lshrrev_b16 v90, 8, v90
	v_perm_b32 v86, v86, v92, 0xc0c0105
	s_delay_alu instid0(VALU_DEP_4) | instskip(NEXT) | instid1(VALU_DEP_4)
	v_lshl_or_b32 v84, v84, 16, v88
	v_and_b32_e32 v92, 0x1f00, v87
	v_lshlrev_b16 v87, 8, v87
	v_bitop3_b16 v90, v91, v90, 0x1f00 bitop3:0xec
	v_and_b32_e32 v88, 0x1f00, v89
	v_lshlrev_b16 v89, 8, v89
	v_add_nc_u16 v91, 0xf000, v92
	v_add_nc_u16 v87, 0xf000, v87
	;; [unrolled: 1-line block ×5, first 2 shown]
	ds_store_2addr_b32 v57, v83, v85 offset1:1
	ds_store_2addr_b32 v59, v82, v84 offset1:1
	v_perm_b32 v87, v87, v91, 0xc0c0105
	v_and_b32_e32 v90, 0xffff, v90
	v_and_b32_e32 v91, 0xf0f0f0f, v140
	v_perm_b32 v88, v89, v88, 0xc0c0105
	s_delay_alu instid0(VALU_DEP_3) | instskip(SKIP_2) | instid1(VALU_DEP_4)
	v_lshl_or_b32 v83, v87, 16, v90
	v_dual_lshrrev_b32 v87, 4, v140 :: v_dual_lshlrev_b32 v89, 4, v81
	v_lshlrev_b32_e32 v92, 11, v81
	v_lshl_or_b32 v82, v88, 16, v86
	v_dual_lshrrev_b32 v88, 12, v81 :: v_dual_lshlrev_b32 v85, 18, v81
	v_lshlrev_b32_e32 v86, 25, v81
	v_and_b32_e32 v89, 16, v89
	v_and_b32_e32 v92, 0x1000, v92
	;; [unrolled: 1-line block ×5, first 2 shown]
	v_lshlrev_b32_e32 v90, 2, v81
	v_or3_b32 v84, v89, v91, v92
	v_dual_lshrrev_b32 v89, 5, v81 :: v_dual_bitop2_b32 v88, 16, v88 bitop3:0x40
	v_lshlrev_b32_e32 v81, 9, v81
	v_or3_b32 v85, v91, v85, v86
	s_delay_alu instid0(VALU_DEP_4) | instskip(NEXT) | instid1(VALU_DEP_4)
	v_and_b32_e32 v86, 0x1f00, v84
	v_and_b32_e32 v89, 0x1000, v89
	v_lshlrev_b16 v84, 8, v84
	v_and_b32_e32 v81, 0x10000000, v81
	v_and_b32_e32 v91, 0xf0f0f0f, v141
	v_add_nc_u16 v86, 0xf000, v86
	v_or3_b32 v88, v88, v87, v89
	v_and_b32_e32 v89, 0x100000, v90
	v_add_nc_u16 v84, 0xf000, v84
	ds_store_2addr_b32 v61, v82, v83 offset1:1
	v_lshlrev_b16 v90, 8, v88
	v_or3_b32 v81, v87, v89, v81
	v_perm_b32 v84, v84, v86, 0xc0c0105
	s_delay_alu instid0(VALU_DEP_3) | instskip(SKIP_1) | instid1(VALU_DEP_1)
	v_add_nc_u16 v89, 0xf000, v90
	v_dual_ashrrev_i32 v90, v4, v146 :: v_dual_lshrrev_b32 v85, 16, v85
	v_dual_lshlrev_b32 v92, 18, v90 :: v_dual_lshlrev_b32 v93, 25, v90
	s_delay_alu instid0(VALU_DEP_2) | instskip(SKIP_1) | instid1(VALU_DEP_2)
	v_and_b32_e32 v87, 0x1f00, v85
	v_lshlrev_b16 v85, 8, v85
	v_add_nc_u16 v86, 0xf000, v87
	v_lshrrev_b16 v87, 8, v89
	s_delay_alu instid0(VALU_DEP_3) | instskip(NEXT) | instid1(VALU_DEP_2)
	v_add_nc_u16 v85, 0xf000, v85
	v_bitop3_b16 v87, v88, v87, 0x1f00 bitop3:0xec
	v_dual_lshlrev_b32 v88, 4, v90 :: v_dual_lshrrev_b32 v81, 16, v81
	s_delay_alu instid0(VALU_DEP_3) | instskip(NEXT) | instid1(VALU_DEP_3)
	v_perm_b32 v85, v85, v86, 0xc0c0105
	v_add_nc_u16 v87, 0xf000, v87
	s_delay_alu instid0(VALU_DEP_3) | instskip(NEXT) | instid1(VALU_DEP_4)
	v_and_b32_e32 v88, 16, v88
	v_and_b32_e32 v89, 0x1f00, v81
	v_lshlrev_b16 v81, 8, v81
	v_lshl_or_b32 v82, v85, 16, v84
	s_delay_alu instid0(VALU_DEP_3) | instskip(SKIP_1) | instid1(VALU_DEP_4)
	v_add_nc_u16 v86, 0xf000, v89
	v_lshlrev_b32_e32 v89, 11, v90
	v_add_nc_u16 v81, 0xf000, v81
	s_delay_alu instid0(VALU_DEP_2) | instskip(NEXT) | instid1(VALU_DEP_2)
	v_and_b32_e32 v89, 0x1000, v89
	v_perm_b32 v81, v81, v86, 0xc0c0105
	v_and_b32_e32 v86, 0xffff, v87
	v_and_b32_e32 v87, 0x100000, v92
	;; [unrolled: 1-line block ×3, first 2 shown]
	v_or3_b32 v88, v88, v91, v89
	v_lshrrev_b32_e32 v89, 12, v90
	v_lshl_or_b32 v81, v81, 16, v86
	v_lshrrev_b32_e32 v86, 4, v141
	v_or3_b32 v83, v91, v87, v92
	v_and_b32_e32 v84, 0x1f00, v88
	v_lshlrev_b16 v85, 8, v88
	v_dual_lshlrev_b32 v87, 2, v90 :: v_dual_lshlrev_b32 v88, 9, v90
	v_dual_lshrrev_b32 v90, 5, v90 :: v_dual_bitop2_b32 v89, 16, v89 bitop3:0x40
	v_and_b32_e32 v86, 0xf0f0f0f, v86
	s_delay_alu instid0(VALU_DEP_3) | instskip(NEXT) | instid1(VALU_DEP_4)
	v_and_b32_e32 v87, 0x100000, v87
	v_and_b32_e32 v88, 0x10000000, v88
	s_delay_alu instid0(VALU_DEP_4)
	v_and_b32_e32 v90, 0x1000, v90
	v_lshrrev_b32_e32 v83, 16, v83
	v_add_nc_u16 v84, 0xf000, v84
	v_add_nc_u16 v85, 0xf000, v85
	v_or3_b32 v87, v86, v87, v88
	v_or3_b32 v86, v89, v86, v90
	v_ashrrev_i32_e32 v90, v4, v145
	v_and_b32_e32 v88, 0x1f00, v83
	v_lshlrev_b16 v83, 8, v83
	v_lshrrev_b32_e32 v87, 16, v87
	v_perm_b32 v84, v85, v84, 0xc0c0105
	v_lshlrev_b16 v85, 8, v86
	v_add_nc_u16 v88, 0xf000, v88
	v_add_nc_u16 v83, 0xf000, v83
	v_and_b32_e32 v89, 0x1f00, v87
	v_dual_lshlrev_b32 v91, 25, v90 :: v_dual_lshlrev_b32 v93, 4, v90
	v_add_nc_u16 v85, 0xf000, v85
	s_delay_alu instid0(VALU_DEP_4) | instskip(NEXT) | instid1(VALU_DEP_4)
	v_perm_b32 v83, v83, v88, 0xc0c0105
	v_add_nc_u16 v88, 0xf000, v89
	v_lshlrev_b32_e32 v89, 18, v90
	v_lshlrev_b16 v87, 8, v87
	v_lshrrev_b16 v85, 8, v85
	v_lshlrev_b32_e32 v94, 11, v90
	v_and_b32_e32 v92, 0xf0f0f0f, v142
	v_and_b32_e32 v89, 0x100000, v89
	v_add_nc_u16 v87, 0xf000, v87
	v_and_b32_e32 v91, 0x10000000, v91
	v_bitop3_b16 v85, v86, v85, 0x1f00 bitop3:0xec
	v_and_b32_e32 v86, 16, v93
	v_and_b32_e32 v93, 0x1000, v94
	v_lshl_or_b32 v83, v83, 16, v84
	v_or3_b32 v84, v92, v89, v91
	v_perm_b32 v87, v87, v88, 0xc0c0105
	v_lshrrev_b32_e32 v88, 4, v142
	v_or3_b32 v86, v86, v92, v93
	v_dual_lshlrev_b32 v89, 2, v90 :: v_dual_lshlrev_b32 v91, 9, v90
	v_dual_lshrrev_b32 v93, 12, v90 :: v_dual_lshrrev_b32 v90, 5, v90
	v_lshrrev_b32_e32 v84, 16, v84
	s_delay_alu instid0(VALU_DEP_4)
	v_and_b32_e32 v92, 0x1f00, v86
	v_and_b32_e32 v88, 0xf0f0f0f, v88
	;; [unrolled: 1-line block ×4, first 2 shown]
	v_lshlrev_b16 v86, 8, v86
	v_and_b32_e32 v93, 16, v93
	v_and_b32_e32 v90, 0x1000, v90
	v_add_nc_u16 v92, 0xf000, v92
	v_or3_b32 v89, v88, v89, v91
	v_add_nc_u16 v86, 0xf000, v86
	v_and_b32_e32 v91, 0x1f00, v84
	v_or3_b32 v88, v93, v88, v90
	v_lshlrev_b16 v84, 8, v84
	v_dual_lshrrev_b32 v89, 16, v89 :: v_dual_ashrrev_i32 v93, v4, v144
	v_perm_b32 v86, v86, v92, 0xc0c0105
	s_delay_alu instid0(VALU_DEP_4) | instskip(SKIP_1) | instid1(VALU_DEP_4)
	v_lshlrev_b16 v92, 8, v88
	v_add_nc_u16 v90, 0xf000, v91
	v_and_b32_e32 v91, 0x1f00, v89
	v_lshlrev_b16 v89, 8, v89
	v_add_nc_u16 v84, 0xf000, v84
	v_add_nc_u16 v92, 0xf000, v92
	v_lshlrev_b32_e32 v94, 11, v93
	v_add_nc_u16 v91, 0xf000, v91
	v_add_nc_u16 v89, 0xf000, v89
	v_perm_b32 v84, v84, v90, 0xc0c0105
	v_lshlrev_b32_e32 v90, 4, v93
	v_lshrrev_b16 v92, 8, v92
	v_and_b32_e32 v94, 0x1000, v94
	v_perm_b32 v89, v89, v91, 0xc0c0105
	v_and_b32_e32 v91, 0xf0f0f0f, v143
	v_dual_lshrrev_b32 v95, 12, v93 :: v_dual_bitop2_b32 v90, 16, v90 bitop3:0x40
	v_bitop3_b16 v88, v88, v92, 0x1f00 bitop3:0xec
	v_dual_lshrrev_b32 v92, 4, v143 :: v_dual_lshrrev_b32 v96, 5, v93
	s_delay_alu instid0(VALU_DEP_3) | instskip(NEXT) | instid1(VALU_DEP_4)
	v_or3_b32 v90, v90, v91, v94
	v_dual_lshlrev_b32 v94, 18, v93 :: v_dual_bitop2_b32 v95, 16, v95 bitop3:0x40
	v_lshlrev_b32_e32 v97, 25, v93
	s_delay_alu instid0(VALU_DEP_4) | instskip(SKIP_4) | instid1(VALU_DEP_4)
	v_and_b32_e32 v92, 0xf0f0f0f, v92
	v_and_b32_e32 v96, 0x1000, v96
	v_dual_lshlrev_b32 v98, 2, v93 :: v_dual_lshlrev_b32 v93, 9, v93
	v_and_b32_e32 v94, 0x100000, v94
	v_add_nc_u16 v85, 0xf000, v85
	v_or3_b32 v95, v95, v92, v96
	v_and_b32_e32 v96, 0x10000000, v97
	v_and_b32_e32 v97, 0x100000, v98
	;; [unrolled: 1-line block ×3, first 2 shown]
	v_add_nc_u16 v88, 0xf000, v88
	v_lshlrev_b16 v98, 8, v95
	v_or3_b32 v91, v91, v94, v96
	v_and_b32_e32 v94, 0x1f00, v90
	v_or3_b32 v92, v92, v97, v93
	v_lshlrev_b16 v90, 8, v90
	v_add_nc_u16 v93, 0xf000, v98
	v_lshrrev_b32_e32 v91, 16, v91
	v_add_nc_u16 v94, 0xf000, v94
	v_lshrrev_b32_e32 v92, 16, v92
	v_add_nc_u16 v90, 0xf000, v90
	v_lshrrev_b16 v93, 8, v93
	v_and_b32_e32 v96, 0x1f00, v91
	v_lshlrev_b16 v91, 8, v91
	v_and_b32_e32 v97, 0x1f00, v92
	v_lshlrev_b16 v92, 8, v92
	v_bitop3_b16 v93, v95, v93, 0x1f00 bitop3:0xec
	v_add_nc_u16 v95, 0xf000, v96
	v_add_nc_u16 v91, 0xf000, v91
	;; [unrolled: 1-line block ×5, first 2 shown]
	v_and_b32_e32 v85, 0xffff, v85
	v_and_b32_e32 v88, 0xffff, v88
	v_perm_b32 v90, v90, v94, 0xc0c0105
	v_perm_b32 v91, v91, v95, 0xc0c0105
	;; [unrolled: 1-line block ×3, first 2 shown]
	v_and_b32_e32 v93, 0xffff, v93
	v_lshl_or_b32 v85, v87, 16, v85
	v_lshl_or_b32 v84, v84, 16, v86
	;; [unrolled: 1-line block ×5, first 2 shown]
	ds_store_2addr_b32 v63, v82, v81 offset1:1
	ds_store_2addr_b32 v198, v83, v85 offset1:1
	;; [unrolled: 1-line block ×4, first 2 shown]
	ds_store_b32 v43, v80
	s_cbranch_scc0 .LBB142_5
; %bb.7:                                ;   in Loop: Header=BB142_6 Depth=1
	v_dual_add_nc_u32 v231, s10, v33 :: v_dual_add_nc_u32 v82, s10, v19
	v_dual_mov_b32 v235, v226 :: v_dual_mov_b32 v237, v222
	s_mov_b32 s4, -4
	s_delay_alu instid0(VALU_DEP_2) | instskip(SKIP_2) | instid1(VALU_DEP_3)
	v_dual_mov_b32 v232, v219 :: v_dual_add_nc_u32 v80, v82, v202
	v_dual_mov_b32 v233, v228 :: v_dual_mov_b32 v234, v229
	v_dual_mov_b32 v236, v224 :: v_dual_mov_b32 v238, v220
	v_mad_nc_i64_i32 v[80:81], v80, 36, v[0:1]
	global_load_b32 v80, v[80:81], off offset:4
	s_wait_loadcnt 0x0
	ds_store_b32 v218, v80
	v_add_nc_u32_e32 v80, v82, v203
	s_delay_alu instid0(VALU_DEP_1) | instskip(SKIP_4) | instid1(VALU_DEP_1)
	v_mad_nc_i64_i32 v[80:81], v80, 36, v[0:1]
	global_load_b32 v80, v[80:81], off offset:4
	s_wait_loadcnt 0x0
	ds_store_b32 v211, v80
	v_add_nc_u32_e32 v80, v82, v204
	v_mad_nc_i64_i32 v[80:81], v80, 36, v[0:1]
	global_load_b32 v80, v[80:81], off offset:4
	s_wait_loadcnt 0x0
	ds_store_b32 v212, v80
	v_add_nc_u32_e32 v80, v82, v205
	s_delay_alu instid0(VALU_DEP_1) | instskip(SKIP_4) | instid1(VALU_DEP_1)
	v_mad_nc_i64_i32 v[80:81], v80, 36, v[0:1]
	global_load_b32 v80, v[80:81], off offset:4
	s_wait_loadcnt 0x0
	ds_store_b32 v213, v80
	v_add_nc_u32_e32 v80, v82, v206
	;; [unrolled: 11-line block ×3, first 2 shown]
	v_mad_nc_i64_i32 v[80:81], v80, 36, v[0:1]
	global_load_b32 v80, v[80:81], off offset:4
	s_wait_loadcnt 0x0
	ds_store_b32 v216, v80
	v_add_nc_u32_e32 v80, v82, v209
	s_delay_alu instid0(VALU_DEP_1)
	v_mad_nc_i64_i32 v[80:81], v80, 36, v[0:1]
	global_load_b32 v80, v[80:81], off offset:4
	s_wait_loadcnt 0x0
	ds_store_b32 v217, v80
	v_mad_nc_u64_u32 v[80:81], v231, 36, s[2:3]
	global_load_b32 v80, v[80:81], off
	s_wait_loadcnt 0x0
	v_cvt_f32_f16_e32 v80, v80
	ds_store_b32 v201, v80
	s_wait_dscnt 0x0
	s_barrier_signal -1
	s_barrier_wait -1
.LBB142_8:                              ;   Parent Loop BB142_6 Depth=1
                                        ; =>  This Inner Loop Header: Depth=2
	ds_load_2addr_b32 v[86:87], v234 offset1:32
	ds_load_2addr_b32 v[80:81], v233 offset1:1
	ds_load_2addr_b32 v[82:83], v233 offset0:2 offset1:3
	ds_load_2addr_b32 v[92:93], v233 offset0:4 offset1:5
	;; [unrolled: 1-line block ×3, first 2 shown]
	ds_load_b32 v90, v235
	ds_load_b32 v84, v236
	;; [unrolled: 1-line block ×4, first 2 shown]
	ds_load_2addr_b32 v[98:99], v234 offset0:64 offset1:96
	ds_load_2addr_b32 v[130:131], v234 offset0:128 offset1:160
	;; [unrolled: 1-line block ×6, first 2 shown]
	ds_load_2addr_b32 v[168:169], v232 offset1:7
	v_add_nc_u32_e32 v97, 0x2080, v233
	v_add_nc_u32_e32 v91, 0x4108, v233
	;; [unrolled: 1-line block ×39, first 2 shown]
	ds_load_2addr_b32 v[106:107], v97 offset1:1
	ds_load_2addr_b32 v[254:255], v100 offset1:1
	;; [unrolled: 1-line block ×16, first 2 shown]
	s_set_vgpr_msb 64                       ;  msbs: dst=1 src0=0 src1=0 src2=0
	ds_load_2addr_b32 v[0:1] /*v[256:257]*/, v91 offset1:1
	s_set_vgpr_msb 0                        ;  msbs: dst=0 src0=0 src1=0 src2=0
	ds_load_2addr_b32 v[182:183], v95 offset1:1
	ds_load_2addr_b32 v[162:163], v116 offset1:1
	;; [unrolled: 1-line block ×3, first 2 shown]
	s_set_vgpr_msb 64                       ;  msbs: dst=1 src0=0 src1=0 src2=0
	ds_load_2addr_b32 v[2:3] /*v[258:259]*/, v120 offset1:1
	s_set_vgpr_msb 0                        ;  msbs: dst=0 src0=0 src1=0 src2=0
	ds_load_2addr_b32 v[184:185], v121 offset1:1
	ds_load_2addr_b32 v[166:167], v122 offset1:1
	;; [unrolled: 1-line block ×18, first 2 shown]
	s_wait_dscnt 0x31
	v_pk_mul_f32 v[102:103], v[90:91], v[86:87] op_sel_hi:[0,1]
	s_wait_dscnt 0x2f
	v_pk_mul_f32 v[100:101], v[94:95], v[86:87] op_sel_hi:[0,1]
	;; [unrolled: 2-line block ×3, first 2 shown]
	v_mov_b32_e32 v85, v90
	s_wait_dscnt 0x2c
	s_set_vgpr_msb 64                       ;  msbs: dst=1 src0=0 src1=0 src2=0
	v_dual_mov_b32 v5 /*v261*/, v87 :: v_dual_mov_b32 v6 /*v262*/, v131
	s_wait_dscnt 0x2b
	s_set_vgpr_msb 0                        ;  msbs: dst=0 src0=0 src1=0 src2=0
	v_mov_b32_e32 v87, v133
	v_add_nc_u32_e32 v239, 0x1800, v232
	v_add_nc_u32_e32 v232, 32, v232
	s_set_vgpr_msb 64                       ;  msbs: dst=1 src0=0 src1=0 src2=0
	v_dual_ashrrev_i32 v10 /*v266*/, 24, v81 :: v_dual_mov_b32 v4 /*v260*/, v132
	s_set_vgpr_msb 0                        ;  msbs: dst=0 src0=0 src1=0 src2=0
	v_mov_b32_e32 v91, v84
	s_set_vgpr_msb 64                       ;  msbs: dst=1 src0=0 src1=0 src2=0
	v_dual_mov_b32 v7 /*v263*/, v98 :: v_dual_mov_b32 v8 /*v264*/, v130
	s_set_vgpr_msb 0                        ;  msbs: dst=0 src0=0 src1=0 src2=0
	v_pk_mul_f32 v[110:111], v[94:95], v[130:131] op_sel_hi:[0,1]
	v_pk_mul_f32 v[116:117], v[94:95], v[132:133] op_sel_hi:[0,1]
	s_wait_dscnt 0x2a
	v_lshlrev_b32_e32 v95, 8, v181
	s_wait_dscnt 0x29
	s_set_vgpr_msb 64                       ;  msbs: dst=1 src0=0 src1=0 src2=0
	v_dual_lshlrev_b32 v22 /*v278*/, 8, v176 :: v_dual_lshlrev_b32 v23 /*v279*/, 16, v177
	v_dual_lshlrev_b32 v24 /*v280*/, 8, v177 :: v_dual_lshlrev_b32 v25 /*v281*/, 16, v176
	s_wait_dscnt 0x26
	v_dual_lshlrev_b32 v37 /*v293*/, 8, v169 :: v_dual_ashrrev_i32 v39 /*v295*/, 24, v107
	s_wait_dscnt 0x22
	v_dual_ashrrev_i32 v41 /*v297*/, 24, v147 :: v_dual_lshlrev_b32 v48 /*v304*/, 16, v147
	s_set_vgpr_msb 0                        ;  msbs: dst=0 src0=0 src1=0 src2=0
	v_pk_mul_f32 v[86:87], v[86:87], v[84:85]
	v_mov_b32_e32 v85, v94
	v_bfe_i32 v253, v81, 0, 8
	s_set_vgpr_msb 64                       ;  msbs: dst=1 src0=0 src1=0 src2=0
	v_dual_mov_b32 v9 /*v265*/, v99 :: v_dual_lshlrev_b32 v15 /*v271*/, 16, v180
	v_perm_b32 v27 /*v283*/, v92, v92, 0xc0c0100
	v_perm_b32 v28 /*v284*/, v92, v83, 0x7020100
	;; [unrolled: 1-line block ×6, first 2 shown]
	s_set_vgpr_msb 0                        ;  msbs: dst=0 src0=0 src1=0 src2=0
	v_perm_b32 v251, v93, v93, 0xc0c0100
	v_perm_b32 v250, v88, v93, 0x7020100
	;; [unrolled: 1-line block ×4, first 2 shown]
	s_set_vgpr_msb 64                       ;  msbs: dst=1 src0=0 src1=0 src2=0
	v_bfe_i32 v38 /*v294*/, v107, 0, 8
	v_bfe_i32 v40 /*v296*/, v147, 0, 8
	s_wait_dscnt 0xd
	v_dual_ashrrev_i32 v45 /*v301*/, 24, v151 :: v_dual_ashrrev_i32 v54 /*v310*/, 24, v145
	s_set_vgpr_msb 4                        ;  msbs: dst=0 src0=0 src1=1 src2=0
	v_pk_mul_f32 v[92:93], v[90:91], v[4:5] /*v[260:261]*/
	s_set_vgpr_msb 64                       ;  msbs: dst=1 src0=0 src1=0 src2=0
	v_dual_ashrrev_i32 v5 /*v261*/, 24, v135 :: v_dual_lshlrev_b32 v59 /*v315*/, 16, v141
	v_dual_ashrrev_i32 v46 /*v302*/, 24, v115 :: v_dual_lshlrev_b32 v60 /*v316*/, 8, v141
	;; [unrolled: 1-line block ×3, first 2 shown]
	v_perm_b32 v74 /*v330*/, v181, v95, 0x7030c04
	s_set_vgpr_msb 0x44                     ;  msbs: dst=1 src0=0 src1=1 src2=0
	v_perm_b32 v22 /*v278*/, v176, v22 /*v278*/, 0x7030c04
	s_set_vgpr_msb 4                        ;  msbs: dst=0 src0=0 src1=1 src2=0
	v_perm_b32 v176, v177, v24 /*v280*/, 0xc0c0703
	v_pk_mul_f32 v[94:95], v[84:85], v[6:7] /*v[262:263]*/
	s_set_vgpr_msb 0x45                     ;  msbs: dst=1 src0=1 src1=1 src2=0
	v_mul_i32_i24_e32 v6 /*v262*/, v41 /*v297*/, v39 /*v295*/
	v_mul_i32_i24_e32 v24 /*v280*/, v41 /*v297*/, v10 /*v266*/
	s_set_vgpr_msb 0                        ;  msbs: dst=0 src0=0 src1=0 src2=0
	v_pk_mul_f32 v[112:113], v[96:97], v[130:131] op_sel_hi:[0,1]
	v_perm_b32 v247, v89, v88, 0x7020100
	s_set_vgpr_msb 64                       ;  msbs: dst=1 src0=0 src1=0 src2=0
	v_perm_b32 v33 /*v289*/, v88, v88, 0xc0c0201
	v_perm_b32 v34 /*v290*/, v89, v89, 0x4030c0c
	s_set_vgpr_msb 0                        ;  msbs: dst=0 src0=0 src1=0 src2=0
	v_perm_b32 v246, v88, v88, 0xc0c0100
	v_perm_b32 v245, v89, v89, 0xc0c0100
	s_set_vgpr_msb 64                       ;  msbs: dst=1 src0=0 src1=0 src2=0
	v_perm_b32 v35 /*v291*/, v80, v89, 0x504020c
	v_perm_b32 v36 /*v292*/, v89, v89, 0xc0c0c01
	s_set_vgpr_msb 0                        ;  msbs: dst=0 src0=0 src1=0 src2=0
	v_perm_b32 v244, v88, v88, 0xc0c0302
	v_bfe_i32 v243, v89, 16, 8
	v_bfe_i32 v242, v89, 0, 8
	v_perm_b32 v240, v89, v89, 0xc070601
	s_set_vgpr_msb 64                       ;  msbs: dst=1 src0=0 src1=0 src2=0
	v_bfe_i32 v44 /*v300*/, v151, 0, 8
	s_set_vgpr_msb 0                        ;  msbs: dst=0 src0=0 src1=0 src2=0
	v_pk_mul_f32 v[88:89], v[90:91], v[130:131] op_sel_hi:[0,1]
	s_set_vgpr_msb 64                       ;  msbs: dst=1 src0=0 src1=0 src2=0
	v_bfe_i32 v4 /*v260*/, v135, 0, 8
	v_dual_lshlrev_b32 v49 /*v305*/, 8, v147 :: v_dual_lshlrev_b32 v62 /*v318*/, 8, v145
	s_set_vgpr_msb 4                        ;  msbs: dst=0 src0=0 src1=1 src2=0
	v_pk_mul_f32 v[130:131], v[84:85], v[8:9] /*v[264:265]*/
	s_set_vgpr_msb 0x55                     ;  msbs: dst=1 src0=1 src1=1 src2=1
	v_mad_i32_i24 v6 /*v262*/, v40 /*v296*/, v38 /*v294*/, v6 /*v262*/
	v_mul_i32_i24_e32 v8 /*v264*/, v41 /*v297*/, v46 /*v302*/
	v_mul_i32_i24_e32 v9 /*v265*/, v41 /*v297*/, v47 /*v303*/
	s_set_vgpr_msb 0x51                     ;  msbs: dst=1 src0=1 src1=0 src2=1
	v_mad_i32_i24 v24 /*v280*/, v40 /*v296*/, v253, v24 /*v280*/
	s_set_vgpr_msb 0x45                     ;  msbs: dst=1 src0=1 src1=1 src2=0
	v_mul_i32_i24_e32 v40 /*v296*/, v45 /*v301*/, v10 /*v266*/
	v_mul_i32_i24_e32 v41 /*v297*/, v5 /*v261*/, v10 /*v266*/
	s_set_vgpr_msb 0x51                     ;  msbs: dst=1 src0=1 src1=0 src2=1
	v_dual_ashrrev_i32 v52 /*v308*/, 24, v139 :: v_dual_lshlrev_b32 v55 /*v311*/, 16, v139
	v_dual_lshlrev_b32 v56 /*v312*/, 8, v139 :: v_dual_lshlrev_b32 v69 /*v325*/, 16, v188
	v_mad_i32_i24 v40 /*v296*/, v44 /*v300*/, v253, v40 /*v296*/
	s_set_vgpr_msb 17                       ;  msbs: dst=0 src0=1 src1=0 src2=1
	v_mad_i32_i24 v253, v4 /*v260*/, v253, v41 /*v297*/
	v_perm_b32 v147, v48 /*v304*/, v147, 0xc0c0700
	s_set_vgpr_msb 0x44                     ;  msbs: dst=1 src0=0 src1=1 src2=0
	v_perm_b32 v4 /*v260*/, v188, v49 /*v305*/, 0x7030c0c
	s_set_vgpr_msb 0                        ;  msbs: dst=0 src0=0 src1=0 src2=0
	v_pk_mul_f32 v[108:109], v[96:97], v[98:99] op_sel_hi:[0,1]
	v_pk_mul_f32 v[96:97], v[96:97], v[132:133] op_sel_hi:[0,1]
	;; [unrolled: 1-line block ×3, first 2 shown]
	s_set_vgpr_msb 0x41                     ;  msbs: dst=1 src0=1 src1=0 src2=0
	v_perm_b32 v50 /*v306*/, v0 /*v256*/, v115, 0x7020100
	v_perm_b32 v51 /*v307*/, v2 /*v258*/, v119, 0x7020100
	v_dual_lshlrev_b32 v57 /*v313*/, 16, v143 :: v_dual_lshlrev_b32 v58 /*v314*/, 8, v143
	s_set_vgpr_msb 0                        ;  msbs: dst=0 src0=0 src1=0 src2=0
	v_pk_mul_f32 v[98:99], v[84:85], v[98:99] op_sel_hi:[0,1]
	v_pk_mul_f32 v[84:85], v[84:85], v[132:133] op_sel_hi:[0,1]
	s_wait_dscnt 0x7
	s_set_vgpr_msb 1                        ;  msbs: dst=0 src0=1 src1=0 src2=0
	v_dual_lshlrev_b32 v132, 8, v194 :: v_dual_bitop2_b32 v147, v4 /*v260*/, v147 bitop3:0x54
	s_set_vgpr_msb 0x41                     ;  msbs: dst=1 src0=1 src1=0 src2=0
	v_perm_b32 v44 /*v300*/, v55 /*v311*/, v139, 0xc0c0700
	s_set_vgpr_msb 0x44                     ;  msbs: dst=1 src0=0 src1=1 src2=0
	v_perm_b32 v4 /*v260*/, v192, v56 /*v312*/, 0x7030c0c
	s_set_vgpr_msb 64                       ;  msbs: dst=1 src0=0 src1=0 src2=0
	v_dual_ashrrev_i32 v43 /*v299*/, 24, v143 :: v_dual_ashrrev_i32 v53 /*v309*/, 24, v141
	s_set_vgpr_msb 0x54                     ;  msbs: dst=1 src0=0 src1=1 src2=1
	v_dot4_i32_iu8 v8 /*v264*/, v147, v50 /*v306*/, v8 /*v264*/ neg_lo:[1,1,0]
	s_set_vgpr_msb 0x41                     ;  msbs: dst=1 src0=1 src1=0 src2=0
	v_perm_b32 v45 /*v301*/, v57 /*v313*/, v143, 0xc0c0700
	s_set_vgpr_msb 20                       ;  msbs: dst=0 src0=0 src1=1 src2=1
	v_dot4_i32_iu8 v147, v147, v51 /*v307*/, v9 /*v265*/ neg_lo:[1,1,0]
	s_set_vgpr_msb 0x44                     ;  msbs: dst=1 src0=0 src1=1 src2=0
	v_perm_b32 v9 /*v265*/, v186, v58 /*v314*/, 0x7030c0c
	s_set_vgpr_msb 0x41                     ;  msbs: dst=1 src0=1 src1=0 src2=0
	v_perm_b32 v46 /*v302*/, v59 /*v315*/, v141, 0xc0c0700
	s_set_vgpr_msb 0x45                     ;  msbs: dst=1 src0=1 src1=1 src2=0
	v_or_b32_e32 v4 /*v260*/, v4 /*v260*/, v44 /*v300*/
	s_set_vgpr_msb 0x44                     ;  msbs: dst=1 src0=0 src1=1 src2=0
	v_perm_b32 v44 /*v300*/, v190, v60 /*v316*/, 0x7030c0c
	v_bfe_i32 v42 /*v298*/, v143, 0, 8
	s_set_vgpr_msb 5                        ;  msbs: dst=0 src0=1 src1=1 src2=0
	v_mul_i32_i24_e32 v133, v43 /*v299*/, v39 /*v295*/
	s_set_vgpr_msb 0x45                     ;  msbs: dst=1 src0=1 src1=1 src2=0
	v_or_b32_e32 v9 /*v265*/, v9 /*v265*/, v45 /*v301*/
	s_set_vgpr_msb 0x41                     ;  msbs: dst=1 src0=1 src1=0 src2=0
	v_perm_b32 v45 /*v301*/, v61 /*v317*/, v145, 0xc0c0700
	s_set_vgpr_msb 0x45                     ;  msbs: dst=1 src0=1 src1=1 src2=0
	v_or_b32_e32 v44 /*v300*/, v44 /*v300*/, v46 /*v302*/
	s_set_vgpr_msb 0x44                     ;  msbs: dst=1 src0=0 src1=1 src2=0
	v_perm_b32 v46 /*v302*/, v194, v62 /*v318*/, 0x7030c0c
	s_set_vgpr_msb 64                       ;  msbs: dst=1 src0=0 src1=0 src2=0
	v_perm_b32 v11 /*v267*/, v82, v81, 0x7020100
	v_dual_lshlrev_b32 v63 /*v319*/, 8, v151 :: v_dual_lshlrev_b32 v64 /*v320*/, 16, v151
	s_set_vgpr_msb 5                        ;  msbs: dst=0 src0=1 src1=1 src2=0
	v_mad_i32_i24 v133, v42 /*v298*/, v38 /*v294*/, v133
	s_set_vgpr_msb 0x45                     ;  msbs: dst=1 src0=1 src1=1 src2=0
	v_mul_i32_i24_e32 v41 /*v297*/, v52 /*v308*/, v10 /*v266*/
	v_mul_i32_i24_e32 v42 /*v298*/, v43 /*v299*/, v10 /*v266*/
	;; [unrolled: 1-line block ×4, first 2 shown]
	v_or_b32_e32 v45 /*v301*/, v46 /*v302*/, v45 /*v301*/
	s_set_vgpr_msb 0x44                     ;  msbs: dst=1 src0=0 src1=1 src2=0
	v_perm_b32 v47 /*v303*/, v188, v49 /*v305*/, 0x407030c
	s_set_vgpr_msb 0x45                     ;  msbs: dst=1 src0=1 src1=1 src2=0
	v_perm_b32 v48 /*v304*/, v48 /*v304*/, v48 /*v304*/, 0xc0c0c03
	s_set_vgpr_msb 64                       ;  msbs: dst=1 src0=0 src1=0 src2=0
	v_dual_lshlrev_b32 v65 /*v321*/, 8, v135 :: v_dual_lshlrev_b32 v66 /*v322*/, 16, v135
	s_set_vgpr_msb 0x55                     ;  msbs: dst=1 src0=1 src1=1 src2=1
	v_dot4_i32_iu8 v4 /*v260*/, v4 /*v260*/, v11 /*v267*/, v41 /*v297*/ neg_lo:[1,1,0]
	v_dot4_i32_iu8 v9 /*v265*/, v9 /*v265*/, v11 /*v267*/, v42 /*v298*/ neg_lo:[1,1,0]
	;; [unrolled: 1-line block ×4, first 2 shown]
	s_set_vgpr_msb 0x44                     ;  msbs: dst=1 src0=0 src1=1 src2=0
	v_perm_b32 v11 /*v267*/, v186, v58 /*v314*/, 0x407030c
	s_set_vgpr_msb 0x45                     ;  msbs: dst=1 src0=1 src1=1 src2=0
	v_perm_b32 v45 /*v301*/, v57 /*v313*/, v57 /*v313*/, 0xc0c0c03
	v_mul_i32_i24_e32 v5 /*v261*/, v5 /*v261*/, v39 /*v295*/
	s_set_vgpr_msb 0x44                     ;  msbs: dst=1 src0=0 src1=1 src2=0
	v_perm_b32 v39 /*v295*/, v196, v63 /*v319*/, 0x407030c
	s_set_vgpr_msb 0x45                     ;  msbs: dst=1 src0=1 src1=1 src2=0
	v_or_b32_e32 v47 /*v303*/, v47 /*v303*/, v48 /*v304*/
	v_perm_b32 v48 /*v304*/, v64 /*v320*/, v64 /*v320*/, 0xc0c0c03
	v_or_b32_e32 v11 /*v267*/, v11 /*v267*/, v45 /*v301*/
	s_set_vgpr_msb 0x44                     ;  msbs: dst=1 src0=0 src1=1 src2=0
	v_perm_b32 v45 /*v301*/, v170, v65 /*v321*/, 0x407030c
	s_set_vgpr_msb 64                       ;  msbs: dst=1 src0=0 src1=0 src2=0
	v_perm_b32 v12 /*v268*/, v82, v81, 0x4070201
	v_dual_lshlrev_b32 v16 /*v272*/, 8, v180 :: v_dual_lshlrev_b32 v17 /*v273*/, 16, v181
	s_set_vgpr_msb 0x55                     ;  msbs: dst=1 src0=1 src1=1 src2=1
	v_or_b32_e32 v39 /*v295*/, v39 /*v295*/, v48 /*v304*/
	v_perm_b32 v48 /*v304*/, v66 /*v322*/, v66 /*v322*/, 0xc0c0c03
	v_dot4_i32_iu8 v24 /*v280*/, v47 /*v303*/, v12 /*v268*/, v24 /*v280*/ neg_lo:[1,1,0]
	s_set_vgpr_msb 64                       ;  msbs: dst=1 src0=0 src1=0 src2=0
	v_perm_b32 v68 /*v324*/, v254, v107, 0x7020100
	v_lshlrev_b32_e32 v70 /*v326*/, 8, v188
	s_set_vgpr_msb 0x55                     ;  msbs: dst=1 src0=1 src1=1 src2=1
	v_dot4_i32_iu8 v39 /*v295*/, v39 /*v295*/, v12 /*v268*/, v40 /*v296*/ neg_lo:[1,1,0]
	v_or_b32_e32 v45 /*v301*/, v45 /*v301*/, v48 /*v304*/
	s_set_vgpr_msb 0x44                     ;  msbs: dst=1 src0=0 src1=1 src2=0
	v_perm_b32 v40 /*v296*/, v170, v65 /*v321*/, 0x7030c0c
	s_set_vgpr_msb 64                       ;  msbs: dst=1 src0=0 src1=0 src2=0
	v_dual_lshlrev_b32 v18 /*v274*/, 8, v178 :: v_dual_lshlrev_b32 v19 /*v275*/, 16, v179
	v_perm_b32 v67 /*v323*/, v254, v107, 0x4070201
	s_set_vgpr_msb 5                        ;  msbs: dst=0 src0=1 src1=1 src2=0
	v_dot4_i32_iu8 v253, v45 /*v301*/, v12 /*v268*/, v253 neg_lo:[1,1,0]
	s_set_vgpr_msb 0x41                     ;  msbs: dst=1 src0=1 src1=0 src2=0
	v_perm_b32 v12 /*v268*/, v66 /*v322*/, v135, 0xc0c0700
	v_lshlrev_b32_e32 v73 /*v329*/, 16, v192
	s_set_vgpr_msb 1                        ;  msbs: dst=0 src0=1 src1=0 src2=0
	v_perm_b32 v181, v15 /*v271*/, v180, 0xc0c0700
	s_set_vgpr_msb 4                        ;  msbs: dst=0 src0=0 src1=1 src2=0
	v_perm_b32 v180, v180, v16 /*v272*/, 0xc0c0703
	s_set_vgpr_msb 64                       ;  msbs: dst=1 src0=0 src1=0 src2=0
	v_lshlrev_b32_e32 v15 /*v271*/, 8, v192
	s_set_vgpr_msb 0x45                     ;  msbs: dst=1 src0=1 src1=1 src2=0
	v_or_b32_e32 v12 /*v268*/, v40 /*v296*/, v12 /*v268*/
	s_set_vgpr_msb 64                       ;  msbs: dst=1 src0=0 src1=0 src2=0
	v_lshlrev_b32_e32 v16 /*v272*/, 16, v186
	s_set_vgpr_msb 1                        ;  msbs: dst=0 src0=1 src1=0 src2=0
	v_perm_b32 v188, v69 /*v325*/, v188, 0xc0c0700
	s_set_vgpr_msb 64                       ;  msbs: dst=1 src0=0 src1=0 src2=0
	v_dual_lshlrev_b32 v20 /*v276*/, 8, v179 :: v_dual_lshlrev_b32 v21 /*v277*/, 16, v178
	s_set_vgpr_msb 0x55                     ;  msbs: dst=1 src0=1 src1=1 src2=1
	v_dot4_i32_iu8 v5 /*v261*/, v12 /*v268*/, v68 /*v324*/, v5 /*v261*/ neg_lo:[1,1,0]
	s_set_vgpr_msb 0x44                     ;  msbs: dst=1 src0=0 src1=1 src2=0
	v_perm_b32 v12 /*v268*/, v164, v70 /*v326*/, 0x7030c0c
	s_set_vgpr_msb 0                        ;  msbs: dst=0 src0=0 src1=0 src2=0
	v_lshlrev_b32_e32 v252, 16, v169
	s_set_vgpr_msb 0x44                     ;  msbs: dst=1 src0=0 src1=1 src2=0
	v_perm_b32 v18 /*v274*/, v178, v18 /*v274*/, 0x7030c04
	s_set_vgpr_msb 64                       ;  msbs: dst=1 src0=0 src1=0 src2=0
	v_dual_lshlrev_b32 v75 /*v331*/, 16, v190 :: v_dual_lshlrev_b32 v38 /*v294*/, 16, v196
	s_set_vgpr_msb 1                        ;  msbs: dst=0 src0=1 src1=0 src2=0
	v_perm_b32 v178, v23 /*v279*/, v177, 0xc0c0700
	v_lshlrev_b32_e32 v177, 8, v190
	s_set_vgpr_msb 5                        ;  msbs: dst=0 src0=1 src1=1 src2=0
	v_dot4_i32_iu8 v133, v11 /*v267*/, v67 /*v323*/, v133 neg_lo:[1,1,0]
	s_set_vgpr_msb 64                       ;  msbs: dst=1 src0=0 src1=0 src2=0
	v_perm_b32 v11 /*v267*/, v192, v192, 0xc0c0003
	s_set_vgpr_msb 1                        ;  msbs: dst=0 src0=1 src1=0 src2=0
	v_perm_b32 v192, v73 /*v329*/, v192, 0xc0c0700
	v_or_b32_e32 v188, v12 /*v268*/, v188
	s_set_vgpr_msb 0x44                     ;  msbs: dst=1 src0=0 src1=1 src2=0
	v_perm_b32 v12 /*v268*/, v156, v15 /*v271*/, 0x7030c0c
	s_set_vgpr_msb 0x45                     ;  msbs: dst=1 src0=1 src1=1 src2=0
	v_perm_b32 v71 /*v327*/, v1 /*v257*/, v0 /*v256*/, 0x7020100
	v_perm_b32 v72 /*v328*/, v3 /*v259*/, v2 /*v258*/, 0x7020100
	s_set_vgpr_msb 0x41                     ;  msbs: dst=1 src0=1 src1=0 src2=0
	v_perm_b32 v19 /*v275*/, v19 /*v275*/, v179, 0xc0c0700
	s_set_vgpr_msb 4                        ;  msbs: dst=0 src0=0 src1=1 src2=0
	v_perm_b32 v179, v179, v20 /*v276*/, 0xc0c0703
	s_set_vgpr_msb 0x41                     ;  msbs: dst=1 src0=1 src1=0 src2=0
	v_dual_lshlrev_b32 v20 /*v276*/, 8, v186 :: v_dual_lshlrev_b32 v7 /*v263*/, 8, v196
	v_perm_b32 v40 /*v296*/, v75 /*v331*/, v190, 0xc0c0700
	s_set_vgpr_msb 1                        ;  msbs: dst=0 src0=1 src1=0 src2=0
	v_or_b32_e32 v192, v12 /*v268*/, v192
	s_set_vgpr_msb 64                       ;  msbs: dst=1 src0=0 src1=0 src2=0
	v_perm_b32 v12 /*v268*/, v154, v177, 0x7030c0c
	s_set_vgpr_msb 0                        ;  msbs: dst=0 src0=0 src1=0 src2=0
	v_perm_b32 v190, v190, v190, 0xc0c0003
	s_set_vgpr_msb 4                        ;  msbs: dst=0 src0=0 src1=1 src2=0
	v_perm_b32 v177, v177, v75 /*v331*/, 0x7030c0c
	s_set_vgpr_msb 64                       ;  msbs: dst=1 src0=0 src1=0 src2=0
	v_lshlrev_b32_e32 v23 /*v279*/, 16, v194
	s_set_vgpr_msb 0x55                     ;  msbs: dst=1 src0=1 src1=1 src2=1
	v_dot4_i32_iu8 v6 /*v262*/, v47 /*v303*/, v67 /*v323*/, v6 /*v262*/ neg_lo:[1,1,0]
	s_set_vgpr_msb 64                       ;  msbs: dst=1 src0=0 src1=0 src2=0
	v_perm_b32 v47 /*v303*/, v186, v186, 0xc0c0003
	s_set_vgpr_msb 1                        ;  msbs: dst=0 src0=1 src1=0 src2=0
	v_perm_b32 v186, v16 /*v272*/, v186, 0xc0c0700
	s_set_vgpr_msb 0                        ;  msbs: dst=0 src0=0 src1=0 src2=0
	v_or_b32_e32 v177, v177, v190
	v_lshlrev_b32_e32 v190, 8, v174
	s_set_vgpr_msb 0x54                     ;  msbs: dst=1 src0=0 src1=1 src2=1
	v_dot4_i32_iu8 v8 /*v264*/, v188, v71 /*v327*/, v8 /*v264*/ neg_lo:[1,1,0]
	s_set_vgpr_msb 4                        ;  msbs: dst=0 src0=0 src1=1 src2=0
	v_dot4_i32_iu8 v147, v188, v72 /*v328*/, v147 neg_lo:[1,1,0]
	s_wait_dscnt 0x6
	v_perm_b32 v188, v158, v20 /*v276*/, 0x7030c0c
	s_set_vgpr_msb 64                       ;  msbs: dst=1 src0=0 src1=0 src2=0
	v_perm_b32 v13 /*v269*/, v83, v82, 0x7020100
	s_set_vgpr_msb 0x45                     ;  msbs: dst=1 src0=1 src1=1 src2=0
	v_or_b32_e32 v12 /*v268*/, v12 /*v268*/, v40 /*v296*/
	s_set_vgpr_msb 64                       ;  msbs: dst=1 src0=0 src1=0 src2=0
	v_perm_b32 v40 /*v296*/, v152, v132, 0x7030c0c
	v_dot4_i32_iu8 v26 /*v282*/, v80, v168, 0 neg_lo:[1,1,0]
	s_set_vgpr_msb 0                        ;  msbs: dst=0 src0=0 src1=0 src2=0
	v_or_b32_e32 v186, v188, v186
	s_set_vgpr_msb 1                        ;  msbs: dst=0 src0=1 src1=0 src2=0
	v_perm_b32 v188, v23 /*v279*/, v194, 0xc0c0700
	s_set_vgpr_msb 20                       ;  msbs: dst=0 src0=0 src1=1 src2=1
	v_dot4_i32_iu8 v192, v192, v13 /*v269*/, v4 /*v260*/ neg_lo:[1,1,0]
	s_set_vgpr_msb 0x55                     ;  msbs: dst=1 src0=1 src1=1 src2=1
	v_dot4_i32_iu8 v4 /*v260*/, v12 /*v268*/, v13 /*v269*/, v43 /*v299*/ neg_lo:[1,1,0]
	v_perm_b32 v12 /*v268*/, v21 /*v277*/, v21 /*v277*/, 0xc0c030c
	s_set_vgpr_msb 20                       ;  msbs: dst=0 src0=0 src1=1 src2=1
	v_dot4_i32_iu8 v186, v186, v13 /*v269*/, v9 /*v265*/ neg_lo:[1,1,0]
	s_set_vgpr_msb 1                        ;  msbs: dst=0 src0=1 src1=0 src2=0
	v_or_b32_e32 v188, v40 /*v296*/, v188
	s_set_vgpr_msb 0x45                     ;  msbs: dst=1 src0=1 src1=1 src2=0
	v_perm_b32 v9 /*v265*/, v17 /*v273*/, v17 /*v273*/, 0xc0c030c
	s_set_vgpr_msb 0x44                     ;  msbs: dst=1 src0=0 src1=1 src2=0
	v_perm_b32 v50 /*v306*/, v164, v70 /*v326*/, 0x407030c
	s_set_vgpr_msb 0x45                     ;  msbs: dst=1 src0=1 src1=1 src2=0
	v_perm_b32 v51 /*v307*/, v69 /*v325*/, v69 /*v325*/, 0xc0c0c03
	s_set_vgpr_msb 64                       ;  msbs: dst=1 src0=0 src1=0 src2=0
	v_dual_lshlrev_b32 v46 /*v302*/, 8, v170 :: v_dual_lshlrev_b32 v41 /*v297*/, 16, v170
	s_set_vgpr_msb 20                       ;  msbs: dst=0 src0=0 src1=1 src2=1
	v_dot4_i32_iu8 v188, v188, v13 /*v269*/, v10 /*v266*/ neg_lo:[1,1,0]
	s_set_vgpr_msb 64                       ;  msbs: dst=1 src0=0 src1=0 src2=0
	v_dot4_i32_iu8 v10 /*v266*/, v114, v168, 0 neg_lo:[1,1,0]
	v_dot4_i32_iu8 v13 /*v269*/, v118, v168, 0 neg_lo:[1,1,0]
	s_set_vgpr_msb 0                        ;  msbs: dst=0 src0=0 src1=0 src2=0
	v_dot4_i32_iu8 v168, v106, v168, 0 neg_lo:[1,1,0]
	s_set_vgpr_msb 0x45                     ;  msbs: dst=1 src0=1 src1=1 src2=0
	v_or_b32_e32 v9 /*v265*/, v74 /*v330*/, v9 /*v265*/
	v_perm_b32 v17 /*v273*/, v25 /*v281*/, v25 /*v281*/, 0xc0c030c
	v_or_b32_e32 v12 /*v268*/, v18 /*v274*/, v12 /*v268*/
	s_set_vgpr_msb 0x44                     ;  msbs: dst=1 src0=0 src1=1 src2=0
	v_perm_b32 v53 /*v309*/, v158, v20 /*v276*/, 0x407030c
	s_set_vgpr_msb 0x45                     ;  msbs: dst=1 src0=1 src1=1 src2=0
	v_perm_b32 v20 /*v276*/, v20 /*v276*/, v16 /*v272*/, 0x7030c0c
	s_set_vgpr_msb 17                       ;  msbs: dst=0 src0=1 src1=0 src2=1
	v_dot4_i32_iu8 v81, v9 /*v265*/, v81, v26 /*v282*/ neg_lo:[1,1,0]
	s_set_vgpr_msb 1                        ;  msbs: dst=0 src0=1 src1=0 src2=0
	v_dot4_i32_iu8 v168, v9 /*v265*/, v107, v168 neg_lo:[1,1,0]
	s_set_vgpr_msb 0x51                     ;  msbs: dst=1 src0=1 src1=0 src2=1
	v_dot4_i32_iu8 v10 /*v266*/, v9 /*v265*/, v115, v10 /*v266*/ neg_lo:[1,1,0]
	v_dot4_i32_iu8 v9 /*v265*/, v9 /*v265*/, v119, v13 /*v269*/ neg_lo:[1,1,0]
	s_set_vgpr_msb 0x45                     ;  msbs: dst=1 src0=1 src1=1 src2=0
	v_perm_b32 v16 /*v272*/, v16 /*v272*/, v16 /*v272*/, 0xc0c0c03
	v_or_b32_e32 v50 /*v306*/, v50 /*v306*/, v51 /*v307*/
	s_set_vgpr_msb 0x44                     ;  msbs: dst=1 src0=0 src1=1 src2=0
	v_perm_b32 v51 /*v307*/, v174, v7 /*v263*/, 0x407030c
	s_set_vgpr_msb 0x45                     ;  msbs: dst=1 src0=1 src1=1 src2=0
	v_perm_b32 v7 /*v263*/, v7 /*v263*/, v38 /*v294*/, 0x7030c0c
	v_perm_b32 v38 /*v294*/, v38 /*v294*/, v38 /*v294*/, 0xc0c0c03
	s_set_vgpr_msb 0                        ;  msbs: dst=0 src0=0 src1=0 src2=0
	v_perm_b32 v139, v139, v139, 0xc0c0003
	s_set_vgpr_msb 0x45                     ;  msbs: dst=1 src0=1 src1=1 src2=0
	v_or_b32_e32 v17 /*v273*/, v22 /*v278*/, v17 /*v273*/
	v_perm_b32 v21 /*v277*/, v0 /*v256*/, v0 /*v256*/, 0x2010003
	s_set_vgpr_msb 1                        ;  msbs: dst=0 src0=1 src1=0 src2=0
	v_dot4_i32_iu8 v81, v12 /*v268*/, v82, v81 neg_lo:[1,1,0]
	v_dot4_i32_iu8 v168, v12 /*v268*/, v254, v168 neg_lo:[1,1,0]
	s_set_vgpr_msb 0x55                     ;  msbs: dst=1 src0=1 src1=1 src2=1
	v_dot4_i32_iu8 v0 /*v256*/, v12 /*v268*/, v0 /*v256*/, v10 /*v266*/ neg_lo:[1,1,0]
	s_set_vgpr_msb 64                       ;  msbs: dst=1 src0=0 src1=0 src2=0
	v_perm_b32 v10 /*v266*/, v170, v170, 0xc0c0003
	s_set_vgpr_msb 0x55                     ;  msbs: dst=1 src0=1 src1=1 src2=1
	v_dot4_i32_iu8 v9 /*v265*/, v12 /*v268*/, v2 /*v258*/, v9 /*v265*/ neg_lo:[1,1,0]
	v_perm_b32 v13 /*v269*/, v56 /*v312*/, v55 /*v311*/, 0x7030c0c
	v_or_b32_e32 v16 /*v272*/, v53 /*v309*/, v16 /*v272*/
	s_set_vgpr_msb 0x44                     ;  msbs: dst=1 src0=0 src1=1 src2=0
	v_perm_b32 v53 /*v309*/, v148, v46 /*v302*/, 0x407030c
	s_set_vgpr_msb 0x45                     ;  msbs: dst=1 src0=1 src1=1 src2=0
	v_or_b32_e32 v38 /*v294*/, v51 /*v307*/, v38 /*v294*/
	v_perm_b32 v51 /*v307*/, v41 /*v297*/, v41 /*v297*/, 0xc0c0c03
	s_set_vgpr_msb 1                        ;  msbs: dst=0 src0=1 src1=0 src2=0
	v_perm_b32 v170, v41 /*v297*/, v170, 0xc0c0700
	s_set_vgpr_msb 0x45                     ;  msbs: dst=1 src0=1 src1=1 src2=0
	v_perm_b32 v41 /*v297*/, v46 /*v302*/, v41 /*v297*/, 0x7030c0c
	s_set_vgpr_msb 0x44                     ;  msbs: dst=1 src0=0 src1=1 src2=0
	v_perm_b32 v46 /*v302*/, v148, v46 /*v302*/, 0x7030c0c
	s_set_vgpr_msb 0                        ;  msbs: dst=0 src0=0 src1=0 src2=0
	v_bfe_i32 v241, v169, 0, 8
	v_perm_b32 v143, v143, v143, 0xc0c0003
	v_perm_b32 v141, v141, v141, 0xc0c0003
	;; [unrolled: 1-line block ×4, first 2 shown]
	s_set_vgpr_msb 4                        ;  msbs: dst=0 src0=0 src1=1 src2=0
	v_perm_b32 v169, v169, v37 /*v293*/, 0xc07030c
	s_set_vgpr_msb 0                        ;  msbs: dst=0 src0=0 src1=0 src2=0
	v_perm_b32 v135, v135, v135, 0xc0c0003
	s_set_vgpr_msb 1                        ;  msbs: dst=0 src0=1 src1=0 src2=0
	v_dot4_i32_iu8 v81, v17 /*v273*/, v83, v81 neg_lo:[1,1,0]
	v_dot4_i32_iu8 v168, v17 /*v273*/, v255, v168 neg_lo:[1,1,0]
	s_set_vgpr_msb 0x55                     ;  msbs: dst=1 src0=1 src1=1 src2=1
	v_dot4_i32_iu8 v0 /*v256*/, v17 /*v273*/, v1 /*v257*/, v0 /*v256*/ neg_lo:[1,1,0]
	v_dot4_i32_iu8 v9 /*v265*/, v17 /*v273*/, v3 /*v259*/, v9 /*v265*/ neg_lo:[1,1,0]
	v_perm_b32 v22 /*v278*/, v58 /*v314*/, v57 /*v313*/, 0x7030c0c
	s_set_vgpr_msb 64                       ;  msbs: dst=1 src0=0 src1=0 src2=0
	v_lshlrev_b32_e32 v25 /*v281*/, 8, v164
	s_set_vgpr_msb 0x45                     ;  msbs: dst=1 src0=1 src1=1 src2=0
	v_perm_b32 v26 /*v282*/, v60 /*v316*/, v59 /*v315*/, 0x7030c0c
	s_set_vgpr_msb 64                       ;  msbs: dst=1 src0=0 src1=0 src2=0
	v_perm_b32 v37 /*v293*/, v182, v182, 0xc0c0100
	v_perm_b32 v40 /*v296*/, v184, v184, 0xc0c0100
	s_set_vgpr_msb 0x45                     ;  msbs: dst=1 src0=1 src1=1 src2=0
	v_perm_b32 v43 /*v299*/, v62 /*v318*/, v61 /*v317*/, 0x7030c0c
	s_set_vgpr_msb 64                       ;  msbs: dst=1 src0=0 src1=0 src2=0
	v_perm_b32 v45 /*v301*/, v172, v172, 0xc0c0100
	s_set_vgpr_msb 0x45                     ;  msbs: dst=1 src0=1 src1=1 src2=0
	v_perm_b32 v48 /*v304*/, v63 /*v319*/, v64 /*v320*/, 0x7030c0c
	v_perm_b32 v52 /*v308*/, v65 /*v321*/, v66 /*v322*/, 0x7030c0c
	s_set_vgpr_msb 1                        ;  msbs: dst=0 src0=1 src1=0 src2=0
	v_or_b32_e32 v170, v46 /*v302*/, v170
	s_set_vgpr_msb 64                       ;  msbs: dst=1 src0=0 src1=0 src2=0
	v_lshlrev_b32_e32 v46 /*v302*/, 16, v158
	s_set_vgpr_msb 1                        ;  msbs: dst=0 src0=1 src1=0 src2=0
	v_or_b32_e32 v139, v13 /*v269*/, v139
	s_set_vgpr_msb 64                       ;  msbs: dst=1 src0=0 src1=0 src2=0
	v_lshlrev_b32_e32 v13 /*v269*/, 8, v158
	v_perm_b32 v14 /*v270*/, v83, v82, 0x4070201
	v_perm_b32 v42 /*v298*/, v255, v254, 0x4070201
	;; [unrolled: 1-line block ×3, first 2 shown]
	s_set_vgpr_msb 0                        ;  msbs: dst=0 src0=0 src1=0 src2=0
	v_perm_b32 v194, v194, v194, 0xc0c0003
	v_perm_b32 v196, v196, v196, 0xc0c0003
	;; [unrolled: 1-line block ×5, first 2 shown]
	s_set_vgpr_msb 0x45                     ;  msbs: dst=1 src0=1 src1=1 src2=0
	v_perm_b32 v15 /*v271*/, v15 /*v271*/, v73 /*v329*/, 0x7030c0c
	s_set_vgpr_msb 64                       ;  msbs: dst=1 src0=0 src1=0 src2=0
	v_lshlrev_b32_e32 v17 /*v273*/, 16, v164
	s_set_vgpr_msb 4                        ;  msbs: dst=0 src0=0 src1=1 src2=0
	v_perm_b32 v132, v132, v23 /*v279*/, 0x7030c0c
	s_set_vgpr_msb 0x45                     ;  msbs: dst=1 src0=1 src1=1 src2=0
	v_or_b32_e32 v51 /*v307*/, v53 /*v309*/, v51 /*v307*/
	s_set_vgpr_msb 1                        ;  msbs: dst=0 src0=1 src1=0 src2=0
	v_or_b32_e32 v143, v22 /*v278*/, v143
	s_set_vgpr_msb 0x45                     ;  msbs: dst=1 src0=1 src1=1 src2=0
	v_or_b32_e32 v20 /*v276*/, v20 /*v276*/, v47 /*v303*/
	s_set_vgpr_msb 64                       ;  msbs: dst=1 src0=0 src1=0 src2=0
	v_lshlrev_b32_e32 v47 /*v303*/, 16, v152
	s_set_vgpr_msb 1                        ;  msbs: dst=0 src0=1 src1=0 src2=0
	v_or_b32_e32 v141, v26 /*v282*/, v141
	v_or_b32_e32 v145, v43 /*v299*/, v145
	;; [unrolled: 1-line block ×4, first 2 shown]
	s_set_vgpr_msb 64                       ;  msbs: dst=1 src0=0 src1=0 src2=0
	v_perm_b32 v52 /*v308*/, v158, v158, 0xc0c0003
	s_set_vgpr_msb 0x55                     ;  msbs: dst=1 src0=1 src1=1 src2=1
	v_dot4_i32_iu8 v0 /*v256*/, v19 /*v275*/, v37 /*v293*/, v0 /*v256*/ neg_lo:[1,1,0]
	v_dot4_i32_iu8 v9 /*v265*/, v19 /*v275*/, v40 /*v296*/, v9 /*v265*/ neg_lo:[1,1,0]
	s_set_vgpr_msb 5                        ;  msbs: dst=0 src0=1 src1=1 src2=0
	v_dot4_i32_iu8 v168, v19 /*v275*/, v45 /*v301*/, v168 neg_lo:[1,1,0]
	s_set_vgpr_msb 1                        ;  msbs: dst=0 src0=1 src1=0 src2=0
	v_perm_b32 v158, v46 /*v302*/, v158, 0xc0c0700
	s_set_vgpr_msb 5                        ;  msbs: dst=0 src0=1 src1=1 src2=0
	v_dot4_i32_iu8 v81, v19 /*v275*/, v27 /*v283*/, v81 neg_lo:[1,1,0]
	s_set_vgpr_msb 0x44                     ;  msbs: dst=1 src0=0 src1=1 src2=0
	v_perm_b32 v19 /*v275*/, v187, v13 /*v269*/, 0x7030c0c
	s_set_vgpr_msb 64                       ;  msbs: dst=1 src0=0 src1=0 src2=0
	v_perm_b32 v18 /*v274*/, v254, v254, 0x2010003
	s_set_vgpr_msb 0x45                     ;  msbs: dst=1 src0=1 src1=1 src2=0
	v_perm_b32 v2 /*v258*/, v2 /*v258*/, v2 /*v258*/, 0x2010003
	v_or_b32_e32 v11 /*v267*/, v15 /*v271*/, v11 /*v267*/
	s_set_vgpr_msb 0                        ;  msbs: dst=0 src0=0 src1=0 src2=0
	v_or_b32_e32 v132, v132, v194
	s_set_vgpr_msb 1                        ;  msbs: dst=0 src0=1 src1=0 src2=0
	v_or_b32_e32 v196, v7 /*v263*/, v196
	s_set_vgpr_msb 0x45                     ;  msbs: dst=1 src0=1 src1=1 src2=0
	v_or_b32_e32 v10 /*v266*/, v41 /*v297*/, v10 /*v266*/
	s_set_vgpr_msb 5                        ;  msbs: dst=0 src0=1 src1=1 src2=0
	v_dot4_i32_iu8 v133, v16 /*v272*/, v42 /*v298*/, v133 neg_lo:[1,1,0]
	s_set_vgpr_msb 64                       ;  msbs: dst=1 src0=0 src1=0 src2=0
	v_dot4_i32_iu8 v16 /*v272*/, v139, v107, 0 neg_lo:[1,1,0]
	s_set_vgpr_msb 0x55                     ;  msbs: dst=1 src0=1 src1=1 src2=1
	v_dot4_i32_iu8 v6 /*v262*/, v50 /*v306*/, v42 /*v298*/, v6 /*v262*/ neg_lo:[1,1,0]
	s_set_vgpr_msb 64                       ;  msbs: dst=1 src0=0 src1=0 src2=0
	v_dot4_i32_iu8 v42 /*v298*/, v139, v115, 0 neg_lo:[1,1,0]
	s_set_vgpr_msb 0                        ;  msbs: dst=0 src0=0 src1=0 src2=0
	v_dot4_i32_iu8 v139, v139, v119, 0 neg_lo:[1,1,0]
	s_set_vgpr_msb 0x55                     ;  msbs: dst=1 src0=1 src1=1 src2=1
	v_dot4_i32_iu8 v24 /*v280*/, v50 /*v306*/, v14 /*v270*/, v24 /*v280*/ neg_lo:[1,1,0]
	s_set_vgpr_msb 64                       ;  msbs: dst=1 src0=0 src1=0 src2=0
	v_dot4_i32_iu8 v50 /*v306*/, v143, v115, 0 neg_lo:[1,1,0]
	s_set_vgpr_msb 0                        ;  msbs: dst=0 src0=0 src1=0 src2=0
	v_dot4_i32_iu8 v143, v143, v119, 0 neg_lo:[1,1,0]
	s_set_vgpr_msb 0x55                     ;  msbs: dst=1 src0=1 src1=1 src2=1
	v_dot4_i32_iu8 v38 /*v294*/, v38 /*v294*/, v14 /*v270*/, v39 /*v295*/ neg_lo:[1,1,0]
	s_set_vgpr_msb 64                       ;  msbs: dst=1 src0=0 src1=0 src2=0
	v_dot4_i32_iu8 v39 /*v295*/, v141, v107, 0 neg_lo:[1,1,0]
	s_set_vgpr_msb 5                        ;  msbs: dst=0 src0=1 src1=1 src2=0
	v_dot4_i32_iu8 v253, v51 /*v307*/, v14 /*v270*/, v253 neg_lo:[1,1,0]
	s_set_vgpr_msb 64                       ;  msbs: dst=1 src0=0 src1=0 src2=0
	v_dot4_i32_iu8 v14 /*v270*/, v141, v115, 0 neg_lo:[1,1,0]
	s_set_vgpr_msb 0                        ;  msbs: dst=0 src0=0 src1=0 src2=0
	v_dot4_i32_iu8 v141, v141, v119, 0 neg_lo:[1,1,0]
	s_set_vgpr_msb 64                       ;  msbs: dst=1 src0=0 src1=0 src2=0
	v_dot4_i32_iu8 v51 /*v307*/, v145, v107, 0 neg_lo:[1,1,0]
	s_set_vgpr_msb 20                       ;  msbs: dst=0 src0=0 src1=1 src2=1
	v_dot4_i32_iu8 v170, v170, v44 /*v300*/, v5 /*v261*/ neg_lo:[1,1,0]
	s_set_vgpr_msb 64                       ;  msbs: dst=1 src0=0 src1=0 src2=0
	v_dot4_i32_iu8 v5 /*v261*/, v145, v115, 0 neg_lo:[1,1,0]
	s_set_vgpr_msb 0                        ;  msbs: dst=0 src0=0 src1=0 src2=0
	v_dot4_i32_iu8 v145, v145, v119, 0 neg_lo:[1,1,0]
	v_dot4_i32_iu8 v107, v151, v107, 0 neg_lo:[1,1,0]
	s_set_vgpr_msb 64                       ;  msbs: dst=1 src0=0 src1=0 src2=0
	v_dot4_i32_iu8 v44 /*v300*/, v151, v115, 0 neg_lo:[1,1,0]
	s_set_vgpr_msb 0                        ;  msbs: dst=0 src0=0 src1=0 src2=0
	v_dot4_i32_iu8 v151, v151, v119, 0 neg_lo:[1,1,0]
	v_dot4_i32_iu8 v119, v135, v119, 0 neg_lo:[1,1,0]
	s_set_vgpr_msb 1                        ;  msbs: dst=0 src0=1 src1=0 src2=0
	v_or_b32_e32 v158, v19 /*v275*/, v158
	s_set_vgpr_msb 0x55                     ;  msbs: dst=1 src0=1 src1=1 src2=1
	v_dot4_i32_iu8 v16 /*v272*/, v11 /*v267*/, v18 /*v274*/, v16 /*v272*/ neg_lo:[1,1,0]
	v_dot4_i32_iu8 v42 /*v298*/, v11 /*v267*/, v21 /*v277*/, v42 /*v298*/ neg_lo:[1,1,0]
	s_set_vgpr_msb 5                        ;  msbs: dst=0 src0=1 src1=1 src2=0
	v_dot4_i32_iu8 v139, v11 /*v267*/, v2 /*v258*/, v139 neg_lo:[1,1,0]
	s_set_vgpr_msb 0x55                     ;  msbs: dst=1 src0=1 src1=1 src2=1
	v_dot4_i32_iu8 v11 /*v267*/, v20 /*v276*/, v21 /*v277*/, v50 /*v306*/ neg_lo:[1,1,0]
	s_set_vgpr_msb 5                        ;  msbs: dst=0 src0=1 src1=1 src2=0
	v_dot4_i32_iu8 v143, v20 /*v276*/, v2 /*v258*/, v143 neg_lo:[1,1,0]
	s_set_vgpr_msb 0x54                     ;  msbs: dst=1 src0=0 src1=1 src2=1
	v_dot4_i32_iu8 v50 /*v306*/, v132, v18 /*v274*/, v51 /*v307*/ neg_lo:[1,1,0]
	v_dot4_i32_iu8 v5 /*v261*/, v132, v21 /*v277*/, v5 /*v261*/ neg_lo:[1,1,0]
	s_set_vgpr_msb 4                        ;  msbs: dst=0 src0=0 src1=1 src2=0
	v_dot4_i32_iu8 v132, v132, v2 /*v258*/, v145 neg_lo:[1,1,0]
	v_dot4_i32_iu8 v151, v196, v2 /*v258*/, v151 neg_lo:[1,1,0]
	s_set_vgpr_msb 5                        ;  msbs: dst=0 src0=1 src1=1 src2=0
	v_dot4_i32_iu8 v119, v10 /*v266*/, v2 /*v258*/, v119 neg_lo:[1,1,0]
	s_set_vgpr_msb 1                        ;  msbs: dst=0 src0=1 src1=0 src2=0
	v_perm_b32 v164, v17 /*v273*/, v164, 0xc0c0700
	s_set_vgpr_msb 4                        ;  msbs: dst=0 src0=0 src1=1 src2=0
	v_dot4_i32_iu8 v158, v158, v28 /*v284*/, v186 neg_lo:[1,1,0]
	s_set_vgpr_msb 0                        ;  msbs: dst=0 src0=0 src1=0 src2=0
	v_lshlrev_b32_e32 v186, 16, v191
	s_set_vgpr_msb 4                        ;  msbs: dst=0 src0=0 src1=1 src2=0
	v_dot4_i32_iu8 v141, v177, v2 /*v258*/, v141 neg_lo:[1,1,0]
	s_set_vgpr_msb 0x44                     ;  msbs: dst=1 src0=0 src1=1 src2=0
	v_perm_b32 v2 /*v258*/, v189, v25 /*v281*/, 0x7030c0c
	v_perm_b32 v12 /*v268*/, v184, v3 /*v259*/, 0x7020100
	s_set_vgpr_msb 64                       ;  msbs: dst=1 src0=0 src1=0 src2=0
	v_dual_lshlrev_b32 v23 /*v279*/, 16, v156 :: v_dual_lshlrev_b32 v49 /*v305*/, 8, v156
	v_dual_lshlrev_b32 v15 /*v271*/, 16, v154 :: v_dual_lshlrev_b32 v22 /*v278*/, 8, v154
	s_set_vgpr_msb 1                        ;  msbs: dst=0 src0=1 src1=0 src2=0
	v_or_b32_e32 v164, v2 /*v258*/, v164
	s_set_vgpr_msb 64                       ;  msbs: dst=1 src0=0 src1=0 src2=0
	v_perm_b32 v7 /*v263*/, v156, v156, 0xc0c0003
	s_set_vgpr_msb 1                        ;  msbs: dst=0 src0=1 src1=0 src2=0
	v_perm_b32 v156, v23 /*v279*/, v156, 0xc0c0700
	s_set_vgpr_msb 64                       ;  msbs: dst=1 src0=0 src1=0 src2=0
	v_dual_lshlrev_b32 v26 /*v282*/, 8, v152 :: v_dual_lshlrev_b32 v43 /*v299*/, 16, v174
	s_set_vgpr_msb 4                        ;  msbs: dst=0 src0=0 src1=1 src2=0
	v_dot4_i32_iu8 v147, v164, v12 /*v268*/, v147 neg_lo:[1,1,0]
	s_set_vgpr_msb 0x44                     ;  msbs: dst=1 src0=0 src1=1 src2=0
	v_perm_b32 v12 /*v268*/, v193, v49 /*v305*/, 0x7030c0c
	s_set_vgpr_msb 64                       ;  msbs: dst=1 src0=0 src1=0 src2=0
	v_perm_b32 v41 /*v297*/, v154, v154, 0xc0c0003
	s_set_vgpr_msb 1                        ;  msbs: dst=0 src0=1 src1=0 src2=0
	v_perm_b32 v154, v15 /*v271*/, v154, 0xc0c0700
	s_set_vgpr_msb 0                        ;  msbs: dst=0 src0=0 src1=0 src2=0
	v_dot4_i32_iu8 v115, v135, v115, 0 neg_lo:[1,1,0]
	v_perm_b32 v135, v152, v152, 0xc0c0003
	s_set_vgpr_msb 1                        ;  msbs: dst=0 src0=1 src1=0 src2=0
	v_or_b32_e32 v156, v12 /*v268*/, v156
	s_set_vgpr_msb 0x44                     ;  msbs: dst=1 src0=0 src1=1 src2=0
	v_perm_b32 v12 /*v268*/, v191, v22 /*v278*/, 0x7030c0c
	s_set_vgpr_msb 1                        ;  msbs: dst=0 src0=1 src1=0 src2=0
	v_perm_b32 v152, v47 /*v303*/, v152, 0xc0c0700
	s_set_vgpr_msb 0x44                     ;  msbs: dst=1 src0=0 src1=1 src2=0
	v_perm_b32 v19 /*v275*/, v189, v25 /*v281*/, 0x407030c
	s_set_vgpr_msb 0x45                     ;  msbs: dst=1 src0=1 src1=1 src2=0
	v_perm_b32 v17 /*v273*/, v17 /*v273*/, v17 /*v273*/, 0xc0c0c03
	s_set_vgpr_msb 1                        ;  msbs: dst=0 src0=1 src1=0 src2=0
	v_dual_lshlrev_b32 v194, 8, v148 :: v_dual_bitop2_b32 v154, v12 /*v268*/, v154 bitop3:0x54
	s_set_vgpr_msb 0x44                     ;  msbs: dst=1 src0=0 src1=1 src2=0
	v_perm_b32 v12 /*v268*/, v195, v26 /*v282*/, 0x7030c0c
	s_set_vgpr_msb 64                       ;  msbs: dst=1 src0=0 src1=0 src2=0
	v_lshlrev_b32_e32 v48 /*v304*/, 16, v148
	v_perm_b32 v25 /*v281*/, v197, v190, 0x407030c
	s_set_vgpr_msb 0x45                     ;  msbs: dst=1 src0=1 src1=1 src2=0
	v_or_b32_e32 v17 /*v273*/, v19 /*v275*/, v17 /*v273*/
	s_set_vgpr_msb 20                       ;  msbs: dst=0 src0=0 src1=1 src2=1
	v_dot4_i32_iu8 v154, v154, v28 /*v284*/, v4 /*v260*/ neg_lo:[1,1,0]
	s_set_vgpr_msb 1                        ;  msbs: dst=0 src0=1 src1=0 src2=0
	v_or_b32_e32 v152, v12 /*v268*/, v152
	s_set_vgpr_msb 0x44                     ;  msbs: dst=1 src0=0 src1=1 src2=0
	v_perm_b32 v4 /*v260*/, v187, v13 /*v269*/, 0x407030c
	s_set_vgpr_msb 0x45                     ;  msbs: dst=1 src0=1 src1=1 src2=0
	v_perm_b32 v19 /*v275*/, v43 /*v299*/, v43 /*v299*/, 0xc0c0c03
	s_set_vgpr_msb 5                        ;  msbs: dst=0 src0=1 src1=1 src2=0
	v_dot4_i32_iu8 v115, v10 /*v266*/, v21 /*v277*/, v115 neg_lo:[1,1,0]
	s_set_vgpr_msb 64                       ;  msbs: dst=1 src0=0 src1=0 src2=0
	v_lshlrev_b32_e32 v10 /*v266*/, 8, v193
	s_set_vgpr_msb 4                        ;  msbs: dst=0 src0=0 src1=1 src2=0
	v_dot4_i32_iu8 v152, v152, v28 /*v284*/, v188 neg_lo:[1,1,0]
	s_set_vgpr_msb 5                        ;  msbs: dst=0 src0=1 src1=1 src2=0
	v_perm_b32 v188, v46 /*v302*/, v46 /*v302*/, 0xc0c0c03
	s_set_vgpr_msb 0x45                     ;  msbs: dst=1 src0=1 src1=1 src2=0
	v_or_b32_e32 v19 /*v275*/, v25 /*v281*/, v19 /*v275*/
	v_perm_b32 v25 /*v281*/, v48 /*v304*/, v48 /*v304*/, 0xc0c0c03
	s_set_vgpr_msb 0                        ;  msbs: dst=0 src0=0 src1=0 src2=0
	v_perm_b32 v174, v174, v174, 0xc0c0003
	s_set_vgpr_msb 4                        ;  msbs: dst=0 src0=0 src1=1 src2=0
	v_perm_b32 v190, v190, v43 /*v299*/, 0x7030c0c
	s_set_vgpr_msb 1                        ;  msbs: dst=0 src0=1 src1=0 src2=0
	v_or_b32_e32 v188, v4 /*v260*/, v188
	s_set_vgpr_msb 64                       ;  msbs: dst=1 src0=0 src1=0 src2=0
	v_perm_b32 v4 /*v260*/, v171, v194, 0x407030c
	s_set_vgpr_msb 0                        ;  msbs: dst=0 src0=0 src1=0 src2=0
	v_perm_b32 v82, v172, v255, 0x4070201
	v_perm_b32 v83, v172, v255, 0x7020100
	;; [unrolled: 1-line block ×3, first 2 shown]
	s_set_vgpr_msb 4                        ;  msbs: dst=0 src0=0 src1=1 src2=0
	v_perm_b32 v255, v182, v1 /*v257*/, 0x7020100
	s_set_vgpr_msb 0x45                     ;  msbs: dst=1 src0=1 src1=1 src2=0
	v_or_b32_e32 v4 /*v260*/, v4 /*v260*/, v25 /*v281*/
	v_perm_b32 v1 /*v257*/, v1 /*v257*/, v1 /*v257*/, 0x2010003
	s_set_vgpr_msb 64                       ;  msbs: dst=1 src0=0 src1=0 src2=0
	v_perm_b32 v20 /*v276*/, v148, v148, 0xc0c0003
	s_set_vgpr_msb 0x54                     ;  msbs: dst=1 src0=0 src1=1 src2=1
	v_dot4_i32_iu8 v39 /*v295*/, v177, v18 /*v274*/, v39 /*v295*/ neg_lo:[1,1,0]
	v_dot4_i32_iu8 v14 /*v270*/, v177, v21 /*v277*/, v14 /*v270*/ neg_lo:[1,1,0]
	s_set_vgpr_msb 0                        ;  msbs: dst=0 src0=0 src1=0 src2=0
	v_dual_lshlrev_b32 v177, 16, v189 :: v_dual_lshlrev_b32 v145, 8, v189
	s_set_vgpr_msb 0x54                     ;  msbs: dst=1 src0=0 src1=1 src2=1
	v_dot4_i32_iu8 v44 /*v300*/, v196, v21 /*v277*/, v44 /*v300*/ neg_lo:[1,1,0]
	s_set_vgpr_msb 5                        ;  msbs: dst=0 src0=1 src1=1 src2=0
	v_dot4_i32_iu8 v253, v4 /*v260*/, v29 /*v285*/, v253 neg_lo:[1,1,0]
	s_set_vgpr_msb 64                       ;  msbs: dst=1 src0=0 src1=0 src2=0
	v_perm_b32 v4 /*v260*/, v171, v194, 0x7030c0c
	s_set_vgpr_msb 4                        ;  msbs: dst=0 src0=0 src1=1 src2=0
	v_perm_b32 v194, v194, v48 /*v304*/, 0x7030c0c
	s_set_vgpr_msb 0                        ;  msbs: dst=0 src0=0 src1=0 src2=0
	v_or_b32_e32 v174, v190, v174
	s_set_vgpr_msb 0x45                     ;  msbs: dst=1 src0=1 src1=1 src2=0
	v_perm_b32 v3 /*v259*/, v3 /*v259*/, v3 /*v259*/, 0x2010003
	s_set_vgpr_msb 0                        ;  msbs: dst=0 src0=0 src1=0 src2=0
	v_perm_b32 v189, v177, v189, 0xc0c0700
	s_set_vgpr_msb 4                        ;  msbs: dst=0 src0=0 src1=1 src2=0
	v_dot4_i32_iu8 v107, v196, v18 /*v274*/, v107 neg_lo:[1,1,0]
	v_or_b32_e32 v194, v194, v20 /*v276*/
	s_set_vgpr_msb 0x54                     ;  msbs: dst=1 src0=0 src1=1 src2=1
	v_dot4_i32_iu8 v43 /*v299*/, v174, v1 /*v257*/, v44 /*v300*/ neg_lo:[1,1,0]
	s_set_vgpr_msb 64                       ;  msbs: dst=1 src0=0 src1=0 src2=0
	v_perm_b32 v44 /*v300*/, v165, v145, 0x7030c0c
	v_perm_b32 v18 /*v274*/, v183, v182, 0x7020100
	s_set_vgpr_msb 0                        ;  msbs: dst=0 src0=0 src1=0 src2=0
	v_perm_b32 v196, v185, v184, 0x7020100
	s_set_vgpr_msb 4                        ;  msbs: dst=0 src0=0 src1=1 src2=0
	v_dot4_i32_iu8 v115, v194, v1 /*v257*/, v115 neg_lo:[1,1,0]
	v_dot4_i32_iu8 v119, v194, v3 /*v259*/, v119 neg_lo:[1,1,0]
	s_set_vgpr_msb 16                       ;  msbs: dst=0 src0=0 src1=0 src2=1
	v_lshlrev_b32_e32 v194, 16, v155
	v_dot4_i32_iu8 v255, v164, v255, v8 /*v264*/ neg_lo:[1,1,0]
	s_set_vgpr_msb 1                        ;  msbs: dst=0 src0=1 src1=0 src2=0
	v_or_b32_e32 v189, v44 /*v300*/, v189
	v_lshlrev_b32_e32 v164, 16, v193
	s_set_vgpr_msb 0x45                     ;  msbs: dst=1 src0=1 src1=1 src2=0
	v_perm_b32 v23 /*v279*/, v49 /*v305*/, v23 /*v279*/, 0x7030c0c
	v_perm_b32 v15 /*v271*/, v22 /*v278*/, v15 /*v271*/, 0x7030c0c
	;; [unrolled: 1-line block ×3, first 2 shown]
	s_set_vgpr_msb 4                        ;  msbs: dst=0 src0=0 src1=1 src2=0
	v_dot4_i32_iu8 v255, v189, v18 /*v274*/, v255 neg_lo:[1,1,0]
	s_set_vgpr_msb 0                        ;  msbs: dst=0 src0=0 src1=0 src2=0
	v_dot4_i32_iu8 v147, v189, v196, v147 neg_lo:[1,1,0]
	v_dual_lshlrev_b32 v189, 8, v175 :: v_dual_lshlrev_b32 v196, 16, v175
	v_dot4_i32_iu8 v133, v188, v82, v133 neg_lo:[1,1,0]
	s_set_vgpr_msb 17                       ;  msbs: dst=0 src0=1 src1=0 src2=1
	v_dot4_i32_iu8 v82, v17 /*v273*/, v82, v6 /*v262*/ neg_lo:[1,1,0]
	s_set_vgpr_msb 0x55                     ;  msbs: dst=1 src0=1 src1=1 src2=1
	v_dot4_i32_iu8 v17 /*v273*/, v17 /*v273*/, v29 /*v285*/, v24 /*v280*/ neg_lo:[1,1,0]
	v_dot4_i32_iu8 v19 /*v275*/, v19 /*v275*/, v29 /*v285*/, v38 /*v294*/ neg_lo:[1,1,0]
	s_set_vgpr_msb 1                        ;  msbs: dst=0 src0=1 src1=0 src2=0
	v_perm_b32 v148, v48 /*v304*/, v148, 0xc0c0700
	s_set_vgpr_msb 64                       ;  msbs: dst=1 src0=0 src1=0 src2=0
	v_perm_b32 v29 /*v285*/, v193, v193, 0xc0c0003
	s_set_vgpr_msb 0x45                     ;  msbs: dst=1 src0=1 src1=1 src2=0
	v_or_b32_e32 v7 /*v263*/, v23 /*v279*/, v7 /*v263*/
	v_or_b32_e32 v15 /*v271*/, v15 /*v271*/, v41 /*v297*/
	s_set_vgpr_msb 1                        ;  msbs: dst=0 src0=1 src1=0 src2=0
	v_or_b32_e32 v135, v26 /*v282*/, v135
	s_set_vgpr_msb 0                        ;  msbs: dst=0 src0=0 src1=0 src2=0
	v_perm_b32 v193, v164, v193, 0xc0c0700
	s_set_vgpr_msb 0x44                     ;  msbs: dst=1 src0=0 src1=1 src2=0
	v_perm_b32 v48 /*v304*/, v157, v10 /*v266*/, 0x7030c0c
	s_set_vgpr_msb 0x45                     ;  msbs: dst=1 src0=1 src1=1 src2=0
	v_or_b32_e32 v33 /*v289*/, v34 /*v290*/, v33 /*v289*/
	s_set_vgpr_msb 64                       ;  msbs: dst=1 src0=0 src1=0 src2=0
	v_lshlrev_b32_e32 v34 /*v290*/, 16, v140
	s_set_vgpr_msb 0x45                     ;  msbs: dst=1 src0=1 src1=1 src2=0
	v_or_b32_e32 v35 /*v291*/, v35 /*v291*/, v36 /*v292*/
	s_set_vgpr_msb 64                       ;  msbs: dst=1 src0=0 src1=0 src2=0
	v_lshlrev_b32_e32 v36 /*v292*/, 8, v150
	s_set_vgpr_msb 1                        ;  msbs: dst=0 src0=1 src1=0 src2=0
	v_perm_b32 v164, v10 /*v266*/, v164, 0x7030c0c
	s_wait_dscnt 0x5
	s_set_vgpr_msb 64                       ;  msbs: dst=1 src0=0 src1=0 src2=0
	v_dual_lshlrev_b32 v10 /*v266*/, 16, v150 :: v_dual_lshlrev_b32 v62 /*v318*/, 16, v137
	v_perm_b32 v58 /*v314*/, v150, v150, 0xc0c0003
	s_set_vgpr_msb 0                        ;  msbs: dst=0 src0=0 src1=0 src2=0
	v_perm_b32 v150, v150, v189, 0x407030c
	v_perm_b32 v189, v189, v196, 0x7030c0c
	;; [unrolled: 1-line block ×3, first 2 shown]
	s_set_vgpr_msb 64                       ;  msbs: dst=1 src0=0 src1=0 src2=0
	v_dual_lshlrev_b32 v12 /*v268*/, 16, v187 :: v_dual_lshlrev_b32 v24 /*v280*/, 8, v197
	s_set_vgpr_msb 4                        ;  msbs: dst=0 src0=0 src1=1 src2=0
	v_dot4_i32_iu8 v156, v156, v28 /*v284*/, v192 neg_lo:[1,1,0]
	s_set_vgpr_msb 0                        ;  msbs: dst=0 src0=0 src1=0 src2=0
	v_lshlrev_b32_e32 v192, 8, v187
	s_set_vgpr_msb 0x45                     ;  msbs: dst=1 src0=1 src1=1 src2=0
	v_perm_b32 v13 /*v269*/, v13 /*v269*/, v46 /*v302*/, 0x7030c0c
	s_set_vgpr_msb 0x51                     ;  msbs: dst=1 src0=1 src1=0 src2=1
	v_dot4_i32_iu8 v16 /*v272*/, v7 /*v263*/, v254, v16 /*v272*/ neg_lo:[1,1,0]
	s_set_vgpr_msb 0x55                     ;  msbs: dst=1 src0=1 src1=1 src2=1
	v_dot4_i32_iu8 v41 /*v297*/, v7 /*v263*/, v1 /*v257*/, v42 /*v298*/ neg_lo:[1,1,0]
	s_set_vgpr_msb 0x51                     ;  msbs: dst=1 src0=1 src1=0 src2=1
	v_dot4_i32_iu8 v39 /*v295*/, v15 /*v271*/, v254, v39 /*v295*/ neg_lo:[1,1,0]
	s_set_vgpr_msb 0                        ;  msbs: dst=0 src0=0 src1=0 src2=0
	v_dot4_i32_iu8 v107, v174, v254, v107 neg_lo:[1,1,0]
	s_wait_dscnt 0x4
	v_dual_lshlrev_b32 v196, 8, v125 :: v_dual_bitop2_b32 v150, v150, v196 bitop3:0x54
	s_set_vgpr_msb 0x50                     ;  msbs: dst=1 src0=0 src1=0 src2=1
	v_dot4_i32_iu8 v42 /*v298*/, v135, v254, v50 /*v306*/ neg_lo:[1,1,0]
	s_set_vgpr_msb 0x54                     ;  msbs: dst=1 src0=0 src1=1 src2=1
	v_dot4_i32_iu8 v5 /*v261*/, v135, v1 /*v257*/, v5 /*v261*/ neg_lo:[1,1,0]
	s_set_vgpr_msb 4                        ;  msbs: dst=0 src0=0 src1=1 src2=0
	v_dot4_i32_iu8 v132, v135, v3 /*v259*/, v132 neg_lo:[1,1,0]
	s_set_vgpr_msb 1                        ;  msbs: dst=0 src0=1 src1=0 src2=0
	v_dual_lshlrev_b32 v135, 16, v157 :: v_dual_lshlrev_b32 v254, 8, v157
	v_or_b32_e32 v148, v4 /*v260*/, v148
	s_set_vgpr_msb 0x45                     ;  msbs: dst=1 src0=1 src1=1 src2=0
	v_or_b32_e32 v13 /*v269*/, v13 /*v269*/, v52 /*v308*/
	s_set_vgpr_msb 4                        ;  msbs: dst=0 src0=0 src1=1 src2=0
	v_dot4_i32_iu8 v81, v179, v30 /*v286*/, v81 neg_lo:[1,1,0]
	s_set_vgpr_msb 64                       ;  msbs: dst=1 src0=0 src1=0 src2=0
	v_perm_b32 v30 /*v286*/, v157, v157, 0xc0c0003
	s_set_vgpr_msb 0                        ;  msbs: dst=0 src0=0 src1=0 src2=0
	v_perm_b32 v145, v165, v145, 0x407030c
	v_perm_b32 v177, v177, v177, 0xc0c0c03
	s_set_vgpr_msb 64                       ;  msbs: dst=1 src0=0 src1=0 src2=0
	v_perm_b32 v51 /*v307*/, v159, v192, 0x407030c
	s_set_vgpr_msb 0x45                     ;  msbs: dst=1 src0=1 src1=1 src2=0
	v_perm_b32 v52 /*v308*/, v12 /*v268*/, v12 /*v268*/, 0xc0c0c03
	s_set_vgpr_msb 0                        ;  msbs: dst=0 src0=0 src1=0 src2=0
	v_perm_b32 v157, v135, v157, 0xc0c0700
	v_perm_b32 v135, v254, v135, 0x7030c0c
	;; [unrolled: 1-line block ×3, first 2 shown]
	s_set_vgpr_msb 64                       ;  msbs: dst=1 src0=0 src1=0 src2=0
	v_dual_lshlrev_b32 v4 /*v260*/, 8, v171 :: v_dual_lshlrev_b32 v26 /*v282*/, 8, v165
	s_set_vgpr_msb 0                        ;  msbs: dst=0 src0=0 src1=0 src2=0
	v_or_b32_e32 v145, v145, v177
	s_set_vgpr_msb 0x45                     ;  msbs: dst=1 src0=1 src1=1 src2=0
	v_or_b32_e32 v51 /*v307*/, v51 /*v307*/, v52 /*v308*/
	s_set_vgpr_msb 0                        ;  msbs: dst=0 src0=0 src1=0 src2=0
	v_or_b32_e32 v157, v254, v157
	s_wait_dscnt 0x2
	v_lshlrev_b32_e32 v254, 16, v121
	v_dot4_i32_iu8 v83, v148, v83, v170 neg_lo:[1,1,0]
	v_lshlrev_b32_e32 v148, 16, v171
	v_perm_b32 v170, v173, v172, 0x4070201
	s_set_vgpr_msb 64                       ;  msbs: dst=1 src0=0 src1=0 src2=0
	v_perm_b32 v40 /*v296*/, v171, v171, 0xc0c0003
	v_dual_lshlrev_b32 v25 /*v281*/, 8, v191 :: v_dual_lshlrev_b32 v27 /*v283*/, 16, v197
	v_perm_b32 v28 /*v284*/, v173, v172, 0x7020100
	s_set_vgpr_msb 1                        ;  msbs: dst=0 src0=1 src1=0 src2=0
	v_dot4_i32_iu8 v133, v51 /*v307*/, v170, v133 neg_lo:[1,1,0]
	s_set_vgpr_msb 0                        ;  msbs: dst=0 src0=0 src1=0 src2=0
	v_dot4_i32_iu8 v170, v145, v170, v82 neg_lo:[1,1,0]
	v_perm_b32 v82, v148, v171, 0xc0c0700
	s_set_vgpr_msb 4                        ;  msbs: dst=0 src0=0 src1=1 src2=0
	v_perm_b32 v171, v149, v4 /*v260*/, 0x7030c0c
	s_set_vgpr_msb 64                       ;  msbs: dst=1 src0=0 src1=0 src2=0
	v_perm_b32 v37 /*v293*/, v187, v187, 0xc0c0003
	s_set_vgpr_msb 1                        ;  msbs: dst=0 src0=1 src1=0 src2=0
	v_perm_b32 v187, v12 /*v268*/, v187, 0xc0c0700
	v_or_b32_e32 v193, v48 /*v304*/, v193
	s_set_vgpr_msb 64                       ;  msbs: dst=1 src0=0 src1=0 src2=0
	v_perm_b32 v48 /*v304*/, v159, v192, 0x7030c0c
	s_set_vgpr_msb 0                        ;  msbs: dst=0 src0=0 src1=0 src2=0
	v_dual_lshlrev_b32 v188, 16, v195 :: v_dual_bitop2_b32 v82, v171, v82 bitop3:0x54
	s_set_vgpr_msb 64                       ;  msbs: dst=1 src0=0 src1=0 src2=0
	v_dual_lshlrev_b32 v6 /*v262*/, 8, v195 :: v_dual_lshlrev_b32 v23 /*v279*/, 16, v165
	v_perm_b32 v22 /*v278*/, v191, v191, 0xc0c0003
	s_set_vgpr_msb 0                        ;  msbs: dst=0 src0=0 src1=0 src2=0
	v_perm_b32 v191, v186, v191, 0xc0c0700
	s_set_vgpr_msb 1                        ;  msbs: dst=0 src0=1 src1=0 src2=0
	v_or_b32_e32 v187, v48 /*v304*/, v187
	s_set_vgpr_msb 0x44                     ;  msbs: dst=1 src0=0 src1=1 src2=0
	v_perm_b32 v48 /*v304*/, v155, v25 /*v281*/, 0x7030c0c
	v_dot4_i32_iu8 v28 /*v284*/, v82, v28 /*v284*/, v83 neg_lo:[1,1,0]
	s_set_vgpr_msb 0                        ;  msbs: dst=0 src0=0 src1=0 src2=0
	v_perm_b32 v82, v160, v160, 0xc0c0201
	v_perm_b32 v83, v161, v161, 0x4030c0c
	s_set_vgpr_msb 64                       ;  msbs: dst=1 src0=0 src1=0 src2=0
	v_perm_b32 v38 /*v294*/, v195, v195, 0xc0c0003
	s_set_vgpr_msb 0                        ;  msbs: dst=0 src0=0 src1=0 src2=0
	v_perm_b32 v195, v188, v195, 0xc0c0700
	s_set_vgpr_msb 1                        ;  msbs: dst=0 src0=1 src1=0 src2=0
	v_or_b32_e32 v191, v48 /*v304*/, v191
	s_set_vgpr_msb 0x44                     ;  msbs: dst=1 src0=0 src1=1 src2=0
	v_perm_b32 v48 /*v304*/, v153, v6 /*v262*/, 0x7030c0c
	s_set_vgpr_msb 64                       ;  msbs: dst=1 src0=0 src1=0 src2=0
	v_or_b32_e32 v66 /*v322*/, v83, v82
	s_set_vgpr_msb 0                        ;  msbs: dst=0 src0=0 src1=0 src2=0
	ds_load_2addr_b32 v[82:83], v239 offset1:7
	s_set_vgpr_msb 5                        ;  msbs: dst=0 src0=1 src1=1 src2=0
	v_perm_b32 v177, v27 /*v283*/, v27 /*v283*/, 0xc0c0c03
	v_dot4_i32_iu8 v139, v7 /*v263*/, v3 /*v259*/, v139 neg_lo:[1,1,0]
	s_set_vgpr_msb 1                        ;  msbs: dst=0 src0=1 src1=0 src2=0
	v_or_b32_e32 v195, v48 /*v304*/, v195
	s_set_vgpr_msb 64                       ;  msbs: dst=1 src0=0 src1=0 src2=0
	v_perm_b32 v48 /*v304*/, v175, v175, 0xc0c0003
	s_set_vgpr_msb 4                        ;  msbs: dst=0 src0=0 src1=1 src2=0
	v_perm_b32 v175, v175, v24 /*v280*/, 0x407030c
	s_set_vgpr_msb 0x55                     ;  msbs: dst=1 src0=1 src1=1 src2=1
	v_dot4_i32_iu8 v11 /*v267*/, v13 /*v269*/, v1 /*v257*/, v11 /*v267*/ neg_lo:[1,1,0]
	s_set_vgpr_msb 5                        ;  msbs: dst=0 src0=1 src1=1 src2=0
	v_dot4_i32_iu8 v143, v13 /*v269*/, v3 /*v259*/, v143 neg_lo:[1,1,0]
	s_set_vgpr_msb 0x55                     ;  msbs: dst=1 src0=1 src1=1 src2=1
	v_dot4_i32_iu8 v14 /*v270*/, v15 /*v271*/, v1 /*v257*/, v14 /*v270*/ neg_lo:[1,1,0]
	s_set_vgpr_msb 5                        ;  msbs: dst=0 src0=1 src1=1 src2=0
	v_dot4_i32_iu8 v141, v15 /*v271*/, v3 /*v259*/, v141 neg_lo:[1,1,0]
	s_set_vgpr_msb 4                        ;  msbs: dst=0 src0=0 src1=1 src2=0
	v_dot4_i32_iu8 v151, v174, v3 /*v259*/, v151 neg_lo:[1,1,0]
	s_set_vgpr_msb 0                        ;  msbs: dst=0 src0=0 src1=0 src2=0
	v_lshlrev_b32_e32 v174, 16, v159
	s_set_vgpr_msb 64                       ;  msbs: dst=1 src0=0 src1=0 src2=0
	v_dual_lshlrev_b32 v1 /*v257*/, 8, v159 :: v_dual_lshlrev_b32 v44 /*v300*/, 16, v153
	v_dual_lshlrev_b32 v3 /*v259*/, 8, v155 :: v_dual_lshlrev_b32 v18 /*v274*/, 8, v153
	s_set_vgpr_msb 0x44                     ;  msbs: dst=1 src0=0 src1=1 src2=0
	v_perm_b32 v52 /*v308*/, v149, v4 /*v260*/, 0x407030c
	s_set_vgpr_msb 0                        ;  msbs: dst=0 src0=0 src1=0 src2=0
	v_or_b32_e32 v175, v175, v177
	v_perm_b32 v177, v148, v148, 0xc0c0c03
	v_lshlrev_b32_e32 v171, 8, v140
	s_set_vgpr_msb 4                        ;  msbs: dst=0 src0=0 src1=1 src2=0
	v_perm_b32 v192, v192, v12 /*v268*/, 0x7030c0c
	s_set_vgpr_msb 64                       ;  msbs: dst=1 src0=0 src1=0 src2=0
	v_perm_b32 v21 /*v277*/, v182, v182, 0xc0c0302
	v_perm_b32 v2 /*v258*/, v184, v184, 0xc0c0302
	;; [unrolled: 1-line block ×3, first 2 shown]
	s_set_vgpr_msb 0                        ;  msbs: dst=0 src0=0 src1=0 src2=0
	v_perm_b32 v197, v197, v197, 0xc0c0003
	v_perm_b32 v172, v172, v172, 0x2010003
	;; [unrolled: 1-line block ×4, first 2 shown]
	s_set_vgpr_msb 64                       ;  msbs: dst=1 src0=0 src1=0 src2=0
	v_perm_b32 v45 /*v301*/, v159, v159, 0xc0c0003
	v_perm_b32 v46 /*v302*/, v155, v155, 0xc0c0003
	;; [unrolled: 1-line block ×3, first 2 shown]
	s_set_vgpr_msb 1                        ;  msbs: dst=0 src0=1 src1=0 src2=0
	v_or_b32_e32 v177, v52 /*v308*/, v177
	s_set_vgpr_msb 0x45                     ;  msbs: dst=1 src0=1 src1=1 src2=0
	v_perm_b32 v24 /*v280*/, v24 /*v280*/, v27 /*v283*/, 0x7030c0c
	s_set_vgpr_msb 1                        ;  msbs: dst=0 src0=1 src1=0 src2=0
	v_perm_b32 v148, v4 /*v260*/, v148, 0x7030c0c
	s_set_vgpr_msb 4                        ;  msbs: dst=0 src0=0 src1=1 src2=0
	v_or_b32_e32 v164, v164, v29 /*v285*/
	v_or_b32_e32 v192, v192, v37 /*v293*/
	s_set_vgpr_msb 64                       ;  msbs: dst=1 src0=0 src1=0 src2=0
	v_perm_b32 v56 /*v312*/, v140, v140, 0xc0c0003
	s_set_vgpr_msb 0                        ;  msbs: dst=0 src0=0 src1=0 src2=0
	v_perm_b32 v155, v194, v155, 0xc0c0700
	s_set_vgpr_msb 1                        ;  msbs: dst=0 src0=1 src1=0 src2=0
	v_perm_b32 v153, v44 /*v300*/, v153, 0xc0c0700
	s_set_vgpr_msb 0x44                     ;  msbs: dst=1 src0=0 src1=1 src2=0
	v_perm_b32 v60 /*v316*/, v142, v1 /*v257*/, 0x7030c0c
	v_perm_b32 v61 /*v317*/, v142, v1 /*v257*/, 0x407030c
	s_set_vgpr_msb 0x45                     ;  msbs: dst=1 src0=1 src1=1 src2=0
	v_perm_b32 v44 /*v300*/, v18 /*v274*/, v44 /*v300*/, 0x7030c0c
	s_set_vgpr_msb 0x44                     ;  msbs: dst=1 src0=0 src1=1 src2=0
	v_perm_b32 v18 /*v274*/, v144, v18 /*v274*/, 0x7030c0c
	s_set_vgpr_msb 1                        ;  msbs: dst=0 src0=1 src1=0 src2=0
	v_perm_b32 v194, v3 /*v259*/, v194, 0x7030c0c
	s_set_vgpr_msb 0x44                     ;  msbs: dst=1 src0=0 src1=1 src2=0
	v_perm_b32 v3 /*v259*/, v140, v3 /*v259*/, 0x7030c0c
	s_set_vgpr_msb 1                        ;  msbs: dst=0 src0=1 src1=0 src2=0
	v_perm_b32 v140, v34 /*v290*/, v140, 0xc0c0700
	s_set_vgpr_msb 0x41                     ;  msbs: dst=1 src0=1 src1=0 src2=0
	v_perm_b32 v1 /*v257*/, v1 /*v257*/, v174, 0x7030c0c
	s_set_vgpr_msb 0x44                     ;  msbs: dst=1 src0=0 src1=1 src2=0
	v_perm_b32 v34 /*v290*/, v171, v34 /*v290*/, 0x7030c0c
	s_wait_dscnt 0x2
	s_set_vgpr_msb 0                        ;  msbs: dst=0 src0=0 src1=0 src2=0
	v_perm_b32 v171, v123, v171, 0x7030c0c
	s_set_vgpr_msb 0x54                     ;  msbs: dst=1 src0=0 src1=1 src2=1
	v_dot4_i32_iu8 v0 /*v256*/, v179, v21 /*v277*/, v0 /*v256*/ neg_lo:[1,1,0]
	s_set_vgpr_msb 64                       ;  msbs: dst=1 src0=0 src1=0 src2=0
	v_lshlrev_b32_e32 v21 /*v277*/, 8, v149
	s_set_vgpr_msb 4                        ;  msbs: dst=0 src0=0 src1=1 src2=0
	v_dot4_i32_iu8 v156, v193, v31 /*v287*/, v156 neg_lo:[1,1,0]
	v_dot4_i32_iu8 v158, v187, v31 /*v287*/, v158 neg_lo:[1,1,0]
	;; [unrolled: 1-line block ×4, first 2 shown]
	s_set_vgpr_msb 64                       ;  msbs: dst=1 src0=0 src1=0 src2=0
	v_dual_lshlrev_b32 v31 /*v287*/, 16, v146 :: v_dual_lshlrev_b32 v49 /*v305*/, 8, v146
	s_set_vgpr_msb 20                       ;  msbs: dst=0 src0=0 src1=1 src2=1
	v_dot4_i32_iu8 v145, v145, v32 /*v288*/, v17 /*v273*/ neg_lo:[1,1,0]
	v_dot4_i32_iu8 v175, v175, v32 /*v288*/, v19 /*v275*/ neg_lo:[1,1,0]
	s_set_vgpr_msb 4                        ;  msbs: dst=0 src0=0 src1=1 src2=0
	v_dot4_i32_iu8 v177, v177, v32 /*v288*/, v253 neg_lo:[1,1,0]
	s_set_vgpr_msb 64                       ;  msbs: dst=1 src0=0 src1=0 src2=0
	v_dual_lshlrev_b32 v32 /*v288*/, 8, v144 :: v_dual_lshlrev_b32 v12 /*v268*/, 8, v134
	s_set_vgpr_msb 1                        ;  msbs: dst=0 src0=1 src1=0 src2=0
	v_perm_b32 v186, v25 /*v281*/, v186, 0x7030c0c
	s_set_vgpr_msb 64                       ;  msbs: dst=1 src0=0 src1=0 src2=0
	v_dual_lshlrev_b32 v25 /*v281*/, 16, v134 :: v_dual_lshlrev_b32 v63 /*v319*/, 8, v137
	s_set_vgpr_msb 1                        ;  msbs: dst=0 src0=1 src1=0 src2=0
	v_perm_b32 v188, v6 /*v262*/, v188, 0x7030c0c
	v_or_b32_e32 v197, v24 /*v280*/, v197
	s_set_vgpr_msb 64                       ;  msbs: dst=1 src0=0 src1=0 src2=0
	v_perm_b32 v24 /*v280*/, v118, v167, 0x4020c0c
	s_set_vgpr_msb 4                        ;  msbs: dst=0 src0=0 src1=1 src2=0
	v_or_b32_e32 v148, v148, v40 /*v296*/
	s_set_vgpr_msb 0x50                     ;  msbs: dst=1 src0=0 src1=0 src2=1
	v_perm_b32 v40 /*v296*/, v167, v167, 0xc0c0100
	v_dot4_i32_iu8 v16 /*v272*/, v164, v172, v16 /*v272*/ neg_lo:[1,1,0]
	v_dot4_i32_iu8 v41 /*v297*/, v164, v182, v41 /*v297*/ neg_lo:[1,1,0]
	s_set_vgpr_msb 0                        ;  msbs: dst=0 src0=0 src1=0 src2=0
	v_dot4_i32_iu8 v139, v164, v184, v139 neg_lo:[1,1,0]
	v_perm_b32 v164, v114, v163, 0x4020c0c
	s_set_vgpr_msb 0x50                     ;  msbs: dst=1 src0=0 src1=0 src2=1
	v_dot4_i32_iu8 v11 /*v267*/, v192, v182, v11 /*v267*/ neg_lo:[1,1,0]
	s_set_vgpr_msb 0                        ;  msbs: dst=0 src0=0 src1=0 src2=0
	v_dot4_i32_iu8 v143, v192, v184, v143 neg_lo:[1,1,0]
	v_perm_b32 v192, v163, v163, 0xc0c0100
	s_set_vgpr_msb 1                        ;  msbs: dst=0 src0=1 src1=0 src2=0
	v_perm_b32 v165, v23 /*v279*/, v165, 0xc0c0700
	s_set_vgpr_msb 0x44                     ;  msbs: dst=1 src0=0 src1=1 src2=0
	v_perm_b32 v54 /*v310*/, v146, v26 /*v282*/, 0x7030c0c
	s_set_vgpr_msb 0                        ;  msbs: dst=0 src0=0 src1=0 src2=0
	v_perm_b32 v159, v174, v159, 0xc0c0700
	s_set_vgpr_msb 0x44                     ;  msbs: dst=1 src0=0 src1=1 src2=0
	v_perm_b32 v26 /*v282*/, v146, v26 /*v282*/, 0x407030c
	s_set_vgpr_msb 1                        ;  msbs: dst=0 src0=1 src1=0 src2=0
	v_or_b32_e32 v155, v3 /*v259*/, v155
	s_wait_dscnt 0x0
	s_set_vgpr_msb 64                       ;  msbs: dst=1 src0=0 src1=0 src2=0
	v_lshlrev_b32_e32 v3 /*v259*/, 8, v83
	s_set_vgpr_msb 1                        ;  msbs: dst=0 src0=1 src1=0 src2=0
	v_or_b32_e32 v153, v18 /*v274*/, v153
	s_set_vgpr_msb 64                       ;  msbs: dst=1 src0=0 src1=0 src2=0
	v_lshlrev_b32_e32 v18 /*v274*/, 16, v83
	s_set_vgpr_msb 0x45                     ;  msbs: dst=1 src0=1 src1=1 src2=0
	v_perm_b32 v23 /*v279*/, v23 /*v279*/, v23 /*v279*/, 0xc0c0c03
	v_or_b32_e32 v1 /*v257*/, v1 /*v257*/, v45 /*v301*/
	s_set_vgpr_msb 64                       ;  msbs: dst=1 src0=0 src1=0 src2=0
	v_perm_b32 v45 /*v301*/, v83, v83, 0xc0c0003
	s_set_vgpr_msb 0                        ;  msbs: dst=0 src0=0 src1=0 src2=0
	v_or_b32_e32 v140, v171, v140
	s_set_vgpr_msb 4                        ;  msbs: dst=0 src0=0 src1=1 src2=0
	v_perm_b32 v83, v83, v36 /*v292*/, 0x407030c
	s_set_vgpr_msb 5                        ;  msbs: dst=0 src0=1 src1=1 src2=0
	v_perm_b32 v171, v36 /*v292*/, v10 /*v266*/, 0x7030c0c
	s_set_vgpr_msb 0x45                     ;  msbs: dst=1 src0=1 src1=1 src2=0
	v_perm_b32 v10 /*v266*/, v10 /*v266*/, v10 /*v266*/, 0xc0c0c03
	s_set_vgpr_msb 0x54                     ;  msbs: dst=1 src0=0 src1=1 src2=1
	v_dot4_i32_iu8 v2 /*v258*/, v179, v2 /*v258*/, v9 /*v265*/ neg_lo:[1,1,0]
	s_set_vgpr_msb 64                       ;  msbs: dst=1 src0=0 src1=0 src2=0
	v_lshlrev_b32_e32 v9 /*v265*/, 16, v149
	s_set_vgpr_msb 4                        ;  msbs: dst=0 src0=0 src1=1 src2=0
	v_or_b32_e32 v186, v186, v22 /*v278*/
	v_or_b32_e32 v188, v188, v38 /*v294*/
	s_set_vgpr_msb 64                       ;  msbs: dst=1 src0=0 src1=0 src2=0
	v_perm_b32 v59 /*v315*/, v134, v134, 0xc0c0003
	v_perm_b32 v64 /*v320*/, v136, v136, 0xc030201
	s_set_vgpr_msb 0x44                     ;  msbs: dst=1 src0=0 src1=1 src2=0
	v_perm_b32 v65 /*v321*/, v134, v21 /*v277*/, 0x407030c
	v_perm_b32 v67 /*v323*/, v134, v21 /*v277*/, 0x7030c0c
	s_set_vgpr_msb 1                        ;  msbs: dst=0 src0=1 src1=0 src2=0
	v_perm_b32 v134, v25 /*v281*/, v134, 0xc0c0700
	s_set_vgpr_msb 64                       ;  msbs: dst=1 src0=0 src1=0 src2=0
	v_perm_b32 v68 /*v324*/, v136, v136, 0xc0c0302
	s_set_vgpr_msb 0x45                     ;  msbs: dst=1 src0=1 src1=1 src2=0
	v_or_b32_e32 v24 /*v280*/, v24 /*v280*/, v40 /*v296*/
	s_set_vgpr_msb 0x44                     ;  msbs: dst=1 src0=0 src1=1 src2=0
	v_perm_b32 v40 /*v296*/, v137, v49 /*v305*/, 0x7030c0c
	v_perm_b32 v49 /*v305*/, v137, v49 /*v305*/, 0x407030c
	s_set_vgpr_msb 0                        ;  msbs: dst=0 src0=0 src1=0 src2=0
	v_or_b32_e32 v164, v164, v192
	s_set_vgpr_msb 4                        ;  msbs: dst=0 src0=0 src1=1 src2=0
	v_perm_b32 v192, v136, v63 /*v319*/, 0x4030c0c
	v_perm_b32 v136, v136, v63 /*v319*/, 0x504030c
	s_set_vgpr_msb 1                        ;  msbs: dst=0 src0=1 src1=0 src2=0
	v_perm_b32 v137, v62 /*v318*/, v137, 0xc0c0700
	s_set_vgpr_msb 0                        ;  msbs: dst=0 src0=0 src1=0 src2=0
	v_perm_b32 v239, v252, v252, 0xc0c0c03
	s_set_vgpr_msb 1                        ;  msbs: dst=0 src0=1 src1=0 src2=0
	v_or_b32_e32 v159, v60 /*v316*/, v159
	s_set_vgpr_msb 0x45                     ;  msbs: dst=1 src0=1 src1=1 src2=0
	v_or_b32_e32 v23 /*v279*/, v26 /*v282*/, v23 /*v279*/
	s_set_vgpr_msb 64                       ;  msbs: dst=1 src0=0 src1=0 src2=0
	v_lshlrev_b32_e32 v26 /*v282*/, 8, v129
	s_set_vgpr_msb 0                        ;  msbs: dst=0 src0=0 src1=0 src2=0
	v_perm_b32 v174, v174, v174, 0xc0c0c03
	s_set_vgpr_msb 64                       ;  msbs: dst=1 src0=0 src1=0 src2=0
	v_lshlrev_b32_e32 v60 /*v316*/, 16, v129
	s_set_vgpr_msb 4                        ;  msbs: dst=0 src0=0 src1=1 src2=0
	v_or_b32_e32 v83, v83, v10 /*v266*/
	s_set_vgpr_msb 0x45                     ;  msbs: dst=1 src0=1 src1=1 src2=0
	v_perm_b32 v10 /*v266*/, v25 /*v281*/, v25 /*v281*/, 0xc0c0c03
	v_perm_b32 v25 /*v281*/, v12 /*v268*/, v25 /*v281*/, 0x7030c0c
	s_set_vgpr_msb 4                        ;  msbs: dst=0 src0=0 src1=1 src2=0
	v_or_b32_e32 v171, v171, v58 /*v314*/
	s_set_vgpr_msb 0x45                     ;  msbs: dst=1 src0=1 src1=1 src2=0
	v_perm_b32 v58 /*v314*/, v62 /*v318*/, v62 /*v318*/, 0xc0c0c03
	s_set_vgpr_msb 0                        ;  msbs: dst=0 src0=0 src1=0 src2=0
	v_perm_b32 v190, v162, v183, 0x7020100
	s_set_vgpr_msb 64                       ;  msbs: dst=1 src0=0 src1=0 src2=0
	v_perm_b32 v20 /*v276*/, v166, v185, 0x7020100
	v_perm_b32 v7 /*v263*/, v183, v183, 0xc0c0100
	;; [unrolled: 1-line block ×4, first 2 shown]
	s_set_vgpr_msb 4                        ;  msbs: dst=0 src0=0 src1=1 src2=0
	v_dot4_i32_iu8 v168, v179, v8 /*v264*/, v168 neg_lo:[1,1,0]
	s_set_vgpr_msb 0                        ;  msbs: dst=0 src0=0 src1=0 src2=0
	v_perm_b32 v193, v149, v149, 0xc0c0003
	s_set_vgpr_msb 64                       ;  msbs: dst=1 src0=0 src1=0 src2=0
	v_dual_lshlrev_b32 v51 /*v307*/, 16, v142 :: v_dual_lshlrev_b32 v53 /*v309*/, 8, v142
	v_dual_lshlrev_b32 v17 /*v273*/, 16, v138 :: v_dual_lshlrev_b32 v19 /*v275*/, 8, v138
	s_set_vgpr_msb 0                        ;  msbs: dst=0 src0=0 src1=0 src2=0
	v_lshlrev_b32_e32 v253, 16, v144
	s_set_vgpr_msb 0x50                     ;  msbs: dst=1 src0=0 src1=0 src2=1
	v_dot4_i32_iu8 v39 /*v295*/, v186, v172, v39 /*v295*/ neg_lo:[1,1,0]
	v_dot4_i32_iu8 v42 /*v298*/, v188, v172, v42 /*v298*/ neg_lo:[1,1,0]
	s_set_vgpr_msb 0                        ;  msbs: dst=0 src0=0 src1=0 src2=0
	v_dot4_i32_iu8 v107, v197, v172, v107 neg_lo:[1,1,0]
	v_perm_b32 v172, v128, v161, 0x4020c0c
	s_set_vgpr_msb 0x50                     ;  msbs: dst=1 src0=0 src1=0 src2=1
	v_dot4_i32_iu8 v43 /*v299*/, v197, v182, v43 /*v299*/ neg_lo:[1,1,0]
	s_set_vgpr_msb 0                        ;  msbs: dst=0 src0=0 src1=0 src2=0
	v_dot4_i32_iu8 v151, v197, v184, v151 neg_lo:[1,1,0]
	v_perm_b32 v197, v161, v161, 0xc0c0100
	s_set_vgpr_msb 1                        ;  msbs: dst=0 src0=1 src1=0 src2=0
	v_or_b32_e32 v165, v54 /*v310*/, v165
	v_perm_b32 v149, v9 /*v265*/, v149, 0xc0c0700
	v_perm_b32 v146, v31 /*v287*/, v146, 0xc0c0700
	s_set_vgpr_msb 0                        ;  msbs: dst=0 src0=0 src1=0 src2=0
	v_dual_lshlrev_b32 v239, 16, v125 :: v_dual_bitop2_b32 v169, v169, v239 bitop3:0x54
	s_set_vgpr_msb 1                        ;  msbs: dst=0 src0=1 src1=0 src2=0
	v_or_b32_e32 v174, v61 /*v317*/, v174
	s_set_vgpr_msb 0x45                     ;  msbs: dst=1 src0=1 src1=1 src2=0
	v_perm_b32 v21 /*v277*/, v21 /*v277*/, v9 /*v265*/, 0x7030c0c
	v_perm_b32 v9 /*v265*/, v9 /*v265*/, v9 /*v265*/, 0xc0c0c03
	s_set_vgpr_msb 64                       ;  msbs: dst=1 src0=0 src1=0 src2=0
	v_lshlrev_b32_e32 v61 /*v317*/, 8, v127
	s_set_vgpr_msb 0x45                     ;  msbs: dst=1 src0=1 src1=1 src2=0
	v_perm_b32 v31 /*v287*/, v31 /*v287*/, v31 /*v287*/, 0xc0c0c03
	v_or_b32_e32 v25 /*v281*/, v25 /*v281*/, v59 /*v315*/
	s_set_vgpr_msb 0x44                     ;  msbs: dst=1 src0=0 src1=1 src2=0
	v_perm_b32 v59 /*v315*/, v82, v3 /*v259*/, 0x504030c
	s_set_vgpr_msb 0x45                     ;  msbs: dst=1 src0=1 src1=1 src2=0
	v_perm_b32 v3 /*v259*/, v3 /*v259*/, v18 /*v274*/, 0x7030c0c
	v_perm_b32 v18 /*v274*/, v18 /*v274*/, v18 /*v274*/, 0xc0c0c03
	s_set_vgpr_msb 0                        ;  msbs: dst=0 src0=0 src1=0 src2=0
	v_or_b32_e32 v137, v192, v137
	s_set_vgpr_msb 4                        ;  msbs: dst=0 src0=0 src1=1 src2=0
	v_perm_b32 v192, v128, v26 /*v282*/, 0x504030c
	v_or_b32_e32 v136, v136, v58 /*v314*/
	s_set_vgpr_msb 0x45                     ;  msbs: dst=1 src0=1 src1=1 src2=0
	v_perm_b32 v58 /*v314*/, v60 /*v316*/, v60 /*v316*/, 0xc0c0c03
	s_set_vgpr_msb 64                       ;  msbs: dst=1 src0=0 src1=0 src2=0
	v_perm_b32 v8 /*v264*/, v160, v173, 0x4070201
	s_set_vgpr_msb 0                        ;  msbs: dst=0 src0=0 src1=0 src2=0
	v_perm_b32 v179, v160, v173, 0x7020100
	v_perm_b32 v187, v173, v173, 0x2010003
	;; [unrolled: 1-line block ×6, first 2 shown]
	s_set_vgpr_msb 64                       ;  msbs: dst=1 src0=0 src1=0 src2=0
	v_perm_b32 v50 /*v306*/, v163, v162, 0x7020100
	s_set_vgpr_msb 0                        ;  msbs: dst=0 src0=0 src1=0 src2=0
	v_perm_b32 v173, v173, v173, 0xc0c0302
	s_set_vgpr_msb 0x50                     ;  msbs: dst=1 src0=0 src1=0 src2=1
	v_perm_b32 v52 /*v308*/, v167, v166, 0x7020100
	v_dot4_i32_iu8 v14 /*v270*/, v186, v182, v14 /*v270*/ neg_lo:[1,1,0]
	s_set_vgpr_msb 0                        ;  msbs: dst=0 src0=0 src1=0 src2=0
	v_dot4_i32_iu8 v141, v186, v184, v141 neg_lo:[1,1,0]
	s_set_vgpr_msb 0x50                     ;  msbs: dst=1 src0=0 src1=0 src2=1
	v_dot4_i32_iu8 v5 /*v261*/, v188, v182, v5 /*v261*/ neg_lo:[1,1,0]
	s_set_vgpr_msb 0                        ;  msbs: dst=0 src0=0 src1=0 src2=0
	v_dot4_i32_iu8 v132, v188, v184, v132 neg_lo:[1,1,0]
	v_dot4_i32_iu8 v115, v148, v182, v115 neg_lo:[1,1,0]
	;; [unrolled: 1-line block ×4, first 2 shown]
	s_set_vgpr_msb 4                        ;  msbs: dst=0 src0=0 src1=1 src2=0
	v_dot4_i32_iu8 v147, v165, v20 /*v276*/, v147 neg_lo:[1,1,0]
	s_set_vgpr_msb 64                       ;  msbs: dst=1 src0=0 src1=0 src2=0
	v_perm_b32 v54 /*v310*/, v138, v138, 0xc0c0003
	v_perm_b32 v55 /*v311*/, v142, v142, 0xc0c0003
	;; [unrolled: 1-line block ×3, first 2 shown]
	s_set_vgpr_msb 1                        ;  msbs: dst=0 src0=1 src1=0 src2=0
	v_perm_b32 v142, v51 /*v307*/, v142, 0xc0c0700
	v_perm_b32 v138, v17 /*v273*/, v138, 0xc0c0700
	s_set_vgpr_msb 0                        ;  msbs: dst=0 src0=0 src1=0 src2=0
	v_perm_b32 v144, v253, v144, 0xc0c0700
	v_dual_lshlrev_b32 v197, 16, v127 :: v_dual_bitop2_b32 v172, v172, v197 bitop3:0x54
	v_lshlrev_b32_e32 v252, 16, v123
	s_set_vgpr_msb 0x45                     ;  msbs: dst=1 src0=1 src1=1 src2=0
	v_or_b32_e32 v9 /*v265*/, v65 /*v321*/, v9 /*v265*/
	s_set_vgpr_msb 1                        ;  msbs: dst=0 src0=1 src1=0 src2=0
	v_or_b32_e32 v149, v67 /*v323*/, v149
	s_set_vgpr_msb 64                       ;  msbs: dst=1 src0=0 src1=0 src2=0
	v_lshlrev_b32_e32 v63 /*v319*/, 8, v123
	s_set_vgpr_msb 4                        ;  msbs: dst=0 src0=0 src1=1 src2=0
	v_or_b32_e32 v135, v135, v30 /*v286*/
	s_set_vgpr_msb 64                       ;  msbs: dst=1 src0=0 src1=0 src2=0
	v_lshlrev_b32_e32 v30 /*v286*/, 8, v121
	s_set_vgpr_msb 4                        ;  msbs: dst=0 src0=0 src1=1 src2=0
	v_or_b32_e32 v194, v194, v46 /*v302*/
	s_set_vgpr_msb 0x45                     ;  msbs: dst=1 src0=1 src1=1 src2=0
	v_or_b32_e32 v44 /*v300*/, v44 /*v300*/, v47 /*v303*/
	s_set_vgpr_msb 4                        ;  msbs: dst=0 src0=0 src1=1 src2=0
	v_or_b32_e32 v189, v189, v48 /*v304*/
	s_set_vgpr_msb 1                        ;  msbs: dst=0 src0=1 src1=0 src2=0
	v_or_b32_e32 v193, v21 /*v277*/, v193
	v_or_b32_e32 v146, v40 /*v296*/, v146
	s_set_vgpr_msb 0x44                     ;  msbs: dst=1 src0=0 src1=1 src2=0
	v_perm_b32 v40 /*v296*/, v125, v53 /*v309*/, 0x7030c0c
	s_set_vgpr_msb 0x45                     ;  msbs: dst=1 src0=1 src1=1 src2=0
	v_perm_b32 v17 /*v273*/, v19 /*v275*/, v17 /*v273*/, 0x7030c0c
	s_set_vgpr_msb 0x44                     ;  msbs: dst=1 src0=0 src1=1 src2=0
	v_perm_b32 v19 /*v275*/, v127, v19 /*v275*/, 0x7030c0c
	s_set_vgpr_msb 1                        ;  msbs: dst=0 src0=1 src1=0 src2=0
	v_perm_b32 v253, v32 /*v288*/, v253, 0x7030c0c
	s_set_vgpr_msb 0x44                     ;  msbs: dst=1 src0=0 src1=1 src2=0
	v_perm_b32 v32 /*v288*/, v121, v32 /*v288*/, 0x7030c0c
	s_set_vgpr_msb 0x45                     ;  msbs: dst=1 src0=1 src1=1 src2=0
	v_or_b32_e32 v31 /*v287*/, v49 /*v305*/, v31 /*v287*/
	s_set_vgpr_msb 0x44                     ;  msbs: dst=1 src0=0 src1=1 src2=0
	v_perm_b32 v36 /*v292*/, v129, v12 /*v268*/, 0x407030c
	s_set_vgpr_msb 0x45                     ;  msbs: dst=1 src0=1 src1=1 src2=0
	v_perm_b32 v49 /*v305*/, v53 /*v309*/, v51 /*v307*/, 0x7030c0c
	s_set_vgpr_msb 0x44                     ;  msbs: dst=1 src0=0 src1=1 src2=0
	v_perm_b32 v12 /*v268*/, v129, v12 /*v268*/, 0x7030c0c
	s_set_vgpr_msb 0x45                     ;  msbs: dst=1 src0=1 src1=1 src2=0
	v_or_b32_e32 v18 /*v274*/, v59 /*v315*/, v18 /*v274*/
	s_set_vgpr_msb 64                       ;  msbs: dst=1 src0=0 src1=0 src2=0
	v_perm_b32 v59 /*v315*/, v124, v196, 0x504030c
	s_set_vgpr_msb 4                        ;  msbs: dst=0 src0=0 src1=1 src2=0
	v_or_b32_e32 v192, v192, v58 /*v314*/
	s_set_vgpr_msb 64                       ;  msbs: dst=1 src0=0 src1=0 src2=0
	v_perm_b32 v58 /*v314*/, v239, v239, 0xc0c0c03
	s_set_vgpr_msb 0x54                     ;  msbs: dst=1 src0=0 src1=1 src2=1
	v_dot4_i32_iu8 v0 /*v256*/, v178, v7 /*v263*/, v0 /*v256*/ neg_lo:[1,1,0]
	v_dot4_i32_iu8 v2 /*v258*/, v178, v13 /*v269*/, v2 /*v258*/ neg_lo:[1,1,0]
	s_set_vgpr_msb 4                        ;  msbs: dst=0 src0=0 src1=1 src2=0
	v_dot4_i32_iu8 v168, v178, v15 /*v271*/, v168 neg_lo:[1,1,0]
	s_set_vgpr_msb 0                        ;  msbs: dst=0 src0=0 src1=0 src2=0
	v_dot4_i32_iu8 v81, v178, v251, v81 neg_lo:[1,1,0]
	s_set_vgpr_msb 64                       ;  msbs: dst=1 src0=0 src1=0 src2=0
	v_perm_b32 v6 /*v262*/, v161, v160, 0x7020100
	v_perm_b32 v27 /*v283*/, v160, v160, 0x2010003
	;; [unrolled: 1-line block ×7, first 2 shown]
	s_set_vgpr_msb 0                        ;  msbs: dst=0 src0=0 src1=0 src2=0
	v_perm_b32 v186, v106, v161, 0x504020c
	v_perm_b32 v188, v161, v161, 0xc0c0c01
	s_set_vgpr_msb 64                       ;  msbs: dst=1 src0=0 src1=0 src2=0
	v_perm_b32 v46 /*v302*/, v127, v127, 0xc0c0003
	v_perm_b32 v47 /*v303*/, v125, v125, 0xc0c0003
	;; [unrolled: 1-line block ×4, first 2 shown]
	s_set_vgpr_msb 1                        ;  msbs: dst=0 src0=1 src1=0 src2=0
	v_or_b32_e32 v142, v40 /*v296*/, v142
	s_set_vgpr_msb 64                       ;  msbs: dst=1 src0=0 src1=0 src2=0
	v_perm_b32 v40 /*v296*/, v129, v129, 0xc0c0003
	s_set_vgpr_msb 1                        ;  msbs: dst=0 src0=1 src1=0 src2=0
	v_or_b32_e32 v138, v19 /*v275*/, v138
	v_or_b32_e32 v144, v32 /*v288*/, v144
	s_set_vgpr_msb 0x45                     ;  msbs: dst=1 src0=1 src1=1 src2=0
	v_or_b32_e32 v10 /*v266*/, v36 /*v292*/, v10 /*v266*/
	s_set_vgpr_msb 0x44                     ;  msbs: dst=1 src0=0 src1=1 src2=0
	v_perm_b32 v36 /*v292*/, v125, v53 /*v309*/, 0x407030c
	s_set_vgpr_msb 0x45                     ;  msbs: dst=1 src0=1 src1=1 src2=0
	v_perm_b32 v51 /*v307*/, v51 /*v307*/, v51 /*v307*/, 0xc0c0c03
	s_set_vgpr_msb 1                        ;  msbs: dst=0 src0=1 src1=0 src2=0
	v_or_b32_e32 v134, v12 /*v268*/, v134
	s_set_vgpr_msb 0x45                     ;  msbs: dst=1 src0=1 src1=1 src2=0
	v_or_b32_e32 v17 /*v273*/, v17 /*v273*/, v54 /*v310*/
	v_or_b32_e32 v49 /*v305*/, v49 /*v305*/, v55 /*v311*/
	v_or_b32_e32 v34 /*v290*/, v34 /*v290*/, v56 /*v312*/
	s_set_vgpr_msb 4                        ;  msbs: dst=0 src0=0 src1=1 src2=0
	v_or_b32_e32 v253, v253, v57 /*v313*/
	s_set_vgpr_msb 0x45                     ;  msbs: dst=1 src0=1 src1=1 src2=0
	v_or_b32_e32 v58 /*v314*/, v59 /*v315*/, v58 /*v314*/
	s_set_vgpr_msb 0x44                     ;  msbs: dst=1 src0=0 src1=1 src2=0
	v_perm_b32 v59 /*v315*/, v106, v26 /*v282*/, 0x4030c0c
	s_set_vgpr_msb 0x45                     ;  msbs: dst=1 src0=1 src1=1 src2=0
	v_perm_b32 v26 /*v282*/, v26 /*v282*/, v60 /*v316*/, 0x7030c0c
	s_set_vgpr_msb 1                        ;  msbs: dst=0 src0=1 src1=0 src2=0
	v_perm_b32 v129, v60 /*v316*/, v129, 0xc0c0700
	s_set_vgpr_msb 0x41                     ;  msbs: dst=1 src0=1 src1=0 src2=0
	v_perm_b32 v60 /*v316*/, v61 /*v317*/, v197, 0x7030c0c
	s_set_vgpr_msb 0                        ;  msbs: dst=0 src0=0 src1=0 src2=0
	v_perm_b32 v196, v196, v239, 0x7030c0c
	s_set_vgpr_msb 0x41                     ;  msbs: dst=1 src0=1 src1=0 src2=0
	v_perm_b32 v61 /*v317*/, v63 /*v319*/, v252, 0x7030c0c
	v_perm_b32 v30 /*v286*/, v30 /*v286*/, v254, 0x7030c0c
	s_set_vgpr_msb 0                        ;  msbs: dst=0 src0=0 src1=0 src2=0
	v_dot4_i32_iu8 v156, v157, v250, v156 neg_lo:[1,1,0]
	v_dot4_i32_iu8 v157, v159, v250, v158 neg_lo:[1,1,0]
	;; [unrolled: 1-line block ×4, first 2 shown]
	s_set_vgpr_msb 4                        ;  msbs: dst=0 src0=0 src1=1 src2=0
	v_dot4_i32_iu8 v133, v174, v8 /*v264*/, v133 neg_lo:[1,1,0]
	s_set_vgpr_msb 5                        ;  msbs: dst=0 src0=1 src1=1 src2=0
	v_dot4_i32_iu8 v153, v23 /*v279*/, v8 /*v264*/, v170 neg_lo:[1,1,0]
	s_set_vgpr_msb 1                        ;  msbs: dst=0 src0=1 src1=0 src2=0
	v_dot4_i32_iu8 v145, v23 /*v279*/, v249, v145 neg_lo:[1,1,0]
	s_set_vgpr_msb 0                        ;  msbs: dst=0 src0=0 src1=0 src2=0
	v_dot4_i32_iu8 v150, v150, v249, v175 neg_lo:[1,1,0]
	s_set_vgpr_msb 1                        ;  msbs: dst=0 src0=1 src1=0 src2=0
	v_dot4_i32_iu8 v155, v9 /*v265*/, v249, v177 neg_lo:[1,1,0]
	s_set_vgpr_msb 16                       ;  msbs: dst=0 src0=0 src1=0 src2=1
	v_dot4_i32_iu8 v149, v149, v179, v28 /*v284*/ neg_lo:[1,1,0]
	v_dot4_i32_iu8 v158, v135, v187, v16 /*v272*/ neg_lo:[1,1,0]
	;; [unrolled: 1-line block ×3, first 2 shown]
	s_set_vgpr_msb 0                        ;  msbs: dst=0 src0=0 src1=0 src2=0
	v_dot4_i32_iu8 v135, v135, v195, v139 neg_lo:[1,1,0]
	s_set_vgpr_msb 17                       ;  msbs: dst=0 src0=1 src1=0 src2=1
	v_dot4_i32_iu8 v139, v1 /*v257*/, v191, v11 /*v267*/ neg_lo:[1,1,0]
	s_set_vgpr_msb 1                        ;  msbs: dst=0 src0=1 src1=0 src2=0
	v_dot4_i32_iu8 v143, v1 /*v257*/, v195, v143 neg_lo:[1,1,0]
	s_set_vgpr_msb 16                       ;  msbs: dst=0 src0=0 src1=0 src2=1
	v_dot4_i32_iu8 v170, v194, v187, v39 /*v295*/ neg_lo:[1,1,0]
	v_dot4_i32_iu8 v174, v194, v191, v14 /*v270*/ neg_lo:[1,1,0]
	s_set_vgpr_msb 0                        ;  msbs: dst=0 src0=0 src1=0 src2=0
	v_dot4_i32_iu8 v141, v194, v195, v141 neg_lo:[1,1,0]
	s_set_vgpr_msb 17                       ;  msbs: dst=0 src0=1 src1=0 src2=1
	v_dot4_i32_iu8 v175, v44 /*v300*/, v187, v42 /*v298*/ neg_lo:[1,1,0]
	v_dot4_i32_iu8 v177, v44 /*v300*/, v191, v5 /*v261*/ neg_lo:[1,1,0]
	s_set_vgpr_msb 1                        ;  msbs: dst=0 src0=1 src1=0 src2=0
	v_dot4_i32_iu8 v132, v44 /*v300*/, v195, v132 neg_lo:[1,1,0]
	s_set_vgpr_msb 0                        ;  msbs: dst=0 src0=0 src1=0 src2=0
	v_dot4_i32_iu8 v107, v189, v187, v107 neg_lo:[1,1,0]
	s_set_vgpr_msb 16                       ;  msbs: dst=0 src0=0 src1=0 src2=1
	v_dot4_i32_iu8 v178, v189, v191, v43 /*v299*/ neg_lo:[1,1,0]
	s_set_vgpr_msb 0                        ;  msbs: dst=0 src0=0 src1=0 src2=0
	v_dot4_i32_iu8 v151, v189, v195, v151 neg_lo:[1,1,0]
	v_dot4_i32_iu8 v115, v193, v191, v115 neg_lo:[1,1,0]
	;; [unrolled: 1-line block ×3, first 2 shown]
	s_set_vgpr_msb 4                        ;  msbs: dst=0 src0=0 src1=1 src2=0
	v_dot4_i32_iu8 v179, v146, v50 /*v306*/, v190 neg_lo:[1,1,0]
	v_dot4_i32_iu8 v146, v146, v52 /*v308*/, v147 neg_lo:[1,1,0]
	s_set_vgpr_msb 16                       ;  msbs: dst=0 src0=0 src1=0 src2=1
	v_dot4_i32_iu8 v147, v176, v183, v0 /*v256*/ neg_lo:[1,1,0]
	v_dot4_i32_iu8 v183, v176, v185, v2 /*v258*/ neg_lo:[1,1,0]
	s_set_vgpr_msb 0                        ;  msbs: dst=0 src0=0 src1=0 src2=0
	v_dot4_i32_iu8 v168, v176, v173, v168 neg_lo:[1,1,0]
	v_dot4_i32_iu8 v81, v176, v248, v81 neg_lo:[1,1,0]
	v_perm_b32 v182, v167, v167, 0x6010007
	v_perm_b32 v148, v163, v163, 0x6010007
	;; [unrolled: 1-line block ×6, first 2 shown]
	v_or_b32_e32 v186, v186, v188
	s_set_vgpr_msb 64                       ;  msbs: dst=1 src0=0 src1=0 src2=0
	v_bfe_i32 v19 /*v275*/, v125, 16, 8
	v_bfe_i32 v32 /*v288*/, v127, 16, 8
	s_set_vgpr_msb 0x45                     ;  msbs: dst=1 src0=1 src1=1 src2=0
	v_or_b32_e32 v36 /*v292*/, v36 /*v292*/, v51 /*v307*/
	s_set_vgpr_msb 64                       ;  msbs: dst=1 src0=0 src1=0 src2=0
	v_bfe_i32 v51 /*v307*/, v121, 16, 8
	v_bfe_i32 v12 /*v268*/, v123, 16, 8
	s_set_vgpr_msb 1                        ;  msbs: dst=0 src0=1 src1=0 src2=0
	v_or_b32_e32 v129, v59 /*v315*/, v129
	s_set_vgpr_msb 0x45                     ;  msbs: dst=1 src0=1 src1=1 src2=0
	v_or_b32_e32 v3 /*v259*/, v3 /*v259*/, v45 /*v301*/
	v_or_b32_e32 v46 /*v302*/, v60 /*v316*/, v46 /*v302*/
	s_set_vgpr_msb 4                        ;  msbs: dst=0 src0=0 src1=1 src2=0
	v_or_b32_e32 v196, v196, v47 /*v303*/
	s_set_vgpr_msb 0x45                     ;  msbs: dst=1 src0=1 src1=1 src2=0
	v_or_b32_e32 v48 /*v304*/, v61 /*v317*/, v48 /*v304*/
	v_or_b32_e32 v21 /*v277*/, v30 /*v286*/, v21 /*v277*/
	;; [unrolled: 1-line block ×3, first 2 shown]
	s_set_vgpr_msb 0                        ;  msbs: dst=0 src0=0 src1=0 src2=0
	v_perm_b32 v127, v197, v127, 0xc0c0700
	v_perm_b32 v125, v239, v125, 0xc0c0700
	;; [unrolled: 1-line block ×4, first 2 shown]
	v_dot4_i32_iu8 v142, v142, v247, v157 neg_lo:[1,1,0]
	v_dot4_i32_iu8 v138, v138, v247, v156 neg_lo:[1,1,0]
	;; [unrolled: 1-line block ×4, first 2 shown]
	s_set_vgpr_msb 4                        ;  msbs: dst=0 src0=0 src1=1 src2=0
	v_dot4_i32_iu8 v83, v83, v33 /*v289*/, v150 neg_lo:[1,1,0]
	s_set_vgpr_msb 5                        ;  msbs: dst=0 src0=1 src1=1 src2=0
	v_dot4_i32_iu8 v150, v10 /*v266*/, v33 /*v289*/, v155 neg_lo:[1,1,0]
	v_dot4_i32_iu8 v145, v31 /*v287*/, v33 /*v289*/, v145 neg_lo:[1,1,0]
	;; [unrolled: 1-line block ×3, first 2 shown]
	s_set_vgpr_msb 4                        ;  msbs: dst=0 src0=0 src1=1 src2=0
	v_dot4_i32_iu8 v134, v134, v6 /*v262*/, v149 neg_lo:[1,1,0]
	s_set_vgpr_msb 5                        ;  msbs: dst=0 src0=1 src1=1 src2=0
	v_dot4_i32_iu8 v149, v17 /*v273*/, v27 /*v283*/, v158 neg_lo:[1,1,0]
	v_dot4_i32_iu8 v153, v17 /*v273*/, v4 /*v260*/, v159 neg_lo:[1,1,0]
	;; [unrolled: 1-line block ×8, first 2 shown]
	s_set_vgpr_msb 4                        ;  msbs: dst=0 src0=0 src1=1 src2=0
	v_dot4_i32_iu8 v156, v253, v27 /*v283*/, v175 neg_lo:[1,1,0]
	v_dot4_i32_iu8 v157, v253, v4 /*v260*/, v177 neg_lo:[1,1,0]
	v_dot4_i32_iu8 v132, v253, v29 /*v285*/, v132 neg_lo:[1,1,0]
	v_dot4_i32_iu8 v107, v171, v27 /*v283*/, v107 neg_lo:[1,1,0]
	v_dot4_i32_iu8 v158, v171, v4 /*v260*/, v178 neg_lo:[1,1,0]
	v_dot4_i32_iu8 v151, v171, v29 /*v285*/, v151 neg_lo:[1,1,0]
	s_set_vgpr_msb 5                        ;  msbs: dst=0 src0=1 src1=1 src2=0
	v_dot4_i32_iu8 v115, v25 /*v281*/, v4 /*v260*/, v115 neg_lo:[1,1,0]
	v_dot4_i32_iu8 v119, v25 /*v281*/, v29 /*v285*/, v119 neg_lo:[1,1,0]
	s_set_vgpr_msb 4                        ;  msbs: dst=0 src0=0 src1=1 src2=0
	v_dot4_i32_iu8 v147, v181, v37 /*v293*/, v147 neg_lo:[1,1,0]
	v_dot4_i32_iu8 v159, v181, v22 /*v278*/, v183 neg_lo:[1,1,0]
	;; [unrolled: 1-line block ×3, first 2 shown]
	s_set_vgpr_msb 0                        ;  msbs: dst=0 src0=0 src1=0 src2=0
	v_dot4_i32_iu8 v81, v181, v246, v81 neg_lo:[1,1,0]
	v_bfe_i32 v165, v167, 0, 8
	v_bfe_i32 v255, v163, 0, 8
	s_set_vgpr_msb 64                       ;  msbs: dst=1 src0=0 src1=0 src2=0
	v_bfe_i32 v20 /*v276*/, v161, 0, 8
	s_set_vgpr_msb 0                        ;  msbs: dst=0 src0=0 src1=0 src2=0
	v_perm_b32 v188, v80, v80, 0xc0c0302
	s_set_vgpr_msb 64                       ;  msbs: dst=1 src0=0 src1=0 src2=0
	v_perm_b32 v53 /*v309*/, v118, v118, 0xc030201
	v_perm_b32 v55 /*v311*/, v124, v124, 0xc0c0100
	;; [unrolled: 1-line block ×10, first 2 shown]
	s_set_vgpr_msb 5                        ;  msbs: dst=0 src0=1 src1=1 src2=0
	v_dot4_i32_iu8 v133, v36 /*v292*/, v66 /*v322*/, v133 neg_lo:[1,1,0]
	s_set_vgpr_msb 0                        ;  msbs: dst=0 src0=0 src1=0 src2=0
	v_dot4_i32_iu8 v127, v127, v245, v138 neg_lo:[1,1,0]
	v_dot4_i32_iu8 v125, v125, v245, v142 neg_lo:[1,1,0]
	;; [unrolled: 1-line block ×4, first 2 shown]
	s_set_vgpr_msb 4                        ;  msbs: dst=0 src0=0 src1=1 src2=0
	v_dot4_i32_iu8 v138, v137, v24 /*v280*/, v146 neg_lo:[1,1,0]
	s_set_vgpr_msb 5                        ;  msbs: dst=0 src0=1 src1=1 src2=0
	v_dot4_i32_iu8 v83, v18 /*v274*/, v35 /*v291*/, v83 neg_lo:[1,1,0]
	s_set_vgpr_msb 4                        ;  msbs: dst=0 src0=0 src1=1 src2=0
	v_dot4_i32_iu8 v140, v192, v35 /*v291*/, v150 neg_lo:[1,1,0]
	v_dot4_i32_iu8 v142, v136, v35 /*v291*/, v145 neg_lo:[1,1,0]
	s_set_vgpr_msb 0                        ;  msbs: dst=0 src0=0 src1=0 src2=0
	v_dot4_i32_iu8 v136, v136, v186, v152 neg_lo:[1,1,0]
	v_dot4_i32_iu8 v129, v129, v172, v134 neg_lo:[1,1,0]
	;; [unrolled: 1-line block ×4, first 2 shown]
	s_set_vgpr_msb 1                        ;  msbs: dst=0 src0=1 src1=0 src2=0
	v_dot4_i32_iu8 v135, v46 /*v302*/, v182, v135 neg_lo:[1,1,0]
	v_dot4_i32_iu8 v143, v46 /*v302*/, v148, v153 neg_lo:[1,1,0]
	;; [unrolled: 1-line block ×14, first 2 shown]
	s_set_vgpr_msb 0                        ;  msbs: dst=0 src0=0 src1=0 src2=0
	v_dot4_i32_iu8 v147, v180, v162, v147 neg_lo:[1,1,0]
	v_dot4_i32_iu8 v148, v180, v166, v159 neg_lo:[1,1,0]
	;; [unrolled: 1-line block ×4, first 2 shown]
	v_perm_b32 v167, v167, v167, 0xc070601
	v_perm_b32 v163, v163, v163, 0xc070601
	;; [unrolled: 1-line block ×3, first 2 shown]
	s_set_vgpr_msb 64                       ;  msbs: dst=1 src0=0 src1=0 src2=0
	v_perm_b32 v54 /*v310*/, v114, v114, 0xc030201
	v_perm_b32 v40 /*v296*/, v118, v118, 0xc0c0302
	v_perm_b32 v7 /*v263*/, v114, v114, 0xc0c0302
	v_perm_b32 v13 /*v269*/, v124, v124, 0xc0c0302
	v_perm_b32 v15 /*v271*/, v122, v122, 0xc0c0302
	s_set_vgpr_msb 0                        ;  msbs: dst=0 src0=0 src1=0 src2=0
	v_dot4_i32_iu8 v137, v137, v164, v179 neg_lo:[1,1,0]
	s_set_vgpr_msb 1                        ;  msbs: dst=0 src0=1 src1=0 src2=0
	v_dot4_i32_iu8 v133, v58 /*v314*/, v186, v133 neg_lo:[1,1,0]
	v_mad_i32_i24 v125, v19 /*v275*/, v243, v125
	v_mad_i32_i24 v127, v32 /*v288*/, v243, v127
	v_mad_i32_i24 v121, v51 /*v307*/, v243, v121
	v_mad_i32_i24 v123, v12 /*v268*/, v243, v123
	s_set_vgpr_msb 5                        ;  msbs: dst=0 src0=1 src1=1 src2=0
	v_dot4_i32_iu8 v138, v64 /*v320*/, v53 /*v309*/, v138 neg_lo:[1,1,0]
	v_dot4_i32_iu8 v134, v55 /*v311*/, v56 /*v312*/, v134 neg_lo:[1,1,0]
	;; [unrolled: 1-line block ×5, first 2 shown]
	s_set_vgpr_msb 0                        ;  msbs: dst=0 src0=0 src1=0 src2=0
	v_dot4_i32_iu8 v155, v82, v106, v107 neg_lo:[1,1,0]
	v_dot4_i32_iu8 v146, v82, v114, v146 neg_lo:[1,1,0]
	v_dot4_i32_iu8 v82, v82, v118, v145 neg_lo:[1,1,0]
	v_dot4_i32_iu8 v129, v106, v122, v149 neg_lo:[1,1,0]
	v_dot4_i32_iu8 v145, v106, v120, v150 neg_lo:[1,1,0]
	v_dot4_i32_iu8 v106, v126, v106, v144 neg_lo:[1,1,0]
	v_dot4_i32_iu8 v144, v128, v114, v115 neg_lo:[1,1,0]
	v_dot4_i32_iu8 v128, v128, v118, v119 neg_lo:[1,1,0]
	v_dot4_i32_iu8 v135, v126, v118, v135 neg_lo:[1,1,0]
	v_dot4_i32_iu8 v118, v120, v118, v132 neg_lo:[1,1,0]
	v_dot4_i32_iu8 v132, v114, v124, v139 neg_lo:[1,1,0]
	v_dot4_i32_iu8 v139, v114, v126, v143 neg_lo:[1,1,0]
	v_dot4_i32_iu8 v143, v120, v114, v151 neg_lo:[1,1,0]
	s_set_vgpr_msb 4                        ;  msbs: dst=0 src0=0 src1=1 src2=0
	v_dot4_i32_iu8 v114, v188, v47 /*v303*/, v83 neg_lo:[1,1,0]
	v_dot4_i32_iu8 v119, v188, v30 /*v286*/, v140 neg_lo:[1,1,0]
	s_set_vgpr_msb 1                        ;  msbs: dst=0 src0=1 src1=0 src2=0
	v_dot4_i32_iu8 v83, v68 /*v324*/, v188, v142 neg_lo:[1,1,0]
	s_set_vgpr_msb 5                        ;  msbs: dst=0 src0=1 src1=1 src2=0
	v_dot4_i32_iu8 v115, v61 /*v317*/, v68 /*v324*/, v136 neg_lo:[1,1,0]
	s_set_vgpr_msb 0                        ;  msbs: dst=0 src0=0 src1=0 src2=0
	v_mad_i32_i24 v140, v241, v242, v81
	v_mad_i32_i24 v142, v241, v165, v148
	s_set_vgpr_msb 4                        ;  msbs: dst=0 src0=0 src1=1 src2=0
	v_mad_i32_i24 v148, v241, v20 /*v276*/, v153
	s_set_vgpr_msb 0                        ;  msbs: dst=0 src0=0 src1=0 src2=0
	v_mad_i32_i24 v147, v241, v255, v147
	s_set_vgpr_msb 5                        ;  msbs: dst=0 src0=1 src1=1 src2=0
	v_dot4_i32_iu8 v137, v64 /*v320*/, v54 /*v310*/, v137 neg_lo:[1,1,0]
	v_dot4_i32_iu8 v133, v13 /*v269*/, v61 /*v317*/, v133 neg_lo:[1,1,0]
	s_set_vgpr_msb 0                        ;  msbs: dst=0 src0=0 src1=0 src2=0
	v_cvt_f32_i32_e32 v81, v83
	v_cvt_f32_i32_e32 v83, v138
	v_dot4_i32_iu8 v127, v126, v80, v127 neg_lo:[1,1,0]
	v_cvt_f32_i32_e32 v115, v115
	v_cvt_f32_i32_e32 v114, v114
	v_dot4_i32_iu8 v149, v124, v80, v125 neg_lo:[1,1,0]
	v_cvt_f32_i32_e32 v125, v132
	v_cvt_f32_i32_e32 v124, v129
	s_set_vgpr_msb 5                        ;  msbs: dst=0 src0=1 src1=1 src2=0
	v_dot4_i32_iu8 v150, v13 /*v269*/, v40 /*v296*/, v134 neg_lo:[1,1,0]
	s_set_vgpr_msb 0                        ;  msbs: dst=0 src0=0 src1=0 src2=0
	v_dot4_i32_iu8 v122, v122, v80, v123 neg_lo:[1,1,0]
	v_dot4_i32_iu8 v80, v120, v80, v121 neg_lo:[1,1,0]
	v_cvt_f32_i32_e32 v120, v145
	s_set_vgpr_msb 5                        ;  msbs: dst=0 src0=1 src1=1 src2=0
	v_dot4_i32_iu8 v145, v15 /*v271*/, v7 /*v263*/, v152 neg_lo:[1,1,0]
	v_dot4_i32_iu8 v141, v15 /*v271*/, v40 /*v296*/, v141 neg_lo:[1,1,0]
	s_set_vgpr_msb 0                        ;  msbs: dst=0 src0=0 src1=0 src2=0
	v_cvt_f32_i32_e32 v129, v118
	v_cvt_f32_i32_e32 v132, v106
	;; [unrolled: 1-line block ×3, first 2 shown]
	v_dot4_i32_iu8 v82, v169, v240, v140 neg_lo:[1,1,0]
	v_dot4_i32_iu8 v106, v169, v167, v142 neg_lo:[1,1,0]
	;; [unrolled: 1-line block ×4, first 2 shown]
	v_cvt_f32_i32_e32 v107, v137
	v_cvt_f32_i32_e32 v119, v119
	v_cvt_f32_i32_e32 v126, v135
	v_cvt_f32_i32_e32 v121, v139
	v_cvt_f32_i32_e32 v123, v143
	v_cvt_f32_i32_e32 v133, v133
	v_cvt_f32_i32_e32 v135, v154
	v_cvt_f32_i32_e32 v134, v155
	v_cvt_f32_i32_e32 v137, v144
	v_cvt_f32_i32_e32 v136, v146
	v_cvt_f32_i32_e32 v139, v128
	v_pk_fma_f32 v[36:37], v[92:93], v[114:115], v[36:37]
	v_cvt_f32_i32_e32 v93, v149
	v_cvt_f32_i32_e32 v92, v127
	;; [unrolled: 1-line block ×11, first 2 shown]
	v_dual_add_nc_u32 v238, 4, v238 :: v_dual_add_nc_u32 v237, 4, v237
	v_dual_add_nc_u32 v236, 4, v236 :: v_dual_add_nc_u32 v235, 4, v235
	;; [unrolled: 1-line block ×3, first 2 shown]
	v_pk_fma_f32 v[74:75], v[130:131], v[124:125], v[74:75]
	v_pk_fma_f32 v[78:79], v[98:99], v[132:133], v[78:79]
	;; [unrolled: 1-line block ×15, first 2 shown]
	s_add_co_i32 s4, s4, 4
	s_delay_alu instid0(SALU_CYCLE_1)
	s_cmp_lt_u32 s4, 12
	s_cbranch_scc1 .LBB142_8
; %bb.9:                                ;   in Loop: Header=BB142_6 Depth=1
	s_and_b32 s4, s7, -4
	s_delay_alu instid0(SALU_CYCLE_1)
	s_cmp_eq_u32 s4, 4
	s_barrier_signal -1
	s_barrier_wait -1
	s_cbranch_scc1 .LBB142_5
; %bb.10:                               ;   in Loop: Header=BB142_6 Depth=1
	v_dual_add_nc_u32 v88, s10, v210 :: v_dual_add_nc_u32 v80, 4, v231
	v_dual_mov_b32 v144, v230 :: v_dual_mov_b32 v145, v227
	v_dual_mov_b32 v146, v225 :: v_dual_mov_b32 v147, v223
	s_delay_alu instid0(VALU_DEP_3) | instskip(SKIP_3) | instid1(VALU_DEP_4)
	v_dual_add_nc_u32 v86, v88, v209 :: v_dual_add_nc_u32 v92, v88, v206
	v_dual_add_nc_u32 v82, v88, v202 :: v_dual_add_nc_u32 v84, v88, v203
	;; [unrolled: 1-line block ×3, first 2 shown]
	v_mad_nc_u64_u32 v[80:81], v80, 36, s[2:3]
	v_mad_nc_i64_i32 v[86:87], v86, 36, v[0:1]
	s_delay_alu instid0(VALU_DEP_4)
	v_mad_nc_i64_i32 v[82:83], v82, 36, v[0:1]
	v_dual_add_nc_u32 v94, v88, v207 :: v_dual_add_nc_u32 v96, v88, v208
	v_mad_nc_i64_i32 v[84:85], v84, 36, v[0:1]
	v_mad_nc_i64_i32 v[88:89], v89, 36, v[0:1]
	;; [unrolled: 1-line block ×6, first 2 shown]
	s_clause 0x8
	global_load_b32 v98, v[80:81], off
	global_load_b32 v99, v[86:87], off offset:4
	global_load_b32 v100, v[82:83], off offset:4
	;; [unrolled: 1-line block ×8, first 2 shown]
	s_wait_xcnt 0x6
	v_dual_mov_b32 v81, v229 :: v_dual_mov_b32 v83, v219
	v_mov_b32_e32 v148, v221
	s_mov_b32 s4, 12
	s_wait_loadcnt 0x8
	v_cvt_f32_f16_e32 v80, v98
	s_wait_loadcnt 0x7
	ds_store_b32 v217, v99
	s_wait_loadcnt 0x6
	ds_store_b32 v218, v100
	;; [unrolled: 2-line block ×8, first 2 shown]
	ds_store_b32 v201, v80
	s_wait_dscnt 0x0
	s_barrier_signal -1
	s_barrier_wait -1
.LBB142_11:                             ;   Parent Loop BB142_6 Depth=1
                                        ; =>  This Inner Loop Header: Depth=2
	v_add_nc_u32_e32 v90, 0x2080, v144
	ds_load_2addr_b32 v[114:115], v83 offset0:3 offset1:4
	ds_load_2addr_b32 v[84:85], v83 offset0:1 offset1:2
	;; [unrolled: 1-line block ×3, first 2 shown]
	ds_load_2addr_b32 v[116:117], v83 offset1:7
	ds_load_2addr_b32 v[86:87], v81 offset1:32
	ds_load_b32 v92, v145
	ds_load_2addr_b32 v[96:97], v144 offset1:1
	ds_load_2addr_b32 v[108:109], v144 offset0:2 offset1:3
	ds_load_2addr_b32 v[110:111], v144 offset0:4 offset1:5
	;; [unrolled: 1-line block ×3, first 2 shown]
	s_add_co_i32 s4, s4, 4
	ds_load_b32 v88, v146
	ds_load_2addr_b32 v[90:91], v90 offset1:1
	s_cmp_lt_u32 s4, 28
	v_dual_add_nc_u32 v146, 4, v146 :: v_dual_add_nc_u32 v145, 4, v145
	s_wait_dscnt 0xb
	v_dual_lshlrev_b32 v80, 16, v115 :: v_dual_lshlrev_b32 v82, 8, v115
	s_wait_dscnt 0xa
	v_dual_lshlrev_b32 v93, 16, v84 :: v_dual_lshlrev_b32 v102, 8, v84
	s_wait_dscnt 0x8
	v_bfe_i32 v126, v116, 0, 8
	v_bfe_i32 v127, v116, 8, 8
	v_dual_lshlrev_b32 v89, 16, v117 :: v_dual_lshlrev_b32 v170, 8, v117
	s_wait_dscnt 0x0
	v_bfe_i32 v94, v90, 0, 8
	v_bfe_i32 v95, v90, 8, 8
	v_perm_b32 v136, v80, v115, 0x7000c0c
	v_perm_b32 v89, v89, v89, 0xc0c030c
	;; [unrolled: 1-line block ×3, first 2 shown]
	v_mul_i32_i24_e32 v94, v94, v126
	v_perm_b32 v149, v90, v90, 0xc0c0302
	v_dual_lshlrev_b32 v103, 16, v98 :: v_dual_lshlrev_b32 v104, 8, v98
	s_delay_alu instid0(VALU_DEP_4) | instskip(NEXT) | instid1(VALU_DEP_4)
	v_or_b32_e32 v117, v117, v89
	v_mad_i32_i24 v118, v95, v127, v94
	v_dual_mov_b32 v89, v92 :: v_dual_add_nc_u32 v94, 0x2088, v144
	v_dual_ashrrev_i32 v150, 24, v91 :: v_dual_bitop2_b32 v80, v136, v149 bitop3:0x54
	v_perm_b32 v119, v91, v116, 0x5040302
	ds_load_2addr_b32 v[124:125], v94 offset1:1
	v_add_nc_u32_e32 v94, 0x2090, v144
	v_perm_b32 v82, v115, v82, 0xc0c0703
	v_perm_b32 v93, v93, v84, 0x7000c0c
	v_dot4_i32_iu8 v80, v80, v119, v118 neg_lo:[1,1,0]
	v_perm_b32 v84, v84, v102, 0xc0c0703
	ds_load_2addr_b32 v[122:123], v94 offset1:1
	v_dual_lshlrev_b32 v105, 16, v85 :: v_dual_lshlrev_b32 v106, 8, v85
	v_or_b32_e32 v137, v93, v82
	v_perm_b32 v93, v103, v98, 0x7000c0c
	v_add_nc_u32_e32 v94, 0x2098, v144
	v_perm_b32 v176, v98, v104, 0xc0c0703
	v_perm_b32 v178, v105, v85, 0xc0c0700
	v_dual_lshlrev_b32 v107, 16, v99 :: v_dual_lshlrev_b32 v112, 8, v99
	v_or_b32_e32 v173, v93, v84
	ds_load_2addr_b32 v[94:95], v94 offset1:1
	v_perm_b32 v182, v85, v106, 0xc0c0703
	v_perm_b32 v183, v107, v99, 0xc0c0700
	s_wait_dscnt 0x2
	v_perm_b32 v118, v124, v91, 0x5040302
	v_perm_b32 v82, v125, v124, 0x5040302
	v_dual_lshlrev_b32 v113, 16, v114 :: v_dual_lshlrev_b32 v171, 8, v114
	v_perm_b32 v184, v99, v112, 0xc0c0703
	s_delay_alu instid0(VALU_DEP_4) | instskip(SKIP_1) | instid1(VALU_DEP_4)
	v_dot4_i32_iu8 v80, v137, v118, v80 neg_lo:[1,1,0]
	v_dual_mov_b32 v170, v86 :: v_dual_add_nc_u32 v93, 0x6188, v144
	v_perm_b32 v185, v113, v114, 0xc0c0700
	v_add_nc_u32_e32 v84, 0x6180, v144
	s_delay_alu instid0(VALU_DEP_4)
	v_dot4_i32_iu8 v80, v173, v82, v80 neg_lo:[1,1,0]
	v_perm_b32 v82, v125, v125, 0xc0c0302
	v_perm_b32 v174, v97, v97, 0x2010003
	;; [unrolled: 1-line block ×5, first 2 shown]
	v_dot4_i32_iu8 v80, v176, v82, v80 neg_lo:[1,1,0]
	s_wait_dscnt 0x1
	v_perm_b32 v82, v122, v122, 0xc0c0100
	v_perm_b32 v180, v111, v111, 0x2010003
	;; [unrolled: 1-line block ×5, first 2 shown]
	v_dot4_i32_iu8 v80, v178, v82, v80 neg_lo:[1,1,0]
	v_perm_b32 v82, v122, v122, 0xc0c0302
	s_wait_dscnt 0x0
	v_perm_b32 v232, v94, v94, 0x2010003
	v_perm_b32 v114, v114, v171, 0xc0c0703
	;; [unrolled: 1-line block ×3, first 2 shown]
	s_set_vgpr_msb 64                       ;  msbs: dst=1 src0=0 src1=0 src2=0
	v_perm_b32 v11 /*v267*/, v90, v95, 0x4020100
	s_set_vgpr_msb 0                        ;  msbs: dst=0 src0=0 src1=0 src2=0
	v_dot4_i32_iu8 v80, v182, v82, v80 neg_lo:[1,1,0]
	v_perm_b32 v82, v123, v123, 0xc0c0100
	s_set_vgpr_msb 64                       ;  msbs: dst=1 src0=0 src1=0 src2=0
	v_perm_b32 v12 /*v268*/, v90, v90, 0xc030201
	s_set_vgpr_msb 0                        ;  msbs: dst=0 src0=0 src1=0 src2=0
	s_delay_alu instid0(VALU_DEP_2) | instskip(SKIP_1) | instid1(VALU_DEP_1)
	v_dot4_i32_iu8 v80, v183, v82, v80 neg_lo:[1,1,0]
	v_perm_b32 v82, v123, v123, 0xc0c0302
	v_dot4_i32_iu8 v80, v184, v82, v80 neg_lo:[1,1,0]
	v_perm_b32 v82, v94, v94, 0xc0c0100
	s_delay_alu instid0(VALU_DEP_1)
	v_dot4_i32_iu8 v172, v185, v82, v80 neg_lo:[1,1,0]
	v_add_nc_u32_e32 v80, 0x4100, v144
	ds_load_b32 v82, v147
	ds_load_2addr_b32 v[98:99], v80 offset1:1
	v_add_nc_u32_e32 v80, 0x4108, v144
	v_dot4_i32_iu8 v171, v114, v171, v172 neg_lo:[1,1,0]
	v_add_nc_u32_e32 v147, 4, v147
	ds_load_2addr_b32 v[134:135], v80 offset1:1
	v_add_nc_u32_e32 v80, 0x4110, v144
	v_dot4_i32_iu8 v172, v117, v95, v171 neg_lo:[1,1,0]
	ds_load_2addr_b32 v[132:133], v80 offset1:1
	v_add_nc_u32_e32 v80, 0x4118, v144
	ds_load_2addr_b32 v[104:105], v80 offset1:1
	ds_load_b32 v80, v148
	ds_load_2addr_b32 v[84:85], v84 offset1:1
	ds_load_2addr_b32 v[130:131], v93 offset1:1
	v_add_nc_u32_e32 v93, 0x6190, v144
	s_wait_dscnt 0x6
	v_ashrrev_i32_e32 v238, 24, v99
	v_perm_b32 v168, v98, v98, 0xc0c0302
	v_bfe_i32 v138, v99, 0, 8
	v_add_nc_u32_e32 v148, 4, v148
	ds_load_2addr_b32 v[128:129], v93 offset1:1
	v_add_nc_u32_e32 v93, 0x6198, v144
	s_wait_dscnt 0x6
	v_perm_b32 v254, v134, v99, 0x7020100
	v_add_nc_u32_e32 v144, 32, v144
	ds_load_2addr_b32 v[106:107], v93 offset1:1
	v_add_nc_u32_e32 v93, 0x40c, v83
	s_wait_dscnt 0x6
	v_perm_b32 v158, v132, v132, 0x2010003
	v_perm_b32 v159, v133, v133, 0x2010003
	ds_load_2addr_b32 v[112:113], v93 offset1:1
	v_add_nc_u32_e32 v93, 0x404, v83
	s_wait_dscnt 0x4
	v_ashrrev_i32_e32 v239, 24, v85
	v_perm_b32 v160, v104, v104, 0x2010003
	v_perm_b32 v169, v84, v84, 0xc0c0302
	v_bfe_i32 v139, v85, 0, 8
	ds_load_2addr_b32 v[118:119], v93 offset1:1
	v_add_nc_u32_e32 v93, 0x414, v83
	ds_load_2addr_b32 v[120:121], v93 offset1:1
	v_add_nc_u32_e32 v93, 0x400, v83
	ds_load_2addr_b32 v[102:103], v93 offset1:7
	s_wait_dscnt 0x3
	v_dual_lshlrev_b32 v115, 16, v113 :: v_dual_lshlrev_b32 v140, 8, v113
	v_perm_b32 v113, v113, v113, 0xc0c0003
	v_dual_lshlrev_b32 v156, 16, v112 :: v_dual_lshlrev_b32 v157, 8, v112
	v_perm_b32 v112, v112, v112, 0xc0c0003
	s_wait_dscnt 0x2
	v_dual_lshlrev_b32 v141, 16, v118 :: v_dual_lshlrev_b32 v142, 8, v118
	v_perm_b32 v115, v140, v115, 0x7030c0c
	v_perm_b32 v118, v118, v118, 0xc0c0003
	v_dual_lshlrev_b32 v152, 16, v119 :: v_dual_lshlrev_b32 v153, 8, v119
	s_wait_dscnt 0x1
	v_dual_lshlrev_b32 v143, 16, v120 :: v_dual_lshlrev_b32 v151, 8, v120
	v_or_b32_e32 v113, v115, v113
	v_perm_b32 v140, v142, v141, 0x7030c0c
	v_perm_b32 v120, v120, v120, 0xc0c0003
	v_dual_lshlrev_b32 v154, 16, v121 :: v_dual_lshlrev_b32 v155, 8, v121
	s_wait_dscnt 0x0
	v_lshlrev_b32_e32 v93, 16, v103
	v_dot4_i32_iu8 v115, v113, v174, 0 neg_lo:[1,1,0]
	v_or_b32_e32 v118, v140, v118
	v_perm_b32 v140, v151, v143, 0x7030c0c
	v_perm_b32 v119, v119, v119, 0xc0c0003
	v_perm_b32 v121, v121, v121, 0xc0c0003
	v_or_b32_e32 v141, v136, v161
	v_dot4_i32_iu8 v115, v118, v175, v115 neg_lo:[1,1,0]
	v_or_b32_e32 v120, v140, v120
	v_perm_b32 v140, v153, v152, 0x7030c0c
	v_perm_b32 v142, v125, v125, 0x6010007
	v_perm_b32 v143, v122, v122, 0x2010003
	v_perm_b32 v151, v131, v131, 0x6010007
	v_dot4_i32_iu8 v115, v120, v177, v115 neg_lo:[1,1,0]
	v_or_b32_e32 v119, v140, v119
	v_perm_b32 v140, v155, v154, 0x7030c0c
	v_perm_b32 v155, v99, v99, 0x2010003
	v_perm_b32 v152, v128, v128, 0x2010003
	v_perm_b32 v153, v129, v129, 0x2010003
	;; [unrolled: 6-line block ×3, first 2 shown]
	v_dot4_i32_iu8 v115, v121, v180, v115 neg_lo:[1,1,0]
	v_or_b32_e32 v112, v140, v112
	v_bfe_i32 v140, v96, 8, 8
	s_delay_alu instid0(VALU_DEP_2) | instskip(SKIP_1) | instid1(VALU_DEP_1)
	v_dot4_i32_iu8 v163, v112, v181, v115 neg_lo:[1,1,0]
	v_bfe_i32 v115, v96, 0, 8
	v_mul_i32_i24_e32 v115, v115, v126
	s_delay_alu instid0(VALU_DEP_1) | instskip(SKIP_3) | instid1(VALU_DEP_3)
	v_mad_i32_i24 v115, v140, v127, v115
	v_perm_b32 v140, v97, v116, 0x5040302
	v_perm_b32 v97, v108, v97, 0x5040302
	;; [unrolled: 1-line block ×3, first 2 shown]
	v_dot4_i32_iu8 v115, v141, v140, v115 neg_lo:[1,1,0]
	v_perm_b32 v140, v91, v91, 0x2010003
	v_perm_b32 v141, v124, v124, 0x2010003
	s_delay_alu instid0(VALU_DEP_3) | instskip(SKIP_1) | instid1(VALU_DEP_2)
	v_dot4_i32_iu8 v97, v137, v97, v115 neg_lo:[1,1,0]
	v_perm_b32 v115, v130, v130, 0x2010003
	v_dot4_i32_iu8 v97, v173, v108, v97 neg_lo:[1,1,0]
	v_perm_b32 v108, v109, v109, 0xc0c0302
	s_delay_alu instid0(VALU_DEP_1) | instskip(SKIP_1) | instid1(VALU_DEP_1)
	v_dot4_i32_iu8 v97, v176, v108, v97 neg_lo:[1,1,0]
	v_perm_b32 v108, v110, v110, 0xc0c0100
	v_dot4_i32_iu8 v97, v178, v108, v97 neg_lo:[1,1,0]
	v_perm_b32 v108, v110, v110, 0xc0c0302
	v_bfe_i32 v110, v98, 8, 8
	s_delay_alu instid0(VALU_DEP_2) | instskip(SKIP_1) | instid1(VALU_DEP_1)
	v_dot4_i32_iu8 v97, v182, v108, v97 neg_lo:[1,1,0]
	v_perm_b32 v108, v111, v111, 0xc0c0100
	v_dot4_i32_iu8 v97, v183, v108, v97 neg_lo:[1,1,0]
	v_perm_b32 v108, v111, v111, 0xc0c0302
	v_perm_b32 v111, v99, v116, 0x5040302
	;; [unrolled: 1-line block ×3, first 2 shown]
	s_delay_alu instid0(VALU_DEP_3) | instskip(SKIP_1) | instid1(VALU_DEP_1)
	v_dot4_i32_iu8 v97, v184, v108, v97 neg_lo:[1,1,0]
	v_perm_b32 v108, v100, v100, 0xc0c0100
	v_dot4_i32_iu8 v164, v185, v108, v97 neg_lo:[1,1,0]
	v_dot4_i32_iu8 v97, v113, v140, 0 neg_lo:[1,1,0]
	v_pk_mul_f32 v[108:109], v[92:93], v[86:87] op_sel_hi:[0,1]
	s_delay_alu instid0(VALU_DEP_2) | instskip(NEXT) | instid1(VALU_DEP_1)
	v_dot4_i32_iu8 v97, v118, v141, v97 neg_lo:[1,1,0]
	v_dot4_i32_iu8 v97, v120, v142, v97 neg_lo:[1,1,0]
	s_delay_alu instid0(VALU_DEP_1) | instskip(NEXT) | instid1(VALU_DEP_1)
	v_dot4_i32_iu8 v97, v119, v143, v97 neg_lo:[1,1,0]
	v_dot4_i32_iu8 v97, v121, v231, v97 neg_lo:[1,1,0]
	s_delay_alu instid0(VALU_DEP_1) | instskip(SKIP_1) | instid1(VALU_DEP_1)
	v_dot4_i32_iu8 v162, v112, v232, v97 neg_lo:[1,1,0]
	v_dot4_i32_iu8 v97, v113, v155, 0 neg_lo:[1,1,0]
	;; [unrolled: 1-line block ×3, first 2 shown]
	s_delay_alu instid0(VALU_DEP_1) | instskip(NEXT) | instid1(VALU_DEP_1)
	v_dot4_i32_iu8 v97, v120, v157, v97 neg_lo:[1,1,0]
	v_dot4_i32_iu8 v97, v119, v158, v97 neg_lo:[1,1,0]
	s_delay_alu instid0(VALU_DEP_1) | instskip(NEXT) | instid1(VALU_DEP_1)
	v_dot4_i32_iu8 v97, v121, v159, v97 neg_lo:[1,1,0]
	v_dot4_i32_iu8 v165, v112, v160, v97 neg_lo:[1,1,0]
	v_bfe_i32 v97, v98, 0, 8
	s_delay_alu instid0(VALU_DEP_1) | instskip(NEXT) | instid1(VALU_DEP_1)
	v_mul_i32_i24_e32 v97, v97, v126
	v_mad_i32_i24 v97, v110, v127, v97
	v_or_b32_e32 v110, v136, v168
	s_delay_alu instid0(VALU_DEP_1) | instskip(SKIP_2) | instid1(VALU_DEP_2)
	v_dot4_i32_iu8 v97, v110, v111, v97 neg_lo:[1,1,0]
	v_perm_b32 v110, v134, v99, 0x5040302
	v_perm_b32 v99, v134, v99, 0x4070201
	v_dot4_i32_iu8 v97, v137, v110, v97 neg_lo:[1,1,0]
	v_perm_b32 v110, v135, v134, 0x5040302
	s_delay_alu instid0(VALU_DEP_1) | instskip(SKIP_1) | instid1(VALU_DEP_1)
	v_dot4_i32_iu8 v97, v173, v110, v97 neg_lo:[1,1,0]
	v_perm_b32 v110, v135, v135, 0xc0c0302
	v_dot4_i32_iu8 v97, v176, v110, v97 neg_lo:[1,1,0]
	v_perm_b32 v110, v132, v132, 0xc0c0100
	s_delay_alu instid0(VALU_DEP_1) | instskip(SKIP_1) | instid1(VALU_DEP_1)
	v_dot4_i32_iu8 v97, v178, v110, v97 neg_lo:[1,1,0]
	;; [unrolled: 5-line block ×3, first 2 shown]
	v_perm_b32 v110, v133, v133, 0xc0c0302
	v_dot4_i32_iu8 v97, v184, v110, v97 neg_lo:[1,1,0]
	v_perm_b32 v110, v104, v104, 0xc0c0100
	s_delay_alu instid0(VALU_DEP_1) | instskip(SKIP_2) | instid1(VALU_DEP_2)
	v_dot4_i32_iu8 v166, v185, v110, v97 neg_lo:[1,1,0]
	v_perm_b32 v97, v85, v85, 0x2010003
	v_pk_mul_f32 v[110:111], v[82:83], v[86:87] op_sel_hi:[0,1]
	v_dot4_i32_iu8 v113, v113, v97, 0 neg_lo:[1,1,0]
	s_delay_alu instid0(VALU_DEP_1) | instskip(SKIP_1) | instid1(VALU_DEP_2)
	v_dot4_i32_iu8 v113, v118, v115, v113 neg_lo:[1,1,0]
	v_add_nc_u32_e32 v118, 0x80c, v83
	v_dot4_i32_iu8 v113, v120, v151, v113 neg_lo:[1,1,0]
	s_delay_alu instid0(VALU_DEP_1) | instskip(NEXT) | instid1(VALU_DEP_1)
	v_dot4_i32_iu8 v113, v119, v152, v113 neg_lo:[1,1,0]
	v_dot4_i32_iu8 v113, v121, v153, v113 neg_lo:[1,1,0]
	s_delay_alu instid0(VALU_DEP_1) | instskip(SKIP_2) | instid1(VALU_DEP_2)
	v_dot4_i32_iu8 v167, v112, v154, v113 neg_lo:[1,1,0]
	v_bfe_i32 v112, v84, 0, 8
	v_bfe_i32 v113, v84, 8, 8
	v_mul_i32_i24_e32 v112, v112, v126
	s_delay_alu instid0(VALU_DEP_1)
	v_mad_i32_i24 v112, v113, v127, v112
	v_or_b32_e32 v113, v136, v169
	ds_load_2addr_b32 v[126:127], v118 offset1:1
	v_add_nc_u32_e32 v118, 0x804, v83
	v_dot4_i32_iu8 v112, v113, v116, v112 neg_lo:[1,1,0]
	v_perm_b32 v113, v130, v85, 0x5040302
	s_delay_alu instid0(VALU_DEP_1)
	v_dot4_i32_iu8 v112, v137, v113, v112 neg_lo:[1,1,0]
	v_perm_b32 v113, v131, v130, 0x5040302
	ds_load_2addr_b32 v[136:137], v118 offset1:1
	v_add_nc_u32_e32 v118, 0x814, v83
	v_dot4_i32_iu8 v112, v173, v113, v112 neg_lo:[1,1,0]
	v_perm_b32 v113, v131, v131, 0xc0c0302
	s_wait_dscnt 0x1
	v_dual_lshlrev_b32 v173, 16, v127 :: v_dual_lshlrev_b32 v192, 16, v126
	v_lshlrev_b32_e32 v193, 8, v126
	s_delay_alu instid0(VALU_DEP_3) | instskip(SKIP_4) | instid1(VALU_DEP_4)
	v_dot4_i32_iu8 v112, v176, v113, v112 neg_lo:[1,1,0]
	v_perm_b32 v113, v128, v128, 0xc0c0100
	v_lshlrev_b32_e32 v176, 8, v127
	v_perm_b32 v127, v127, v127, 0xc0c0003
	v_perm_b32 v126, v126, v126, 0xc0c0003
	v_dot4_i32_iu8 v112, v178, v113, v112 neg_lo:[1,1,0]
	v_perm_b32 v113, v128, v128, 0xc0c0302
	v_perm_b32 v173, v176, v173, 0x7030c0c
	s_wait_dscnt 0x0
	v_dual_lshlrev_b32 v178, 16, v136 :: v_dual_lshlrev_b32 v187, 16, v137
	s_delay_alu instid0(VALU_DEP_3) | instskip(SKIP_2) | instid1(VALU_DEP_2)
	v_dot4_i32_iu8 v112, v182, v113, v112 neg_lo:[1,1,0]
	v_perm_b32 v113, v129, v129, 0xc0c0100
	v_or_b32_e32 v127, v173, v127
	v_dot4_i32_iu8 v112, v183, v113, v112 neg_lo:[1,1,0]
	ds_load_2addr_b32 v[182:183], v118 offset1:1
	v_add_nc_u32_e32 v118, 0x800, v83
	ds_load_2addr_b32 v[118:119], v118 offset1:7
	ds_load_2addr_b32 v[120:121], v81 offset0:64 offset1:96
	v_perm_b32 v113, v129, v129, 0xc0c0302
	v_lshlrev_b32_e32 v188, 8, v137
	v_dot4_i32_iu8 v173, v127, v174, 0 neg_lo:[1,1,0]
	v_perm_b32 v137, v137, v137, 0xc0c0003
	s_delay_alu instid0(VALU_DEP_4) | instskip(SKIP_3) | instid1(VALU_DEP_3)
	v_dot4_i32_iu8 v112, v184, v113, v112 neg_lo:[1,1,0]
	v_perm_b32 v113, v106, v106, 0xc0c0100
	v_lshlrev_b32_e32 v184, 8, v136
	v_perm_b32 v136, v136, v136, 0xc0c0003
	v_dot4_i32_iu8 v116, v185, v113, v112 neg_lo:[1,1,0]
	s_delay_alu instid0(VALU_DEP_3) | instskip(SKIP_3) | instid1(VALU_DEP_3)
	v_perm_b32 v176, v184, v178, 0x7030c0c
	s_wait_dscnt 0x2
	v_dual_lshlrev_b32 v185, 16, v182 :: v_dual_lshlrev_b32 v186, 8, v182
	v_perm_b32 v178, v182, v182, 0xc0c0003
	v_dual_lshlrev_b32 v190, 16, v183 :: v_dual_bitop2_b32 v136, v176, v136 bitop3:0x54
	s_wait_dscnt 0x1
	v_lshlrev_b32_e32 v189, 16, v119
	v_perm_b32 v176, v186, v185, 0x7030c0c
	v_lshlrev_b32_e32 v191, 8, v183
	v_perm_b32 v182, v183, v183, 0xc0c0003
	v_dot4_i32_iu8 v173, v136, v175, v173 neg_lo:[1,1,0]
	v_perm_b32 v185, v101, v101, 0x2010003
	v_or_b32_e32 v176, v176, v178
	v_perm_b32 v178, v188, v187, 0x7030c0c
	v_pk_mul_f32 v[112:113], v[80:81], v[86:87] op_sel_hi:[0,1]
	s_delay_alu instid0(VALU_DEP_3) | instskip(NEXT) | instid1(VALU_DEP_3)
	v_dot4_i32_iu8 v173, v176, v177, v173 neg_lo:[1,1,0]
	v_or_b32_e32 v137, v178, v137
	v_perm_b32 v178, v191, v190, 0x7030c0c
	s_delay_alu instid0(VALU_DEP_2) | instskip(NEXT) | instid1(VALU_DEP_2)
	v_dot4_i32_iu8 v173, v137, v179, v173 neg_lo:[1,1,0]
	v_or_b32_e32 v178, v178, v182
	v_perm_b32 v182, v193, v192, 0x7030c0c
	s_delay_alu instid0(VALU_DEP_2) | instskip(NEXT) | instid1(VALU_DEP_2)
	v_dot4_i32_iu8 v173, v178, v180, v173 neg_lo:[1,1,0]
	v_or_b32_e32 v126, v182, v126
	v_dot4_i32_iu8 v182, v127, v155, 0 neg_lo:[1,1,0]
	s_delay_alu instid0(VALU_DEP_2) | instskip(SKIP_2) | instid1(VALU_DEP_4)
	v_dot4_i32_iu8 v190, v126, v181, v173 neg_lo:[1,1,0]
	v_dot4_i32_iu8 v173, v127, v140, 0 neg_lo:[1,1,0]
	;; [unrolled: 1-line block ×4, first 2 shown]
	s_delay_alu instid0(VALU_DEP_3) | instskip(NEXT) | instid1(VALU_DEP_3)
	v_dot4_i32_iu8 v173, v136, v141, v173 neg_lo:[1,1,0]
	v_dot4_i32_iu8 v127, v136, v115, v127 neg_lo:[1,1,0]
	s_delay_alu instid0(VALU_DEP_3) | instskip(NEXT) | instid1(VALU_DEP_3)
	v_dot4_i32_iu8 v182, v176, v157, v182 neg_lo:[1,1,0]
	v_dot4_i32_iu8 v173, v176, v142, v173 neg_lo:[1,1,0]
	;; [unrolled: 3-line block ×7, first 2 shown]
	v_add_nc_u32_e32 v126, 0xc0c, v83
	ds_load_2addr_b32 v[136:137], v126 offset1:1
	v_add_nc_u32_e32 v126, 0xc04, v83
	ds_load_2addr_b32 v[234:235], v126 offset1:1
	v_add_nc_u32_e32 v126, 0xc14, v83
	ds_load_2addr_b32 v[236:237], v126 offset1:1
	v_add_nc_u32_e32 v126, 0xc00, v83
	ds_load_2addr_b32 v[126:127], v126 offset1:7
	s_wait_dscnt 0x3
	v_dual_lshlrev_b32 v240, 16, v137 :: v_dual_lshlrev_b32 v241, 8, v137
	v_perm_b32 v178, v137, v137, 0xc0c0003
	v_dual_lshlrev_b32 v192, 16, v136 :: v_dual_lshlrev_b32 v193, 8, v136
	v_bfe_i32 v233, v137, 0, 8
	s_wait_dscnt 0x2
	v_dual_lshlrev_b32 v243, 16, v234 :: v_dual_lshlrev_b32 v244, 8, v234
	v_perm_b32 v176, v241, v240, 0x7030c0c
	v_perm_b32 v182, v234, v234, 0xc0c0003
	v_dual_lshlrev_b32 v247, 16, v235 :: v_dual_lshlrev_b32 v248, 8, v235
	s_wait_dscnt 0x1
	s_delay_alu instid0(VALU_DEP_3) | instskip(SKIP_3) | instid1(VALU_DEP_4)
	v_dual_lshlrev_b32 v246, 8, v236 :: v_dual_bitop2_b32 v176, v176, v178 bitop3:0x54
	v_perm_b32 v178, v244, v243, 0x7030c0c
	v_dual_lshlrev_b32 v245, 16, v236 :: v_dual_lshlrev_b32 v249, 16, v237
	v_lshlrev_b32_e32 v250, 8, v237
	v_dot4_i32_iu8 v176, v176, v174, 0 neg_lo:[1,1,0]
	s_delay_alu instid0(VALU_DEP_4)
	v_or_b32_e32 v178, v178, v182
	v_perm_b32 v182, v236, v236, 0xc0c0003
	s_wait_dscnt 0x0
	v_dual_lshlrev_b32 v191, 16, v127 :: v_dual_lshlrev_b32 v187, 8, v127
	v_ashrrev_i32_e32 v242, 24, v137
	v_dot4_i32_iu8 v176, v178, v175, v176 neg_lo:[1,1,0]
	v_perm_b32 v178, v246, v245, 0x7030c0c
	v_perm_b32 v137, v240, v137, 0xc0c0700
	v_perm_b32 v183, v236, v244, 0x7030c0c
	v_perm_b32 v184, v235, v246, 0x7030c0c
	v_mul_i32_i24_e32 v253, v242, v238
	v_or_b32_e32 v178, v178, v182
	v_perm_b32 v182, v235, v235, 0xc0c0003
	v_perm_b32 v196, v237, v248, 0x7030c0c
	;; [unrolled: 1-line block ×3, first 2 shown]
	s_set_vgpr_msb 64                       ;  msbs: dst=1 src0=0 src1=0 src2=0
	v_perm_b32 v13 /*v269*/, v126, v126, 0xc030201
	s_set_vgpr_msb 0                        ;  msbs: dst=0 src0=0 src1=0 src2=0
	v_dot4_i32_iu8 v176, v178, v177, v176 neg_lo:[1,1,0]
	v_perm_b32 v178, v248, v247, 0x7030c0c
	s_delay_alu instid0(VALU_DEP_1) | instskip(SKIP_1) | instid1(VALU_DEP_2)
	v_or_b32_e32 v178, v178, v182
	v_perm_b32 v182, v237, v237, 0xc0c0003
	v_dot4_i32_iu8 v176, v178, v179, v176 neg_lo:[1,1,0]
	v_perm_b32 v178, v250, v249, 0x7030c0c
	s_delay_alu instid0(VALU_DEP_1) | instskip(SKIP_1) | instid1(VALU_DEP_2)
	v_or_b32_e32 v178, v178, v182
	v_perm_b32 v182, v136, v136, 0xc0c0003
	;; [unrolled: 5-line block ×3, first 2 shown]
	v_dot4_i32_iu8 v176, v178, v181, v176 neg_lo:[1,1,0]
	v_perm_b32 v178, v187, v191, 0x7030c0c
	s_delay_alu instid0(VALU_DEP_1) | instskip(NEXT) | instid1(VALU_DEP_1)
	v_or_b32_e32 v178, v178, v182
	v_dot4_i32_iu8 v194, v178, v185, v176 neg_lo:[1,1,0]
	v_perm_b32 v176, v234, v241, 0x7030c0c
	v_mul_i32_i24_e32 v178, v242, v150
	s_delay_alu instid0(VALU_DEP_2) | instskip(SKIP_1) | instid1(VALU_DEP_1)
	v_or_b32_e32 v137, v176, v137
	v_perm_b32 v176, v124, v91, 0x7020100
	v_dot4_i32_iu8 v182, v137, v176, v178 neg_lo:[1,1,0]
	v_perm_b32 v178, v243, v234, 0xc0c0700
	v_dot4_i32_iu8 v137, v137, v254, v253 neg_lo:[1,1,0]
	v_perm_b32 v253, v135, v134, 0x7020100
	v_perm_b32 v134, v134, v134, 0xc0c0201
	s_delay_alu instid0(VALU_DEP_4) | instskip(SKIP_1) | instid1(VALU_DEP_2)
	v_or_b32_e32 v195, v183, v178
	v_perm_b32 v178, v125, v124, 0x7020100
	v_dot4_i32_iu8 v137, v195, v253, v137 neg_lo:[1,1,0]
	s_delay_alu instid0(VALU_DEP_2) | instskip(SKIP_3) | instid1(VALU_DEP_3)
	v_dot4_i32_iu8 v183, v195, v178, v182 neg_lo:[1,1,0]
	v_perm_b32 v182, v245, v236, 0xc0c0700
	v_perm_b32 v195, v132, v135, 0x7020c0c
	;; [unrolled: 1-line block ×3, first 2 shown]
	v_or_b32_e32 v197, v184, v182
	v_perm_b32 v182, v122, v125, 0x7020c0c
	v_perm_b32 v184, v125, v125, 0xc0c0100
	s_delay_alu instid0(VALU_DEP_4) | instskip(NEXT) | instid1(VALU_DEP_2)
	v_or_b32_e32 v195, v195, v253
	v_or_b32_e32 v182, v182, v184
	s_delay_alu instid0(VALU_DEP_2) | instskip(SKIP_1) | instid1(VALU_DEP_3)
	v_dot4_i32_iu8 v137, v197, v195, v137 neg_lo:[1,1,0]
	v_perm_b32 v195, v133, v132, 0x7020100
	v_dot4_i32_iu8 v184, v197, v182, v183 neg_lo:[1,1,0]
	v_perm_b32 v183, v247, v235, 0xc0c0700
	v_perm_b32 v197, v192, v136, 0xc0c0700
	s_delay_alu instid0(VALU_DEP_2) | instskip(SKIP_1) | instid1(VALU_DEP_2)
	v_or_b32_e32 v251, v196, v183
	v_perm_b32 v183, v123, v122, 0x7020100
	v_dot4_i32_iu8 v137, v251, v195, v137 neg_lo:[1,1,0]
	s_delay_alu instid0(VALU_DEP_2) | instskip(SKIP_3) | instid1(VALU_DEP_3)
	v_dot4_i32_iu8 v196, v251, v183, v184 neg_lo:[1,1,0]
	v_perm_b32 v184, v249, v237, 0xc0c0700
	v_perm_b32 v195, v104, v133, 0x7020100
	;; [unrolled: 1-line block ×3, first 2 shown]
	v_or_b32_e32 v252, v252, v184
	v_perm_b32 v184, v94, v123, 0x7020100
	s_delay_alu instid0(VALU_DEP_3)
	v_or_b32_e32 v197, v251, v197
	v_perm_b32 v251, v130, v85, 0x4070201
	v_perm_b32 v85, v234, v241, 0x407030c
	v_dot4_i32_iu8 v137, v252, v195, v137 neg_lo:[1,1,0]
	v_perm_b32 v195, v105, v104, 0x7020100
	v_perm_b32 v130, v130, v130, 0xc0c0201
	v_dot4_i32_iu8 v196, v252, v184, v196 neg_lo:[1,1,0]
	s_delay_alu instid0(VALU_DEP_3) | instskip(SKIP_1) | instid1(VALU_DEP_1)
	v_dot4_i32_iu8 v195, v197, v195, v137 neg_lo:[1,1,0]
	v_mul_i32_i24_e32 v137, v242, v239
	v_mad_i32_i24 v137, v233, v139, v137
	v_perm_b32 v233, v240, v240, 0xc0c0c03
	s_delay_alu instid0(VALU_DEP_1) | instskip(NEXT) | instid1(VALU_DEP_1)
	v_or_b32_e32 v85, v85, v233
	v_dot4_i32_iu8 v85, v85, v251, v137 neg_lo:[1,1,0]
	v_perm_b32 v137, v131, v131, 0x4030c0c
	s_delay_alu instid0(VALU_DEP_1) | instskip(SKIP_2) | instid1(VALU_DEP_1)
	v_or_b32_e32 v252, v137, v130
	v_perm_b32 v130, v236, v244, 0x407030c
	v_perm_b32 v137, v243, v243, 0xc0c0c03
	v_or_b32_e32 v130, v130, v137
	s_delay_alu instid0(VALU_DEP_1) | instskip(SKIP_2) | instid1(VALU_DEP_1)
	v_dot4_i32_iu8 v85, v130, v252, v85 neg_lo:[1,1,0]
	v_perm_b32 v130, v128, v131, 0x407020c
	v_perm_b32 v131, v131, v131, 0xc0c0c01
	v_or_b32_e32 v244, v130, v131
	v_perm_b32 v130, v235, v246, 0x407030c
	v_perm_b32 v131, v245, v245, 0xc0c0c03
	;; [unrolled: 1-line block ×6, first 2 shown]
	v_or_b32_e32 v130, v130, v131
	s_delay_alu instid0(VALU_DEP_1) | instskip(SKIP_1) | instid1(VALU_DEP_1)
	v_dot4_i32_iu8 v85, v130, v244, v85 neg_lo:[1,1,0]
	v_perm_b32 v130, v247, v247, 0xc0c0c03
	v_or_b32_e32 v128, v128, v130
	s_delay_alu instid0(VALU_DEP_1) | instskip(SKIP_1) | instid1(VALU_DEP_1)
	v_dot4_i32_iu8 v85, v128, v245, v85 neg_lo:[1,1,0]
	v_perm_b32 v128, v136, v250, 0x407030c
	v_or_b32_e32 v128, v128, v129
	s_delay_alu instid0(VALU_DEP_1)
	v_dot4_i32_iu8 v85, v128, v246, v85 neg_lo:[1,1,0]
	v_add_nc_u32_e32 v128, 0x100c, v83
	ds_load_2addr_b32 v[136:137], v128 offset1:1
	v_add_nc_u32_e32 v128, 0x1004, v83
	ds_load_2addr_b32 v[240:241], v128 offset1:1
	;; [unrolled: 2-line block ×4, first 2 shown]
	ds_load_2addr_b32 v[128:129], v81 offset0:128 offset1:160
	s_wait_dscnt 0x4
	v_dual_lshlrev_b32 v248, 16, v137 :: v_dual_lshlrev_b32 v249, 8, v137
	s_set_vgpr_msb 64                       ;  msbs: dst=1 src0=0 src1=0 src2=0
	v_perm_b32 v5 /*v261*/, v137, v137, 0xc0c0003
	s_set_vgpr_msb 0                        ;  msbs: dst=0 src0=0 src1=0 src2=0
	v_dual_lshlrev_b32 v235, 16, v136 :: v_dual_lshlrev_b32 v236, 8, v136
	v_bfe_i32 v247, v137, 0, 8
	s_wait_dscnt 0x3
	v_dual_lshlrev_b32 v253, 16, v240 :: v_dual_lshlrev_b32 v254, 8, v240
	v_perm_b32 v237, v249, v248, 0x7030c0c
	s_set_vgpr_msb 64                       ;  msbs: dst=1 src0=0 src1=0 src2=0
	v_perm_b32 v6 /*v262*/, v240, v240, 0xc0c0003
	v_dual_lshlrev_b32 v1 /*v257*/, 16, v241 :: v_dual_lshlrev_b32 v2 /*v258*/, 8, v241
	s_wait_dscnt 0x2
	v_lshlrev_b32_e32 v3 /*v259*/, 16, v243
	s_set_vgpr_msb 4                        ;  msbs: dst=0 src0=0 src1=1 src2=0
	v_or_b32_e32 v237, v237, v5 /*v261*/
	s_set_vgpr_msb 64                       ;  msbs: dst=1 src0=0 src1=0 src2=0
	v_perm_b32 v5 /*v261*/, v254, v253, 0x7030c0c
	s_set_vgpr_msb 0                        ;  msbs: dst=0 src0=0 src1=0 src2=0
	v_lshlrev_b32_e32 v255, 16, v242
	s_set_vgpr_msb 64                       ;  msbs: dst=1 src0=0 src1=0 src2=0
	v_dual_lshlrev_b32 v0 /*v256*/, 8, v242 :: v_dual_lshlrev_b32 v4 /*v260*/, 8, v243
	s_set_vgpr_msb 0                        ;  msbs: dst=0 src0=0 src1=0 src2=0
	v_dot4_i32_iu8 v237, v237, v174, 0 neg_lo:[1,1,0]
	s_set_vgpr_msb 0x45                     ;  msbs: dst=1 src0=1 src1=1 src2=0
	v_or_b32_e32 v5 /*v261*/, v5 /*v261*/, v6 /*v262*/
	s_set_vgpr_msb 64                       ;  msbs: dst=1 src0=0 src1=0 src2=0
	v_perm_b32 v6 /*v262*/, v242, v242, 0xc0c0003
	s_wait_dscnt 0x1
	s_set_vgpr_msb 1                        ;  msbs: dst=0 src0=1 src1=0 src2=0
	v_dual_lshlrev_b32 v233, 16, v131 :: v_dual_lshlrev_b32 v234, 8, v131
	v_ashrrev_i32_e32 v250, 24, v137
	v_dot4_i32_iu8 v237, v5 /*v261*/, v175, v237 neg_lo:[1,1,0]
	s_set_vgpr_msb 0x41                     ;  msbs: dst=1 src0=1 src1=0 src2=0
	v_perm_b32 v5 /*v261*/, v0 /*v256*/, v255, 0x7030c0c
	s_set_vgpr_msb 0                        ;  msbs: dst=0 src0=0 src1=0 src2=0
	v_perm_b32 v137, v248, v137, 0xc0c0700
	s_set_vgpr_msb 0x45                     ;  msbs: dst=1 src0=1 src1=1 src2=0
	s_delay_alu instid0(VALU_DEP_2) | instskip(SKIP_3) | instid1(VALU_DEP_2)
	v_or_b32_e32 v5 /*v261*/, v5 /*v261*/, v6 /*v262*/
	s_set_vgpr_msb 64                       ;  msbs: dst=1 src0=0 src1=0 src2=0
	v_perm_b32 v6 /*v262*/, v241, v241, 0xc0c0003
	s_set_vgpr_msb 1                        ;  msbs: dst=0 src0=1 src1=0 src2=0
	v_dot4_i32_iu8 v237, v5 /*v261*/, v177, v237 neg_lo:[1,1,0]
	s_set_vgpr_msb 0x45                     ;  msbs: dst=1 src0=1 src1=1 src2=0
	v_perm_b32 v5 /*v261*/, v2 /*v258*/, v1 /*v257*/, 0x7030c0c
	s_delay_alu instid0(VALU_DEP_1) | instskip(SKIP_3) | instid1(VALU_DEP_2)
	v_or_b32_e32 v5 /*v261*/, v5 /*v261*/, v6 /*v262*/
	s_set_vgpr_msb 64                       ;  msbs: dst=1 src0=0 src1=0 src2=0
	v_perm_b32 v6 /*v262*/, v243, v243, 0xc0c0003
	s_set_vgpr_msb 1                        ;  msbs: dst=0 src0=1 src1=0 src2=0
	v_dot4_i32_iu8 v237, v5 /*v261*/, v179, v237 neg_lo:[1,1,0]
	s_set_vgpr_msb 0x45                     ;  msbs: dst=1 src0=1 src1=1 src2=0
	v_perm_b32 v5 /*v261*/, v4 /*v260*/, v3 /*v259*/, 0x7030c0c
	s_delay_alu instid0(VALU_DEP_1) | instskip(SKIP_3) | instid1(VALU_DEP_2)
	v_or_b32_e32 v5 /*v261*/, v5 /*v261*/, v6 /*v262*/
	s_set_vgpr_msb 64                       ;  msbs: dst=1 src0=0 src1=0 src2=0
	v_perm_b32 v6 /*v262*/, v136, v136, 0xc0c0003
	s_set_vgpr_msb 1                        ;  msbs: dst=0 src0=1 src1=0 src2=0
	v_dot4_i32_iu8 v237, v5 /*v261*/, v180, v237 neg_lo:[1,1,0]
	s_set_vgpr_msb 64                       ;  msbs: dst=1 src0=0 src1=0 src2=0
	v_perm_b32 v5 /*v261*/, v236, v235, 0x7030c0c
	s_set_vgpr_msb 0x45                     ;  msbs: dst=1 src0=1 src1=1 src2=0
	s_delay_alu instid0(VALU_DEP_1) | instskip(SKIP_3) | instid1(VALU_DEP_2)
	v_or_b32_e32 v5 /*v261*/, v5 /*v261*/, v6 /*v262*/
	s_set_vgpr_msb 64                       ;  msbs: dst=1 src0=0 src1=0 src2=0
	v_perm_b32 v6 /*v262*/, v131, v131, 0xc0c0003
	s_set_vgpr_msb 1                        ;  msbs: dst=0 src0=1 src1=0 src2=0
	v_dot4_i32_iu8 v237, v5 /*v261*/, v181, v237 neg_lo:[1,1,0]
	s_set_vgpr_msb 64                       ;  msbs: dst=1 src0=0 src1=0 src2=0
	v_perm_b32 v5 /*v261*/, v234, v233, 0x7030c0c
	s_set_vgpr_msb 0x45                     ;  msbs: dst=1 src0=1 src1=1 src2=0
	s_delay_alu instid0(VALU_DEP_1) | instskip(SKIP_3) | instid1(VALU_DEP_2)
	v_or_b32_e32 v5 /*v261*/, v5 /*v261*/, v6 /*v262*/
	s_set_vgpr_msb 64                       ;  msbs: dst=1 src0=0 src1=0 src2=0
	v_perm_b32 v6 /*v262*/, v240, v249, 0x7030c0c
	s_set_vgpr_msb 1                        ;  msbs: dst=0 src0=1 src1=0 src2=0
	v_dot4_i32_iu8 v237, v5 /*v261*/, v185, v237 neg_lo:[1,1,0]
	s_set_vgpr_msb 64                       ;  msbs: dst=1 src0=0 src1=0 src2=0
	v_mul_i32_i24_e32 v5 /*v261*/, v250, v150
	s_set_vgpr_msb 1                        ;  msbs: dst=0 src0=1 src1=0 src2=0
	v_or_b32_e32 v137, v6 /*v262*/, v137
	s_set_vgpr_msb 64                       ;  msbs: dst=1 src0=0 src1=0 src2=0
	v_perm_b32 v6 /*v262*/, v242, v254, 0x7030c0c
	s_set_vgpr_msb 16                       ;  msbs: dst=0 src0=0 src1=0 src2=1
	s_delay_alu instid0(VALU_DEP_2) | instskip(SKIP_3) | instid1(VALU_DEP_1)
	v_dot4_i32_iu8 v137, v137, v176, v5 /*v261*/ neg_lo:[1,1,0]
	s_set_vgpr_msb 64                       ;  msbs: dst=1 src0=0 src1=0 src2=0
	v_perm_b32 v5 /*v261*/, v253, v240, 0xc0c0700
	s_set_vgpr_msb 0x45                     ;  msbs: dst=1 src0=1 src1=1 src2=0
	v_or_b32_e32 v5 /*v261*/, v6 /*v262*/, v5 /*v261*/
	s_set_vgpr_msb 0x44                     ;  msbs: dst=1 src0=0 src1=1 src2=0
	v_perm_b32 v6 /*v262*/, v241, v0 /*v256*/, 0x7030c0c
	s_set_vgpr_msb 1                        ;  msbs: dst=0 src0=1 src1=0 src2=0
	s_delay_alu instid0(VALU_DEP_2) | instskip(SKIP_3) | instid1(VALU_DEP_1)
	v_dot4_i32_iu8 v137, v5 /*v261*/, v178, v137 neg_lo:[1,1,0]
	s_set_vgpr_msb 64                       ;  msbs: dst=1 src0=0 src1=0 src2=0
	v_perm_b32 v5 /*v261*/, v255, v242, 0xc0c0700
	s_set_vgpr_msb 0x45                     ;  msbs: dst=1 src0=1 src1=1 src2=0
	v_or_b32_e32 v5 /*v261*/, v6 /*v262*/, v5 /*v261*/
	s_set_vgpr_msb 0x44                     ;  msbs: dst=1 src0=0 src1=1 src2=0
	v_perm_b32 v6 /*v262*/, v243, v2 /*v258*/, 0x7030c0c
	s_set_vgpr_msb 1                        ;  msbs: dst=0 src0=1 src1=0 src2=0
	s_delay_alu instid0(VALU_DEP_2) | instskip(SKIP_3) | instid1(VALU_DEP_1)
	v_dot4_i32_iu8 v137, v5 /*v261*/, v182, v137 neg_lo:[1,1,0]
	s_set_vgpr_msb 0x41                     ;  msbs: dst=1 src0=1 src1=0 src2=0
	v_perm_b32 v5 /*v261*/, v1 /*v257*/, v241, 0xc0c0700
	s_set_vgpr_msb 0x45                     ;  msbs: dst=1 src0=1 src1=1 src2=0
	v_or_b32_e32 v5 /*v261*/, v6 /*v262*/, v5 /*v261*/
	s_set_vgpr_msb 0x44                     ;  msbs: dst=1 src0=0 src1=1 src2=0
	v_perm_b32 v6 /*v262*/, v136, v4 /*v260*/, 0x7030c0c
	s_set_vgpr_msb 1                        ;  msbs: dst=0 src0=1 src1=0 src2=0
	s_delay_alu instid0(VALU_DEP_2) | instskip(SKIP_3) | instid1(VALU_DEP_1)
	v_dot4_i32_iu8 v137, v5 /*v261*/, v183, v137 neg_lo:[1,1,0]
	s_set_vgpr_msb 0x41                     ;  msbs: dst=1 src0=1 src1=0 src2=0
	v_perm_b32 v5 /*v261*/, v3 /*v259*/, v243, 0xc0c0700
	s_set_vgpr_msb 0x45                     ;  msbs: dst=1 src0=1 src1=1 src2=0
	v_or_b32_e32 v5 /*v261*/, v6 /*v262*/, v5 /*v261*/
	s_set_vgpr_msb 0x41                     ;  msbs: dst=1 src0=1 src1=0 src2=0
	s_delay_alu instid0(VALU_DEP_1) | instskip(SKIP_3) | instid1(VALU_DEP_2)
	v_dot4_i32_iu8 v5 /*v261*/, v5 /*v261*/, v184, v137 neg_lo:[1,1,0]
	s_set_vgpr_msb 0                        ;  msbs: dst=0 src0=0 src1=0 src2=0
	v_mul_i32_i24_e32 v137, v250, v238
	v_perm_b32 v238, v248, v248, 0xc0c0c03
	v_mad_i32_i24 v137, v247, v138, v137
	v_perm_b32 v138, v240, v249, 0x407030c
	s_delay_alu instid0(VALU_DEP_1) | instskip(SKIP_1) | instid1(VALU_DEP_2)
	v_or_b32_e32 v138, v138, v238
	v_perm_b32 v238, v253, v253, 0xc0c0c03
	v_dot4_i32_iu8 v99, v138, v99, v137 neg_lo:[1,1,0]
	v_perm_b32 v137, v135, v135, 0x4030c0c
	s_delay_alu instid0(VALU_DEP_1) | instskip(SKIP_1) | instid1(VALU_DEP_1)
	v_or_b32_e32 v134, v137, v134
	v_perm_b32 v137, v242, v254, 0x407030c
	v_or_b32_e32 v238, v137, v238
	v_perm_b32 v137, v255, v255, 0xc0c0c03
	s_delay_alu instid0(VALU_DEP_2) | instskip(SKIP_3) | instid1(VALU_DEP_2)
	v_dot4_i32_iu8 v99, v238, v134, v99 neg_lo:[1,1,0]
	v_perm_b32 v134, v132, v135, 0x407020c
	v_perm_b32 v135, v135, v135, 0xc0c0c01
	;; [unrolled: 1-line block ×3, first 2 shown]
	v_or_b32_e32 v134, v134, v135
	s_set_vgpr_msb 4                        ;  msbs: dst=0 src0=0 src1=1 src2=0
	v_perm_b32 v135, v241, v0 /*v256*/, 0x407030c
	s_set_vgpr_msb 0                        ;  msbs: dst=0 src0=0 src1=0 src2=0
	s_delay_alu instid0(VALU_DEP_1) | instskip(SKIP_3) | instid1(VALU_DEP_2)
	v_or_b32_e32 v135, v135, v137
	s_set_vgpr_msb 5                        ;  msbs: dst=0 src0=1 src1=1 src2=0
	v_perm_b32 v137, v1 /*v257*/, v1 /*v257*/, 0xc0c0c03
	s_set_vgpr_msb 0                        ;  msbs: dst=0 src0=0 src1=0 src2=0
	v_dot4_i32_iu8 v99, v135, v134, v99 neg_lo:[1,1,0]
	s_set_vgpr_msb 4                        ;  msbs: dst=0 src0=0 src1=1 src2=0
	v_perm_b32 v134, v243, v2 /*v258*/, 0x407030c
	s_set_vgpr_msb 0                        ;  msbs: dst=0 src0=0 src1=0 src2=0
	s_delay_alu instid0(VALU_DEP_1) | instskip(SKIP_3) | instid1(VALU_DEP_2)
	v_or_b32_e32 v134, v134, v137
	s_set_vgpr_msb 5                        ;  msbs: dst=0 src0=1 src1=1 src2=0
	v_perm_b32 v137, v3 /*v259*/, v3 /*v259*/, 0xc0c0c03
	s_set_vgpr_msb 0                        ;  msbs: dst=0 src0=0 src1=0 src2=0
	v_dot4_i32_iu8 v99, v134, v132, v99 neg_lo:[1,1,0]
	v_perm_b32 v132, v104, v133, 0x4070201
	s_set_vgpr_msb 4                        ;  msbs: dst=0 src0=0 src1=1 src2=0
	v_perm_b32 v133, v136, v4 /*v260*/, 0x407030c
	s_set_vgpr_msb 0                        ;  msbs: dst=0 src0=0 src1=0 src2=0
	s_delay_alu instid0(VALU_DEP_1) | instskip(NEXT) | instid1(VALU_DEP_1)
	v_or_b32_e32 v133, v133, v137
	v_dot4_i32_iu8 v137, v133, v132, v99 neg_lo:[1,1,0]
	v_mul_i32_i24_e32 v99, v250, v239
	v_add_nc_u32_e32 v132, 0x140c, v83
	s_delay_alu instid0(VALU_DEP_2) | instskip(NEXT) | instid1(VALU_DEP_1)
	v_mad_i32_i24 v99, v247, v139, v99
	v_dot4_i32_iu8 v99, v138, v251, v99 neg_lo:[1,1,0]
	v_add_nc_u32_e32 v138, 0x1414, v83
	s_delay_alu instid0(VALU_DEP_2)
	v_dot4_i32_iu8 v99, v238, v252, v99 neg_lo:[1,1,0]
	ds_load_2addr_b32 v[238:239], v138 offset1:1
	v_add_nc_u32_e32 v138, 0x1400, v83
	v_dot4_i32_iu8 v99, v135, v244, v99 neg_lo:[1,1,0]
	ds_load_2addr_b32 v[138:139], v138 offset1:7
	v_dot4_i32_iu8 v99, v134, v245, v99 neg_lo:[1,1,0]
	v_add_nc_u32_e32 v134, 0x1404, v83
	s_delay_alu instid0(VALU_DEP_2)
	v_dot4_i32_iu8 v99, v133, v246, v99 neg_lo:[1,1,0]
	ds_load_2addr_b32 v[132:133], v132 offset1:1
	ds_load_2addr_b32 v[134:135], v134 offset1:1
	s_wait_dscnt 0x3
	v_dual_lshlrev_b32 v244, 16, v238 :: v_dual_lshlrev_b32 v245, 8, v238
	v_perm_b32 v238, v238, v238, 0xc0c0003
	v_dual_lshlrev_b32 v248, 16, v239 :: v_dual_lshlrev_b32 v249, 8, v239
	v_perm_b32 v239, v239, v239, 0xc0c0003
	s_wait_dscnt 0x1
	v_dual_lshlrev_b32 v252, 16, v139 :: v_dual_lshlrev_b32 v240, 16, v133
	s_wait_dscnt 0x0
	v_dual_lshlrev_b32 v241, 8, v133 :: v_dual_lshlrev_b32 v242, 16, v134
	v_lshlrev_b32_e32 v243, 8, v134
	v_perm_b32 v133, v133, v133, 0xc0c0003
	v_perm_b32 v134, v134, v134, 0xc0c0003
	s_delay_alu instid0(VALU_DEP_4)
	v_perm_b32 v240, v241, v240, 0x7030c0c
	v_lshlrev_b32_e32 v246, 16, v135
	v_perm_b32 v241, v243, v242, 0x7030c0c
	v_lshlrev_b32_e32 v247, 8, v135
	v_perm_b32 v135, v135, v135, 0xc0c0003
	v_dual_lshlrev_b32 v250, 16, v132 :: v_dual_bitop2_b32 v133, v240, v133 bitop3:0x54
	s_delay_alu instid0(VALU_DEP_4) | instskip(SKIP_2) | instid1(VALU_DEP_4)
	v_or_b32_e32 v134, v241, v134
	v_perm_b32 v241, v245, v244, 0x7030c0c
	v_lshlrev_b32_e32 v251, 8, v132
	v_dot4_i32_iu8 v140, v133, v140, 0 neg_lo:[1,1,0]
	v_perm_b32 v132, v132, v132, 0xc0c0003
	v_dot4_i32_iu8 v240, v133, v174, 0 neg_lo:[1,1,0]
	v_or_b32_e32 v238, v241, v238
	v_perm_b32 v241, v247, v246, 0x7030c0c
	v_dot4_i32_iu8 v140, v134, v141, v140 neg_lo:[1,1,0]
	s_delay_alu instid0(VALU_DEP_4) | instskip(NEXT) | instid1(VALU_DEP_3)
	v_dot4_i32_iu8 v240, v134, v175, v240 neg_lo:[1,1,0]
	v_or_b32_e32 v135, v241, v135
	v_perm_b32 v241, v249, v248, 0x7030c0c
	s_delay_alu instid0(VALU_DEP_4) | instskip(NEXT) | instid1(VALU_DEP_4)
	v_dot4_i32_iu8 v140, v238, v142, v140 neg_lo:[1,1,0]
	v_dot4_i32_iu8 v240, v238, v177, v240 neg_lo:[1,1,0]
	s_delay_alu instid0(VALU_DEP_3) | instskip(SKIP_1) | instid1(VALU_DEP_4)
	v_or_b32_e32 v239, v241, v239
	v_perm_b32 v241, v251, v250, 0x7030c0c
	v_dot4_i32_iu8 v140, v135, v143, v140 neg_lo:[1,1,0]
	s_delay_alu instid0(VALU_DEP_4) | instskip(NEXT) | instid1(VALU_DEP_3)
	v_dot4_i32_iu8 v240, v135, v179, v240 neg_lo:[1,1,0]
	v_or_b32_e32 v132, v241, v132
	s_delay_alu instid0(VALU_DEP_3) | instskip(NEXT) | instid1(VALU_DEP_3)
	v_dot4_i32_iu8 v140, v239, v231, v140 neg_lo:[1,1,0]
	v_dot4_i32_iu8 v240, v239, v180, v240 neg_lo:[1,1,0]
	s_delay_alu instid0(VALU_DEP_2) | instskip(SKIP_2) | instid1(VALU_DEP_4)
	v_dot4_i32_iu8 v241, v132, v232, v140 neg_lo:[1,1,0]
	v_dot4_i32_iu8 v140, v133, v155, 0 neg_lo:[1,1,0]
	;; [unrolled: 1-line block ×4, first 2 shown]
	s_delay_alu instid0(VALU_DEP_3) | instskip(NEXT) | instid1(VALU_DEP_3)
	v_dot4_i32_iu8 v140, v134, v156, v140 neg_lo:[1,1,0]
	v_dot4_i32_iu8 v133, v134, v115, v133 neg_lo:[1,1,0]
	s_delay_alu instid0(VALU_DEP_2) | instskip(NEXT) | instid1(VALU_DEP_2)
	v_dot4_i32_iu8 v140, v238, v157, v140 neg_lo:[1,1,0]
	v_dot4_i32_iu8 v133, v238, v151, v133 neg_lo:[1,1,0]
	s_delay_alu instid0(VALU_DEP_2) | instskip(NEXT) | instid1(VALU_DEP_2)
	;; [unrolled: 3-line block ×4, first 2 shown]
	v_dot4_i32_iu8 v242, v132, v160, v140 neg_lo:[1,1,0]
	v_dot4_i32_iu8 v243, v132, v154, v133 neg_lo:[1,1,0]
	v_add_nc_u32_e32 v132, 0x180c, v83
	ds_load_2addr_b32 v[140:141], v132 offset1:1
	v_add_nc_u32_e32 v132, 0x1804, v83
	ds_load_2addr_b32 v[142:143], v132 offset1:1
	;; [unrolled: 2-line block ×4, first 2 shown]
	ds_load_2addr_b32 v[132:133], v81 offset0:192 offset1:224
	s_wait_dscnt 0x4
	v_dual_lshlrev_b32 v244, 16, v141 :: v_dual_lshlrev_b32 v245, 8, v141
	v_ashrrev_i32_e32 v246, 24, v141
	s_set_vgpr_msb 64                       ;  msbs: dst=1 src0=0 src1=0 src2=0
	v_perm_b32 v2 /*v258*/, v141, v141, 0xc0c0003
	v_lshlrev_b32_e32 v0 /*v256*/, 16, v140
	s_set_vgpr_msb 0                        ;  msbs: dst=0 src0=0 src1=0 src2=0
	v_perm_b32 v141, v244, v141, 0xc0c0700
	s_wait_dscnt 0x3
	v_lshlrev_b32_e32 v247, 16, v142
	s_set_vgpr_msb 64                       ;  msbs: dst=1 src0=0 src1=0 src2=0
	v_perm_b32 v1 /*v257*/, v245, v244, 0x7030c0c
	s_set_vgpr_msb 0                        ;  msbs: dst=0 src0=0 src1=0 src2=0
	v_mul_i32_i24_e32 v246, v246, v150
	v_perm_b32 v244, v91, v91, 0xc0c0100
	v_lshlrev_b32_e32 v248, 8, v142
	s_set_vgpr_msb 64                       ;  msbs: dst=1 src0=0 src1=0 src2=0
	v_perm_b32 v4 /*v260*/, v142, v142, 0xc0c0003
	s_set_vgpr_msb 0                        ;  msbs: dst=0 src0=0 src1=0 src2=0
	v_perm_b32 v142, v247, v142, 0x700030c
	v_perm_b32 v91, v124, v91, 0x5040702
	v_dot4_i32_iu8 v141, v141, v244, v246 neg_lo:[1,1,0]
	v_perm_b32 v244, v245, v245, 0xc0c0c03
	s_wait_dscnt 0x1
	v_dual_lshlrev_b32 v249, 16, v238 :: v_dual_lshlrev_b32 v232, 16, v135
	v_perm_b32 v124, v124, v124, 0xc0c0c02
	s_delay_alu instid0(VALU_DEP_3) | instskip(SKIP_2) | instid1(VALU_DEP_3)
	v_dual_lshlrev_b32 v250, 8, v238 :: v_dual_bitop2_b32 v142, v142, v244 bitop3:0x54
	v_dual_lshlrev_b32 v251, 16, v143 :: v_dual_lshlrev_b32 v253, 8, v143
	v_dual_lshlrev_b32 v254, 16, v239 :: v_dual_lshlrev_b32 v255, 8, v239
	v_dot4_i32_iu8 v91, v142, v91, v141 neg_lo:[1,1,0]
	v_perm_b32 v141, v125, v125, 0x504030c
	v_perm_b32 v142, v248, v248, 0xc0c0c03
	s_set_vgpr_msb 0x45                     ;  msbs: dst=1 src0=1 src1=1 src2=0
	v_or_b32_e32 v1 /*v257*/, v1 /*v257*/, v2 /*v258*/
	s_set_vgpr_msb 64                       ;  msbs: dst=1 src0=0 src1=0 src2=0
	v_perm_b32 v3 /*v259*/, v248, v247, 0x7030c0c
	v_perm_b32 v6 /*v262*/, v238, v238, 0xc0c0003
	s_set_vgpr_msb 0                        ;  msbs: dst=0 src0=0 src1=0 src2=0
	v_or_b32_e32 v124, v141, v124
	v_perm_b32 v141, v249, v238, 0x700030c
	s_set_vgpr_msb 64                       ;  msbs: dst=1 src0=0 src1=0 src2=0
	v_perm_b32 v7 /*v263*/, v143, v143, 0xc0c0003
	s_set_vgpr_msb 0x45                     ;  msbs: dst=1 src0=1 src1=1 src2=0
	v_or_b32_e32 v3 /*v259*/, v3 /*v259*/, v4 /*v260*/
	s_set_vgpr_msb 64                       ;  msbs: dst=1 src0=0 src1=0 src2=0
	v_perm_b32 v4 /*v260*/, v250, v249, 0x7030c0c
	s_set_vgpr_msb 0                        ;  msbs: dst=0 src0=0 src1=0 src2=0
	v_dual_lshlrev_b32 v231, 8, v140 :: v_dual_bitop2_b32 v141, v141, v142 bitop3:0x54
	s_set_vgpr_msb 64                       ;  msbs: dst=1 src0=0 src1=0 src2=0
	v_perm_b32 v8 /*v264*/, v239, v239, 0xc0c0003
	v_perm_b32 v9 /*v265*/, v140, v140, 0xc0c0003
	s_set_vgpr_msb 0x45                     ;  msbs: dst=1 src0=1 src1=1 src2=0
	v_or_b32_e32 v4 /*v260*/, v4 /*v260*/, v6 /*v262*/
	s_set_vgpr_msb 64                       ;  msbs: dst=1 src0=0 src1=0 src2=0
	v_perm_b32 v6 /*v262*/, v253, v251, 0x7030c0c
	s_set_vgpr_msb 0                        ;  msbs: dst=0 src0=0 src1=0 src2=0
	v_dot4_i32_iu8 v91, v141, v124, v91 neg_lo:[1,1,0]
	v_perm_b32 v124, v122, v125, 0x5040702
	v_perm_b32 v125, v251, v143, 0x700030c
	;; [unrolled: 1-line block ×4, first 2 shown]
	s_set_vgpr_msb 0x45                     ;  msbs: dst=1 src0=1 src1=1 src2=0
	v_or_b32_e32 v6 /*v262*/, v6 /*v262*/, v7 /*v263*/
	s_set_vgpr_msb 64                       ;  msbs: dst=1 src0=0 src1=0 src2=0
	v_perm_b32 v7 /*v263*/, v255, v254, 0x7030c0c
	s_set_vgpr_msb 0x41                     ;  msbs: dst=1 src0=1 src1=0 src2=0
	v_dot4_i32_iu8 v2 /*v258*/, v1 /*v257*/, v174, 0 neg_lo:[1,1,0]
	s_set_vgpr_msb 0                        ;  msbs: dst=0 src0=0 src1=0 src2=0
	v_or_b32_e32 v125, v125, v141
	s_wait_dscnt 0x0
	v_mov_b32_e32 v171, v133
	s_set_vgpr_msb 0x45                     ;  msbs: dst=1 src0=1 src1=1 src2=0
	v_or_b32_e32 v7 /*v263*/, v7 /*v263*/, v8 /*v264*/
	s_set_vgpr_msb 0x44                     ;  msbs: dst=1 src0=0 src1=1 src2=0
	v_perm_b32 v8 /*v264*/, v231, v0 /*v256*/, 0x7030c0c
	s_set_vgpr_msb 0                        ;  msbs: dst=0 src0=0 src1=0 src2=0
	v_dot4_i32_iu8 v91, v125, v124, v91 neg_lo:[1,1,0]
	v_perm_b32 v124, v254, v239, 0x700030c
	v_perm_b32 v125, v253, v253, 0xc0c0c03
	s_set_vgpr_msb 0x51                     ;  msbs: dst=1 src0=1 src1=0 src2=1
	v_dot4_i32_iu8 v2 /*v258*/, v3 /*v259*/, v175, v2 /*v258*/ neg_lo:[1,1,0]
	s_set_vgpr_msb 0x45                     ;  msbs: dst=1 src0=1 src1=1 src2=0
	v_or_b32_e32 v8 /*v264*/, v8 /*v264*/, v9 /*v265*/
	s_set_vgpr_msb 0                        ;  msbs: dst=0 src0=0 src1=0 src2=0
	v_pk_mul_f32 v[170:171], v[170:171], v[88:89]
	v_perm_b32 v89, v235, v136, 0xc0c0700
	v_or_b32_e32 v124, v124, v125
	s_set_vgpr_msb 0x51                     ;  msbs: dst=1 src0=1 src1=0 src2=1
	v_dot4_i32_iu8 v2 /*v258*/, v4 /*v260*/, v177, v2 /*v258*/ neg_lo:[1,1,0]
	s_set_vgpr_msb 0                        ;  msbs: dst=0 src0=0 src1=0 src2=0
	v_perm_b32 v136, v131, v236, 0x7030c0c
	v_dot4_i32_iu8 v91, v124, v122, v91 neg_lo:[1,1,0]
	v_perm_b32 v122, v94, v123, 0x5040702
	s_set_vgpr_msb 1                        ;  msbs: dst=0 src0=1 src1=0 src2=0
	v_perm_b32 v123, v0 /*v256*/, v140, 0x700030c
	s_set_vgpr_msb 0                        ;  msbs: dst=0 src0=0 src1=0 src2=0
	v_perm_b32 v124, v255, v255, 0xc0c0c03
	s_set_vgpr_msb 0x51                     ;  msbs: dst=1 src0=1 src1=0 src2=1
	v_dot4_i32_iu8 v2 /*v258*/, v6 /*v262*/, v179, v2 /*v258*/ neg_lo:[1,1,0]
	s_set_vgpr_msb 0                        ;  msbs: dst=0 src0=0 src1=0 src2=0
	v_or_b32_e32 v89, v136, v89
	v_or_b32_e32 v123, v123, v124
	v_add_nc_u32_e32 v124, 0x1c0c, v83
	s_set_vgpr_msb 0x51                     ;  msbs: dst=1 src0=1 src1=0 src2=1
	v_dot4_i32_iu8 v2 /*v258*/, v7 /*v263*/, v180, v2 /*v258*/ neg_lo:[1,1,0]
	s_set_vgpr_msb 0                        ;  msbs: dst=0 src0=0 src1=0 src2=0
	v_dot4_i32_iu8 v238, v123, v122, v91 neg_lo:[1,1,0]
	s_set_vgpr_msb 1                        ;  msbs: dst=0 src0=1 src1=0 src2=0
	v_dot4_i32_iu8 v91, v1 /*v257*/, v155, 0 neg_lo:[1,1,0]
	v_add_nc_u32_e32 v122, 0x1c04, v83
	v_add_nc_u32_e32 v123, 0x1c14, v83
	s_set_vgpr_msb 0                        ;  msbs: dst=0 src0=0 src1=0 src2=0
	ds_load_2addr_b32 v[124:125], v124 offset1:1
	ds_load_2addr_b32 v[142:143], v122 offset1:1
	;; [unrolled: 1-line block ×3, first 2 shown]
	s_set_vgpr_msb 1                        ;  msbs: dst=0 src0=1 src1=0 src2=0
	v_dot4_i32_iu8 v91, v3 /*v259*/, v156, v91 neg_lo:[1,1,0]
	s_set_vgpr_msb 0x51                     ;  msbs: dst=1 src0=1 src1=0 src2=1
	v_dot4_i32_iu8 v2 /*v258*/, v8 /*v264*/, v181, v2 /*v258*/ neg_lo:[1,1,0]
	s_set_vgpr_msb 1                        ;  msbs: dst=0 src0=1 src1=0 src2=0
	v_add_nc_u32_e32 v122, 0x1c00, v83
	v_dot4_i32_iu8 v91, v4 /*v260*/, v157, v91 neg_lo:[1,1,0]
	s_set_vgpr_msb 0                        ;  msbs: dst=0 src0=0 src1=0 src2=0
	ds_load_2addr_b32 v[122:123], v122 offset1:7
	s_set_vgpr_msb 1                        ;  msbs: dst=0 src0=1 src1=0 src2=0
	v_dot4_i32_iu8 v91, v6 /*v262*/, v158, v91 neg_lo:[1,1,0]
	s_delay_alu instid0(VALU_DEP_1)
	v_dot4_i32_iu8 v91, v7 /*v263*/, v159, v91 neg_lo:[1,1,0]
	s_wait_dscnt 0x3
	v_dual_lshlrev_b32 v244, 16, v125 :: v_dual_lshlrev_b32 v245, 8, v125
	s_wait_dscnt 0x2
	v_lshlrev_b32_e32 v247, 16, v142
	v_dot4_i32_iu8 v239, v8 /*v264*/, v160, v91 neg_lo:[1,1,0]
	v_dot4_i32_iu8 v91, v1 /*v257*/, v97, 0 neg_lo:[1,1,0]
	s_wait_dscnt 0x1
	v_dual_lshlrev_b32 v248, 8, v142 :: v_dual_lshlrev_b32 v249, 16, v140
	v_dual_lshlrev_b32 v250, 8, v140 :: v_dual_lshlrev_b32 v251, 16, v143
	s_delay_alu instid0(VALU_DEP_3)
	v_dot4_i32_iu8 v91, v3 /*v259*/, v115, v91 neg_lo:[1,1,0]
	v_dual_lshlrev_b32 v253, 8, v143 :: v_dual_lshlrev_b32 v254, 16, v141
	s_set_vgpr_msb 64                       ;  msbs: dst=1 src0=0 src1=0 src2=0
	v_dual_lshlrev_b32 v0 /*v256*/, 16, v124 :: v_dual_lshlrev_b32 v1 /*v257*/, 8, v124
	s_set_vgpr_msb 1                        ;  msbs: dst=0 src0=1 src1=0 src2=0
	v_dot4_i32_iu8 v91, v4 /*v260*/, v151, v91 neg_lo:[1,1,0]
	s_wait_dscnt 0x0
	s_set_vgpr_msb 64                       ;  msbs: dst=1 src0=0 src1=0 src2=0
	v_dual_lshlrev_b32 v3 /*v259*/, 16, v123 :: v_dual_lshlrev_b32 v4 /*v260*/, 8, v123
	s_set_vgpr_msb 1                        ;  msbs: dst=0 src0=1 src1=0 src2=0
	v_ashrrev_i32_e32 v246, 24, v125
	v_dot4_i32_iu8 v91, v6 /*v262*/, v152, v91 neg_lo:[1,1,0]
	s_set_vgpr_msb 64                       ;  msbs: dst=1 src0=0 src1=0 src2=0
	v_perm_b32 v6 /*v262*/, v245, v244, 0x7030c0c
	s_set_vgpr_msb 1                        ;  msbs: dst=0 src0=1 src1=0 src2=0
	s_delay_alu instid0(VALU_DEP_2) | instskip(SKIP_3) | instid1(VALU_DEP_2)
	v_dot4_i32_iu8 v91, v7 /*v263*/, v153, v91 neg_lo:[1,1,0]
	s_set_vgpr_msb 64                       ;  msbs: dst=1 src0=0 src1=0 src2=0
	v_perm_b32 v7 /*v263*/, v125, v125, 0xc0c0003
	s_set_vgpr_msb 1                        ;  msbs: dst=0 src0=1 src1=0 src2=0
	v_dot4_i32_iu8 v91, v8 /*v264*/, v154, v91 neg_lo:[1,1,0]
	s_set_vgpr_msb 0x45                     ;  msbs: dst=1 src0=1 src1=1 src2=0
	s_delay_alu instid0(VALU_DEP_2)
	v_or_b32_e32 v6 /*v262*/, v6 /*v262*/, v7 /*v263*/
	s_set_vgpr_msb 64                       ;  msbs: dst=1 src0=0 src1=0 src2=0
	v_perm_b32 v7 /*v263*/, v248, v247, 0x7030c0c
	v_perm_b32 v8 /*v264*/, v142, v142, 0xc0c0003
	s_set_vgpr_msb 1                        ;  msbs: dst=0 src0=1 src1=0 src2=0
	v_dot4_i32_iu8 v174, v6 /*v262*/, v174, 0 neg_lo:[1,1,0]
	s_set_vgpr_msb 0x45                     ;  msbs: dst=1 src0=1 src1=1 src2=0
	s_delay_alu instid0(VALU_DEP_2) | instskip(SKIP_3) | instid1(VALU_DEP_2)
	v_or_b32_e32 v7 /*v263*/, v7 /*v263*/, v8 /*v264*/
	s_set_vgpr_msb 64                       ;  msbs: dst=1 src0=0 src1=0 src2=0
	v_perm_b32 v8 /*v264*/, v140, v140, 0xc0c0003
	s_set_vgpr_msb 1                        ;  msbs: dst=0 src0=1 src1=0 src2=0
	v_dot4_i32_iu8 v174, v7 /*v263*/, v175, v174 neg_lo:[1,1,0]
	s_set_vgpr_msb 0                        ;  msbs: dst=0 src0=0 src1=0 src2=0
	v_perm_b32 v175, v250, v249, 0x7030c0c
	s_set_vgpr_msb 0x44                     ;  msbs: dst=1 src0=0 src1=1 src2=0
	s_delay_alu instid0(VALU_DEP_1) | instskip(SKIP_3) | instid1(VALU_DEP_2)
	v_or_b32_e32 v8 /*v264*/, v175, v8 /*v264*/
	s_set_vgpr_msb 0                        ;  msbs: dst=0 src0=0 src1=0 src2=0
	v_perm_b32 v175, v253, v251, 0x7030c0c
	s_set_vgpr_msb 1                        ;  msbs: dst=0 src0=1 src1=0 src2=0
	v_dot4_i32_iu8 v174, v8 /*v264*/, v177, v174 neg_lo:[1,1,0]
	s_set_vgpr_msb 0                        ;  msbs: dst=0 src0=0 src1=0 src2=0
	v_perm_b32 v177, v143, v143, 0xc0c0003
	s_delay_alu instid0(VALU_DEP_1) | instskip(NEXT) | instid1(VALU_DEP_1)
	v_or_b32_e32 v177, v175, v177
	v_dot4_i32_iu8 v174, v177, v179, v174 neg_lo:[1,1,0]
	v_perm_b32 v179, v141, v141, 0xc0c0003
	v_lshlrev_b32_e32 v255, 8, v141
	s_delay_alu instid0(VALU_DEP_1) | instskip(NEXT) | instid1(VALU_DEP_1)
	v_perm_b32 v175, v255, v254, 0x7030c0c
	v_or_b32_e32 v179, v175, v179
	s_set_vgpr_msb 5                        ;  msbs: dst=0 src0=1 src1=1 src2=0
	v_perm_b32 v175, v1 /*v257*/, v0 /*v256*/, 0x7030c0c
	s_set_vgpr_msb 0                        ;  msbs: dst=0 src0=0 src1=0 src2=0
	s_delay_alu instid0(VALU_DEP_2) | instskip(SKIP_2) | instid1(VALU_DEP_1)
	v_dot4_i32_iu8 v174, v179, v180, v174 neg_lo:[1,1,0]
	v_perm_b32 v180, v124, v124, 0xc0c0003
	s_set_vgpr_msb 64                       ;  msbs: dst=1 src0=0 src1=0 src2=0
	v_or_b32_e32 v9 /*v265*/, v175, v180
	s_set_vgpr_msb 5                        ;  msbs: dst=0 src0=1 src1=1 src2=0
	v_perm_b32 v175, v4 /*v260*/, v3 /*v259*/, 0x7030c0c
	s_set_vgpr_msb 0                        ;  msbs: dst=0 src0=0 src1=0 src2=0
	v_perm_b32 v180, v123, v123, 0xc0c0003
	s_set_vgpr_msb 1                        ;  msbs: dst=0 src0=1 src1=0 src2=0
	v_dot4_i32_iu8 v174, v9 /*v265*/, v181, v174 neg_lo:[1,1,0]
	s_set_vgpr_msb 0                        ;  msbs: dst=0 src0=0 src1=0 src2=0
	v_mov_b32_e32 v181, v121
	s_set_vgpr_msb 64                       ;  msbs: dst=1 src0=0 src1=0 src2=0
	v_or_b32_e32 v10 /*v266*/, v175, v180
	s_set_vgpr_msb 0                        ;  msbs: dst=0 src0=0 src1=0 src2=0
	v_mov_b32_e32 v180, v128
	s_set_vgpr_msb 1                        ;  msbs: dst=0 src0=1 src1=0 src2=0
	s_delay_alu instid0(VALU_DEP_2) | instskip(SKIP_1) | instid1(VALU_DEP_1)
	v_dot4_i32_iu8 v174, v10 /*v266*/, v185, v174 neg_lo:[1,1,0]
	s_set_vgpr_msb 0                        ;  msbs: dst=0 src0=0 src1=0 src2=0
	v_dot4_i32_iu8 v174, v96, v122, v174 neg_lo:[1,1,0]
	s_delay_alu instid0(VALU_DEP_1) | instskip(SKIP_2) | instid1(VALU_DEP_2)
	v_cvt_f32_i32_e32 v175, v174
	v_cvt_f32_i32_e32 v174, v172
	v_perm_b32 v172, v95, v94, 0x7020100
	v_pk_fma_f32 v[14:15], v[170:171], v[174:175], v[14:15]
	s_delay_alu instid0(VALU_DEP_2)
	v_dot4_i32_iu8 v86, v197, v172, v196 neg_lo:[1,1,0]
	s_set_vgpr_msb 16                       ;  msbs: dst=0 src0=0 src1=0 src2=1
	v_dot4_i32_iu8 v136, v89, v172, v5 /*v261*/ neg_lo:[1,1,0]
	v_perm_b32 v196, v98, v187, 0x4030c0c
	s_set_vgpr_msb 64                       ;  msbs: dst=1 src0=0 src1=0 src2=0
	v_perm_b32 v5 /*v261*/, v191, v127, 0xc0c0700
	s_set_vgpr_msb 0                        ;  msbs: dst=0 src0=0 src1=0 src2=0
	v_perm_b32 v197, v126, v105, 0x4020100
	v_mov_b32_e32 v89, v82
	v_perm_b32 v127, v127, v193, 0x407030c
	v_perm_b32 v191, v191, v191, 0xc0c0c03
	s_set_vgpr_msb 4                        ;  msbs: dst=0 src0=0 src1=1 src2=0
	v_or_b32_e32 v196, v196, v5 /*v261*/
	s_set_vgpr_msb 0                        ;  msbs: dst=0 src0=0 src1=0 src2=0
	v_pk_mul_f32 v[180:181], v[88:89], v[180:181]
	s_delay_alu instid0(VALU_DEP_2) | instskip(SKIP_3) | instid1(VALU_DEP_2)
	v_dot4_i32_iu8 v195, v196, v197, v195 neg_lo:[1,1,0]
	v_perm_b32 v196, v233, v131, 0xc0c0700
	v_perm_b32 v197, v130, v234, 0x4030c0c
	;; [unrolled: 1-line block ×3, first 2 shown]
	v_or_b32_e32 v196, v197, v196
	s_set_vgpr_msb 4                        ;  msbs: dst=0 src0=0 src1=1 src2=0
	s_delay_alu instid0(VALU_DEP_1) | instskip(SKIP_3) | instid1(VALU_DEP_1)
	v_dot4_i32_iu8 v136, v196, v11 /*v267*/, v136 neg_lo:[1,1,0]
	s_set_vgpr_msb 0                        ;  msbs: dst=0 src0=0 src1=0 src2=0
	v_perm_b32 v196, v130, v130, 0xc030201
	s_set_vgpr_msb 1                        ;  msbs: dst=0 src0=1 src1=0 src2=0
	v_dot4_i32_iu8 v136, v12 /*v268*/, v196, v136 neg_lo:[1,1,0]
	s_set_vgpr_msb 0                        ;  msbs: dst=0 src0=0 src1=0 src2=0
	v_perm_b32 v196, v98, v98, 0xc030201
	s_set_vgpr_msb 4                        ;  msbs: dst=0 src0=0 src1=1 src2=0
	s_delay_alu instid0(VALU_DEP_1)
	v_dot4_i32_iu8 v195, v196, v13 /*v269*/, v195 neg_lo:[1,1,0]
	v_cvt_f32_i32_e32 v196, v136
	s_set_vgpr_msb 0                        ;  msbs: dst=0 src0=0 src1=0 src2=0
	v_lshlrev_b32_e32 v136, 8, v139
	v_perm_b32 v139, v139, v139, 0xc0c0003
	v_cvt_f32_i32_e32 v197, v195
	s_delay_alu instid0(VALU_DEP_3) | instskip(NEXT) | instid1(VALU_DEP_2)
	v_perm_b32 v136, v136, v252, 0x7030c0c
	v_pk_fma_f32 v[74:75], v[180:181], v[196:197], v[74:75]
	v_lshlrev_b32_e32 v180, 8, v119
	v_perm_b32 v119, v119, v119, 0xc0c0003
	s_delay_alu instid0(VALU_DEP_4) | instskip(NEXT) | instid1(VALU_DEP_3)
	v_or_b32_e32 v139, v136, v139
	v_perm_b32 v180, v180, v189, 0x7030c0c
	s_delay_alu instid0(VALU_DEP_1) | instskip(SKIP_1) | instid1(VALU_DEP_2)
	v_or_b32_e32 v119, v180, v119
	v_pk_mul_f32 v[180:181], v[92:93], v[120:121] op_sel_hi:[0,1]
	v_dot4_i32_iu8 v189, v119, v185, v190 neg_lo:[1,1,0]
	v_dot4_i32_iu8 v190, v126, v96, v194 neg_lo:[1,1,0]
	s_delay_alu instid0(VALU_DEP_2) | instskip(NEXT) | instid1(VALU_DEP_2)
	v_dot4_i32_iu8 v189, v118, v96, v189 neg_lo:[1,1,0]
	v_cvt_f32_i32_e32 v195, v190
	v_perm_b32 v190, v126, v187, 0x504030c
	s_delay_alu instid0(VALU_DEP_3) | instskip(NEXT) | instid1(VALU_DEP_2)
	v_cvt_f32_i32_e32 v194, v189
	v_or_b32_e32 v190, v190, v191
	s_delay_alu instid0(VALU_DEP_2) | instskip(SKIP_3) | instid1(VALU_DEP_3)
	v_pk_fma_f32 v[76:77], v[180:181], v[194:195], v[76:77]
	v_perm_b32 v195, v95, v95, 0x2010003
	v_dual_mov_b32 v180, v129 :: v_dual_mov_b32 v181, v120
	v_perm_b32 v194, v105, v105, 0x2010003
	v_dot4_i32_iu8 v136, v139, v195, v241 neg_lo:[1,1,0]
	s_delay_alu instid0(VALU_DEP_3) | instskip(NEXT) | instid1(VALU_DEP_3)
	v_pk_mul_f32 v[180:181], v[88:89], v[180:181]
	v_dot4_i32_iu8 v89, v119, v194, v188 neg_lo:[1,1,0]
	s_delay_alu instid0(VALU_DEP_3) | instskip(NEXT) | instid1(VALU_DEP_2)
	v_dot4_i32_iu8 v136, v90, v138, v136 neg_lo:[1,1,0]
	v_dot4_i32_iu8 v89, v98, v118, v89 neg_lo:[1,1,0]
	s_delay_alu instid0(VALU_DEP_2) | instskip(SKIP_2) | instid1(VALU_DEP_4)
	v_cvt_f32_i32_e32 v188, v136
	v_perm_b32 v136, v192, v192, 0xc0c0c03
	v_pk_mul_f32 v[192:193], v[80:81], v[120:121] op_sel_hi:[0,1]
	v_cvt_f32_i32_e32 v189, v89
	v_perm_b32 v89, v107, v106, 0x4070201
	s_delay_alu instid0(VALU_DEP_4) | instskip(NEXT) | instid1(VALU_DEP_3)
	v_or_b32_e32 v127, v127, v136
	v_pk_fma_f32 v[46:47], v[180:181], v[188:189], v[46:47]
	s_delay_alu instid0(VALU_DEP_2) | instskip(SKIP_1) | instid1(VALU_DEP_1)
	v_dot4_i32_iu8 v85, v127, v89, v85 neg_lo:[1,1,0]
	v_perm_b32 v127, v107, v107, 0x2010003
	v_dot4_i32_iu8 v136, v119, v127, v186 neg_lo:[1,1,0]
	v_perm_b32 v186, v84, v107, 0x5040201
	s_delay_alu instid0(VALU_DEP_2) | instskip(NEXT) | instid1(VALU_DEP_2)
	v_dot4_i32_iu8 v136, v118, v84, v136 neg_lo:[1,1,0]
	v_dot4_i32_iu8 v85, v190, v186, v85 neg_lo:[1,1,0]
	v_perm_b32 v190, v126, v126, 0xc0c0302
	s_delay_alu instid0(VALU_DEP_1) | instskip(NEXT) | instid1(VALU_DEP_4)
	v_dot4_i32_iu8 v85, v190, v169, v85 neg_lo:[1,1,0]
	v_cvt_f32_i32_e32 v190, v136
	v_dot4_i32_iu8 v136, v130, v96, v237 neg_lo:[1,1,0]
	s_delay_alu instid0(VALU_DEP_3) | instskip(SKIP_1) | instid1(VALU_DEP_2)
	v_cvt_f32_i32_e32 v191, v85
	v_dot4_i32_iu8 v85, v139, v185, v240 neg_lo:[1,1,0]
	v_pk_fma_f32 v[68:69], v[192:193], v[190:191], v[68:69]
	s_delay_alu instid0(VALU_DEP_2) | instskip(SKIP_3) | instid1(VALU_DEP_4)
	v_dot4_i32_iu8 v85, v138, v96, v85 neg_lo:[1,1,0]
	v_pk_mul_f32 v[190:191], v[92:93], v[128:129] op_sel_hi:[0,1]
	v_cvt_f32_i32_e32 v192, v136
	v_perm_b32 v136, v235, v235, 0xc0c0c03
	v_cvt_f32_i32_e32 v193, v85
	v_perm_b32 v85, v105, v104, 0x4070201
	s_delay_alu instid0(VALU_DEP_2) | instskip(NEXT) | instid1(VALU_DEP_4)
	v_pk_fma_f32 v[64:65], v[190:191], v[192:193], v[64:65]
	v_or_b32_e32 v190, v131, v136
	v_perm_b32 v192, v130, v234, 0x504030c
	v_perm_b32 v193, v233, v233, 0xc0c0c03
	;; [unrolled: 1-line block ×3, first 2 shown]
	v_dot4_i32_iu8 v131, v139, v194, v242 neg_lo:[1,1,0]
	v_dot4_i32_iu8 v85, v190, v85, v137 neg_lo:[1,1,0]
	v_pk_mul_f32 v[136:137], v[82:83], v[128:129] op_sel_hi:[0,1]
	v_or_b32_e32 v192, v192, v193
	v_pk_mul_f32 v[128:129], v[80:81], v[128:129] op_sel_hi:[0,1]
	v_dot4_i32_iu8 v131, v138, v98, v131 neg_lo:[1,1,0]
	s_delay_alu instid0(VALU_DEP_3) | instskip(SKIP_1) | instid1(VALU_DEP_3)
	v_dot4_i32_iu8 v85, v192, v191, v85 neg_lo:[1,1,0]
	v_perm_b32 v191, v130, v130, 0xc0c0302
	v_cvt_f32_i32_e32 v131, v131
	s_delay_alu instid0(VALU_DEP_2) | instskip(NEXT) | instid1(VALU_DEP_1)
	v_dot4_i32_iu8 v85, v191, v168, v85 neg_lo:[1,1,0]
	v_cvt_f32_i32_e32 v130, v85
	v_dot4_i32_iu8 v85, v190, v89, v99 neg_lo:[1,1,0]
	v_dot4_i32_iu8 v89, v139, v127, v243 neg_lo:[1,1,0]
	s_delay_alu instid0(VALU_DEP_3) | instskip(NEXT) | instid1(VALU_DEP_3)
	v_pk_fma_f32 v[48:49], v[136:137], v[130:131], v[48:49]
	v_dot4_i32_iu8 v85, v192, v186, v85 neg_lo:[1,1,0]
	s_delay_alu instid0(VALU_DEP_3) | instskip(NEXT) | instid1(VALU_DEP_2)
	v_dot4_i32_iu8 v89, v138, v84, v89 neg_lo:[1,1,0]
	v_dot4_i32_iu8 v85, v191, v169, v85 neg_lo:[1,1,0]
	s_delay_alu instid0(VALU_DEP_2) | instskip(SKIP_2) | instid1(VALU_DEP_4)
	v_cvt_f32_i32_e32 v131, v89
	v_pk_mul_f32 v[120:121], v[88:89], v[120:121] op_sel_hi:[0,1]
	v_perm_b32 v89, v126, v187, 0x4030c0c
	v_cvt_f32_i32_e32 v130, v85
	v_dot4_i32_iu8 v85, v119, v195, v173 neg_lo:[1,1,0]
	s_set_vgpr_msb 4                        ;  msbs: dst=0 src0=0 src1=1 src2=0
	s_delay_alu instid0(VALU_DEP_3)
	v_or_b32_e32 v89, v89, v5 /*v261*/
	s_set_vgpr_msb 0                        ;  msbs: dst=0 src0=0 src1=0 src2=0
	v_pk_fma_f32 v[52:53], v[128:129], v[130:131], v[52:53]
	v_dot4_i32_iu8 v85, v118, v90, v85 neg_lo:[1,1,0]
	s_set_vgpr_msb 4                        ;  msbs: dst=0 src0=0 src1=1 src2=0
	v_dot4_i32_iu8 v86, v89, v11 /*v267*/, v86 neg_lo:[1,1,0]
	s_set_vgpr_msb 0                        ;  msbs: dst=0 src0=0 src1=0 src2=0
	v_perm_b32 v89, v103, v103, 0xc0c0003
	v_cvt_f32_i32_e32 v118, v85
	v_lshlrev_b32_e32 v85, 8, v135
	s_set_vgpr_msb 5                        ;  msbs: dst=0 src0=1 src1=1 src2=0
	v_dot4_i32_iu8 v86, v13 /*v269*/, v12 /*v268*/, v86 neg_lo:[1,1,0]
	s_set_vgpr_msb 0                        ;  msbs: dst=0 src0=0 src1=0 src2=0
	s_delay_alu instid0(VALU_DEP_1) | instskip(SKIP_1) | instid1(VALU_DEP_2)
	v_cvt_f32_i32_e32 v119, v86
	v_lshlrev_b32_e32 v86, 8, v103
	v_pk_fma_f32 v[78:79], v[120:121], v[118:119], v[78:79]
	s_delay_alu instid0(VALU_DEP_2) | instskip(SKIP_1) | instid1(VALU_DEP_2)
	v_perm_b32 v86, v86, v93, 0x7030c0c
	v_perm_b32 v93, v100, v100, 0xc0c0302
	v_or_b32_e32 v89, v86, v89
	s_delay_alu instid0(VALU_DEP_2) | instskip(NEXT) | instid1(VALU_DEP_2)
	v_dot4_i32_iu8 v93, v114, v93, v164 neg_lo:[1,1,0]
	v_dot4_i32_iu8 v86, v89, v185, v163 neg_lo:[1,1,0]
	s_delay_alu instid0(VALU_DEP_2) | instskip(NEXT) | instid1(VALU_DEP_2)
	v_dot4_i32_iu8 v93, v117, v101, v93 neg_lo:[1,1,0]
	v_dot4_i32_iu8 v86, v102, v96, v86 neg_lo:[1,1,0]
	s_delay_alu instid0(VALU_DEP_2) | instskip(SKIP_2) | instid1(VALU_DEP_4)
	v_cvt_f32_i32_e32 v100, v93
	v_perm_b32 v93, v104, v104, 0xc0c0302
	v_perm_b32 v96, v96, v96, 0xc0c0100
	v_cvt_f32_i32_e32 v101, v86
	v_dot4_i32_iu8 v86, v89, v194, v165 neg_lo:[1,1,0]
	s_delay_alu instid0(VALU_DEP_4) | instskip(NEXT) | instid1(VALU_DEP_3)
	v_dot4_i32_iu8 v93, v114, v93, v166 neg_lo:[1,1,0]
	v_pk_fma_f32 v[66:67], v[108:109], v[100:101], v[66:67]
	s_delay_alu instid0(VALU_DEP_3) | instskip(NEXT) | instid1(VALU_DEP_3)
	v_dot4_i32_iu8 v86, v102, v98, v86 neg_lo:[1,1,0]
	v_dot4_i32_iu8 v93, v117, v105, v93 neg_lo:[1,1,0]
	s_delay_alu instid0(VALU_DEP_2) | instskip(NEXT) | instid1(VALU_DEP_2)
	v_cvt_f32_i32_e32 v101, v86
	v_cvt_f32_i32_e32 v100, v93
	v_perm_b32 v93, v106, v106, 0xc0c0302
	v_dot4_i32_iu8 v86, v89, v127, v167 neg_lo:[1,1,0]
	v_dot4_i32_iu8 v89, v89, v195, v162 neg_lo:[1,1,0]
	s_delay_alu instid0(VALU_DEP_4) | instskip(NEXT) | instid1(VALU_DEP_4)
	v_pk_fma_f32 v[70:71], v[110:111], v[100:101], v[70:71]
	v_dot4_i32_iu8 v93, v114, v93, v116 neg_lo:[1,1,0]
	s_delay_alu instid0(VALU_DEP_4) | instskip(NEXT) | instid1(VALU_DEP_4)
	v_dot4_i32_iu8 v86, v102, v84, v86 neg_lo:[1,1,0]
	v_dot4_i32_iu8 v89, v90, v102, v89 neg_lo:[1,1,0]
	s_delay_alu instid0(VALU_DEP_3) | instskip(NEXT) | instid1(VALU_DEP_3)
	v_dot4_i32_iu8 v93, v117, v107, v93 neg_lo:[1,1,0]
	v_cvt_f32_i32_e32 v101, v86
	v_mov_b32_e32 v86, v132
	s_delay_alu instid0(VALU_DEP_3) | instskip(SKIP_1) | instid1(VALU_DEP_2)
	v_cvt_f32_i32_e32 v100, v93
	v_mov_b32_e32 v93, v88
	v_pk_fma_f32 v[72:73], v[112:113], v[100:101], v[72:73]
	s_delay_alu instid0(VALU_DEP_2) | instskip(SKIP_3) | instid1(VALU_DEP_2)
	v_pk_mul_f32 v[86:87], v[92:93], v[86:87]
	v_perm_b32 v92, v85, v232, 0x7030c0c
	v_perm_b32 v93, v135, v135, 0xc0c0003
	;; [unrolled: 1-line block ×3, first 2 shown]
	v_or_b32_e32 v99, v92, v93
	v_perm_b32 v93, v134, v134, 0xc0c0100
	s_set_vgpr_msb 16                       ;  msbs: dst=0 src0=0 src1=0 src2=1
	s_delay_alu instid0(VALU_DEP_2) | instskip(SKIP_1) | instid1(VALU_DEP_1)
	v_dot4_i32_iu8 v92, v99, v185, v2 /*v258*/ neg_lo:[1,1,0]
	s_set_vgpr_msb 0                        ;  msbs: dst=0 src0=0 src1=0 src2=0
	v_dot4_i32_iu8 v92, v96, v93, v92 neg_lo:[1,1,0]
	v_perm_b32 v96, v134, v134, 0xc0c0302
	v_cvt_f32_i32_e32 v93, v89
	v_perm_b32 v89, v142, v245, 0x7030c0c
	s_delay_alu instid0(VALU_DEP_3) | instskip(NEXT) | instid1(VALU_DEP_1)
	v_dot4_i32_iu8 v92, v161, v96, v92 neg_lo:[1,1,0]
	v_cvt_f32_i32_e32 v92, v92
	s_delay_alu instid0(VALU_DEP_1) | instskip(SKIP_3) | instid1(VALU_DEP_3)
	v_pk_fma_f32 v[36:37], v[86:87], v[92:93], v[36:37]
	v_perm_b32 v87, v244, v125, 0xc0c0700
	v_mul_i32_i24_e32 v86, v246, v150
	v_perm_b32 v92, v231, v231, 0xc0c0c03
	v_or_b32_e32 v87, v89, v87
	v_perm_b32 v89, v140, v248, 0x7030c0c
	s_delay_alu instid0(VALU_DEP_2) | instskip(SKIP_1) | instid1(VALU_DEP_1)
	v_dot4_i32_iu8 v86, v87, v176, v86 neg_lo:[1,1,0]
	v_perm_b32 v87, v247, v142, 0xc0c0700
	v_or_b32_e32 v87, v89, v87
	v_perm_b32 v89, v143, v250, 0x7030c0c
	s_delay_alu instid0(VALU_DEP_2) | instskip(SKIP_1) | instid1(VALU_DEP_1)
	v_dot4_i32_iu8 v86, v87, v178, v86 neg_lo:[1,1,0]
	;; [unrolled: 5-line block ×4, first 2 shown]
	v_perm_b32 v87, v254, v141, 0xc0c0700
	v_or_b32_e32 v87, v89, v87
	s_set_vgpr_msb 4                        ;  msbs: dst=0 src0=0 src1=1 src2=0
	v_perm_b32 v89, v123, v1 /*v257*/, 0x7030c0c
	s_set_vgpr_msb 0                        ;  msbs: dst=0 src0=0 src1=0 src2=0
	s_delay_alu instid0(VALU_DEP_2) | instskip(SKIP_3) | instid1(VALU_DEP_1)
	v_dot4_i32_iu8 v86, v87, v184, v86 neg_lo:[1,1,0]
	s_set_vgpr_msb 1                        ;  msbs: dst=0 src0=1 src1=0 src2=0
	v_perm_b32 v87, v0 /*v256*/, v124, 0xc0c0700
	s_set_vgpr_msb 0                        ;  msbs: dst=0 src0=0 src1=0 src2=0
	v_or_b32_e32 v87, v89, v87
	v_perm_b32 v89, v232, v135, 0x700030c
	s_delay_alu instid0(VALU_DEP_2) | instskip(SKIP_1) | instid1(VALU_DEP_3)
	v_dot4_i32_iu8 v86, v87, v172, v86 neg_lo:[1,1,0]
	v_perm_b32 v87, v95, v94, 0x5040702
	v_or_b32_e32 v89, v89, v92
	s_set_vgpr_msb 4                        ;  msbs: dst=0 src0=0 src1=1 src2=0
	v_perm_b32 v92, v122, v4 /*v260*/, 0x4030c0c
	s_set_vgpr_msb 0                        ;  msbs: dst=0 src0=0 src1=0 src2=0
	s_delay_alu instid0(VALU_DEP_2) | instskip(SKIP_3) | instid1(VALU_DEP_1)
	v_dot4_i32_iu8 v87, v89, v87, v238 neg_lo:[1,1,0]
	s_set_vgpr_msb 1                        ;  msbs: dst=0 src0=1 src1=0 src2=0
	v_perm_b32 v89, v3 /*v259*/, v123, 0xc0c0700
	s_set_vgpr_msb 0                        ;  msbs: dst=0 src0=0 src1=0 src2=0
	v_or_b32_e32 v89, v92, v89
	s_set_vgpr_msb 4                        ;  msbs: dst=0 src0=0 src1=1 src2=0
	s_delay_alu instid0(VALU_DEP_1) | instskip(SKIP_2) | instid1(VALU_DEP_1)
	v_dot4_i32_iu8 v86, v89, v11 /*v267*/, v86 neg_lo:[1,1,0]
	s_set_vgpr_msb 0                        ;  msbs: dst=0 src0=0 src1=0 src2=0
	v_perm_b32 v89, v90, v95, 0xc050402
	v_dot4_i32_iu8 v85, v85, v89, v87 neg_lo:[1,1,0]
	v_perm_b32 v87, v122, v122, 0xc030201
	s_delay_alu instid0(VALU_DEP_2) | instskip(SKIP_1) | instid1(VALU_DEP_2)
	v_dot4_i32_iu8 v85, v96, v149, v85 neg_lo:[1,1,0]
	s_set_vgpr_msb 4                        ;  msbs: dst=0 src0=0 src1=1 src2=0
	v_dot4_i32_iu8 v89, v87, v12 /*v268*/, v86 neg_lo:[1,1,0]
	s_set_vgpr_msb 0                        ;  msbs: dst=0 src0=0 src1=0 src2=0
	s_delay_alu instid0(VALU_DEP_1)
	v_pk_mul_f32 v[86:87], v[88:89], v[132:133] op_sel_hi:[0,1]
	v_cvt_f32_i32_e32 v89, v89
	v_cvt_f32_i32_e32 v88, v85
	s_set_vgpr_msb 1                        ;  msbs: dst=0 src0=1 src1=0 src2=0
	v_dot4_i32_iu8 v85, v6 /*v262*/, v155, 0 neg_lo:[1,1,0]
	s_set_vgpr_msb 0                        ;  msbs: dst=0 src0=0 src1=0 src2=0
	s_delay_alu instid0(VALU_DEP_2) | instskip(SKIP_1) | instid1(VALU_DEP_2)
	v_pk_fma_f32 v[16:17], v[86:87], v[88:89], v[16:17]
	s_set_vgpr_msb 1                        ;  msbs: dst=0 src0=1 src1=0 src2=0
	v_dot4_i32_iu8 v85, v7 /*v263*/, v156, v85 neg_lo:[1,1,0]
	s_set_vgpr_msb 0                        ;  msbs: dst=0 src0=0 src1=0 src2=0
	v_dot4_i32_iu8 v86, v99, v194, v239 neg_lo:[1,1,0]
	s_set_vgpr_msb 1                        ;  msbs: dst=0 src0=1 src1=0 src2=0
	s_delay_alu instid0(VALU_DEP_2) | instskip(SKIP_1) | instid1(VALU_DEP_2)
	v_dot4_i32_iu8 v85, v8 /*v264*/, v157, v85 neg_lo:[1,1,0]
	s_set_vgpr_msb 0                        ;  msbs: dst=0 src0=0 src1=0 src2=0
	v_dot4_i32_iu8 v88, v134, v98, v86 neg_lo:[1,1,0]
	v_pk_mul_f32 v[86:87], v[82:83], v[132:133] op_sel_hi:[0,1]
	s_set_vgpr_msb 1                        ;  msbs: dst=0 src0=1 src1=0 src2=0
	v_dot4_i32_iu8 v82, v6 /*v262*/, v97, 0 neg_lo:[1,1,0]
	v_add_nc_u32_e32 v83, 32, v83
	s_set_vgpr_msb 0                        ;  msbs: dst=0 src0=0 src1=0 src2=0
	v_dot4_i32_iu8 v85, v177, v158, v85 neg_lo:[1,1,0]
	v_cvt_f32_i32_e32 v88, v88
	s_set_vgpr_msb 1                        ;  msbs: dst=0 src0=1 src1=0 src2=0
	v_dot4_i32_iu8 v82, v7 /*v263*/, v115, v82 neg_lo:[1,1,0]
	s_set_vgpr_msb 0                        ;  msbs: dst=0 src0=0 src1=0 src2=0
	v_dot4_i32_iu8 v85, v179, v159, v85 neg_lo:[1,1,0]
	s_set_vgpr_msb 1                        ;  msbs: dst=0 src0=1 src1=0 src2=0
	s_delay_alu instid0(VALU_DEP_2) | instskip(NEXT) | instid1(VALU_DEP_2)
	v_dot4_i32_iu8 v82, v8 /*v264*/, v151, v82 neg_lo:[1,1,0]
	v_dot4_i32_iu8 v85, v9 /*v265*/, v160, v85 neg_lo:[1,1,0]
	s_set_vgpr_msb 0                        ;  msbs: dst=0 src0=0 src1=0 src2=0
	s_delay_alu instid0(VALU_DEP_2) | instskip(SKIP_1) | instid1(VALU_DEP_2)
	v_dot4_i32_iu8 v82, v177, v152, v82 neg_lo:[1,1,0]
	s_set_vgpr_msb 1                        ;  msbs: dst=0 src0=1 src1=0 src2=0
	v_dot4_i32_iu8 v85, v10 /*v266*/, v194, v85 neg_lo:[1,1,0]
	s_set_vgpr_msb 0                        ;  msbs: dst=0 src0=0 src1=0 src2=0
	s_delay_alu instid0(VALU_DEP_2) | instskip(NEXT) | instid1(VALU_DEP_2)
	v_dot4_i32_iu8 v82, v179, v153, v82 neg_lo:[1,1,0]
	v_dot4_i32_iu8 v85, v122, v98, v85 neg_lo:[1,1,0]
	s_set_vgpr_msb 1                        ;  msbs: dst=0 src0=1 src1=0 src2=0
	s_delay_alu instid0(VALU_DEP_2) | instskip(SKIP_1) | instid1(VALU_DEP_2)
	v_dot4_i32_iu8 v82, v9 /*v265*/, v154, v82 neg_lo:[1,1,0]
	s_set_vgpr_msb 0                        ;  msbs: dst=0 src0=0 src1=0 src2=0
	v_cvt_f32_i32_e32 v89, v85
	v_dot4_i32_iu8 v85, v99, v127, v91 neg_lo:[1,1,0]
	s_set_vgpr_msb 1                        ;  msbs: dst=0 src0=1 src1=0 src2=0
	v_dot4_i32_iu8 v82, v10 /*v266*/, v127, v82 neg_lo:[1,1,0]
	s_set_vgpr_msb 0                        ;  msbs: dst=0 src0=0 src1=0 src2=0
	v_pk_fma_f32 v[20:21], v[86:87], v[88:89], v[20:21]
	v_dot4_i32_iu8 v86, v134, v84, v85 neg_lo:[1,1,0]
	s_delay_alu instid0(VALU_DEP_3) | instskip(SKIP_2) | instid1(VALU_DEP_4)
	v_dot4_i32_iu8 v82, v122, v84, v82 neg_lo:[1,1,0]
	v_pk_mul_f32 v[84:85], v[80:81], v[132:133] op_sel_hi:[0,1]
	v_add_nc_u32_e32 v81, 4, v81
	v_cvt_f32_i32_e32 v86, v86
	s_delay_alu instid0(VALU_DEP_4) | instskip(NEXT) | instid1(VALU_DEP_1)
	v_cvt_f32_i32_e32 v87, v82
	v_pk_fma_f32 v[24:25], v[84:85], v[86:87], v[24:25]
	s_cbranch_scc1 .LBB142_11
; %bb.12:                               ;   in Loop: Header=BB142_6 Depth=1
	s_barrier_signal -1
	s_barrier_wait -1
	s_branch .LBB142_5
.LBB142_13:
	v_dual_mov_b32 v6, 0 :: v_dual_mov_b32 v0, 0
	v_dual_mov_b32 v33, 0 :: v_dual_mov_b32 v1, 0
	;; [unrolled: 1-line block ×12, first 2 shown]
	v_mov_b32_e32 v34, 0
	s_wait_xcnt 0x0
	s_mov_b32 s0, exec_lo
	v_cmpx_gt_u32_e64 s6, v9
	s_cbranch_execnz .LBB142_16
.LBB142_14:
	s_sendmsg sendmsg(MSG_DEALLOC_VGPRS)
	s_endpgm
.LBB142_15:
	v_cvt_pk_f16_f32 v38, v66, v67
	v_cvt_f16_f32_e32 v37, v37
	v_cvt_pk_f16_f32 v35, v70, v71
	v_cvt_pk_f16_f32 v33, v72, v73
	v_cvt_f16_f32_e32 v34, v76
	v_cvt_f16_f32_e32 v32, v78
	;; [unrolled: 1-line block ×17, first 2 shown]
	v_cvt_pk_f16_f32 v4, v14, v15
	v_cvt_pk_f16_f32 v2, v16, v17
	;; [unrolled: 1-line block ×4, first 2 shown]
	v_dual_mov_b32 v5, v3 :: v_dual_mov_b32 v12, v7
	s_mov_b32 s0, exec_lo
	v_cmpx_gt_u32_e64 s6, v9
	s_cbranch_execz .LBB142_14
.LBB142_16:
	v_mul_lo_u32 v14, v9, s12
	v_add_nc_u32_e32 v3, s14, v12
	s_delay_alu instid0(VALU_DEP_1)
	v_cmp_gt_u32_e32 vcc_lo, s12, v3
	s_and_saveexec_b32 s0, vcc_lo
	s_cbranch_execz .LBB142_18
; %bb.17:
	s_delay_alu instid0(VALU_DEP_3)
	v_add_nc_u32_e32 v7, v3, v14
	s_wait_kmcnt 0x0
	global_store_b16 v7, v38, s[8:9] scale_offset
.LBB142_18:
	s_wait_xcnt 0x0
	s_or_b32 exec_lo, exec_lo, s0
	v_add_nc_u32_e32 v7, 32, v3
	s_delay_alu instid0(VALU_DEP_1)
	v_cmp_gt_u32_e64 s0, s12, v7
	s_and_saveexec_b32 s1, s0
	s_cbranch_execz .LBB142_20
; %bb.19:
	v_add_nc_u32_e32 v9, v7, v14
	s_wait_kmcnt 0x0
	global_store_b16 v9, v4, s[8:9] scale_offset
.LBB142_20:
	s_wait_xcnt 0x0
	s_or_b32 exec_lo, exec_lo, s1
	v_add_nc_u32_e32 v9, 64, v3
	s_delay_alu instid0(VALU_DEP_1)
	v_cmp_gt_u32_e64 s1, s12, v9
	s_and_saveexec_b32 s2, s1
	s_cbranch_execz .LBB142_22
; %bb.21:
	v_add_nc_u32_e32 v12, v9, v14
	s_wait_kmcnt 0x0
	global_store_b16 v12, v35, s[8:9] scale_offset
.LBB142_22:
	;; [unrolled: 12-line block ×3, first 2 shown]
	s_wait_xcnt 0x0
	s_or_b32 exec_lo, exec_lo, s3
	v_add3_u32 v14, v5, s13, 8
	s_delay_alu instid0(VALU_DEP_1)
	v_cmp_gt_u32_e64 s3, s6, v14
	s_and_b32 exec_lo, exec_lo, s3
	s_cbranch_execz .LBB142_14
; %bb.25:
	v_mul_lo_u32 v14, v14, s12
	s_and_saveexec_b32 s3, vcc_lo
	s_cbranch_execnz .LBB142_65
; %bb.26:
	s_or_b32 exec_lo, exec_lo, s3
	s_and_saveexec_b32 s3, s0
	s_cbranch_execnz .LBB142_66
.LBB142_27:
	s_or_b32 exec_lo, exec_lo, s3
	s_and_saveexec_b32 s3, s1
	s_cbranch_execnz .LBB142_67
.LBB142_28:
	s_or_b32 exec_lo, exec_lo, s3
	s_and_saveexec_b32 s3, s2
	s_cbranch_execz .LBB142_30
.LBB142_29:
	v_add_nc_u32_e32 v14, v14, v12
	s_wait_kmcnt 0x0
	global_store_d16_hi_b16 v14, v33, s[8:9] scale_offset
.LBB142_30:
	s_wait_xcnt 0x0
	s_or_b32 exec_lo, exec_lo, s3
	v_add3_u32 v14, v5, s13, 16
	s_delay_alu instid0(VALU_DEP_1)
	v_cmp_gt_u32_e64 s3, s6, v14
	s_and_b32 exec_lo, exec_lo, s3
	s_cbranch_execz .LBB142_14
; %bb.31:
	v_mul_lo_u32 v14, v14, s12
	s_and_saveexec_b32 s3, vcc_lo
	s_cbranch_execnz .LBB142_68
; %bb.32:
	s_or_b32 exec_lo, exec_lo, s3
	s_and_saveexec_b32 s3, s0
	s_cbranch_execnz .LBB142_69
.LBB142_33:
	s_or_b32 exec_lo, exec_lo, s3
	s_and_saveexec_b32 s3, s1
	s_cbranch_execnz .LBB142_70
.LBB142_34:
	s_or_b32 exec_lo, exec_lo, s3
	s_and_saveexec_b32 s3, s2
	s_cbranch_execz .LBB142_36
.LBB142_35:
	v_add_nc_u32_e32 v14, v14, v12
	s_wait_kmcnt 0x0
	global_store_b16 v14, v30, s[8:9] scale_offset
.LBB142_36:
	s_wait_xcnt 0x0
	s_or_b32 exec_lo, exec_lo, s3
	v_add3_u32 v14, v5, s13, 24
	s_delay_alu instid0(VALU_DEP_1)
	v_cmp_gt_u32_e64 s3, s6, v14
	s_and_b32 exec_lo, exec_lo, s3
	s_cbranch_execz .LBB142_14
; %bb.37:
	v_mul_lo_u32 v14, v14, s12
	s_and_saveexec_b32 s3, vcc_lo
	s_cbranch_execnz .LBB142_71
; %bb.38:
	s_or_b32 exec_lo, exec_lo, s3
	s_and_saveexec_b32 s3, s0
	s_cbranch_execnz .LBB142_72
.LBB142_39:
	s_or_b32 exec_lo, exec_lo, s3
	s_and_saveexec_b32 s3, s1
	s_cbranch_execnz .LBB142_73
.LBB142_40:
	s_or_b32 exec_lo, exec_lo, s3
	s_and_saveexec_b32 s3, s2
	s_cbranch_execz .LBB142_42
.LBB142_41:
	v_add_nc_u32_e32 v14, v14, v12
	s_wait_kmcnt 0x0
	global_store_b16 v14, v26, s[8:9] scale_offset
.LBB142_42:
	s_wait_xcnt 0x0
	s_or_b32 exec_lo, exec_lo, s3
	v_add3_u32 v14, v5, s13, 32
	s_delay_alu instid0(VALU_DEP_1)
	v_cmp_gt_u32_e64 s3, s6, v14
	s_and_b32 exec_lo, exec_lo, s3
	s_cbranch_execz .LBB142_14
; %bb.43:
	v_mul_lo_u32 v14, v14, s12
	s_and_saveexec_b32 s3, vcc_lo
	s_cbranch_execnz .LBB142_74
; %bb.44:
	s_or_b32 exec_lo, exec_lo, s3
	s_and_saveexec_b32 s3, s0
	s_cbranch_execnz .LBB142_75
.LBB142_45:
	s_or_b32 exec_lo, exec_lo, s3
	s_and_saveexec_b32 s3, s1
	s_cbranch_execnz .LBB142_76
.LBB142_46:
	s_or_b32 exec_lo, exec_lo, s3
	s_and_saveexec_b32 s3, s2
	s_cbranch_execz .LBB142_48
.LBB142_47:
	v_add_nc_u32_e32 v14, v14, v12
	s_wait_kmcnt 0x0
	global_store_b16 v14, v18, s[8:9] scale_offset
.LBB142_48:
	s_wait_xcnt 0x0
	s_or_b32 exec_lo, exec_lo, s3
	v_add3_u32 v14, v5, s13, 40
	s_delay_alu instid0(VALU_DEP_1)
	v_cmp_gt_u32_e64 s3, s6, v14
	s_and_b32 exec_lo, exec_lo, s3
	s_cbranch_execz .LBB142_14
; %bb.49:
	v_mul_lo_u32 v14, v14, s12
	s_and_saveexec_b32 s3, vcc_lo
	s_cbranch_execnz .LBB142_77
; %bb.50:
	s_or_b32 exec_lo, exec_lo, s3
	s_and_saveexec_b32 s3, s0
	s_cbranch_execnz .LBB142_78
.LBB142_51:
	s_or_b32 exec_lo, exec_lo, s3
	s_and_saveexec_b32 s3, s1
	s_cbranch_execnz .LBB142_79
.LBB142_52:
	s_or_b32 exec_lo, exec_lo, s3
	s_and_saveexec_b32 s3, s2
	s_cbranch_execz .LBB142_54
.LBB142_53:
	v_add_nc_u32_e32 v10, v14, v12
	s_wait_kmcnt 0x0
	global_store_b16 v10, v6, s[8:9] scale_offset
.LBB142_54:
	s_wait_xcnt 0x0
	s_or_b32 exec_lo, exec_lo, s3
	v_add3_u32 v6, v5, s13, 48
	s_delay_alu instid0(VALU_DEP_1)
	v_cmp_gt_u32_e64 s3, s6, v6
	s_and_b32 exec_lo, exec_lo, s3
	s_cbranch_execz .LBB142_14
; %bb.55:
	v_mul_lo_u32 v6, v6, s12
	s_and_saveexec_b32 s3, vcc_lo
	s_cbranch_execnz .LBB142_80
; %bb.56:
	s_or_b32 exec_lo, exec_lo, s3
	s_and_saveexec_b32 s3, s0
	s_cbranch_execnz .LBB142_81
.LBB142_57:
	s_or_b32 exec_lo, exec_lo, s3
	s_and_saveexec_b32 s3, s1
	s_cbranch_execnz .LBB142_82
.LBB142_58:
	s_or_b32 exec_lo, exec_lo, s3
	s_and_saveexec_b32 s3, s2
	s_cbranch_execz .LBB142_60
.LBB142_59:
	v_add_nc_u32_e32 v6, v6, v12
	s_wait_kmcnt 0x0
	global_store_b16 v6, v0, s[8:9] scale_offset
.LBB142_60:
	s_wait_xcnt 0x0
	s_or_b32 exec_lo, exec_lo, s3
	v_add3_u32 v5, v5, s13, 56
	s_delay_alu instid0(VALU_DEP_1)
	v_cmp_gt_u32_e64 s3, s6, v5
	s_and_b32 exec_lo, exec_lo, s3
	s_cbranch_execz .LBB142_14
; %bb.61:
	v_mul_lo_u32 v5, v5, s12
	s_and_saveexec_b32 s3, vcc_lo
	s_cbranch_execnz .LBB142_83
; %bb.62:
	s_or_b32 exec_lo, exec_lo, s3
	s_and_saveexec_b32 s3, s0
	s_cbranch_execnz .LBB142_84
.LBB142_63:
	s_or_b32 exec_lo, exec_lo, s3
	s_and_saveexec_b32 s0, s1
	s_cbranch_execnz .LBB142_85
.LBB142_64:
	s_or_b32 exec_lo, exec_lo, s0
	s_delay_alu instid0(SALU_CYCLE_1)
	s_and_b32 exec_lo, exec_lo, s2
	s_cbranch_execz .LBB142_14
	s_branch .LBB142_86
.LBB142_65:
	s_delay_alu instid0(VALU_DEP_1)
	v_add_nc_u32_e32 v15, v14, v3
	s_wait_kmcnt 0x0
	global_store_d16_hi_b16 v15, v38, s[8:9] scale_offset
	s_wait_xcnt 0x0
	s_or_b32 exec_lo, exec_lo, s3
	s_and_saveexec_b32 s3, s0
	s_cbranch_execz .LBB142_27
.LBB142_66:
	s_delay_alu instid0(VALU_DEP_1)
	v_add_nc_u32_e32 v15, v14, v7
	s_wait_kmcnt 0x0
	global_store_b16 v15, v37, s[8:9] scale_offset
	s_wait_xcnt 0x0
	s_or_b32 exec_lo, exec_lo, s3
	s_and_saveexec_b32 s3, s1
	s_cbranch_execz .LBB142_28
.LBB142_67:
	s_delay_alu instid0(VALU_DEP_1)
	v_add_nc_u32_e32 v15, v14, v9
	s_wait_kmcnt 0x0
	global_store_d16_hi_b16 v15, v35, s[8:9] scale_offset
	s_wait_xcnt 0x0
	s_or_b32 exec_lo, exec_lo, s3
	s_and_saveexec_b32 s3, s2
	s_cbranch_execnz .LBB142_29
	s_branch .LBB142_30
.LBB142_68:
	s_delay_alu instid0(VALU_DEP_1)
	v_add_nc_u32_e32 v15, v14, v3
	s_wait_kmcnt 0x0
	global_store_b16 v15, v34, s[8:9] scale_offset
	s_wait_xcnt 0x0
	s_or_b32 exec_lo, exec_lo, s3
	s_and_saveexec_b32 s3, s0
	s_cbranch_execz .LBB142_33
.LBB142_69:
	s_delay_alu instid0(VALU_DEP_1)
	v_add_nc_u32_e32 v15, v14, v7
	s_wait_kmcnt 0x0
	global_store_b16 v15, v32, s[8:9] scale_offset
	s_wait_xcnt 0x0
	s_or_b32 exec_lo, exec_lo, s3
	s_and_saveexec_b32 s3, s1
	s_cbranch_execz .LBB142_34
.LBB142_70:
	s_delay_alu instid0(VALU_DEP_1)
	v_add_nc_u32_e32 v15, v14, v9
	s_wait_kmcnt 0x0
	global_store_b16 v15, v31, s[8:9] scale_offset
	s_wait_xcnt 0x0
	s_or_b32 exec_lo, exec_lo, s3
	s_and_saveexec_b32 s3, s2
	s_cbranch_execnz .LBB142_35
	s_branch .LBB142_36
.LBB142_71:
	s_delay_alu instid0(VALU_DEP_1)
	v_add_nc_u32_e32 v15, v14, v3
	s_wait_kmcnt 0x0
	global_store_b16 v15, v29, s[8:9] scale_offset
	s_wait_xcnt 0x0
	s_or_b32 exec_lo, exec_lo, s3
	s_and_saveexec_b32 s3, s0
	s_cbranch_execz .LBB142_39
.LBB142_72:
	s_delay_alu instid0(VALU_DEP_1)
	v_add_nc_u32_e32 v15, v14, v7
	s_wait_kmcnt 0x0
	global_store_b16 v15, v28, s[8:9] scale_offset
	s_wait_xcnt 0x0
	s_or_b32 exec_lo, exec_lo, s3
	s_and_saveexec_b32 s3, s1
	s_cbranch_execz .LBB142_40
.LBB142_73:
	s_delay_alu instid0(VALU_DEP_1)
	v_add_nc_u32_e32 v15, v14, v9
	s_wait_kmcnt 0x0
	global_store_b16 v15, v27, s[8:9] scale_offset
	s_wait_xcnt 0x0
	s_or_b32 exec_lo, exec_lo, s3
	s_and_saveexec_b32 s3, s2
	s_cbranch_execnz .LBB142_41
	s_branch .LBB142_42
.LBB142_74:
	s_delay_alu instid0(VALU_DEP_1)
	v_add_nc_u32_e32 v15, v14, v3
	s_wait_kmcnt 0x0
	global_store_b16 v15, v23, s[8:9] scale_offset
	s_wait_xcnt 0x0
	s_or_b32 exec_lo, exec_lo, s3
	s_and_saveexec_b32 s3, s0
	s_cbranch_execz .LBB142_45
.LBB142_75:
	s_delay_alu instid0(VALU_DEP_1)
	v_add_nc_u32_e32 v15, v14, v7
	s_wait_kmcnt 0x0
	global_store_b16 v15, v22, s[8:9] scale_offset
	s_wait_xcnt 0x0
	s_or_b32 exec_lo, exec_lo, s3
	s_and_saveexec_b32 s3, s1
	s_cbranch_execz .LBB142_46
.LBB142_76:
	s_delay_alu instid0(VALU_DEP_1)
	v_add_nc_u32_e32 v15, v14, v9
	s_wait_kmcnt 0x0
	global_store_b16 v15, v19, s[8:9] scale_offset
	s_wait_xcnt 0x0
	s_or_b32 exec_lo, exec_lo, s3
	s_and_saveexec_b32 s3, s2
	s_cbranch_execnz .LBB142_47
	s_branch .LBB142_48
.LBB142_77:
	s_delay_alu instid0(VALU_DEP_1)
	v_add_nc_u32_e32 v15, v14, v3
	s_wait_kmcnt 0x0
	global_store_b16 v15, v13, s[8:9] scale_offset
	s_wait_xcnt 0x0
	s_or_b32 exec_lo, exec_lo, s3
	s_and_saveexec_b32 s3, s0
	s_cbranch_execz .LBB142_51
.LBB142_78:
	s_delay_alu instid0(VALU_DEP_1)
	v_add_nc_u32_e32 v13, v14, v7
	s_wait_kmcnt 0x0
	global_store_b16 v13, v11, s[8:9] scale_offset
	s_wait_xcnt 0x0
	s_or_b32 exec_lo, exec_lo, s3
	s_and_saveexec_b32 s3, s1
	s_cbranch_execz .LBB142_52
.LBB142_79:
	s_delay_alu instid0(VALU_DEP_1)
	v_add_nc_u32_e32 v11, v14, v9
	s_wait_kmcnt 0x0
	global_store_b16 v11, v10, s[8:9] scale_offset
	s_wait_xcnt 0x0
	s_or_b32 exec_lo, exec_lo, s3
	s_and_saveexec_b32 s3, s2
	s_cbranch_execnz .LBB142_53
	s_branch .LBB142_54
.LBB142_80:
	s_delay_alu instid0(VALU_DEP_1)
	v_add_nc_u32_e32 v10, v6, v3
	s_wait_kmcnt 0x0
	global_store_b16 v10, v8, s[8:9] scale_offset
	s_wait_xcnt 0x0
	s_or_b32 exec_lo, exec_lo, s3
	s_and_saveexec_b32 s3, s0
	s_cbranch_execz .LBB142_57
.LBB142_81:
	s_delay_alu instid0(VALU_DEP_1)
	v_add_nc_u32_e32 v8, v6, v7
	s_wait_kmcnt 0x0
	global_store_b16 v8, v2, s[8:9] scale_offset
	s_wait_xcnt 0x0
	s_or_b32 exec_lo, exec_lo, s3
	s_and_saveexec_b32 s3, s1
	s_cbranch_execz .LBB142_58
.LBB142_82:
	s_delay_alu instid0(VALU_DEP_1)
	v_add_nc_u32_e32 v8, v6, v9
	s_wait_kmcnt 0x0
	global_store_b16 v8, v1, s[8:9] scale_offset
	s_wait_xcnt 0x0
	s_or_b32 exec_lo, exec_lo, s3
	s_and_saveexec_b32 s3, s2
	s_cbranch_execnz .LBB142_59
	s_branch .LBB142_60
.LBB142_83:
	s_delay_alu instid0(VALU_DEP_1)
	v_add_nc_u32_e32 v3, v5, v3
	s_wait_kmcnt 0x0
	global_store_d16_hi_b16 v3, v4, s[8:9] scale_offset
	s_wait_xcnt 0x0
	s_or_b32 exec_lo, exec_lo, s3
	s_and_saveexec_b32 s3, s0
	s_cbranch_execz .LBB142_63
.LBB142_84:
	s_delay_alu instid0(VALU_DEP_1)
	v_add_nc_u32_e32 v3, v5, v7
	s_wait_kmcnt 0x0
	global_store_d16_hi_b16 v3, v2, s[8:9] scale_offset
	s_wait_xcnt 0x0
	s_or_b32 exec_lo, exec_lo, s3
	s_and_saveexec_b32 s0, s1
	s_cbranch_execz .LBB142_64
.LBB142_85:
	s_delay_alu instid0(VALU_DEP_1) | instskip(SKIP_4) | instid1(SALU_CYCLE_1)
	v_add_nc_u32_e32 v2, v5, v9
	s_wait_kmcnt 0x0
	global_store_d16_hi_b16 v2, v1, s[8:9] scale_offset
	s_wait_xcnt 0x0
	s_or_b32 exec_lo, exec_lo, s0
	s_and_b32 exec_lo, exec_lo, s2
	s_cbranch_execz .LBB142_14
.LBB142_86:
	v_add_nc_u32_e32 v1, v5, v12
	s_wait_kmcnt 0x0
	global_store_d16_hi_b16 v1, v0, s[8:9] scale_offset
	s_sendmsg sendmsg(MSG_DEALLOC_VGPRS)
	s_endpgm
	.section	.rodata,"a",@progbits
	.p2align	6, 0x0
	.amdhsa_kernel _ZL12mul_mat_q5_0IN3c104HalfELb1EEvPKvS3_PT_iiiii
		.amdhsa_group_segment_fixed_size 46720
		.amdhsa_private_segment_fixed_size 0
		.amdhsa_kernarg_size 44
		.amdhsa_user_sgpr_count 2
		.amdhsa_user_sgpr_dispatch_ptr 0
		.amdhsa_user_sgpr_queue_ptr 0
		.amdhsa_user_sgpr_kernarg_segment_ptr 1
		.amdhsa_user_sgpr_dispatch_id 0
		.amdhsa_user_sgpr_kernarg_preload_length 0
		.amdhsa_user_sgpr_kernarg_preload_offset 0
		.amdhsa_user_sgpr_private_segment_size 0
		.amdhsa_wavefront_size32 1
		.amdhsa_uses_dynamic_stack 0
		.amdhsa_enable_private_segment 0
		.amdhsa_system_sgpr_workgroup_id_x 1
		.amdhsa_system_sgpr_workgroup_id_y 1
		.amdhsa_system_sgpr_workgroup_id_z 0
		.amdhsa_system_sgpr_workgroup_info 0
		.amdhsa_system_vgpr_workitem_id 1
		.amdhsa_next_free_vgpr 332
		.amdhsa_next_free_sgpr 18
		.amdhsa_named_barrier_count 0
		.amdhsa_reserve_vcc 1
		.amdhsa_float_round_mode_32 0
		.amdhsa_float_round_mode_16_64 0
		.amdhsa_float_denorm_mode_32 3
		.amdhsa_float_denorm_mode_16_64 3
		.amdhsa_fp16_overflow 0
		.amdhsa_memory_ordered 1
		.amdhsa_forward_progress 1
		.amdhsa_inst_pref_size 255
		.amdhsa_round_robin_scheduling 0
		.amdhsa_exception_fp_ieee_invalid_op 0
		.amdhsa_exception_fp_denorm_src 0
		.amdhsa_exception_fp_ieee_div_zero 0
		.amdhsa_exception_fp_ieee_overflow 0
		.amdhsa_exception_fp_ieee_underflow 0
		.amdhsa_exception_fp_ieee_inexact 0
		.amdhsa_exception_int_div_zero 0
	.end_amdhsa_kernel
	.section	.text._ZL12mul_mat_q5_0IN3c104HalfELb1EEvPKvS3_PT_iiiii,"axG",@progbits,_ZL12mul_mat_q5_0IN3c104HalfELb1EEvPKvS3_PT_iiiii,comdat
.Lfunc_end142:
	.size	_ZL12mul_mat_q5_0IN3c104HalfELb1EEvPKvS3_PT_iiiii, .Lfunc_end142-_ZL12mul_mat_q5_0IN3c104HalfELb1EEvPKvS3_PT_iiiii
                                        ; -- End function
	.set _ZL12mul_mat_q5_0IN3c104HalfELb1EEvPKvS3_PT_iiiii.num_vgpr, 332
	.set _ZL12mul_mat_q5_0IN3c104HalfELb1EEvPKvS3_PT_iiiii.num_agpr, 0
	.set _ZL12mul_mat_q5_0IN3c104HalfELb1EEvPKvS3_PT_iiiii.numbered_sgpr, 18
	.set _ZL12mul_mat_q5_0IN3c104HalfELb1EEvPKvS3_PT_iiiii.num_named_barrier, 0
	.set _ZL12mul_mat_q5_0IN3c104HalfELb1EEvPKvS3_PT_iiiii.private_seg_size, 0
	.set _ZL12mul_mat_q5_0IN3c104HalfELb1EEvPKvS3_PT_iiiii.uses_vcc, 1
	.set _ZL12mul_mat_q5_0IN3c104HalfELb1EEvPKvS3_PT_iiiii.uses_flat_scratch, 0
	.set _ZL12mul_mat_q5_0IN3c104HalfELb1EEvPKvS3_PT_iiiii.has_dyn_sized_stack, 0
	.set _ZL12mul_mat_q5_0IN3c104HalfELb1EEvPKvS3_PT_iiiii.has_recursion, 0
	.set _ZL12mul_mat_q5_0IN3c104HalfELb1EEvPKvS3_PT_iiiii.has_indirect_call, 0
	.section	.AMDGPU.csdata,"",@progbits
; Kernel info:
; codeLenInByte = 33784
; TotalNumSgprs: 20
; NumVgprs: 332
; ScratchSize: 0
; MemoryBound: 0
; FloatMode: 240
; IeeeMode: 1
; LDSByteSize: 46720 bytes/workgroup (compile time only)
; SGPRBlocks: 0
; VGPRBlocks: 20
; NumSGPRsForWavesPerEU: 20
; NumVGPRsForWavesPerEU: 332
; NamedBarCnt: 0
; Occupancy: 3
; WaveLimiterHint : 0
; COMPUTE_PGM_RSRC2:SCRATCH_EN: 0
; COMPUTE_PGM_RSRC2:USER_SGPR: 2
; COMPUTE_PGM_RSRC2:TRAP_HANDLER: 0
; COMPUTE_PGM_RSRC2:TGID_X_EN: 1
; COMPUTE_PGM_RSRC2:TGID_Y_EN: 1
; COMPUTE_PGM_RSRC2:TGID_Z_EN: 0
; COMPUTE_PGM_RSRC2:TIDIG_COMP_CNT: 1
	.section	.text._ZL12mul_mat_q5_1IN3c104HalfELb0EEvPKvS3_PT_iiiii,"axG",@progbits,_ZL12mul_mat_q5_1IN3c104HalfELb0EEvPKvS3_PT_iiiii,comdat
	.globl	_ZL12mul_mat_q5_1IN3c104HalfELb0EEvPKvS3_PT_iiiii ; -- Begin function _ZL12mul_mat_q5_1IN3c104HalfELb0EEvPKvS3_PT_iiiii
	.p2align	8
	.type	_ZL12mul_mat_q5_1IN3c104HalfELb0EEvPKvS3_PT_iiiii,@function
_ZL12mul_mat_q5_1IN3c104HalfELb0EEvPKvS3_PT_iiiii: ; @_ZL12mul_mat_q5_1IN3c104HalfELb0EEvPKvS3_PT_iiiii
; %bb.0:
	s_clause 0x1
	s_load_b32 s10, s[0:1], 0x18
	s_load_b96 s[4:6], s[0:1], 0x20
	s_bfe_u32 s2, ttmp6, 0x4000c
	s_bfe_u32 s7, ttmp6, 0x40010
	s_add_co_i32 s2, s2, 1
	s_and_b32 s3, ttmp6, 15
	s_mul_i32 s2, ttmp9, s2
	s_add_co_i32 s7, s7, 1
	s_add_co_i32 s3, s3, s2
	s_mul_i32 s2, ttmp7, s7
	s_bfe_u32 s7, ttmp6, 0x40004
	s_getreg_b32 s8, hwreg(HW_REG_IB_STS2, 6, 4)
	s_add_co_i32 s7, s7, s2
	s_cmp_eq_u32 s8, 0
	v_bfe_u32 v1, v0, 10, 10
	s_cselect_b32 s7, ttmp7, s7
	v_and_b32_e32 v3, 0x3ff, v0
	s_cselect_b32 s2, ttmp9, s3
	s_lshl_b32 s7, s7, 6
	s_mov_b32 s3, 0
	s_wait_kmcnt 0x0
	s_cmp_gt_i32 s10, 31
	s_cbranch_scc1 .LBB143_2
; %bb.1:
	v_bfe_u32 v9, v0, 10, 10
	v_and_b32_e32 v28, 0x3ff, v0
	s_delay_alu instid0(VALU_DEP_2)
	v_add_nc_u32_e32 v7, s7, v9
	s_branch .LBB143_3
.LBB143_2:
	s_mov_b32 s3, -1
                                        ; implicit-def: $vgpr9
                                        ; implicit-def: $vgpr28
                                        ; implicit-def: $vgpr7
.LBB143_3:
	s_load_b64 s[8:9], s[0:1], 0x10
	v_dual_mov_b32 v2, 0 :: v_dual_mov_b32 v6, 0
	v_dual_mov_b32 v12, 0 :: v_dual_mov_b32 v16, 0
	;; [unrolled: 1-line block ×16, first 2 shown]
	s_and_not1_b32 vcc_lo, exec_lo, s3
	s_lshl_b32 s14, s2, 7
	s_cbranch_vccnz .LBB143_14
; %bb.4:
	v_dual_add_nc_u32 v7, s7, v1 :: v_dual_bitop2_b32 v10, 3, v0 bitop3:0x40
	s_add_co_i32 s16, s4, -1
	v_bfe_u32 v9, v0, 3, 7
	v_cvt_f64_i32_e32 v[20:21], s16
	s_delay_alu instid0(VALU_DEP_3) | instskip(SKIP_3) | instid1(VALU_DEP_3)
	v_cvt_f64_u32_e32 v[12:13], v7
	v_dual_add_nc_u32 v2, 8, v7 :: v_dual_add_nc_u32 v4, 16, v7
	v_dual_add_nc_u32 v5, 24, v7 :: v_dual_add_nc_u32 v6, 32, v7
	v_lshlrev_b32_e32 v30, 2, v3
	v_cvt_f64_u32_e32 v[14:15], v2
	s_delay_alu instid0(VALU_DEP_4) | instskip(NEXT) | instid1(VALU_DEP_4)
	v_cvt_f64_u32_e32 v[16:17], v4
	v_cvt_f64_u32_e32 v[18:19], v5
	;; [unrolled: 1-line block ×3, first 2 shown]
	v_and_b32_e32 v6, 7, v0
	v_dual_add_nc_u32 v2, 40, v7 :: v_dual_bitop2_b32 v30, 28, v30 bitop3:0x40
	v_dual_add_nc_u32 v4, 48, v7 :: v_dual_bitop2_b32 v32, 31, v0 bitop3:0x40
	v_lshl_add_u32 v38, v1, 2, v9
	s_ashr_i32 s11, s10, 31
	s_delay_alu instid0(VALU_DEP_3) | instskip(NEXT) | instid1(VALU_DEP_3)
	v_cvt_f64_u32_e32 v[24:25], v2
	v_cvt_f64_u32_e32 v[26:27], v4
	v_add_nc_u32_e32 v4, 56, v7
	s_ashr_i32 s12, s5, 31
	s_lshr_b32 s11, s11, 27
	s_lshr_b32 s12, s12, 27
	s_add_co_i32 s17, s10, s11
	v_cvt_f64_u32_e32 v[28:29], v4
	s_add_co_i32 s10, s5, s12
	s_ashr_i32 s5, s17, 5
	v_bfe_u32 v2, v0, 2, 8
	s_lshl_b32 s18, s5, 3
	v_dual_mov_b32 v5, 0 :: v_dual_lshlrev_b32 v8, 3, v3
	s_ashr_i32 s19, s10, 5
	v_min_num_f64_e32 v[34:35], v[12:13], v[20:21]
	v_lshl_add_u32 v12, v1, 3, v2
	v_dual_lshlrev_b32 v48, 7, v1 :: v_dual_lshlrev_b32 v4, 2, v10
	v_mad_u32_u24 v11, 0x104, v1, v8
	v_mul_lo_u32 v8, s5, v1
	v_min_num_f64_e32 v[36:37], v[14:15], v[20:21]
	v_min_num_f64_e32 v[42:43], v[16:17], v[20:21]
	v_dual_min_num_f64 v[44:45], v[18:19], v[20:21] :: v_dual_lshlrev_b32 v40, 2, v6
	v_mov_b32_e32 v31, v5
	v_lshl_or_b32 v54, v32, 2, 0x8200
	v_add_nc_u32_e32 v32, 0x400, v48
	v_add_nc_u32_e32 v55, 0x800, v48
	s_wait_xcnt 0x0
	s_load_b128 s[0:3], s[0:1], 0x0
	s_and_not1_b32 s17, s17, 31
	v_add_nc_u32_e32 v123, v54, v48
	v_min_num_f64_e32 v[50:51], v[24:25], v[20:21]
	v_min_num_f64_e32 v[52:53], v[26:27], v[20:21]
	v_and_b32_e32 v26, 0x7fc, v38
	v_add_nc_u32_e32 v124, 0x8200, v48
	s_mul_i32 s10, s5, s14
	v_mov_b64_e32 v[60:61], 0
	s_ashr_i32 s11, s10, 31
	v_add3_u32 v26, v26, v40, 0xa200
	s_mul_u64 s[12:13], s[10:11], 24
	s_movk_i32 s10, 0x80
	v_mov_b64_e32 v[68:69], 0
	v_mov_b64_e32 v[72:73], 0
	;; [unrolled: 1-line block ×5, first 2 shown]
	v_cvt_i32_f64_e32 v14, v[34:35]
	v_dual_min_num_f64 v[46:47], v[22:23], v[20:21] :: v_dual_add_nc_u32 v34, 32, v38
	v_dual_min_num_f64 v[20:21], v[28:29], v[20:21] :: v_dual_lshlrev_b32 v28, 5, v38
	v_add_nc_u32_e32 v13, 0x820, v11
	v_cvt_i32_f64_e32 v16, v[36:37]
	v_cvt_i32_f64_e32 v18, v[42:43]
	v_add_nc_u32_e32 v36, 64, v38
	v_cvt_i32_f64_e32 v22, v[44:45]
	v_and_b32_e32 v42, 0xffc, v34
	v_lshlrev_b32_e32 v34, 5, v34
	v_add_nc_u32_e32 v37, 0x60, v38
	v_and_b32_e32 v12, 63, v12
	v_and_b32_e32 v43, 0xffc, v36
	v_lshlrev_b32_e32 v36, 5, v36
	v_add3_u32 v42, v42, v40, 0xa200
	v_and_b32_e32 v45, 0xffc, v37
	v_dual_lshlrev_b32 v37, 5, v37 :: v_dual_bitop2_b32 v44, s7, v12 bitop3:0x54
	v_lshl_or_b32 v12, v12, 4, v4
	v_add3_u32 v43, v43, v40, 0xa200
	s_delay_alu instid0(VALU_DEP_4)
	v_add3_u32 v40, v45, v40, 0xa200
	v_mul_lo_u32 v38, s5, v38
	v_add_nc_u32_e32 v45, 0x1000, v48
	v_add_nc_u32_e32 v71, 0xb280, v12
	;; [unrolled: 1-line block ×8, first 2 shown]
	v_mul_lo_u32 v79, s19, v14
	v_add_nc_u32_e32 v25, 0x30c0, v11
	v_cvt_i32_f64_e32 v24, v[46:47]
	v_and_b32_e32 v47, 0xfc, v0
	v_add_nc_u32_e32 v27, 0x38e0, v11
	v_add_nc_u32_e32 v33, 0x4100, v11
	v_mul_lo_u32 v100, s19, v16
	v_mul_lo_u32 v101, s19, v18
	v_add_nc_u32_e32 v18, 0x60, v3
	v_mul_lo_u32 v102, s19, v22
	v_add_nc_u32_e32 v22, 32, v3
	v_cvt_i32_f64_e32 v20, v[20:21]
	v_min_i32_e32 v21, s16, v44
	v_and_b32_e32 v18, 0x1fc, v18
	v_add_nc_u32_e32 v44, 0xc00, v48
	v_and_b32_e32 v46, 0x1fc, v22
	v_add_nc_u32_e32 v58, s17, v38
	v_mad_u32 v77, v21, s19, v10
	v_add_nc_u32_e32 v21, 64, v3
	v_cvt_i32_f64_e32 v35, v[52:53]
	v_add_nc_u32_e32 v52, 0x1c00, v48
	v_add_nc_u32_e32 v39, 0x4920, v11
	;; [unrolled: 1-line block ×3, first 2 shown]
	v_and_b32_e32 v21, 0x1fc, v21
	v_add_nc_u32_e32 v49, 0x5960, v11
	v_add_nc_u32_e32 v122, v54, v52
	v_mov_b64_e32 v[52:53], 0
	v_add_nc_u32_e32 v57, 0x6180, v11
	v_add_nc_u32_e32 v59, 0x69a0, v11
	;; [unrolled: 1-line block ×4, first 2 shown]
	v_mul_u32_u24_e32 v130, 0x104, v3
	v_lshl_add_u32 v131, v1, 4, 0xb280
	v_mad_u32_u24 v132, 0x104, v3, s10
	v_mul_lo_u32 v103, s19, v24
	v_dual_lshlrev_b32 v24, 5, v3 :: v_dual_add_nc_u32 v10, s18, v8
	v_lshrrev_b32_e32 v107, 3, v22
	v_dual_add_nc_u32 v110, v42, v34 :: v_dual_add_nc_u32 v112, v43, v36
	s_delay_alu instid0(VALU_DEP_3) | instskip(SKIP_3) | instid1(VALU_DEP_4)
	v_dual_add_nc_u32 v47, v24, v47 :: v_dual_add_nc_u32 v12, s18, v10
	v_cvt_i32_f64_e32 v29, v[50:51]
	v_add_nc_u32_e32 v50, v24, v18
	v_mul_lo_u32 v106, s19, v20
	v_add_nc_u32_e32 v115, 0xa200, v47
	v_add_nc_u32_e32 v14, s18, v12
	;; [unrolled: 1-line block ×5, first 2 shown]
	v_mov_b64_e32 v[42:43], 0
	v_dual_add_nc_u32 v16, s18, v14 :: v_dual_add_nc_u32 v51, v24, v21
	v_mul_lo_u32 v105, s19, v35
	v_add_nc_u32_e32 v35, 0x1800, v48
	s_wait_kmcnt 0x0
	v_add_nc_u64_e32 v[20:21], s[2:3], v[30:31]
	v_dual_add_nc_u32 v0, s18, v16 :: v_dual_add_nc_u32 v46, v24, v46
	v_add_nc_u32_e32 v111, 0xaa00, v51
	v_add_nc_u32_e32 v126, 0xaa10, v51
	v_mov_b64_e32 v[50:51], 0
	s_delay_alu instid0(VALU_DEP_4)
	v_add_nc_u32_e32 v18, s18, v0
	v_add_nc_u32_e32 v108, v26, v28
	;; [unrolled: 1-line block ×4, first 2 shown]
	v_mov_b64_e32 v[30:31], 0
	v_dual_add_nc_u32 v22, s18, v18 :: v_dual_add_nc_u32 v114, v40, v37
	v_mov_b64_e32 v[36:37], 0
	v_mov_b64_e32 v[46:47], 0
	s_mov_b32 s11, 0
	s_delay_alu instid0(VALU_DEP_3) | instskip(SKIP_3) | instid1(VALU_DEP_3)
	v_dual_add_nc_u32 v24, s18, v22 :: v_dual_add_nc_u32 v117, v54, v55
	s_add_co_i32 s15, s5, 3
	v_mul_lo_u32 v104, s19, v29
	v_add_nc_u32_e32 v29, 0x1400, v48
	v_add_nc_u32_e32 v26, s18, v24
	v_dual_add_nc_u32 v118, v54, v44 :: v_dual_add_nc_u32 v121, v54, v35
	v_mov_b64_e32 v[44:45], 0
	s_delay_alu instid0(VALU_DEP_3)
	v_dual_add_nc_u32 v120, v54, v29 :: v_dual_add_nc_u32 v32, s18, v26
	v_add_nc_u32_e32 v70, s17, v58
	v_mov_b64_e32 v[28:29], 0
	v_mov_b64_e32 v[54:55], 0
	v_mov_b64_e32 v[34:35], 0
	v_add_nc_u32_e32 v40, s18, v32
	s_add_nc_u64 s[0:1], s[0:1], s[12:13]
	s_mov_b32 s10, s11
	s_delay_alu instid0(VALU_DEP_1) | instskip(NEXT) | instid1(VALU_DEP_1)
	v_dual_add_nc_u32 v78, s17, v70 :: v_dual_add_nc_u32 v48, s18, v40
	v_add_nc_u32_e32 v56, s18, v48
	s_delay_alu instid0(VALU_DEP_1) | instskip(NEXT) | instid1(VALU_DEP_1)
	v_add_nc_u32_e32 v66, s18, v56
	v_add_nc_u32_e32 v76, s18, v66
	s_branch .LBB143_6
.LBB143_5:                              ;   in Loop: Header=BB143_6 Depth=1
	s_add_co_i32 s10, s10, 8
	s_add_co_i32 s15, s15, -8
	s_cmp_ge_i32 s10, s5
	s_cbranch_scc1 .LBB143_13
.LBB143_6:                              ; =>This Loop Header: Depth=1
                                        ;     Child Loop BB143_8 Depth 2
                                        ;     Child Loop BB143_11 Depth 2
	s_mul_u64 s[12:13], s[10:11], 24
	s_cmp_gt_u32 s15, 3
	s_add_nc_u64 s[12:13], s[0:1], s[12:13]
	s_wait_xcnt 0x0
	v_mad_nc_u64_u32 v[80:81], v2, 24, s[12:13]
	s_delay_alu instid0(VALU_DEP_1) | instskip(NEXT) | instid1(VALU_DEP_1)
	v_mad_nc_u64_u32 v[82:83], v8, 24, v[80:81]
	v_add_nc_u64_e32 v[84:85], v[82:83], v[4:5]
	s_clause 0x1
	global_load_b32 v86, v[84:85], off offset:8
	global_load_b32 v87, v[82:83], off offset:4
	s_wait_loadcnt 0x0
	s_wait_xcnt 0x0
	v_dual_lshrrev_b32 v85, 4, v86 :: v_dual_ashrrev_i32 v82, v4, v87
	v_and_b32_e32 v86, 0xf0f0f0f, v86
	s_delay_alu instid0(VALU_DEP_2) | instskip(NEXT) | instid1(VALU_DEP_3)
	v_and_b32_e32 v85, 0xf0f0f0f, v85
	v_dual_lshlrev_b32 v83, 4, v82 :: v_dual_lshlrev_b32 v84, 11, v82
	v_dual_lshrrev_b32 v87, 12, v82 :: v_dual_lshrrev_b32 v88, 5, v82
	s_delay_alu instid0(VALU_DEP_2) | instskip(NEXT) | instid1(VALU_DEP_3)
	v_and_b32_e32 v83, 16, v83
	v_and_b32_e32 v84, 0x1000, v84
	s_delay_alu instid0(VALU_DEP_3) | instskip(NEXT) | instid1(VALU_DEP_3)
	v_and_b32_e32 v87, 16, v87
	v_or_b32_e32 v83, v83, v86
	v_and_b32_e32 v86, 0x1000, v88
	s_delay_alu instid0(VALU_DEP_2) | instskip(NEXT) | instid1(VALU_DEP_4)
	v_dual_lshlrev_b32 v84, 2, v82 :: v_dual_bitop2_b32 v83, v83, v84 bitop3:0x54
	v_or_b32_e32 v85, v87, v85
	s_delay_alu instid0(VALU_DEP_2) | instskip(NEXT) | instid1(VALU_DEP_2)
	v_and_b32_e32 v84, 0x100000, v84
	v_or_b32_e32 v85, v85, v86
	s_delay_alu instid0(VALU_DEP_1) | instskip(NEXT) | instid1(VALU_DEP_1)
	v_dual_lshlrev_b32 v86, 18, v82 :: v_dual_bitop2_b32 v84, v85, v84 bitop3:0x54
	v_and_b32_e32 v86, 0x100000, v86
	v_dual_lshlrev_b32 v85, 9, v82 :: v_dual_lshlrev_b32 v82, 25, v82
	s_delay_alu instid0(VALU_DEP_2) | instskip(NEXT) | instid1(VALU_DEP_2)
	v_or_b32_e32 v83, v83, v86
	v_and_b32_e32 v85, 0x10000000, v85
	s_delay_alu instid0(VALU_DEP_3) | instskip(NEXT) | instid1(VALU_DEP_2)
	v_and_b32_e32 v82, 0x10000000, v82
	v_or_b32_e32 v84, v84, v85
	s_delay_alu instid0(VALU_DEP_2) | instskip(SKIP_2) | instid1(VALU_DEP_1)
	v_or_b32_e32 v82, v83, v82
	ds_store_2addr_b32 v11, v82, v84 offset1:1
	v_mad_nc_u64_u32 v[82:83], v10, 24, v[80:81]
	v_add_nc_u64_e32 v[84:85], v[82:83], v[4:5]
	s_clause 0x1
	global_load_b32 v86, v[84:85], off offset:8
	global_load_b32 v87, v[82:83], off offset:4
	s_wait_loadcnt 0x0
	s_wait_xcnt 0x0
	v_dual_lshrrev_b32 v85, 4, v86 :: v_dual_ashrrev_i32 v82, v4, v87
	v_and_b32_e32 v86, 0xf0f0f0f, v86
	s_delay_alu instid0(VALU_DEP_2) | instskip(NEXT) | instid1(VALU_DEP_3)
	v_and_b32_e32 v85, 0xf0f0f0f, v85
	v_dual_lshlrev_b32 v83, 4, v82 :: v_dual_lshlrev_b32 v84, 11, v82
	v_dual_lshrrev_b32 v88, 5, v82 :: v_dual_lshrrev_b32 v87, 12, v82
	s_delay_alu instid0(VALU_DEP_2) | instskip(NEXT) | instid1(VALU_DEP_3)
	v_and_b32_e32 v83, 16, v83
	v_and_b32_e32 v84, 0x1000, v84
	s_delay_alu instid0(VALU_DEP_3) | instskip(NEXT) | instid1(VALU_DEP_3)
	v_and_b32_e32 v87, 16, v87
	v_or_b32_e32 v83, v83, v86
	v_and_b32_e32 v86, 0x1000, v88
	s_delay_alu instid0(VALU_DEP_2) | instskip(NEXT) | instid1(VALU_DEP_4)
	v_dual_lshlrev_b32 v84, 2, v82 :: v_dual_bitop2_b32 v83, v83, v84 bitop3:0x54
	v_or_b32_e32 v85, v87, v85
	s_delay_alu instid0(VALU_DEP_2) | instskip(NEXT) | instid1(VALU_DEP_2)
	v_and_b32_e32 v84, 0x100000, v84
	v_or_b32_e32 v85, v85, v86
	s_delay_alu instid0(VALU_DEP_1) | instskip(NEXT) | instid1(VALU_DEP_1)
	v_dual_lshlrev_b32 v86, 18, v82 :: v_dual_bitop2_b32 v84, v85, v84 bitop3:0x54
	v_and_b32_e32 v86, 0x100000, v86
	v_dual_lshlrev_b32 v85, 9, v82 :: v_dual_lshlrev_b32 v82, 25, v82
	s_delay_alu instid0(VALU_DEP_2) | instskip(NEXT) | instid1(VALU_DEP_2)
	v_or_b32_e32 v83, v83, v86
	v_and_b32_e32 v85, 0x10000000, v85
	s_delay_alu instid0(VALU_DEP_3) | instskip(NEXT) | instid1(VALU_DEP_2)
	v_and_b32_e32 v82, 0x10000000, v82
	v_or_b32_e32 v84, v84, v85
	s_delay_alu instid0(VALU_DEP_2) | instskip(SKIP_2) | instid1(VALU_DEP_1)
	v_or_b32_e32 v82, v83, v82
	ds_store_2addr_b32 v13, v82, v84 offset1:1
	;; [unrolled: 39-line block ×13, first 2 shown]
	v_mad_nc_u64_u32 v[82:83], v56, 24, v[80:81]
	v_add_nc_u64_e32 v[84:85], v[82:83], v[4:5]
	s_clause 0x1
	global_load_b32 v86, v[84:85], off offset:8
	global_load_b32 v87, v[82:83], off offset:4
	s_wait_loadcnt 0x0
	s_wait_xcnt 0x0
	v_dual_lshrrev_b32 v85, 4, v86 :: v_dual_ashrrev_i32 v82, v4, v87
	v_and_b32_e32 v86, 0xf0f0f0f, v86
	s_delay_alu instid0(VALU_DEP_2) | instskip(NEXT) | instid1(VALU_DEP_3)
	v_and_b32_e32 v85, 0xf0f0f0f, v85
	v_dual_lshlrev_b32 v83, 4, v82 :: v_dual_lshlrev_b32 v84, 11, v82
	v_dual_lshrrev_b32 v88, 5, v82 :: v_dual_lshrrev_b32 v87, 12, v82
	s_delay_alu instid0(VALU_DEP_2) | instskip(NEXT) | instid1(VALU_DEP_3)
	v_and_b32_e32 v83, 16, v83
	v_and_b32_e32 v84, 0x1000, v84
	s_delay_alu instid0(VALU_DEP_3) | instskip(NEXT) | instid1(VALU_DEP_3)
	v_and_b32_e32 v87, 16, v87
	v_or_b32_e32 v83, v83, v86
	v_and_b32_e32 v86, 0x1000, v88
	s_delay_alu instid0(VALU_DEP_2) | instskip(NEXT) | instid1(VALU_DEP_4)
	v_dual_lshlrev_b32 v84, 2, v82 :: v_dual_bitop2_b32 v83, v83, v84 bitop3:0x54
	v_or_b32_e32 v85, v87, v85
	s_delay_alu instid0(VALU_DEP_2) | instskip(NEXT) | instid1(VALU_DEP_2)
	v_and_b32_e32 v84, 0x100000, v84
	v_or_b32_e32 v85, v85, v86
	s_delay_alu instid0(VALU_DEP_1) | instskip(NEXT) | instid1(VALU_DEP_1)
	v_dual_lshlrev_b32 v86, 18, v82 :: v_dual_bitop2_b32 v84, v85, v84 bitop3:0x54
	v_and_b32_e32 v86, 0x100000, v86
	v_dual_lshlrev_b32 v85, 9, v82 :: v_dual_lshlrev_b32 v82, 25, v82
	s_delay_alu instid0(VALU_DEP_2) | instskip(NEXT) | instid1(VALU_DEP_2)
	v_or_b32_e32 v83, v83, v86
	v_and_b32_e32 v85, 0x10000000, v85
	s_delay_alu instid0(VALU_DEP_3) | instskip(NEXT) | instid1(VALU_DEP_2)
	v_and_b32_e32 v82, 0x10000000, v82
	v_or_b32_e32 v84, v84, v85
	s_delay_alu instid0(VALU_DEP_2) | instskip(SKIP_3) | instid1(VALU_DEP_2)
	v_or_b32_e32 v82, v83, v82
	ds_store_2addr_b32 v59, v82, v84 offset1:1
	v_mad_nc_u64_u32 v[82:83], v66, 24, v[80:81]
	v_mad_nc_u64_u32 v[80:81], v76, 24, v[80:81]
	v_add_nc_u64_e32 v[84:85], v[82:83], v[4:5]
	s_clause 0x1
	global_load_b32 v86, v[84:85], off offset:8
	global_load_b32 v87, v[82:83], off offset:4
	s_wait_loadcnt 0x0
	s_wait_xcnt 0x0
	v_dual_lshrrev_b32 v85, 4, v86 :: v_dual_ashrrev_i32 v82, v4, v87
	v_and_b32_e32 v86, 0xf0f0f0f, v86
	s_delay_alu instid0(VALU_DEP_2) | instskip(NEXT) | instid1(VALU_DEP_3)
	v_and_b32_e32 v85, 0xf0f0f0f, v85
	v_dual_lshlrev_b32 v83, 4, v82 :: v_dual_lshlrev_b32 v84, 11, v82
	v_dual_lshrrev_b32 v88, 5, v82 :: v_dual_lshrrev_b32 v87, 12, v82
	s_delay_alu instid0(VALU_DEP_2) | instskip(NEXT) | instid1(VALU_DEP_3)
	v_and_b32_e32 v83, 16, v83
	v_and_b32_e32 v84, 0x1000, v84
	s_delay_alu instid0(VALU_DEP_3) | instskip(NEXT) | instid1(VALU_DEP_3)
	v_and_b32_e32 v87, 16, v87
	v_or_b32_e32 v83, v83, v86
	v_and_b32_e32 v86, 0x1000, v88
	s_delay_alu instid0(VALU_DEP_2) | instskip(NEXT) | instid1(VALU_DEP_4)
	v_dual_lshlrev_b32 v84, 2, v82 :: v_dual_bitop2_b32 v83, v83, v84 bitop3:0x54
	v_or_b32_e32 v85, v87, v85
	s_delay_alu instid0(VALU_DEP_2) | instskip(NEXT) | instid1(VALU_DEP_2)
	v_and_b32_e32 v84, 0x100000, v84
	v_or_b32_e32 v85, v85, v86
	s_delay_alu instid0(VALU_DEP_1) | instskip(NEXT) | instid1(VALU_DEP_1)
	v_dual_lshlrev_b32 v86, 18, v82 :: v_dual_bitop2_b32 v84, v85, v84 bitop3:0x54
	v_and_b32_e32 v86, 0x100000, v86
	v_dual_lshlrev_b32 v85, 9, v82 :: v_dual_lshlrev_b32 v82, 25, v82
	s_delay_alu instid0(VALU_DEP_2) | instskip(NEXT) | instid1(VALU_DEP_2)
	v_or_b32_e32 v83, v83, v86
	v_and_b32_e32 v85, 0x10000000, v85
	s_delay_alu instid0(VALU_DEP_3) | instskip(NEXT) | instid1(VALU_DEP_2)
	v_and_b32_e32 v82, 0x10000000, v82
	v_or_b32_e32 v84, v84, v85
	s_delay_alu instid0(VALU_DEP_2)
	v_or_b32_e32 v82, v83, v82
	ds_store_2addr_b32 v67, v82, v84 offset1:1
	v_add_nc_u64_e32 v[82:83], v[80:81], v[4:5]
	s_clause 0x1
	global_load_b32 v84, v[82:83], off offset:8
	global_load_b32 v85, v[80:81], off offset:4
	s_wait_loadcnt 0x0
	s_wait_xcnt 0x0
	v_dual_lshrrev_b32 v83, 4, v84 :: v_dual_ashrrev_i32 v80, v4, v85
	v_and_b32_e32 v84, 0xf0f0f0f, v84
	s_delay_alu instid0(VALU_DEP_2) | instskip(NEXT) | instid1(VALU_DEP_3)
	v_and_b32_e32 v83, 0xf0f0f0f, v83
	v_dual_lshlrev_b32 v81, 4, v80 :: v_dual_lshlrev_b32 v82, 11, v80
	v_dual_lshrrev_b32 v85, 12, v80 :: v_dual_lshrrev_b32 v86, 5, v80
	s_delay_alu instid0(VALU_DEP_2) | instskip(NEXT) | instid1(VALU_DEP_3)
	v_and_b32_e32 v81, 16, v81
	v_and_b32_e32 v82, 0x1000, v82
	s_delay_alu instid0(VALU_DEP_3) | instskip(NEXT) | instid1(VALU_DEP_3)
	v_and_b32_e32 v85, 16, v85
	v_or_b32_e32 v81, v81, v84
	v_and_b32_e32 v84, 0x1000, v86
	s_delay_alu instid0(VALU_DEP_3) | instskip(NEXT) | instid1(VALU_DEP_3)
	v_or_b32_e32 v83, v85, v83
	v_dual_lshlrev_b32 v82, 2, v80 :: v_dual_bitop2_b32 v81, v81, v82 bitop3:0x54
	s_delay_alu instid0(VALU_DEP_2) | instskip(SKIP_1) | instid1(VALU_DEP_3)
	v_or_b32_e32 v83, v83, v84
	v_lshlrev_b32_e32 v84, 18, v80
	v_and_b32_e32 v82, 0x100000, v82
	s_delay_alu instid0(VALU_DEP_2) | instskip(NEXT) | instid1(VALU_DEP_2)
	v_and_b32_e32 v84, 0x100000, v84
	v_dual_lshlrev_b32 v83, 9, v80 :: v_dual_bitop2_b32 v82, v83, v82 bitop3:0x54
	v_lshlrev_b32_e32 v80, 25, v80
	s_delay_alu instid0(VALU_DEP_3) | instskip(NEXT) | instid1(VALU_DEP_3)
	v_or_b32_e32 v81, v81, v84
	v_and_b32_e32 v83, 0x10000000, v83
	s_delay_alu instid0(VALU_DEP_3) | instskip(NEXT) | instid1(VALU_DEP_2)
	v_and_b32_e32 v80, 0x10000000, v80
	v_or_b32_e32 v82, v82, v83
	s_delay_alu instid0(VALU_DEP_2) | instskip(SKIP_2) | instid1(VALU_DEP_1)
	v_or_b32_e32 v80, v81, v80
	ds_store_2addr_b32 v129, v80, v82 offset1:1
	v_mad_nc_u64_u32 v[80:81], v6, 24, s[12:13]
	v_mad_nc_u64_u32 v[82:83], v38, 24, v[80:81]
	global_load_b32 v82, v[82:83], off
	s_wait_loadcnt 0x0
	ds_store_b32 v108, v82
	s_wait_xcnt 0x0
	v_mad_nc_u64_u32 v[82:83], v58, 24, v[80:81]
	global_load_b32 v82, v[82:83], off
	s_wait_loadcnt 0x0
	ds_store_b32 v110, v82
	s_wait_xcnt 0x0
	v_mad_nc_u64_u32 v[82:83], v70, 24, v[80:81]
	v_mad_nc_u64_u32 v[80:81], v78, 24, v[80:81]
	s_clause 0x1
	global_load_b32 v82, v[82:83], off
	global_load_b32 v80, v[80:81], off
	s_wait_loadcnt 0x1
	ds_store_b32 v112, v82
	s_wait_loadcnt 0x0
	ds_store_b32 v114, v80
	s_cbranch_scc0 .LBB143_5
; %bb.7:                                ;   in Loop: Header=BB143_6 Depth=1
	s_wait_xcnt 0x1
	v_dual_add_nc_u32 v82, s10, v9 :: v_dual_mov_b32 v134, v124
	v_dual_add_nc_u32 v133, s10, v77 :: v_dual_mov_b32 v135, v130
	s_mov_b32 s12, -4
	s_wait_xcnt 0x0
	s_delay_alu instid0(VALU_DEP_2) | instskip(SKIP_2) | instid1(VALU_DEP_3)
	v_dual_add_nc_u32 v80, v82, v79 :: v_dual_mov_b32 v136, v131
	v_dual_mov_b32 v137, v115 :: v_dual_mov_b32 v138, v113
	v_mov_b32_e32 v139, v111
	v_mad_nc_i64_i32 v[80:81], v80, 36, v[20:21]
	v_mov_b32_e32 v140, v109
	global_load_b32 v80, v[80:81], off offset:4
	s_wait_loadcnt 0x0
	ds_store_b32 v123, v80
	s_wait_xcnt 0x0
	v_add_nc_u32_e32 v80, v82, v100
	s_delay_alu instid0(VALU_DEP_1)
	v_mad_nc_i64_i32 v[80:81], v80, 36, v[20:21]
	global_load_b32 v80, v[80:81], off offset:4
	s_wait_loadcnt 0x0
	ds_store_b32 v116, v80
	s_wait_xcnt 0x0
	v_add_nc_u32_e32 v80, v82, v101
	s_delay_alu instid0(VALU_DEP_1)
	v_mad_nc_i64_i32 v[80:81], v80, 36, v[20:21]
	;; [unrolled: 7-line block ×7, first 2 shown]
	global_load_b32 v80, v[80:81], off offset:4
	s_wait_loadcnt 0x0
	ds_store_b32 v122, v80
	s_wait_xcnt 0x0
	v_mad_nc_u64_u32 v[80:81], v133, 36, s[2:3]
	global_load_b32 v80, v[80:81], off
	s_wait_loadcnt 0x0
	ds_store_b32 v71, v80
	s_wait_dscnt 0x0
	s_barrier_signal -1
	s_barrier_wait -1
.LBB143_8:                              ;   Parent Loop BB143_6 Depth=1
                                        ; =>  This Inner Loop Header: Depth=2
	ds_load_2addr_b32 v[82:83], v134 offset0:3 offset1:4
	ds_load_2addr_b32 v[86:87], v134 offset0:1 offset1:2
	;; [unrolled: 1-line block ×3, first 2 shown]
	ds_load_2addr_b32 v[96:97], v134 offset1:7
	ds_load_2addr_b32 v[88:89], v136 offset1:32
	ds_load_b32 v141, v137
	ds_load_2addr_b32 v[84:85], v135 offset1:1
	ds_load_2addr_b32 v[90:91], v135 offset0:2 offset1:3
	ds_load_2addr_b32 v[92:93], v135 offset0:4 offset1:5
	;; [unrolled: 1-line block ×3, first 2 shown]
	v_add_nc_u32_e32 v150, 0x2098, v135
	s_add_co_i32 s12, s12, 4
	v_add_nc_u32_e32 v137, 4, v137
	s_cmp_lt_u32 s12, 12
	s_wait_dscnt 0x8
	v_dual_lshlrev_b32 v158, 16, v83 :: v_dual_lshlrev_b32 v159, 24, v86
	s_wait_dscnt 0x7
	v_perm_b32 v98, v144, v86, 0x7030c0c
	v_dual_lshlrev_b32 v160, 16, v86 :: v_dual_lshlrev_b32 v161, 24, v144
	s_wait_dscnt 0x3
	s_wait_xcnt 0x0
	v_perm_b32 v80, v96, v85, 0xc0c0703
	s_wait_dscnt 0x2
	v_perm_b32 v81, v91, v90, 0x7030c0c
	v_dual_lshlrev_b32 v170, 24, v97 :: v_dual_lshlrev_b32 v162, 16, v144
	v_lshlrev_b32_e32 v163, 16, v87
	v_perm_b32 v142, v84, v158, 0xc0c0503
	s_delay_alu instid0(VALU_DEP_4) | instskip(SKIP_3) | instid1(VALU_DEP_3)
	v_or_b32_e32 v80, v81, v80
	v_perm_b32 v81, v84, v83, 0xc0c0703
	v_dual_lshlrev_b32 v156, 8, v97 :: v_dual_lshlrev_b32 v157, 24, v83
	v_dual_lshlrev_b32 v99, 8, v83 :: v_dual_lshlrev_b32 v143, 8, v86
	v_or_b32_e32 v81, v98, v81
	v_perm_b32 v98, v91, v90, 0x5010c0c
	s_delay_alu instid0(VALU_DEP_4) | instskip(SKIP_1) | instid1(VALU_DEP_4)
	v_perm_b32 v146, v84, v157, 0xc0c0403
	v_dual_lshlrev_b32 v152, 8, v144 :: v_dual_lshlrev_b32 v153, 8, v87
	v_dot4_i32_iu8 v80, v81, v80, 0 neg_lo:[1,1,0]
	v_perm_b32 v81, v96, v85, 0xc0c0501
	v_perm_b32 v147, v84, v99, 0xc0c0603
	v_dual_lshlrev_b32 v154, 8, v145 :: v_dual_lshlrev_b32 v155, 8, v82
	v_dual_lshlrev_b32 v164, 24, v87 :: v_dual_lshlrev_b32 v165, 16, v145
	s_delay_alu instid0(VALU_DEP_4) | instskip(SKIP_1) | instid1(VALU_DEP_4)
	v_or_b32_e32 v81, v98, v81
	v_perm_b32 v98, v162, v160, 0x7030c0c
	v_perm_b32 v148, v156, v155, 0x7030c0c
	v_dual_lshlrev_b32 v166, 24, v145 :: v_dual_lshlrev_b32 v167, 16, v82
	v_dual_lshlrev_b32 v168, 24, v82 :: v_dual_lshlrev_b32 v169, 16, v97
	s_delay_alu instid0(VALU_DEP_4)
	v_or_b32_e32 v98, v98, v142
	v_perm_b32 v142, v91, v90, 0x4000c0c
	v_perm_b32 v157, v158, v157, 0xc0c0703
	;; [unrolled: 1-line block ×4, first 2 shown]
	v_dot4_i32_iu8 v81, v98, v81, 0 neg_lo:[1,1,0]
	v_perm_b32 v98, v96, v85, 0xc0c0400
	v_add_nc_u32_e32 v158, 0x6190, v135
	v_or_b32_e32 v99, v83, v157
	v_perm_b32 v157, v160, v159, 0xc0c0703
	s_delay_alu instid0(VALU_DEP_4) | instskip(SKIP_1) | instid1(VALU_DEP_3)
	v_or_b32_e32 v98, v142, v98
	v_perm_b32 v142, v161, v159, 0x7030c0c
	v_or_b32_e32 v157, v86, v157
	v_perm_b32 v86, v162, v161, 0xc0c0703
	s_delay_alu instid0(VALU_DEP_3) | instskip(SKIP_1) | instid1(VALU_DEP_2)
	v_or_b32_e32 v142, v142, v146
	v_perm_b32 v146, v91, v90, 0x6020c0c
	v_dot4_i32_iu8 v98, v142, v98, 0 neg_lo:[1,1,0]
	v_perm_b32 v142, v96, v85, 0xc0c0602
	s_delay_alu instid0(VALU_DEP_1) | instskip(SKIP_2) | instid1(VALU_DEP_2)
	v_or_b32_e32 v142, v146, v142
	v_perm_b32 v146, v152, v143, 0x7030c0c
	v_perm_b32 v143, v144, v152, 0x7030c0c
	v_or_b32_e32 v146, v146, v147
	s_wait_dscnt 0x0
	v_perm_b32 v147, v95, v94, 0x6020c0c
	s_delay_alu instid0(VALU_DEP_3) | instskip(SKIP_3) | instid1(VALU_DEP_1)
	v_or_b32_e32 v152, v143, v86
	v_perm_b32 v86, v163, v164, 0xc0c0703
	v_dot4_i32_iu8 v142, v146, v142, 0 neg_lo:[1,1,0]
	v_perm_b32 v146, v93, v92, 0xc0c0602
	v_or_b32_e32 v146, v147, v146
	v_perm_b32 v147, v154, v153, 0xc0c0703
	s_delay_alu instid0(VALU_DEP_1) | instskip(SKIP_1) | instid1(VALU_DEP_2)
	v_or_b32_e32 v147, v148, v147
	v_perm_b32 v148, v170, v168, 0x7030c0c
	v_dot4_i32_iu8 v142, v147, v146, v142 neg_lo:[1,1,0]
	v_perm_b32 v146, v93, v92, 0xc0c0400
	v_perm_b32 v147, v95, v94, 0x4000c0c
	s_delay_alu instid0(VALU_DEP_1) | instskip(SKIP_1) | instid1(VALU_DEP_1)
	v_or_b32_e32 v146, v147, v146
	v_perm_b32 v147, v166, v164, 0xc0c0703
	v_or_b32_e32 v147, v148, v147
	v_perm_b32 v148, v169, v167, 0x7030c0c
	s_delay_alu instid0(VALU_DEP_2) | instskip(SKIP_2) | instid1(VALU_DEP_1)
	v_dot4_i32_iu8 v98, v147, v146, v98 neg_lo:[1,1,0]
	v_perm_b32 v146, v93, v92, 0xc0c0501
	v_perm_b32 v147, v95, v94, 0x5010c0c
	v_or_b32_e32 v146, v147, v146
	v_perm_b32 v147, v165, v163, 0xc0c0703
	s_delay_alu instid0(VALU_DEP_1) | instskip(SKIP_2) | instid1(VALU_DEP_3)
	v_or_b32_e32 v147, v148, v147
	v_perm_b32 v148, v97, v82, 0x7030c0c
	v_perm_b32 v82, v82, v155, 0x7030c0c
	v_dot4_i32_iu8 v81, v147, v146, v81 neg_lo:[1,1,0]
	v_perm_b32 v146, v93, v92, 0xc0c0703
	v_perm_b32 v147, v95, v94, 0x7030c0c
	;; [unrolled: 1-line block ×3, first 2 shown]
	s_delay_alu instid0(VALU_DEP_2) | instskip(SKIP_2) | instid1(VALU_DEP_2)
	v_or_b32_e32 v146, v147, v146
	v_perm_b32 v147, v145, v87, 0xc0c0703
	v_perm_b32 v87, v87, v153, 0x7030c0c
	v_or_b32_e32 v147, v148, v147
	v_add_nc_u32_e32 v148, 0x2090, v135
	s_delay_alu instid0(VALU_DEP_3) | instskip(SKIP_4) | instid1(VALU_DEP_2)
	v_or_b32_e32 v153, v87, v86
	v_perm_b32 v86, v165, v166, 0xc0c0703
	v_perm_b32 v87, v145, v154, 0x7030c0c
	v_dot4_i32_iu8 v80, v147, v146, v80 neg_lo:[1,1,0]
	v_add_nc_u32_e32 v146, 0x2088, v135
	v_dual_add_nc_u32 v80, v81, v80 :: v_dual_bitop2_b32 v145, v87, v86 bitop3:0x54
	v_pk_mul_f16 v81, v88, v141
	v_add_nc_u32_e32 v87, 0x4108, v135
	s_delay_alu instid0(VALU_DEP_3) | instskip(NEXT) | instid1(VALU_DEP_1)
	v_add3_u32 v80, v98, v142, v80
	v_cvt_f32_i32_e32 v80, v80
	s_delay_alu instid0(VALU_DEP_1)
	v_fma_mix_f32 v98, v81, v80, v81 op_sel:[0,0,1] op_sel_hi:[1,0,1]
	v_add_nc_u32_e32 v80, 0x2080, v135
	ds_load_b32 v142, v138
	ds_load_2addr_b32 v[80:81], v80 offset1:1
	ds_load_2addr_b32 v[146:147], v146 offset1:1
	;; [unrolled: 1-line block ×4, first 2 shown]
	v_add_nc_u32_e32 v138, 4, v138
	s_wait_dscnt 0x3
	v_dot4_i32_iu8 v171, v96, v80, 0 neg_lo:[1,1,0]
	s_wait_dscnt 0x1
	v_perm_b32 v86, v149, v149, 0x7060100
	s_delay_alu instid0(VALU_DEP_2) | instskip(NEXT) | instid1(VALU_DEP_1)
	v_dot4_i32_iu8 v83, v99, v81, v171 neg_lo:[1,1,0]
	v_dot4_i32_iu8 v83, v157, v146, v83 neg_lo:[1,1,0]
	s_delay_alu instid0(VALU_DEP_1) | instskip(NEXT) | instid1(VALU_DEP_1)
	v_dot4_i32_iu8 v83, v152, v147, v83 neg_lo:[1,1,0]
	v_dot4_i32_iu8 v83, v153, v148, v83 neg_lo:[1,1,0]
	s_delay_alu instid0(VALU_DEP_1) | instskip(SKIP_1) | instid1(VALU_DEP_1)
	v_dot4_i32_iu8 v83, v145, v86, v83 neg_lo:[1,1,0]
	v_perm_b32 v86, v167, v168, 0xc0c0703
	v_or_b32_e32 v154, v82, v86
	v_perm_b32 v86, v97, v156, 0x7030c0c
	s_wait_dscnt 0x0
	s_delay_alu instid0(VALU_DEP_2) | instskip(SKIP_1) | instid1(VALU_DEP_1)
	v_dot4_i32_iu8 v82, v154, v150, v83 neg_lo:[1,1,0]
	v_perm_b32 v83, v169, v170, 0xc0c0703
	v_or_b32_e32 v155, v86, v83
	v_pk_mul_f16 v83, v88, v142
	s_delay_alu instid0(VALU_DEP_2) | instskip(NEXT) | instid1(VALU_DEP_1)
	v_dot4_i32_iu8 v82, v155, v151, v82 neg_lo:[1,1,0]
	v_cvt_f32_i32_e32 v82, v82
	s_delay_alu instid0(VALU_DEP_1)
	v_fma_mix_f32 v164, v83, v82, v83 op_sel:[0,0,1] op_sel_hi:[1,0,1]
	v_add_nc_u32_e32 v82, 0x4100, v135
	ds_load_b32 v143, v139
	ds_load_2addr_b32 v[82:83], v82 offset1:1
	ds_load_2addr_b32 v[166:167], v87 offset1:1
	v_add_nc_u32_e32 v87, 0x4110, v135
	v_add_nc_u32_e32 v139, 4, v139
	ds_load_2addr_b32 v[168:169], v87 offset1:1
	v_add_nc_u32_e32 v87, 0x4118, v135
	ds_load_2addr_b32 v[170:171], v87 offset1:1
	s_wait_dscnt 0x3
	v_dot4_i32_iu8 v86, v96, v82, 0 neg_lo:[1,1,0]
	s_delay_alu instid0(VALU_DEP_1) | instskip(SKIP_2) | instid1(VALU_DEP_2)
	v_dot4_i32_iu8 v86, v99, v83, v86 neg_lo:[1,1,0]
	s_wait_dscnt 0x1
	v_perm_b32 v87, v169, v169, 0x7060100
	v_dot4_i32_iu8 v86, v157, v166, v86 neg_lo:[1,1,0]
	s_delay_alu instid0(VALU_DEP_1) | instskip(NEXT) | instid1(VALU_DEP_1)
	v_dot4_i32_iu8 v86, v152, v167, v86 neg_lo:[1,1,0]
	v_dot4_i32_iu8 v86, v153, v168, v86 neg_lo:[1,1,0]
	s_delay_alu instid0(VALU_DEP_1) | instskip(SKIP_2) | instid1(VALU_DEP_2)
	v_dot4_i32_iu8 v86, v145, v87, v86 neg_lo:[1,1,0]
	v_pk_mul_f16 v87, v88, v143
	s_wait_dscnt 0x0
	v_dot4_i32_iu8 v86, v154, v170, v86 neg_lo:[1,1,0]
	s_delay_alu instid0(VALU_DEP_1) | instskip(NEXT) | instid1(VALU_DEP_1)
	v_dot4_i32_iu8 v86, v155, v171, v86 neg_lo:[1,1,0]
	v_cvt_f32_i32_e32 v86, v86
	s_delay_alu instid0(VALU_DEP_1)
	v_fma_mix_f32 v172, v87, v86, v87 op_sel:[0,0,1] op_sel_hi:[1,0,1]
	v_add_nc_u32_e32 v86, 0x6180, v135
	ds_load_b32 v144, v140
	ds_load_2addr_b32 v[86:87], v86 offset1:1
	ds_load_2addr_b32 v[174:175], v158 offset1:1
	v_add_nc_u32_e32 v158, 0x6198, v135
	v_add_nc_u32_e32 v140, 4, v140
	ds_load_2addr_b32 v[176:177], v158 offset1:1
	v_perm_b32 v158, v85, v85, 0x2010003
	s_wait_dscnt 0x3
	v_pk_mul_f16 v88, v88, v144
	s_wait_dscnt 0x2
	v_dot4_i32_iu8 v156, v96, v86, 0 neg_lo:[1,1,0]
	v_add_nc_u32_e32 v96, 0x6188, v135
	v_add_nc_u32_e32 v135, 32, v135
	s_delay_alu instid0(VALU_DEP_3) | instskip(SKIP_3) | instid1(VALU_DEP_1)
	v_dot4_i32_iu8 v99, v99, v87, v156 neg_lo:[1,1,0]
	ds_load_2addr_b32 v[96:97], v96 offset1:1
	s_wait_dscnt 0x0
	v_dot4_i32_iu8 v99, v157, v96, v99 neg_lo:[1,1,0]
	v_dot4_i32_iu8 v99, v152, v97, v99 neg_lo:[1,1,0]
	v_perm_b32 v152, v175, v175, 0x7060100
	s_delay_alu instid0(VALU_DEP_2) | instskip(NEXT) | instid1(VALU_DEP_1)
	v_dot4_i32_iu8 v99, v153, v174, v99 neg_lo:[1,1,0]
	v_dot4_i32_iu8 v99, v145, v152, v99 neg_lo:[1,1,0]
	s_delay_alu instid0(VALU_DEP_1) | instskip(NEXT) | instid1(VALU_DEP_1)
	v_dot4_i32_iu8 v99, v154, v176, v99 neg_lo:[1,1,0]
	v_dot4_i32_iu8 v99, v155, v177, v99 neg_lo:[1,1,0]
	s_delay_alu instid0(VALU_DEP_1) | instskip(NEXT) | instid1(VALU_DEP_1)
	v_cvt_f32_i32_e32 v99, v99
	v_fma_mix_f32 v88, v88, v99, v88 op_sel:[0,0,1] op_sel_hi:[1,0,1]
	v_add_nc_u32_e32 v99, 0x40c, v134
	ds_load_2addr_b32 v[152:153], v99 offset1:1
	v_add_nc_u32_e32 v99, 0x404, v134
	ds_load_2addr_b32 v[154:155], v99 offset1:1
	;; [unrolled: 2-line block ×4, first 2 shown]
	s_wait_dscnt 0x3
	v_dual_lshlrev_b32 v99, 16, v153 :: v_dual_lshlrev_b32 v145, 8, v153
	v_dual_lshlrev_b32 v181, 16, v152 :: v_dual_lshlrev_b32 v182, 8, v152
	s_wait_dscnt 0x2
	v_dual_lshlrev_b32 v159, 16, v154 :: v_dual_lshlrev_b32 v160, 8, v154
	s_delay_alu instid0(VALU_DEP_3) | instskip(SKIP_4) | instid1(VALU_DEP_3)
	v_perm_b32 v99, v145, v99, 0x7030c0c
	v_perm_b32 v145, v153, v153, 0xc0c0003
	;; [unrolled: 1-line block ×3, first 2 shown]
	s_wait_dscnt 0x1
	v_dual_lshlrev_b32 v163, 16, v155 :: v_dual_lshlrev_b32 v161, 16, v156
	v_dual_lshlrev_b32 v162, 8, v156 :: v_dual_bitop2_b32 v145, v99, v145 bitop3:0x54
	v_perm_b32 v99, v160, v159, 0x7030c0c
	v_lshlrev_b32_e32 v165, 8, v155
	v_perm_b32 v159, v90, v90, 0x2010003
	s_delay_alu instid0(VALU_DEP_4)
	v_perm_b32 v90, v162, v161, 0x7030c0c
	v_lshlrev_b32_e32 v173, 16, v157
	v_or_b32_e32 v185, v99, v153
	v_perm_b32 v99, v156, v156, 0xc0c0003
	v_lshlrev_b32_e32 v180, 8, v157
	v_perm_b32 v160, v91, v91, 0x2010003
	v_perm_b32 v91, v165, v163, 0x7030c0c
	v_perm_b32 v161, v92, v92, 0x2010003
	v_or_b32_e32 v90, v90, v99
	v_perm_b32 v99, v155, v155, 0xc0c0003
	v_perm_b32 v92, v157, v157, 0xc0c0003
	s_wait_dscnt 0x0
	v_dual_lshlrev_b32 v183, 16, v179 :: v_dual_lshlrev_b32 v184, 8, v179
	v_perm_b32 v162, v93, v93, 0x2010003
	v_or_b32_e32 v186, v91, v99
	v_perm_b32 v91, v180, v173, 0x7030c0c
	v_perm_b32 v93, v152, v152, 0xc0c0003
	v_dot4_i32_iu8 v85, v145, v158, 0 neg_lo:[1,1,0]
	v_perm_b32 v163, v94, v94, 0x2010003
	v_perm_b32 v152, v146, v146, 0x2010003
	v_or_b32_e32 v92, v91, v92
	v_perm_b32 v91, v182, v181, 0x7030c0c
	v_dot4_i32_iu8 v85, v185, v159, v85 neg_lo:[1,1,0]
	v_perm_b32 v153, v147, v147, 0x2010003
	v_perm_b32 v154, v148, v148, 0x2010003
	;; [unrolled: 1-line block ×3, first 2 shown]
	v_or_b32_e32 v180, v91, v93
	v_perm_b32 v91, v184, v183, 0x7030c0c
	v_perm_b32 v93, v179, v179, 0xc0c0003
	v_dot4_i32_iu8 v85, v90, v160, v85 neg_lo:[1,1,0]
	v_perm_b32 v156, v150, v150, 0x2010003
	v_perm_b32 v157, v151, v151, 0x2010003
	;; [unrolled: 1-line block ×3, first 2 shown]
	v_or_b32_e32 v94, v91, v93
	v_perm_b32 v93, v81, v81, 0x2010003
	v_dot4_i32_iu8 v85, v186, v161, v85 neg_lo:[1,1,0]
	v_pk_mul_f16 v91, v141, v89
	v_perm_b32 v147, v167, v167, 0x2010003
	v_perm_b32 v148, v168, v168, 0x2010003
	v_dot4_i32_iu8 v81, v145, v93, 0 neg_lo:[1,1,0]
	v_dot4_i32_iu8 v85, v92, v162, v85 neg_lo:[1,1,0]
	v_perm_b32 v149, v169, v169, 0x6010007
	v_perm_b32 v150, v170, v170, 0x2010003
	;; [unrolled: 1-line block ×3, first 2 shown]
	v_dot4_i32_iu8 v81, v185, v152, v81 neg_lo:[1,1,0]
	v_dot4_i32_iu8 v85, v180, v163, v85 neg_lo:[1,1,0]
	s_delay_alu instid0(VALU_DEP_2) | instskip(NEXT) | instid1(VALU_DEP_2)
	v_dot4_i32_iu8 v81, v90, v153, v81 neg_lo:[1,1,0]
	v_dot4_i32_iu8 v85, v94, v95, v85 neg_lo:[1,1,0]
	s_delay_alu instid0(VALU_DEP_2) | instskip(NEXT) | instid1(VALU_DEP_2)
	v_dot4_i32_iu8 v81, v186, v154, v81 neg_lo:[1,1,0]
	v_dot4_i32_iu8 v85, v84, v178, v85 neg_lo:[1,1,0]
	s_delay_alu instid0(VALU_DEP_2) | instskip(NEXT) | instid1(VALU_DEP_2)
	v_dot4_i32_iu8 v81, v92, v155, v81 neg_lo:[1,1,0]
	v_cvt_f32_i32_e32 v85, v85
	s_delay_alu instid0(VALU_DEP_2) | instskip(NEXT) | instid1(VALU_DEP_2)
	v_dot4_i32_iu8 v81, v180, v156, v81 neg_lo:[1,1,0]
	v_fma_mix_f32 v99, v91, v85, v91 op_sel:[0,0,1] op_sel_hi:[1,0,1]
	v_pk_mul_f16 v85, v142, v89
	v_perm_b32 v91, v83, v83, 0x2010003
	v_pk_mul_f16 v83, v143, v89
	v_dot4_i32_iu8 v81, v94, v157, v81 neg_lo:[1,1,0]
	v_pk_add_f32 v[60:61], v[60:61], v[98:99]
	v_perm_b32 v98, v175, v175, 0x6010007
	v_perm_b32 v99, v176, v176, 0x2010003
	v_pk_mul_f16 v89, v144, v89
	v_dot4_i32_iu8 v81, v178, v80, v81 neg_lo:[1,1,0]
	s_delay_alu instid0(VALU_DEP_1) | instskip(NEXT) | instid1(VALU_DEP_1)
	v_cvt_f32_i32_e32 v81, v81
	v_fma_mix_f32 v165, v85, v81, v85 op_sel:[0,0,1] op_sel_hi:[1,0,1]
	v_dot4_i32_iu8 v81, v145, v91, 0 neg_lo:[1,1,0]
	s_delay_alu instid0(VALU_DEP_2) | instskip(NEXT) | instid1(VALU_DEP_2)
	v_pk_add_f32 v[68:69], v[68:69], v[164:165]
	v_dot4_i32_iu8 v81, v185, v146, v81 neg_lo:[1,1,0]
	s_delay_alu instid0(VALU_DEP_1) | instskip(NEXT) | instid1(VALU_DEP_1)
	v_dot4_i32_iu8 v81, v90, v147, v81 neg_lo:[1,1,0]
	v_dot4_i32_iu8 v81, v186, v148, v81 neg_lo:[1,1,0]
	s_delay_alu instid0(VALU_DEP_1) | instskip(NEXT) | instid1(VALU_DEP_1)
	v_dot4_i32_iu8 v81, v92, v149, v81 neg_lo:[1,1,0]
	;; [unrolled: 3-line block ×3, first 2 shown]
	v_dot4_i32_iu8 v81, v178, v82, v81 neg_lo:[1,1,0]
	s_delay_alu instid0(VALU_DEP_1) | instskip(NEXT) | instid1(VALU_DEP_1)
	v_cvt_f32_i32_e32 v81, v81
	v_fma_mix_f32 v173, v83, v81, v83 op_sel:[0,0,1] op_sel_hi:[1,0,1]
	v_perm_b32 v81, v87, v87, 0x2010003
	v_perm_b32 v83, v96, v96, 0x2010003
	s_delay_alu instid0(VALU_DEP_3) | instskip(NEXT) | instid1(VALU_DEP_3)
	v_pk_add_f32 v[72:73], v[72:73], v[172:173]
	v_dot4_i32_iu8 v85, v145, v81, 0 neg_lo:[1,1,0]
	v_perm_b32 v145, v177, v177, 0x2010003
	s_delay_alu instid0(VALU_DEP_2) | instskip(SKIP_1) | instid1(VALU_DEP_1)
	v_dot4_i32_iu8 v87, v185, v83, v85 neg_lo:[1,1,0]
	v_perm_b32 v85, v97, v97, 0x2010003
	v_dot4_i32_iu8 v90, v90, v85, v87 neg_lo:[1,1,0]
	v_perm_b32 v87, v174, v174, 0x2010003
	s_delay_alu instid0(VALU_DEP_1) | instskip(NEXT) | instid1(VALU_DEP_1)
	v_dot4_i32_iu8 v90, v186, v87, v90 neg_lo:[1,1,0]
	v_dot4_i32_iu8 v90, v92, v98, v90 neg_lo:[1,1,0]
	s_delay_alu instid0(VALU_DEP_1) | instskip(NEXT) | instid1(VALU_DEP_1)
	v_dot4_i32_iu8 v90, v180, v99, v90 neg_lo:[1,1,0]
	v_dot4_i32_iu8 v90, v94, v145, v90 neg_lo:[1,1,0]
	s_delay_alu instid0(VALU_DEP_1) | instskip(NEXT) | instid1(VALU_DEP_1)
	v_dot4_i32_iu8 v90, v178, v86, v90 neg_lo:[1,1,0]
	v_cvt_f32_i32_e32 v90, v90
	s_delay_alu instid0(VALU_DEP_1) | instskip(SKIP_1) | instid1(VALU_DEP_2)
	v_fma_mix_f32 v89, v89, v90, v89 op_sel:[0,0,1] op_sel_hi:[1,0,1]
	v_add_nc_u32_e32 v90, 0x804, v134
	v_pk_add_f32 v[74:75], v[74:75], v[88:89]
	v_add_nc_u32_e32 v88, 0x80c, v134
	ds_load_2addr_b32 v[96:97], v90 offset1:1
	v_add_nc_u32_e32 v90, 0x814, v134
	ds_load_2addr_b32 v[88:89], v88 offset1:1
	ds_load_2addr_b32 v[164:165], v90 offset1:1
	v_add_nc_u32_e32 v90, 0x800, v134
	ds_load_2addr_b32 v[166:167], v90 offset1:7
	ds_load_2addr_b32 v[168:169], v136 offset0:64 offset1:96
	s_wait_dscnt 0x4
	v_dual_lshlrev_b32 v94, 16, v96 :: v_dual_lshlrev_b32 v170, 8, v96
	v_dual_lshlrev_b32 v173, 16, v97 :: v_dual_lshlrev_b32 v174, 8, v97
	s_wait_dscnt 0x3
	v_dual_lshlrev_b32 v90, 16, v89 :: v_dual_lshlrev_b32 v92, 8, v89
	v_perm_b32 v89, v89, v89, 0xc0c0003
	s_wait_dscnt 0x2
	v_dual_lshlrev_b32 v171, 16, v164 :: v_dual_lshlrev_b32 v172, 8, v164
	v_lshlrev_b32_e32 v175, 16, v165
	v_perm_b32 v90, v92, v90, 0x7030c0c
	v_perm_b32 v92, v170, v94, 0x7030c0c
	;; [unrolled: 1-line block ×4, first 2 shown]
	v_lshlrev_b32_e32 v176, 8, v165
	v_or_b32_e32 v89, v90, v89
	v_perm_b32 v97, v97, v97, 0xc0c0003
	v_or_b32_e32 v92, v92, v94
	v_perm_b32 v94, v172, v171, 0x7030c0c
	v_lshlrev_b32_e32 v177, 16, v88
	v_dot4_i32_iu8 v90, v89, v158, 0 neg_lo:[1,1,0]
	v_lshlrev_b32_e32 v178, 8, v88
	v_perm_b32 v164, v165, v165, 0xc0c0003
	v_or_b32_e32 v94, v94, v96
	v_perm_b32 v96, v174, v173, 0x7030c0c
	v_dot4_i32_iu8 v90, v92, v159, v90 neg_lo:[1,1,0]
	v_perm_b32 v88, v88, v88, 0xc0c0003
	s_wait_dscnt 0x1
	v_dual_lshlrev_b32 v179, 16, v167 :: v_dual_lshlrev_b32 v180, 8, v167
	v_or_b32_e32 v97, v96, v97
	v_dot4_i32_iu8 v90, v94, v160, v90 neg_lo:[1,1,0]
	v_perm_b32 v96, v176, v175, 0x7030c0c
	s_delay_alu instid0(VALU_DEP_2) | instskip(NEXT) | instid1(VALU_DEP_2)
	v_dot4_i32_iu8 v90, v97, v161, v90 neg_lo:[1,1,0]
	v_or_b32_e32 v165, v96, v164
	v_perm_b32 v96, v178, v177, 0x7030c0c
	s_wait_dscnt 0x0
	v_pk_mul_f16 v164, v142, v168
	s_delay_alu instid0(VALU_DEP_3) | instskip(NEXT) | instid1(VALU_DEP_3)
	v_dot4_i32_iu8 v90, v165, v162, v90 neg_lo:[1,1,0]
	v_or_b32_e32 v170, v96, v88
	v_perm_b32 v96, v167, v167, 0xc0c0003
	v_pk_mul_f16 v167, v143, v168
	s_delay_alu instid0(VALU_DEP_3) | instskip(SKIP_1) | instid1(VALU_DEP_1)
	v_dot4_i32_iu8 v88, v170, v163, v90 neg_lo:[1,1,0]
	v_perm_b32 v90, v180, v179, 0x7030c0c
	v_or_b32_e32 v90, v90, v96
	v_pk_mul_f16 v96, v141, v168
	s_delay_alu instid0(VALU_DEP_2) | instskip(NEXT) | instid1(VALU_DEP_1)
	v_dot4_i32_iu8 v88, v90, v95, v88 neg_lo:[1,1,0]
	v_dot4_i32_iu8 v88, v84, v166, v88 neg_lo:[1,1,0]
	s_delay_alu instid0(VALU_DEP_1) | instskip(NEXT) | instid1(VALU_DEP_1)
	v_cvt_f32_i32_e32 v88, v88
	v_fma_mix_f32 v88, v96, v88, v96 op_sel:[0,0,1] op_sel_hi:[1,0,1]
	v_dot4_i32_iu8 v96, v89, v93, 0 neg_lo:[1,1,0]
	s_delay_alu instid0(VALU_DEP_1) | instskip(NEXT) | instid1(VALU_DEP_1)
	v_dot4_i32_iu8 v96, v92, v152, v96 neg_lo:[1,1,0]
	v_dot4_i32_iu8 v96, v94, v153, v96 neg_lo:[1,1,0]
	s_delay_alu instid0(VALU_DEP_1) | instskip(NEXT) | instid1(VALU_DEP_1)
	v_dot4_i32_iu8 v96, v97, v154, v96 neg_lo:[1,1,0]
	;; [unrolled: 3-line block ×4, first 2 shown]
	v_cvt_f32_i32_e32 v96, v96
	s_delay_alu instid0(VALU_DEP_1) | instskip(SKIP_2) | instid1(VALU_DEP_2)
	v_fma_mix_f32 v96, v164, v96, v164 op_sel:[0,0,1] op_sel_hi:[1,0,1]
	v_dot4_i32_iu8 v164, v89, v91, 0 neg_lo:[1,1,0]
	v_dot4_i32_iu8 v89, v89, v81, 0 neg_lo:[1,1,0]
	;; [unrolled: 1-line block ×3, first 2 shown]
	s_delay_alu instid0(VALU_DEP_2) | instskip(NEXT) | instid1(VALU_DEP_2)
	v_dot4_i32_iu8 v89, v92, v83, v89 neg_lo:[1,1,0]
	v_dot4_i32_iu8 v164, v94, v147, v164 neg_lo:[1,1,0]
	s_delay_alu instid0(VALU_DEP_2) | instskip(NEXT) | instid1(VALU_DEP_2)
	v_dot4_i32_iu8 v89, v94, v85, v89 neg_lo:[1,1,0]
	v_dot4_i32_iu8 v164, v97, v148, v164 neg_lo:[1,1,0]
	;; [unrolled: 3-line block ×5, first 2 shown]
	s_delay_alu instid0(VALU_DEP_2) | instskip(SKIP_1) | instid1(VALU_DEP_3)
	v_dot4_i32_iu8 v89, v90, v145, v89 neg_lo:[1,1,0]
	v_pk_mul_f16 v90, v144, v168
	v_dot4_i32_iu8 v164, v166, v82, v164 neg_lo:[1,1,0]
	s_delay_alu instid0(VALU_DEP_3) | instskip(NEXT) | instid1(VALU_DEP_2)
	v_dot4_i32_iu8 v89, v166, v86, v89 neg_lo:[1,1,0]
	v_cvt_f32_i32_e32 v164, v164
	s_delay_alu instid0(VALU_DEP_2) | instskip(NEXT) | instid1(VALU_DEP_2)
	v_cvt_f32_i32_e32 v89, v89
	v_fma_mix_f32 v164, v167, v164, v167 op_sel:[0,0,1] op_sel_hi:[1,0,1]
	s_delay_alu instid0(VALU_DEP_2)
	v_fma_mix_f32 v166, v90, v89, v90 op_sel:[0,0,1] op_sel_hi:[1,0,1]
	v_add_nc_u32_e32 v89, 0xc0c, v134
	ds_load_2addr_b32 v[170:171], v89 offset1:1
	v_add_nc_u32_e32 v89, 0xc04, v134
	ds_load_2addr_b32 v[172:173], v89 offset1:1
	;; [unrolled: 2-line block ×4, first 2 shown]
	s_wait_dscnt 0x3
	v_dual_lshlrev_b32 v89, 16, v171 :: v_dual_lshlrev_b32 v90, 8, v171
	v_dual_lshlrev_b32 v180, 16, v170 :: v_dual_lshlrev_b32 v181, 8, v170
	s_wait_dscnt 0x2
	v_dual_lshlrev_b32 v92, 16, v172 :: v_dual_lshlrev_b32 v94, 8, v172
	s_delay_alu instid0(VALU_DEP_3) | instskip(SKIP_4) | instid1(VALU_DEP_3)
	v_perm_b32 v89, v90, v89, 0x7030c0c
	v_perm_b32 v90, v171, v171, 0xc0c0003
	v_dual_lshlrev_b32 v167, 16, v173 :: v_dual_lshlrev_b32 v168, 8, v173
	s_wait_dscnt 0x1
	v_dual_lshlrev_b32 v97, 16, v174 :: v_dual_lshlrev_b32 v165, 8, v174
	v_dual_lshlrev_b32 v178, 16, v175 :: v_dual_bitop2_b32 v90, v89, v90 bitop3:0x54
	v_perm_b32 v92, v94, v92, 0x7030c0c
	v_perm_b32 v94, v172, v172, 0xc0c0003
	s_wait_dscnt 0x0
	v_dual_lshlrev_b32 v183, 8, v177 :: v_dual_lshlrev_b32 v179, 8, v175
	v_dot4_i32_iu8 v89, v90, v158, 0 neg_lo:[1,1,0]
	s_delay_alu instid0(VALU_DEP_3) | instskip(SKIP_3) | instid1(VALU_DEP_4)
	v_dual_lshlrev_b32 v182, 16, v177 :: v_dual_bitop2_b32 v92, v92, v94 bitop3:0x54
	v_perm_b32 v94, v165, v97, 0x7030c0c
	v_perm_b32 v97, v174, v174, 0xc0c0003
	v_perm_b32 v165, v173, v173, 0xc0c0003
	v_dot4_i32_iu8 v89, v92, v159, v89 neg_lo:[1,1,0]
	s_delay_alu instid0(VALU_DEP_3) | instskip(SKIP_1) | instid1(VALU_DEP_2)
	v_or_b32_e32 v94, v94, v97
	v_perm_b32 v97, v168, v167, 0x7030c0c
	v_dot4_i32_iu8 v89, v94, v160, v89 neg_lo:[1,1,0]
	s_delay_alu instid0(VALU_DEP_2) | instskip(SKIP_2) | instid1(VALU_DEP_3)
	v_or_b32_e32 v167, v97, v165
	v_perm_b32 v97, v179, v178, 0x7030c0c
	v_perm_b32 v165, v175, v175, 0xc0c0003
	v_dot4_i32_iu8 v89, v167, v161, v89 neg_lo:[1,1,0]
	s_delay_alu instid0(VALU_DEP_2) | instskip(SKIP_2) | instid1(VALU_DEP_3)
	v_or_b32_e32 v168, v97, v165
	v_perm_b32 v97, v181, v180, 0x7030c0c
	;; [unrolled: 5-line block ×3, first 2 shown]
	v_perm_b32 v165, v177, v177, 0xc0c0003
	v_dot4_i32_iu8 v89, v170, v163, v89 neg_lo:[1,1,0]
	s_delay_alu instid0(VALU_DEP_2) | instskip(SKIP_1) | instid1(VALU_DEP_2)
	v_or_b32_e32 v171, v97, v165
	v_pk_mul_f16 v97, v141, v169
	v_dot4_i32_iu8 v89, v171, v95, v89 neg_lo:[1,1,0]
	s_delay_alu instid0(VALU_DEP_1) | instskip(NEXT) | instid1(VALU_DEP_1)
	v_dot4_i32_iu8 v89, v84, v176, v89 neg_lo:[1,1,0]
	v_cvt_f32_i32_e32 v89, v89
	s_delay_alu instid0(VALU_DEP_1) | instskip(NEXT) | instid1(VALU_DEP_1)
	v_fma_mix_f32 v89, v97, v89, v97 op_sel:[0,0,1] op_sel_hi:[1,0,1]
	v_pk_add_f32 v[50:51], v[50:51], v[88:89]
	v_dot4_i32_iu8 v88, v90, v93, 0 neg_lo:[1,1,0]
	v_pk_mul_f16 v89, v142, v169
	s_delay_alu instid0(VALU_DEP_2) | instskip(NEXT) | instid1(VALU_DEP_1)
	v_dot4_i32_iu8 v88, v92, v152, v88 neg_lo:[1,1,0]
	v_dot4_i32_iu8 v88, v94, v153, v88 neg_lo:[1,1,0]
	s_delay_alu instid0(VALU_DEP_1) | instskip(NEXT) | instid1(VALU_DEP_1)
	v_dot4_i32_iu8 v88, v167, v154, v88 neg_lo:[1,1,0]
	v_dot4_i32_iu8 v88, v168, v155, v88 neg_lo:[1,1,0]
	s_delay_alu instid0(VALU_DEP_1) | instskip(NEXT) | instid1(VALU_DEP_1)
	v_dot4_i32_iu8 v88, v170, v156, v88 neg_lo:[1,1,0]
	v_dot4_i32_iu8 v88, v171, v157, v88 neg_lo:[1,1,0]
	s_delay_alu instid0(VALU_DEP_1) | instskip(NEXT) | instid1(VALU_DEP_1)
	v_dot4_i32_iu8 v88, v176, v80, v88 neg_lo:[1,1,0]
	v_cvt_f32_i32_e32 v88, v88
	s_delay_alu instid0(VALU_DEP_1) | instskip(SKIP_2) | instid1(VALU_DEP_3)
	v_fma_mix_f32 v97, v89, v88, v89 op_sel:[0,0,1] op_sel_hi:[1,0,1]
	v_dot4_i32_iu8 v88, v90, v91, 0 neg_lo:[1,1,0]
	v_pk_mul_f16 v89, v143, v169
	v_pk_add_f32 v[54:55], v[54:55], v[96:97]
	s_delay_alu instid0(VALU_DEP_3) | instskip(NEXT) | instid1(VALU_DEP_1)
	v_dot4_i32_iu8 v88, v92, v146, v88 neg_lo:[1,1,0]
	v_dot4_i32_iu8 v88, v94, v147, v88 neg_lo:[1,1,0]
	s_delay_alu instid0(VALU_DEP_1) | instskip(NEXT) | instid1(VALU_DEP_1)
	v_dot4_i32_iu8 v88, v167, v148, v88 neg_lo:[1,1,0]
	v_dot4_i32_iu8 v88, v168, v149, v88 neg_lo:[1,1,0]
	s_delay_alu instid0(VALU_DEP_1) | instskip(NEXT) | instid1(VALU_DEP_1)
	;; [unrolled: 3-line block ×3, first 2 shown]
	v_dot4_i32_iu8 v88, v176, v82, v88 neg_lo:[1,1,0]
	v_cvt_f32_i32_e32 v88, v88
	s_delay_alu instid0(VALU_DEP_1) | instskip(SKIP_3) | instid1(VALU_DEP_4)
	v_fma_mix_f32 v165, v89, v88, v89 op_sel:[0,0,1] op_sel_hi:[1,0,1]
	v_dot4_i32_iu8 v88, v90, v81, 0 neg_lo:[1,1,0]
	v_pk_mul_f16 v89, v144, v169
	v_add_nc_u32_e32 v90, 0x1004, v134
	v_pk_add_f32 v[62:63], v[62:63], v[164:165]
	s_delay_alu instid0(VALU_DEP_4)
	v_dot4_i32_iu8 v88, v92, v83, v88 neg_lo:[1,1,0]
	ds_load_2addr_b32 v[96:97], v90 offset1:1
	v_add_nc_u32_e32 v90, 0x1014, v134
	v_dot4_i32_iu8 v88, v94, v85, v88 neg_lo:[1,1,0]
	ds_load_2addr_b32 v[164:165], v90 offset1:1
	v_add_nc_u32_e32 v90, 0x1000, v134
	v_dot4_i32_iu8 v88, v167, v87, v88 neg_lo:[1,1,0]
	s_delay_alu instid0(VALU_DEP_1) | instskip(NEXT) | instid1(VALU_DEP_1)
	v_dot4_i32_iu8 v88, v168, v98, v88 neg_lo:[1,1,0]
	v_dot4_i32_iu8 v88, v170, v99, v88 neg_lo:[1,1,0]
	s_wait_dscnt 0x1
	v_dual_lshlrev_b32 v94, 16, v96 :: v_dual_lshlrev_b32 v170, 8, v96
	v_dual_lshlrev_b32 v173, 16, v97 :: v_dual_lshlrev_b32 v174, 8, v97
	s_delay_alu instid0(VALU_DEP_3)
	v_dot4_i32_iu8 v88, v171, v145, v88 neg_lo:[1,1,0]
	v_perm_b32 v97, v97, v97, 0xc0c0003
	s_wait_dscnt 0x0
	v_dual_lshlrev_b32 v171, 16, v164 :: v_dual_lshlrev_b32 v172, 8, v164
	v_lshlrev_b32_e32 v175, 16, v165
	v_dot4_i32_iu8 v88, v176, v86, v88 neg_lo:[1,1,0]
	s_delay_alu instid0(VALU_DEP_1) | instskip(NEXT) | instid1(VALU_DEP_1)
	v_cvt_f32_i32_e32 v88, v88
	v_fma_mix_f32 v167, v89, v88, v89 op_sel:[0,0,1] op_sel_hi:[1,0,1]
	v_add_nc_u32_e32 v88, 0x100c, v134
	s_delay_alu instid0(VALU_DEP_2)
	v_pk_add_f32 v[64:65], v[64:65], v[166:167]
	ds_load_2addr_b32 v[88:89], v88 offset1:1
	ds_load_2addr_b32 v[166:167], v90 offset1:7
	ds_load_2addr_b32 v[168:169], v136 offset0:128 offset1:160
	s_wait_dscnt 0x2
	v_dual_lshlrev_b32 v176, 8, v165 :: v_dual_lshlrev_b32 v178, 8, v88
	v_dual_lshlrev_b32 v90, 16, v89 :: v_dual_lshlrev_b32 v92, 8, v89
	v_lshlrev_b32_e32 v177, 16, v88
	v_perm_b32 v89, v89, v89, 0xc0c0003
	v_perm_b32 v88, v88, v88, 0xc0c0003
	s_wait_dscnt 0x1
	v_dual_lshlrev_b32 v179, 16, v167 :: v_dual_lshlrev_b32 v180, 8, v167
	v_perm_b32 v90, v92, v90, 0x7030c0c
	v_perm_b32 v92, v170, v94, 0x7030c0c
	;; [unrolled: 1-line block ×5, first 2 shown]
	v_or_b32_e32 v89, v90, v89
	s_delay_alu instid0(VALU_DEP_4) | instskip(SKIP_1) | instid1(VALU_DEP_3)
	v_or_b32_e32 v92, v92, v94
	v_perm_b32 v94, v172, v171, 0x7030c0c
	v_dot4_i32_iu8 v90, v89, v158, 0 neg_lo:[1,1,0]
	s_delay_alu instid0(VALU_DEP_2) | instskip(SKIP_1) | instid1(VALU_DEP_3)
	v_or_b32_e32 v94, v94, v96
	v_perm_b32 v96, v174, v173, 0x7030c0c
	v_dot4_i32_iu8 v90, v92, v159, v90 neg_lo:[1,1,0]
	s_delay_alu instid0(VALU_DEP_2) | instskip(NEXT) | instid1(VALU_DEP_2)
	v_or_b32_e32 v97, v96, v97
	v_dot4_i32_iu8 v90, v94, v160, v90 neg_lo:[1,1,0]
	v_perm_b32 v96, v176, v175, 0x7030c0c
	s_delay_alu instid0(VALU_DEP_2) | instskip(NEXT) | instid1(VALU_DEP_2)
	v_dot4_i32_iu8 v90, v97, v161, v90 neg_lo:[1,1,0]
	v_or_b32_e32 v165, v96, v164
	v_perm_b32 v96, v178, v177, 0x7030c0c
	s_wait_dscnt 0x0
	v_pk_mul_f16 v164, v142, v168
	s_delay_alu instid0(VALU_DEP_3) | instskip(NEXT) | instid1(VALU_DEP_3)
	v_dot4_i32_iu8 v90, v165, v162, v90 neg_lo:[1,1,0]
	v_or_b32_e32 v170, v96, v88
	v_perm_b32 v96, v167, v167, 0xc0c0003
	v_pk_mul_f16 v167, v143, v168
	s_delay_alu instid0(VALU_DEP_3) | instskip(SKIP_1) | instid1(VALU_DEP_1)
	v_dot4_i32_iu8 v88, v170, v163, v90 neg_lo:[1,1,0]
	v_perm_b32 v90, v180, v179, 0x7030c0c
	v_or_b32_e32 v90, v90, v96
	v_pk_mul_f16 v96, v141, v168
	s_delay_alu instid0(VALU_DEP_2) | instskip(NEXT) | instid1(VALU_DEP_1)
	v_dot4_i32_iu8 v88, v90, v95, v88 neg_lo:[1,1,0]
	v_dot4_i32_iu8 v88, v84, v166, v88 neg_lo:[1,1,0]
	s_delay_alu instid0(VALU_DEP_1) | instskip(NEXT) | instid1(VALU_DEP_1)
	v_cvt_f32_i32_e32 v88, v88
	v_fma_mix_f32 v88, v96, v88, v96 op_sel:[0,0,1] op_sel_hi:[1,0,1]
	v_dot4_i32_iu8 v96, v89, v93, 0 neg_lo:[1,1,0]
	s_delay_alu instid0(VALU_DEP_1) | instskip(NEXT) | instid1(VALU_DEP_1)
	v_dot4_i32_iu8 v96, v92, v152, v96 neg_lo:[1,1,0]
	v_dot4_i32_iu8 v96, v94, v153, v96 neg_lo:[1,1,0]
	s_delay_alu instid0(VALU_DEP_1) | instskip(NEXT) | instid1(VALU_DEP_1)
	v_dot4_i32_iu8 v96, v97, v154, v96 neg_lo:[1,1,0]
	;; [unrolled: 3-line block ×4, first 2 shown]
	v_cvt_f32_i32_e32 v96, v96
	s_delay_alu instid0(VALU_DEP_1) | instskip(SKIP_2) | instid1(VALU_DEP_2)
	v_fma_mix_f32 v96, v164, v96, v164 op_sel:[0,0,1] op_sel_hi:[1,0,1]
	v_dot4_i32_iu8 v164, v89, v91, 0 neg_lo:[1,1,0]
	v_dot4_i32_iu8 v89, v89, v81, 0 neg_lo:[1,1,0]
	;; [unrolled: 1-line block ×3, first 2 shown]
	s_delay_alu instid0(VALU_DEP_2) | instskip(NEXT) | instid1(VALU_DEP_2)
	v_dot4_i32_iu8 v89, v92, v83, v89 neg_lo:[1,1,0]
	v_dot4_i32_iu8 v164, v94, v147, v164 neg_lo:[1,1,0]
	s_delay_alu instid0(VALU_DEP_2) | instskip(NEXT) | instid1(VALU_DEP_2)
	v_dot4_i32_iu8 v89, v94, v85, v89 neg_lo:[1,1,0]
	v_dot4_i32_iu8 v164, v97, v148, v164 neg_lo:[1,1,0]
	;; [unrolled: 3-line block ×5, first 2 shown]
	s_delay_alu instid0(VALU_DEP_2) | instskip(SKIP_1) | instid1(VALU_DEP_3)
	v_dot4_i32_iu8 v89, v90, v145, v89 neg_lo:[1,1,0]
	v_pk_mul_f16 v90, v144, v168
	v_dot4_i32_iu8 v164, v166, v82, v164 neg_lo:[1,1,0]
	s_delay_alu instid0(VALU_DEP_3) | instskip(NEXT) | instid1(VALU_DEP_2)
	v_dot4_i32_iu8 v89, v166, v86, v89 neg_lo:[1,1,0]
	v_cvt_f32_i32_e32 v164, v164
	s_delay_alu instid0(VALU_DEP_2) | instskip(NEXT) | instid1(VALU_DEP_2)
	v_cvt_f32_i32_e32 v89, v89
	v_fma_mix_f32 v164, v167, v164, v167 op_sel:[0,0,1] op_sel_hi:[1,0,1]
	s_delay_alu instid0(VALU_DEP_2)
	v_fma_mix_f32 v166, v90, v89, v90 op_sel:[0,0,1] op_sel_hi:[1,0,1]
	v_add_nc_u32_e32 v89, 0x140c, v134
	ds_load_2addr_b32 v[170:171], v89 offset1:1
	v_add_nc_u32_e32 v89, 0x1404, v134
	ds_load_2addr_b32 v[172:173], v89 offset1:1
	;; [unrolled: 2-line block ×4, first 2 shown]
	s_wait_dscnt 0x3
	v_dual_lshlrev_b32 v89, 16, v171 :: v_dual_lshlrev_b32 v90, 8, v171
	v_dual_lshlrev_b32 v180, 16, v170 :: v_dual_lshlrev_b32 v181, 8, v170
	s_wait_dscnt 0x2
	v_dual_lshlrev_b32 v92, 16, v172 :: v_dual_lshlrev_b32 v94, 8, v172
	s_delay_alu instid0(VALU_DEP_3) | instskip(SKIP_4) | instid1(VALU_DEP_3)
	v_perm_b32 v89, v90, v89, 0x7030c0c
	v_perm_b32 v90, v171, v171, 0xc0c0003
	v_dual_lshlrev_b32 v167, 16, v173 :: v_dual_lshlrev_b32 v168, 8, v173
	s_wait_dscnt 0x1
	v_dual_lshlrev_b32 v97, 16, v174 :: v_dual_lshlrev_b32 v165, 8, v174
	v_dual_lshlrev_b32 v178, 16, v175 :: v_dual_bitop2_b32 v90, v89, v90 bitop3:0x54
	v_perm_b32 v92, v94, v92, 0x7030c0c
	v_perm_b32 v94, v172, v172, 0xc0c0003
	s_wait_dscnt 0x0
	v_dual_lshlrev_b32 v183, 8, v177 :: v_dual_lshlrev_b32 v179, 8, v175
	v_dot4_i32_iu8 v89, v90, v158, 0 neg_lo:[1,1,0]
	s_delay_alu instid0(VALU_DEP_3) | instskip(SKIP_3) | instid1(VALU_DEP_4)
	v_dual_lshlrev_b32 v182, 16, v177 :: v_dual_bitop2_b32 v92, v92, v94 bitop3:0x54
	v_perm_b32 v94, v165, v97, 0x7030c0c
	v_perm_b32 v97, v174, v174, 0xc0c0003
	;; [unrolled: 1-line block ×3, first 2 shown]
	v_dot4_i32_iu8 v89, v92, v159, v89 neg_lo:[1,1,0]
	s_delay_alu instid0(VALU_DEP_3) | instskip(SKIP_1) | instid1(VALU_DEP_2)
	v_or_b32_e32 v94, v94, v97
	v_perm_b32 v97, v168, v167, 0x7030c0c
	v_dot4_i32_iu8 v89, v94, v160, v89 neg_lo:[1,1,0]
	s_delay_alu instid0(VALU_DEP_2) | instskip(SKIP_2) | instid1(VALU_DEP_3)
	v_or_b32_e32 v167, v97, v165
	v_perm_b32 v97, v179, v178, 0x7030c0c
	v_perm_b32 v165, v175, v175, 0xc0c0003
	v_dot4_i32_iu8 v89, v167, v161, v89 neg_lo:[1,1,0]
	s_delay_alu instid0(VALU_DEP_2) | instskip(SKIP_2) | instid1(VALU_DEP_3)
	v_or_b32_e32 v168, v97, v165
	v_perm_b32 v97, v181, v180, 0x7030c0c
	;; [unrolled: 5-line block ×3, first 2 shown]
	v_perm_b32 v165, v177, v177, 0xc0c0003
	v_dot4_i32_iu8 v89, v170, v163, v89 neg_lo:[1,1,0]
	s_delay_alu instid0(VALU_DEP_2) | instskip(SKIP_1) | instid1(VALU_DEP_2)
	v_or_b32_e32 v171, v97, v165
	v_pk_mul_f16 v97, v141, v169
	v_dot4_i32_iu8 v89, v171, v95, v89 neg_lo:[1,1,0]
	s_delay_alu instid0(VALU_DEP_1) | instskip(NEXT) | instid1(VALU_DEP_1)
	v_dot4_i32_iu8 v89, v84, v176, v89 neg_lo:[1,1,0]
	v_cvt_f32_i32_e32 v89, v89
	s_delay_alu instid0(VALU_DEP_1) | instskip(NEXT) | instid1(VALU_DEP_1)
	v_fma_mix_f32 v89, v97, v89, v97 op_sel:[0,0,1] op_sel_hi:[1,0,1]
	v_pk_add_f32 v[36:37], v[36:37], v[88:89]
	v_dot4_i32_iu8 v88, v90, v93, 0 neg_lo:[1,1,0]
	v_pk_mul_f16 v89, v142, v169
	s_delay_alu instid0(VALU_DEP_2) | instskip(NEXT) | instid1(VALU_DEP_1)
	v_dot4_i32_iu8 v88, v92, v152, v88 neg_lo:[1,1,0]
	v_dot4_i32_iu8 v88, v94, v153, v88 neg_lo:[1,1,0]
	s_delay_alu instid0(VALU_DEP_1) | instskip(NEXT) | instid1(VALU_DEP_1)
	v_dot4_i32_iu8 v88, v167, v154, v88 neg_lo:[1,1,0]
	v_dot4_i32_iu8 v88, v168, v155, v88 neg_lo:[1,1,0]
	s_delay_alu instid0(VALU_DEP_1) | instskip(NEXT) | instid1(VALU_DEP_1)
	;; [unrolled: 3-line block ×3, first 2 shown]
	v_dot4_i32_iu8 v88, v176, v80, v88 neg_lo:[1,1,0]
	v_cvt_f32_i32_e32 v88, v88
	s_delay_alu instid0(VALU_DEP_1) | instskip(SKIP_2) | instid1(VALU_DEP_3)
	v_fma_mix_f32 v97, v89, v88, v89 op_sel:[0,0,1] op_sel_hi:[1,0,1]
	v_dot4_i32_iu8 v88, v90, v91, 0 neg_lo:[1,1,0]
	v_pk_mul_f16 v89, v143, v169
	v_pk_add_f32 v[44:45], v[44:45], v[96:97]
	s_delay_alu instid0(VALU_DEP_3) | instskip(NEXT) | instid1(VALU_DEP_1)
	v_dot4_i32_iu8 v88, v92, v146, v88 neg_lo:[1,1,0]
	v_dot4_i32_iu8 v88, v94, v147, v88 neg_lo:[1,1,0]
	s_delay_alu instid0(VALU_DEP_1) | instskip(NEXT) | instid1(VALU_DEP_1)
	v_dot4_i32_iu8 v88, v167, v148, v88 neg_lo:[1,1,0]
	v_dot4_i32_iu8 v88, v168, v149, v88 neg_lo:[1,1,0]
	s_delay_alu instid0(VALU_DEP_1) | instskip(NEXT) | instid1(VALU_DEP_1)
	;; [unrolled: 3-line block ×3, first 2 shown]
	v_dot4_i32_iu8 v88, v176, v82, v88 neg_lo:[1,1,0]
	v_cvt_f32_i32_e32 v88, v88
	s_delay_alu instid0(VALU_DEP_1) | instskip(SKIP_2) | instid1(VALU_DEP_3)
	v_fma_mix_f32 v165, v89, v88, v89 op_sel:[0,0,1] op_sel_hi:[1,0,1]
	v_dot4_i32_iu8 v88, v90, v81, 0 neg_lo:[1,1,0]
	v_pk_mul_f16 v89, v144, v169
	v_pk_add_f32 v[46:47], v[46:47], v[164:165]
	s_delay_alu instid0(VALU_DEP_3) | instskip(NEXT) | instid1(VALU_DEP_1)
	v_dot4_i32_iu8 v88, v92, v83, v88 neg_lo:[1,1,0]
	v_dot4_i32_iu8 v88, v94, v85, v88 neg_lo:[1,1,0]
	s_delay_alu instid0(VALU_DEP_1) | instskip(NEXT) | instid1(VALU_DEP_1)
	v_dot4_i32_iu8 v88, v167, v87, v88 neg_lo:[1,1,0]
	v_dot4_i32_iu8 v88, v168, v98, v88 neg_lo:[1,1,0]
	s_delay_alu instid0(VALU_DEP_1) | instskip(NEXT) | instid1(VALU_DEP_1)
	;; [unrolled: 3-line block ×3, first 2 shown]
	v_dot4_i32_iu8 v88, v176, v86, v88 neg_lo:[1,1,0]
	v_cvt_f32_i32_e32 v88, v88
	s_delay_alu instid0(VALU_DEP_1) | instskip(SKIP_1) | instid1(VALU_DEP_2)
	v_fma_mix_f32 v167, v89, v88, v89 op_sel:[0,0,1] op_sel_hi:[1,0,1]
	v_add_nc_u32_e32 v88, 0x180c, v134
	v_pk_add_f32 v[52:53], v[52:53], v[166:167]
	ds_load_2addr_b32 v[96:97], v88 offset1:1
	v_add_nc_u32_e32 v88, 0x1804, v134
	ds_load_2addr_b32 v[164:165], v88 offset1:1
	v_add_nc_u32_e32 v88, 0x1814, v134
	;; [unrolled: 2-line block ×3, first 2 shown]
	ds_load_2addr_b32 v[168:169], v88 offset1:7
	ds_load_2addr_b32 v[88:89], v136 offset0:192 offset1:224
	s_wait_dscnt 0x4
	v_dual_add_nc_u32 v136, 4, v136 :: v_dual_lshlrev_b32 v90, 16, v97
	v_dual_lshlrev_b32 v92, 8, v97 :: v_dual_lshlrev_b32 v177, 16, v96
	v_lshlrev_b32_e32 v178, 8, v96
	s_wait_dscnt 0x3
	v_dual_lshlrev_b32 v94, 16, v164 :: v_dual_lshlrev_b32 v170, 8, v164
	s_delay_alu instid0(VALU_DEP_3) | instskip(SKIP_4) | instid1(VALU_DEP_3)
	v_perm_b32 v90, v92, v90, 0x7030c0c
	v_perm_b32 v92, v97, v97, 0xc0c0003
	v_dual_lshlrev_b32 v173, 16, v165 :: v_dual_lshlrev_b32 v174, 8, v165
	s_wait_dscnt 0x2
	v_dual_lshlrev_b32 v171, 16, v166 :: v_dual_lshlrev_b32 v172, 8, v166
	v_or_b32_e32 v97, v90, v92
	v_perm_b32 v92, v170, v94, 0x7030c0c
	v_perm_b32 v94, v164, v164, 0xc0c0003
	v_dual_lshlrev_b32 v175, 16, v167 :: v_dual_lshlrev_b32 v176, 8, v167
	s_delay_alu instid0(VALU_DEP_4)
	v_dot4_i32_iu8 v90, v97, v158, 0 neg_lo:[1,1,0]
	s_wait_dscnt 0x1
	v_dual_lshlrev_b32 v179, 16, v169 :: v_dual_lshlrev_b32 v180, 8, v169
	v_or_b32_e32 v164, v92, v94
	v_perm_b32 v92, v172, v171, 0x7030c0c
	v_perm_b32 v94, v166, v166, 0xc0c0003
	s_wait_dscnt 0x0
	v_pk_mul_f16 v170, v143, v88
	v_dot4_i32_iu8 v90, v164, v159, v90 neg_lo:[1,1,0]
	s_delay_alu instid0(VALU_DEP_3) | instskip(SKIP_2) | instid1(VALU_DEP_3)
	v_or_b32_e32 v166, v92, v94
	v_perm_b32 v92, v174, v173, 0x7030c0c
	v_perm_b32 v94, v165, v165, 0xc0c0003
	v_dot4_i32_iu8 v90, v166, v160, v90 neg_lo:[1,1,0]
	s_delay_alu instid0(VALU_DEP_2) | instskip(SKIP_2) | instid1(VALU_DEP_3)
	v_or_b32_e32 v165, v92, v94
	v_perm_b32 v92, v176, v175, 0x7030c0c
	v_perm_b32 v94, v167, v167, 0xc0c0003
	v_dot4_i32_iu8 v90, v165, v161, v90 neg_lo:[1,1,0]
	s_delay_alu instid0(VALU_DEP_2) | instskip(SKIP_2) | instid1(VALU_DEP_3)
	v_or_b32_e32 v167, v92, v94
	v_perm_b32 v92, v178, v177, 0x7030c0c
	v_perm_b32 v94, v96, v96, 0xc0c0003
	v_dot4_i32_iu8 v90, v167, v162, v90 neg_lo:[1,1,0]
	s_delay_alu instid0(VALU_DEP_2) | instskip(SKIP_2) | instid1(VALU_DEP_3)
	v_or_b32_e32 v96, v92, v94
	v_perm_b32 v92, v180, v179, 0x7030c0c
	v_perm_b32 v94, v169, v169, 0xc0c0003
	v_dot4_i32_iu8 v90, v96, v163, v90 neg_lo:[1,1,0]
	s_delay_alu instid0(VALU_DEP_2) | instskip(SKIP_1) | instid1(VALU_DEP_2)
	v_or_b32_e32 v169, v92, v94
	v_pk_mul_f16 v92, v141, v88
	v_dot4_i32_iu8 v90, v169, v95, v90 neg_lo:[1,1,0]
	s_delay_alu instid0(VALU_DEP_1) | instskip(NEXT) | instid1(VALU_DEP_1)
	v_dot4_i32_iu8 v90, v84, v168, v90 neg_lo:[1,1,0]
	v_cvt_f32_i32_e32 v90, v90
	s_delay_alu instid0(VALU_DEP_1) | instskip(SKIP_3) | instid1(VALU_DEP_3)
	v_fma_mix_f32 v94, v92, v90, v92 op_sel:[0,0,1] op_sel_hi:[1,0,1]
	v_dot4_i32_iu8 v90, v97, v93, 0 neg_lo:[1,1,0]
	v_pk_mul_f16 v92, v142, v88
	v_pk_mul_f16 v88, v144, v88
	v_dot4_i32_iu8 v90, v164, v152, v90 neg_lo:[1,1,0]
	s_delay_alu instid0(VALU_DEP_1) | instskip(NEXT) | instid1(VALU_DEP_1)
	v_dot4_i32_iu8 v90, v166, v153, v90 neg_lo:[1,1,0]
	v_dot4_i32_iu8 v90, v165, v154, v90 neg_lo:[1,1,0]
	s_delay_alu instid0(VALU_DEP_1) | instskip(NEXT) | instid1(VALU_DEP_1)
	v_dot4_i32_iu8 v90, v167, v155, v90 neg_lo:[1,1,0]
	;; [unrolled: 3-line block ×3, first 2 shown]
	v_dot4_i32_iu8 v90, v168, v80, v90 neg_lo:[1,1,0]
	s_delay_alu instid0(VALU_DEP_1) | instskip(NEXT) | instid1(VALU_DEP_1)
	v_cvt_f32_i32_e32 v90, v90
	v_fma_mix_f32 v92, v92, v90, v92 op_sel:[0,0,1] op_sel_hi:[1,0,1]
	v_dot4_i32_iu8 v90, v97, v91, 0 neg_lo:[1,1,0]
	v_dot4_i32_iu8 v97, v97, v81, 0 neg_lo:[1,1,0]
	s_delay_alu instid0(VALU_DEP_2) | instskip(NEXT) | instid1(VALU_DEP_2)
	v_dot4_i32_iu8 v90, v164, v146, v90 neg_lo:[1,1,0]
	v_dot4_i32_iu8 v97, v164, v83, v97 neg_lo:[1,1,0]
	s_delay_alu instid0(VALU_DEP_2) | instskip(NEXT) | instid1(VALU_DEP_2)
	;; [unrolled: 3-line block ×5, first 2 shown]
	v_dot4_i32_iu8 v90, v96, v150, v90 neg_lo:[1,1,0]
	v_dot4_i32_iu8 v96, v96, v99, v97 neg_lo:[1,1,0]
	s_delay_alu instid0(VALU_DEP_1) | instskip(NEXT) | instid1(VALU_DEP_1)
	v_dot4_i32_iu8 v96, v169, v145, v96 neg_lo:[1,1,0]
	v_dot4_i32_iu8 v96, v168, v86, v96 neg_lo:[1,1,0]
	s_delay_alu instid0(VALU_DEP_1) | instskip(NEXT) | instid1(VALU_DEP_1)
	v_cvt_f32_i32_e32 v96, v96
	v_fma_mix_f32 v88, v88, v96, v88 op_sel:[0,0,1] op_sel_hi:[1,0,1]
	v_add_nc_u32_e32 v96, 0x1c0c, v134
	ds_load_2addr_b32 v[164:165], v96 offset1:1
	v_add_nc_u32_e32 v96, 0x1c04, v134
	ds_load_2addr_b32 v[166:167], v96 offset1:1
	v_add_nc_u32_e32 v96, 0x1c14, v134
	s_wait_dscnt 0x1
	v_dual_lshlrev_b32 v171, 8, v165 :: v_dual_lshlrev_b32 v180, 16, v164
	s_wait_dscnt 0x0
	v_lshlrev_b32_e32 v177, 8, v167
	v_dot4_i32_iu8 v90, v169, v151, v90 neg_lo:[1,1,0]
	v_dual_lshlrev_b32 v172, 16, v166 :: v_dual_lshlrev_b32 v173, 8, v166
	v_perm_b32 v166, v166, v166, 0xc0c0003
	v_lshlrev_b32_e32 v176, 16, v167
	s_delay_alu instid0(VALU_DEP_4)
	v_dot4_i32_iu8 v90, v168, v82, v90 neg_lo:[1,1,0]
	ds_load_2addr_b32 v[168:169], v96 offset1:1
	v_add_nc_u32_e32 v96, 0x1c00, v134
	v_perm_b32 v167, v167, v167, 0xc0c0003
	v_add_nc_u32_e32 v134, 32, v134
	v_cvt_f32_i32_e32 v90, v90
	ds_load_2addr_b32 v[96:97], v96 offset1:7
	v_lshlrev_b32_e32 v181, 8, v164
	v_perm_b32 v164, v164, v164, 0xc0c0003
	v_fma_mix_f32 v90, v170, v90, v170 op_sel:[0,0,1] op_sel_hi:[1,0,1]
	v_lshlrev_b32_e32 v170, 16, v165
	v_perm_b32 v165, v165, v165, 0xc0c0003
	s_delay_alu instid0(VALU_DEP_2) | instskip(NEXT) | instid1(VALU_DEP_1)
	v_perm_b32 v170, v171, v170, 0x7030c0c
	v_or_b32_e32 v165, v170, v165
	v_perm_b32 v170, v173, v172, 0x7030c0c
	s_wait_dscnt 0x1
	v_dual_lshlrev_b32 v174, 16, v168 :: v_dual_lshlrev_b32 v175, 8, v168
	v_perm_b32 v168, v168, v168, 0xc0c0003
	v_dot4_i32_iu8 v158, v165, v158, 0 neg_lo:[1,1,0]
	s_wait_dscnt 0x0
	v_dual_lshlrev_b32 v183, 8, v97 :: v_dual_bitop2_b32 v166, v170, v166 bitop3:0x54
	v_dual_lshlrev_b32 v178, 16, v169 :: v_dual_lshlrev_b32 v179, 8, v169
	v_lshlrev_b32_e32 v182, 16, v97
	v_perm_b32 v97, v97, v97, 0xc0c0003
	s_delay_alu instid0(VALU_DEP_4) | instskip(SKIP_1) | instid1(VALU_DEP_1)
	v_dot4_i32_iu8 v158, v166, v159, v158 neg_lo:[1,1,0]
	v_perm_b32 v159, v175, v174, 0x7030c0c
	v_or_b32_e32 v159, v159, v168
	s_delay_alu instid0(VALU_DEP_1) | instskip(SKIP_1) | instid1(VALU_DEP_1)
	v_dot4_i32_iu8 v158, v159, v160, v158 neg_lo:[1,1,0]
	v_perm_b32 v160, v177, v176, 0x7030c0c
	v_or_b32_e32 v160, v160, v167
	v_perm_b32 v167, v169, v169, 0xc0c0003
	s_delay_alu instid0(VALU_DEP_2) | instskip(SKIP_1) | instid1(VALU_DEP_1)
	v_dot4_i32_iu8 v158, v160, v161, v158 neg_lo:[1,1,0]
	v_perm_b32 v161, v179, v178, 0x7030c0c
	v_or_b32_e32 v161, v161, v167
	s_delay_alu instid0(VALU_DEP_1) | instskip(SKIP_1) | instid1(VALU_DEP_1)
	v_dot4_i32_iu8 v158, v161, v162, v158 neg_lo:[1,1,0]
	v_perm_b32 v162, v181, v180, 0x7030c0c
	v_or_b32_e32 v162, v162, v164
	s_delay_alu instid0(VALU_DEP_1) | instskip(SKIP_1) | instid1(VALU_DEP_1)
	v_dot4_i32_iu8 v158, v162, v163, v158 neg_lo:[1,1,0]
	v_perm_b32 v163, v183, v182, 0x7030c0c
	v_or_b32_e32 v97, v163, v97
	s_delay_alu instid0(VALU_DEP_1) | instskip(NEXT) | instid1(VALU_DEP_1)
	v_dot4_i32_iu8 v95, v97, v95, v158 neg_lo:[1,1,0]
	v_dot4_i32_iu8 v84, v84, v96, v95 neg_lo:[1,1,0]
	v_pk_mul_f16 v95, v141, v89
	s_delay_alu instid0(VALU_DEP_2) | instskip(NEXT) | instid1(VALU_DEP_1)
	v_cvt_f32_i32_e32 v84, v84
	v_fma_mix_f32 v95, v95, v84, v95 op_sel:[0,0,1] op_sel_hi:[1,0,1]
	v_dot4_i32_iu8 v84, v165, v93, 0 neg_lo:[1,1,0]
	s_delay_alu instid0(VALU_DEP_2) | instskip(NEXT) | instid1(VALU_DEP_2)
	v_pk_add_f32 v[28:29], v[28:29], v[94:95]
	v_dot4_i32_iu8 v84, v166, v152, v84 neg_lo:[1,1,0]
	s_delay_alu instid0(VALU_DEP_1) | instskip(NEXT) | instid1(VALU_DEP_1)
	v_dot4_i32_iu8 v84, v159, v153, v84 neg_lo:[1,1,0]
	v_dot4_i32_iu8 v84, v160, v154, v84 neg_lo:[1,1,0]
	s_delay_alu instid0(VALU_DEP_1) | instskip(NEXT) | instid1(VALU_DEP_1)
	v_dot4_i32_iu8 v84, v161, v155, v84 neg_lo:[1,1,0]
	v_dot4_i32_iu8 v84, v162, v156, v84 neg_lo:[1,1,0]
	s_delay_alu instid0(VALU_DEP_1) | instskip(NEXT) | instid1(VALU_DEP_1)
	v_dot4_i32_iu8 v84, v97, v157, v84 neg_lo:[1,1,0]
	v_dot4_i32_iu8 v80, v96, v80, v84 neg_lo:[1,1,0]
	v_pk_mul_f16 v84, v142, v89
	s_delay_alu instid0(VALU_DEP_2) | instskip(NEXT) | instid1(VALU_DEP_1)
	v_cvt_f32_i32_e32 v80, v80
	v_fma_mix_f32 v93, v84, v80, v84 op_sel:[0,0,1] op_sel_hi:[1,0,1]
	v_dot4_i32_iu8 v80, v165, v91, 0 neg_lo:[1,1,0]
	s_delay_alu instid0(VALU_DEP_2) | instskip(NEXT) | instid1(VALU_DEP_2)
	v_pk_add_f32 v[30:31], v[30:31], v[92:93]
	v_dot4_i32_iu8 v80, v166, v146, v80 neg_lo:[1,1,0]
	s_delay_alu instid0(VALU_DEP_1) | instskip(NEXT) | instid1(VALU_DEP_1)
	v_dot4_i32_iu8 v80, v159, v147, v80 neg_lo:[1,1,0]
	v_dot4_i32_iu8 v80, v160, v148, v80 neg_lo:[1,1,0]
	s_delay_alu instid0(VALU_DEP_1) | instskip(NEXT) | instid1(VALU_DEP_1)
	v_dot4_i32_iu8 v80, v161, v149, v80 neg_lo:[1,1,0]
	;; [unrolled: 3-line block ×3, first 2 shown]
	v_dot4_i32_iu8 v80, v96, v82, v80 neg_lo:[1,1,0]
	v_pk_mul_f16 v82, v143, v89
	s_delay_alu instid0(VALU_DEP_2) | instskip(NEXT) | instid1(VALU_DEP_1)
	v_cvt_f32_i32_e32 v80, v80
	v_fma_mix_f32 v91, v82, v80, v82 op_sel:[0,0,1] op_sel_hi:[1,0,1]
	v_dot4_i32_iu8 v80, v165, v81, 0 neg_lo:[1,1,0]
	v_pk_mul_f16 v81, v144, v89
	s_delay_alu instid0(VALU_DEP_3) | instskip(NEXT) | instid1(VALU_DEP_3)
	v_pk_add_f32 v[34:35], v[34:35], v[90:91]
	v_dot4_i32_iu8 v80, v166, v83, v80 neg_lo:[1,1,0]
	s_delay_alu instid0(VALU_DEP_1) | instskip(NEXT) | instid1(VALU_DEP_1)
	v_dot4_i32_iu8 v80, v159, v85, v80 neg_lo:[1,1,0]
	v_dot4_i32_iu8 v80, v160, v87, v80 neg_lo:[1,1,0]
	s_delay_alu instid0(VALU_DEP_1) | instskip(NEXT) | instid1(VALU_DEP_1)
	v_dot4_i32_iu8 v80, v161, v98, v80 neg_lo:[1,1,0]
	;; [unrolled: 3-line block ×3, first 2 shown]
	v_dot4_i32_iu8 v80, v96, v86, v80 neg_lo:[1,1,0]
	s_delay_alu instid0(VALU_DEP_1) | instskip(NEXT) | instid1(VALU_DEP_1)
	v_cvt_f32_i32_e32 v80, v80
	v_fma_mix_f32 v89, v81, v80, v81 op_sel:[0,0,1] op_sel_hi:[1,0,1]
	s_delay_alu instid0(VALU_DEP_1)
	v_pk_add_f32 v[42:43], v[42:43], v[88:89]
	s_cbranch_scc1 .LBB143_8
; %bb.9:                                ;   in Loop: Header=BB143_6 Depth=1
	s_and_b32 s12, s15, -4
	s_delay_alu instid0(SALU_CYCLE_1)
	s_cmp_eq_u32 s12, 4
	s_barrier_signal -1
	s_barrier_wait -1
	s_cbranch_scc1 .LBB143_5
; %bb.10:                               ;   in Loop: Header=BB143_6 Depth=1
	v_dual_add_nc_u32 v80, s10, v107 :: v_dual_add_nc_u32 v96, 4, v133
	v_dual_mov_b32 v98, v132 :: v_dual_mov_b32 v99, v128
	v_dual_mov_b32 v133, v127 :: v_dual_mov_b32 v134, v126
	s_delay_alu instid0(VALU_DEP_3) | instskip(SKIP_3) | instid1(VALU_DEP_4)
	v_dual_add_nc_u32 v86, v80, v101 :: v_dual_add_nc_u32 v81, v80, v106
	v_dual_add_nc_u32 v82, v80, v79 :: v_dual_add_nc_u32 v84, v80, v100
	;; [unrolled: 1-line block ×4, first 2 shown]
	v_mad_nc_i64_i32 v[80:81], v81, 36, v[20:21]
	s_delay_alu instid0(VALU_DEP_4)
	v_mad_nc_i64_i32 v[82:83], v82, 36, v[20:21]
	v_mad_nc_i64_i32 v[84:85], v84, 36, v[20:21]
	;; [unrolled: 1-line block ×7, first 2 shown]
	v_mad_nc_u64_u32 v[96:97], v96, 36, s[2:3]
	s_clause 0x8
	global_load_b32 v136, v[80:81], off offset:4
	global_load_b32 v137, v[82:83], off offset:4
	;; [unrolled: 1-line block ×8, first 2 shown]
	global_load_b32 v144, v[96:97], off
	s_wait_xcnt 0x0
	v_dual_mov_b32 v96, v131 :: v_dual_mov_b32 v97, v124
	v_mov_b32_e32 v135, v125
	s_mov_b32 s12, 12
	s_wait_loadcnt 0x8
	ds_store_b32 v122, v136
	s_wait_loadcnt 0x7
	ds_store_b32 v123, v137
	;; [unrolled: 2-line block ×9, first 2 shown]
	s_wait_dscnt 0x0
	s_barrier_signal -1
	s_barrier_wait -1
.LBB143_11:                             ;   Parent Loop BB143_6 Depth=1
                                        ; =>  This Inner Loop Header: Depth=2
	ds_load_2addr_b32 v[84:85], v97 offset0:3 offset1:4
	ds_load_2addr_b32 v[86:87], v97 offset0:1 offset1:2
	;; [unrolled: 1-line block ×3, first 2 shown]
	ds_load_2addr_b32 v[138:139], v97 offset1:7
	ds_load_2addr_b32 v[88:89], v96 offset1:32
	ds_load_b32 v91, v99
	ds_load_2addr_b32 v[80:81], v98 offset1:1
	ds_load_2addr_b32 v[140:141], v98 offset0:2 offset1:3
	ds_load_2addr_b32 v[142:143], v98 offset0:4 offset1:5
	;; [unrolled: 1-line block ×3, first 2 shown]
	v_add_nc_u32_e32 v162, 0x2098, v98
	s_add_co_i32 s12, s12, 4
	v_add_nc_u32_e32 v99, 4, v99
	s_cmp_lt_u32 s12, 28
	s_wait_dscnt 0x8
	v_dual_lshlrev_b32 v155, 16, v85 :: v_dual_lshlrev_b32 v156, 24, v86
	s_wait_dscnt 0x7
	v_perm_b32 v93, v94, v86, 0x7030c0c
	v_dual_lshlrev_b32 v157, 16, v86 :: v_dual_lshlrev_b32 v160, 16, v87
	s_wait_dscnt 0x3
	v_perm_b32 v82, v138, v81, 0xc0c0703
	s_wait_dscnt 0x2
	v_perm_b32 v83, v141, v140, 0x7030c0c
	v_dual_lshlrev_b32 v169, 24, v139 :: v_dual_lshlrev_b32 v158, 24, v94
	v_lshlrev_b32_e32 v159, 16, v94
	v_perm_b32 v146, v80, v155, 0xc0c0503
	s_delay_alu instid0(VALU_DEP_4) | instskip(SKIP_3) | instid1(VALU_DEP_3)
	v_or_b32_e32 v82, v83, v82
	v_perm_b32 v83, v80, v85, 0xc0c0703
	v_dual_lshlrev_b32 v149, 8, v139 :: v_dual_lshlrev_b32 v154, 24, v85
	v_dual_lshlrev_b32 v90, 8, v85 :: v_dual_lshlrev_b32 v92, 8, v86
	v_or_b32_e32 v83, v93, v83
	v_perm_b32 v93, v141, v140, 0x5010c0c
	s_delay_alu instid0(VALU_DEP_4) | instskip(SKIP_1) | instid1(VALU_DEP_4)
	v_perm_b32 v150, v80, v154, 0xc0c0403
	v_dual_lshlrev_b32 v136, 8, v94 :: v_dual_lshlrev_b32 v137, 8, v87
	v_dot4_i32_iu8 v82, v83, v82, 0 neg_lo:[1,1,0]
	v_perm_b32 v83, v138, v81, 0xc0c0501
	v_perm_b32 v151, v80, v90, 0xc0c0603
	v_dual_lshlrev_b32 v147, 8, v95 :: v_dual_lshlrev_b32 v148, 8, v84
	v_dual_lshlrev_b32 v161, 24, v87 :: v_dual_lshlrev_b32 v166, 16, v84
	s_delay_alu instid0(VALU_DEP_4) | instskip(SKIP_1) | instid1(VALU_DEP_4)
	v_or_b32_e32 v83, v93, v83
	v_perm_b32 v93, v159, v157, 0x7030c0c
	v_perm_b32 v152, v149, v148, 0x7030c0c
	v_dual_lshlrev_b32 v164, 16, v95 :: v_dual_lshlrev_b32 v165, 24, v95
	v_dual_lshlrev_b32 v167, 24, v84 :: v_dual_lshlrev_b32 v168, 16, v139
	s_delay_alu instid0(VALU_DEP_4)
	v_or_b32_e32 v93, v93, v146
	v_perm_b32 v146, v141, v140, 0x4000c0c
	v_perm_b32 v154, v155, v154, 0xc0c0703
	;; [unrolled: 1-line block ×4, first 2 shown]
	v_dot4_i32_iu8 v83, v93, v83, 0 neg_lo:[1,1,0]
	v_perm_b32 v93, v138, v81, 0xc0c0400
	v_perm_b32 v94, v94, v136, 0x7030c0c
	v_or_b32_e32 v90, v85, v154
	v_perm_b32 v154, v157, v156, 0xc0c0703
	v_add_nc_u32_e32 v155, 0x6190, v98
	v_or_b32_e32 v93, v146, v93
	v_perm_b32 v146, v158, v156, 0x7030c0c
	s_delay_alu instid0(VALU_DEP_1) | instskip(SKIP_1) | instid1(VALU_DEP_2)
	v_or_b32_e32 v146, v146, v150
	v_perm_b32 v150, v141, v140, 0x6020c0c
	v_dot4_i32_iu8 v93, v146, v93, 0 neg_lo:[1,1,0]
	v_perm_b32 v146, v138, v81, 0xc0c0602
	s_delay_alu instid0(VALU_DEP_1) | instskip(SKIP_3) | instid1(VALU_DEP_3)
	v_or_b32_e32 v146, v150, v146
	v_perm_b32 v150, v136, v92, 0x7030c0c
	v_or_b32_e32 v92, v86, v154
	v_perm_b32 v86, v159, v158, 0xc0c0703
	v_or_b32_e32 v150, v150, v151
	s_wait_dscnt 0x0
	v_perm_b32 v151, v145, v144, 0x6020c0c
	s_delay_alu instid0(VALU_DEP_3) | instskip(SKIP_3) | instid1(VALU_DEP_1)
	v_or_b32_e32 v94, v94, v86
	v_perm_b32 v86, v160, v161, 0xc0c0703
	v_dot4_i32_iu8 v146, v150, v146, 0 neg_lo:[1,1,0]
	v_perm_b32 v150, v143, v142, 0xc0c0602
	v_or_b32_e32 v150, v151, v150
	v_perm_b32 v151, v147, v137, 0xc0c0703
	s_delay_alu instid0(VALU_DEP_1) | instskip(SKIP_1) | instid1(VALU_DEP_2)
	v_or_b32_e32 v151, v152, v151
	v_perm_b32 v152, v169, v167, 0x7030c0c
	v_dot4_i32_iu8 v146, v151, v150, v146 neg_lo:[1,1,0]
	v_perm_b32 v150, v143, v142, 0xc0c0400
	v_perm_b32 v151, v145, v144, 0x4000c0c
	s_delay_alu instid0(VALU_DEP_1) | instskip(SKIP_1) | instid1(VALU_DEP_1)
	v_or_b32_e32 v150, v151, v150
	v_perm_b32 v151, v165, v161, 0xc0c0703
	v_or_b32_e32 v151, v152, v151
	v_perm_b32 v152, v168, v166, 0x7030c0c
	s_delay_alu instid0(VALU_DEP_2) | instskip(SKIP_2) | instid1(VALU_DEP_1)
	v_dot4_i32_iu8 v93, v151, v150, v93 neg_lo:[1,1,0]
	v_perm_b32 v150, v143, v142, 0xc0c0501
	v_perm_b32 v151, v145, v144, 0x5010c0c
	v_or_b32_e32 v150, v151, v150
	v_perm_b32 v151, v164, v160, 0xc0c0703
	s_delay_alu instid0(VALU_DEP_1) | instskip(SKIP_2) | instid1(VALU_DEP_3)
	v_or_b32_e32 v151, v152, v151
	v_perm_b32 v152, v139, v84, 0x7030c0c
	v_perm_b32 v84, v84, v148, 0x7030c0c
	v_dot4_i32_iu8 v83, v151, v150, v83 neg_lo:[1,1,0]
	v_perm_b32 v150, v143, v142, 0xc0c0703
	v_perm_b32 v151, v145, v144, 0x7030c0c
	s_delay_alu instid0(VALU_DEP_1) | instskip(SKIP_2) | instid1(VALU_DEP_2)
	v_or_b32_e32 v150, v151, v150
	v_perm_b32 v151, v95, v87, 0xc0c0703
	v_perm_b32 v87, v87, v137, 0x7030c0c
	v_or_b32_e32 v151, v152, v151
	v_add_nc_u32_e32 v152, 0x2090, v98
	s_delay_alu instid0(VALU_DEP_3) | instskip(SKIP_4) | instid1(VALU_DEP_3)
	v_or_b32_e32 v154, v87, v86
	v_perm_b32 v86, v164, v165, 0xc0c0703
	v_perm_b32 v87, v95, v147, 0x7030c0c
	v_dot4_i32_iu8 v82, v151, v150, v82 neg_lo:[1,1,0]
	v_add_nc_u32_e32 v150, 0x2088, v98
	v_or_b32_e32 v95, v87, v86
	s_delay_alu instid0(VALU_DEP_3) | instskip(SKIP_2) | instid1(VALU_DEP_3)
	v_add_nc_u32_e32 v82, v83, v82
	v_pk_mul_f16 v83, v88, v91
	v_add_nc_u32_e32 v87, 0x4108, v98
	v_add3_u32 v82, v93, v146, v82
	s_delay_alu instid0(VALU_DEP_1) | instskip(NEXT) | instid1(VALU_DEP_1)
	v_cvt_f32_i32_e32 v82, v82
	v_fma_mix_f32 v146, v83, v82, v83 op_sel:[0,0,1] op_sel_hi:[1,0,1]
	v_add_nc_u32_e32 v82, 0x2080, v98
	ds_load_b32 v93, v133
	ds_load_2addr_b32 v[82:83], v82 offset1:1
	ds_load_2addr_b32 v[150:151], v150 offset1:1
	;; [unrolled: 1-line block ×4, first 2 shown]
	v_add_nc_u32_e32 v133, 4, v133
	s_wait_dscnt 0x3
	v_dot4_i32_iu8 v170, v138, v82, 0 neg_lo:[1,1,0]
	s_wait_dscnt 0x1
	v_perm_b32 v86, v153, v153, 0x7060100
	s_delay_alu instid0(VALU_DEP_2) | instskip(NEXT) | instid1(VALU_DEP_1)
	v_dot4_i32_iu8 v85, v90, v83, v170 neg_lo:[1,1,0]
	v_dot4_i32_iu8 v85, v92, v150, v85 neg_lo:[1,1,0]
	s_delay_alu instid0(VALU_DEP_1) | instskip(NEXT) | instid1(VALU_DEP_1)
	v_dot4_i32_iu8 v85, v94, v151, v85 neg_lo:[1,1,0]
	v_dot4_i32_iu8 v85, v154, v152, v85 neg_lo:[1,1,0]
	s_delay_alu instid0(VALU_DEP_1) | instskip(SKIP_1) | instid1(VALU_DEP_1)
	v_dot4_i32_iu8 v85, v95, v86, v85 neg_lo:[1,1,0]
	v_perm_b32 v86, v166, v167, 0xc0c0703
	v_or_b32_e32 v147, v84, v86
	v_perm_b32 v86, v139, v149, 0x7030c0c
	s_wait_dscnt 0x0
	s_delay_alu instid0(VALU_DEP_2) | instskip(SKIP_1) | instid1(VALU_DEP_1)
	v_dot4_i32_iu8 v84, v147, v162, v85 neg_lo:[1,1,0]
	v_perm_b32 v85, v168, v169, 0xc0c0703
	v_or_b32_e32 v148, v86, v85
	v_pk_mul_f16 v85, v88, v93
	s_delay_alu instid0(VALU_DEP_2) | instskip(NEXT) | instid1(VALU_DEP_1)
	v_dot4_i32_iu8 v84, v148, v163, v84 neg_lo:[1,1,0]
	v_cvt_f32_i32_e32 v84, v84
	s_delay_alu instid0(VALU_DEP_1)
	v_fma_mix_f32 v164, v85, v84, v85 op_sel:[0,0,1] op_sel_hi:[1,0,1]
	v_add_nc_u32_e32 v84, 0x4100, v98
	ds_load_b32 v136, v134
	ds_load_2addr_b32 v[84:85], v84 offset1:1
	ds_load_2addr_b32 v[166:167], v87 offset1:1
	v_add_nc_u32_e32 v87, 0x4110, v98
	v_add_nc_u32_e32 v134, 4, v134
	ds_load_2addr_b32 v[168:169], v87 offset1:1
	v_add_nc_u32_e32 v87, 0x4118, v98
	ds_load_2addr_b32 v[170:171], v87 offset1:1
	s_wait_dscnt 0x3
	v_dot4_i32_iu8 v86, v138, v84, 0 neg_lo:[1,1,0]
	s_delay_alu instid0(VALU_DEP_1) | instskip(SKIP_2) | instid1(VALU_DEP_2)
	v_dot4_i32_iu8 v86, v90, v85, v86 neg_lo:[1,1,0]
	s_wait_dscnt 0x1
	v_perm_b32 v87, v169, v169, 0x7060100
	v_dot4_i32_iu8 v86, v92, v166, v86 neg_lo:[1,1,0]
	s_delay_alu instid0(VALU_DEP_1) | instskip(NEXT) | instid1(VALU_DEP_1)
	v_dot4_i32_iu8 v86, v94, v167, v86 neg_lo:[1,1,0]
	v_dot4_i32_iu8 v86, v154, v168, v86 neg_lo:[1,1,0]
	s_delay_alu instid0(VALU_DEP_1) | instskip(SKIP_2) | instid1(VALU_DEP_2)
	v_dot4_i32_iu8 v86, v95, v87, v86 neg_lo:[1,1,0]
	v_pk_mul_f16 v87, v88, v136
	s_wait_dscnt 0x0
	v_dot4_i32_iu8 v86, v147, v170, v86 neg_lo:[1,1,0]
	s_delay_alu instid0(VALU_DEP_1) | instskip(NEXT) | instid1(VALU_DEP_1)
	v_dot4_i32_iu8 v86, v148, v171, v86 neg_lo:[1,1,0]
	v_cvt_f32_i32_e32 v86, v86
	s_delay_alu instid0(VALU_DEP_1)
	v_fma_mix_f32 v172, v87, v86, v87 op_sel:[0,0,1] op_sel_hi:[1,0,1]
	v_add_nc_u32_e32 v86, 0x6180, v98
	ds_load_b32 v137, v135
	ds_load_2addr_b32 v[86:87], v86 offset1:1
	ds_load_2addr_b32 v[174:175], v155 offset1:1
	v_add_nc_u32_e32 v155, 0x6198, v98
	v_add_nc_u32_e32 v135, 4, v135
	ds_load_2addr_b32 v[176:177], v155 offset1:1
	v_perm_b32 v155, v140, v140, 0x2010003
	s_wait_dscnt 0x3
	v_pk_mul_f16 v88, v88, v137
	s_wait_dscnt 0x2
	v_dot4_i32_iu8 v149, v138, v86, 0 neg_lo:[1,1,0]
	v_add_nc_u32_e32 v138, 0x6188, v98
	v_add_nc_u32_e32 v98, 32, v98
	s_delay_alu instid0(VALU_DEP_3) | instskip(SKIP_4) | instid1(VALU_DEP_2)
	v_dot4_i32_iu8 v90, v90, v87, v149 neg_lo:[1,1,0]
	ds_load_2addr_b32 v[138:139], v138 offset1:1
	s_wait_dscnt 0x0
	v_dot4_i32_iu8 v90, v92, v138, v90 neg_lo:[1,1,0]
	v_perm_b32 v92, v175, v175, 0x7060100
	v_dot4_i32_iu8 v90, v94, v139, v90 neg_lo:[1,1,0]
	s_delay_alu instid0(VALU_DEP_1) | instskip(NEXT) | instid1(VALU_DEP_1)
	v_dot4_i32_iu8 v90, v154, v174, v90 neg_lo:[1,1,0]
	v_dot4_i32_iu8 v90, v95, v92, v90 neg_lo:[1,1,0]
	s_delay_alu instid0(VALU_DEP_1) | instskip(NEXT) | instid1(VALU_DEP_1)
	v_dot4_i32_iu8 v90, v147, v176, v90 neg_lo:[1,1,0]
	v_dot4_i32_iu8 v90, v148, v177, v90 neg_lo:[1,1,0]
	s_delay_alu instid0(VALU_DEP_1) | instskip(NEXT) | instid1(VALU_DEP_1)
	v_cvt_f32_i32_e32 v90, v90
	v_fma_mix_f32 v88, v88, v90, v88 op_sel:[0,0,1] op_sel_hi:[1,0,1]
	v_add_nc_u32_e32 v90, 0x40c, v97
	ds_load_2addr_b32 v[94:95], v90 offset1:1
	v_add_nc_u32_e32 v90, 0x404, v97
	ds_load_2addr_b32 v[148:149], v90 offset1:1
	;; [unrolled: 2-line block ×4, first 2 shown]
	s_wait_dscnt 0x3
	v_dual_lshlrev_b32 v90, 16, v95 :: v_dual_lshlrev_b32 v92, 8, v95
	v_dual_lshlrev_b32 v180, 16, v94 :: v_dual_lshlrev_b32 v181, 8, v94
	v_perm_b32 v94, v94, v94, 0xc0c0003
	s_wait_dscnt 0x2
	v_dual_lshlrev_b32 v147, 16, v148 :: v_dual_lshlrev_b32 v154, 8, v148
	v_perm_b32 v90, v92, v90, 0x7030c0c
	v_perm_b32 v92, v95, v95, 0xc0c0003
	;; [unrolled: 1-line block ×3, first 2 shown]
	s_wait_dscnt 0x1
	v_dual_lshlrev_b32 v160, 16, v149 :: v_dual_lshlrev_b32 v156, 16, v158
	s_delay_alu instid0(VALU_DEP_3) | instskip(SKIP_3) | instid1(VALU_DEP_4)
	v_dual_lshlrev_b32 v157, 8, v158 :: v_dual_bitop2_b32 v90, v90, v92 bitop3:0x54
	v_perm_b32 v92, v154, v147, 0x7030c0c
	v_perm_b32 v147, v148, v148, 0xc0c0003
	v_lshlrev_b32_e32 v161, 8, v149
	v_perm_b32 v140, v157, v156, 0x7030c0c
	v_dot4_i32_iu8 v81, v90, v95, 0 neg_lo:[1,1,0]
	v_lshlrev_b32_e32 v165, 16, v159
	v_or_b32_e32 v92, v92, v147
	v_perm_b32 v147, v158, v158, 0xc0c0003
	v_lshlrev_b32_e32 v173, 8, v159
	v_perm_b32 v156, v141, v141, 0x2010003
	v_perm_b32 v141, v161, v160, 0x7030c0c
	v_dot4_i32_iu8 v81, v92, v155, v81 neg_lo:[1,1,0]
	v_or_b32_e32 v140, v140, v147
	v_perm_b32 v147, v149, v149, 0xc0c0003
	v_perm_b32 v157, v142, v142, 0x2010003
	;; [unrolled: 1-line block ×3, first 2 shown]
	s_wait_dscnt 0x0
	v_lshlrev_b32_e32 v182, 16, v179
	v_dot4_i32_iu8 v81, v140, v156, v81 neg_lo:[1,1,0]
	v_or_b32_e32 v161, v141, v147
	v_perm_b32 v141, v173, v165, 0x7030c0c
	v_lshlrev_b32_e32 v183, 8, v179
	v_perm_b32 v158, v143, v143, 0x2010003
	v_perm_b32 v159, v144, v144, 0x2010003
	v_dot4_i32_iu8 v81, v161, v157, v81 neg_lo:[1,1,0]
	v_or_b32_e32 v184, v141, v142
	v_perm_b32 v141, v181, v180, 0x7030c0c
	v_perm_b32 v142, v179, v179, 0xc0c0003
	;; [unrolled: 1-line block ×4, first 2 shown]
	v_dot4_i32_iu8 v81, v184, v158, v81 neg_lo:[1,1,0]
	v_or_b32_e32 v94, v141, v94
	v_perm_b32 v141, v183, v182, 0x7030c0c
	v_perm_b32 v149, v150, v150, 0x2010003
	;; [unrolled: 1-line block ×4, first 2 shown]
	v_dot4_i32_iu8 v81, v94, v159, v81 neg_lo:[1,1,0]
	v_or_b32_e32 v179, v141, v142
	v_pk_mul_f16 v141, v91, v89
	v_perm_b32 v152, v153, v153, 0x6010007
	v_perm_b32 v153, v162, v162, 0x2010003
	;; [unrolled: 1-line block ×3, first 2 shown]
	v_dot4_i32_iu8 v81, v179, v160, v81 neg_lo:[1,1,0]
	v_pk_mul_f16 v83, v93, v89
	v_perm_b32 v142, v166, v166, 0x2010003
	v_perm_b32 v143, v167, v167, 0x2010003
	;; [unrolled: 1-line block ×3, first 2 shown]
	v_dot4_i32_iu8 v81, v80, v178, v81 neg_lo:[1,1,0]
	v_perm_b32 v145, v169, v169, 0x6010007
	s_delay_alu instid0(VALU_DEP_2) | instskip(NEXT) | instid1(VALU_DEP_1)
	v_cvt_f32_i32_e32 v81, v81
	v_fma_mix_f32 v147, v141, v81, v141 op_sel:[0,0,1] op_sel_hi:[1,0,1]
	v_dot4_i32_iu8 v81, v90, v148, 0 neg_lo:[1,1,0]
	v_perm_b32 v141, v85, v85, 0x2010003
	s_delay_alu instid0(VALU_DEP_3) | instskip(NEXT) | instid1(VALU_DEP_3)
	v_pk_add_f32 v[60:61], v[60:61], v[146:147]
	v_dot4_i32_iu8 v81, v92, v149, v81 neg_lo:[1,1,0]
	v_perm_b32 v146, v170, v170, 0x2010003
	v_perm_b32 v147, v171, v171, 0x2010003
	s_delay_alu instid0(VALU_DEP_3) | instskip(NEXT) | instid1(VALU_DEP_1)
	v_dot4_i32_iu8 v81, v140, v150, v81 neg_lo:[1,1,0]
	v_dot4_i32_iu8 v81, v161, v151, v81 neg_lo:[1,1,0]
	s_delay_alu instid0(VALU_DEP_1) | instskip(NEXT) | instid1(VALU_DEP_1)
	v_dot4_i32_iu8 v81, v184, v152, v81 neg_lo:[1,1,0]
	v_dot4_i32_iu8 v81, v94, v153, v81 neg_lo:[1,1,0]
	s_delay_alu instid0(VALU_DEP_1) | instskip(NEXT) | instid1(VALU_DEP_1)
	;; [unrolled: 3-line block ×3, first 2 shown]
	v_cvt_f32_i32_e32 v81, v81
	v_fma_mix_f32 v165, v83, v81, v83 op_sel:[0,0,1] op_sel_hi:[1,0,1]
	v_dot4_i32_iu8 v81, v90, v141, 0 neg_lo:[1,1,0]
	v_pk_mul_f16 v83, v136, v89
	v_pk_mul_f16 v89, v137, v89
	s_delay_alu instid0(VALU_DEP_4) | instskip(NEXT) | instid1(VALU_DEP_4)
	v_pk_add_f32 v[68:69], v[68:69], v[164:165]
	v_dot4_i32_iu8 v81, v92, v142, v81 neg_lo:[1,1,0]
	s_delay_alu instid0(VALU_DEP_1) | instskip(NEXT) | instid1(VALU_DEP_1)
	v_dot4_i32_iu8 v81, v140, v143, v81 neg_lo:[1,1,0]
	v_dot4_i32_iu8 v81, v161, v144, v81 neg_lo:[1,1,0]
	s_delay_alu instid0(VALU_DEP_1) | instskip(NEXT) | instid1(VALU_DEP_1)
	v_dot4_i32_iu8 v81, v184, v145, v81 neg_lo:[1,1,0]
	;; [unrolled: 3-line block ×3, first 2 shown]
	v_dot4_i32_iu8 v81, v178, v84, v81 neg_lo:[1,1,0]
	s_delay_alu instid0(VALU_DEP_1) | instskip(NEXT) | instid1(VALU_DEP_1)
	v_cvt_f32_i32_e32 v81, v81
	v_fma_mix_f32 v173, v83, v81, v83 op_sel:[0,0,1] op_sel_hi:[1,0,1]
	v_perm_b32 v81, v87, v87, 0x2010003
	v_perm_b32 v83, v138, v138, 0x2010003
	;; [unrolled: 1-line block ×3, first 2 shown]
	s_delay_alu instid0(VALU_DEP_4) | instskip(NEXT) | instid1(VALU_DEP_4)
	v_pk_add_f32 v[72:73], v[72:73], v[172:173]
	v_dot4_i32_iu8 v85, v90, v81, 0 neg_lo:[1,1,0]
	s_delay_alu instid0(VALU_DEP_1) | instskip(SKIP_2) | instid1(VALU_DEP_2)
	v_dot4_i32_iu8 v87, v92, v83, v85 neg_lo:[1,1,0]
	v_perm_b32 v85, v139, v139, 0x2010003
	v_perm_b32 v139, v176, v176, 0x2010003
	v_dot4_i32_iu8 v90, v140, v85, v87 neg_lo:[1,1,0]
	v_perm_b32 v87, v174, v174, 0x2010003
	v_perm_b32 v140, v177, v177, 0x2010003
	s_delay_alu instid0(VALU_DEP_2) | instskip(NEXT) | instid1(VALU_DEP_1)
	v_dot4_i32_iu8 v90, v161, v87, v90 neg_lo:[1,1,0]
	v_dot4_i32_iu8 v90, v184, v138, v90 neg_lo:[1,1,0]
	s_delay_alu instid0(VALU_DEP_1) | instskip(NEXT) | instid1(VALU_DEP_1)
	v_dot4_i32_iu8 v90, v94, v139, v90 neg_lo:[1,1,0]
	v_dot4_i32_iu8 v90, v179, v140, v90 neg_lo:[1,1,0]
	s_delay_alu instid0(VALU_DEP_1) | instskip(NEXT) | instid1(VALU_DEP_1)
	v_dot4_i32_iu8 v90, v178, v86, v90 neg_lo:[1,1,0]
	v_cvt_f32_i32_e32 v90, v90
	s_delay_alu instid0(VALU_DEP_1) | instskip(SKIP_1) | instid1(VALU_DEP_2)
	v_fma_mix_f32 v89, v89, v90, v89 op_sel:[0,0,1] op_sel_hi:[1,0,1]
	v_add_nc_u32_e32 v90, 0x804, v97
	v_pk_add_f32 v[74:75], v[74:75], v[88:89]
	v_add_nc_u32_e32 v88, 0x80c, v97
	ds_load_2addr_b32 v[162:163], v90 offset1:1
	v_add_nc_u32_e32 v90, 0x814, v97
	ds_load_2addr_b32 v[88:89], v88 offset1:1
	ds_load_2addr_b32 v[164:165], v90 offset1:1
	v_add_nc_u32_e32 v90, 0x800, v97
	ds_load_2addr_b32 v[166:167], v90 offset1:7
	ds_load_2addr_b32 v[168:169], v96 offset0:64 offset1:96
	s_wait_dscnt 0x4
	v_dual_lshlrev_b32 v94, 16, v162 :: v_dual_lshlrev_b32 v161, 8, v162
	v_dual_lshlrev_b32 v172, 16, v163 :: v_dual_lshlrev_b32 v173, 8, v163
	s_wait_dscnt 0x3
	v_dual_lshlrev_b32 v90, 16, v89 :: v_dual_lshlrev_b32 v92, 8, v89
	v_perm_b32 v89, v89, v89, 0xc0c0003
	s_wait_dscnt 0x2
	v_dual_lshlrev_b32 v170, 16, v164 :: v_dual_lshlrev_b32 v171, 8, v164
	v_lshlrev_b32_e32 v174, 16, v165
	v_perm_b32 v90, v92, v90, 0x7030c0c
	s_wait_dscnt 0x1
	v_lshlrev_b32_e32 v179, 8, v167
	v_perm_b32 v92, v161, v94, 0x7030c0c
	v_perm_b32 v94, v162, v162, 0xc0c0003
	;; [unrolled: 1-line block ×3, first 2 shown]
	v_or_b32_e32 v89, v90, v89
	v_lshlrev_b32_e32 v175, 8, v165
	v_perm_b32 v162, v163, v163, 0xc0c0003
	v_or_b32_e32 v92, v92, v94
	v_perm_b32 v94, v171, v170, 0x7030c0c
	v_dot4_i32_iu8 v90, v89, v95, 0 neg_lo:[1,1,0]
	v_dual_lshlrev_b32 v176, 16, v88 :: v_dual_lshlrev_b32 v177, 8, v88
	v_perm_b32 v163, v165, v165, 0xc0c0003
	s_delay_alu instid0(VALU_DEP_4) | instskip(NEXT) | instid1(VALU_DEP_4)
	v_or_b32_e32 v94, v94, v161
	v_dot4_i32_iu8 v90, v92, v155, v90 neg_lo:[1,1,0]
	v_perm_b32 v161, v173, v172, 0x7030c0c
	v_perm_b32 v88, v88, v88, 0xc0c0003
	v_lshlrev_b32_e32 v178, 16, v167
	s_wait_dscnt 0x0
	v_pk_mul_f16 v164, v93, v168
	v_dot4_i32_iu8 v90, v94, v156, v90 neg_lo:[1,1,0]
	v_or_b32_e32 v161, v161, v162
	v_perm_b32 v162, v175, v174, 0x7030c0c
	s_delay_alu instid0(VALU_DEP_2) | instskip(NEXT) | instid1(VALU_DEP_2)
	v_dot4_i32_iu8 v90, v161, v157, v90 neg_lo:[1,1,0]
	v_or_b32_e32 v163, v162, v163
	v_perm_b32 v162, v177, v176, 0x7030c0c
	s_delay_alu instid0(VALU_DEP_2) | instskip(NEXT) | instid1(VALU_DEP_2)
	v_dot4_i32_iu8 v90, v163, v158, v90 neg_lo:[1,1,0]
	v_or_b32_e32 v165, v162, v88
	v_perm_b32 v162, v167, v167, 0xc0c0003
	v_pk_mul_f16 v167, v136, v168
	s_delay_alu instid0(VALU_DEP_3) | instskip(SKIP_1) | instid1(VALU_DEP_1)
	v_dot4_i32_iu8 v88, v165, v159, v90 neg_lo:[1,1,0]
	v_perm_b32 v90, v179, v178, 0x7030c0c
	v_or_b32_e32 v90, v90, v162
	v_pk_mul_f16 v162, v91, v168
	s_delay_alu instid0(VALU_DEP_2) | instskip(NEXT) | instid1(VALU_DEP_1)
	v_dot4_i32_iu8 v88, v90, v160, v88 neg_lo:[1,1,0]
	v_dot4_i32_iu8 v88, v80, v166, v88 neg_lo:[1,1,0]
	s_delay_alu instid0(VALU_DEP_1) | instskip(NEXT) | instid1(VALU_DEP_1)
	v_cvt_f32_i32_e32 v88, v88
	v_fma_mix_f32 v88, v162, v88, v162 op_sel:[0,0,1] op_sel_hi:[1,0,1]
	v_dot4_i32_iu8 v162, v89, v148, 0 neg_lo:[1,1,0]
	s_delay_alu instid0(VALU_DEP_1) | instskip(NEXT) | instid1(VALU_DEP_1)
	v_dot4_i32_iu8 v162, v92, v149, v162 neg_lo:[1,1,0]
	v_dot4_i32_iu8 v162, v94, v150, v162 neg_lo:[1,1,0]
	s_delay_alu instid0(VALU_DEP_1) | instskip(NEXT) | instid1(VALU_DEP_1)
	v_dot4_i32_iu8 v162, v161, v151, v162 neg_lo:[1,1,0]
	;; [unrolled: 3-line block ×4, first 2 shown]
	v_cvt_f32_i32_e32 v162, v162
	s_delay_alu instid0(VALU_DEP_1) | instskip(SKIP_2) | instid1(VALU_DEP_2)
	v_fma_mix_f32 v162, v164, v162, v164 op_sel:[0,0,1] op_sel_hi:[1,0,1]
	v_dot4_i32_iu8 v164, v89, v141, 0 neg_lo:[1,1,0]
	v_dot4_i32_iu8 v89, v89, v81, 0 neg_lo:[1,1,0]
	;; [unrolled: 1-line block ×3, first 2 shown]
	s_delay_alu instid0(VALU_DEP_2) | instskip(NEXT) | instid1(VALU_DEP_2)
	v_dot4_i32_iu8 v89, v92, v83, v89 neg_lo:[1,1,0]
	v_dot4_i32_iu8 v164, v94, v143, v164 neg_lo:[1,1,0]
	s_delay_alu instid0(VALU_DEP_2) | instskip(NEXT) | instid1(VALU_DEP_2)
	v_dot4_i32_iu8 v89, v94, v85, v89 neg_lo:[1,1,0]
	v_dot4_i32_iu8 v164, v161, v144, v164 neg_lo:[1,1,0]
	;; [unrolled: 3-line block ×5, first 2 shown]
	s_delay_alu instid0(VALU_DEP_2) | instskip(SKIP_1) | instid1(VALU_DEP_3)
	v_dot4_i32_iu8 v89, v90, v140, v89 neg_lo:[1,1,0]
	v_pk_mul_f16 v90, v137, v168
	v_dot4_i32_iu8 v164, v166, v84, v164 neg_lo:[1,1,0]
	s_delay_alu instid0(VALU_DEP_3) | instskip(NEXT) | instid1(VALU_DEP_2)
	v_dot4_i32_iu8 v89, v166, v86, v89 neg_lo:[1,1,0]
	v_cvt_f32_i32_e32 v164, v164
	s_delay_alu instid0(VALU_DEP_2) | instskip(NEXT) | instid1(VALU_DEP_2)
	v_cvt_f32_i32_e32 v89, v89
	v_fma_mix_f32 v164, v167, v164, v167 op_sel:[0,0,1] op_sel_hi:[1,0,1]
	s_delay_alu instid0(VALU_DEP_2)
	v_fma_mix_f32 v166, v90, v89, v90 op_sel:[0,0,1] op_sel_hi:[1,0,1]
	v_add_nc_u32_e32 v89, 0xc0c, v97
	ds_load_2addr_b32 v[170:171], v89 offset1:1
	v_add_nc_u32_e32 v89, 0xc04, v97
	ds_load_2addr_b32 v[172:173], v89 offset1:1
	;; [unrolled: 2-line block ×4, first 2 shown]
	s_wait_dscnt 0x3
	v_dual_lshlrev_b32 v89, 16, v171 :: v_dual_lshlrev_b32 v90, 8, v171
	v_dual_lshlrev_b32 v179, 16, v170 :: v_dual_lshlrev_b32 v180, 8, v170
	s_wait_dscnt 0x2
	v_dual_lshlrev_b32 v92, 16, v172 :: v_dual_lshlrev_b32 v94, 8, v172
	s_delay_alu instid0(VALU_DEP_3)
	v_perm_b32 v89, v90, v89, 0x7030c0c
	v_perm_b32 v90, v171, v171, 0xc0c0003
	v_dual_lshlrev_b32 v165, 16, v173 :: v_dual_lshlrev_b32 v167, 8, v173
	s_wait_dscnt 0x1
	v_dual_lshlrev_b32 v168, 16, v175 :: v_dual_lshlrev_b32 v161, 16, v174
	v_lshlrev_b32_e32 v163, 8, v174
	v_or_b32_e32 v90, v89, v90
	v_perm_b32 v92, v94, v92, 0x7030c0c
	v_perm_b32 v94, v172, v172, 0xc0c0003
	s_wait_dscnt 0x0
	v_dual_lshlrev_b32 v182, 8, v177 :: v_dual_lshlrev_b32 v178, 8, v175
	v_dot4_i32_iu8 v89, v90, v95, 0 neg_lo:[1,1,0]
	s_delay_alu instid0(VALU_DEP_3) | instskip(SKIP_3) | instid1(VALU_DEP_4)
	v_dual_lshlrev_b32 v181, 16, v177 :: v_dual_bitop2_b32 v92, v92, v94 bitop3:0x54
	v_perm_b32 v94, v163, v161, 0x7030c0c
	v_perm_b32 v161, v174, v174, 0xc0c0003
	;; [unrolled: 1-line block ×3, first 2 shown]
	v_dot4_i32_iu8 v89, v92, v155, v89 neg_lo:[1,1,0]
	s_delay_alu instid0(VALU_DEP_3) | instskip(SKIP_2) | instid1(VALU_DEP_3)
	v_or_b32_e32 v94, v94, v161
	v_perm_b32 v161, v167, v165, 0x7030c0c
	v_perm_b32 v165, v175, v175, 0xc0c0003
	v_dot4_i32_iu8 v89, v94, v156, v89 neg_lo:[1,1,0]
	s_delay_alu instid0(VALU_DEP_3) | instskip(SKIP_1) | instid1(VALU_DEP_2)
	v_or_b32_e32 v161, v161, v163
	v_perm_b32 v163, v178, v168, 0x7030c0c
	v_dot4_i32_iu8 v89, v161, v157, v89 neg_lo:[1,1,0]
	s_delay_alu instid0(VALU_DEP_2) | instskip(SKIP_2) | instid1(VALU_DEP_3)
	v_or_b32_e32 v167, v163, v165
	v_perm_b32 v163, v180, v179, 0x7030c0c
	v_perm_b32 v165, v170, v170, 0xc0c0003
	v_dot4_i32_iu8 v89, v167, v158, v89 neg_lo:[1,1,0]
	s_delay_alu instid0(VALU_DEP_2) | instskip(SKIP_2) | instid1(VALU_DEP_3)
	v_or_b32_e32 v168, v163, v165
	v_perm_b32 v163, v182, v181, 0x7030c0c
	v_perm_b32 v165, v177, v177, 0xc0c0003
	v_dot4_i32_iu8 v89, v168, v159, v89 neg_lo:[1,1,0]
	s_delay_alu instid0(VALU_DEP_2) | instskip(SKIP_1) | instid1(VALU_DEP_2)
	v_or_b32_e32 v170, v163, v165
	v_pk_mul_f16 v163, v91, v169
	v_dot4_i32_iu8 v89, v170, v160, v89 neg_lo:[1,1,0]
	s_delay_alu instid0(VALU_DEP_1) | instskip(NEXT) | instid1(VALU_DEP_1)
	v_dot4_i32_iu8 v89, v80, v176, v89 neg_lo:[1,1,0]
	v_cvt_f32_i32_e32 v89, v89
	s_delay_alu instid0(VALU_DEP_1) | instskip(NEXT) | instid1(VALU_DEP_1)
	v_fma_mix_f32 v89, v163, v89, v163 op_sel:[0,0,1] op_sel_hi:[1,0,1]
	v_pk_add_f32 v[50:51], v[50:51], v[88:89]
	v_dot4_i32_iu8 v88, v90, v148, 0 neg_lo:[1,1,0]
	v_pk_mul_f16 v89, v93, v169
	s_delay_alu instid0(VALU_DEP_2) | instskip(NEXT) | instid1(VALU_DEP_1)
	v_dot4_i32_iu8 v88, v92, v149, v88 neg_lo:[1,1,0]
	v_dot4_i32_iu8 v88, v94, v150, v88 neg_lo:[1,1,0]
	s_delay_alu instid0(VALU_DEP_1) | instskip(NEXT) | instid1(VALU_DEP_1)
	v_dot4_i32_iu8 v88, v161, v151, v88 neg_lo:[1,1,0]
	v_dot4_i32_iu8 v88, v167, v152, v88 neg_lo:[1,1,0]
	s_delay_alu instid0(VALU_DEP_1) | instskip(NEXT) | instid1(VALU_DEP_1)
	v_dot4_i32_iu8 v88, v168, v153, v88 neg_lo:[1,1,0]
	v_dot4_i32_iu8 v88, v170, v154, v88 neg_lo:[1,1,0]
	s_delay_alu instid0(VALU_DEP_1) | instskip(NEXT) | instid1(VALU_DEP_1)
	v_dot4_i32_iu8 v88, v176, v82, v88 neg_lo:[1,1,0]
	v_cvt_f32_i32_e32 v88, v88
	s_delay_alu instid0(VALU_DEP_1) | instskip(SKIP_2) | instid1(VALU_DEP_3)
	v_fma_mix_f32 v163, v89, v88, v89 op_sel:[0,0,1] op_sel_hi:[1,0,1]
	v_dot4_i32_iu8 v88, v90, v141, 0 neg_lo:[1,1,0]
	v_pk_mul_f16 v89, v136, v169
	v_pk_add_f32 v[54:55], v[54:55], v[162:163]
	s_delay_alu instid0(VALU_DEP_3) | instskip(NEXT) | instid1(VALU_DEP_1)
	v_dot4_i32_iu8 v88, v92, v142, v88 neg_lo:[1,1,0]
	v_dot4_i32_iu8 v88, v94, v143, v88 neg_lo:[1,1,0]
	s_delay_alu instid0(VALU_DEP_1) | instskip(NEXT) | instid1(VALU_DEP_1)
	v_dot4_i32_iu8 v88, v161, v144, v88 neg_lo:[1,1,0]
	v_dot4_i32_iu8 v88, v167, v145, v88 neg_lo:[1,1,0]
	s_delay_alu instid0(VALU_DEP_1) | instskip(NEXT) | instid1(VALU_DEP_1)
	;; [unrolled: 3-line block ×3, first 2 shown]
	v_dot4_i32_iu8 v88, v176, v84, v88 neg_lo:[1,1,0]
	v_cvt_f32_i32_e32 v88, v88
	s_delay_alu instid0(VALU_DEP_1) | instskip(SKIP_3) | instid1(VALU_DEP_4)
	v_fma_mix_f32 v165, v89, v88, v89 op_sel:[0,0,1] op_sel_hi:[1,0,1]
	v_dot4_i32_iu8 v88, v90, v81, 0 neg_lo:[1,1,0]
	v_pk_mul_f16 v89, v137, v169
	v_add_nc_u32_e32 v90, 0x1004, v97
	v_pk_add_f32 v[62:63], v[62:63], v[164:165]
	s_delay_alu instid0(VALU_DEP_4)
	v_dot4_i32_iu8 v88, v92, v83, v88 neg_lo:[1,1,0]
	ds_load_2addr_b32 v[162:163], v90 offset1:1
	v_add_nc_u32_e32 v90, 0x1014, v97
	v_dot4_i32_iu8 v88, v94, v85, v88 neg_lo:[1,1,0]
	ds_load_2addr_b32 v[164:165], v90 offset1:1
	v_add_nc_u32_e32 v90, 0x1000, v97
	v_dot4_i32_iu8 v88, v161, v87, v88 neg_lo:[1,1,0]
	s_delay_alu instid0(VALU_DEP_1) | instskip(NEXT) | instid1(VALU_DEP_1)
	v_dot4_i32_iu8 v88, v167, v138, v88 neg_lo:[1,1,0]
	v_dot4_i32_iu8 v88, v168, v139, v88 neg_lo:[1,1,0]
	s_wait_dscnt 0x1
	v_dual_lshlrev_b32 v94, 16, v162 :: v_dual_lshlrev_b32 v161, 8, v162
	v_dual_lshlrev_b32 v172, 16, v163 :: v_dual_lshlrev_b32 v173, 8, v163
	s_delay_alu instid0(VALU_DEP_3) | instskip(SKIP_3) | instid1(VALU_DEP_3)
	v_dot4_i32_iu8 v88, v170, v140, v88 neg_lo:[1,1,0]
	s_wait_dscnt 0x0
	v_dual_lshlrev_b32 v170, 16, v164 :: v_dual_lshlrev_b32 v171, 8, v164
	v_dual_lshlrev_b32 v174, 16, v165 :: v_dual_lshlrev_b32 v175, 8, v165
	v_dot4_i32_iu8 v88, v176, v86, v88 neg_lo:[1,1,0]
	s_delay_alu instid0(VALU_DEP_1) | instskip(NEXT) | instid1(VALU_DEP_1)
	v_cvt_f32_i32_e32 v88, v88
	v_fma_mix_f32 v167, v89, v88, v89 op_sel:[0,0,1] op_sel_hi:[1,0,1]
	v_add_nc_u32_e32 v88, 0x100c, v97
	s_delay_alu instid0(VALU_DEP_2)
	v_pk_add_f32 v[64:65], v[64:65], v[166:167]
	ds_load_2addr_b32 v[88:89], v88 offset1:1
	ds_load_2addr_b32 v[166:167], v90 offset1:7
	ds_load_2addr_b32 v[168:169], v96 offset0:128 offset1:160
	s_wait_dscnt 0x2
	v_dual_lshlrev_b32 v90, 16, v89 :: v_dual_lshlrev_b32 v92, 8, v89
	v_perm_b32 v89, v89, v89, 0xc0c0003
	v_dual_lshlrev_b32 v176, 16, v88 :: v_dual_lshlrev_b32 v177, 8, v88
	v_perm_b32 v88, v88, v88, 0xc0c0003
	s_delay_alu instid0(VALU_DEP_4)
	v_perm_b32 v90, v92, v90, 0x7030c0c
	v_perm_b32 v92, v161, v94, 0x7030c0c
	;; [unrolled: 1-line block ×5, first 2 shown]
	v_or_b32_e32 v89, v90, v89
	v_perm_b32 v163, v165, v165, 0xc0c0003
	v_or_b32_e32 v92, v92, v94
	v_perm_b32 v94, v171, v170, 0x7030c0c
	s_wait_dscnt 0x1
	v_dual_lshlrev_b32 v178, 16, v167 :: v_dual_lshlrev_b32 v179, 8, v167
	v_dot4_i32_iu8 v90, v89, v95, 0 neg_lo:[1,1,0]
	s_wait_dscnt 0x0
	v_pk_mul_f16 v164, v93, v168
	v_or_b32_e32 v94, v94, v161
	v_perm_b32 v161, v173, v172, 0x7030c0c
	v_dot4_i32_iu8 v90, v92, v155, v90 neg_lo:[1,1,0]
	s_delay_alu instid0(VALU_DEP_2) | instskip(SKIP_1) | instid1(VALU_DEP_3)
	v_or_b32_e32 v161, v161, v162
	v_perm_b32 v162, v175, v174, 0x7030c0c
	v_dot4_i32_iu8 v90, v94, v156, v90 neg_lo:[1,1,0]
	s_delay_alu instid0(VALU_DEP_2) | instskip(NEXT) | instid1(VALU_DEP_2)
	v_or_b32_e32 v163, v162, v163
	v_dot4_i32_iu8 v90, v161, v157, v90 neg_lo:[1,1,0]
	v_perm_b32 v162, v177, v176, 0x7030c0c
	s_delay_alu instid0(VALU_DEP_2) | instskip(NEXT) | instid1(VALU_DEP_2)
	v_dot4_i32_iu8 v90, v163, v158, v90 neg_lo:[1,1,0]
	v_or_b32_e32 v165, v162, v88
	v_perm_b32 v162, v167, v167, 0xc0c0003
	v_pk_mul_f16 v167, v136, v168
	s_delay_alu instid0(VALU_DEP_3) | instskip(SKIP_1) | instid1(VALU_DEP_1)
	v_dot4_i32_iu8 v88, v165, v159, v90 neg_lo:[1,1,0]
	v_perm_b32 v90, v179, v178, 0x7030c0c
	v_or_b32_e32 v90, v90, v162
	v_pk_mul_f16 v162, v91, v168
	s_delay_alu instid0(VALU_DEP_2) | instskip(NEXT) | instid1(VALU_DEP_1)
	v_dot4_i32_iu8 v88, v90, v160, v88 neg_lo:[1,1,0]
	v_dot4_i32_iu8 v88, v80, v166, v88 neg_lo:[1,1,0]
	s_delay_alu instid0(VALU_DEP_1) | instskip(NEXT) | instid1(VALU_DEP_1)
	v_cvt_f32_i32_e32 v88, v88
	v_fma_mix_f32 v88, v162, v88, v162 op_sel:[0,0,1] op_sel_hi:[1,0,1]
	v_dot4_i32_iu8 v162, v89, v148, 0 neg_lo:[1,1,0]
	s_delay_alu instid0(VALU_DEP_1) | instskip(NEXT) | instid1(VALU_DEP_1)
	v_dot4_i32_iu8 v162, v92, v149, v162 neg_lo:[1,1,0]
	v_dot4_i32_iu8 v162, v94, v150, v162 neg_lo:[1,1,0]
	s_delay_alu instid0(VALU_DEP_1) | instskip(NEXT) | instid1(VALU_DEP_1)
	v_dot4_i32_iu8 v162, v161, v151, v162 neg_lo:[1,1,0]
	;; [unrolled: 3-line block ×4, first 2 shown]
	v_cvt_f32_i32_e32 v162, v162
	s_delay_alu instid0(VALU_DEP_1) | instskip(SKIP_2) | instid1(VALU_DEP_2)
	v_fma_mix_f32 v162, v164, v162, v164 op_sel:[0,0,1] op_sel_hi:[1,0,1]
	v_dot4_i32_iu8 v164, v89, v141, 0 neg_lo:[1,1,0]
	v_dot4_i32_iu8 v89, v89, v81, 0 neg_lo:[1,1,0]
	v_dot4_i32_iu8 v164, v92, v142, v164 neg_lo:[1,1,0]
	s_delay_alu instid0(VALU_DEP_2) | instskip(NEXT) | instid1(VALU_DEP_2)
	v_dot4_i32_iu8 v89, v92, v83, v89 neg_lo:[1,1,0]
	v_dot4_i32_iu8 v164, v94, v143, v164 neg_lo:[1,1,0]
	s_delay_alu instid0(VALU_DEP_2) | instskip(NEXT) | instid1(VALU_DEP_2)
	v_dot4_i32_iu8 v89, v94, v85, v89 neg_lo:[1,1,0]
	v_dot4_i32_iu8 v164, v161, v144, v164 neg_lo:[1,1,0]
	;; [unrolled: 3-line block ×5, first 2 shown]
	s_delay_alu instid0(VALU_DEP_2) | instskip(SKIP_1) | instid1(VALU_DEP_3)
	v_dot4_i32_iu8 v89, v90, v140, v89 neg_lo:[1,1,0]
	v_pk_mul_f16 v90, v137, v168
	v_dot4_i32_iu8 v164, v166, v84, v164 neg_lo:[1,1,0]
	s_delay_alu instid0(VALU_DEP_3) | instskip(NEXT) | instid1(VALU_DEP_2)
	v_dot4_i32_iu8 v89, v166, v86, v89 neg_lo:[1,1,0]
	v_cvt_f32_i32_e32 v164, v164
	s_delay_alu instid0(VALU_DEP_2) | instskip(NEXT) | instid1(VALU_DEP_2)
	v_cvt_f32_i32_e32 v89, v89
	v_fma_mix_f32 v164, v167, v164, v167 op_sel:[0,0,1] op_sel_hi:[1,0,1]
	s_delay_alu instid0(VALU_DEP_2)
	v_fma_mix_f32 v166, v90, v89, v90 op_sel:[0,0,1] op_sel_hi:[1,0,1]
	v_add_nc_u32_e32 v89, 0x140c, v97
	ds_load_2addr_b32 v[170:171], v89 offset1:1
	v_add_nc_u32_e32 v89, 0x1404, v97
	ds_load_2addr_b32 v[172:173], v89 offset1:1
	;; [unrolled: 2-line block ×4, first 2 shown]
	s_wait_dscnt 0x3
	v_dual_lshlrev_b32 v89, 16, v171 :: v_dual_lshlrev_b32 v90, 8, v171
	v_dual_lshlrev_b32 v179, 16, v170 :: v_dual_lshlrev_b32 v180, 8, v170
	s_wait_dscnt 0x2
	v_dual_lshlrev_b32 v92, 16, v172 :: v_dual_lshlrev_b32 v94, 8, v172
	s_delay_alu instid0(VALU_DEP_3)
	v_perm_b32 v89, v90, v89, 0x7030c0c
	v_perm_b32 v90, v171, v171, 0xc0c0003
	v_dual_lshlrev_b32 v165, 16, v173 :: v_dual_lshlrev_b32 v167, 8, v173
	s_wait_dscnt 0x1
	v_dual_lshlrev_b32 v168, 16, v175 :: v_dual_lshlrev_b32 v161, 16, v174
	v_lshlrev_b32_e32 v163, 8, v174
	v_or_b32_e32 v90, v89, v90
	v_perm_b32 v92, v94, v92, 0x7030c0c
	v_perm_b32 v94, v172, v172, 0xc0c0003
	s_wait_dscnt 0x0
	v_dual_lshlrev_b32 v182, 8, v177 :: v_dual_lshlrev_b32 v178, 8, v175
	v_dot4_i32_iu8 v89, v90, v95, 0 neg_lo:[1,1,0]
	s_delay_alu instid0(VALU_DEP_3) | instskip(SKIP_3) | instid1(VALU_DEP_4)
	v_dual_lshlrev_b32 v181, 16, v177 :: v_dual_bitop2_b32 v92, v92, v94 bitop3:0x54
	v_perm_b32 v94, v163, v161, 0x7030c0c
	v_perm_b32 v161, v174, v174, 0xc0c0003
	;; [unrolled: 1-line block ×3, first 2 shown]
	v_dot4_i32_iu8 v89, v92, v155, v89 neg_lo:[1,1,0]
	s_delay_alu instid0(VALU_DEP_3) | instskip(SKIP_2) | instid1(VALU_DEP_3)
	v_or_b32_e32 v94, v94, v161
	v_perm_b32 v161, v167, v165, 0x7030c0c
	v_perm_b32 v165, v175, v175, 0xc0c0003
	v_dot4_i32_iu8 v89, v94, v156, v89 neg_lo:[1,1,0]
	s_delay_alu instid0(VALU_DEP_3) | instskip(SKIP_1) | instid1(VALU_DEP_2)
	v_or_b32_e32 v161, v161, v163
	v_perm_b32 v163, v178, v168, 0x7030c0c
	v_dot4_i32_iu8 v89, v161, v157, v89 neg_lo:[1,1,0]
	s_delay_alu instid0(VALU_DEP_2) | instskip(SKIP_2) | instid1(VALU_DEP_3)
	v_or_b32_e32 v167, v163, v165
	v_perm_b32 v163, v180, v179, 0x7030c0c
	v_perm_b32 v165, v170, v170, 0xc0c0003
	v_dot4_i32_iu8 v89, v167, v158, v89 neg_lo:[1,1,0]
	s_delay_alu instid0(VALU_DEP_2) | instskip(SKIP_2) | instid1(VALU_DEP_3)
	v_or_b32_e32 v168, v163, v165
	v_perm_b32 v163, v182, v181, 0x7030c0c
	v_perm_b32 v165, v177, v177, 0xc0c0003
	v_dot4_i32_iu8 v89, v168, v159, v89 neg_lo:[1,1,0]
	s_delay_alu instid0(VALU_DEP_2) | instskip(SKIP_1) | instid1(VALU_DEP_2)
	v_or_b32_e32 v170, v163, v165
	v_pk_mul_f16 v163, v91, v169
	v_dot4_i32_iu8 v89, v170, v160, v89 neg_lo:[1,1,0]
	s_delay_alu instid0(VALU_DEP_1) | instskip(NEXT) | instid1(VALU_DEP_1)
	v_dot4_i32_iu8 v89, v80, v176, v89 neg_lo:[1,1,0]
	v_cvt_f32_i32_e32 v89, v89
	s_delay_alu instid0(VALU_DEP_1) | instskip(NEXT) | instid1(VALU_DEP_1)
	v_fma_mix_f32 v89, v163, v89, v163 op_sel:[0,0,1] op_sel_hi:[1,0,1]
	v_pk_add_f32 v[36:37], v[36:37], v[88:89]
	v_dot4_i32_iu8 v88, v90, v148, 0 neg_lo:[1,1,0]
	v_pk_mul_f16 v89, v93, v169
	s_delay_alu instid0(VALU_DEP_2) | instskip(NEXT) | instid1(VALU_DEP_1)
	v_dot4_i32_iu8 v88, v92, v149, v88 neg_lo:[1,1,0]
	v_dot4_i32_iu8 v88, v94, v150, v88 neg_lo:[1,1,0]
	s_delay_alu instid0(VALU_DEP_1) | instskip(NEXT) | instid1(VALU_DEP_1)
	v_dot4_i32_iu8 v88, v161, v151, v88 neg_lo:[1,1,0]
	v_dot4_i32_iu8 v88, v167, v152, v88 neg_lo:[1,1,0]
	s_delay_alu instid0(VALU_DEP_1) | instskip(NEXT) | instid1(VALU_DEP_1)
	;; [unrolled: 3-line block ×3, first 2 shown]
	v_dot4_i32_iu8 v88, v176, v82, v88 neg_lo:[1,1,0]
	v_cvt_f32_i32_e32 v88, v88
	s_delay_alu instid0(VALU_DEP_1) | instskip(SKIP_2) | instid1(VALU_DEP_3)
	v_fma_mix_f32 v163, v89, v88, v89 op_sel:[0,0,1] op_sel_hi:[1,0,1]
	v_dot4_i32_iu8 v88, v90, v141, 0 neg_lo:[1,1,0]
	v_pk_mul_f16 v89, v136, v169
	v_pk_add_f32 v[44:45], v[44:45], v[162:163]
	s_delay_alu instid0(VALU_DEP_3) | instskip(NEXT) | instid1(VALU_DEP_1)
	v_dot4_i32_iu8 v88, v92, v142, v88 neg_lo:[1,1,0]
	v_dot4_i32_iu8 v88, v94, v143, v88 neg_lo:[1,1,0]
	s_delay_alu instid0(VALU_DEP_1) | instskip(NEXT) | instid1(VALU_DEP_1)
	v_dot4_i32_iu8 v88, v161, v144, v88 neg_lo:[1,1,0]
	v_dot4_i32_iu8 v88, v167, v145, v88 neg_lo:[1,1,0]
	s_delay_alu instid0(VALU_DEP_1) | instskip(NEXT) | instid1(VALU_DEP_1)
	;; [unrolled: 3-line block ×3, first 2 shown]
	v_dot4_i32_iu8 v88, v176, v84, v88 neg_lo:[1,1,0]
	v_cvt_f32_i32_e32 v88, v88
	s_delay_alu instid0(VALU_DEP_1) | instskip(SKIP_2) | instid1(VALU_DEP_3)
	v_fma_mix_f32 v165, v89, v88, v89 op_sel:[0,0,1] op_sel_hi:[1,0,1]
	v_dot4_i32_iu8 v88, v90, v81, 0 neg_lo:[1,1,0]
	v_pk_mul_f16 v89, v137, v169
	v_pk_add_f32 v[46:47], v[46:47], v[164:165]
	s_delay_alu instid0(VALU_DEP_3) | instskip(NEXT) | instid1(VALU_DEP_1)
	v_dot4_i32_iu8 v88, v92, v83, v88 neg_lo:[1,1,0]
	v_dot4_i32_iu8 v88, v94, v85, v88 neg_lo:[1,1,0]
	s_delay_alu instid0(VALU_DEP_1) | instskip(NEXT) | instid1(VALU_DEP_1)
	v_dot4_i32_iu8 v88, v161, v87, v88 neg_lo:[1,1,0]
	v_dot4_i32_iu8 v88, v167, v138, v88 neg_lo:[1,1,0]
	s_delay_alu instid0(VALU_DEP_1) | instskip(NEXT) | instid1(VALU_DEP_1)
	;; [unrolled: 3-line block ×3, first 2 shown]
	v_dot4_i32_iu8 v88, v176, v86, v88 neg_lo:[1,1,0]
	v_cvt_f32_i32_e32 v88, v88
	s_delay_alu instid0(VALU_DEP_1) | instskip(SKIP_1) | instid1(VALU_DEP_2)
	v_fma_mix_f32 v167, v89, v88, v89 op_sel:[0,0,1] op_sel_hi:[1,0,1]
	v_add_nc_u32_e32 v88, 0x180c, v97
	v_pk_add_f32 v[52:53], v[52:53], v[166:167]
	ds_load_2addr_b32 v[162:163], v88 offset1:1
	v_add_nc_u32_e32 v88, 0x1804, v97
	ds_load_2addr_b32 v[164:165], v88 offset1:1
	v_add_nc_u32_e32 v88, 0x1814, v97
	;; [unrolled: 2-line block ×3, first 2 shown]
	ds_load_2addr_b32 v[168:169], v88 offset1:7
	ds_load_2addr_b32 v[88:89], v96 offset0:192 offset1:224
	s_wait_dscnt 0x4
	v_dual_add_nc_u32 v96, 4, v96 :: v_dual_lshlrev_b32 v90, 16, v163
	v_dual_lshlrev_b32 v92, 8, v163 :: v_dual_lshlrev_b32 v176, 16, v162
	s_wait_dscnt 0x3
	v_dual_lshlrev_b32 v177, 8, v162 :: v_dual_lshlrev_b32 v94, 16, v164
	v_lshlrev_b32_e32 v161, 8, v164
	s_delay_alu instid0(VALU_DEP_3) | instskip(SKIP_4) | instid1(VALU_DEP_3)
	v_perm_b32 v90, v92, v90, 0x7030c0c
	v_perm_b32 v92, v163, v163, 0xc0c0003
	v_dual_lshlrev_b32 v172, 16, v165 :: v_dual_lshlrev_b32 v173, 8, v165
	s_wait_dscnt 0x2
	v_dual_lshlrev_b32 v170, 16, v166 :: v_dual_lshlrev_b32 v171, 8, v166
	v_or_b32_e32 v163, v90, v92
	v_perm_b32 v92, v161, v94, 0x7030c0c
	v_perm_b32 v94, v164, v164, 0xc0c0003
	v_dual_lshlrev_b32 v174, 16, v167 :: v_dual_lshlrev_b32 v175, 8, v167
	s_delay_alu instid0(VALU_DEP_4)
	v_dot4_i32_iu8 v90, v163, v95, 0 neg_lo:[1,1,0]
	s_wait_dscnt 0x1
	v_dual_lshlrev_b32 v178, 16, v169 :: v_dual_lshlrev_b32 v179, 8, v169
	v_or_b32_e32 v161, v92, v94
	v_perm_b32 v92, v171, v170, 0x7030c0c
	v_perm_b32 v94, v166, v166, 0xc0c0003
	s_delay_alu instid0(VALU_DEP_3) | instskip(NEXT) | instid1(VALU_DEP_2)
	v_dot4_i32_iu8 v90, v161, v155, v90 neg_lo:[1,1,0]
	v_or_b32_e32 v164, v92, v94
	v_perm_b32 v92, v173, v172, 0x7030c0c
	v_perm_b32 v94, v165, v165, 0xc0c0003
	s_delay_alu instid0(VALU_DEP_3) | instskip(NEXT) | instid1(VALU_DEP_2)
	v_dot4_i32_iu8 v90, v164, v156, v90 neg_lo:[1,1,0]
	v_or_b32_e32 v165, v92, v94
	v_perm_b32 v92, v175, v174, 0x7030c0c
	v_perm_b32 v94, v167, v167, 0xc0c0003
	s_delay_alu instid0(VALU_DEP_3) | instskip(NEXT) | instid1(VALU_DEP_2)
	v_dot4_i32_iu8 v90, v165, v157, v90 neg_lo:[1,1,0]
	v_or_b32_e32 v166, v92, v94
	v_perm_b32 v92, v177, v176, 0x7030c0c
	v_perm_b32 v94, v162, v162, 0xc0c0003
	s_delay_alu instid0(VALU_DEP_3) | instskip(NEXT) | instid1(VALU_DEP_2)
	v_dot4_i32_iu8 v90, v166, v158, v90 neg_lo:[1,1,0]
	v_or_b32_e32 v162, v92, v94
	v_perm_b32 v92, v179, v178, 0x7030c0c
	v_perm_b32 v94, v169, v169, 0xc0c0003
	s_wait_dscnt 0x0
	v_pk_mul_f16 v169, v136, v88
	v_dot4_i32_iu8 v90, v162, v159, v90 neg_lo:[1,1,0]
	s_delay_alu instid0(VALU_DEP_3) | instskip(SKIP_2) | instid1(VALU_DEP_3)
	v_or_b32_e32 v167, v92, v94
	v_pk_mul_f16 v92, v91, v88
	v_pk_mul_f16 v91, v91, v89
	v_dot4_i32_iu8 v90, v167, v160, v90 neg_lo:[1,1,0]
	s_delay_alu instid0(VALU_DEP_1) | instskip(NEXT) | instid1(VALU_DEP_1)
	v_dot4_i32_iu8 v90, v80, v168, v90 neg_lo:[1,1,0]
	v_cvt_f32_i32_e32 v90, v90
	s_delay_alu instid0(VALU_DEP_1) | instskip(SKIP_3) | instid1(VALU_DEP_3)
	v_fma_mix_f32 v94, v92, v90, v92 op_sel:[0,0,1] op_sel_hi:[1,0,1]
	v_dot4_i32_iu8 v90, v163, v148, 0 neg_lo:[1,1,0]
	v_pk_mul_f16 v92, v93, v88
	v_pk_mul_f16 v88, v137, v88
	v_dot4_i32_iu8 v90, v161, v149, v90 neg_lo:[1,1,0]
	s_delay_alu instid0(VALU_DEP_1) | instskip(NEXT) | instid1(VALU_DEP_1)
	v_dot4_i32_iu8 v90, v164, v150, v90 neg_lo:[1,1,0]
	v_dot4_i32_iu8 v90, v165, v151, v90 neg_lo:[1,1,0]
	s_delay_alu instid0(VALU_DEP_1) | instskip(NEXT) | instid1(VALU_DEP_1)
	v_dot4_i32_iu8 v90, v166, v152, v90 neg_lo:[1,1,0]
	;; [unrolled: 3-line block ×3, first 2 shown]
	v_dot4_i32_iu8 v90, v168, v82, v90 neg_lo:[1,1,0]
	s_delay_alu instid0(VALU_DEP_1) | instskip(NEXT) | instid1(VALU_DEP_1)
	v_cvt_f32_i32_e32 v90, v90
	v_fma_mix_f32 v92, v92, v90, v92 op_sel:[0,0,1] op_sel_hi:[1,0,1]
	v_dot4_i32_iu8 v90, v163, v141, 0 neg_lo:[1,1,0]
	v_dot4_i32_iu8 v163, v163, v81, 0 neg_lo:[1,1,0]
	s_delay_alu instid0(VALU_DEP_2) | instskip(NEXT) | instid1(VALU_DEP_2)
	v_dot4_i32_iu8 v90, v161, v142, v90 neg_lo:[1,1,0]
	v_dot4_i32_iu8 v161, v161, v83, v163 neg_lo:[1,1,0]
	s_delay_alu instid0(VALU_DEP_2) | instskip(NEXT) | instid1(VALU_DEP_2)
	;; [unrolled: 3-line block ×5, first 2 shown]
	v_dot4_i32_iu8 v90, v162, v146, v90 neg_lo:[1,1,0]
	v_dot4_i32_iu8 v161, v162, v139, v161 neg_lo:[1,1,0]
	s_delay_alu instid0(VALU_DEP_1) | instskip(NEXT) | instid1(VALU_DEP_1)
	v_dot4_i32_iu8 v161, v167, v140, v161 neg_lo:[1,1,0]
	v_dot4_i32_iu8 v161, v168, v86, v161 neg_lo:[1,1,0]
	s_delay_alu instid0(VALU_DEP_1) | instskip(NEXT) | instid1(VALU_DEP_1)
	v_cvt_f32_i32_e32 v161, v161
	v_fma_mix_f32 v88, v88, v161, v88 op_sel:[0,0,1] op_sel_hi:[1,0,1]
	v_add_nc_u32_e32 v161, 0x1c0c, v97
	ds_load_2addr_b32 v[162:163], v161 offset1:1
	v_add_nc_u32_e32 v161, 0x1c04, v97
	ds_load_2addr_b32 v[164:165], v161 offset1:1
	v_add_nc_u32_e32 v161, 0x1c14, v97
	s_wait_dscnt 0x1
	v_dual_lshlrev_b32 v170, 8, v163 :: v_dual_lshlrev_b32 v179, 16, v162
	s_wait_dscnt 0x0
	v_lshlrev_b32_e32 v176, 8, v165
	v_dot4_i32_iu8 v90, v167, v147, v90 neg_lo:[1,1,0]
	ds_load_2addr_b32 v[166:167], v161 offset1:1
	v_add_nc_u32_e32 v161, 0x1c00, v97
	v_dual_lshlrev_b32 v171, 16, v164 :: v_dual_lshlrev_b32 v172, 8, v164
	v_dot4_i32_iu8 v90, v168, v84, v90 neg_lo:[1,1,0]
	v_perm_b32 v164, v164, v164, 0xc0c0003
	v_lshlrev_b32_e32 v175, 16, v165
	v_add_nc_u32_e32 v97, 32, v97
	s_delay_alu instid0(VALU_DEP_4) | instskip(NEXT) | instid1(VALU_DEP_1)
	v_cvt_f32_i32_e32 v90, v90
	v_fma_mix_f32 v90, v169, v90, v169 op_sel:[0,0,1] op_sel_hi:[1,0,1]
	ds_load_2addr_b32 v[168:169], v161 offset1:7
	v_lshlrev_b32_e32 v161, 16, v163
	v_perm_b32 v163, v163, v163, 0xc0c0003
	v_lshlrev_b32_e32 v180, 8, v162
	v_perm_b32 v162, v162, v162, 0xc0c0003
	s_wait_dscnt 0x1
	v_lshlrev_b32_e32 v173, 16, v166
	v_perm_b32 v161, v170, v161, 0x7030c0c
	v_dual_lshlrev_b32 v174, 8, v166 :: v_dual_lshlrev_b32 v177, 16, v167
	v_lshlrev_b32_e32 v178, 8, v167
	s_delay_alu instid0(VALU_DEP_3) | instskip(SKIP_1) | instid1(VALU_DEP_2)
	v_or_b32_e32 v161, v161, v163
	v_perm_b32 v163, v172, v171, 0x7030c0c
	v_dot4_i32_iu8 v95, v161, v95, 0 neg_lo:[1,1,0]
	s_delay_alu instid0(VALU_DEP_2) | instskip(SKIP_3) | instid1(VALU_DEP_3)
	v_or_b32_e32 v163, v163, v164
	v_perm_b32 v164, v166, v166, 0xc0c0003
	s_wait_dscnt 0x0
	v_dual_lshlrev_b32 v182, 8, v169 :: v_dual_lshlrev_b32 v181, 16, v169
	v_dot4_i32_iu8 v95, v163, v155, v95 neg_lo:[1,1,0]
	v_perm_b32 v155, v174, v173, 0x7030c0c
	s_delay_alu instid0(VALU_DEP_1) | instskip(SKIP_1) | instid1(VALU_DEP_2)
	v_or_b32_e32 v155, v155, v164
	v_perm_b32 v164, v165, v165, 0xc0c0003
	v_dot4_i32_iu8 v95, v155, v156, v95 neg_lo:[1,1,0]
	v_perm_b32 v156, v176, v175, 0x7030c0c
	s_delay_alu instid0(VALU_DEP_1) | instskip(SKIP_1) | instid1(VALU_DEP_2)
	v_or_b32_e32 v156, v156, v164
	v_perm_b32 v164, v167, v167, 0xc0c0003
	v_dot4_i32_iu8 v95, v156, v157, v95 neg_lo:[1,1,0]
	v_perm_b32 v157, v178, v177, 0x7030c0c
	s_delay_alu instid0(VALU_DEP_1) | instskip(NEXT) | instid1(VALU_DEP_1)
	v_or_b32_e32 v157, v157, v164
	v_dot4_i32_iu8 v95, v157, v158, v95 neg_lo:[1,1,0]
	v_perm_b32 v158, v180, v179, 0x7030c0c
	s_delay_alu instid0(VALU_DEP_1) | instskip(SKIP_1) | instid1(VALU_DEP_2)
	v_or_b32_e32 v158, v158, v162
	v_perm_b32 v162, v169, v169, 0xc0c0003
	v_dot4_i32_iu8 v95, v158, v159, v95 neg_lo:[1,1,0]
	v_perm_b32 v159, v182, v181, 0x7030c0c
	s_delay_alu instid0(VALU_DEP_1) | instskip(NEXT) | instid1(VALU_DEP_1)
	v_or_b32_e32 v159, v159, v162
	v_dot4_i32_iu8 v95, v159, v160, v95 neg_lo:[1,1,0]
	s_delay_alu instid0(VALU_DEP_1) | instskip(NEXT) | instid1(VALU_DEP_1)
	v_dot4_i32_iu8 v80, v80, v168, v95 neg_lo:[1,1,0]
	v_cvt_f32_i32_e32 v80, v80
	s_delay_alu instid0(VALU_DEP_1) | instskip(SKIP_1) | instid1(VALU_DEP_2)
	v_fma_mix_f32 v95, v91, v80, v91 op_sel:[0,0,1] op_sel_hi:[1,0,1]
	v_dot4_i32_iu8 v80, v161, v148, 0 neg_lo:[1,1,0]
	v_pk_add_f32 v[28:29], v[28:29], v[94:95]
	s_delay_alu instid0(VALU_DEP_2) | instskip(NEXT) | instid1(VALU_DEP_1)
	v_dot4_i32_iu8 v80, v163, v149, v80 neg_lo:[1,1,0]
	v_dot4_i32_iu8 v80, v155, v150, v80 neg_lo:[1,1,0]
	s_delay_alu instid0(VALU_DEP_1) | instskip(NEXT) | instid1(VALU_DEP_1)
	v_dot4_i32_iu8 v80, v156, v151, v80 neg_lo:[1,1,0]
	v_dot4_i32_iu8 v80, v157, v152, v80 neg_lo:[1,1,0]
	s_delay_alu instid0(VALU_DEP_1) | instskip(NEXT) | instid1(VALU_DEP_1)
	v_dot4_i32_iu8 v80, v158, v153, v80 neg_lo:[1,1,0]
	v_dot4_i32_iu8 v80, v159, v154, v80 neg_lo:[1,1,0]
	s_delay_alu instid0(VALU_DEP_1) | instskip(SKIP_1) | instid1(VALU_DEP_2)
	v_dot4_i32_iu8 v80, v168, v82, v80 neg_lo:[1,1,0]
	v_pk_mul_f16 v82, v93, v89
	v_cvt_f32_i32_e32 v80, v80
	s_delay_alu instid0(VALU_DEP_1) | instskip(SKIP_2) | instid1(VALU_DEP_3)
	v_fma_mix_f32 v93, v82, v80, v82 op_sel:[0,0,1] op_sel_hi:[1,0,1]
	v_dot4_i32_iu8 v80, v161, v141, 0 neg_lo:[1,1,0]
	v_pk_mul_f16 v82, v136, v89
	v_pk_add_f32 v[30:31], v[30:31], v[92:93]
	s_delay_alu instid0(VALU_DEP_3) | instskip(NEXT) | instid1(VALU_DEP_1)
	v_dot4_i32_iu8 v80, v163, v142, v80 neg_lo:[1,1,0]
	v_dot4_i32_iu8 v80, v155, v143, v80 neg_lo:[1,1,0]
	s_delay_alu instid0(VALU_DEP_1) | instskip(NEXT) | instid1(VALU_DEP_1)
	v_dot4_i32_iu8 v80, v156, v144, v80 neg_lo:[1,1,0]
	v_dot4_i32_iu8 v80, v157, v145, v80 neg_lo:[1,1,0]
	s_delay_alu instid0(VALU_DEP_1) | instskip(NEXT) | instid1(VALU_DEP_1)
	v_dot4_i32_iu8 v80, v158, v146, v80 neg_lo:[1,1,0]
	v_dot4_i32_iu8 v80, v159, v147, v80 neg_lo:[1,1,0]
	s_delay_alu instid0(VALU_DEP_1) | instskip(NEXT) | instid1(VALU_DEP_1)
	v_dot4_i32_iu8 v80, v168, v84, v80 neg_lo:[1,1,0]
	v_cvt_f32_i32_e32 v80, v80
	s_delay_alu instid0(VALU_DEP_1) | instskip(SKIP_2) | instid1(VALU_DEP_3)
	v_fma_mix_f32 v91, v82, v80, v82 op_sel:[0,0,1] op_sel_hi:[1,0,1]
	v_dot4_i32_iu8 v80, v161, v81, 0 neg_lo:[1,1,0]
	v_pk_mul_f16 v81, v137, v89
	v_pk_add_f32 v[34:35], v[34:35], v[90:91]
	s_delay_alu instid0(VALU_DEP_3) | instskip(NEXT) | instid1(VALU_DEP_1)
	v_dot4_i32_iu8 v80, v163, v83, v80 neg_lo:[1,1,0]
	v_dot4_i32_iu8 v80, v155, v85, v80 neg_lo:[1,1,0]
	s_delay_alu instid0(VALU_DEP_1) | instskip(NEXT) | instid1(VALU_DEP_1)
	v_dot4_i32_iu8 v80, v156, v87, v80 neg_lo:[1,1,0]
	v_dot4_i32_iu8 v80, v157, v138, v80 neg_lo:[1,1,0]
	s_delay_alu instid0(VALU_DEP_1) | instskip(NEXT) | instid1(VALU_DEP_1)
	;; [unrolled: 3-line block ×3, first 2 shown]
	v_dot4_i32_iu8 v80, v168, v86, v80 neg_lo:[1,1,0]
	v_cvt_f32_i32_e32 v80, v80
	s_delay_alu instid0(VALU_DEP_1) | instskip(NEXT) | instid1(VALU_DEP_1)
	v_fma_mix_f32 v89, v81, v80, v81 op_sel:[0,0,1] op_sel_hi:[1,0,1]
	v_pk_add_f32 v[42:43], v[42:43], v[88:89]
	s_cbranch_scc1 .LBB143_11
; %bb.12:                               ;   in Loop: Header=BB143_6 Depth=1
	s_barrier_signal -1
	s_barrier_wait -1
	s_branch .LBB143_5
.LBB143_13:
	v_cvt_f16_f32_e32 v56, v60
	v_cvt_f16_f32_e32 v49, v68
	;; [unrolled: 1-line block ×32, first 2 shown]
	v_dual_mov_b32 v9, v1 :: v_dual_mov_b32 v28, v3
.LBB143_14:
	s_wait_xcnt 0x0
	s_mov_b32 s0, exec_lo
	v_cmpx_gt_u32_e64 s4, v7
	s_cbranch_execz .LBB143_65
; %bb.15:
	v_mul_lo_u32 v29, v7, s6
	v_add_nc_u32_e32 v0, s14, v28
	s_delay_alu instid0(VALU_DEP_1)
	v_cmp_gt_u32_e32 vcc_lo, s6, v0
	s_and_saveexec_b32 s0, vcc_lo
	s_cbranch_execz .LBB143_17
; %bb.16:
	s_delay_alu instid0(VALU_DEP_3)
	v_add_nc_u32_e32 v1, v0, v29
	s_wait_kmcnt 0x0
	global_store_b16 v1, v56, s[8:9] scale_offset
.LBB143_17:
	s_wait_xcnt 0x0
	s_or_b32 exec_lo, exec_lo, s0
	v_add_nc_u32_e32 v1, 32, v0
	s_delay_alu instid0(VALU_DEP_1)
	v_cmp_gt_u32_e64 s0, s6, v1
	s_and_saveexec_b32 s1, s0
	s_cbranch_execz .LBB143_19
; %bb.18:
	v_add_nc_u32_e32 v3, v1, v29
	s_wait_kmcnt 0x0
	global_store_b16 v3, v49, s[8:9] scale_offset
.LBB143_19:
	s_wait_xcnt 0x0
	s_or_b32 exec_lo, exec_lo, s1
	v_add_nc_u32_e32 v3, 64, v0
	s_delay_alu instid0(VALU_DEP_1)
	v_cmp_gt_u32_e64 s1, s6, v3
	s_and_saveexec_b32 s2, s1
	s_cbranch_execz .LBB143_21
; %bb.20:
	v_add_nc_u32_e32 v7, v3, v29
	s_wait_kmcnt 0x0
	global_store_b16 v7, v48, s[8:9] scale_offset
.LBB143_21:
	;; [unrolled: 12-line block ×3, first 2 shown]
	s_wait_xcnt 0x0
	s_or_b32 exec_lo, exec_lo, s3
	v_add3_u32 v28, v9, s7, 8
	s_delay_alu instid0(VALU_DEP_1)
	v_cmp_gt_u32_e64 s3, s4, v28
	s_and_b32 exec_lo, exec_lo, s3
	s_cbranch_execz .LBB143_65
; %bb.24:
	v_mul_lo_u32 v28, v28, s6
	s_and_saveexec_b32 s3, vcc_lo
	s_cbranch_execnz .LBB143_66
; %bb.25:
	s_or_b32 exec_lo, exec_lo, s3
	s_and_saveexec_b32 s3, s0
	s_cbranch_execnz .LBB143_67
.LBB143_26:
	s_or_b32 exec_lo, exec_lo, s3
	s_and_saveexec_b32 s3, s1
	s_cbranch_execnz .LBB143_68
.LBB143_27:
	s_or_b32 exec_lo, exec_lo, s3
	s_and_saveexec_b32 s3, s2
	s_cbranch_execz .LBB143_29
.LBB143_28:
	v_add_nc_u32_e32 v28, v28, v7
	s_wait_kmcnt 0x0
	global_store_b16 v28, v32, s[8:9] scale_offset
.LBB143_29:
	s_wait_xcnt 0x0
	s_or_b32 exec_lo, exec_lo, s3
	v_add3_u32 v28, v9, s7, 16
	s_delay_alu instid0(VALU_DEP_1)
	v_cmp_gt_u32_e64 s3, s4, v28
	s_and_b32 exec_lo, exec_lo, s3
	s_cbranch_execz .LBB143_65
; %bb.30:
	v_mul_lo_u32 v28, v28, s6
	s_and_saveexec_b32 s3, vcc_lo
	s_cbranch_execnz .LBB143_69
; %bb.31:
	s_or_b32 exec_lo, exec_lo, s3
	s_and_saveexec_b32 s3, s0
	s_cbranch_execnz .LBB143_70
.LBB143_32:
	s_or_b32 exec_lo, exec_lo, s3
	s_and_saveexec_b32 s3, s1
	s_cbranch_execnz .LBB143_71
.LBB143_33:
	s_or_b32 exec_lo, exec_lo, s3
	s_and_saveexec_b32 s3, s2
	s_cbranch_execz .LBB143_35
.LBB143_34:
	v_add_nc_u32_e32 v26, v28, v7
	s_wait_kmcnt 0x0
	global_store_b16 v26, v24, s[8:9] scale_offset
.LBB143_35:
	s_wait_xcnt 0x0
	s_or_b32 exec_lo, exec_lo, s3
	v_add3_u32 v24, v9, s7, 24
	s_delay_alu instid0(VALU_DEP_1)
	v_cmp_gt_u32_e64 s3, s4, v24
	s_and_b32 exec_lo, exec_lo, s3
	s_cbranch_execz .LBB143_65
; %bb.36:
	v_mul_lo_u32 v24, v24, s6
	s_and_saveexec_b32 s3, vcc_lo
	s_cbranch_execnz .LBB143_72
; %bb.37:
	s_or_b32 exec_lo, exec_lo, s3
	s_and_saveexec_b32 s3, s0
	s_cbranch_execnz .LBB143_73
.LBB143_38:
	s_or_b32 exec_lo, exec_lo, s3
	s_and_saveexec_b32 s3, s1
	s_cbranch_execnz .LBB143_74
.LBB143_39:
	s_or_b32 exec_lo, exec_lo, s3
	s_and_saveexec_b32 s3, s2
	s_cbranch_execz .LBB143_41
.LBB143_40:
	v_add_nc_u32_e32 v22, v24, v7
	s_wait_kmcnt 0x0
	global_store_b16 v22, v20, s[8:9] scale_offset
.LBB143_41:
	s_wait_xcnt 0x0
	s_or_b32 exec_lo, exec_lo, s3
	v_add3_u32 v20, v9, s7, 32
	s_delay_alu instid0(VALU_DEP_1)
	v_cmp_gt_u32_e64 s3, s4, v20
	s_and_b32 exec_lo, exec_lo, s3
	s_cbranch_execz .LBB143_65
; %bb.42:
	v_mul_lo_u32 v20, v20, s6
	s_and_saveexec_b32 s3, vcc_lo
	s_cbranch_execnz .LBB143_75
; %bb.43:
	s_or_b32 exec_lo, exec_lo, s3
	s_and_saveexec_b32 s3, s0
	s_cbranch_execnz .LBB143_76
.LBB143_44:
	s_or_b32 exec_lo, exec_lo, s3
	s_and_saveexec_b32 s3, s1
	s_cbranch_execnz .LBB143_77
.LBB143_45:
	s_or_b32 exec_lo, exec_lo, s3
	s_and_saveexec_b32 s3, s2
	s_cbranch_execz .LBB143_47
.LBB143_46:
	v_add_nc_u32_e32 v18, v20, v7
	s_wait_kmcnt 0x0
	global_store_b16 v18, v16, s[8:9] scale_offset
.LBB143_47:
	s_wait_xcnt 0x0
	s_or_b32 exec_lo, exec_lo, s3
	v_add3_u32 v16, v9, s7, 40
	s_delay_alu instid0(VALU_DEP_1)
	v_cmp_gt_u32_e64 s3, s4, v16
	s_and_b32 exec_lo, exec_lo, s3
	s_cbranch_execz .LBB143_65
; %bb.48:
	v_mul_lo_u32 v16, v16, s6
	s_and_saveexec_b32 s3, vcc_lo
	s_cbranch_execnz .LBB143_78
; %bb.49:
	s_or_b32 exec_lo, exec_lo, s3
	s_and_saveexec_b32 s3, s0
	s_cbranch_execnz .LBB143_79
.LBB143_50:
	s_or_b32 exec_lo, exec_lo, s3
	s_and_saveexec_b32 s3, s1
	s_cbranch_execnz .LBB143_80
.LBB143_51:
	s_or_b32 exec_lo, exec_lo, s3
	s_and_saveexec_b32 s3, s2
	s_cbranch_execz .LBB143_53
.LBB143_52:
	v_add_nc_u32_e32 v14, v16, v7
	s_wait_kmcnt 0x0
	global_store_b16 v14, v12, s[8:9] scale_offset
.LBB143_53:
	s_wait_xcnt 0x0
	s_or_b32 exec_lo, exec_lo, s3
	v_add3_u32 v12, v9, s7, 48
	s_delay_alu instid0(VALU_DEP_1)
	v_cmp_gt_u32_e64 s3, s4, v12
	s_and_b32 exec_lo, exec_lo, s3
	s_cbranch_execz .LBB143_65
; %bb.54:
	v_mul_lo_u32 v12, v12, s6
	s_and_saveexec_b32 s3, vcc_lo
	s_cbranch_execnz .LBB143_81
; %bb.55:
	s_or_b32 exec_lo, exec_lo, s3
	s_and_saveexec_b32 s3, s0
	s_cbranch_execnz .LBB143_82
.LBB143_56:
	s_or_b32 exec_lo, exec_lo, s3
	s_and_saveexec_b32 s3, s1
	s_cbranch_execnz .LBB143_83
.LBB143_57:
	s_or_b32 exec_lo, exec_lo, s3
	s_and_saveexec_b32 s3, s2
	s_cbranch_execz .LBB143_59
.LBB143_58:
	v_add_nc_u32_e32 v10, v12, v7
	s_wait_kmcnt 0x0
	global_store_b16 v10, v6, s[8:9] scale_offset
.LBB143_59:
	s_wait_xcnt 0x0
	s_or_b32 exec_lo, exec_lo, s3
	v_add3_u32 v6, v9, s7, 56
	s_delay_alu instid0(VALU_DEP_1)
	v_cmp_gt_u32_e64 s3, s4, v6
	s_and_b32 exec_lo, exec_lo, s3
	s_cbranch_execz .LBB143_65
; %bb.60:
	v_mul_lo_u32 v6, v6, s6
	s_and_saveexec_b32 s3, vcc_lo
	s_cbranch_execnz .LBB143_84
; %bb.61:
	s_or_b32 exec_lo, exec_lo, s3
	s_and_saveexec_b32 s3, s0
	s_cbranch_execnz .LBB143_85
.LBB143_62:
	s_or_b32 exec_lo, exec_lo, s3
	s_and_saveexec_b32 s0, s1
	s_cbranch_execnz .LBB143_86
.LBB143_63:
	s_or_b32 exec_lo, exec_lo, s0
	s_delay_alu instid0(SALU_CYCLE_1)
	s_and_b32 exec_lo, exec_lo, s2
	s_cbranch_execz .LBB143_65
.LBB143_64:
	v_add_nc_u32_e32 v0, v6, v7
	s_wait_kmcnt 0x0
	global_store_b16 v0, v2, s[8:9] scale_offset
.LBB143_65:
	s_sendmsg sendmsg(MSG_DEALLOC_VGPRS)
	s_endpgm
.LBB143_66:
	s_delay_alu instid0(VALU_DEP_1)
	v_add_nc_u32_e32 v29, v28, v0
	s_wait_kmcnt 0x0
	global_store_b16 v29, v41, s[8:9] scale_offset
	s_wait_xcnt 0x0
	s_or_b32 exec_lo, exec_lo, s3
	s_and_saveexec_b32 s3, s0
	s_cbranch_execz .LBB143_26
.LBB143_67:
	s_delay_alu instid0(VALU_DEP_1)
	v_add_nc_u32_e32 v29, v28, v1
	s_wait_kmcnt 0x0
	global_store_b16 v29, v39, s[8:9] scale_offset
	s_wait_xcnt 0x0
	s_or_b32 exec_lo, exec_lo, s3
	s_and_saveexec_b32 s3, s1
	s_cbranch_execz .LBB143_27
.LBB143_68:
	s_delay_alu instid0(VALU_DEP_1)
	v_add_nc_u32_e32 v29, v28, v3
	s_wait_kmcnt 0x0
	global_store_b16 v29, v38, s[8:9] scale_offset
	s_wait_xcnt 0x0
	s_or_b32 exec_lo, exec_lo, s3
	s_and_saveexec_b32 s3, s2
	s_cbranch_execnz .LBB143_28
	s_branch .LBB143_29
.LBB143_69:
	s_delay_alu instid0(VALU_DEP_1)
	v_add_nc_u32_e32 v29, v28, v0
	s_wait_kmcnt 0x0
	global_store_b16 v29, v33, s[8:9] scale_offset
	s_wait_xcnt 0x0
	s_or_b32 exec_lo, exec_lo, s3
	s_and_saveexec_b32 s3, s0
	s_cbranch_execz .LBB143_32
.LBB143_70:
	s_delay_alu instid0(VALU_DEP_1)
	v_add_nc_u32_e32 v29, v28, v1
	s_wait_kmcnt 0x0
	global_store_b16 v29, v27, s[8:9] scale_offset
	s_wait_xcnt 0x0
	s_or_b32 exec_lo, exec_lo, s3
	s_and_saveexec_b32 s3, s1
	s_cbranch_execz .LBB143_33
.LBB143_71:
	s_delay_alu instid0(VALU_DEP_1)
	v_add_nc_u32_e32 v27, v28, v3
	s_wait_kmcnt 0x0
	global_store_b16 v27, v26, s[8:9] scale_offset
	s_wait_xcnt 0x0
	s_or_b32 exec_lo, exec_lo, s3
	s_and_saveexec_b32 s3, s2
	s_cbranch_execnz .LBB143_34
	s_branch .LBB143_35
.LBB143_72:
	s_delay_alu instid0(VALU_DEP_1)
	v_add_nc_u32_e32 v26, v24, v0
	s_wait_kmcnt 0x0
	global_store_b16 v26, v25, s[8:9] scale_offset
	s_wait_xcnt 0x0
	s_or_b32 exec_lo, exec_lo, s3
	s_and_saveexec_b32 s3, s0
	s_cbranch_execz .LBB143_38
.LBB143_73:
	s_delay_alu instid0(VALU_DEP_1)
	v_add_nc_u32_e32 v25, v24, v1
	s_wait_kmcnt 0x0
	global_store_b16 v25, v23, s[8:9] scale_offset
	s_wait_xcnt 0x0
	s_or_b32 exec_lo, exec_lo, s3
	s_and_saveexec_b32 s3, s1
	s_cbranch_execz .LBB143_39
.LBB143_74:
	s_delay_alu instid0(VALU_DEP_1)
	v_add_nc_u32_e32 v23, v24, v3
	s_wait_kmcnt 0x0
	global_store_b16 v23, v22, s[8:9] scale_offset
	s_wait_xcnt 0x0
	s_or_b32 exec_lo, exec_lo, s3
	s_and_saveexec_b32 s3, s2
	s_cbranch_execnz .LBB143_40
	s_branch .LBB143_41
.LBB143_75:
	s_delay_alu instid0(VALU_DEP_1)
	v_add_nc_u32_e32 v22, v20, v0
	s_wait_kmcnt 0x0
	global_store_b16 v22, v21, s[8:9] scale_offset
	s_wait_xcnt 0x0
	s_or_b32 exec_lo, exec_lo, s3
	s_and_saveexec_b32 s3, s0
	s_cbranch_execz .LBB143_44
.LBB143_76:
	s_delay_alu instid0(VALU_DEP_1)
	v_add_nc_u32_e32 v21, v20, v1
	s_wait_kmcnt 0x0
	global_store_b16 v21, v19, s[8:9] scale_offset
	s_wait_xcnt 0x0
	s_or_b32 exec_lo, exec_lo, s3
	s_and_saveexec_b32 s3, s1
	s_cbranch_execz .LBB143_45
.LBB143_77:
	s_delay_alu instid0(VALU_DEP_1)
	v_add_nc_u32_e32 v19, v20, v3
	s_wait_kmcnt 0x0
	global_store_b16 v19, v18, s[8:9] scale_offset
	s_wait_xcnt 0x0
	s_or_b32 exec_lo, exec_lo, s3
	s_and_saveexec_b32 s3, s2
	s_cbranch_execnz .LBB143_46
	s_branch .LBB143_47
.LBB143_78:
	s_delay_alu instid0(VALU_DEP_1)
	v_add_nc_u32_e32 v18, v16, v0
	s_wait_kmcnt 0x0
	global_store_b16 v18, v17, s[8:9] scale_offset
	s_wait_xcnt 0x0
	s_or_b32 exec_lo, exec_lo, s3
	s_and_saveexec_b32 s3, s0
	s_cbranch_execz .LBB143_50
.LBB143_79:
	s_delay_alu instid0(VALU_DEP_1)
	v_add_nc_u32_e32 v17, v16, v1
	s_wait_kmcnt 0x0
	global_store_b16 v17, v15, s[8:9] scale_offset
	s_wait_xcnt 0x0
	s_or_b32 exec_lo, exec_lo, s3
	s_and_saveexec_b32 s3, s1
	s_cbranch_execz .LBB143_51
.LBB143_80:
	s_delay_alu instid0(VALU_DEP_1)
	v_add_nc_u32_e32 v15, v16, v3
	s_wait_kmcnt 0x0
	global_store_b16 v15, v14, s[8:9] scale_offset
	s_wait_xcnt 0x0
	s_or_b32 exec_lo, exec_lo, s3
	s_and_saveexec_b32 s3, s2
	s_cbranch_execnz .LBB143_52
	s_branch .LBB143_53
.LBB143_81:
	s_delay_alu instid0(VALU_DEP_1)
	v_add_nc_u32_e32 v14, v12, v0
	s_wait_kmcnt 0x0
	global_store_b16 v14, v13, s[8:9] scale_offset
	s_wait_xcnt 0x0
	s_or_b32 exec_lo, exec_lo, s3
	s_and_saveexec_b32 s3, s0
	s_cbranch_execz .LBB143_56
.LBB143_82:
	s_delay_alu instid0(VALU_DEP_1)
	v_add_nc_u32_e32 v13, v12, v1
	s_wait_kmcnt 0x0
	global_store_b16 v13, v11, s[8:9] scale_offset
	s_wait_xcnt 0x0
	s_or_b32 exec_lo, exec_lo, s3
	s_and_saveexec_b32 s3, s1
	s_cbranch_execz .LBB143_57
.LBB143_83:
	s_delay_alu instid0(VALU_DEP_1)
	v_add_nc_u32_e32 v11, v12, v3
	s_wait_kmcnt 0x0
	global_store_b16 v11, v10, s[8:9] scale_offset
	s_wait_xcnt 0x0
	s_or_b32 exec_lo, exec_lo, s3
	s_and_saveexec_b32 s3, s2
	s_cbranch_execnz .LBB143_58
	s_branch .LBB143_59
.LBB143_84:
	s_delay_alu instid0(VALU_DEP_1)
	v_add_nc_u32_e32 v0, v6, v0
	s_wait_kmcnt 0x0
	global_store_b16 v0, v8, s[8:9] scale_offset
	s_wait_xcnt 0x0
	s_or_b32 exec_lo, exec_lo, s3
	s_and_saveexec_b32 s3, s0
	s_cbranch_execz .LBB143_62
.LBB143_85:
	s_delay_alu instid0(VALU_DEP_1)
	v_add_nc_u32_e32 v0, v6, v1
	s_wait_kmcnt 0x0
	global_store_b16 v0, v5, s[8:9] scale_offset
	s_wait_xcnt 0x0
	s_or_b32 exec_lo, exec_lo, s3
	s_and_saveexec_b32 s0, s1
	s_cbranch_execz .LBB143_63
.LBB143_86:
	s_delay_alu instid0(VALU_DEP_1) | instskip(SKIP_4) | instid1(SALU_CYCLE_1)
	v_add_nc_u32_e32 v0, v6, v3
	s_wait_kmcnt 0x0
	global_store_b16 v0, v4, s[8:9] scale_offset
	s_wait_xcnt 0x0
	s_or_b32 exec_lo, exec_lo, s0
	s_and_b32 exec_lo, exec_lo, s2
	s_cbranch_execnz .LBB143_64
	s_branch .LBB143_65
	.section	.rodata,"a",@progbits
	.p2align	6, 0x0
	.amdhsa_kernel _ZL12mul_mat_q5_1IN3c104HalfELb0EEvPKvS3_PT_iiiii
		.amdhsa_group_segment_fixed_size 46720
		.amdhsa_private_segment_fixed_size 0
		.amdhsa_kernarg_size 44
		.amdhsa_user_sgpr_count 2
		.amdhsa_user_sgpr_dispatch_ptr 0
		.amdhsa_user_sgpr_queue_ptr 0
		.amdhsa_user_sgpr_kernarg_segment_ptr 1
		.amdhsa_user_sgpr_dispatch_id 0
		.amdhsa_user_sgpr_kernarg_preload_length 0
		.amdhsa_user_sgpr_kernarg_preload_offset 0
		.amdhsa_user_sgpr_private_segment_size 0
		.amdhsa_wavefront_size32 1
		.amdhsa_uses_dynamic_stack 0
		.amdhsa_enable_private_segment 0
		.amdhsa_system_sgpr_workgroup_id_x 1
		.amdhsa_system_sgpr_workgroup_id_y 1
		.amdhsa_system_sgpr_workgroup_id_z 0
		.amdhsa_system_sgpr_workgroup_info 0
		.amdhsa_system_vgpr_workitem_id 1
		.amdhsa_next_free_vgpr 187
		.amdhsa_next_free_sgpr 20
		.amdhsa_named_barrier_count 0
		.amdhsa_reserve_vcc 1
		.amdhsa_float_round_mode_32 0
		.amdhsa_float_round_mode_16_64 0
		.amdhsa_float_denorm_mode_32 3
		.amdhsa_float_denorm_mode_16_64 3
		.amdhsa_fp16_overflow 0
		.amdhsa_memory_ordered 1
		.amdhsa_forward_progress 1
		.amdhsa_inst_pref_size 189
		.amdhsa_round_robin_scheduling 0
		.amdhsa_exception_fp_ieee_invalid_op 0
		.amdhsa_exception_fp_denorm_src 0
		.amdhsa_exception_fp_ieee_div_zero 0
		.amdhsa_exception_fp_ieee_overflow 0
		.amdhsa_exception_fp_ieee_underflow 0
		.amdhsa_exception_fp_ieee_inexact 0
		.amdhsa_exception_int_div_zero 0
	.end_amdhsa_kernel
	.section	.text._ZL12mul_mat_q5_1IN3c104HalfELb0EEvPKvS3_PT_iiiii,"axG",@progbits,_ZL12mul_mat_q5_1IN3c104HalfELb0EEvPKvS3_PT_iiiii,comdat
.Lfunc_end143:
	.size	_ZL12mul_mat_q5_1IN3c104HalfELb0EEvPKvS3_PT_iiiii, .Lfunc_end143-_ZL12mul_mat_q5_1IN3c104HalfELb0EEvPKvS3_PT_iiiii
                                        ; -- End function
	.set _ZL12mul_mat_q5_1IN3c104HalfELb0EEvPKvS3_PT_iiiii.num_vgpr, 187
	.set _ZL12mul_mat_q5_1IN3c104HalfELb0EEvPKvS3_PT_iiiii.num_agpr, 0
	.set _ZL12mul_mat_q5_1IN3c104HalfELb0EEvPKvS3_PT_iiiii.numbered_sgpr, 20
	.set _ZL12mul_mat_q5_1IN3c104HalfELb0EEvPKvS3_PT_iiiii.num_named_barrier, 0
	.set _ZL12mul_mat_q5_1IN3c104HalfELb0EEvPKvS3_PT_iiiii.private_seg_size, 0
	.set _ZL12mul_mat_q5_1IN3c104HalfELb0EEvPKvS3_PT_iiiii.uses_vcc, 1
	.set _ZL12mul_mat_q5_1IN3c104HalfELb0EEvPKvS3_PT_iiiii.uses_flat_scratch, 0
	.set _ZL12mul_mat_q5_1IN3c104HalfELb0EEvPKvS3_PT_iiiii.has_dyn_sized_stack, 0
	.set _ZL12mul_mat_q5_1IN3c104HalfELb0EEvPKvS3_PT_iiiii.has_recursion, 0
	.set _ZL12mul_mat_q5_1IN3c104HalfELb0EEvPKvS3_PT_iiiii.has_indirect_call, 0
	.section	.AMDGPU.csdata,"",@progbits
; Kernel info:
; codeLenInByte = 24088
; TotalNumSgprs: 22
; NumVgprs: 187
; ScratchSize: 0
; MemoryBound: 0
; FloatMode: 240
; IeeeMode: 1
; LDSByteSize: 46720 bytes/workgroup (compile time only)
; SGPRBlocks: 0
; VGPRBlocks: 11
; NumSGPRsForWavesPerEU: 22
; NumVGPRsForWavesPerEU: 187
; NamedBarCnt: 0
; Occupancy: 5
; WaveLimiterHint : 0
; COMPUTE_PGM_RSRC2:SCRATCH_EN: 0
; COMPUTE_PGM_RSRC2:USER_SGPR: 2
; COMPUTE_PGM_RSRC2:TRAP_HANDLER: 0
; COMPUTE_PGM_RSRC2:TGID_X_EN: 1
; COMPUTE_PGM_RSRC2:TGID_Y_EN: 1
; COMPUTE_PGM_RSRC2:TGID_Z_EN: 0
; COMPUTE_PGM_RSRC2:TIDIG_COMP_CNT: 1
	.section	.text._ZL12mul_mat_q5_1IN3c104HalfELb1EEvPKvS3_PT_iiiii,"axG",@progbits,_ZL12mul_mat_q5_1IN3c104HalfELb1EEvPKvS3_PT_iiiii,comdat
	.globl	_ZL12mul_mat_q5_1IN3c104HalfELb1EEvPKvS3_PT_iiiii ; -- Begin function _ZL12mul_mat_q5_1IN3c104HalfELb1EEvPKvS3_PT_iiiii
	.p2align	8
	.type	_ZL12mul_mat_q5_1IN3c104HalfELb1EEvPKvS3_PT_iiiii,@function
_ZL12mul_mat_q5_1IN3c104HalfELb1EEvPKvS3_PT_iiiii: ; @_ZL12mul_mat_q5_1IN3c104HalfELb1EEvPKvS3_PT_iiiii
; %bb.0:
	s_clause 0x1
	s_load_b128 s[4:7], s[0:1], 0x18
	s_load_b32 s12, s[0:1], 0x28
	s_bfe_u32 s2, ttmp6, 0x4000c
	s_bfe_u32 s8, ttmp6, 0x40010
	s_add_co_i32 s2, s2, 1
	s_and_b32 s3, ttmp6, 15
	s_mul_i32 s2, ttmp9, s2
	s_add_co_i32 s8, s8, 1
	s_add_co_i32 s3, s3, s2
	s_mul_i32 s2, ttmp7, s8
	s_bfe_u32 s8, ttmp6, 0x40004
	s_getreg_b32 s9, hwreg(HW_REG_IB_STS2, 6, 4)
	s_add_co_i32 s8, s8, s2
	s_cmp_eq_u32 s9, 0
	v_bfe_u32 v3, v0, 10, 10
	s_cselect_b32 s8, ttmp7, s8
	v_and_b32_e32 v7, 0x3ff, v0
	s_cselect_b32 s2, ttmp9, s3
	s_lshl_b32 s13, s8, 6
	s_mov_b32 s3, 0
	s_wait_kmcnt 0x0
	s_cmp_gt_i32 s4, 31
	s_cbranch_scc1 .LBB144_2
; %bb.1:
	v_bfe_u32 v8, v0, 10, 10
	v_and_b32_e32 v9, 0x3ff, v0
	s_delay_alu instid0(VALU_DEP_2)
	v_add_nc_u32_e32 v11, s13, v8
	s_branch .LBB144_3
.LBB144_2:
	s_mov_b32 s3, -1
                                        ; implicit-def: $vgpr8
                                        ; implicit-def: $vgpr9
                                        ; implicit-def: $vgpr11
.LBB144_3:
	s_load_b64 s[8:9], s[0:1], 0x10
	v_dual_mov_b32 v1, 0 :: v_dual_mov_b32 v5, 0
	v_dual_mov_b32 v14, 0 :: v_dual_mov_b32 v18, 0
	;; [unrolled: 1-line block ×16, first 2 shown]
	s_and_not1_b32 vcc_lo, exec_lo, s3
	s_lshl_b32 s14, s2, 7
	s_cbranch_vccnz .LBB144_14
; %bb.4:
	v_dual_mov_b32 v5, 0 :: v_dual_bitop2_b32 v1, 3, v0 bitop3:0x40
	s_not_b32 s16, s14
	v_add_nc_u32_e32 v22, 16, v3
	s_add_co_i32 s5, s5, s16
	s_delay_alu instid0(VALU_DEP_2) | instskip(SKIP_1) | instid1(VALU_DEP_3)
	v_dual_lshlrev_b32 v4, 2, v1 :: v_dual_add_nc_u32 v11, s13, v3
	v_bfe_u32 v19, v0, 3, 7
	v_min_i32_e32 v26, s5, v22
	s_ashr_i32 s10, s4, 31
	s_ashr_i32 s11, s7, 31
	v_dual_add_nc_u32 v6, 8, v11 :: v_dual_add_nc_u32 v23, 16, v11
	s_lshr_b32 s10, s10, 27
	v_dual_add_nc_u32 v28, 40, v11 :: v_dual_add_nc_u32 v27, 32, v11
	s_delay_alu instid0(VALU_DEP_2)
	v_cvt_f64_u32_e32 v[20:21], v6
	v_add_nc_u32_e32 v6, 24, v11
	v_cvt_f64_u32_e32 v[24:25], v23
	v_add_nc_u32_e32 v23, 48, v11
	v_lshl_add_u32 v32, v3, 2, v19
	s_add_co_i32 s4, s4, s10
	v_cvt_f64_u32_e32 v[30:31], v6
	v_add_nc_u32_e32 v6, 56, v11
	s_lshr_b32 s11, s11, 27
	s_ashr_i32 s15, s4, 5
	s_add_co_i32 s4, s7, s11
	s_add_co_i32 s7, s6, -1
	v_cvt_f64_u32_e32 v[12:13], v11
	v_cvt_f64_i32_e32 v[8:9], s7
	v_cvt_f64_u32_e32 v[34:35], v27
	v_cvt_f64_u32_e32 v[36:37], v28
	;; [unrolled: 1-line block ×3, first 2 shown]
	v_min_i32_e32 v47, s5, v32
	v_cvt_f64_u32_e32 v[40:41], v6
	v_dual_add_nc_u32 v28, 24, v3 :: v_dual_add_nc_u32 v44, 32, v3
	v_dual_add_nc_u32 v46, 40, v3 :: v_dual_add_nc_u32 v53, 48, v3
	s_delay_alu instid0(VALU_DEP_2) | instskip(NEXT) | instid1(VALU_DEP_3)
	v_dual_ashrrev_i32 v6, 31, v47 :: v_dual_min_i32 v48, s5, v28
	v_min_i32_e32 v50, s5, v44
	s_delay_alu instid0(VALU_DEP_3) | instskip(NEXT) | instid1(VALU_DEP_3)
	v_min_i32_e32 v52, s5, v46
	v_dual_lshrrev_b32 v42, 30, v6 :: v_dual_min_i32 v54, s5, v53
	v_add_min_i32_e64 v57, v32, 64, s5
	v_add_min_i32_e64 v64, 0x60, v32, s5
	;; [unrolled: 1-line block ×3, first 2 shown]
	v_dual_add_nc_u32 v58, 56, v3 :: v_dual_bitop2_b32 v6, 7, v0 bitop3:0x40
	s_delay_alu instid0(VALU_DEP_4) | instskip(NEXT) | instid1(VALU_DEP_4)
	v_dual_add_nc_u32 v45, v47, v42 :: v_dual_ashrrev_i32 v51, 31, v57
	v_ashrrev_i32_e32 v32, 31, v64
	v_bfe_u32 v2, v0, 2, 8
	v_ashrrev_i32_e32 v49, 31, v56
	s_ashr_i32 s4, s4, 5
	v_dual_add_nc_u32 v14, 8, v3 :: v_dual_min_i32 v16, s5, v3
	v_lshrrev_b32_e32 v32, 30, v32
	s_wait_xcnt 0x0
	s_load_b128 s[0:3], s[0:1], 0x0
	s_delay_alu instid0(VALU_DEP_2)
	v_dual_lshlrev_b32 v10, 3, v7 :: v_dual_min_i32 v18, s5, v14
	v_min_num_f64_e32 v[12:13], v[12:13], v[8:9]
	v_min_num_f64_e32 v[20:21], v[20:21], v[8:9]
	;; [unrolled: 1-line block ×8, first 2 shown]
	v_lshl_add_u32 v37, v3, 3, v2
	v_dual_lshrrev_b32 v36, 30, v49 :: v_dual_lshrrev_b32 v40, 30, v51
	v_and_b32_e32 v41, -4, v45
	v_add_min_i32_e64 v62, v3, 64, s5
	s_delay_alu instid0(VALU_DEP_3) | instskip(NEXT) | instid1(VALU_DEP_4)
	v_dual_add_nc_u32 v36, v56, v36 :: v_dual_bitop2_b32 v60, 63, v37 bitop3:0x40
	v_add_nc_u32_e32 v37, v57, v40
	v_dual_add_nc_u32 v32, v64, v32 :: v_dual_lshlrev_b32 v40, 2, v6
	v_add_min_i32_e64 v65, 0x58, v3, s5
	v_add_min_i32_e64 v66, 0x60, v3, s5
	s_delay_alu instid0(VALU_DEP_4)
	v_and_b32_e32 v37, -4, v37
	v_add_min_i32_e64 v67, 0x68, v3, s5
	v_add3_u32 v41, v41, v40, 0xa200
	v_add_min_i32_e64 v68, 0x70, v3, s5
	v_add_min_i32_e64 v70, 0x78, v3, s5
	v_add3_u32 v49, v37, v40, 0xa200
	v_mad_u32 v15, 0x104, v16, v10
	v_mad_u32 v17, 0x104, v18, v10
	;; [unrolled: 1-line block ×6, first 2 shown]
	v_cvt_i32_f64_e32 v12, v[12:13]
	v_cvt_i32_f64_e32 v13, v[20:21]
	v_mad_u32 v51, 0x104, v54, v10
	v_mad_u32 v59, 0x104, v62, v10
	;; [unrolled: 1-line block ×5, first 2 shown]
	v_cvt_i32_f64_e32 v8, v[8:9]
	v_dual_lshlrev_b32 v9, 5, v7 :: v_dual_bitop2_b32 v45, s13, v60 bitop3:0x54
	v_and_b32_e32 v36, -4, v36
	v_and_b32_e32 v32, -4, v32
	v_mad_u32 v101, 0x104, v68, v10
	v_mad_u32 v102, 0x104, v70, v10
	v_min_i32_e32 v45, s7, v45
	v_add3_u32 v36, v36, v40, 0xa200
	v_add3_u32 v32, v32, v40, 0xa200
	v_min_i32_e32 v40, s5, v58
	v_cvt_i32_f64_e32 v20, v[24:25]
	v_cvt_i32_f64_e32 v24, v[34:35]
	v_add_nc_u32_e32 v34, 64, v7
	v_cvt_i32_f64_e32 v25, v[42:43]
	v_lshlrev_b32_e32 v42, 5, v56
	v_mad_u32 v37, v45, s4, v1
	v_lshlrev_b32_e32 v1, 5, v47
	v_cvt_i32_f64_e32 v21, v[30:31]
	v_add_nc_u32_e32 v35, 32, v7
	v_cvt_i32_f64_e32 v30, v[38:39]
	v_add_nc_u32_e32 v31, 0x60, v7
	v_and_b32_e32 v34, 0x1fc, v34
	v_and_b32_e32 v39, 0xfc, v0
	;; [unrolled: 1-line block ×3, first 2 shown]
	v_lshlrev_b32_e32 v43, 5, v57
	v_and_b32_e32 v31, 0x1fc, v31
	v_add_nc_u32_e32 v34, v9, v34
	v_mad_u32 v55, 0x104, v40, v10
	v_add_nc_u32_e32 v38, v9, v38
	v_add_nc_u32_e32 v45, v49, v43
	v_add_nc_u32_e32 v31, v9, v31
	v_add_nc_u32_e32 v9, v9, v39
	v_dual_add_nc_u32 v39, v41, v1 :: v_dual_lshlrev_b32 v1, 5, v64
	v_add_nc_u32_e32 v41, v36, v42
	v_add_min_i32_e64 v42, 0x48, v3, s5
	v_add_min_i32_e64 v43, 0x50, v3, s5
	v_mul_lo_u32 v104, s4, v12
	v_dual_add_nc_u32 v49, v32, v1 :: v_dual_bitop2_b32 v32, 31, v0 bitop3:0x40
	s_delay_alu instid0(VALU_DEP_4) | instskip(NEXT) | instid1(VALU_DEP_4)
	v_mad_u32 v61, 0x104, v42, v10
	v_mad_u32 v63, 0x104, v43, v10
	v_dual_lshlrev_b32 v12, 7, v14 :: v_dual_lshlrev_b32 v14, 7, v28
	s_delay_alu instid0(VALU_DEP_4)
	v_lshl_or_b32 v10, v32, 2, 0x8200
	v_lshlrev_b32_e32 v1, 2, v7
	v_lshl_or_b32 v36, v60, 4, v4
	v_mul_lo_u32 v105, s4, v13
	v_mul_lo_u32 v106, s4, v20
	v_dual_lshlrev_b32 v13, 7, v22 :: v_dual_lshlrev_b32 v20, 7, v44
	v_mul_lo_u32 v107, s4, v21
	v_dual_lshlrev_b32 v21, 7, v46 :: v_dual_lshlrev_b32 v22, 7, v53
	v_mul_lo_u32 v111, s4, v8
	v_dual_lshlrev_b32 v8, 7, v58 :: v_dual_lshrrev_b32 v112, 3, v35
	v_dual_add_nc_u32 v113, v10, v12 :: v_dual_add_nc_u32 v114, v10, v13
	v_dual_add_nc_u32 v115, v10, v14 :: v_dual_lshlrev_b32 v12, 7, v3
	v_dual_mov_b32 v1, v5 :: v_dual_bitop2_b32 v0, 28, v1 bitop3:0x40
	v_add_nc_u32_e32 v103, 0xb280, v36
	v_mul_lo_u32 v108, s4, v24
	v_mul_lo_u32 v109, s4, v25
	v_mul_lo_u32 v110, s4, v30
	v_dual_add_nc_u32 v116, v10, v20 :: v_dual_add_nc_u32 v117, v10, v21
	v_dual_add_nc_u32 v118, v10, v22 :: v_dual_add_nc_u32 v119, v10, v8
	v_add_nc_u32_e32 v120, v10, v12
	v_add_nc_u32_e32 v126, 0xa600, v38
	;; [unrolled: 1-line block ×3, first 2 shown]
	v_mul_lo_u32 v10, v16, s15
	v_mul_lo_u32 v14, v18, s15
	;; [unrolled: 1-line block ×20, first 2 shown]
	s_mul_i32 s10, s15, s14
	s_wait_kmcnt 0x0
	v_add_nc_u64_e32 v[0:1], s[2:3], v[0:1]
	v_add_nc_u32_e32 v121, 0x8200, v12
	v_add_nc_u32_e32 v122, 0xae00, v31
	;; [unrolled: 1-line block ×7, first 2 shown]
	s_movk_i32 s4, 0x80
	v_mov_b64_e32 v[64:65], 0
	v_mov_b64_e32 v[46:47], 0
	;; [unrolled: 1-line block ×16, first 2 shown]
	s_ashr_i32 s11, s10, 31
	v_mul_u32_u24_e32 v130, 0x104, v7
	v_lshl_add_u32 v131, v3, 4, 0xb280
	v_mad_u32_u24 v132, 0x104, v7, s4
	s_mul_u64 s[10:11], s[10:11], 24
	s_mov_b32 s5, 0
	s_add_nc_u64 s[0:1], s[0:1], s[10:11]
	s_add_co_i32 s7, s15, 3
	s_mov_b32 s4, s5
	s_branch .LBB144_6
.LBB144_5:                              ;   in Loop: Header=BB144_6 Depth=1
	s_add_co_i32 s4, s4, 8
	s_add_co_i32 s7, s7, -8
	s_cmp_ge_i32 s4, s15
	s_cbranch_scc1 .LBB144_13
.LBB144_6:                              ; =>This Loop Header: Depth=1
                                        ;     Child Loop BB144_8 Depth 2
                                        ;     Child Loop BB144_11 Depth 2
	s_mul_u64 s[10:11], s[4:5], 24
	s_cmp_gt_u32 s7, 3
	s_add_nc_u64 s[10:11], s[0:1], s[10:11]
	s_wait_xcnt 0x0
	v_mad_nc_u64_u32 v[80:81], v2, 24, s[10:11]
	s_delay_alu instid0(VALU_DEP_1) | instskip(NEXT) | instid1(VALU_DEP_1)
	v_mad_nc_i64_i32 v[82:83], v10, 24, v[80:81]
	v_add_nc_u64_e32 v[84:85], v[82:83], v[4:5]
	s_clause 0x1
	global_load_b32 v86, v[84:85], off offset:8
	global_load_b32 v87, v[82:83], off offset:4
	s_wait_loadcnt 0x0
	s_wait_xcnt 0x0
	v_dual_lshrrev_b32 v85, 4, v86 :: v_dual_ashrrev_i32 v82, v4, v87
	v_and_b32_e32 v86, 0xf0f0f0f, v86
	s_delay_alu instid0(VALU_DEP_2) | instskip(NEXT) | instid1(VALU_DEP_3)
	v_and_b32_e32 v85, 0xf0f0f0f, v85
	v_dual_lshlrev_b32 v83, 4, v82 :: v_dual_lshlrev_b32 v84, 11, v82
	v_dual_lshrrev_b32 v87, 12, v82 :: v_dual_lshrrev_b32 v88, 5, v82
	s_delay_alu instid0(VALU_DEP_2) | instskip(NEXT) | instid1(VALU_DEP_3)
	v_and_b32_e32 v83, 16, v83
	v_and_b32_e32 v84, 0x1000, v84
	s_delay_alu instid0(VALU_DEP_3) | instskip(NEXT) | instid1(VALU_DEP_3)
	v_and_b32_e32 v87, 16, v87
	v_or_b32_e32 v83, v83, v86
	v_and_b32_e32 v86, 0x1000, v88
	s_delay_alu instid0(VALU_DEP_2) | instskip(NEXT) | instid1(VALU_DEP_4)
	v_dual_lshlrev_b32 v84, 2, v82 :: v_dual_bitop2_b32 v83, v83, v84 bitop3:0x54
	v_or_b32_e32 v85, v87, v85
	s_delay_alu instid0(VALU_DEP_2) | instskip(NEXT) | instid1(VALU_DEP_2)
	v_and_b32_e32 v84, 0x100000, v84
	v_or_b32_e32 v85, v85, v86
	s_delay_alu instid0(VALU_DEP_1) | instskip(NEXT) | instid1(VALU_DEP_1)
	v_dual_lshlrev_b32 v86, 18, v82 :: v_dual_bitop2_b32 v84, v85, v84 bitop3:0x54
	v_and_b32_e32 v86, 0x100000, v86
	v_dual_lshlrev_b32 v85, 9, v82 :: v_dual_lshlrev_b32 v82, 25, v82
	s_delay_alu instid0(VALU_DEP_2) | instskip(NEXT) | instid1(VALU_DEP_2)
	v_or_b32_e32 v83, v83, v86
	v_and_b32_e32 v85, 0x10000000, v85
	s_delay_alu instid0(VALU_DEP_3) | instskip(NEXT) | instid1(VALU_DEP_2)
	v_and_b32_e32 v82, 0x10000000, v82
	v_or_b32_e32 v84, v84, v85
	s_delay_alu instid0(VALU_DEP_2) | instskip(SKIP_2) | instid1(VALU_DEP_1)
	v_or_b32_e32 v82, v83, v82
	ds_store_2addr_b32 v15, v82, v84 offset1:1
	v_mad_nc_i64_i32 v[82:83], v14, 24, v[80:81]
	v_add_nc_u64_e32 v[84:85], v[82:83], v[4:5]
	s_clause 0x1
	global_load_b32 v86, v[84:85], off offset:8
	global_load_b32 v87, v[82:83], off offset:4
	s_wait_loadcnt 0x0
	s_wait_xcnt 0x0
	v_dual_lshrrev_b32 v85, 4, v86 :: v_dual_ashrrev_i32 v82, v4, v87
	v_and_b32_e32 v86, 0xf0f0f0f, v86
	s_delay_alu instid0(VALU_DEP_2) | instskip(NEXT) | instid1(VALU_DEP_3)
	v_and_b32_e32 v85, 0xf0f0f0f, v85
	v_dual_lshlrev_b32 v83, 4, v82 :: v_dual_lshlrev_b32 v84, 11, v82
	v_dual_lshrrev_b32 v88, 5, v82 :: v_dual_lshrrev_b32 v87, 12, v82
	s_delay_alu instid0(VALU_DEP_2) | instskip(NEXT) | instid1(VALU_DEP_3)
	v_and_b32_e32 v83, 16, v83
	v_and_b32_e32 v84, 0x1000, v84
	s_delay_alu instid0(VALU_DEP_3) | instskip(NEXT) | instid1(VALU_DEP_3)
	v_and_b32_e32 v87, 16, v87
	v_or_b32_e32 v83, v83, v86
	v_and_b32_e32 v86, 0x1000, v88
	s_delay_alu instid0(VALU_DEP_2) | instskip(NEXT) | instid1(VALU_DEP_4)
	v_dual_lshlrev_b32 v84, 2, v82 :: v_dual_bitop2_b32 v83, v83, v84 bitop3:0x54
	v_or_b32_e32 v85, v87, v85
	s_delay_alu instid0(VALU_DEP_2) | instskip(NEXT) | instid1(VALU_DEP_2)
	v_and_b32_e32 v84, 0x100000, v84
	v_or_b32_e32 v85, v85, v86
	s_delay_alu instid0(VALU_DEP_1) | instskip(NEXT) | instid1(VALU_DEP_1)
	v_dual_lshlrev_b32 v86, 18, v82 :: v_dual_bitop2_b32 v84, v85, v84 bitop3:0x54
	v_and_b32_e32 v86, 0x100000, v86
	v_dual_lshlrev_b32 v85, 9, v82 :: v_dual_lshlrev_b32 v82, 25, v82
	s_delay_alu instid0(VALU_DEP_2) | instskip(NEXT) | instid1(VALU_DEP_2)
	v_or_b32_e32 v83, v83, v86
	v_and_b32_e32 v85, 0x10000000, v85
	s_delay_alu instid0(VALU_DEP_3) | instskip(NEXT) | instid1(VALU_DEP_2)
	v_and_b32_e32 v82, 0x10000000, v82
	v_or_b32_e32 v84, v84, v85
	s_delay_alu instid0(VALU_DEP_2) | instskip(SKIP_2) | instid1(VALU_DEP_1)
	v_or_b32_e32 v82, v83, v82
	ds_store_2addr_b32 v17, v82, v84 offset1:1
	;; [unrolled: 39-line block ×13, first 2 shown]
	v_mad_nc_i64_i32 v[82:83], v50, 24, v[80:81]
	v_add_nc_u64_e32 v[84:85], v[82:83], v[4:5]
	s_clause 0x1
	global_load_b32 v86, v[84:85], off offset:8
	global_load_b32 v87, v[82:83], off offset:4
	s_wait_loadcnt 0x0
	s_wait_xcnt 0x0
	v_dual_lshrrev_b32 v85, 4, v86 :: v_dual_ashrrev_i32 v82, v4, v87
	v_and_b32_e32 v86, 0xf0f0f0f, v86
	s_delay_alu instid0(VALU_DEP_2) | instskip(NEXT) | instid1(VALU_DEP_3)
	v_and_b32_e32 v85, 0xf0f0f0f, v85
	v_dual_lshlrev_b32 v83, 4, v82 :: v_dual_lshlrev_b32 v84, 11, v82
	v_dual_lshrrev_b32 v88, 5, v82 :: v_dual_lshrrev_b32 v87, 12, v82
	s_delay_alu instid0(VALU_DEP_2) | instskip(NEXT) | instid1(VALU_DEP_3)
	v_and_b32_e32 v83, 16, v83
	v_and_b32_e32 v84, 0x1000, v84
	s_delay_alu instid0(VALU_DEP_3) | instskip(NEXT) | instid1(VALU_DEP_3)
	v_and_b32_e32 v87, 16, v87
	v_or_b32_e32 v83, v83, v86
	v_and_b32_e32 v86, 0x1000, v88
	s_delay_alu instid0(VALU_DEP_2) | instskip(NEXT) | instid1(VALU_DEP_4)
	v_dual_lshlrev_b32 v84, 2, v82 :: v_dual_bitop2_b32 v83, v83, v84 bitop3:0x54
	v_or_b32_e32 v85, v87, v85
	s_delay_alu instid0(VALU_DEP_2) | instskip(NEXT) | instid1(VALU_DEP_2)
	v_and_b32_e32 v84, 0x100000, v84
	v_or_b32_e32 v85, v85, v86
	s_delay_alu instid0(VALU_DEP_1) | instskip(NEXT) | instid1(VALU_DEP_1)
	v_dual_lshlrev_b32 v86, 18, v82 :: v_dual_bitop2_b32 v84, v85, v84 bitop3:0x54
	v_and_b32_e32 v86, 0x100000, v86
	v_dual_lshlrev_b32 v85, 9, v82 :: v_dual_lshlrev_b32 v82, 25, v82
	s_delay_alu instid0(VALU_DEP_2) | instskip(NEXT) | instid1(VALU_DEP_2)
	v_or_b32_e32 v83, v83, v86
	v_and_b32_e32 v85, 0x10000000, v85
	s_delay_alu instid0(VALU_DEP_3) | instskip(NEXT) | instid1(VALU_DEP_2)
	v_and_b32_e32 v82, 0x10000000, v82
	v_or_b32_e32 v84, v84, v85
	s_delay_alu instid0(VALU_DEP_2) | instskip(SKIP_3) | instid1(VALU_DEP_2)
	v_or_b32_e32 v82, v83, v82
	ds_store_2addr_b32 v100, v82, v84 offset1:1
	v_mad_nc_i64_i32 v[82:83], v54, 24, v[80:81]
	v_mad_nc_i64_i32 v[80:81], v58, 24, v[80:81]
	v_add_nc_u64_e32 v[84:85], v[82:83], v[4:5]
	s_clause 0x1
	global_load_b32 v86, v[84:85], off offset:8
	global_load_b32 v87, v[82:83], off offset:4
	s_wait_loadcnt 0x0
	s_wait_xcnt 0x0
	v_dual_lshrrev_b32 v85, 4, v86 :: v_dual_ashrrev_i32 v82, v4, v87
	v_and_b32_e32 v86, 0xf0f0f0f, v86
	s_delay_alu instid0(VALU_DEP_2) | instskip(NEXT) | instid1(VALU_DEP_3)
	v_and_b32_e32 v85, 0xf0f0f0f, v85
	v_dual_lshlrev_b32 v83, 4, v82 :: v_dual_lshlrev_b32 v84, 11, v82
	v_dual_lshrrev_b32 v88, 5, v82 :: v_dual_lshrrev_b32 v87, 12, v82
	s_delay_alu instid0(VALU_DEP_2) | instskip(NEXT) | instid1(VALU_DEP_3)
	v_and_b32_e32 v83, 16, v83
	v_and_b32_e32 v84, 0x1000, v84
	s_delay_alu instid0(VALU_DEP_3) | instskip(NEXT) | instid1(VALU_DEP_3)
	v_and_b32_e32 v87, 16, v87
	v_or_b32_e32 v83, v83, v86
	v_and_b32_e32 v86, 0x1000, v88
	s_delay_alu instid0(VALU_DEP_2) | instskip(NEXT) | instid1(VALU_DEP_4)
	v_dual_lshlrev_b32 v84, 2, v82 :: v_dual_bitop2_b32 v83, v83, v84 bitop3:0x54
	v_or_b32_e32 v85, v87, v85
	s_delay_alu instid0(VALU_DEP_2) | instskip(NEXT) | instid1(VALU_DEP_2)
	v_and_b32_e32 v84, 0x100000, v84
	v_or_b32_e32 v85, v85, v86
	s_delay_alu instid0(VALU_DEP_1) | instskip(NEXT) | instid1(VALU_DEP_1)
	v_dual_lshlrev_b32 v86, 18, v82 :: v_dual_bitop2_b32 v84, v85, v84 bitop3:0x54
	v_and_b32_e32 v86, 0x100000, v86
	v_dual_lshlrev_b32 v85, 9, v82 :: v_dual_lshlrev_b32 v82, 25, v82
	s_delay_alu instid0(VALU_DEP_2) | instskip(NEXT) | instid1(VALU_DEP_2)
	v_or_b32_e32 v83, v83, v86
	v_and_b32_e32 v85, 0x10000000, v85
	s_delay_alu instid0(VALU_DEP_3) | instskip(NEXT) | instid1(VALU_DEP_2)
	v_and_b32_e32 v82, 0x10000000, v82
	v_or_b32_e32 v84, v84, v85
	s_delay_alu instid0(VALU_DEP_2)
	v_or_b32_e32 v82, v83, v82
	ds_store_2addr_b32 v101, v82, v84 offset1:1
	v_add_nc_u64_e32 v[82:83], v[80:81], v[4:5]
	s_clause 0x1
	global_load_b32 v84, v[82:83], off offset:8
	global_load_b32 v85, v[80:81], off offset:4
	s_wait_loadcnt 0x0
	s_wait_xcnt 0x0
	v_dual_lshrrev_b32 v83, 4, v84 :: v_dual_ashrrev_i32 v80, v4, v85
	v_and_b32_e32 v84, 0xf0f0f0f, v84
	s_delay_alu instid0(VALU_DEP_2) | instskip(NEXT) | instid1(VALU_DEP_3)
	v_and_b32_e32 v83, 0xf0f0f0f, v83
	v_dual_lshlrev_b32 v81, 4, v80 :: v_dual_lshlrev_b32 v82, 11, v80
	v_dual_lshrrev_b32 v85, 12, v80 :: v_dual_lshrrev_b32 v86, 5, v80
	s_delay_alu instid0(VALU_DEP_2) | instskip(NEXT) | instid1(VALU_DEP_3)
	v_and_b32_e32 v81, 16, v81
	v_and_b32_e32 v82, 0x1000, v82
	s_delay_alu instid0(VALU_DEP_3) | instskip(NEXT) | instid1(VALU_DEP_3)
	v_and_b32_e32 v85, 16, v85
	v_or_b32_e32 v81, v81, v84
	v_and_b32_e32 v84, 0x1000, v86
	s_delay_alu instid0(VALU_DEP_3) | instskip(NEXT) | instid1(VALU_DEP_3)
	v_or_b32_e32 v83, v85, v83
	v_dual_lshlrev_b32 v82, 2, v80 :: v_dual_bitop2_b32 v81, v81, v82 bitop3:0x54
	s_delay_alu instid0(VALU_DEP_2) | instskip(SKIP_1) | instid1(VALU_DEP_3)
	v_or_b32_e32 v83, v83, v84
	v_lshlrev_b32_e32 v84, 18, v80
	v_and_b32_e32 v82, 0x100000, v82
	s_delay_alu instid0(VALU_DEP_2) | instskip(NEXT) | instid1(VALU_DEP_2)
	v_and_b32_e32 v84, 0x100000, v84
	v_dual_lshlrev_b32 v83, 9, v80 :: v_dual_bitop2_b32 v82, v83, v82 bitop3:0x54
	v_lshlrev_b32_e32 v80, 25, v80
	s_delay_alu instid0(VALU_DEP_3) | instskip(NEXT) | instid1(VALU_DEP_3)
	v_or_b32_e32 v81, v81, v84
	v_and_b32_e32 v83, 0x10000000, v83
	s_delay_alu instid0(VALU_DEP_3) | instskip(NEXT) | instid1(VALU_DEP_2)
	v_and_b32_e32 v80, 0x10000000, v80
	v_or_b32_e32 v82, v82, v83
	s_delay_alu instid0(VALU_DEP_2) | instskip(SKIP_2) | instid1(VALU_DEP_1)
	v_or_b32_e32 v80, v81, v80
	ds_store_2addr_b32 v102, v80, v82 offset1:1
	v_mad_nc_u64_u32 v[80:81], v6, 24, s[10:11]
	v_mad_nc_i64_i32 v[82:83], v60, 24, v[80:81]
	global_load_b32 v82, v[82:83], off
	s_wait_loadcnt 0x0
	ds_store_b32 v39, v82
	s_wait_xcnt 0x0
	v_mad_nc_i64_i32 v[82:83], v62, 24, v[80:81]
	global_load_b32 v82, v[82:83], off
	s_wait_loadcnt 0x0
	ds_store_b32 v41, v82
	s_wait_xcnt 0x0
	v_mad_nc_i64_i32 v[82:83], v68, 24, v[80:81]
	v_mad_nc_i64_i32 v[80:81], v70, 24, v[80:81]
	s_clause 0x1
	global_load_b32 v82, v[82:83], off
	global_load_b32 v80, v[80:81], off
	s_wait_loadcnt 0x1
	ds_store_b32 v45, v82
	s_wait_loadcnt 0x0
	ds_store_b32 v49, v80
	s_cbranch_scc0 .LBB144_5
; %bb.7:                                ;   in Loop: Header=BB144_6 Depth=1
	s_wait_xcnt 0x1
	v_dual_add_nc_u32 v133, s4, v37 :: v_dual_add_nc_u32 v82, s4, v19
	v_dual_mov_b32 v135, v130 :: v_dual_mov_b32 v138, v126
	v_dual_mov_b32 v140, v122 :: v_dual_mov_b32 v134, v121
	s_wait_xcnt 0x0
	s_delay_alu instid0(VALU_DEP_3) | instskip(SKIP_3) | instid1(VALU_DEP_3)
	v_add_nc_u32_e32 v80, v82, v104
	s_mov_b32 s10, -4
	v_dual_mov_b32 v136, v131 :: v_dual_mov_b32 v137, v128
	v_mov_b32_e32 v139, v124
	v_mad_nc_i64_i32 v[80:81], v80, 36, v[0:1]
	global_load_b32 v80, v[80:81], off offset:4
	s_wait_loadcnt 0x0
	ds_store_b32 v120, v80
	s_wait_xcnt 0x0
	v_add_nc_u32_e32 v80, v82, v105
	s_delay_alu instid0(VALU_DEP_1)
	v_mad_nc_i64_i32 v[80:81], v80, 36, v[0:1]
	global_load_b32 v80, v[80:81], off offset:4
	s_wait_loadcnt 0x0
	ds_store_b32 v113, v80
	s_wait_xcnt 0x0
	v_add_nc_u32_e32 v80, v82, v106
	s_delay_alu instid0(VALU_DEP_1)
	v_mad_nc_i64_i32 v[80:81], v80, 36, v[0:1]
	global_load_b32 v80, v[80:81], off offset:4
	s_wait_loadcnt 0x0
	ds_store_b32 v114, v80
	s_wait_xcnt 0x0
	v_add_nc_u32_e32 v80, v82, v107
	s_delay_alu instid0(VALU_DEP_1)
	v_mad_nc_i64_i32 v[80:81], v80, 36, v[0:1]
	global_load_b32 v80, v[80:81], off offset:4
	s_wait_loadcnt 0x0
	ds_store_b32 v115, v80
	s_wait_xcnt 0x0
	v_add_nc_u32_e32 v80, v82, v108
	s_delay_alu instid0(VALU_DEP_1)
	v_mad_nc_i64_i32 v[80:81], v80, 36, v[0:1]
	global_load_b32 v80, v[80:81], off offset:4
	s_wait_loadcnt 0x0
	ds_store_b32 v116, v80
	s_wait_xcnt 0x0
	v_add_nc_u32_e32 v80, v82, v109
	s_delay_alu instid0(VALU_DEP_1)
	v_mad_nc_i64_i32 v[80:81], v80, 36, v[0:1]
	global_load_b32 v80, v[80:81], off offset:4
	s_wait_loadcnt 0x0
	ds_store_b32 v117, v80
	s_wait_xcnt 0x0
	v_add_nc_u32_e32 v80, v82, v110
	s_delay_alu instid0(VALU_DEP_1)
	v_mad_nc_i64_i32 v[80:81], v80, 36, v[0:1]
	global_load_b32 v80, v[80:81], off offset:4
	s_wait_loadcnt 0x0
	ds_store_b32 v118, v80
	s_wait_xcnt 0x0
	v_add_nc_u32_e32 v80, v82, v111
	s_delay_alu instid0(VALU_DEP_1)
	v_mad_nc_i64_i32 v[80:81], v80, 36, v[0:1]
	global_load_b32 v80, v[80:81], off offset:4
	s_wait_loadcnt 0x0
	ds_store_b32 v119, v80
	s_wait_xcnt 0x0
	v_mad_nc_u64_u32 v[80:81], v133, 36, s[2:3]
	global_load_b32 v80, v[80:81], off
	s_wait_loadcnt 0x0
	ds_store_b32 v103, v80
	s_wait_dscnt 0x0
	s_barrier_signal -1
	s_barrier_wait -1
.LBB144_8:                              ;   Parent Loop BB144_6 Depth=1
                                        ; =>  This Inner Loop Header: Depth=2
	ds_load_2addr_b32 v[82:83], v134 offset0:3 offset1:4
	ds_load_2addr_b32 v[86:87], v134 offset0:1 offset1:2
	ds_load_2addr_b32 v[144:145], v134 offset0:5 offset1:6
	ds_load_2addr_b32 v[96:97], v134 offset1:7
	ds_load_2addr_b32 v[88:89], v136 offset1:32
	ds_load_b32 v141, v137
	ds_load_2addr_b32 v[84:85], v135 offset1:1
	ds_load_2addr_b32 v[90:91], v135 offset0:2 offset1:3
	ds_load_2addr_b32 v[92:93], v135 offset0:4 offset1:5
	;; [unrolled: 1-line block ×3, first 2 shown]
	v_add_nc_u32_e32 v150, 0x2098, v135
	s_add_co_i32 s10, s10, 4
	v_add_nc_u32_e32 v137, 4, v137
	s_cmp_lt_u32 s10, 12
	s_wait_dscnt 0x8
	v_dual_lshlrev_b32 v158, 16, v83 :: v_dual_lshlrev_b32 v159, 24, v86
	s_wait_dscnt 0x7
	v_perm_b32 v98, v144, v86, 0x7030c0c
	v_dual_lshlrev_b32 v160, 16, v86 :: v_dual_lshlrev_b32 v161, 24, v144
	s_wait_dscnt 0x3
	s_wait_xcnt 0x0
	v_perm_b32 v80, v96, v85, 0xc0c0703
	s_wait_dscnt 0x2
	v_perm_b32 v81, v91, v90, 0x7030c0c
	v_dual_lshlrev_b32 v170, 24, v97 :: v_dual_lshlrev_b32 v162, 16, v144
	v_lshlrev_b32_e32 v163, 16, v87
	v_perm_b32 v142, v84, v158, 0xc0c0503
	s_delay_alu instid0(VALU_DEP_4) | instskip(SKIP_3) | instid1(VALU_DEP_3)
	v_or_b32_e32 v80, v81, v80
	v_perm_b32 v81, v84, v83, 0xc0c0703
	v_dual_lshlrev_b32 v156, 8, v97 :: v_dual_lshlrev_b32 v157, 24, v83
	v_dual_lshlrev_b32 v99, 8, v83 :: v_dual_lshlrev_b32 v143, 8, v86
	v_or_b32_e32 v81, v98, v81
	v_perm_b32 v98, v91, v90, 0x5010c0c
	s_delay_alu instid0(VALU_DEP_4) | instskip(SKIP_1) | instid1(VALU_DEP_4)
	v_perm_b32 v146, v84, v157, 0xc0c0403
	v_dual_lshlrev_b32 v152, 8, v144 :: v_dual_lshlrev_b32 v153, 8, v87
	v_dot4_i32_iu8 v80, v81, v80, 0 neg_lo:[1,1,0]
	v_perm_b32 v81, v96, v85, 0xc0c0501
	v_perm_b32 v147, v84, v99, 0xc0c0603
	v_dual_lshlrev_b32 v154, 8, v145 :: v_dual_lshlrev_b32 v155, 8, v82
	v_dual_lshlrev_b32 v164, 24, v87 :: v_dual_lshlrev_b32 v165, 16, v145
	s_delay_alu instid0(VALU_DEP_4) | instskip(SKIP_1) | instid1(VALU_DEP_4)
	v_or_b32_e32 v81, v98, v81
	v_perm_b32 v98, v162, v160, 0x7030c0c
	v_perm_b32 v148, v156, v155, 0x7030c0c
	v_dual_lshlrev_b32 v166, 24, v145 :: v_dual_lshlrev_b32 v167, 16, v82
	v_dual_lshlrev_b32 v168, 24, v82 :: v_dual_lshlrev_b32 v169, 16, v97
	s_delay_alu instid0(VALU_DEP_4)
	v_or_b32_e32 v98, v98, v142
	v_perm_b32 v142, v91, v90, 0x4000c0c
	v_perm_b32 v157, v158, v157, 0xc0c0703
	;; [unrolled: 1-line block ×4, first 2 shown]
	v_dot4_i32_iu8 v81, v98, v81, 0 neg_lo:[1,1,0]
	v_perm_b32 v98, v96, v85, 0xc0c0400
	v_add_nc_u32_e32 v158, 0x6190, v135
	v_or_b32_e32 v99, v83, v157
	v_perm_b32 v157, v160, v159, 0xc0c0703
	s_delay_alu instid0(VALU_DEP_4) | instskip(SKIP_1) | instid1(VALU_DEP_3)
	v_or_b32_e32 v98, v142, v98
	v_perm_b32 v142, v161, v159, 0x7030c0c
	v_or_b32_e32 v157, v86, v157
	v_perm_b32 v86, v162, v161, 0xc0c0703
	s_delay_alu instid0(VALU_DEP_3) | instskip(SKIP_1) | instid1(VALU_DEP_2)
	v_or_b32_e32 v142, v142, v146
	v_perm_b32 v146, v91, v90, 0x6020c0c
	v_dot4_i32_iu8 v98, v142, v98, 0 neg_lo:[1,1,0]
	v_perm_b32 v142, v96, v85, 0xc0c0602
	s_delay_alu instid0(VALU_DEP_1) | instskip(SKIP_2) | instid1(VALU_DEP_2)
	v_or_b32_e32 v142, v146, v142
	v_perm_b32 v146, v152, v143, 0x7030c0c
	v_perm_b32 v143, v144, v152, 0x7030c0c
	v_or_b32_e32 v146, v146, v147
	s_wait_dscnt 0x0
	v_perm_b32 v147, v95, v94, 0x6020c0c
	s_delay_alu instid0(VALU_DEP_3) | instskip(SKIP_3) | instid1(VALU_DEP_1)
	v_or_b32_e32 v152, v143, v86
	v_perm_b32 v86, v163, v164, 0xc0c0703
	v_dot4_i32_iu8 v142, v146, v142, 0 neg_lo:[1,1,0]
	v_perm_b32 v146, v93, v92, 0xc0c0602
	v_or_b32_e32 v146, v147, v146
	v_perm_b32 v147, v154, v153, 0xc0c0703
	s_delay_alu instid0(VALU_DEP_1) | instskip(SKIP_1) | instid1(VALU_DEP_2)
	v_or_b32_e32 v147, v148, v147
	v_perm_b32 v148, v170, v168, 0x7030c0c
	v_dot4_i32_iu8 v142, v147, v146, v142 neg_lo:[1,1,0]
	v_perm_b32 v146, v93, v92, 0xc0c0400
	v_perm_b32 v147, v95, v94, 0x4000c0c
	s_delay_alu instid0(VALU_DEP_1) | instskip(SKIP_1) | instid1(VALU_DEP_1)
	v_or_b32_e32 v146, v147, v146
	v_perm_b32 v147, v166, v164, 0xc0c0703
	v_or_b32_e32 v147, v148, v147
	v_perm_b32 v148, v169, v167, 0x7030c0c
	s_delay_alu instid0(VALU_DEP_2) | instskip(SKIP_2) | instid1(VALU_DEP_1)
	v_dot4_i32_iu8 v98, v147, v146, v98 neg_lo:[1,1,0]
	v_perm_b32 v146, v93, v92, 0xc0c0501
	v_perm_b32 v147, v95, v94, 0x5010c0c
	v_or_b32_e32 v146, v147, v146
	v_perm_b32 v147, v165, v163, 0xc0c0703
	s_delay_alu instid0(VALU_DEP_1) | instskip(SKIP_2) | instid1(VALU_DEP_3)
	v_or_b32_e32 v147, v148, v147
	v_perm_b32 v148, v97, v82, 0x7030c0c
	v_perm_b32 v82, v82, v155, 0x7030c0c
	v_dot4_i32_iu8 v81, v147, v146, v81 neg_lo:[1,1,0]
	v_perm_b32 v146, v93, v92, 0xc0c0703
	v_perm_b32 v147, v95, v94, 0x7030c0c
	;; [unrolled: 1-line block ×3, first 2 shown]
	s_delay_alu instid0(VALU_DEP_2) | instskip(SKIP_2) | instid1(VALU_DEP_2)
	v_or_b32_e32 v146, v147, v146
	v_perm_b32 v147, v145, v87, 0xc0c0703
	v_perm_b32 v87, v87, v153, 0x7030c0c
	v_or_b32_e32 v147, v148, v147
	v_add_nc_u32_e32 v148, 0x2090, v135
	s_delay_alu instid0(VALU_DEP_3) | instskip(SKIP_4) | instid1(VALU_DEP_2)
	v_or_b32_e32 v153, v87, v86
	v_perm_b32 v86, v165, v166, 0xc0c0703
	v_perm_b32 v87, v145, v154, 0x7030c0c
	v_dot4_i32_iu8 v80, v147, v146, v80 neg_lo:[1,1,0]
	v_add_nc_u32_e32 v146, 0x2088, v135
	v_dual_add_nc_u32 v80, v81, v80 :: v_dual_bitop2_b32 v145, v87, v86 bitop3:0x54
	v_pk_mul_f16 v81, v88, v141
	v_add_nc_u32_e32 v87, 0x4108, v135
	s_delay_alu instid0(VALU_DEP_3) | instskip(NEXT) | instid1(VALU_DEP_1)
	v_add3_u32 v80, v98, v142, v80
	v_cvt_f32_i32_e32 v80, v80
	s_delay_alu instid0(VALU_DEP_1)
	v_fma_mix_f32 v98, v81, v80, v81 op_sel:[0,0,1] op_sel_hi:[1,0,1]
	v_add_nc_u32_e32 v80, 0x2080, v135
	ds_load_b32 v142, v138
	ds_load_2addr_b32 v[80:81], v80 offset1:1
	ds_load_2addr_b32 v[146:147], v146 offset1:1
	;; [unrolled: 1-line block ×4, first 2 shown]
	v_add_nc_u32_e32 v138, 4, v138
	s_wait_dscnt 0x3
	v_dot4_i32_iu8 v171, v96, v80, 0 neg_lo:[1,1,0]
	s_wait_dscnt 0x1
	v_perm_b32 v86, v149, v149, 0x7060100
	s_delay_alu instid0(VALU_DEP_2) | instskip(NEXT) | instid1(VALU_DEP_1)
	v_dot4_i32_iu8 v83, v99, v81, v171 neg_lo:[1,1,0]
	v_dot4_i32_iu8 v83, v157, v146, v83 neg_lo:[1,1,0]
	s_delay_alu instid0(VALU_DEP_1) | instskip(NEXT) | instid1(VALU_DEP_1)
	v_dot4_i32_iu8 v83, v152, v147, v83 neg_lo:[1,1,0]
	v_dot4_i32_iu8 v83, v153, v148, v83 neg_lo:[1,1,0]
	s_delay_alu instid0(VALU_DEP_1) | instskip(SKIP_1) | instid1(VALU_DEP_1)
	v_dot4_i32_iu8 v83, v145, v86, v83 neg_lo:[1,1,0]
	v_perm_b32 v86, v167, v168, 0xc0c0703
	v_or_b32_e32 v154, v82, v86
	v_perm_b32 v86, v97, v156, 0x7030c0c
	s_wait_dscnt 0x0
	s_delay_alu instid0(VALU_DEP_2) | instskip(SKIP_1) | instid1(VALU_DEP_1)
	v_dot4_i32_iu8 v82, v154, v150, v83 neg_lo:[1,1,0]
	v_perm_b32 v83, v169, v170, 0xc0c0703
	v_or_b32_e32 v155, v86, v83
	v_pk_mul_f16 v83, v88, v142
	s_delay_alu instid0(VALU_DEP_2) | instskip(NEXT) | instid1(VALU_DEP_1)
	v_dot4_i32_iu8 v82, v155, v151, v82 neg_lo:[1,1,0]
	v_cvt_f32_i32_e32 v82, v82
	s_delay_alu instid0(VALU_DEP_1)
	v_fma_mix_f32 v164, v83, v82, v83 op_sel:[0,0,1] op_sel_hi:[1,0,1]
	v_add_nc_u32_e32 v82, 0x4100, v135
	ds_load_b32 v143, v139
	ds_load_2addr_b32 v[82:83], v82 offset1:1
	ds_load_2addr_b32 v[166:167], v87 offset1:1
	v_add_nc_u32_e32 v87, 0x4110, v135
	v_add_nc_u32_e32 v139, 4, v139
	ds_load_2addr_b32 v[168:169], v87 offset1:1
	v_add_nc_u32_e32 v87, 0x4118, v135
	ds_load_2addr_b32 v[170:171], v87 offset1:1
	s_wait_dscnt 0x3
	v_dot4_i32_iu8 v86, v96, v82, 0 neg_lo:[1,1,0]
	s_delay_alu instid0(VALU_DEP_1) | instskip(SKIP_2) | instid1(VALU_DEP_2)
	v_dot4_i32_iu8 v86, v99, v83, v86 neg_lo:[1,1,0]
	s_wait_dscnt 0x1
	v_perm_b32 v87, v169, v169, 0x7060100
	v_dot4_i32_iu8 v86, v157, v166, v86 neg_lo:[1,1,0]
	s_delay_alu instid0(VALU_DEP_1) | instskip(NEXT) | instid1(VALU_DEP_1)
	v_dot4_i32_iu8 v86, v152, v167, v86 neg_lo:[1,1,0]
	v_dot4_i32_iu8 v86, v153, v168, v86 neg_lo:[1,1,0]
	s_delay_alu instid0(VALU_DEP_1) | instskip(SKIP_2) | instid1(VALU_DEP_2)
	v_dot4_i32_iu8 v86, v145, v87, v86 neg_lo:[1,1,0]
	v_pk_mul_f16 v87, v88, v143
	s_wait_dscnt 0x0
	v_dot4_i32_iu8 v86, v154, v170, v86 neg_lo:[1,1,0]
	s_delay_alu instid0(VALU_DEP_1) | instskip(NEXT) | instid1(VALU_DEP_1)
	v_dot4_i32_iu8 v86, v155, v171, v86 neg_lo:[1,1,0]
	v_cvt_f32_i32_e32 v86, v86
	s_delay_alu instid0(VALU_DEP_1)
	v_fma_mix_f32 v172, v87, v86, v87 op_sel:[0,0,1] op_sel_hi:[1,0,1]
	v_add_nc_u32_e32 v86, 0x6180, v135
	ds_load_b32 v144, v140
	ds_load_2addr_b32 v[86:87], v86 offset1:1
	ds_load_2addr_b32 v[174:175], v158 offset1:1
	v_add_nc_u32_e32 v158, 0x6198, v135
	v_add_nc_u32_e32 v140, 4, v140
	ds_load_2addr_b32 v[176:177], v158 offset1:1
	v_perm_b32 v158, v85, v85, 0x2010003
	s_wait_dscnt 0x3
	v_pk_mul_f16 v88, v88, v144
	s_wait_dscnt 0x2
	v_dot4_i32_iu8 v156, v96, v86, 0 neg_lo:[1,1,0]
	v_add_nc_u32_e32 v96, 0x6188, v135
	v_add_nc_u32_e32 v135, 32, v135
	s_delay_alu instid0(VALU_DEP_3) | instskip(SKIP_3) | instid1(VALU_DEP_1)
	v_dot4_i32_iu8 v99, v99, v87, v156 neg_lo:[1,1,0]
	ds_load_2addr_b32 v[96:97], v96 offset1:1
	s_wait_dscnt 0x0
	v_dot4_i32_iu8 v99, v157, v96, v99 neg_lo:[1,1,0]
	v_dot4_i32_iu8 v99, v152, v97, v99 neg_lo:[1,1,0]
	v_perm_b32 v152, v175, v175, 0x7060100
	s_delay_alu instid0(VALU_DEP_2) | instskip(NEXT) | instid1(VALU_DEP_1)
	v_dot4_i32_iu8 v99, v153, v174, v99 neg_lo:[1,1,0]
	v_dot4_i32_iu8 v99, v145, v152, v99 neg_lo:[1,1,0]
	s_delay_alu instid0(VALU_DEP_1) | instskip(NEXT) | instid1(VALU_DEP_1)
	v_dot4_i32_iu8 v99, v154, v176, v99 neg_lo:[1,1,0]
	v_dot4_i32_iu8 v99, v155, v177, v99 neg_lo:[1,1,0]
	s_delay_alu instid0(VALU_DEP_1) | instskip(NEXT) | instid1(VALU_DEP_1)
	v_cvt_f32_i32_e32 v99, v99
	v_fma_mix_f32 v88, v88, v99, v88 op_sel:[0,0,1] op_sel_hi:[1,0,1]
	v_add_nc_u32_e32 v99, 0x40c, v134
	ds_load_2addr_b32 v[152:153], v99 offset1:1
	v_add_nc_u32_e32 v99, 0x404, v134
	ds_load_2addr_b32 v[154:155], v99 offset1:1
	;; [unrolled: 2-line block ×4, first 2 shown]
	s_wait_dscnt 0x3
	v_dual_lshlrev_b32 v99, 16, v153 :: v_dual_lshlrev_b32 v145, 8, v153
	v_dual_lshlrev_b32 v181, 16, v152 :: v_dual_lshlrev_b32 v182, 8, v152
	s_wait_dscnt 0x2
	v_dual_lshlrev_b32 v159, 16, v154 :: v_dual_lshlrev_b32 v160, 8, v154
	s_delay_alu instid0(VALU_DEP_3) | instskip(SKIP_4) | instid1(VALU_DEP_3)
	v_perm_b32 v99, v145, v99, 0x7030c0c
	v_perm_b32 v145, v153, v153, 0xc0c0003
	;; [unrolled: 1-line block ×3, first 2 shown]
	s_wait_dscnt 0x1
	v_dual_lshlrev_b32 v163, 16, v155 :: v_dual_lshlrev_b32 v161, 16, v156
	v_dual_lshlrev_b32 v162, 8, v156 :: v_dual_bitop2_b32 v145, v99, v145 bitop3:0x54
	v_perm_b32 v99, v160, v159, 0x7030c0c
	v_lshlrev_b32_e32 v165, 8, v155
	v_perm_b32 v159, v90, v90, 0x2010003
	s_delay_alu instid0(VALU_DEP_4)
	v_perm_b32 v90, v162, v161, 0x7030c0c
	v_lshlrev_b32_e32 v173, 16, v157
	v_or_b32_e32 v185, v99, v153
	v_perm_b32 v99, v156, v156, 0xc0c0003
	v_lshlrev_b32_e32 v180, 8, v157
	v_perm_b32 v160, v91, v91, 0x2010003
	v_perm_b32 v91, v165, v163, 0x7030c0c
	v_perm_b32 v161, v92, v92, 0x2010003
	v_or_b32_e32 v90, v90, v99
	v_perm_b32 v99, v155, v155, 0xc0c0003
	v_perm_b32 v92, v157, v157, 0xc0c0003
	s_wait_dscnt 0x0
	v_dual_lshlrev_b32 v183, 16, v179 :: v_dual_lshlrev_b32 v184, 8, v179
	v_perm_b32 v162, v93, v93, 0x2010003
	v_or_b32_e32 v186, v91, v99
	v_perm_b32 v91, v180, v173, 0x7030c0c
	v_perm_b32 v93, v152, v152, 0xc0c0003
	v_dot4_i32_iu8 v85, v145, v158, 0 neg_lo:[1,1,0]
	v_perm_b32 v163, v94, v94, 0x2010003
	v_perm_b32 v152, v146, v146, 0x2010003
	v_or_b32_e32 v92, v91, v92
	v_perm_b32 v91, v182, v181, 0x7030c0c
	v_dot4_i32_iu8 v85, v185, v159, v85 neg_lo:[1,1,0]
	v_perm_b32 v153, v147, v147, 0x2010003
	v_perm_b32 v154, v148, v148, 0x2010003
	;; [unrolled: 1-line block ×3, first 2 shown]
	v_or_b32_e32 v180, v91, v93
	v_perm_b32 v91, v184, v183, 0x7030c0c
	v_perm_b32 v93, v179, v179, 0xc0c0003
	v_dot4_i32_iu8 v85, v90, v160, v85 neg_lo:[1,1,0]
	v_perm_b32 v156, v150, v150, 0x2010003
	v_perm_b32 v157, v151, v151, 0x2010003
	;; [unrolled: 1-line block ×3, first 2 shown]
	v_or_b32_e32 v94, v91, v93
	v_perm_b32 v93, v81, v81, 0x2010003
	v_dot4_i32_iu8 v85, v186, v161, v85 neg_lo:[1,1,0]
	v_pk_mul_f16 v91, v141, v89
	v_perm_b32 v147, v167, v167, 0x2010003
	v_perm_b32 v148, v168, v168, 0x2010003
	v_dot4_i32_iu8 v81, v145, v93, 0 neg_lo:[1,1,0]
	v_dot4_i32_iu8 v85, v92, v162, v85 neg_lo:[1,1,0]
	v_perm_b32 v149, v169, v169, 0x6010007
	v_perm_b32 v150, v170, v170, 0x2010003
	;; [unrolled: 1-line block ×3, first 2 shown]
	v_dot4_i32_iu8 v81, v185, v152, v81 neg_lo:[1,1,0]
	v_dot4_i32_iu8 v85, v180, v163, v85 neg_lo:[1,1,0]
	s_delay_alu instid0(VALU_DEP_2) | instskip(NEXT) | instid1(VALU_DEP_2)
	v_dot4_i32_iu8 v81, v90, v153, v81 neg_lo:[1,1,0]
	v_dot4_i32_iu8 v85, v94, v95, v85 neg_lo:[1,1,0]
	s_delay_alu instid0(VALU_DEP_2) | instskip(NEXT) | instid1(VALU_DEP_2)
	;; [unrolled: 3-line block ×3, first 2 shown]
	v_dot4_i32_iu8 v81, v92, v155, v81 neg_lo:[1,1,0]
	v_cvt_f32_i32_e32 v85, v85
	s_delay_alu instid0(VALU_DEP_2) | instskip(NEXT) | instid1(VALU_DEP_2)
	v_dot4_i32_iu8 v81, v180, v156, v81 neg_lo:[1,1,0]
	v_fma_mix_f32 v99, v91, v85, v91 op_sel:[0,0,1] op_sel_hi:[1,0,1]
	v_pk_mul_f16 v85, v142, v89
	v_perm_b32 v91, v83, v83, 0x2010003
	v_pk_mul_f16 v83, v143, v89
	v_dot4_i32_iu8 v81, v94, v157, v81 neg_lo:[1,1,0]
	v_pk_add_f32 v[64:65], v[64:65], v[98:99]
	v_perm_b32 v98, v175, v175, 0x6010007
	v_perm_b32 v99, v176, v176, 0x2010003
	v_pk_mul_f16 v89, v144, v89
	v_dot4_i32_iu8 v81, v178, v80, v81 neg_lo:[1,1,0]
	s_delay_alu instid0(VALU_DEP_1) | instskip(NEXT) | instid1(VALU_DEP_1)
	v_cvt_f32_i32_e32 v81, v81
	v_fma_mix_f32 v165, v85, v81, v85 op_sel:[0,0,1] op_sel_hi:[1,0,1]
	v_dot4_i32_iu8 v81, v145, v91, 0 neg_lo:[1,1,0]
	s_delay_alu instid0(VALU_DEP_2) | instskip(NEXT) | instid1(VALU_DEP_2)
	v_pk_add_f32 v[74:75], v[74:75], v[164:165]
	v_dot4_i32_iu8 v81, v185, v146, v81 neg_lo:[1,1,0]
	s_delay_alu instid0(VALU_DEP_1) | instskip(NEXT) | instid1(VALU_DEP_1)
	v_dot4_i32_iu8 v81, v90, v147, v81 neg_lo:[1,1,0]
	v_dot4_i32_iu8 v81, v186, v148, v81 neg_lo:[1,1,0]
	s_delay_alu instid0(VALU_DEP_1) | instskip(NEXT) | instid1(VALU_DEP_1)
	v_dot4_i32_iu8 v81, v92, v149, v81 neg_lo:[1,1,0]
	;; [unrolled: 3-line block ×3, first 2 shown]
	v_dot4_i32_iu8 v81, v178, v82, v81 neg_lo:[1,1,0]
	s_delay_alu instid0(VALU_DEP_1) | instskip(NEXT) | instid1(VALU_DEP_1)
	v_cvt_f32_i32_e32 v81, v81
	v_fma_mix_f32 v173, v83, v81, v83 op_sel:[0,0,1] op_sel_hi:[1,0,1]
	v_perm_b32 v81, v87, v87, 0x2010003
	v_perm_b32 v83, v96, v96, 0x2010003
	s_delay_alu instid0(VALU_DEP_3) | instskip(NEXT) | instid1(VALU_DEP_3)
	v_pk_add_f32 v[76:77], v[76:77], v[172:173]
	v_dot4_i32_iu8 v85, v145, v81, 0 neg_lo:[1,1,0]
	v_perm_b32 v145, v177, v177, 0x2010003
	s_delay_alu instid0(VALU_DEP_2) | instskip(SKIP_1) | instid1(VALU_DEP_1)
	v_dot4_i32_iu8 v87, v185, v83, v85 neg_lo:[1,1,0]
	v_perm_b32 v85, v97, v97, 0x2010003
	v_dot4_i32_iu8 v90, v90, v85, v87 neg_lo:[1,1,0]
	v_perm_b32 v87, v174, v174, 0x2010003
	s_delay_alu instid0(VALU_DEP_1) | instskip(NEXT) | instid1(VALU_DEP_1)
	v_dot4_i32_iu8 v90, v186, v87, v90 neg_lo:[1,1,0]
	v_dot4_i32_iu8 v90, v92, v98, v90 neg_lo:[1,1,0]
	s_delay_alu instid0(VALU_DEP_1) | instskip(NEXT) | instid1(VALU_DEP_1)
	v_dot4_i32_iu8 v90, v180, v99, v90 neg_lo:[1,1,0]
	v_dot4_i32_iu8 v90, v94, v145, v90 neg_lo:[1,1,0]
	s_delay_alu instid0(VALU_DEP_1) | instskip(NEXT) | instid1(VALU_DEP_1)
	v_dot4_i32_iu8 v90, v178, v86, v90 neg_lo:[1,1,0]
	v_cvt_f32_i32_e32 v90, v90
	s_delay_alu instid0(VALU_DEP_1) | instskip(SKIP_1) | instid1(VALU_DEP_2)
	v_fma_mix_f32 v89, v89, v90, v89 op_sel:[0,0,1] op_sel_hi:[1,0,1]
	v_add_nc_u32_e32 v90, 0x804, v134
	v_pk_add_f32 v[78:79], v[78:79], v[88:89]
	v_add_nc_u32_e32 v88, 0x80c, v134
	ds_load_2addr_b32 v[96:97], v90 offset1:1
	v_add_nc_u32_e32 v90, 0x814, v134
	ds_load_2addr_b32 v[88:89], v88 offset1:1
	ds_load_2addr_b32 v[164:165], v90 offset1:1
	v_add_nc_u32_e32 v90, 0x800, v134
	ds_load_2addr_b32 v[166:167], v90 offset1:7
	ds_load_2addr_b32 v[168:169], v136 offset0:64 offset1:96
	s_wait_dscnt 0x4
	v_dual_lshlrev_b32 v94, 16, v96 :: v_dual_lshlrev_b32 v170, 8, v96
	v_dual_lshlrev_b32 v173, 16, v97 :: v_dual_lshlrev_b32 v174, 8, v97
	s_wait_dscnt 0x3
	v_dual_lshlrev_b32 v90, 16, v89 :: v_dual_lshlrev_b32 v92, 8, v89
	v_perm_b32 v89, v89, v89, 0xc0c0003
	s_wait_dscnt 0x2
	v_dual_lshlrev_b32 v171, 16, v164 :: v_dual_lshlrev_b32 v172, 8, v164
	v_lshlrev_b32_e32 v175, 16, v165
	v_perm_b32 v90, v92, v90, 0x7030c0c
	v_perm_b32 v92, v170, v94, 0x7030c0c
	;; [unrolled: 1-line block ×4, first 2 shown]
	v_lshlrev_b32_e32 v176, 8, v165
	v_or_b32_e32 v89, v90, v89
	v_perm_b32 v97, v97, v97, 0xc0c0003
	v_or_b32_e32 v92, v92, v94
	v_perm_b32 v94, v172, v171, 0x7030c0c
	v_lshlrev_b32_e32 v177, 16, v88
	v_dot4_i32_iu8 v90, v89, v158, 0 neg_lo:[1,1,0]
	v_lshlrev_b32_e32 v178, 8, v88
	v_perm_b32 v164, v165, v165, 0xc0c0003
	v_or_b32_e32 v94, v94, v96
	v_perm_b32 v96, v174, v173, 0x7030c0c
	v_dot4_i32_iu8 v90, v92, v159, v90 neg_lo:[1,1,0]
	v_perm_b32 v88, v88, v88, 0xc0c0003
	s_wait_dscnt 0x1
	v_dual_lshlrev_b32 v179, 16, v167 :: v_dual_lshlrev_b32 v180, 8, v167
	v_or_b32_e32 v97, v96, v97
	v_dot4_i32_iu8 v90, v94, v160, v90 neg_lo:[1,1,0]
	v_perm_b32 v96, v176, v175, 0x7030c0c
	s_delay_alu instid0(VALU_DEP_2) | instskip(NEXT) | instid1(VALU_DEP_2)
	v_dot4_i32_iu8 v90, v97, v161, v90 neg_lo:[1,1,0]
	v_or_b32_e32 v165, v96, v164
	v_perm_b32 v96, v178, v177, 0x7030c0c
	s_wait_dscnt 0x0
	v_pk_mul_f16 v164, v142, v168
	s_delay_alu instid0(VALU_DEP_3) | instskip(NEXT) | instid1(VALU_DEP_3)
	v_dot4_i32_iu8 v90, v165, v162, v90 neg_lo:[1,1,0]
	v_or_b32_e32 v170, v96, v88
	v_perm_b32 v96, v167, v167, 0xc0c0003
	v_pk_mul_f16 v167, v143, v168
	s_delay_alu instid0(VALU_DEP_3) | instskip(SKIP_1) | instid1(VALU_DEP_1)
	v_dot4_i32_iu8 v88, v170, v163, v90 neg_lo:[1,1,0]
	v_perm_b32 v90, v180, v179, 0x7030c0c
	v_or_b32_e32 v90, v90, v96
	v_pk_mul_f16 v96, v141, v168
	s_delay_alu instid0(VALU_DEP_2) | instskip(NEXT) | instid1(VALU_DEP_1)
	v_dot4_i32_iu8 v88, v90, v95, v88 neg_lo:[1,1,0]
	v_dot4_i32_iu8 v88, v84, v166, v88 neg_lo:[1,1,0]
	s_delay_alu instid0(VALU_DEP_1) | instskip(NEXT) | instid1(VALU_DEP_1)
	v_cvt_f32_i32_e32 v88, v88
	v_fma_mix_f32 v88, v96, v88, v96 op_sel:[0,0,1] op_sel_hi:[1,0,1]
	v_dot4_i32_iu8 v96, v89, v93, 0 neg_lo:[1,1,0]
	s_delay_alu instid0(VALU_DEP_1) | instskip(NEXT) | instid1(VALU_DEP_1)
	v_dot4_i32_iu8 v96, v92, v152, v96 neg_lo:[1,1,0]
	v_dot4_i32_iu8 v96, v94, v153, v96 neg_lo:[1,1,0]
	s_delay_alu instid0(VALU_DEP_1) | instskip(NEXT) | instid1(VALU_DEP_1)
	v_dot4_i32_iu8 v96, v97, v154, v96 neg_lo:[1,1,0]
	;; [unrolled: 3-line block ×4, first 2 shown]
	v_cvt_f32_i32_e32 v96, v96
	s_delay_alu instid0(VALU_DEP_1) | instskip(SKIP_2) | instid1(VALU_DEP_2)
	v_fma_mix_f32 v96, v164, v96, v164 op_sel:[0,0,1] op_sel_hi:[1,0,1]
	v_dot4_i32_iu8 v164, v89, v91, 0 neg_lo:[1,1,0]
	v_dot4_i32_iu8 v89, v89, v81, 0 neg_lo:[1,1,0]
	;; [unrolled: 1-line block ×3, first 2 shown]
	s_delay_alu instid0(VALU_DEP_2) | instskip(NEXT) | instid1(VALU_DEP_2)
	v_dot4_i32_iu8 v89, v92, v83, v89 neg_lo:[1,1,0]
	v_dot4_i32_iu8 v164, v94, v147, v164 neg_lo:[1,1,0]
	s_delay_alu instid0(VALU_DEP_2) | instskip(NEXT) | instid1(VALU_DEP_2)
	v_dot4_i32_iu8 v89, v94, v85, v89 neg_lo:[1,1,0]
	v_dot4_i32_iu8 v164, v97, v148, v164 neg_lo:[1,1,0]
	;; [unrolled: 3-line block ×5, first 2 shown]
	s_delay_alu instid0(VALU_DEP_2) | instskip(SKIP_1) | instid1(VALU_DEP_3)
	v_dot4_i32_iu8 v89, v90, v145, v89 neg_lo:[1,1,0]
	v_pk_mul_f16 v90, v144, v168
	v_dot4_i32_iu8 v164, v166, v82, v164 neg_lo:[1,1,0]
	s_delay_alu instid0(VALU_DEP_3) | instskip(NEXT) | instid1(VALU_DEP_2)
	v_dot4_i32_iu8 v89, v166, v86, v89 neg_lo:[1,1,0]
	v_cvt_f32_i32_e32 v164, v164
	s_delay_alu instid0(VALU_DEP_2) | instskip(NEXT) | instid1(VALU_DEP_2)
	v_cvt_f32_i32_e32 v89, v89
	v_fma_mix_f32 v164, v167, v164, v167 op_sel:[0,0,1] op_sel_hi:[1,0,1]
	s_delay_alu instid0(VALU_DEP_2)
	v_fma_mix_f32 v166, v90, v89, v90 op_sel:[0,0,1] op_sel_hi:[1,0,1]
	v_add_nc_u32_e32 v89, 0xc0c, v134
	ds_load_2addr_b32 v[170:171], v89 offset1:1
	v_add_nc_u32_e32 v89, 0xc04, v134
	ds_load_2addr_b32 v[172:173], v89 offset1:1
	;; [unrolled: 2-line block ×4, first 2 shown]
	s_wait_dscnt 0x3
	v_dual_lshlrev_b32 v89, 16, v171 :: v_dual_lshlrev_b32 v90, 8, v171
	v_dual_lshlrev_b32 v180, 16, v170 :: v_dual_lshlrev_b32 v181, 8, v170
	s_wait_dscnt 0x2
	v_dual_lshlrev_b32 v92, 16, v172 :: v_dual_lshlrev_b32 v94, 8, v172
	s_delay_alu instid0(VALU_DEP_3) | instskip(SKIP_4) | instid1(VALU_DEP_3)
	v_perm_b32 v89, v90, v89, 0x7030c0c
	v_perm_b32 v90, v171, v171, 0xc0c0003
	v_dual_lshlrev_b32 v167, 16, v173 :: v_dual_lshlrev_b32 v168, 8, v173
	s_wait_dscnt 0x1
	v_dual_lshlrev_b32 v97, 16, v174 :: v_dual_lshlrev_b32 v165, 8, v174
	v_dual_lshlrev_b32 v178, 16, v175 :: v_dual_bitop2_b32 v90, v89, v90 bitop3:0x54
	v_perm_b32 v92, v94, v92, 0x7030c0c
	v_perm_b32 v94, v172, v172, 0xc0c0003
	s_wait_dscnt 0x0
	v_dual_lshlrev_b32 v183, 8, v177 :: v_dual_lshlrev_b32 v179, 8, v175
	v_dot4_i32_iu8 v89, v90, v158, 0 neg_lo:[1,1,0]
	s_delay_alu instid0(VALU_DEP_3) | instskip(SKIP_3) | instid1(VALU_DEP_4)
	v_dual_lshlrev_b32 v182, 16, v177 :: v_dual_bitop2_b32 v92, v92, v94 bitop3:0x54
	v_perm_b32 v94, v165, v97, 0x7030c0c
	v_perm_b32 v97, v174, v174, 0xc0c0003
	;; [unrolled: 1-line block ×3, first 2 shown]
	v_dot4_i32_iu8 v89, v92, v159, v89 neg_lo:[1,1,0]
	s_delay_alu instid0(VALU_DEP_3) | instskip(SKIP_1) | instid1(VALU_DEP_2)
	v_or_b32_e32 v94, v94, v97
	v_perm_b32 v97, v168, v167, 0x7030c0c
	v_dot4_i32_iu8 v89, v94, v160, v89 neg_lo:[1,1,0]
	s_delay_alu instid0(VALU_DEP_2) | instskip(SKIP_2) | instid1(VALU_DEP_3)
	v_or_b32_e32 v167, v97, v165
	v_perm_b32 v97, v179, v178, 0x7030c0c
	v_perm_b32 v165, v175, v175, 0xc0c0003
	v_dot4_i32_iu8 v89, v167, v161, v89 neg_lo:[1,1,0]
	s_delay_alu instid0(VALU_DEP_2) | instskip(SKIP_2) | instid1(VALU_DEP_3)
	v_or_b32_e32 v168, v97, v165
	v_perm_b32 v97, v181, v180, 0x7030c0c
	;; [unrolled: 5-line block ×3, first 2 shown]
	v_perm_b32 v165, v177, v177, 0xc0c0003
	v_dot4_i32_iu8 v89, v170, v163, v89 neg_lo:[1,1,0]
	s_delay_alu instid0(VALU_DEP_2) | instskip(SKIP_1) | instid1(VALU_DEP_2)
	v_or_b32_e32 v171, v97, v165
	v_pk_mul_f16 v97, v141, v169
	v_dot4_i32_iu8 v89, v171, v95, v89 neg_lo:[1,1,0]
	s_delay_alu instid0(VALU_DEP_1) | instskip(NEXT) | instid1(VALU_DEP_1)
	v_dot4_i32_iu8 v89, v84, v176, v89 neg_lo:[1,1,0]
	v_cvt_f32_i32_e32 v89, v89
	s_delay_alu instid0(VALU_DEP_1) | instskip(NEXT) | instid1(VALU_DEP_1)
	v_fma_mix_f32 v89, v97, v89, v97 op_sel:[0,0,1] op_sel_hi:[1,0,1]
	v_pk_add_f32 v[46:47], v[46:47], v[88:89]
	v_dot4_i32_iu8 v88, v90, v93, 0 neg_lo:[1,1,0]
	v_pk_mul_f16 v89, v142, v169
	s_delay_alu instid0(VALU_DEP_2) | instskip(NEXT) | instid1(VALU_DEP_1)
	v_dot4_i32_iu8 v88, v92, v152, v88 neg_lo:[1,1,0]
	v_dot4_i32_iu8 v88, v94, v153, v88 neg_lo:[1,1,0]
	s_delay_alu instid0(VALU_DEP_1) | instskip(NEXT) | instid1(VALU_DEP_1)
	v_dot4_i32_iu8 v88, v167, v154, v88 neg_lo:[1,1,0]
	v_dot4_i32_iu8 v88, v168, v155, v88 neg_lo:[1,1,0]
	s_delay_alu instid0(VALU_DEP_1) | instskip(NEXT) | instid1(VALU_DEP_1)
	;; [unrolled: 3-line block ×3, first 2 shown]
	v_dot4_i32_iu8 v88, v176, v80, v88 neg_lo:[1,1,0]
	v_cvt_f32_i32_e32 v88, v88
	s_delay_alu instid0(VALU_DEP_1) | instskip(SKIP_2) | instid1(VALU_DEP_3)
	v_fma_mix_f32 v97, v89, v88, v89 op_sel:[0,0,1] op_sel_hi:[1,0,1]
	v_dot4_i32_iu8 v88, v90, v91, 0 neg_lo:[1,1,0]
	v_pk_mul_f16 v89, v143, v169
	v_pk_add_f32 v[56:57], v[56:57], v[96:97]
	s_delay_alu instid0(VALU_DEP_3) | instskip(NEXT) | instid1(VALU_DEP_1)
	v_dot4_i32_iu8 v88, v92, v146, v88 neg_lo:[1,1,0]
	v_dot4_i32_iu8 v88, v94, v147, v88 neg_lo:[1,1,0]
	s_delay_alu instid0(VALU_DEP_1) | instskip(NEXT) | instid1(VALU_DEP_1)
	v_dot4_i32_iu8 v88, v167, v148, v88 neg_lo:[1,1,0]
	v_dot4_i32_iu8 v88, v168, v149, v88 neg_lo:[1,1,0]
	s_delay_alu instid0(VALU_DEP_1) | instskip(NEXT) | instid1(VALU_DEP_1)
	;; [unrolled: 3-line block ×3, first 2 shown]
	v_dot4_i32_iu8 v88, v176, v82, v88 neg_lo:[1,1,0]
	v_cvt_f32_i32_e32 v88, v88
	s_delay_alu instid0(VALU_DEP_1) | instskip(SKIP_3) | instid1(VALU_DEP_4)
	v_fma_mix_f32 v165, v89, v88, v89 op_sel:[0,0,1] op_sel_hi:[1,0,1]
	v_dot4_i32_iu8 v88, v90, v81, 0 neg_lo:[1,1,0]
	v_pk_mul_f16 v89, v144, v169
	v_add_nc_u32_e32 v90, 0x1004, v134
	v_pk_add_f32 v[66:67], v[66:67], v[164:165]
	s_delay_alu instid0(VALU_DEP_4)
	v_dot4_i32_iu8 v88, v92, v83, v88 neg_lo:[1,1,0]
	ds_load_2addr_b32 v[96:97], v90 offset1:1
	v_add_nc_u32_e32 v90, 0x1014, v134
	v_dot4_i32_iu8 v88, v94, v85, v88 neg_lo:[1,1,0]
	ds_load_2addr_b32 v[164:165], v90 offset1:1
	v_add_nc_u32_e32 v90, 0x1000, v134
	v_dot4_i32_iu8 v88, v167, v87, v88 neg_lo:[1,1,0]
	s_delay_alu instid0(VALU_DEP_1) | instskip(NEXT) | instid1(VALU_DEP_1)
	v_dot4_i32_iu8 v88, v168, v98, v88 neg_lo:[1,1,0]
	v_dot4_i32_iu8 v88, v170, v99, v88 neg_lo:[1,1,0]
	s_wait_dscnt 0x1
	v_dual_lshlrev_b32 v94, 16, v96 :: v_dual_lshlrev_b32 v170, 8, v96
	v_dual_lshlrev_b32 v173, 16, v97 :: v_dual_lshlrev_b32 v174, 8, v97
	s_delay_alu instid0(VALU_DEP_3)
	v_dot4_i32_iu8 v88, v171, v145, v88 neg_lo:[1,1,0]
	v_perm_b32 v97, v97, v97, 0xc0c0003
	s_wait_dscnt 0x0
	v_dual_lshlrev_b32 v171, 16, v164 :: v_dual_lshlrev_b32 v172, 8, v164
	v_lshlrev_b32_e32 v175, 16, v165
	v_dot4_i32_iu8 v88, v176, v86, v88 neg_lo:[1,1,0]
	s_delay_alu instid0(VALU_DEP_1) | instskip(NEXT) | instid1(VALU_DEP_1)
	v_cvt_f32_i32_e32 v88, v88
	v_fma_mix_f32 v167, v89, v88, v89 op_sel:[0,0,1] op_sel_hi:[1,0,1]
	v_add_nc_u32_e32 v88, 0x100c, v134
	s_delay_alu instid0(VALU_DEP_2)
	v_pk_add_f32 v[72:73], v[72:73], v[166:167]
	ds_load_2addr_b32 v[88:89], v88 offset1:1
	ds_load_2addr_b32 v[166:167], v90 offset1:7
	ds_load_2addr_b32 v[168:169], v136 offset0:128 offset1:160
	s_wait_dscnt 0x2
	v_dual_lshlrev_b32 v176, 8, v165 :: v_dual_lshlrev_b32 v178, 8, v88
	v_dual_lshlrev_b32 v90, 16, v89 :: v_dual_lshlrev_b32 v92, 8, v89
	v_lshlrev_b32_e32 v177, 16, v88
	v_perm_b32 v89, v89, v89, 0xc0c0003
	v_perm_b32 v88, v88, v88, 0xc0c0003
	s_wait_dscnt 0x1
	v_dual_lshlrev_b32 v179, 16, v167 :: v_dual_lshlrev_b32 v180, 8, v167
	v_perm_b32 v90, v92, v90, 0x7030c0c
	v_perm_b32 v92, v170, v94, 0x7030c0c
	;; [unrolled: 1-line block ×5, first 2 shown]
	v_or_b32_e32 v89, v90, v89
	s_delay_alu instid0(VALU_DEP_4) | instskip(SKIP_1) | instid1(VALU_DEP_3)
	v_or_b32_e32 v92, v92, v94
	v_perm_b32 v94, v172, v171, 0x7030c0c
	v_dot4_i32_iu8 v90, v89, v158, 0 neg_lo:[1,1,0]
	s_delay_alu instid0(VALU_DEP_2) | instskip(SKIP_1) | instid1(VALU_DEP_3)
	v_or_b32_e32 v94, v94, v96
	v_perm_b32 v96, v174, v173, 0x7030c0c
	v_dot4_i32_iu8 v90, v92, v159, v90 neg_lo:[1,1,0]
	s_delay_alu instid0(VALU_DEP_2) | instskip(NEXT) | instid1(VALU_DEP_2)
	v_or_b32_e32 v97, v96, v97
	v_dot4_i32_iu8 v90, v94, v160, v90 neg_lo:[1,1,0]
	v_perm_b32 v96, v176, v175, 0x7030c0c
	s_delay_alu instid0(VALU_DEP_2) | instskip(NEXT) | instid1(VALU_DEP_2)
	v_dot4_i32_iu8 v90, v97, v161, v90 neg_lo:[1,1,0]
	v_or_b32_e32 v165, v96, v164
	v_perm_b32 v96, v178, v177, 0x7030c0c
	s_wait_dscnt 0x0
	v_pk_mul_f16 v164, v142, v168
	s_delay_alu instid0(VALU_DEP_3) | instskip(NEXT) | instid1(VALU_DEP_3)
	v_dot4_i32_iu8 v90, v165, v162, v90 neg_lo:[1,1,0]
	v_or_b32_e32 v170, v96, v88
	v_perm_b32 v96, v167, v167, 0xc0c0003
	v_pk_mul_f16 v167, v143, v168
	s_delay_alu instid0(VALU_DEP_3) | instskip(SKIP_1) | instid1(VALU_DEP_1)
	v_dot4_i32_iu8 v88, v170, v163, v90 neg_lo:[1,1,0]
	v_perm_b32 v90, v180, v179, 0x7030c0c
	v_or_b32_e32 v90, v90, v96
	v_pk_mul_f16 v96, v141, v168
	s_delay_alu instid0(VALU_DEP_2) | instskip(NEXT) | instid1(VALU_DEP_1)
	v_dot4_i32_iu8 v88, v90, v95, v88 neg_lo:[1,1,0]
	v_dot4_i32_iu8 v88, v84, v166, v88 neg_lo:[1,1,0]
	s_delay_alu instid0(VALU_DEP_1) | instskip(NEXT) | instid1(VALU_DEP_1)
	v_cvt_f32_i32_e32 v88, v88
	v_fma_mix_f32 v88, v96, v88, v96 op_sel:[0,0,1] op_sel_hi:[1,0,1]
	v_dot4_i32_iu8 v96, v89, v93, 0 neg_lo:[1,1,0]
	s_delay_alu instid0(VALU_DEP_1) | instskip(NEXT) | instid1(VALU_DEP_1)
	v_dot4_i32_iu8 v96, v92, v152, v96 neg_lo:[1,1,0]
	v_dot4_i32_iu8 v96, v94, v153, v96 neg_lo:[1,1,0]
	s_delay_alu instid0(VALU_DEP_1) | instskip(NEXT) | instid1(VALU_DEP_1)
	v_dot4_i32_iu8 v96, v97, v154, v96 neg_lo:[1,1,0]
	;; [unrolled: 3-line block ×4, first 2 shown]
	v_cvt_f32_i32_e32 v96, v96
	s_delay_alu instid0(VALU_DEP_1) | instskip(SKIP_2) | instid1(VALU_DEP_2)
	v_fma_mix_f32 v96, v164, v96, v164 op_sel:[0,0,1] op_sel_hi:[1,0,1]
	v_dot4_i32_iu8 v164, v89, v91, 0 neg_lo:[1,1,0]
	v_dot4_i32_iu8 v89, v89, v81, 0 neg_lo:[1,1,0]
	;; [unrolled: 1-line block ×3, first 2 shown]
	s_delay_alu instid0(VALU_DEP_2) | instskip(NEXT) | instid1(VALU_DEP_2)
	v_dot4_i32_iu8 v89, v92, v83, v89 neg_lo:[1,1,0]
	v_dot4_i32_iu8 v164, v94, v147, v164 neg_lo:[1,1,0]
	s_delay_alu instid0(VALU_DEP_2) | instskip(NEXT) | instid1(VALU_DEP_2)
	v_dot4_i32_iu8 v89, v94, v85, v89 neg_lo:[1,1,0]
	v_dot4_i32_iu8 v164, v97, v148, v164 neg_lo:[1,1,0]
	;; [unrolled: 3-line block ×5, first 2 shown]
	s_delay_alu instid0(VALU_DEP_2) | instskip(SKIP_1) | instid1(VALU_DEP_3)
	v_dot4_i32_iu8 v89, v90, v145, v89 neg_lo:[1,1,0]
	v_pk_mul_f16 v90, v144, v168
	v_dot4_i32_iu8 v164, v166, v82, v164 neg_lo:[1,1,0]
	s_delay_alu instid0(VALU_DEP_3) | instskip(NEXT) | instid1(VALU_DEP_2)
	v_dot4_i32_iu8 v89, v166, v86, v89 neg_lo:[1,1,0]
	v_cvt_f32_i32_e32 v164, v164
	s_delay_alu instid0(VALU_DEP_2) | instskip(NEXT) | instid1(VALU_DEP_2)
	v_cvt_f32_i32_e32 v89, v89
	v_fma_mix_f32 v164, v167, v164, v167 op_sel:[0,0,1] op_sel_hi:[1,0,1]
	s_delay_alu instid0(VALU_DEP_2)
	v_fma_mix_f32 v166, v90, v89, v90 op_sel:[0,0,1] op_sel_hi:[1,0,1]
	v_add_nc_u32_e32 v89, 0x140c, v134
	ds_load_2addr_b32 v[170:171], v89 offset1:1
	v_add_nc_u32_e32 v89, 0x1404, v134
	ds_load_2addr_b32 v[172:173], v89 offset1:1
	v_add_nc_u32_e32 v89, 0x1414, v134
	ds_load_2addr_b32 v[174:175], v89 offset1:1
	v_add_nc_u32_e32 v89, 0x1400, v134
	ds_load_2addr_b32 v[176:177], v89 offset1:7
	s_wait_dscnt 0x3
	v_dual_lshlrev_b32 v89, 16, v171 :: v_dual_lshlrev_b32 v90, 8, v171
	v_dual_lshlrev_b32 v180, 16, v170 :: v_dual_lshlrev_b32 v181, 8, v170
	s_wait_dscnt 0x2
	v_dual_lshlrev_b32 v92, 16, v172 :: v_dual_lshlrev_b32 v94, 8, v172
	s_delay_alu instid0(VALU_DEP_3) | instskip(SKIP_4) | instid1(VALU_DEP_3)
	v_perm_b32 v89, v90, v89, 0x7030c0c
	v_perm_b32 v90, v171, v171, 0xc0c0003
	v_dual_lshlrev_b32 v167, 16, v173 :: v_dual_lshlrev_b32 v168, 8, v173
	s_wait_dscnt 0x1
	v_dual_lshlrev_b32 v97, 16, v174 :: v_dual_lshlrev_b32 v165, 8, v174
	v_dual_lshlrev_b32 v178, 16, v175 :: v_dual_bitop2_b32 v90, v89, v90 bitop3:0x54
	v_perm_b32 v92, v94, v92, 0x7030c0c
	v_perm_b32 v94, v172, v172, 0xc0c0003
	s_wait_dscnt 0x0
	v_dual_lshlrev_b32 v183, 8, v177 :: v_dual_lshlrev_b32 v179, 8, v175
	v_dot4_i32_iu8 v89, v90, v158, 0 neg_lo:[1,1,0]
	s_delay_alu instid0(VALU_DEP_3) | instskip(SKIP_3) | instid1(VALU_DEP_4)
	v_dual_lshlrev_b32 v182, 16, v177 :: v_dual_bitop2_b32 v92, v92, v94 bitop3:0x54
	v_perm_b32 v94, v165, v97, 0x7030c0c
	v_perm_b32 v97, v174, v174, 0xc0c0003
	;; [unrolled: 1-line block ×3, first 2 shown]
	v_dot4_i32_iu8 v89, v92, v159, v89 neg_lo:[1,1,0]
	s_delay_alu instid0(VALU_DEP_3) | instskip(SKIP_1) | instid1(VALU_DEP_2)
	v_or_b32_e32 v94, v94, v97
	v_perm_b32 v97, v168, v167, 0x7030c0c
	v_dot4_i32_iu8 v89, v94, v160, v89 neg_lo:[1,1,0]
	s_delay_alu instid0(VALU_DEP_2) | instskip(SKIP_2) | instid1(VALU_DEP_3)
	v_or_b32_e32 v167, v97, v165
	v_perm_b32 v97, v179, v178, 0x7030c0c
	v_perm_b32 v165, v175, v175, 0xc0c0003
	v_dot4_i32_iu8 v89, v167, v161, v89 neg_lo:[1,1,0]
	s_delay_alu instid0(VALU_DEP_2) | instskip(SKIP_2) | instid1(VALU_DEP_3)
	v_or_b32_e32 v168, v97, v165
	v_perm_b32 v97, v181, v180, 0x7030c0c
	;; [unrolled: 5-line block ×3, first 2 shown]
	v_perm_b32 v165, v177, v177, 0xc0c0003
	v_dot4_i32_iu8 v89, v170, v163, v89 neg_lo:[1,1,0]
	s_delay_alu instid0(VALU_DEP_2) | instskip(SKIP_1) | instid1(VALU_DEP_2)
	v_or_b32_e32 v171, v97, v165
	v_pk_mul_f16 v97, v141, v169
	v_dot4_i32_iu8 v89, v171, v95, v89 neg_lo:[1,1,0]
	s_delay_alu instid0(VALU_DEP_1) | instskip(NEXT) | instid1(VALU_DEP_1)
	v_dot4_i32_iu8 v89, v84, v176, v89 neg_lo:[1,1,0]
	v_cvt_f32_i32_e32 v89, v89
	s_delay_alu instid0(VALU_DEP_1) | instskip(NEXT) | instid1(VALU_DEP_1)
	v_fma_mix_f32 v89, v97, v89, v97 op_sel:[0,0,1] op_sel_hi:[1,0,1]
	v_pk_add_f32 v[24:25], v[24:25], v[88:89]
	v_dot4_i32_iu8 v88, v90, v93, 0 neg_lo:[1,1,0]
	v_pk_mul_f16 v89, v142, v169
	s_delay_alu instid0(VALU_DEP_2) | instskip(NEXT) | instid1(VALU_DEP_1)
	v_dot4_i32_iu8 v88, v92, v152, v88 neg_lo:[1,1,0]
	v_dot4_i32_iu8 v88, v94, v153, v88 neg_lo:[1,1,0]
	s_delay_alu instid0(VALU_DEP_1) | instskip(NEXT) | instid1(VALU_DEP_1)
	v_dot4_i32_iu8 v88, v167, v154, v88 neg_lo:[1,1,0]
	v_dot4_i32_iu8 v88, v168, v155, v88 neg_lo:[1,1,0]
	s_delay_alu instid0(VALU_DEP_1) | instskip(NEXT) | instid1(VALU_DEP_1)
	;; [unrolled: 3-line block ×3, first 2 shown]
	v_dot4_i32_iu8 v88, v176, v80, v88 neg_lo:[1,1,0]
	v_cvt_f32_i32_e32 v88, v88
	s_delay_alu instid0(VALU_DEP_1) | instskip(SKIP_2) | instid1(VALU_DEP_3)
	v_fma_mix_f32 v97, v89, v88, v89 op_sel:[0,0,1] op_sel_hi:[1,0,1]
	v_dot4_i32_iu8 v88, v90, v91, 0 neg_lo:[1,1,0]
	v_pk_mul_f16 v89, v143, v169
	v_pk_add_f32 v[34:35], v[34:35], v[96:97]
	s_delay_alu instid0(VALU_DEP_3) | instskip(NEXT) | instid1(VALU_DEP_1)
	v_dot4_i32_iu8 v88, v92, v146, v88 neg_lo:[1,1,0]
	v_dot4_i32_iu8 v88, v94, v147, v88 neg_lo:[1,1,0]
	s_delay_alu instid0(VALU_DEP_1) | instskip(NEXT) | instid1(VALU_DEP_1)
	v_dot4_i32_iu8 v88, v167, v148, v88 neg_lo:[1,1,0]
	v_dot4_i32_iu8 v88, v168, v149, v88 neg_lo:[1,1,0]
	s_delay_alu instid0(VALU_DEP_1) | instskip(NEXT) | instid1(VALU_DEP_1)
	;; [unrolled: 3-line block ×3, first 2 shown]
	v_dot4_i32_iu8 v88, v176, v82, v88 neg_lo:[1,1,0]
	v_cvt_f32_i32_e32 v88, v88
	s_delay_alu instid0(VALU_DEP_1) | instskip(SKIP_2) | instid1(VALU_DEP_3)
	v_fma_mix_f32 v165, v89, v88, v89 op_sel:[0,0,1] op_sel_hi:[1,0,1]
	v_dot4_i32_iu8 v88, v90, v81, 0 neg_lo:[1,1,0]
	v_pk_mul_f16 v89, v144, v169
	v_pk_add_f32 v[42:43], v[42:43], v[164:165]
	s_delay_alu instid0(VALU_DEP_3) | instskip(NEXT) | instid1(VALU_DEP_1)
	v_dot4_i32_iu8 v88, v92, v83, v88 neg_lo:[1,1,0]
	v_dot4_i32_iu8 v88, v94, v85, v88 neg_lo:[1,1,0]
	s_delay_alu instid0(VALU_DEP_1) | instskip(NEXT) | instid1(VALU_DEP_1)
	v_dot4_i32_iu8 v88, v167, v87, v88 neg_lo:[1,1,0]
	v_dot4_i32_iu8 v88, v168, v98, v88 neg_lo:[1,1,0]
	s_delay_alu instid0(VALU_DEP_1) | instskip(NEXT) | instid1(VALU_DEP_1)
	;; [unrolled: 3-line block ×3, first 2 shown]
	v_dot4_i32_iu8 v88, v176, v86, v88 neg_lo:[1,1,0]
	v_cvt_f32_i32_e32 v88, v88
	s_delay_alu instid0(VALU_DEP_1) | instskip(SKIP_1) | instid1(VALU_DEP_2)
	v_fma_mix_f32 v167, v89, v88, v89 op_sel:[0,0,1] op_sel_hi:[1,0,1]
	v_add_nc_u32_e32 v88, 0x180c, v134
	v_pk_add_f32 v[52:53], v[52:53], v[166:167]
	ds_load_2addr_b32 v[96:97], v88 offset1:1
	v_add_nc_u32_e32 v88, 0x1804, v134
	ds_load_2addr_b32 v[164:165], v88 offset1:1
	v_add_nc_u32_e32 v88, 0x1814, v134
	;; [unrolled: 2-line block ×3, first 2 shown]
	ds_load_2addr_b32 v[168:169], v88 offset1:7
	ds_load_2addr_b32 v[88:89], v136 offset0:192 offset1:224
	s_wait_dscnt 0x4
	v_dual_add_nc_u32 v136, 4, v136 :: v_dual_lshlrev_b32 v90, 16, v97
	v_dual_lshlrev_b32 v92, 8, v97 :: v_dual_lshlrev_b32 v177, 16, v96
	v_lshlrev_b32_e32 v178, 8, v96
	s_wait_dscnt 0x3
	v_dual_lshlrev_b32 v94, 16, v164 :: v_dual_lshlrev_b32 v170, 8, v164
	s_delay_alu instid0(VALU_DEP_3) | instskip(SKIP_4) | instid1(VALU_DEP_3)
	v_perm_b32 v90, v92, v90, 0x7030c0c
	v_perm_b32 v92, v97, v97, 0xc0c0003
	v_dual_lshlrev_b32 v173, 16, v165 :: v_dual_lshlrev_b32 v174, 8, v165
	s_wait_dscnt 0x2
	v_dual_lshlrev_b32 v171, 16, v166 :: v_dual_lshlrev_b32 v172, 8, v166
	v_or_b32_e32 v97, v90, v92
	v_perm_b32 v92, v170, v94, 0x7030c0c
	v_perm_b32 v94, v164, v164, 0xc0c0003
	v_dual_lshlrev_b32 v175, 16, v167 :: v_dual_lshlrev_b32 v176, 8, v167
	s_delay_alu instid0(VALU_DEP_4)
	v_dot4_i32_iu8 v90, v97, v158, 0 neg_lo:[1,1,0]
	s_wait_dscnt 0x1
	v_dual_lshlrev_b32 v179, 16, v169 :: v_dual_lshlrev_b32 v180, 8, v169
	v_or_b32_e32 v164, v92, v94
	v_perm_b32 v92, v172, v171, 0x7030c0c
	v_perm_b32 v94, v166, v166, 0xc0c0003
	s_wait_dscnt 0x0
	v_pk_mul_f16 v170, v143, v88
	v_dot4_i32_iu8 v90, v164, v159, v90 neg_lo:[1,1,0]
	s_delay_alu instid0(VALU_DEP_3) | instskip(SKIP_2) | instid1(VALU_DEP_3)
	v_or_b32_e32 v166, v92, v94
	v_perm_b32 v92, v174, v173, 0x7030c0c
	v_perm_b32 v94, v165, v165, 0xc0c0003
	v_dot4_i32_iu8 v90, v166, v160, v90 neg_lo:[1,1,0]
	s_delay_alu instid0(VALU_DEP_2) | instskip(SKIP_2) | instid1(VALU_DEP_3)
	v_or_b32_e32 v165, v92, v94
	v_perm_b32 v92, v176, v175, 0x7030c0c
	v_perm_b32 v94, v167, v167, 0xc0c0003
	v_dot4_i32_iu8 v90, v165, v161, v90 neg_lo:[1,1,0]
	s_delay_alu instid0(VALU_DEP_2) | instskip(SKIP_2) | instid1(VALU_DEP_3)
	;; [unrolled: 5-line block ×3, first 2 shown]
	v_or_b32_e32 v96, v92, v94
	v_perm_b32 v92, v180, v179, 0x7030c0c
	v_perm_b32 v94, v169, v169, 0xc0c0003
	v_dot4_i32_iu8 v90, v96, v163, v90 neg_lo:[1,1,0]
	s_delay_alu instid0(VALU_DEP_2) | instskip(SKIP_1) | instid1(VALU_DEP_2)
	v_or_b32_e32 v169, v92, v94
	v_pk_mul_f16 v92, v141, v88
	v_dot4_i32_iu8 v90, v169, v95, v90 neg_lo:[1,1,0]
	s_delay_alu instid0(VALU_DEP_1) | instskip(NEXT) | instid1(VALU_DEP_1)
	v_dot4_i32_iu8 v90, v84, v168, v90 neg_lo:[1,1,0]
	v_cvt_f32_i32_e32 v90, v90
	s_delay_alu instid0(VALU_DEP_1) | instskip(SKIP_3) | instid1(VALU_DEP_3)
	v_fma_mix_f32 v94, v92, v90, v92 op_sel:[0,0,1] op_sel_hi:[1,0,1]
	v_dot4_i32_iu8 v90, v97, v93, 0 neg_lo:[1,1,0]
	v_pk_mul_f16 v92, v142, v88
	v_pk_mul_f16 v88, v144, v88
	v_dot4_i32_iu8 v90, v164, v152, v90 neg_lo:[1,1,0]
	s_delay_alu instid0(VALU_DEP_1) | instskip(NEXT) | instid1(VALU_DEP_1)
	v_dot4_i32_iu8 v90, v166, v153, v90 neg_lo:[1,1,0]
	v_dot4_i32_iu8 v90, v165, v154, v90 neg_lo:[1,1,0]
	s_delay_alu instid0(VALU_DEP_1) | instskip(NEXT) | instid1(VALU_DEP_1)
	v_dot4_i32_iu8 v90, v167, v155, v90 neg_lo:[1,1,0]
	v_dot4_i32_iu8 v90, v96, v156, v90 neg_lo:[1,1,0]
	s_delay_alu instid0(VALU_DEP_1) | instskip(NEXT) | instid1(VALU_DEP_1)
	v_dot4_i32_iu8 v90, v169, v157, v90 neg_lo:[1,1,0]
	v_dot4_i32_iu8 v90, v168, v80, v90 neg_lo:[1,1,0]
	s_delay_alu instid0(VALU_DEP_1) | instskip(NEXT) | instid1(VALU_DEP_1)
	v_cvt_f32_i32_e32 v90, v90
	v_fma_mix_f32 v92, v92, v90, v92 op_sel:[0,0,1] op_sel_hi:[1,0,1]
	v_dot4_i32_iu8 v90, v97, v91, 0 neg_lo:[1,1,0]
	v_dot4_i32_iu8 v97, v97, v81, 0 neg_lo:[1,1,0]
	s_delay_alu instid0(VALU_DEP_2) | instskip(NEXT) | instid1(VALU_DEP_2)
	v_dot4_i32_iu8 v90, v164, v146, v90 neg_lo:[1,1,0]
	v_dot4_i32_iu8 v97, v164, v83, v97 neg_lo:[1,1,0]
	s_delay_alu instid0(VALU_DEP_2) | instskip(NEXT) | instid1(VALU_DEP_2)
	;; [unrolled: 3-line block ×5, first 2 shown]
	v_dot4_i32_iu8 v90, v96, v150, v90 neg_lo:[1,1,0]
	v_dot4_i32_iu8 v96, v96, v99, v97 neg_lo:[1,1,0]
	s_delay_alu instid0(VALU_DEP_1) | instskip(NEXT) | instid1(VALU_DEP_1)
	v_dot4_i32_iu8 v96, v169, v145, v96 neg_lo:[1,1,0]
	v_dot4_i32_iu8 v96, v168, v86, v96 neg_lo:[1,1,0]
	s_delay_alu instid0(VALU_DEP_1) | instskip(NEXT) | instid1(VALU_DEP_1)
	v_cvt_f32_i32_e32 v96, v96
	v_fma_mix_f32 v88, v88, v96, v88 op_sel:[0,0,1] op_sel_hi:[1,0,1]
	v_add_nc_u32_e32 v96, 0x1c0c, v134
	ds_load_2addr_b32 v[164:165], v96 offset1:1
	v_add_nc_u32_e32 v96, 0x1c04, v134
	ds_load_2addr_b32 v[166:167], v96 offset1:1
	v_add_nc_u32_e32 v96, 0x1c14, v134
	s_wait_dscnt 0x1
	v_dual_lshlrev_b32 v171, 8, v165 :: v_dual_lshlrev_b32 v180, 16, v164
	s_wait_dscnt 0x0
	v_lshlrev_b32_e32 v177, 8, v167
	v_dot4_i32_iu8 v90, v169, v151, v90 neg_lo:[1,1,0]
	v_dual_lshlrev_b32 v172, 16, v166 :: v_dual_lshlrev_b32 v173, 8, v166
	v_perm_b32 v166, v166, v166, 0xc0c0003
	v_lshlrev_b32_e32 v176, 16, v167
	s_delay_alu instid0(VALU_DEP_4)
	v_dot4_i32_iu8 v90, v168, v82, v90 neg_lo:[1,1,0]
	ds_load_2addr_b32 v[168:169], v96 offset1:1
	v_add_nc_u32_e32 v96, 0x1c00, v134
	v_perm_b32 v167, v167, v167, 0xc0c0003
	v_add_nc_u32_e32 v134, 32, v134
	v_cvt_f32_i32_e32 v90, v90
	ds_load_2addr_b32 v[96:97], v96 offset1:7
	v_lshlrev_b32_e32 v181, 8, v164
	v_perm_b32 v164, v164, v164, 0xc0c0003
	v_fma_mix_f32 v90, v170, v90, v170 op_sel:[0,0,1] op_sel_hi:[1,0,1]
	v_lshlrev_b32_e32 v170, 16, v165
	v_perm_b32 v165, v165, v165, 0xc0c0003
	s_delay_alu instid0(VALU_DEP_2) | instskip(NEXT) | instid1(VALU_DEP_1)
	v_perm_b32 v170, v171, v170, 0x7030c0c
	v_or_b32_e32 v165, v170, v165
	v_perm_b32 v170, v173, v172, 0x7030c0c
	s_wait_dscnt 0x1
	v_dual_lshlrev_b32 v174, 16, v168 :: v_dual_lshlrev_b32 v175, 8, v168
	v_perm_b32 v168, v168, v168, 0xc0c0003
	v_dot4_i32_iu8 v158, v165, v158, 0 neg_lo:[1,1,0]
	s_wait_dscnt 0x0
	v_dual_lshlrev_b32 v183, 8, v97 :: v_dual_bitop2_b32 v166, v170, v166 bitop3:0x54
	v_dual_lshlrev_b32 v178, 16, v169 :: v_dual_lshlrev_b32 v179, 8, v169
	v_lshlrev_b32_e32 v182, 16, v97
	v_perm_b32 v97, v97, v97, 0xc0c0003
	s_delay_alu instid0(VALU_DEP_4) | instskip(SKIP_1) | instid1(VALU_DEP_1)
	v_dot4_i32_iu8 v158, v166, v159, v158 neg_lo:[1,1,0]
	v_perm_b32 v159, v175, v174, 0x7030c0c
	v_or_b32_e32 v159, v159, v168
	s_delay_alu instid0(VALU_DEP_1) | instskip(SKIP_1) | instid1(VALU_DEP_1)
	v_dot4_i32_iu8 v158, v159, v160, v158 neg_lo:[1,1,0]
	v_perm_b32 v160, v177, v176, 0x7030c0c
	v_or_b32_e32 v160, v160, v167
	v_perm_b32 v167, v169, v169, 0xc0c0003
	s_delay_alu instid0(VALU_DEP_2) | instskip(SKIP_1) | instid1(VALU_DEP_1)
	v_dot4_i32_iu8 v158, v160, v161, v158 neg_lo:[1,1,0]
	v_perm_b32 v161, v179, v178, 0x7030c0c
	v_or_b32_e32 v161, v161, v167
	s_delay_alu instid0(VALU_DEP_1) | instskip(SKIP_1) | instid1(VALU_DEP_1)
	v_dot4_i32_iu8 v158, v161, v162, v158 neg_lo:[1,1,0]
	v_perm_b32 v162, v181, v180, 0x7030c0c
	v_or_b32_e32 v162, v162, v164
	s_delay_alu instid0(VALU_DEP_1) | instskip(SKIP_1) | instid1(VALU_DEP_1)
	v_dot4_i32_iu8 v158, v162, v163, v158 neg_lo:[1,1,0]
	v_perm_b32 v163, v183, v182, 0x7030c0c
	v_or_b32_e32 v97, v163, v97
	s_delay_alu instid0(VALU_DEP_1) | instskip(NEXT) | instid1(VALU_DEP_1)
	v_dot4_i32_iu8 v95, v97, v95, v158 neg_lo:[1,1,0]
	v_dot4_i32_iu8 v84, v84, v96, v95 neg_lo:[1,1,0]
	v_pk_mul_f16 v95, v141, v89
	s_delay_alu instid0(VALU_DEP_2) | instskip(NEXT) | instid1(VALU_DEP_1)
	v_cvt_f32_i32_e32 v84, v84
	v_fma_mix_f32 v95, v95, v84, v95 op_sel:[0,0,1] op_sel_hi:[1,0,1]
	v_dot4_i32_iu8 v84, v165, v93, 0 neg_lo:[1,1,0]
	s_delay_alu instid0(VALU_DEP_2) | instskip(NEXT) | instid1(VALU_DEP_2)
	v_pk_add_f32 v[8:9], v[8:9], v[94:95]
	v_dot4_i32_iu8 v84, v166, v152, v84 neg_lo:[1,1,0]
	s_delay_alu instid0(VALU_DEP_1) | instskip(NEXT) | instid1(VALU_DEP_1)
	v_dot4_i32_iu8 v84, v159, v153, v84 neg_lo:[1,1,0]
	v_dot4_i32_iu8 v84, v160, v154, v84 neg_lo:[1,1,0]
	s_delay_alu instid0(VALU_DEP_1) | instskip(NEXT) | instid1(VALU_DEP_1)
	v_dot4_i32_iu8 v84, v161, v155, v84 neg_lo:[1,1,0]
	;; [unrolled: 3-line block ×3, first 2 shown]
	v_dot4_i32_iu8 v80, v96, v80, v84 neg_lo:[1,1,0]
	v_pk_mul_f16 v84, v142, v89
	s_delay_alu instid0(VALU_DEP_2) | instskip(NEXT) | instid1(VALU_DEP_1)
	v_cvt_f32_i32_e32 v80, v80
	v_fma_mix_f32 v93, v84, v80, v84 op_sel:[0,0,1] op_sel_hi:[1,0,1]
	v_dot4_i32_iu8 v80, v165, v91, 0 neg_lo:[1,1,0]
	s_delay_alu instid0(VALU_DEP_2) | instskip(NEXT) | instid1(VALU_DEP_2)
	v_pk_add_f32 v[12:13], v[12:13], v[92:93]
	v_dot4_i32_iu8 v80, v166, v146, v80 neg_lo:[1,1,0]
	s_delay_alu instid0(VALU_DEP_1) | instskip(NEXT) | instid1(VALU_DEP_1)
	v_dot4_i32_iu8 v80, v159, v147, v80 neg_lo:[1,1,0]
	v_dot4_i32_iu8 v80, v160, v148, v80 neg_lo:[1,1,0]
	s_delay_alu instid0(VALU_DEP_1) | instskip(NEXT) | instid1(VALU_DEP_1)
	v_dot4_i32_iu8 v80, v161, v149, v80 neg_lo:[1,1,0]
	;; [unrolled: 3-line block ×3, first 2 shown]
	v_dot4_i32_iu8 v80, v96, v82, v80 neg_lo:[1,1,0]
	v_pk_mul_f16 v82, v143, v89
	s_delay_alu instid0(VALU_DEP_2) | instskip(NEXT) | instid1(VALU_DEP_1)
	v_cvt_f32_i32_e32 v80, v80
	v_fma_mix_f32 v91, v82, v80, v82 op_sel:[0,0,1] op_sel_hi:[1,0,1]
	v_dot4_i32_iu8 v80, v165, v81, 0 neg_lo:[1,1,0]
	v_pk_mul_f16 v81, v144, v89
	s_delay_alu instid0(VALU_DEP_3) | instskip(NEXT) | instid1(VALU_DEP_3)
	v_pk_add_f32 v[20:21], v[20:21], v[90:91]
	v_dot4_i32_iu8 v80, v166, v83, v80 neg_lo:[1,1,0]
	s_delay_alu instid0(VALU_DEP_1) | instskip(NEXT) | instid1(VALU_DEP_1)
	v_dot4_i32_iu8 v80, v159, v85, v80 neg_lo:[1,1,0]
	v_dot4_i32_iu8 v80, v160, v87, v80 neg_lo:[1,1,0]
	s_delay_alu instid0(VALU_DEP_1) | instskip(NEXT) | instid1(VALU_DEP_1)
	v_dot4_i32_iu8 v80, v161, v98, v80 neg_lo:[1,1,0]
	;; [unrolled: 3-line block ×3, first 2 shown]
	v_dot4_i32_iu8 v80, v96, v86, v80 neg_lo:[1,1,0]
	s_delay_alu instid0(VALU_DEP_1) | instskip(NEXT) | instid1(VALU_DEP_1)
	v_cvt_f32_i32_e32 v80, v80
	v_fma_mix_f32 v89, v81, v80, v81 op_sel:[0,0,1] op_sel_hi:[1,0,1]
	s_delay_alu instid0(VALU_DEP_1)
	v_pk_add_f32 v[30:31], v[30:31], v[88:89]
	s_cbranch_scc1 .LBB144_8
; %bb.9:                                ;   in Loop: Header=BB144_6 Depth=1
	s_and_b32 s10, s7, -4
	s_delay_alu instid0(SALU_CYCLE_1)
	s_cmp_eq_u32 s10, 4
	s_barrier_signal -1
	s_barrier_wait -1
	s_cbranch_scc1 .LBB144_5
; %bb.10:                               ;   in Loop: Header=BB144_6 Depth=1
	v_dual_add_nc_u32 v80, s4, v112 :: v_dual_add_nc_u32 v96, 4, v133
	v_dual_mov_b32 v98, v132 :: v_dual_mov_b32 v99, v129
	v_dual_mov_b32 v133, v127 :: v_dual_mov_b32 v134, v125
	s_delay_alu instid0(VALU_DEP_3) | instskip(SKIP_3) | instid1(VALU_DEP_4)
	v_dual_add_nc_u32 v86, v80, v106 :: v_dual_add_nc_u32 v81, v80, v111
	v_dual_add_nc_u32 v82, v80, v104 :: v_dual_add_nc_u32 v84, v80, v105
	;; [unrolled: 1-line block ×4, first 2 shown]
	v_mad_nc_i64_i32 v[80:81], v81, 36, v[0:1]
	s_delay_alu instid0(VALU_DEP_4)
	v_mad_nc_i64_i32 v[82:83], v82, 36, v[0:1]
	v_mad_nc_i64_i32 v[84:85], v84, 36, v[0:1]
	;; [unrolled: 1-line block ×7, first 2 shown]
	v_mad_nc_u64_u32 v[96:97], v96, 36, s[2:3]
	s_clause 0x8
	global_load_b32 v136, v[80:81], off offset:4
	global_load_b32 v137, v[82:83], off offset:4
	;; [unrolled: 1-line block ×8, first 2 shown]
	global_load_b32 v144, v[96:97], off
	s_wait_xcnt 0x0
	v_dual_mov_b32 v96, v131 :: v_dual_mov_b32 v97, v121
	v_mov_b32_e32 v135, v123
	s_mov_b32 s10, 12
	s_wait_loadcnt 0x8
	ds_store_b32 v119, v136
	s_wait_loadcnt 0x7
	ds_store_b32 v120, v137
	;; [unrolled: 2-line block ×9, first 2 shown]
	s_wait_dscnt 0x0
	s_barrier_signal -1
	s_barrier_wait -1
.LBB144_11:                             ;   Parent Loop BB144_6 Depth=1
                                        ; =>  This Inner Loop Header: Depth=2
	ds_load_2addr_b32 v[84:85], v97 offset0:3 offset1:4
	ds_load_2addr_b32 v[86:87], v97 offset0:1 offset1:2
	;; [unrolled: 1-line block ×3, first 2 shown]
	ds_load_2addr_b32 v[138:139], v97 offset1:7
	ds_load_2addr_b32 v[88:89], v96 offset1:32
	ds_load_b32 v91, v99
	ds_load_2addr_b32 v[80:81], v98 offset1:1
	ds_load_2addr_b32 v[140:141], v98 offset0:2 offset1:3
	ds_load_2addr_b32 v[142:143], v98 offset0:4 offset1:5
	;; [unrolled: 1-line block ×3, first 2 shown]
	v_add_nc_u32_e32 v162, 0x2098, v98
	s_add_co_i32 s10, s10, 4
	v_add_nc_u32_e32 v99, 4, v99
	s_cmp_lt_u32 s10, 28
	s_wait_dscnt 0x8
	v_dual_lshlrev_b32 v155, 16, v85 :: v_dual_lshlrev_b32 v156, 24, v86
	s_wait_dscnt 0x7
	v_perm_b32 v93, v94, v86, 0x7030c0c
	v_dual_lshlrev_b32 v157, 16, v86 :: v_dual_lshlrev_b32 v160, 16, v87
	s_wait_dscnt 0x3
	v_perm_b32 v82, v138, v81, 0xc0c0703
	s_wait_dscnt 0x2
	v_perm_b32 v83, v141, v140, 0x7030c0c
	v_dual_lshlrev_b32 v169, 24, v139 :: v_dual_lshlrev_b32 v158, 24, v94
	v_lshlrev_b32_e32 v159, 16, v94
	v_perm_b32 v146, v80, v155, 0xc0c0503
	s_delay_alu instid0(VALU_DEP_4) | instskip(SKIP_3) | instid1(VALU_DEP_3)
	v_or_b32_e32 v82, v83, v82
	v_perm_b32 v83, v80, v85, 0xc0c0703
	v_dual_lshlrev_b32 v149, 8, v139 :: v_dual_lshlrev_b32 v154, 24, v85
	v_dual_lshlrev_b32 v90, 8, v85 :: v_dual_lshlrev_b32 v92, 8, v86
	v_or_b32_e32 v83, v93, v83
	v_perm_b32 v93, v141, v140, 0x5010c0c
	s_delay_alu instid0(VALU_DEP_4) | instskip(SKIP_1) | instid1(VALU_DEP_4)
	v_perm_b32 v150, v80, v154, 0xc0c0403
	v_dual_lshlrev_b32 v136, 8, v94 :: v_dual_lshlrev_b32 v137, 8, v87
	v_dot4_i32_iu8 v82, v83, v82, 0 neg_lo:[1,1,0]
	v_perm_b32 v83, v138, v81, 0xc0c0501
	v_perm_b32 v151, v80, v90, 0xc0c0603
	v_dual_lshlrev_b32 v147, 8, v95 :: v_dual_lshlrev_b32 v148, 8, v84
	v_dual_lshlrev_b32 v161, 24, v87 :: v_dual_lshlrev_b32 v166, 16, v84
	s_delay_alu instid0(VALU_DEP_4) | instskip(SKIP_1) | instid1(VALU_DEP_4)
	v_or_b32_e32 v83, v93, v83
	v_perm_b32 v93, v159, v157, 0x7030c0c
	v_perm_b32 v152, v149, v148, 0x7030c0c
	v_dual_lshlrev_b32 v164, 16, v95 :: v_dual_lshlrev_b32 v165, 24, v95
	v_dual_lshlrev_b32 v167, 24, v84 :: v_dual_lshlrev_b32 v168, 16, v139
	s_delay_alu instid0(VALU_DEP_4)
	v_or_b32_e32 v93, v93, v146
	v_perm_b32 v146, v141, v140, 0x4000c0c
	v_perm_b32 v154, v155, v154, 0xc0c0703
	;; [unrolled: 1-line block ×4, first 2 shown]
	v_dot4_i32_iu8 v83, v93, v83, 0 neg_lo:[1,1,0]
	v_perm_b32 v93, v138, v81, 0xc0c0400
	v_perm_b32 v94, v94, v136, 0x7030c0c
	v_or_b32_e32 v90, v85, v154
	v_perm_b32 v154, v157, v156, 0xc0c0703
	v_add_nc_u32_e32 v155, 0x6190, v98
	v_or_b32_e32 v93, v146, v93
	v_perm_b32 v146, v158, v156, 0x7030c0c
	s_delay_alu instid0(VALU_DEP_1) | instskip(SKIP_1) | instid1(VALU_DEP_2)
	v_or_b32_e32 v146, v146, v150
	v_perm_b32 v150, v141, v140, 0x6020c0c
	v_dot4_i32_iu8 v93, v146, v93, 0 neg_lo:[1,1,0]
	v_perm_b32 v146, v138, v81, 0xc0c0602
	s_delay_alu instid0(VALU_DEP_1) | instskip(SKIP_3) | instid1(VALU_DEP_3)
	v_or_b32_e32 v146, v150, v146
	v_perm_b32 v150, v136, v92, 0x7030c0c
	v_or_b32_e32 v92, v86, v154
	v_perm_b32 v86, v159, v158, 0xc0c0703
	v_or_b32_e32 v150, v150, v151
	s_wait_dscnt 0x0
	v_perm_b32 v151, v145, v144, 0x6020c0c
	s_delay_alu instid0(VALU_DEP_3) | instskip(SKIP_3) | instid1(VALU_DEP_1)
	v_or_b32_e32 v94, v94, v86
	v_perm_b32 v86, v160, v161, 0xc0c0703
	v_dot4_i32_iu8 v146, v150, v146, 0 neg_lo:[1,1,0]
	v_perm_b32 v150, v143, v142, 0xc0c0602
	v_or_b32_e32 v150, v151, v150
	v_perm_b32 v151, v147, v137, 0xc0c0703
	s_delay_alu instid0(VALU_DEP_1) | instskip(SKIP_1) | instid1(VALU_DEP_2)
	v_or_b32_e32 v151, v152, v151
	v_perm_b32 v152, v169, v167, 0x7030c0c
	v_dot4_i32_iu8 v146, v151, v150, v146 neg_lo:[1,1,0]
	v_perm_b32 v150, v143, v142, 0xc0c0400
	v_perm_b32 v151, v145, v144, 0x4000c0c
	s_delay_alu instid0(VALU_DEP_1) | instskip(SKIP_1) | instid1(VALU_DEP_1)
	v_or_b32_e32 v150, v151, v150
	v_perm_b32 v151, v165, v161, 0xc0c0703
	v_or_b32_e32 v151, v152, v151
	v_perm_b32 v152, v168, v166, 0x7030c0c
	s_delay_alu instid0(VALU_DEP_2) | instskip(SKIP_2) | instid1(VALU_DEP_1)
	v_dot4_i32_iu8 v93, v151, v150, v93 neg_lo:[1,1,0]
	v_perm_b32 v150, v143, v142, 0xc0c0501
	v_perm_b32 v151, v145, v144, 0x5010c0c
	v_or_b32_e32 v150, v151, v150
	v_perm_b32 v151, v164, v160, 0xc0c0703
	s_delay_alu instid0(VALU_DEP_1) | instskip(SKIP_2) | instid1(VALU_DEP_3)
	v_or_b32_e32 v151, v152, v151
	v_perm_b32 v152, v139, v84, 0x7030c0c
	v_perm_b32 v84, v84, v148, 0x7030c0c
	v_dot4_i32_iu8 v83, v151, v150, v83 neg_lo:[1,1,0]
	v_perm_b32 v150, v143, v142, 0xc0c0703
	v_perm_b32 v151, v145, v144, 0x7030c0c
	s_delay_alu instid0(VALU_DEP_1) | instskip(SKIP_2) | instid1(VALU_DEP_2)
	v_or_b32_e32 v150, v151, v150
	v_perm_b32 v151, v95, v87, 0xc0c0703
	v_perm_b32 v87, v87, v137, 0x7030c0c
	v_or_b32_e32 v151, v152, v151
	v_add_nc_u32_e32 v152, 0x2090, v98
	s_delay_alu instid0(VALU_DEP_3) | instskip(SKIP_4) | instid1(VALU_DEP_3)
	v_or_b32_e32 v154, v87, v86
	v_perm_b32 v86, v164, v165, 0xc0c0703
	v_perm_b32 v87, v95, v147, 0x7030c0c
	v_dot4_i32_iu8 v82, v151, v150, v82 neg_lo:[1,1,0]
	v_add_nc_u32_e32 v150, 0x2088, v98
	v_or_b32_e32 v95, v87, v86
	s_delay_alu instid0(VALU_DEP_3) | instskip(SKIP_2) | instid1(VALU_DEP_3)
	v_add_nc_u32_e32 v82, v83, v82
	v_pk_mul_f16 v83, v88, v91
	v_add_nc_u32_e32 v87, 0x4108, v98
	v_add3_u32 v82, v93, v146, v82
	s_delay_alu instid0(VALU_DEP_1) | instskip(NEXT) | instid1(VALU_DEP_1)
	v_cvt_f32_i32_e32 v82, v82
	v_fma_mix_f32 v146, v83, v82, v83 op_sel:[0,0,1] op_sel_hi:[1,0,1]
	v_add_nc_u32_e32 v82, 0x2080, v98
	ds_load_b32 v93, v133
	ds_load_2addr_b32 v[82:83], v82 offset1:1
	ds_load_2addr_b32 v[150:151], v150 offset1:1
	;; [unrolled: 1-line block ×4, first 2 shown]
	v_add_nc_u32_e32 v133, 4, v133
	s_wait_dscnt 0x3
	v_dot4_i32_iu8 v170, v138, v82, 0 neg_lo:[1,1,0]
	s_wait_dscnt 0x1
	v_perm_b32 v86, v153, v153, 0x7060100
	s_delay_alu instid0(VALU_DEP_2) | instskip(NEXT) | instid1(VALU_DEP_1)
	v_dot4_i32_iu8 v85, v90, v83, v170 neg_lo:[1,1,0]
	v_dot4_i32_iu8 v85, v92, v150, v85 neg_lo:[1,1,0]
	s_delay_alu instid0(VALU_DEP_1) | instskip(NEXT) | instid1(VALU_DEP_1)
	v_dot4_i32_iu8 v85, v94, v151, v85 neg_lo:[1,1,0]
	v_dot4_i32_iu8 v85, v154, v152, v85 neg_lo:[1,1,0]
	s_delay_alu instid0(VALU_DEP_1) | instskip(SKIP_1) | instid1(VALU_DEP_1)
	v_dot4_i32_iu8 v85, v95, v86, v85 neg_lo:[1,1,0]
	v_perm_b32 v86, v166, v167, 0xc0c0703
	v_or_b32_e32 v147, v84, v86
	v_perm_b32 v86, v139, v149, 0x7030c0c
	s_wait_dscnt 0x0
	s_delay_alu instid0(VALU_DEP_2) | instskip(SKIP_1) | instid1(VALU_DEP_1)
	v_dot4_i32_iu8 v84, v147, v162, v85 neg_lo:[1,1,0]
	v_perm_b32 v85, v168, v169, 0xc0c0703
	v_or_b32_e32 v148, v86, v85
	v_pk_mul_f16 v85, v88, v93
	s_delay_alu instid0(VALU_DEP_2) | instskip(NEXT) | instid1(VALU_DEP_1)
	v_dot4_i32_iu8 v84, v148, v163, v84 neg_lo:[1,1,0]
	v_cvt_f32_i32_e32 v84, v84
	s_delay_alu instid0(VALU_DEP_1)
	v_fma_mix_f32 v164, v85, v84, v85 op_sel:[0,0,1] op_sel_hi:[1,0,1]
	v_add_nc_u32_e32 v84, 0x4100, v98
	ds_load_b32 v136, v134
	ds_load_2addr_b32 v[84:85], v84 offset1:1
	ds_load_2addr_b32 v[166:167], v87 offset1:1
	v_add_nc_u32_e32 v87, 0x4110, v98
	v_add_nc_u32_e32 v134, 4, v134
	ds_load_2addr_b32 v[168:169], v87 offset1:1
	v_add_nc_u32_e32 v87, 0x4118, v98
	ds_load_2addr_b32 v[170:171], v87 offset1:1
	s_wait_dscnt 0x3
	v_dot4_i32_iu8 v86, v138, v84, 0 neg_lo:[1,1,0]
	s_delay_alu instid0(VALU_DEP_1) | instskip(SKIP_2) | instid1(VALU_DEP_2)
	v_dot4_i32_iu8 v86, v90, v85, v86 neg_lo:[1,1,0]
	s_wait_dscnt 0x1
	v_perm_b32 v87, v169, v169, 0x7060100
	v_dot4_i32_iu8 v86, v92, v166, v86 neg_lo:[1,1,0]
	s_delay_alu instid0(VALU_DEP_1) | instskip(NEXT) | instid1(VALU_DEP_1)
	v_dot4_i32_iu8 v86, v94, v167, v86 neg_lo:[1,1,0]
	v_dot4_i32_iu8 v86, v154, v168, v86 neg_lo:[1,1,0]
	s_delay_alu instid0(VALU_DEP_1) | instskip(SKIP_2) | instid1(VALU_DEP_2)
	v_dot4_i32_iu8 v86, v95, v87, v86 neg_lo:[1,1,0]
	v_pk_mul_f16 v87, v88, v136
	s_wait_dscnt 0x0
	v_dot4_i32_iu8 v86, v147, v170, v86 neg_lo:[1,1,0]
	s_delay_alu instid0(VALU_DEP_1) | instskip(NEXT) | instid1(VALU_DEP_1)
	v_dot4_i32_iu8 v86, v148, v171, v86 neg_lo:[1,1,0]
	v_cvt_f32_i32_e32 v86, v86
	s_delay_alu instid0(VALU_DEP_1)
	v_fma_mix_f32 v172, v87, v86, v87 op_sel:[0,0,1] op_sel_hi:[1,0,1]
	v_add_nc_u32_e32 v86, 0x6180, v98
	ds_load_b32 v137, v135
	ds_load_2addr_b32 v[86:87], v86 offset1:1
	ds_load_2addr_b32 v[174:175], v155 offset1:1
	v_add_nc_u32_e32 v155, 0x6198, v98
	v_add_nc_u32_e32 v135, 4, v135
	ds_load_2addr_b32 v[176:177], v155 offset1:1
	v_perm_b32 v155, v140, v140, 0x2010003
	s_wait_dscnt 0x3
	v_pk_mul_f16 v88, v88, v137
	s_wait_dscnt 0x2
	v_dot4_i32_iu8 v149, v138, v86, 0 neg_lo:[1,1,0]
	v_add_nc_u32_e32 v138, 0x6188, v98
	v_add_nc_u32_e32 v98, 32, v98
	s_delay_alu instid0(VALU_DEP_3) | instskip(SKIP_4) | instid1(VALU_DEP_2)
	v_dot4_i32_iu8 v90, v90, v87, v149 neg_lo:[1,1,0]
	ds_load_2addr_b32 v[138:139], v138 offset1:1
	s_wait_dscnt 0x0
	v_dot4_i32_iu8 v90, v92, v138, v90 neg_lo:[1,1,0]
	v_perm_b32 v92, v175, v175, 0x7060100
	v_dot4_i32_iu8 v90, v94, v139, v90 neg_lo:[1,1,0]
	s_delay_alu instid0(VALU_DEP_1) | instskip(NEXT) | instid1(VALU_DEP_1)
	v_dot4_i32_iu8 v90, v154, v174, v90 neg_lo:[1,1,0]
	v_dot4_i32_iu8 v90, v95, v92, v90 neg_lo:[1,1,0]
	s_delay_alu instid0(VALU_DEP_1) | instskip(NEXT) | instid1(VALU_DEP_1)
	v_dot4_i32_iu8 v90, v147, v176, v90 neg_lo:[1,1,0]
	v_dot4_i32_iu8 v90, v148, v177, v90 neg_lo:[1,1,0]
	s_delay_alu instid0(VALU_DEP_1) | instskip(NEXT) | instid1(VALU_DEP_1)
	v_cvt_f32_i32_e32 v90, v90
	v_fma_mix_f32 v88, v88, v90, v88 op_sel:[0,0,1] op_sel_hi:[1,0,1]
	v_add_nc_u32_e32 v90, 0x40c, v97
	ds_load_2addr_b32 v[94:95], v90 offset1:1
	v_add_nc_u32_e32 v90, 0x404, v97
	ds_load_2addr_b32 v[148:149], v90 offset1:1
	;; [unrolled: 2-line block ×4, first 2 shown]
	s_wait_dscnt 0x3
	v_dual_lshlrev_b32 v90, 16, v95 :: v_dual_lshlrev_b32 v92, 8, v95
	v_dual_lshlrev_b32 v180, 16, v94 :: v_dual_lshlrev_b32 v181, 8, v94
	v_perm_b32 v94, v94, v94, 0xc0c0003
	s_wait_dscnt 0x2
	v_dual_lshlrev_b32 v147, 16, v148 :: v_dual_lshlrev_b32 v154, 8, v148
	v_perm_b32 v90, v92, v90, 0x7030c0c
	v_perm_b32 v92, v95, v95, 0xc0c0003
	;; [unrolled: 1-line block ×3, first 2 shown]
	s_wait_dscnt 0x1
	v_dual_lshlrev_b32 v160, 16, v149 :: v_dual_lshlrev_b32 v156, 16, v158
	s_delay_alu instid0(VALU_DEP_3) | instskip(SKIP_3) | instid1(VALU_DEP_4)
	v_dual_lshlrev_b32 v157, 8, v158 :: v_dual_bitop2_b32 v90, v90, v92 bitop3:0x54
	v_perm_b32 v92, v154, v147, 0x7030c0c
	v_perm_b32 v147, v148, v148, 0xc0c0003
	v_lshlrev_b32_e32 v161, 8, v149
	v_perm_b32 v140, v157, v156, 0x7030c0c
	v_dot4_i32_iu8 v81, v90, v95, 0 neg_lo:[1,1,0]
	v_lshlrev_b32_e32 v165, 16, v159
	v_or_b32_e32 v92, v92, v147
	v_perm_b32 v147, v158, v158, 0xc0c0003
	v_lshlrev_b32_e32 v173, 8, v159
	v_perm_b32 v156, v141, v141, 0x2010003
	v_perm_b32 v141, v161, v160, 0x7030c0c
	v_dot4_i32_iu8 v81, v92, v155, v81 neg_lo:[1,1,0]
	v_or_b32_e32 v140, v140, v147
	v_perm_b32 v147, v149, v149, 0xc0c0003
	v_perm_b32 v157, v142, v142, 0x2010003
	;; [unrolled: 1-line block ×3, first 2 shown]
	s_wait_dscnt 0x0
	v_lshlrev_b32_e32 v182, 16, v179
	v_dot4_i32_iu8 v81, v140, v156, v81 neg_lo:[1,1,0]
	v_or_b32_e32 v161, v141, v147
	v_perm_b32 v141, v173, v165, 0x7030c0c
	v_lshlrev_b32_e32 v183, 8, v179
	v_perm_b32 v158, v143, v143, 0x2010003
	v_perm_b32 v159, v144, v144, 0x2010003
	v_dot4_i32_iu8 v81, v161, v157, v81 neg_lo:[1,1,0]
	v_or_b32_e32 v184, v141, v142
	v_perm_b32 v141, v181, v180, 0x7030c0c
	v_perm_b32 v142, v179, v179, 0xc0c0003
	;; [unrolled: 1-line block ×4, first 2 shown]
	v_dot4_i32_iu8 v81, v184, v158, v81 neg_lo:[1,1,0]
	v_or_b32_e32 v94, v141, v94
	v_perm_b32 v141, v183, v182, 0x7030c0c
	v_perm_b32 v149, v150, v150, 0x2010003
	;; [unrolled: 1-line block ×4, first 2 shown]
	v_dot4_i32_iu8 v81, v94, v159, v81 neg_lo:[1,1,0]
	v_or_b32_e32 v179, v141, v142
	v_pk_mul_f16 v141, v91, v89
	v_perm_b32 v152, v153, v153, 0x6010007
	v_perm_b32 v153, v162, v162, 0x2010003
	;; [unrolled: 1-line block ×3, first 2 shown]
	v_dot4_i32_iu8 v81, v179, v160, v81 neg_lo:[1,1,0]
	v_pk_mul_f16 v83, v93, v89
	v_perm_b32 v142, v166, v166, 0x2010003
	v_perm_b32 v143, v167, v167, 0x2010003
	;; [unrolled: 1-line block ×3, first 2 shown]
	v_dot4_i32_iu8 v81, v80, v178, v81 neg_lo:[1,1,0]
	v_perm_b32 v145, v169, v169, 0x6010007
	s_delay_alu instid0(VALU_DEP_2) | instskip(NEXT) | instid1(VALU_DEP_1)
	v_cvt_f32_i32_e32 v81, v81
	v_fma_mix_f32 v147, v141, v81, v141 op_sel:[0,0,1] op_sel_hi:[1,0,1]
	v_dot4_i32_iu8 v81, v90, v148, 0 neg_lo:[1,1,0]
	v_perm_b32 v141, v85, v85, 0x2010003
	s_delay_alu instid0(VALU_DEP_3) | instskip(NEXT) | instid1(VALU_DEP_3)
	v_pk_add_f32 v[64:65], v[64:65], v[146:147]
	v_dot4_i32_iu8 v81, v92, v149, v81 neg_lo:[1,1,0]
	v_perm_b32 v146, v170, v170, 0x2010003
	v_perm_b32 v147, v171, v171, 0x2010003
	s_delay_alu instid0(VALU_DEP_3) | instskip(NEXT) | instid1(VALU_DEP_1)
	v_dot4_i32_iu8 v81, v140, v150, v81 neg_lo:[1,1,0]
	v_dot4_i32_iu8 v81, v161, v151, v81 neg_lo:[1,1,0]
	s_delay_alu instid0(VALU_DEP_1) | instskip(NEXT) | instid1(VALU_DEP_1)
	v_dot4_i32_iu8 v81, v184, v152, v81 neg_lo:[1,1,0]
	v_dot4_i32_iu8 v81, v94, v153, v81 neg_lo:[1,1,0]
	s_delay_alu instid0(VALU_DEP_1) | instskip(NEXT) | instid1(VALU_DEP_1)
	;; [unrolled: 3-line block ×3, first 2 shown]
	v_cvt_f32_i32_e32 v81, v81
	v_fma_mix_f32 v165, v83, v81, v83 op_sel:[0,0,1] op_sel_hi:[1,0,1]
	v_dot4_i32_iu8 v81, v90, v141, 0 neg_lo:[1,1,0]
	v_pk_mul_f16 v83, v136, v89
	v_pk_mul_f16 v89, v137, v89
	s_delay_alu instid0(VALU_DEP_4) | instskip(NEXT) | instid1(VALU_DEP_4)
	v_pk_add_f32 v[74:75], v[74:75], v[164:165]
	v_dot4_i32_iu8 v81, v92, v142, v81 neg_lo:[1,1,0]
	s_delay_alu instid0(VALU_DEP_1) | instskip(NEXT) | instid1(VALU_DEP_1)
	v_dot4_i32_iu8 v81, v140, v143, v81 neg_lo:[1,1,0]
	v_dot4_i32_iu8 v81, v161, v144, v81 neg_lo:[1,1,0]
	s_delay_alu instid0(VALU_DEP_1) | instskip(NEXT) | instid1(VALU_DEP_1)
	v_dot4_i32_iu8 v81, v184, v145, v81 neg_lo:[1,1,0]
	;; [unrolled: 3-line block ×3, first 2 shown]
	v_dot4_i32_iu8 v81, v178, v84, v81 neg_lo:[1,1,0]
	s_delay_alu instid0(VALU_DEP_1) | instskip(NEXT) | instid1(VALU_DEP_1)
	v_cvt_f32_i32_e32 v81, v81
	v_fma_mix_f32 v173, v83, v81, v83 op_sel:[0,0,1] op_sel_hi:[1,0,1]
	v_perm_b32 v81, v87, v87, 0x2010003
	v_perm_b32 v83, v138, v138, 0x2010003
	;; [unrolled: 1-line block ×3, first 2 shown]
	s_delay_alu instid0(VALU_DEP_4) | instskip(NEXT) | instid1(VALU_DEP_4)
	v_pk_add_f32 v[76:77], v[76:77], v[172:173]
	v_dot4_i32_iu8 v85, v90, v81, 0 neg_lo:[1,1,0]
	s_delay_alu instid0(VALU_DEP_1) | instskip(SKIP_2) | instid1(VALU_DEP_2)
	v_dot4_i32_iu8 v87, v92, v83, v85 neg_lo:[1,1,0]
	v_perm_b32 v85, v139, v139, 0x2010003
	v_perm_b32 v139, v176, v176, 0x2010003
	v_dot4_i32_iu8 v90, v140, v85, v87 neg_lo:[1,1,0]
	v_perm_b32 v87, v174, v174, 0x2010003
	v_perm_b32 v140, v177, v177, 0x2010003
	s_delay_alu instid0(VALU_DEP_2) | instskip(NEXT) | instid1(VALU_DEP_1)
	v_dot4_i32_iu8 v90, v161, v87, v90 neg_lo:[1,1,0]
	v_dot4_i32_iu8 v90, v184, v138, v90 neg_lo:[1,1,0]
	s_delay_alu instid0(VALU_DEP_1) | instskip(NEXT) | instid1(VALU_DEP_1)
	v_dot4_i32_iu8 v90, v94, v139, v90 neg_lo:[1,1,0]
	v_dot4_i32_iu8 v90, v179, v140, v90 neg_lo:[1,1,0]
	s_delay_alu instid0(VALU_DEP_1) | instskip(NEXT) | instid1(VALU_DEP_1)
	v_dot4_i32_iu8 v90, v178, v86, v90 neg_lo:[1,1,0]
	v_cvt_f32_i32_e32 v90, v90
	s_delay_alu instid0(VALU_DEP_1) | instskip(SKIP_1) | instid1(VALU_DEP_2)
	v_fma_mix_f32 v89, v89, v90, v89 op_sel:[0,0,1] op_sel_hi:[1,0,1]
	v_add_nc_u32_e32 v90, 0x804, v97
	v_pk_add_f32 v[78:79], v[78:79], v[88:89]
	v_add_nc_u32_e32 v88, 0x80c, v97
	ds_load_2addr_b32 v[162:163], v90 offset1:1
	v_add_nc_u32_e32 v90, 0x814, v97
	ds_load_2addr_b32 v[88:89], v88 offset1:1
	ds_load_2addr_b32 v[164:165], v90 offset1:1
	v_add_nc_u32_e32 v90, 0x800, v97
	ds_load_2addr_b32 v[166:167], v90 offset1:7
	ds_load_2addr_b32 v[168:169], v96 offset0:64 offset1:96
	s_wait_dscnt 0x4
	v_dual_lshlrev_b32 v94, 16, v162 :: v_dual_lshlrev_b32 v161, 8, v162
	v_dual_lshlrev_b32 v172, 16, v163 :: v_dual_lshlrev_b32 v173, 8, v163
	s_wait_dscnt 0x3
	v_dual_lshlrev_b32 v90, 16, v89 :: v_dual_lshlrev_b32 v92, 8, v89
	v_perm_b32 v89, v89, v89, 0xc0c0003
	s_wait_dscnt 0x2
	v_dual_lshlrev_b32 v170, 16, v164 :: v_dual_lshlrev_b32 v171, 8, v164
	v_lshlrev_b32_e32 v174, 16, v165
	v_perm_b32 v90, v92, v90, 0x7030c0c
	s_wait_dscnt 0x1
	v_lshlrev_b32_e32 v179, 8, v167
	v_perm_b32 v92, v161, v94, 0x7030c0c
	v_perm_b32 v94, v162, v162, 0xc0c0003
	v_perm_b32 v161, v164, v164, 0xc0c0003
	v_or_b32_e32 v89, v90, v89
	v_lshlrev_b32_e32 v175, 8, v165
	v_perm_b32 v162, v163, v163, 0xc0c0003
	v_or_b32_e32 v92, v92, v94
	v_perm_b32 v94, v171, v170, 0x7030c0c
	v_dot4_i32_iu8 v90, v89, v95, 0 neg_lo:[1,1,0]
	v_dual_lshlrev_b32 v176, 16, v88 :: v_dual_lshlrev_b32 v177, 8, v88
	v_perm_b32 v163, v165, v165, 0xc0c0003
	s_delay_alu instid0(VALU_DEP_4) | instskip(NEXT) | instid1(VALU_DEP_4)
	v_or_b32_e32 v94, v94, v161
	v_dot4_i32_iu8 v90, v92, v155, v90 neg_lo:[1,1,0]
	v_perm_b32 v161, v173, v172, 0x7030c0c
	v_perm_b32 v88, v88, v88, 0xc0c0003
	v_lshlrev_b32_e32 v178, 16, v167
	s_wait_dscnt 0x0
	v_pk_mul_f16 v164, v93, v168
	v_dot4_i32_iu8 v90, v94, v156, v90 neg_lo:[1,1,0]
	v_or_b32_e32 v161, v161, v162
	v_perm_b32 v162, v175, v174, 0x7030c0c
	s_delay_alu instid0(VALU_DEP_2) | instskip(NEXT) | instid1(VALU_DEP_2)
	v_dot4_i32_iu8 v90, v161, v157, v90 neg_lo:[1,1,0]
	v_or_b32_e32 v163, v162, v163
	v_perm_b32 v162, v177, v176, 0x7030c0c
	s_delay_alu instid0(VALU_DEP_2) | instskip(NEXT) | instid1(VALU_DEP_2)
	v_dot4_i32_iu8 v90, v163, v158, v90 neg_lo:[1,1,0]
	v_or_b32_e32 v165, v162, v88
	v_perm_b32 v162, v167, v167, 0xc0c0003
	v_pk_mul_f16 v167, v136, v168
	s_delay_alu instid0(VALU_DEP_3) | instskip(SKIP_1) | instid1(VALU_DEP_1)
	v_dot4_i32_iu8 v88, v165, v159, v90 neg_lo:[1,1,0]
	v_perm_b32 v90, v179, v178, 0x7030c0c
	v_or_b32_e32 v90, v90, v162
	v_pk_mul_f16 v162, v91, v168
	s_delay_alu instid0(VALU_DEP_2) | instskip(NEXT) | instid1(VALU_DEP_1)
	v_dot4_i32_iu8 v88, v90, v160, v88 neg_lo:[1,1,0]
	v_dot4_i32_iu8 v88, v80, v166, v88 neg_lo:[1,1,0]
	s_delay_alu instid0(VALU_DEP_1) | instskip(NEXT) | instid1(VALU_DEP_1)
	v_cvt_f32_i32_e32 v88, v88
	v_fma_mix_f32 v88, v162, v88, v162 op_sel:[0,0,1] op_sel_hi:[1,0,1]
	v_dot4_i32_iu8 v162, v89, v148, 0 neg_lo:[1,1,0]
	s_delay_alu instid0(VALU_DEP_1) | instskip(NEXT) | instid1(VALU_DEP_1)
	v_dot4_i32_iu8 v162, v92, v149, v162 neg_lo:[1,1,0]
	v_dot4_i32_iu8 v162, v94, v150, v162 neg_lo:[1,1,0]
	s_delay_alu instid0(VALU_DEP_1) | instskip(NEXT) | instid1(VALU_DEP_1)
	v_dot4_i32_iu8 v162, v161, v151, v162 neg_lo:[1,1,0]
	;; [unrolled: 3-line block ×4, first 2 shown]
	v_cvt_f32_i32_e32 v162, v162
	s_delay_alu instid0(VALU_DEP_1) | instskip(SKIP_2) | instid1(VALU_DEP_2)
	v_fma_mix_f32 v162, v164, v162, v164 op_sel:[0,0,1] op_sel_hi:[1,0,1]
	v_dot4_i32_iu8 v164, v89, v141, 0 neg_lo:[1,1,0]
	v_dot4_i32_iu8 v89, v89, v81, 0 neg_lo:[1,1,0]
	;; [unrolled: 1-line block ×3, first 2 shown]
	s_delay_alu instid0(VALU_DEP_2) | instskip(NEXT) | instid1(VALU_DEP_2)
	v_dot4_i32_iu8 v89, v92, v83, v89 neg_lo:[1,1,0]
	v_dot4_i32_iu8 v164, v94, v143, v164 neg_lo:[1,1,0]
	s_delay_alu instid0(VALU_DEP_2) | instskip(NEXT) | instid1(VALU_DEP_2)
	v_dot4_i32_iu8 v89, v94, v85, v89 neg_lo:[1,1,0]
	v_dot4_i32_iu8 v164, v161, v144, v164 neg_lo:[1,1,0]
	;; [unrolled: 3-line block ×5, first 2 shown]
	s_delay_alu instid0(VALU_DEP_2) | instskip(SKIP_1) | instid1(VALU_DEP_3)
	v_dot4_i32_iu8 v89, v90, v140, v89 neg_lo:[1,1,0]
	v_pk_mul_f16 v90, v137, v168
	v_dot4_i32_iu8 v164, v166, v84, v164 neg_lo:[1,1,0]
	s_delay_alu instid0(VALU_DEP_3) | instskip(NEXT) | instid1(VALU_DEP_2)
	v_dot4_i32_iu8 v89, v166, v86, v89 neg_lo:[1,1,0]
	v_cvt_f32_i32_e32 v164, v164
	s_delay_alu instid0(VALU_DEP_2) | instskip(NEXT) | instid1(VALU_DEP_2)
	v_cvt_f32_i32_e32 v89, v89
	v_fma_mix_f32 v164, v167, v164, v167 op_sel:[0,0,1] op_sel_hi:[1,0,1]
	s_delay_alu instid0(VALU_DEP_2)
	v_fma_mix_f32 v166, v90, v89, v90 op_sel:[0,0,1] op_sel_hi:[1,0,1]
	v_add_nc_u32_e32 v89, 0xc0c, v97
	ds_load_2addr_b32 v[170:171], v89 offset1:1
	v_add_nc_u32_e32 v89, 0xc04, v97
	ds_load_2addr_b32 v[172:173], v89 offset1:1
	;; [unrolled: 2-line block ×4, first 2 shown]
	s_wait_dscnt 0x3
	v_dual_lshlrev_b32 v89, 16, v171 :: v_dual_lshlrev_b32 v90, 8, v171
	v_dual_lshlrev_b32 v179, 16, v170 :: v_dual_lshlrev_b32 v180, 8, v170
	s_wait_dscnt 0x2
	v_dual_lshlrev_b32 v92, 16, v172 :: v_dual_lshlrev_b32 v94, 8, v172
	s_delay_alu instid0(VALU_DEP_3)
	v_perm_b32 v89, v90, v89, 0x7030c0c
	v_perm_b32 v90, v171, v171, 0xc0c0003
	v_dual_lshlrev_b32 v165, 16, v173 :: v_dual_lshlrev_b32 v167, 8, v173
	s_wait_dscnt 0x1
	v_dual_lshlrev_b32 v168, 16, v175 :: v_dual_lshlrev_b32 v161, 16, v174
	v_lshlrev_b32_e32 v163, 8, v174
	v_or_b32_e32 v90, v89, v90
	v_perm_b32 v92, v94, v92, 0x7030c0c
	v_perm_b32 v94, v172, v172, 0xc0c0003
	s_wait_dscnt 0x0
	v_dual_lshlrev_b32 v182, 8, v177 :: v_dual_lshlrev_b32 v178, 8, v175
	v_dot4_i32_iu8 v89, v90, v95, 0 neg_lo:[1,1,0]
	s_delay_alu instid0(VALU_DEP_3) | instskip(SKIP_3) | instid1(VALU_DEP_4)
	v_dual_lshlrev_b32 v181, 16, v177 :: v_dual_bitop2_b32 v92, v92, v94 bitop3:0x54
	v_perm_b32 v94, v163, v161, 0x7030c0c
	v_perm_b32 v161, v174, v174, 0xc0c0003
	;; [unrolled: 1-line block ×3, first 2 shown]
	v_dot4_i32_iu8 v89, v92, v155, v89 neg_lo:[1,1,0]
	s_delay_alu instid0(VALU_DEP_3) | instskip(SKIP_2) | instid1(VALU_DEP_3)
	v_or_b32_e32 v94, v94, v161
	v_perm_b32 v161, v167, v165, 0x7030c0c
	v_perm_b32 v165, v175, v175, 0xc0c0003
	v_dot4_i32_iu8 v89, v94, v156, v89 neg_lo:[1,1,0]
	s_delay_alu instid0(VALU_DEP_3) | instskip(SKIP_1) | instid1(VALU_DEP_2)
	v_or_b32_e32 v161, v161, v163
	v_perm_b32 v163, v178, v168, 0x7030c0c
	v_dot4_i32_iu8 v89, v161, v157, v89 neg_lo:[1,1,0]
	s_delay_alu instid0(VALU_DEP_2) | instskip(SKIP_2) | instid1(VALU_DEP_3)
	v_or_b32_e32 v167, v163, v165
	v_perm_b32 v163, v180, v179, 0x7030c0c
	v_perm_b32 v165, v170, v170, 0xc0c0003
	v_dot4_i32_iu8 v89, v167, v158, v89 neg_lo:[1,1,0]
	s_delay_alu instid0(VALU_DEP_2) | instskip(SKIP_2) | instid1(VALU_DEP_3)
	v_or_b32_e32 v168, v163, v165
	v_perm_b32 v163, v182, v181, 0x7030c0c
	v_perm_b32 v165, v177, v177, 0xc0c0003
	v_dot4_i32_iu8 v89, v168, v159, v89 neg_lo:[1,1,0]
	s_delay_alu instid0(VALU_DEP_2) | instskip(SKIP_1) | instid1(VALU_DEP_2)
	v_or_b32_e32 v170, v163, v165
	v_pk_mul_f16 v163, v91, v169
	v_dot4_i32_iu8 v89, v170, v160, v89 neg_lo:[1,1,0]
	s_delay_alu instid0(VALU_DEP_1) | instskip(NEXT) | instid1(VALU_DEP_1)
	v_dot4_i32_iu8 v89, v80, v176, v89 neg_lo:[1,1,0]
	v_cvt_f32_i32_e32 v89, v89
	s_delay_alu instid0(VALU_DEP_1) | instskip(NEXT) | instid1(VALU_DEP_1)
	v_fma_mix_f32 v89, v163, v89, v163 op_sel:[0,0,1] op_sel_hi:[1,0,1]
	v_pk_add_f32 v[46:47], v[46:47], v[88:89]
	v_dot4_i32_iu8 v88, v90, v148, 0 neg_lo:[1,1,0]
	v_pk_mul_f16 v89, v93, v169
	s_delay_alu instid0(VALU_DEP_2) | instskip(NEXT) | instid1(VALU_DEP_1)
	v_dot4_i32_iu8 v88, v92, v149, v88 neg_lo:[1,1,0]
	v_dot4_i32_iu8 v88, v94, v150, v88 neg_lo:[1,1,0]
	s_delay_alu instid0(VALU_DEP_1) | instskip(NEXT) | instid1(VALU_DEP_1)
	v_dot4_i32_iu8 v88, v161, v151, v88 neg_lo:[1,1,0]
	v_dot4_i32_iu8 v88, v167, v152, v88 neg_lo:[1,1,0]
	s_delay_alu instid0(VALU_DEP_1) | instskip(NEXT) | instid1(VALU_DEP_1)
	;; [unrolled: 3-line block ×3, first 2 shown]
	v_dot4_i32_iu8 v88, v176, v82, v88 neg_lo:[1,1,0]
	v_cvt_f32_i32_e32 v88, v88
	s_delay_alu instid0(VALU_DEP_1) | instskip(SKIP_2) | instid1(VALU_DEP_3)
	v_fma_mix_f32 v163, v89, v88, v89 op_sel:[0,0,1] op_sel_hi:[1,0,1]
	v_dot4_i32_iu8 v88, v90, v141, 0 neg_lo:[1,1,0]
	v_pk_mul_f16 v89, v136, v169
	v_pk_add_f32 v[56:57], v[56:57], v[162:163]
	s_delay_alu instid0(VALU_DEP_3) | instskip(NEXT) | instid1(VALU_DEP_1)
	v_dot4_i32_iu8 v88, v92, v142, v88 neg_lo:[1,1,0]
	v_dot4_i32_iu8 v88, v94, v143, v88 neg_lo:[1,1,0]
	s_delay_alu instid0(VALU_DEP_1) | instskip(NEXT) | instid1(VALU_DEP_1)
	v_dot4_i32_iu8 v88, v161, v144, v88 neg_lo:[1,1,0]
	v_dot4_i32_iu8 v88, v167, v145, v88 neg_lo:[1,1,0]
	s_delay_alu instid0(VALU_DEP_1) | instskip(NEXT) | instid1(VALU_DEP_1)
	;; [unrolled: 3-line block ×3, first 2 shown]
	v_dot4_i32_iu8 v88, v176, v84, v88 neg_lo:[1,1,0]
	v_cvt_f32_i32_e32 v88, v88
	s_delay_alu instid0(VALU_DEP_1) | instskip(SKIP_3) | instid1(VALU_DEP_4)
	v_fma_mix_f32 v165, v89, v88, v89 op_sel:[0,0,1] op_sel_hi:[1,0,1]
	v_dot4_i32_iu8 v88, v90, v81, 0 neg_lo:[1,1,0]
	v_pk_mul_f16 v89, v137, v169
	v_add_nc_u32_e32 v90, 0x1004, v97
	v_pk_add_f32 v[66:67], v[66:67], v[164:165]
	s_delay_alu instid0(VALU_DEP_4)
	v_dot4_i32_iu8 v88, v92, v83, v88 neg_lo:[1,1,0]
	ds_load_2addr_b32 v[162:163], v90 offset1:1
	v_add_nc_u32_e32 v90, 0x1014, v97
	v_dot4_i32_iu8 v88, v94, v85, v88 neg_lo:[1,1,0]
	ds_load_2addr_b32 v[164:165], v90 offset1:1
	v_add_nc_u32_e32 v90, 0x1000, v97
	v_dot4_i32_iu8 v88, v161, v87, v88 neg_lo:[1,1,0]
	s_delay_alu instid0(VALU_DEP_1) | instskip(NEXT) | instid1(VALU_DEP_1)
	v_dot4_i32_iu8 v88, v167, v138, v88 neg_lo:[1,1,0]
	v_dot4_i32_iu8 v88, v168, v139, v88 neg_lo:[1,1,0]
	s_wait_dscnt 0x1
	v_dual_lshlrev_b32 v94, 16, v162 :: v_dual_lshlrev_b32 v161, 8, v162
	v_dual_lshlrev_b32 v172, 16, v163 :: v_dual_lshlrev_b32 v173, 8, v163
	s_delay_alu instid0(VALU_DEP_3) | instskip(SKIP_3) | instid1(VALU_DEP_3)
	v_dot4_i32_iu8 v88, v170, v140, v88 neg_lo:[1,1,0]
	s_wait_dscnt 0x0
	v_dual_lshlrev_b32 v170, 16, v164 :: v_dual_lshlrev_b32 v171, 8, v164
	v_dual_lshlrev_b32 v174, 16, v165 :: v_dual_lshlrev_b32 v175, 8, v165
	v_dot4_i32_iu8 v88, v176, v86, v88 neg_lo:[1,1,0]
	s_delay_alu instid0(VALU_DEP_1) | instskip(NEXT) | instid1(VALU_DEP_1)
	v_cvt_f32_i32_e32 v88, v88
	v_fma_mix_f32 v167, v89, v88, v89 op_sel:[0,0,1] op_sel_hi:[1,0,1]
	v_add_nc_u32_e32 v88, 0x100c, v97
	s_delay_alu instid0(VALU_DEP_2)
	v_pk_add_f32 v[72:73], v[72:73], v[166:167]
	ds_load_2addr_b32 v[88:89], v88 offset1:1
	ds_load_2addr_b32 v[166:167], v90 offset1:7
	ds_load_2addr_b32 v[168:169], v96 offset0:128 offset1:160
	s_wait_dscnt 0x2
	v_dual_lshlrev_b32 v90, 16, v89 :: v_dual_lshlrev_b32 v92, 8, v89
	v_perm_b32 v89, v89, v89, 0xc0c0003
	v_dual_lshlrev_b32 v176, 16, v88 :: v_dual_lshlrev_b32 v177, 8, v88
	v_perm_b32 v88, v88, v88, 0xc0c0003
	s_delay_alu instid0(VALU_DEP_4)
	v_perm_b32 v90, v92, v90, 0x7030c0c
	v_perm_b32 v92, v161, v94, 0x7030c0c
	;; [unrolled: 1-line block ×5, first 2 shown]
	v_or_b32_e32 v89, v90, v89
	v_perm_b32 v163, v165, v165, 0xc0c0003
	v_or_b32_e32 v92, v92, v94
	v_perm_b32 v94, v171, v170, 0x7030c0c
	s_wait_dscnt 0x1
	v_dual_lshlrev_b32 v178, 16, v167 :: v_dual_lshlrev_b32 v179, 8, v167
	v_dot4_i32_iu8 v90, v89, v95, 0 neg_lo:[1,1,0]
	s_wait_dscnt 0x0
	v_pk_mul_f16 v164, v93, v168
	v_or_b32_e32 v94, v94, v161
	v_perm_b32 v161, v173, v172, 0x7030c0c
	v_dot4_i32_iu8 v90, v92, v155, v90 neg_lo:[1,1,0]
	s_delay_alu instid0(VALU_DEP_2) | instskip(SKIP_1) | instid1(VALU_DEP_3)
	v_or_b32_e32 v161, v161, v162
	v_perm_b32 v162, v175, v174, 0x7030c0c
	v_dot4_i32_iu8 v90, v94, v156, v90 neg_lo:[1,1,0]
	s_delay_alu instid0(VALU_DEP_2) | instskip(NEXT) | instid1(VALU_DEP_2)
	v_or_b32_e32 v163, v162, v163
	v_dot4_i32_iu8 v90, v161, v157, v90 neg_lo:[1,1,0]
	v_perm_b32 v162, v177, v176, 0x7030c0c
	s_delay_alu instid0(VALU_DEP_2) | instskip(NEXT) | instid1(VALU_DEP_2)
	v_dot4_i32_iu8 v90, v163, v158, v90 neg_lo:[1,1,0]
	v_or_b32_e32 v165, v162, v88
	v_perm_b32 v162, v167, v167, 0xc0c0003
	v_pk_mul_f16 v167, v136, v168
	s_delay_alu instid0(VALU_DEP_3) | instskip(SKIP_1) | instid1(VALU_DEP_1)
	v_dot4_i32_iu8 v88, v165, v159, v90 neg_lo:[1,1,0]
	v_perm_b32 v90, v179, v178, 0x7030c0c
	v_or_b32_e32 v90, v90, v162
	v_pk_mul_f16 v162, v91, v168
	s_delay_alu instid0(VALU_DEP_2) | instskip(NEXT) | instid1(VALU_DEP_1)
	v_dot4_i32_iu8 v88, v90, v160, v88 neg_lo:[1,1,0]
	v_dot4_i32_iu8 v88, v80, v166, v88 neg_lo:[1,1,0]
	s_delay_alu instid0(VALU_DEP_1) | instskip(NEXT) | instid1(VALU_DEP_1)
	v_cvt_f32_i32_e32 v88, v88
	v_fma_mix_f32 v88, v162, v88, v162 op_sel:[0,0,1] op_sel_hi:[1,0,1]
	v_dot4_i32_iu8 v162, v89, v148, 0 neg_lo:[1,1,0]
	s_delay_alu instid0(VALU_DEP_1) | instskip(NEXT) | instid1(VALU_DEP_1)
	v_dot4_i32_iu8 v162, v92, v149, v162 neg_lo:[1,1,0]
	v_dot4_i32_iu8 v162, v94, v150, v162 neg_lo:[1,1,0]
	s_delay_alu instid0(VALU_DEP_1) | instskip(NEXT) | instid1(VALU_DEP_1)
	v_dot4_i32_iu8 v162, v161, v151, v162 neg_lo:[1,1,0]
	;; [unrolled: 3-line block ×4, first 2 shown]
	v_cvt_f32_i32_e32 v162, v162
	s_delay_alu instid0(VALU_DEP_1) | instskip(SKIP_2) | instid1(VALU_DEP_2)
	v_fma_mix_f32 v162, v164, v162, v164 op_sel:[0,0,1] op_sel_hi:[1,0,1]
	v_dot4_i32_iu8 v164, v89, v141, 0 neg_lo:[1,1,0]
	v_dot4_i32_iu8 v89, v89, v81, 0 neg_lo:[1,1,0]
	;; [unrolled: 1-line block ×3, first 2 shown]
	s_delay_alu instid0(VALU_DEP_2) | instskip(NEXT) | instid1(VALU_DEP_2)
	v_dot4_i32_iu8 v89, v92, v83, v89 neg_lo:[1,1,0]
	v_dot4_i32_iu8 v164, v94, v143, v164 neg_lo:[1,1,0]
	s_delay_alu instid0(VALU_DEP_2) | instskip(NEXT) | instid1(VALU_DEP_2)
	v_dot4_i32_iu8 v89, v94, v85, v89 neg_lo:[1,1,0]
	v_dot4_i32_iu8 v164, v161, v144, v164 neg_lo:[1,1,0]
	s_delay_alu instid0(VALU_DEP_2) | instskip(NEXT) | instid1(VALU_DEP_2)
	v_dot4_i32_iu8 v89, v161, v87, v89 neg_lo:[1,1,0]
	v_dot4_i32_iu8 v164, v163, v145, v164 neg_lo:[1,1,0]
	s_delay_alu instid0(VALU_DEP_2) | instskip(NEXT) | instid1(VALU_DEP_2)
	v_dot4_i32_iu8 v89, v163, v138, v89 neg_lo:[1,1,0]
	v_dot4_i32_iu8 v164, v165, v146, v164 neg_lo:[1,1,0]
	s_delay_alu instid0(VALU_DEP_2) | instskip(NEXT) | instid1(VALU_DEP_2)
	v_dot4_i32_iu8 v89, v165, v139, v89 neg_lo:[1,1,0]
	v_dot4_i32_iu8 v164, v90, v147, v164 neg_lo:[1,1,0]
	s_delay_alu instid0(VALU_DEP_2) | instskip(SKIP_1) | instid1(VALU_DEP_3)
	v_dot4_i32_iu8 v89, v90, v140, v89 neg_lo:[1,1,0]
	v_pk_mul_f16 v90, v137, v168
	v_dot4_i32_iu8 v164, v166, v84, v164 neg_lo:[1,1,0]
	s_delay_alu instid0(VALU_DEP_3) | instskip(NEXT) | instid1(VALU_DEP_2)
	v_dot4_i32_iu8 v89, v166, v86, v89 neg_lo:[1,1,0]
	v_cvt_f32_i32_e32 v164, v164
	s_delay_alu instid0(VALU_DEP_2) | instskip(NEXT) | instid1(VALU_DEP_2)
	v_cvt_f32_i32_e32 v89, v89
	v_fma_mix_f32 v164, v167, v164, v167 op_sel:[0,0,1] op_sel_hi:[1,0,1]
	s_delay_alu instid0(VALU_DEP_2)
	v_fma_mix_f32 v166, v90, v89, v90 op_sel:[0,0,1] op_sel_hi:[1,0,1]
	v_add_nc_u32_e32 v89, 0x140c, v97
	ds_load_2addr_b32 v[170:171], v89 offset1:1
	v_add_nc_u32_e32 v89, 0x1404, v97
	ds_load_2addr_b32 v[172:173], v89 offset1:1
	;; [unrolled: 2-line block ×4, first 2 shown]
	s_wait_dscnt 0x3
	v_dual_lshlrev_b32 v89, 16, v171 :: v_dual_lshlrev_b32 v90, 8, v171
	v_dual_lshlrev_b32 v179, 16, v170 :: v_dual_lshlrev_b32 v180, 8, v170
	s_wait_dscnt 0x2
	v_dual_lshlrev_b32 v92, 16, v172 :: v_dual_lshlrev_b32 v94, 8, v172
	s_delay_alu instid0(VALU_DEP_3)
	v_perm_b32 v89, v90, v89, 0x7030c0c
	v_perm_b32 v90, v171, v171, 0xc0c0003
	v_dual_lshlrev_b32 v165, 16, v173 :: v_dual_lshlrev_b32 v167, 8, v173
	s_wait_dscnt 0x1
	v_dual_lshlrev_b32 v168, 16, v175 :: v_dual_lshlrev_b32 v161, 16, v174
	v_lshlrev_b32_e32 v163, 8, v174
	v_or_b32_e32 v90, v89, v90
	v_perm_b32 v92, v94, v92, 0x7030c0c
	v_perm_b32 v94, v172, v172, 0xc0c0003
	s_wait_dscnt 0x0
	v_dual_lshlrev_b32 v182, 8, v177 :: v_dual_lshlrev_b32 v178, 8, v175
	v_dot4_i32_iu8 v89, v90, v95, 0 neg_lo:[1,1,0]
	s_delay_alu instid0(VALU_DEP_3) | instskip(SKIP_3) | instid1(VALU_DEP_4)
	v_dual_lshlrev_b32 v181, 16, v177 :: v_dual_bitop2_b32 v92, v92, v94 bitop3:0x54
	v_perm_b32 v94, v163, v161, 0x7030c0c
	v_perm_b32 v161, v174, v174, 0xc0c0003
	;; [unrolled: 1-line block ×3, first 2 shown]
	v_dot4_i32_iu8 v89, v92, v155, v89 neg_lo:[1,1,0]
	s_delay_alu instid0(VALU_DEP_3) | instskip(SKIP_2) | instid1(VALU_DEP_3)
	v_or_b32_e32 v94, v94, v161
	v_perm_b32 v161, v167, v165, 0x7030c0c
	v_perm_b32 v165, v175, v175, 0xc0c0003
	v_dot4_i32_iu8 v89, v94, v156, v89 neg_lo:[1,1,0]
	s_delay_alu instid0(VALU_DEP_3) | instskip(SKIP_1) | instid1(VALU_DEP_2)
	v_or_b32_e32 v161, v161, v163
	v_perm_b32 v163, v178, v168, 0x7030c0c
	v_dot4_i32_iu8 v89, v161, v157, v89 neg_lo:[1,1,0]
	s_delay_alu instid0(VALU_DEP_2) | instskip(SKIP_2) | instid1(VALU_DEP_3)
	v_or_b32_e32 v167, v163, v165
	v_perm_b32 v163, v180, v179, 0x7030c0c
	v_perm_b32 v165, v170, v170, 0xc0c0003
	v_dot4_i32_iu8 v89, v167, v158, v89 neg_lo:[1,1,0]
	s_delay_alu instid0(VALU_DEP_2) | instskip(SKIP_2) | instid1(VALU_DEP_3)
	v_or_b32_e32 v168, v163, v165
	v_perm_b32 v163, v182, v181, 0x7030c0c
	v_perm_b32 v165, v177, v177, 0xc0c0003
	v_dot4_i32_iu8 v89, v168, v159, v89 neg_lo:[1,1,0]
	s_delay_alu instid0(VALU_DEP_2) | instskip(SKIP_1) | instid1(VALU_DEP_2)
	v_or_b32_e32 v170, v163, v165
	v_pk_mul_f16 v163, v91, v169
	v_dot4_i32_iu8 v89, v170, v160, v89 neg_lo:[1,1,0]
	s_delay_alu instid0(VALU_DEP_1) | instskip(NEXT) | instid1(VALU_DEP_1)
	v_dot4_i32_iu8 v89, v80, v176, v89 neg_lo:[1,1,0]
	v_cvt_f32_i32_e32 v89, v89
	s_delay_alu instid0(VALU_DEP_1) | instskip(NEXT) | instid1(VALU_DEP_1)
	v_fma_mix_f32 v89, v163, v89, v163 op_sel:[0,0,1] op_sel_hi:[1,0,1]
	v_pk_add_f32 v[24:25], v[24:25], v[88:89]
	v_dot4_i32_iu8 v88, v90, v148, 0 neg_lo:[1,1,0]
	v_pk_mul_f16 v89, v93, v169
	s_delay_alu instid0(VALU_DEP_2) | instskip(NEXT) | instid1(VALU_DEP_1)
	v_dot4_i32_iu8 v88, v92, v149, v88 neg_lo:[1,1,0]
	v_dot4_i32_iu8 v88, v94, v150, v88 neg_lo:[1,1,0]
	s_delay_alu instid0(VALU_DEP_1) | instskip(NEXT) | instid1(VALU_DEP_1)
	v_dot4_i32_iu8 v88, v161, v151, v88 neg_lo:[1,1,0]
	v_dot4_i32_iu8 v88, v167, v152, v88 neg_lo:[1,1,0]
	s_delay_alu instid0(VALU_DEP_1) | instskip(NEXT) | instid1(VALU_DEP_1)
	;; [unrolled: 3-line block ×3, first 2 shown]
	v_dot4_i32_iu8 v88, v176, v82, v88 neg_lo:[1,1,0]
	v_cvt_f32_i32_e32 v88, v88
	s_delay_alu instid0(VALU_DEP_1) | instskip(SKIP_2) | instid1(VALU_DEP_3)
	v_fma_mix_f32 v163, v89, v88, v89 op_sel:[0,0,1] op_sel_hi:[1,0,1]
	v_dot4_i32_iu8 v88, v90, v141, 0 neg_lo:[1,1,0]
	v_pk_mul_f16 v89, v136, v169
	v_pk_add_f32 v[34:35], v[34:35], v[162:163]
	s_delay_alu instid0(VALU_DEP_3) | instskip(NEXT) | instid1(VALU_DEP_1)
	v_dot4_i32_iu8 v88, v92, v142, v88 neg_lo:[1,1,0]
	v_dot4_i32_iu8 v88, v94, v143, v88 neg_lo:[1,1,0]
	s_delay_alu instid0(VALU_DEP_1) | instskip(NEXT) | instid1(VALU_DEP_1)
	v_dot4_i32_iu8 v88, v161, v144, v88 neg_lo:[1,1,0]
	v_dot4_i32_iu8 v88, v167, v145, v88 neg_lo:[1,1,0]
	s_delay_alu instid0(VALU_DEP_1) | instskip(NEXT) | instid1(VALU_DEP_1)
	;; [unrolled: 3-line block ×3, first 2 shown]
	v_dot4_i32_iu8 v88, v176, v84, v88 neg_lo:[1,1,0]
	v_cvt_f32_i32_e32 v88, v88
	s_delay_alu instid0(VALU_DEP_1) | instskip(SKIP_2) | instid1(VALU_DEP_3)
	v_fma_mix_f32 v165, v89, v88, v89 op_sel:[0,0,1] op_sel_hi:[1,0,1]
	v_dot4_i32_iu8 v88, v90, v81, 0 neg_lo:[1,1,0]
	v_pk_mul_f16 v89, v137, v169
	v_pk_add_f32 v[42:43], v[42:43], v[164:165]
	s_delay_alu instid0(VALU_DEP_3) | instskip(NEXT) | instid1(VALU_DEP_1)
	v_dot4_i32_iu8 v88, v92, v83, v88 neg_lo:[1,1,0]
	v_dot4_i32_iu8 v88, v94, v85, v88 neg_lo:[1,1,0]
	s_delay_alu instid0(VALU_DEP_1) | instskip(NEXT) | instid1(VALU_DEP_1)
	v_dot4_i32_iu8 v88, v161, v87, v88 neg_lo:[1,1,0]
	v_dot4_i32_iu8 v88, v167, v138, v88 neg_lo:[1,1,0]
	s_delay_alu instid0(VALU_DEP_1) | instskip(NEXT) | instid1(VALU_DEP_1)
	;; [unrolled: 3-line block ×3, first 2 shown]
	v_dot4_i32_iu8 v88, v176, v86, v88 neg_lo:[1,1,0]
	v_cvt_f32_i32_e32 v88, v88
	s_delay_alu instid0(VALU_DEP_1) | instskip(SKIP_1) | instid1(VALU_DEP_2)
	v_fma_mix_f32 v167, v89, v88, v89 op_sel:[0,0,1] op_sel_hi:[1,0,1]
	v_add_nc_u32_e32 v88, 0x180c, v97
	v_pk_add_f32 v[52:53], v[52:53], v[166:167]
	ds_load_2addr_b32 v[162:163], v88 offset1:1
	v_add_nc_u32_e32 v88, 0x1804, v97
	ds_load_2addr_b32 v[164:165], v88 offset1:1
	v_add_nc_u32_e32 v88, 0x1814, v97
	;; [unrolled: 2-line block ×3, first 2 shown]
	ds_load_2addr_b32 v[168:169], v88 offset1:7
	ds_load_2addr_b32 v[88:89], v96 offset0:192 offset1:224
	s_wait_dscnt 0x4
	v_dual_add_nc_u32 v96, 4, v96 :: v_dual_lshlrev_b32 v90, 16, v163
	v_dual_lshlrev_b32 v92, 8, v163 :: v_dual_lshlrev_b32 v176, 16, v162
	s_wait_dscnt 0x3
	v_dual_lshlrev_b32 v177, 8, v162 :: v_dual_lshlrev_b32 v94, 16, v164
	v_lshlrev_b32_e32 v161, 8, v164
	s_delay_alu instid0(VALU_DEP_3) | instskip(SKIP_4) | instid1(VALU_DEP_3)
	v_perm_b32 v90, v92, v90, 0x7030c0c
	v_perm_b32 v92, v163, v163, 0xc0c0003
	v_dual_lshlrev_b32 v172, 16, v165 :: v_dual_lshlrev_b32 v173, 8, v165
	s_wait_dscnt 0x2
	v_dual_lshlrev_b32 v170, 16, v166 :: v_dual_lshlrev_b32 v171, 8, v166
	v_or_b32_e32 v163, v90, v92
	v_perm_b32 v92, v161, v94, 0x7030c0c
	v_perm_b32 v94, v164, v164, 0xc0c0003
	v_dual_lshlrev_b32 v174, 16, v167 :: v_dual_lshlrev_b32 v175, 8, v167
	s_delay_alu instid0(VALU_DEP_4)
	v_dot4_i32_iu8 v90, v163, v95, 0 neg_lo:[1,1,0]
	s_wait_dscnt 0x1
	v_dual_lshlrev_b32 v178, 16, v169 :: v_dual_lshlrev_b32 v179, 8, v169
	v_or_b32_e32 v161, v92, v94
	v_perm_b32 v92, v171, v170, 0x7030c0c
	v_perm_b32 v94, v166, v166, 0xc0c0003
	s_delay_alu instid0(VALU_DEP_3) | instskip(NEXT) | instid1(VALU_DEP_2)
	v_dot4_i32_iu8 v90, v161, v155, v90 neg_lo:[1,1,0]
	v_or_b32_e32 v164, v92, v94
	v_perm_b32 v92, v173, v172, 0x7030c0c
	v_perm_b32 v94, v165, v165, 0xc0c0003
	s_delay_alu instid0(VALU_DEP_3) | instskip(NEXT) | instid1(VALU_DEP_2)
	v_dot4_i32_iu8 v90, v164, v156, v90 neg_lo:[1,1,0]
	;; [unrolled: 5-line block ×4, first 2 shown]
	v_or_b32_e32 v162, v92, v94
	v_perm_b32 v92, v179, v178, 0x7030c0c
	v_perm_b32 v94, v169, v169, 0xc0c0003
	s_wait_dscnt 0x0
	v_pk_mul_f16 v169, v136, v88
	v_dot4_i32_iu8 v90, v162, v159, v90 neg_lo:[1,1,0]
	s_delay_alu instid0(VALU_DEP_3) | instskip(SKIP_2) | instid1(VALU_DEP_3)
	v_or_b32_e32 v167, v92, v94
	v_pk_mul_f16 v92, v91, v88
	v_pk_mul_f16 v91, v91, v89
	v_dot4_i32_iu8 v90, v167, v160, v90 neg_lo:[1,1,0]
	s_delay_alu instid0(VALU_DEP_1) | instskip(NEXT) | instid1(VALU_DEP_1)
	v_dot4_i32_iu8 v90, v80, v168, v90 neg_lo:[1,1,0]
	v_cvt_f32_i32_e32 v90, v90
	s_delay_alu instid0(VALU_DEP_1) | instskip(SKIP_3) | instid1(VALU_DEP_3)
	v_fma_mix_f32 v94, v92, v90, v92 op_sel:[0,0,1] op_sel_hi:[1,0,1]
	v_dot4_i32_iu8 v90, v163, v148, 0 neg_lo:[1,1,0]
	v_pk_mul_f16 v92, v93, v88
	v_pk_mul_f16 v88, v137, v88
	v_dot4_i32_iu8 v90, v161, v149, v90 neg_lo:[1,1,0]
	s_delay_alu instid0(VALU_DEP_1) | instskip(NEXT) | instid1(VALU_DEP_1)
	v_dot4_i32_iu8 v90, v164, v150, v90 neg_lo:[1,1,0]
	v_dot4_i32_iu8 v90, v165, v151, v90 neg_lo:[1,1,0]
	s_delay_alu instid0(VALU_DEP_1) | instskip(NEXT) | instid1(VALU_DEP_1)
	v_dot4_i32_iu8 v90, v166, v152, v90 neg_lo:[1,1,0]
	v_dot4_i32_iu8 v90, v162, v153, v90 neg_lo:[1,1,0]
	s_delay_alu instid0(VALU_DEP_1) | instskip(NEXT) | instid1(VALU_DEP_1)
	v_dot4_i32_iu8 v90, v167, v154, v90 neg_lo:[1,1,0]
	v_dot4_i32_iu8 v90, v168, v82, v90 neg_lo:[1,1,0]
	s_delay_alu instid0(VALU_DEP_1) | instskip(NEXT) | instid1(VALU_DEP_1)
	v_cvt_f32_i32_e32 v90, v90
	v_fma_mix_f32 v92, v92, v90, v92 op_sel:[0,0,1] op_sel_hi:[1,0,1]
	v_dot4_i32_iu8 v90, v163, v141, 0 neg_lo:[1,1,0]
	v_dot4_i32_iu8 v163, v163, v81, 0 neg_lo:[1,1,0]
	s_delay_alu instid0(VALU_DEP_2) | instskip(NEXT) | instid1(VALU_DEP_2)
	v_dot4_i32_iu8 v90, v161, v142, v90 neg_lo:[1,1,0]
	v_dot4_i32_iu8 v161, v161, v83, v163 neg_lo:[1,1,0]
	s_delay_alu instid0(VALU_DEP_2) | instskip(NEXT) | instid1(VALU_DEP_2)
	;; [unrolled: 3-line block ×5, first 2 shown]
	v_dot4_i32_iu8 v90, v162, v146, v90 neg_lo:[1,1,0]
	v_dot4_i32_iu8 v161, v162, v139, v161 neg_lo:[1,1,0]
	s_delay_alu instid0(VALU_DEP_1) | instskip(NEXT) | instid1(VALU_DEP_1)
	v_dot4_i32_iu8 v161, v167, v140, v161 neg_lo:[1,1,0]
	v_dot4_i32_iu8 v161, v168, v86, v161 neg_lo:[1,1,0]
	s_delay_alu instid0(VALU_DEP_1) | instskip(NEXT) | instid1(VALU_DEP_1)
	v_cvt_f32_i32_e32 v161, v161
	v_fma_mix_f32 v88, v88, v161, v88 op_sel:[0,0,1] op_sel_hi:[1,0,1]
	v_add_nc_u32_e32 v161, 0x1c0c, v97
	ds_load_2addr_b32 v[162:163], v161 offset1:1
	v_add_nc_u32_e32 v161, 0x1c04, v97
	ds_load_2addr_b32 v[164:165], v161 offset1:1
	v_add_nc_u32_e32 v161, 0x1c14, v97
	s_wait_dscnt 0x1
	v_dual_lshlrev_b32 v170, 8, v163 :: v_dual_lshlrev_b32 v179, 16, v162
	s_wait_dscnt 0x0
	v_lshlrev_b32_e32 v176, 8, v165
	v_dot4_i32_iu8 v90, v167, v147, v90 neg_lo:[1,1,0]
	ds_load_2addr_b32 v[166:167], v161 offset1:1
	v_add_nc_u32_e32 v161, 0x1c00, v97
	v_dual_lshlrev_b32 v171, 16, v164 :: v_dual_lshlrev_b32 v172, 8, v164
	v_dot4_i32_iu8 v90, v168, v84, v90 neg_lo:[1,1,0]
	v_perm_b32 v164, v164, v164, 0xc0c0003
	v_lshlrev_b32_e32 v175, 16, v165
	v_add_nc_u32_e32 v97, 32, v97
	s_delay_alu instid0(VALU_DEP_4) | instskip(NEXT) | instid1(VALU_DEP_1)
	v_cvt_f32_i32_e32 v90, v90
	v_fma_mix_f32 v90, v169, v90, v169 op_sel:[0,0,1] op_sel_hi:[1,0,1]
	ds_load_2addr_b32 v[168:169], v161 offset1:7
	v_lshlrev_b32_e32 v161, 16, v163
	v_perm_b32 v163, v163, v163, 0xc0c0003
	v_lshlrev_b32_e32 v180, 8, v162
	v_perm_b32 v162, v162, v162, 0xc0c0003
	s_wait_dscnt 0x1
	v_lshlrev_b32_e32 v173, 16, v166
	v_perm_b32 v161, v170, v161, 0x7030c0c
	v_dual_lshlrev_b32 v174, 8, v166 :: v_dual_lshlrev_b32 v177, 16, v167
	v_lshlrev_b32_e32 v178, 8, v167
	s_delay_alu instid0(VALU_DEP_3) | instskip(SKIP_1) | instid1(VALU_DEP_2)
	v_or_b32_e32 v161, v161, v163
	v_perm_b32 v163, v172, v171, 0x7030c0c
	v_dot4_i32_iu8 v95, v161, v95, 0 neg_lo:[1,1,0]
	s_delay_alu instid0(VALU_DEP_2) | instskip(SKIP_3) | instid1(VALU_DEP_3)
	v_or_b32_e32 v163, v163, v164
	v_perm_b32 v164, v166, v166, 0xc0c0003
	s_wait_dscnt 0x0
	v_dual_lshlrev_b32 v182, 8, v169 :: v_dual_lshlrev_b32 v181, 16, v169
	v_dot4_i32_iu8 v95, v163, v155, v95 neg_lo:[1,1,0]
	v_perm_b32 v155, v174, v173, 0x7030c0c
	s_delay_alu instid0(VALU_DEP_1) | instskip(SKIP_1) | instid1(VALU_DEP_2)
	v_or_b32_e32 v155, v155, v164
	v_perm_b32 v164, v165, v165, 0xc0c0003
	v_dot4_i32_iu8 v95, v155, v156, v95 neg_lo:[1,1,0]
	v_perm_b32 v156, v176, v175, 0x7030c0c
	s_delay_alu instid0(VALU_DEP_1) | instskip(SKIP_1) | instid1(VALU_DEP_2)
	v_or_b32_e32 v156, v156, v164
	v_perm_b32 v164, v167, v167, 0xc0c0003
	v_dot4_i32_iu8 v95, v156, v157, v95 neg_lo:[1,1,0]
	v_perm_b32 v157, v178, v177, 0x7030c0c
	s_delay_alu instid0(VALU_DEP_1) | instskip(NEXT) | instid1(VALU_DEP_1)
	v_or_b32_e32 v157, v157, v164
	v_dot4_i32_iu8 v95, v157, v158, v95 neg_lo:[1,1,0]
	v_perm_b32 v158, v180, v179, 0x7030c0c
	s_delay_alu instid0(VALU_DEP_1) | instskip(SKIP_1) | instid1(VALU_DEP_2)
	v_or_b32_e32 v158, v158, v162
	v_perm_b32 v162, v169, v169, 0xc0c0003
	v_dot4_i32_iu8 v95, v158, v159, v95 neg_lo:[1,1,0]
	v_perm_b32 v159, v182, v181, 0x7030c0c
	s_delay_alu instid0(VALU_DEP_1) | instskip(NEXT) | instid1(VALU_DEP_1)
	v_or_b32_e32 v159, v159, v162
	v_dot4_i32_iu8 v95, v159, v160, v95 neg_lo:[1,1,0]
	s_delay_alu instid0(VALU_DEP_1) | instskip(NEXT) | instid1(VALU_DEP_1)
	v_dot4_i32_iu8 v80, v80, v168, v95 neg_lo:[1,1,0]
	v_cvt_f32_i32_e32 v80, v80
	s_delay_alu instid0(VALU_DEP_1) | instskip(SKIP_1) | instid1(VALU_DEP_2)
	v_fma_mix_f32 v95, v91, v80, v91 op_sel:[0,0,1] op_sel_hi:[1,0,1]
	v_dot4_i32_iu8 v80, v161, v148, 0 neg_lo:[1,1,0]
	v_pk_add_f32 v[8:9], v[8:9], v[94:95]
	s_delay_alu instid0(VALU_DEP_2) | instskip(NEXT) | instid1(VALU_DEP_1)
	v_dot4_i32_iu8 v80, v163, v149, v80 neg_lo:[1,1,0]
	v_dot4_i32_iu8 v80, v155, v150, v80 neg_lo:[1,1,0]
	s_delay_alu instid0(VALU_DEP_1) | instskip(NEXT) | instid1(VALU_DEP_1)
	v_dot4_i32_iu8 v80, v156, v151, v80 neg_lo:[1,1,0]
	v_dot4_i32_iu8 v80, v157, v152, v80 neg_lo:[1,1,0]
	s_delay_alu instid0(VALU_DEP_1) | instskip(NEXT) | instid1(VALU_DEP_1)
	v_dot4_i32_iu8 v80, v158, v153, v80 neg_lo:[1,1,0]
	v_dot4_i32_iu8 v80, v159, v154, v80 neg_lo:[1,1,0]
	s_delay_alu instid0(VALU_DEP_1) | instskip(SKIP_1) | instid1(VALU_DEP_2)
	v_dot4_i32_iu8 v80, v168, v82, v80 neg_lo:[1,1,0]
	v_pk_mul_f16 v82, v93, v89
	v_cvt_f32_i32_e32 v80, v80
	s_delay_alu instid0(VALU_DEP_1) | instskip(SKIP_2) | instid1(VALU_DEP_3)
	v_fma_mix_f32 v93, v82, v80, v82 op_sel:[0,0,1] op_sel_hi:[1,0,1]
	v_dot4_i32_iu8 v80, v161, v141, 0 neg_lo:[1,1,0]
	v_pk_mul_f16 v82, v136, v89
	v_pk_add_f32 v[12:13], v[12:13], v[92:93]
	s_delay_alu instid0(VALU_DEP_3) | instskip(NEXT) | instid1(VALU_DEP_1)
	v_dot4_i32_iu8 v80, v163, v142, v80 neg_lo:[1,1,0]
	v_dot4_i32_iu8 v80, v155, v143, v80 neg_lo:[1,1,0]
	s_delay_alu instid0(VALU_DEP_1) | instskip(NEXT) | instid1(VALU_DEP_1)
	v_dot4_i32_iu8 v80, v156, v144, v80 neg_lo:[1,1,0]
	v_dot4_i32_iu8 v80, v157, v145, v80 neg_lo:[1,1,0]
	s_delay_alu instid0(VALU_DEP_1) | instskip(NEXT) | instid1(VALU_DEP_1)
	v_dot4_i32_iu8 v80, v158, v146, v80 neg_lo:[1,1,0]
	v_dot4_i32_iu8 v80, v159, v147, v80 neg_lo:[1,1,0]
	s_delay_alu instid0(VALU_DEP_1) | instskip(NEXT) | instid1(VALU_DEP_1)
	v_dot4_i32_iu8 v80, v168, v84, v80 neg_lo:[1,1,0]
	v_cvt_f32_i32_e32 v80, v80
	s_delay_alu instid0(VALU_DEP_1) | instskip(SKIP_2) | instid1(VALU_DEP_3)
	v_fma_mix_f32 v91, v82, v80, v82 op_sel:[0,0,1] op_sel_hi:[1,0,1]
	v_dot4_i32_iu8 v80, v161, v81, 0 neg_lo:[1,1,0]
	v_pk_mul_f16 v81, v137, v89
	v_pk_add_f32 v[20:21], v[20:21], v[90:91]
	s_delay_alu instid0(VALU_DEP_3) | instskip(NEXT) | instid1(VALU_DEP_1)
	v_dot4_i32_iu8 v80, v163, v83, v80 neg_lo:[1,1,0]
	v_dot4_i32_iu8 v80, v155, v85, v80 neg_lo:[1,1,0]
	s_delay_alu instid0(VALU_DEP_1) | instskip(NEXT) | instid1(VALU_DEP_1)
	v_dot4_i32_iu8 v80, v156, v87, v80 neg_lo:[1,1,0]
	v_dot4_i32_iu8 v80, v157, v138, v80 neg_lo:[1,1,0]
	s_delay_alu instid0(VALU_DEP_1) | instskip(NEXT) | instid1(VALU_DEP_1)
	;; [unrolled: 3-line block ×3, first 2 shown]
	v_dot4_i32_iu8 v80, v168, v86, v80 neg_lo:[1,1,0]
	v_cvt_f32_i32_e32 v80, v80
	s_delay_alu instid0(VALU_DEP_1) | instskip(NEXT) | instid1(VALU_DEP_1)
	v_fma_mix_f32 v89, v81, v80, v81 op_sel:[0,0,1] op_sel_hi:[1,0,1]
	v_pk_add_f32 v[30:31], v[30:31], v[88:89]
	s_cbranch_scc1 .LBB144_11
; %bb.12:                               ;   in Loop: Header=BB144_6 Depth=1
	s_barrier_signal -1
	s_barrier_wait -1
	s_branch .LBB144_5
.LBB144_13:
	v_cvt_f16_f32_e32 v49, v64
	v_cvt_f16_f32_e32 v48, v74
	v_cvt_f16_f32_e32 v45, v76
	v_cvt_f16_f32_e32 v41, v78
	v_cvt_f16_f32_e32 v44, v65
	v_cvt_f16_f32_e32 v40, v75
	v_cvt_f16_f32_e32 v39, v77
	v_cvt_f16_f32_e32 v37, v79
	v_cvt_f16_f32_e32 v38, v46
	v_cvt_f16_f32_e32 v36, v56
	v_cvt_f16_f32_e32 v33, v66
	v_cvt_f16_f32_e32 v29, v72
	v_cvt_f16_f32_e32 v32, v47
	v_cvt_f16_f32_e32 v28, v57
	v_cvt_f16_f32_e32 v27, v67
	v_cvt_f16_f32_e32 v26, v73
	v_cvt_f16_f32_e32 v24, v24
	v_cvt_f16_f32_e32 v23, v34
	v_cvt_f16_f32_e32 v22, v42
	v_cvt_f16_f32_e32 v18, v52
	v_cvt_f16_f32_e32 v19, v25
	v_cvt_f16_f32_e32 v17, v35
	v_cvt_f16_f32_e32 v16, v43
	v_cvt_f16_f32_e32 v14, v53
	v_cvt_f16_f32_e32 v15, v8
	v_cvt_f16_f32_e32 v12, v12
	v_cvt_f16_f32_e32 v10, v20
	v_cvt_f16_f32_e32 v5, v30
	v_cvt_f16_f32_e32 v6, v9
	v_cvt_f16_f32_e32 v4, v13
	v_cvt_f16_f32_e32 v2, v21
	v_cvt_f16_f32_e32 v1, v31
	v_dual_mov_b32 v8, v3 :: v_dual_mov_b32 v9, v7
.LBB144_14:
	s_wait_xcnt 0x0
	s_mov_b32 s0, exec_lo
	v_cmpx_gt_u32_e64 s6, v11
	s_cbranch_execz .LBB144_65
; %bb.15:
	v_mul_lo_u32 v11, v11, s12
	v_add_nc_u32_e32 v0, s14, v9
	s_delay_alu instid0(VALU_DEP_1)
	v_cmp_gt_u32_e32 vcc_lo, s12, v0
	s_and_saveexec_b32 s0, vcc_lo
	s_cbranch_execz .LBB144_17
; %bb.16:
	s_delay_alu instid0(VALU_DEP_3)
	v_add_nc_u32_e32 v3, v0, v11
	s_wait_kmcnt 0x0
	global_store_b16 v3, v49, s[8:9] scale_offset
.LBB144_17:
	s_wait_xcnt 0x0
	s_or_b32 exec_lo, exec_lo, s0
	v_add_nc_u32_e32 v3, 32, v0
	s_delay_alu instid0(VALU_DEP_1)
	v_cmp_gt_u32_e64 s0, s12, v3
	s_and_saveexec_b32 s1, s0
	s_cbranch_execz .LBB144_19
; %bb.18:
	v_add_nc_u32_e32 v7, v3, v11
	s_wait_kmcnt 0x0
	global_store_b16 v7, v48, s[8:9] scale_offset
.LBB144_19:
	s_wait_xcnt 0x0
	s_or_b32 exec_lo, exec_lo, s1
	v_add_nc_u32_e32 v7, 64, v0
	s_delay_alu instid0(VALU_DEP_1)
	v_cmp_gt_u32_e64 s1, s12, v7
	s_and_saveexec_b32 s2, s1
	s_cbranch_execz .LBB144_21
; %bb.20:
	v_add_nc_u32_e32 v9, v7, v11
	s_wait_kmcnt 0x0
	global_store_b16 v9, v45, s[8:9] scale_offset
.LBB144_21:
	;; [unrolled: 12-line block ×3, first 2 shown]
	s_wait_xcnt 0x0
	s_or_b32 exec_lo, exec_lo, s3
	v_add3_u32 v11, v8, s13, 8
	s_delay_alu instid0(VALU_DEP_1)
	v_cmp_gt_u32_e64 s3, s6, v11
	s_and_b32 exec_lo, exec_lo, s3
	s_cbranch_execz .LBB144_65
; %bb.24:
	v_mul_lo_u32 v11, v11, s12
	s_and_saveexec_b32 s3, vcc_lo
	s_cbranch_execnz .LBB144_66
; %bb.25:
	s_or_b32 exec_lo, exec_lo, s3
	s_and_saveexec_b32 s3, s0
	s_cbranch_execnz .LBB144_67
.LBB144_26:
	s_or_b32 exec_lo, exec_lo, s3
	s_and_saveexec_b32 s3, s1
	s_cbranch_execnz .LBB144_68
.LBB144_27:
	s_or_b32 exec_lo, exec_lo, s3
	s_and_saveexec_b32 s3, s2
	s_cbranch_execz .LBB144_29
.LBB144_28:
	v_add_nc_u32_e32 v11, v11, v9
	s_wait_kmcnt 0x0
	global_store_b16 v11, v37, s[8:9] scale_offset
.LBB144_29:
	s_wait_xcnt 0x0
	s_or_b32 exec_lo, exec_lo, s3
	v_add3_u32 v11, v8, s13, 16
	s_delay_alu instid0(VALU_DEP_1)
	v_cmp_gt_u32_e64 s3, s6, v11
	s_and_b32 exec_lo, exec_lo, s3
	s_cbranch_execz .LBB144_65
; %bb.30:
	v_mul_lo_u32 v11, v11, s12
	s_and_saveexec_b32 s3, vcc_lo
	s_cbranch_execnz .LBB144_69
; %bb.31:
	s_or_b32 exec_lo, exec_lo, s3
	s_and_saveexec_b32 s3, s0
	s_cbranch_execnz .LBB144_70
.LBB144_32:
	s_or_b32 exec_lo, exec_lo, s3
	s_and_saveexec_b32 s3, s1
	s_cbranch_execnz .LBB144_71
.LBB144_33:
	s_or_b32 exec_lo, exec_lo, s3
	s_and_saveexec_b32 s3, s2
	s_cbranch_execz .LBB144_35
.LBB144_34:
	v_add_nc_u32_e32 v11, v11, v9
	s_wait_kmcnt 0x0
	global_store_b16 v11, v29, s[8:9] scale_offset
.LBB144_35:
	s_wait_xcnt 0x0
	s_or_b32 exec_lo, exec_lo, s3
	v_add3_u32 v11, v8, s13, 24
	s_delay_alu instid0(VALU_DEP_1)
	v_cmp_gt_u32_e64 s3, s6, v11
	s_and_b32 exec_lo, exec_lo, s3
	s_cbranch_execz .LBB144_65
; %bb.36:
	v_mul_lo_u32 v11, v11, s12
	s_and_saveexec_b32 s3, vcc_lo
	s_cbranch_execnz .LBB144_72
; %bb.37:
	s_or_b32 exec_lo, exec_lo, s3
	s_and_saveexec_b32 s3, s0
	s_cbranch_execnz .LBB144_73
.LBB144_38:
	s_or_b32 exec_lo, exec_lo, s3
	s_and_saveexec_b32 s3, s1
	s_cbranch_execnz .LBB144_74
.LBB144_39:
	s_or_b32 exec_lo, exec_lo, s3
	s_and_saveexec_b32 s3, s2
	s_cbranch_execz .LBB144_41
.LBB144_40:
	v_add_nc_u32_e32 v11, v11, v9
	s_wait_kmcnt 0x0
	global_store_b16 v11, v26, s[8:9] scale_offset
.LBB144_41:
	s_wait_xcnt 0x0
	s_or_b32 exec_lo, exec_lo, s3
	v_add3_u32 v11, v8, s13, 32
	s_delay_alu instid0(VALU_DEP_1)
	v_cmp_gt_u32_e64 s3, s6, v11
	s_and_b32 exec_lo, exec_lo, s3
	s_cbranch_execz .LBB144_65
; %bb.42:
	v_mul_lo_u32 v11, v11, s12
	s_and_saveexec_b32 s3, vcc_lo
	s_cbranch_execnz .LBB144_75
; %bb.43:
	s_or_b32 exec_lo, exec_lo, s3
	s_and_saveexec_b32 s3, s0
	s_cbranch_execnz .LBB144_76
.LBB144_44:
	s_or_b32 exec_lo, exec_lo, s3
	s_and_saveexec_b32 s3, s1
	s_cbranch_execnz .LBB144_77
.LBB144_45:
	s_or_b32 exec_lo, exec_lo, s3
	s_and_saveexec_b32 s3, s2
	s_cbranch_execz .LBB144_47
.LBB144_46:
	v_add_nc_u32_e32 v11, v11, v9
	s_wait_kmcnt 0x0
	global_store_b16 v11, v18, s[8:9] scale_offset
.LBB144_47:
	s_wait_xcnt 0x0
	s_or_b32 exec_lo, exec_lo, s3
	v_add3_u32 v11, v8, s13, 40
	s_delay_alu instid0(VALU_DEP_1)
	v_cmp_gt_u32_e64 s3, s6, v11
	s_and_b32 exec_lo, exec_lo, s3
	s_cbranch_execz .LBB144_65
; %bb.48:
	v_mul_lo_u32 v11, v11, s12
	s_and_saveexec_b32 s3, vcc_lo
	s_cbranch_execnz .LBB144_78
; %bb.49:
	s_or_b32 exec_lo, exec_lo, s3
	s_and_saveexec_b32 s3, s0
	s_cbranch_execnz .LBB144_79
.LBB144_50:
	s_or_b32 exec_lo, exec_lo, s3
	s_and_saveexec_b32 s3, s1
	s_cbranch_execnz .LBB144_80
.LBB144_51:
	s_or_b32 exec_lo, exec_lo, s3
	s_and_saveexec_b32 s3, s2
	s_cbranch_execz .LBB144_53
.LBB144_52:
	v_add_nc_u32_e32 v11, v11, v9
	s_wait_kmcnt 0x0
	global_store_b16 v11, v14, s[8:9] scale_offset
.LBB144_53:
	s_wait_xcnt 0x0
	s_or_b32 exec_lo, exec_lo, s3
	v_add3_u32 v11, v8, s13, 48
	s_delay_alu instid0(VALU_DEP_1)
	v_cmp_gt_u32_e64 s3, s6, v11
	s_and_b32 exec_lo, exec_lo, s3
	s_cbranch_execz .LBB144_65
; %bb.54:
	v_mul_lo_u32 v11, v11, s12
	s_and_saveexec_b32 s3, vcc_lo
	s_cbranch_execnz .LBB144_81
; %bb.55:
	s_or_b32 exec_lo, exec_lo, s3
	s_and_saveexec_b32 s3, s0
	s_cbranch_execnz .LBB144_82
.LBB144_56:
	s_or_b32 exec_lo, exec_lo, s3
	s_and_saveexec_b32 s3, s1
	s_cbranch_execnz .LBB144_83
.LBB144_57:
	s_or_b32 exec_lo, exec_lo, s3
	s_and_saveexec_b32 s3, s2
	s_cbranch_execz .LBB144_59
.LBB144_58:
	v_add_nc_u32_e32 v10, v11, v9
	s_wait_kmcnt 0x0
	global_store_b16 v10, v5, s[8:9] scale_offset
.LBB144_59:
	s_wait_xcnt 0x0
	s_or_b32 exec_lo, exec_lo, s3
	v_add3_u32 v5, v8, s13, 56
	s_delay_alu instid0(VALU_DEP_1)
	v_cmp_gt_u32_e64 s3, s6, v5
	s_and_b32 exec_lo, exec_lo, s3
	s_cbranch_execz .LBB144_65
; %bb.60:
	v_mul_lo_u32 v5, v5, s12
	s_and_saveexec_b32 s3, vcc_lo
	s_cbranch_execnz .LBB144_84
; %bb.61:
	s_or_b32 exec_lo, exec_lo, s3
	s_and_saveexec_b32 s3, s0
	s_cbranch_execnz .LBB144_85
.LBB144_62:
	s_or_b32 exec_lo, exec_lo, s3
	s_and_saveexec_b32 s0, s1
	s_cbranch_execnz .LBB144_86
.LBB144_63:
	s_or_b32 exec_lo, exec_lo, s0
	s_delay_alu instid0(SALU_CYCLE_1)
	s_and_b32 exec_lo, exec_lo, s2
	s_cbranch_execz .LBB144_65
.LBB144_64:
	v_add_nc_u32_e32 v0, v5, v9
	s_wait_kmcnt 0x0
	global_store_b16 v0, v1, s[8:9] scale_offset
.LBB144_65:
	s_sendmsg sendmsg(MSG_DEALLOC_VGPRS)
	s_endpgm
.LBB144_66:
	s_delay_alu instid0(VALU_DEP_1)
	v_add_nc_u32_e32 v13, v11, v0
	s_wait_kmcnt 0x0
	global_store_b16 v13, v44, s[8:9] scale_offset
	s_wait_xcnt 0x0
	s_or_b32 exec_lo, exec_lo, s3
	s_and_saveexec_b32 s3, s0
	s_cbranch_execz .LBB144_26
.LBB144_67:
	s_delay_alu instid0(VALU_DEP_1)
	v_add_nc_u32_e32 v13, v11, v3
	s_wait_kmcnt 0x0
	global_store_b16 v13, v40, s[8:9] scale_offset
	s_wait_xcnt 0x0
	s_or_b32 exec_lo, exec_lo, s3
	s_and_saveexec_b32 s3, s1
	s_cbranch_execz .LBB144_27
.LBB144_68:
	s_delay_alu instid0(VALU_DEP_1)
	v_add_nc_u32_e32 v13, v11, v7
	s_wait_kmcnt 0x0
	global_store_b16 v13, v39, s[8:9] scale_offset
	s_wait_xcnt 0x0
	s_or_b32 exec_lo, exec_lo, s3
	s_and_saveexec_b32 s3, s2
	s_cbranch_execnz .LBB144_28
	s_branch .LBB144_29
.LBB144_69:
	s_delay_alu instid0(VALU_DEP_1)
	v_add_nc_u32_e32 v13, v11, v0
	s_wait_kmcnt 0x0
	global_store_b16 v13, v38, s[8:9] scale_offset
	s_wait_xcnt 0x0
	s_or_b32 exec_lo, exec_lo, s3
	s_and_saveexec_b32 s3, s0
	s_cbranch_execz .LBB144_32
.LBB144_70:
	s_delay_alu instid0(VALU_DEP_1)
	v_add_nc_u32_e32 v13, v11, v3
	s_wait_kmcnt 0x0
	global_store_b16 v13, v36, s[8:9] scale_offset
	s_wait_xcnt 0x0
	s_or_b32 exec_lo, exec_lo, s3
	s_and_saveexec_b32 s3, s1
	s_cbranch_execz .LBB144_33
.LBB144_71:
	s_delay_alu instid0(VALU_DEP_1)
	v_add_nc_u32_e32 v13, v11, v7
	s_wait_kmcnt 0x0
	global_store_b16 v13, v33, s[8:9] scale_offset
	s_wait_xcnt 0x0
	s_or_b32 exec_lo, exec_lo, s3
	s_and_saveexec_b32 s3, s2
	s_cbranch_execnz .LBB144_34
	s_branch .LBB144_35
.LBB144_72:
	s_delay_alu instid0(VALU_DEP_1)
	v_add_nc_u32_e32 v13, v11, v0
	s_wait_kmcnt 0x0
	global_store_b16 v13, v32, s[8:9] scale_offset
	s_wait_xcnt 0x0
	s_or_b32 exec_lo, exec_lo, s3
	s_and_saveexec_b32 s3, s0
	s_cbranch_execz .LBB144_38
.LBB144_73:
	s_delay_alu instid0(VALU_DEP_1)
	v_add_nc_u32_e32 v13, v11, v3
	s_wait_kmcnt 0x0
	global_store_b16 v13, v28, s[8:9] scale_offset
	s_wait_xcnt 0x0
	s_or_b32 exec_lo, exec_lo, s3
	s_and_saveexec_b32 s3, s1
	s_cbranch_execz .LBB144_39
.LBB144_74:
	s_delay_alu instid0(VALU_DEP_1)
	v_add_nc_u32_e32 v13, v11, v7
	s_wait_kmcnt 0x0
	global_store_b16 v13, v27, s[8:9] scale_offset
	s_wait_xcnt 0x0
	s_or_b32 exec_lo, exec_lo, s3
	s_and_saveexec_b32 s3, s2
	s_cbranch_execnz .LBB144_40
	s_branch .LBB144_41
.LBB144_75:
	s_delay_alu instid0(VALU_DEP_1)
	v_add_nc_u32_e32 v13, v11, v0
	s_wait_kmcnt 0x0
	global_store_b16 v13, v24, s[8:9] scale_offset
	s_wait_xcnt 0x0
	s_or_b32 exec_lo, exec_lo, s3
	s_and_saveexec_b32 s3, s0
	s_cbranch_execz .LBB144_44
.LBB144_76:
	s_delay_alu instid0(VALU_DEP_1)
	v_add_nc_u32_e32 v13, v11, v3
	s_wait_kmcnt 0x0
	global_store_b16 v13, v23, s[8:9] scale_offset
	s_wait_xcnt 0x0
	s_or_b32 exec_lo, exec_lo, s3
	s_and_saveexec_b32 s3, s1
	s_cbranch_execz .LBB144_45
.LBB144_77:
	s_delay_alu instid0(VALU_DEP_1)
	v_add_nc_u32_e32 v13, v11, v7
	s_wait_kmcnt 0x0
	global_store_b16 v13, v22, s[8:9] scale_offset
	s_wait_xcnt 0x0
	s_or_b32 exec_lo, exec_lo, s3
	s_and_saveexec_b32 s3, s2
	s_cbranch_execnz .LBB144_46
	s_branch .LBB144_47
.LBB144_78:
	s_delay_alu instid0(VALU_DEP_1)
	v_add_nc_u32_e32 v13, v11, v0
	s_wait_kmcnt 0x0
	global_store_b16 v13, v19, s[8:9] scale_offset
	s_wait_xcnt 0x0
	s_or_b32 exec_lo, exec_lo, s3
	s_and_saveexec_b32 s3, s0
	s_cbranch_execz .LBB144_50
.LBB144_79:
	s_delay_alu instid0(VALU_DEP_1)
	v_add_nc_u32_e32 v13, v11, v3
	s_wait_kmcnt 0x0
	global_store_b16 v13, v17, s[8:9] scale_offset
	s_wait_xcnt 0x0
	s_or_b32 exec_lo, exec_lo, s3
	s_and_saveexec_b32 s3, s1
	s_cbranch_execz .LBB144_51
.LBB144_80:
	s_delay_alu instid0(VALU_DEP_1)
	v_add_nc_u32_e32 v13, v11, v7
	s_wait_kmcnt 0x0
	global_store_b16 v13, v16, s[8:9] scale_offset
	s_wait_xcnt 0x0
	s_or_b32 exec_lo, exec_lo, s3
	s_and_saveexec_b32 s3, s2
	s_cbranch_execnz .LBB144_52
	s_branch .LBB144_53
.LBB144_81:
	s_delay_alu instid0(VALU_DEP_1)
	v_add_nc_u32_e32 v13, v11, v0
	s_wait_kmcnt 0x0
	global_store_b16 v13, v15, s[8:9] scale_offset
	s_wait_xcnt 0x0
	s_or_b32 exec_lo, exec_lo, s3
	s_and_saveexec_b32 s3, s0
	s_cbranch_execz .LBB144_56
.LBB144_82:
	s_delay_alu instid0(VALU_DEP_1)
	v_add_nc_u32_e32 v13, v11, v3
	s_wait_kmcnt 0x0
	global_store_b16 v13, v12, s[8:9] scale_offset
	s_wait_xcnt 0x0
	s_or_b32 exec_lo, exec_lo, s3
	s_and_saveexec_b32 s3, s1
	s_cbranch_execz .LBB144_57
.LBB144_83:
	s_delay_alu instid0(VALU_DEP_1)
	v_add_nc_u32_e32 v12, v11, v7
	s_wait_kmcnt 0x0
	global_store_b16 v12, v10, s[8:9] scale_offset
	s_wait_xcnt 0x0
	s_or_b32 exec_lo, exec_lo, s3
	s_and_saveexec_b32 s3, s2
	s_cbranch_execnz .LBB144_58
	s_branch .LBB144_59
.LBB144_84:
	s_delay_alu instid0(VALU_DEP_1)
	v_add_nc_u32_e32 v0, v5, v0
	s_wait_kmcnt 0x0
	global_store_b16 v0, v6, s[8:9] scale_offset
	s_wait_xcnt 0x0
	s_or_b32 exec_lo, exec_lo, s3
	s_and_saveexec_b32 s3, s0
	s_cbranch_execz .LBB144_62
.LBB144_85:
	s_delay_alu instid0(VALU_DEP_1)
	v_add_nc_u32_e32 v0, v5, v3
	s_wait_kmcnt 0x0
	global_store_b16 v0, v4, s[8:9] scale_offset
	s_wait_xcnt 0x0
	s_or_b32 exec_lo, exec_lo, s3
	s_and_saveexec_b32 s0, s1
	s_cbranch_execz .LBB144_63
.LBB144_86:
	s_delay_alu instid0(VALU_DEP_1) | instskip(SKIP_4) | instid1(SALU_CYCLE_1)
	v_add_nc_u32_e32 v0, v5, v7
	s_wait_kmcnt 0x0
	global_store_b16 v0, v2, s[8:9] scale_offset
	s_wait_xcnt 0x0
	s_or_b32 exec_lo, exec_lo, s0
	s_and_b32 exec_lo, exec_lo, s2
	s_cbranch_execnz .LBB144_64
	s_branch .LBB144_65
	.section	.rodata,"a",@progbits
	.p2align	6, 0x0
	.amdhsa_kernel _ZL12mul_mat_q5_1IN3c104HalfELb1EEvPKvS3_PT_iiiii
		.amdhsa_group_segment_fixed_size 46720
		.amdhsa_private_segment_fixed_size 0
		.amdhsa_kernarg_size 44
		.amdhsa_user_sgpr_count 2
		.amdhsa_user_sgpr_dispatch_ptr 0
		.amdhsa_user_sgpr_queue_ptr 0
		.amdhsa_user_sgpr_kernarg_segment_ptr 1
		.amdhsa_user_sgpr_dispatch_id 0
		.amdhsa_user_sgpr_kernarg_preload_length 0
		.amdhsa_user_sgpr_kernarg_preload_offset 0
		.amdhsa_user_sgpr_private_segment_size 0
		.amdhsa_wavefront_size32 1
		.amdhsa_uses_dynamic_stack 0
		.amdhsa_enable_private_segment 0
		.amdhsa_system_sgpr_workgroup_id_x 1
		.amdhsa_system_sgpr_workgroup_id_y 1
		.amdhsa_system_sgpr_workgroup_id_z 0
		.amdhsa_system_sgpr_workgroup_info 0
		.amdhsa_system_vgpr_workitem_id 1
		.amdhsa_next_free_vgpr 187
		.amdhsa_next_free_sgpr 17
		.amdhsa_named_barrier_count 0
		.amdhsa_reserve_vcc 1
		.amdhsa_float_round_mode_32 0
		.amdhsa_float_round_mode_16_64 0
		.amdhsa_float_denorm_mode_32 3
		.amdhsa_float_denorm_mode_16_64 3
		.amdhsa_fp16_overflow 0
		.amdhsa_memory_ordered 1
		.amdhsa_forward_progress 1
		.amdhsa_inst_pref_size 191
		.amdhsa_round_robin_scheduling 0
		.amdhsa_exception_fp_ieee_invalid_op 0
		.amdhsa_exception_fp_denorm_src 0
		.amdhsa_exception_fp_ieee_div_zero 0
		.amdhsa_exception_fp_ieee_overflow 0
		.amdhsa_exception_fp_ieee_underflow 0
		.amdhsa_exception_fp_ieee_inexact 0
		.amdhsa_exception_int_div_zero 0
	.end_amdhsa_kernel
	.section	.text._ZL12mul_mat_q5_1IN3c104HalfELb1EEvPKvS3_PT_iiiii,"axG",@progbits,_ZL12mul_mat_q5_1IN3c104HalfELb1EEvPKvS3_PT_iiiii,comdat
.Lfunc_end144:
	.size	_ZL12mul_mat_q5_1IN3c104HalfELb1EEvPKvS3_PT_iiiii, .Lfunc_end144-_ZL12mul_mat_q5_1IN3c104HalfELb1EEvPKvS3_PT_iiiii
                                        ; -- End function
	.set _ZL12mul_mat_q5_1IN3c104HalfELb1EEvPKvS3_PT_iiiii.num_vgpr, 187
	.set _ZL12mul_mat_q5_1IN3c104HalfELb1EEvPKvS3_PT_iiiii.num_agpr, 0
	.set _ZL12mul_mat_q5_1IN3c104HalfELb1EEvPKvS3_PT_iiiii.numbered_sgpr, 17
	.set _ZL12mul_mat_q5_1IN3c104HalfELb1EEvPKvS3_PT_iiiii.num_named_barrier, 0
	.set _ZL12mul_mat_q5_1IN3c104HalfELb1EEvPKvS3_PT_iiiii.private_seg_size, 0
	.set _ZL12mul_mat_q5_1IN3c104HalfELb1EEvPKvS3_PT_iiiii.uses_vcc, 1
	.set _ZL12mul_mat_q5_1IN3c104HalfELb1EEvPKvS3_PT_iiiii.uses_flat_scratch, 0
	.set _ZL12mul_mat_q5_1IN3c104HalfELb1EEvPKvS3_PT_iiiii.has_dyn_sized_stack, 0
	.set _ZL12mul_mat_q5_1IN3c104HalfELb1EEvPKvS3_PT_iiiii.has_recursion, 0
	.set _ZL12mul_mat_q5_1IN3c104HalfELb1EEvPKvS3_PT_iiiii.has_indirect_call, 0
	.section	.AMDGPU.csdata,"",@progbits
; Kernel info:
; codeLenInByte = 24408
; TotalNumSgprs: 19
; NumVgprs: 187
; ScratchSize: 0
; MemoryBound: 0
; FloatMode: 240
; IeeeMode: 1
; LDSByteSize: 46720 bytes/workgroup (compile time only)
; SGPRBlocks: 0
; VGPRBlocks: 11
; NumSGPRsForWavesPerEU: 19
; NumVGPRsForWavesPerEU: 187
; NamedBarCnt: 0
; Occupancy: 5
; WaveLimiterHint : 0
; COMPUTE_PGM_RSRC2:SCRATCH_EN: 0
; COMPUTE_PGM_RSRC2:USER_SGPR: 2
; COMPUTE_PGM_RSRC2:TRAP_HANDLER: 0
; COMPUTE_PGM_RSRC2:TGID_X_EN: 1
; COMPUTE_PGM_RSRC2:TGID_Y_EN: 1
; COMPUTE_PGM_RSRC2:TGID_Z_EN: 0
; COMPUTE_PGM_RSRC2:TIDIG_COMP_CNT: 1
	.section	.text._ZL12mul_mat_q8_0IN3c104HalfELb0EEvPKvS3_PT_iiiii,"axG",@progbits,_ZL12mul_mat_q8_0IN3c104HalfELb0EEvPKvS3_PT_iiiii,comdat
	.globl	_ZL12mul_mat_q8_0IN3c104HalfELb0EEvPKvS3_PT_iiiii ; -- Begin function _ZL12mul_mat_q8_0IN3c104HalfELb0EEvPKvS3_PT_iiiii
	.p2align	8
	.type	_ZL12mul_mat_q8_0IN3c104HalfELb0EEvPKvS3_PT_iiiii,@function
_ZL12mul_mat_q8_0IN3c104HalfELb0EEvPKvS3_PT_iiiii: ; @_ZL12mul_mat_q8_0IN3c104HalfELb0EEvPKvS3_PT_iiiii
; %bb.0:
	s_clause 0x1
	s_load_b32 s10, s[0:1], 0x18
	s_load_b96 s[4:6], s[0:1], 0x20
	s_bfe_u32 s2, ttmp6, 0x4000c
	s_bfe_u32 s7, ttmp6, 0x40010
	s_add_co_i32 s2, s2, 1
	s_and_b32 s3, ttmp6, 15
	s_mul_i32 s2, ttmp9, s2
	s_add_co_i32 s7, s7, 1
	s_add_co_i32 s3, s3, s2
	s_mul_i32 s2, ttmp7, s7
	s_bfe_u32 s7, ttmp6, 0x40004
	s_getreg_b32 s8, hwreg(HW_REG_IB_STS2, 6, 4)
	s_add_co_i32 s7, s7, s2
	s_cmp_eq_u32 s8, 0
	v_bfe_u32 v9, v0, 10, 10
	s_cselect_b32 s7, ttmp7, s7
	v_and_b32_e32 v13, 0x3ff, v0
	s_cselect_b32 s2, ttmp9, s3
	s_lshl_b32 s7, s7, 6
	s_mov_b32 s3, 0
	s_wait_kmcnt 0x0
	s_cmp_gt_i32 s10, 31
	s_cbranch_scc1 .LBB145_2
; %bb.1:
	v_bfe_u32 v6, v0, 10, 10
	v_and_b32_e32 v34, 0x3ff, v0
	s_delay_alu instid0(VALU_DEP_2)
	v_add_nc_u32_e32 v15, s7, v6
	s_branch .LBB145_3
.LBB145_2:
	s_mov_b32 s3, -1
                                        ; implicit-def: $vgpr6
                                        ; implicit-def: $vgpr34
                                        ; implicit-def: $vgpr15
.LBB145_3:
	s_load_b64 s[8:9], s[0:1], 0x10
	v_dual_mov_b32 v1, 0 :: v_dual_mov_b32 v4, 0
	v_dual_mov_b32 v10, 0 :: v_dual_mov_b32 v16, 0
	;; [unrolled: 1-line block ×16, first 2 shown]
	s_and_not1_b32 vcc_lo, exec_lo, s3
	s_lshl_b32 s14, s2, 7
	s_cbranch_vccnz .LBB145_9
; %bb.4:
	v_add_nc_u32_e32 v15, s7, v9
	s_add_co_i32 s12, s4, -1
	v_dual_add_nc_u32 v41, 24, v9 :: v_dual_add_nc_u32 v42, 32, v9
	v_cvt_f64_i32_e32 v[2:3], s12
	s_delay_alu instid0(VALU_DEP_3) | instskip(SKIP_2) | instid1(VALU_DEP_3)
	v_dual_add_nc_u32 v11, 32, v15 :: v_dual_add_nc_u32 v46, 56, v9
	v_bfe_u32 v29, v0, 2, 8
	v_dual_add_nc_u32 v28, 8, v9 :: v_dual_add_nc_u32 v30, 16, v9
	v_cvt_f64_u32_e32 v[20:21], v11
	v_dual_mov_b32 v11, 0 :: v_dual_add_nc_u32 v1, 8, v15
	v_dual_add_nc_u32 v8, 16, v15 :: v_dual_add_nc_u32 v14, 48, v15
	v_cvt_f64_u32_e32 v[4:5], v15
	v_dual_add_nc_u32 v10, 24, v15 :: v_dual_add_nc_u32 v12, 40, v15
	s_delay_alu instid0(VALU_DEP_4) | instskip(NEXT) | instid1(VALU_DEP_4)
	v_cvt_f64_u32_e32 v[6:7], v1
	v_cvt_f64_u32_e32 v[16:17], v8
	;; [unrolled: 1-line block ×3, first 2 shown]
	v_dual_add_nc_u32 v1, 56, v15 :: v_dual_lshlrev_b32 v40, 2, v13
	v_cvt_f64_u32_e32 v[22:23], v12
	v_cvt_f64_u32_e32 v[18:19], v10
	v_bfe_u32 v8, v0, 3, 7
	s_delay_alu instid0(VALU_DEP_4)
	v_cvt_f64_u32_e32 v[26:27], v1
	v_dual_lshlrev_b32 v14, 3, v9 :: v_dual_bitop2_b32 v12, 3, v0 bitop3:0x40
	v_dual_add_nc_u32 v43, 40, v9 :: v_dual_add_nc_u32 v44, 48, v9
	s_ashr_i32 s11, s10, 31
	s_ashr_i32 s17, s5, 31
	s_lshr_b32 s11, s11, 27
	s_lshr_b32 s17, s17, 27
	s_add_co_i32 s10, s10, s11
	s_add_co_i32 s11, s5, s17
	s_ashr_i32 s5, s10, 5
	s_ashr_i32 s20, s11, 5
	s_lshl_b32 s17, s5, 3
	v_dual_lshlrev_b32 v127, 4, v28 :: v_dual_lshlrev_b32 v129, 4, v41
	v_dual_min_num_f64 v[36:37], v[20:21], v[2:3] :: v_dual_lshlrev_b32 v20, 2, v12
	s_wait_xcnt 0x0
	s_load_b128 s[0:3], s[0:1], 0x0
	v_dual_lshlrev_b32 v130, 4, v42 :: v_dual_lshlrev_b32 v132, 4, v44
	v_min_num_f64_e32 v[4:5], v[4:5], v[2:3]
	v_dual_add_nc_u32 v47, v29, v14 :: v_dual_lshlrev_b32 v21, 7, v28
	v_min_num_f64_e32 v[6:7], v[6:7], v[2:3]
	v_dual_min_num_f64 v[32:33], v[16:17], v[2:3] :: v_dual_lshlrev_b32 v17, 7, v9
	v_dual_min_num_f64 v[0:1], v[24:25], v[2:3] :: v_dual_bitop2_b32 v16, 31, v0 bitop3:0x40
	v_dual_min_num_f64 v[38:39], v[22:23], v[2:3] :: v_dual_lshlrev_b32 v25, 7, v41
	v_dual_min_num_f64 v[34:35], v[18:19], v[2:3] :: v_dual_bitop2_b32 v10, 28, v40 bitop3:0x40
	v_dual_min_num_f64 v[2:3], v[26:27], v[2:3] :: v_dual_lshlrev_b32 v31, 7, v44
	v_add_nc_u16 v18, v29, v14
	v_mul_lo_u32 v14, s5, v9
	v_dual_lshlrev_b32 v29, 7, v43 :: v_dual_lshlrev_b32 v23, 7, v30
	v_lshl_or_b32 v48, v16, 2, 0x4200
	v_lshlrev_b32_e32 v27, 7, v42
	v_lshrrev_b16 v16, 1, v18
	v_mul_lo_u32 v56, s5, v47
	v_mad_u32_u24 v19, 0x84, v9, v40
	s_mul_i32 s10, s5, s14
	s_movk_i32 s13, 0x1080
	s_movk_i32 s15, 0x2100
	;; [unrolled: 1-line block ×3, first 2 shown]
	v_cvt_i32_f64_e32 v22, v[36:37]
	v_dual_add_nc_u32 v144, v48, v29 :: v_dual_add_nc_u32 v145, v48, v31
	s_wait_kmcnt 0x0
	v_add_nc_u64_e32 v[74:75], s[2:3], v[10:11]
	v_mov_b64_e32 v[64:65], 0
	v_cvt_i32_f64_e32 v4, v[4:5]
	v_mov_b64_e32 v[54:55], 0
	v_mov_b64_e32 v[72:73], 0
	v_cvt_i32_f64_e32 v5, v[6:7]
	v_cvt_i32_f64_e32 v6, v[32:33]
	v_mov_b64_e32 v[60:61], 0
	v_mov_b64_e32 v[36:37], 0
	v_cvt_i32_f64_e32 v0, v[0:1]
	v_mov_b64_e32 v[76:77], 0
	v_cvt_i32_f64_e32 v24, v[38:39]
	v_cvt_i32_f64_e32 v7, v[34:35]
	v_and_b32_e32 v34, 0x7fc, v16
	v_cvt_i32_f64_e32 v1, v[2:3]
	v_dual_add_nc_u32 v2, 64, v47 :: v_dual_bitop2_b32 v3, 63, v47 bitop3:0x40
	v_dual_lshlrev_b32 v32, 4, v47 :: v_dual_add_nc_u32 v16, s17, v14
	s_delay_alu instid0(VALU_DEP_4) | instskip(NEXT) | instid1(VALU_DEP_3)
	v_add3_u32 v34, v34, v20, 0x6200
	v_dual_lshrrev_b32 v18, 1, v2 :: v_dual_bitop2_b32 v26, s7, v3 bitop3:0x54
	v_lshlrev_b32_e32 v2, 4, v2
	v_lshl_or_b32 v3, v3, 4, v20
	v_dual_add_nc_u32 v139, v48, v17 :: v_dual_add_nc_u32 v141, v48, v23
	s_delay_alu instid0(VALU_DEP_4) | instskip(SKIP_1) | instid1(VALU_DEP_4)
	v_and_b32_e32 v18, 0xffc, v18
	v_dual_add_nc_u32 v142, v48, v25 :: v_dual_add_nc_u32 v143, v48, v27
	v_add_nc_u32_e32 v81, 0x6a40, v3
	v_mul_lo_u32 v122, s20, v22
	s_delay_alu instid0(VALU_DEP_4)
	v_add3_u32 v3, v18, v20, 0x6200
	v_add_nc_u32_e32 v137, v34, v32
	v_mov_b64_e32 v[34:35], 0
	v_mul_lo_u32 v118, s20, v4
	v_mov_b64_e32 v[66:67], 0
	v_mov_b64_e32 v[50:51], 0
	v_mul_lo_u32 v119, s20, v5
	v_mul_lo_u32 v120, s20, v6
	v_add_nc_u32_e32 v5, 0x60, v13
	v_mov_b64_e32 v[78:79], 0
	v_mul_lo_u32 v124, s20, v0
	v_dual_add_nc_u32 v0, 32, v13 :: v_dual_min_i32 v26, s12, v26
	v_dual_add_nc_u32 v18, s17, v16 :: v_dual_add_nc_u32 v4, 64, v13
	v_mul_lo_u32 v123, s20, v24
	v_lshlrev_b32_e32 v128, 4, v30
	s_delay_alu instid0(VALU_DEP_4) | instskip(NEXT) | instid1(VALU_DEP_4)
	v_mad_u32 v83, v26, s20, v12
	v_dual_add_nc_u32 v20, s17, v18 :: v_dual_lshlrev_b32 v131, 4, v43
	v_lshrrev_b32_e32 v6, 3, v4
	v_mul_lo_u32 v121, s20, v7
	s_delay_alu instid0(VALU_DEP_3)
	v_dual_lshrrev_b32 v7, 3, v5 :: v_dual_add_nc_u32 v22, s17, v20
	v_lshlrev_b32_e32 v126, 7, v46
	v_mul_lo_u32 v125, s20, v1
	v_lshrrev_b32_e32 v1, 3, v0
	v_mov_b64_e32 v[42:43], 0
	v_add_nc_u32_e32 v24, s17, v22
	v_lshlrev_b32_e32 v133, 4, v46
	s_delay_alu instid0(VALU_DEP_4) | instskip(SKIP_1) | instid1(VALU_DEP_4)
	v_dual_add_nc_u32 v146, v48, v126 :: v_dual_lshlrev_b32 v148, 2, v1
	v_mov_b64_e32 v[68:69], 0
	v_add_nc_u32_e32 v26, s17, v24
	v_lshlrev_b32_e32 v135, 4, v4
	v_mov_b64_e32 v[58:59], 0
	v_mov_b64_e32 v[46:47], 0
	s_ashr_i32 s11, s10, 31
	v_dual_add_nc_u32 v28, s17, v26 :: v_dual_add_nc_u32 v140, v48, v21
	v_lshlrev_b32_e32 v147, 2, v40
	v_mov_b64_e32 v[48:49], 0
	v_mov_b64_e32 v[40:41], 0
	s_delay_alu instid0(VALU_DEP_4)
	v_add_nc_u32_e32 v30, s17, v28
	v_add_nc_u32_e32 v33, 0x420, v19
	;; [unrolled: 1-line block ×6, first 2 shown]
	v_lshlrev_b32_e32 v149, 2, v6
	v_add_nc_u32_e32 v57, 0x14a0, v19
	v_add_nc_u32_e32 v63, 0x18c0, v19
	;; [unrolled: 1-line block ×3, first 2 shown]
	v_dual_add_nc_u32 v38, s17, v32 :: v_dual_lshlrev_b32 v150, 2, v7
	v_dual_lshlrev_b32 v159, 4, v9 :: v_dual_lshlrev_b32 v134, 4, v0
	s_delay_alu instid0(VALU_DEP_2)
	v_dual_lshlrev_b32 v136, 4, v5 :: v_dual_add_nc_u32 v44, s17, v38
	v_add_nc_u32_e32 v138, v3, v2
	v_add_nc_u32_e32 v151, 0x2100, v19
	;; [unrolled: 1-line block ×10, first 2 shown]
	v_lshlrev_b32_e32 v164, 2, v8
	v_add_nc_u32_e32 v158, 0x3de0, v19
	v_mul_u32_u24_e32 v160, 0x84, v13
	v_mad_u32_u24 v161, 0x84, v13, s13
	v_add_nc_u32_e32 v70, s17, v62
	v_mad_u32_u24 v162, 0x84, v13, s15
	v_mad_u32_u24 v163, 0x84, v13, s16
	v_lshl_add_u32 v82, s5, 6, v56
	s_mul_u64 s[18:19], s[10:11], 34
	v_add_nc_u32_e32 v80, s17, v70
	s_mov_b32 s11, 0
	s_add_nc_u64 s[0:1], s[0:1], s[18:19]
	s_mov_b32 s10, s11
.LBB145_5:                              ; =>This Loop Header: Depth=1
                                        ;     Child Loop BB145_6 Depth 2
	s_delay_alu instid0(SALU_CYCLE_1) | instskip(NEXT) | instid1(SALU_CYCLE_1)
	s_mul_u64 s[12:13], s[10:11], 34
	s_add_nc_u64 s[12:13], s[0:1], s[12:13]
	s_delay_alu instid0(SALU_CYCLE_1) | instskip(NEXT) | instid1(VALU_DEP_1)
	v_mad_nc_u64_u32 v[0:1], v8, 34, s[12:13]
	v_mad_nc_u64_u32 v[2:3], v14, 34, v[0:1]
	s_delay_alu instid0(VALU_DEP_1) | instskip(SKIP_4) | instid1(VALU_DEP_1)
	v_add_nc_u64_e32 v[2:3], v[2:3], v[10:11]
	global_load_b32 v2, v[2:3], off offset:2
	s_wait_loadcnt 0x0
	ds_store_b32 v19, v2
	v_mad_nc_u64_u32 v[2:3], v16, 34, v[0:1]
	v_add_nc_u64_e32 v[2:3], v[2:3], v[10:11]
	global_load_b32 v2, v[2:3], off offset:2
	s_wait_loadcnt 0x0
	ds_store_b32 v33, v2
	v_mad_nc_u64_u32 v[2:3], v18, 34, v[0:1]
	s_delay_alu instid0(VALU_DEP_1) | instskip(SKIP_4) | instid1(VALU_DEP_1)
	v_add_nc_u64_e32 v[2:3], v[2:3], v[10:11]
	global_load_b32 v2, v[2:3], off offset:2
	s_wait_loadcnt 0x0
	ds_store_b32 v39, v2
	v_mad_nc_u64_u32 v[2:3], v20, 34, v[0:1]
	v_add_nc_u64_e32 v[2:3], v[2:3], v[10:11]
	global_load_b32 v2, v[2:3], off offset:2
	s_wait_loadcnt 0x0
	ds_store_b32 v45, v2
	;; [unrolled: 11-line block ×7, first 2 shown]
	v_mad_nc_u64_u32 v[2:3], v70, 34, v[0:1]
	v_mad_nc_u64_u32 v[0:1], v80, 34, v[0:1]
	s_delay_alu instid0(VALU_DEP_2) | instskip(NEXT) | instid1(VALU_DEP_2)
	v_add_nc_u64_e32 v[2:3], v[2:3], v[10:11]
	v_add_nc_u64_e32 v[0:1], v[0:1], v[10:11]
	s_clause 0x1
	global_load_b32 v2, v[2:3], off offset:2
	global_load_b32 v0, v[0:1], off offset:2
	s_wait_loadcnt 0x1
	ds_store_b32 v157, v2
	s_wait_loadcnt 0x0
	ds_store_b32 v158, v0
	v_mad_nc_u64_u32 v[0:1], v12, 34, s[12:13]
	s_mov_b32 s12, 0
	s_delay_alu instid0(VALU_DEP_1)
	v_mad_nc_u64_u32 v[2:3], v56, 34, v[0:1]
	v_mad_nc_u64_u32 v[0:1], v82, 34, v[0:1]
	s_clause 0x1
	global_load_u16 v2, v[2:3], off
	global_load_u16 v0, v[0:1], off
	s_wait_loadcnt 0x1
	s_wait_xcnt 0x1
	v_cvt_f32_f16_e32 v2, v2
	s_wait_loadcnt 0x0
	v_cvt_f32_f16_e32 v0, v0
	ds_store_b32 v137, v2
	ds_store_b32 v138, v0
	v_dual_add_nc_u32 v2, s10, v8 :: v_dual_add_nc_u32 v0, s10, v83
	s_delay_alu instid0(VALU_DEP_1) | instskip(SKIP_3) | instid1(VALU_DEP_1)
	v_mad_nc_u64_u32 v[0:1], v0, 36, s[2:3]
	global_load_b32 v3, v[0:1], off
	s_wait_xcnt 0x0
	v_add_nc_u32_e32 v0, v2, v118
	v_mad_nc_i64_i32 v[0:1], v0, 36, v[74:75]
	global_load_b32 v0, v[0:1], off offset:4
	s_wait_loadcnt 0x0
	ds_store_b32 v139, v0
	v_add_nc_u32_e32 v0, v2, v119
	s_delay_alu instid0(VALU_DEP_1) | instskip(SKIP_4) | instid1(VALU_DEP_1)
	v_mad_nc_i64_i32 v[0:1], v0, 36, v[74:75]
	global_load_b32 v0, v[0:1], off offset:4
	s_wait_loadcnt 0x0
	ds_store_b32 v140, v0
	v_add_nc_u32_e32 v0, v2, v120
	v_mad_nc_i64_i32 v[0:1], v0, 36, v[74:75]
	global_load_b32 v0, v[0:1], off offset:4
	s_wait_loadcnt 0x0
	ds_store_b32 v141, v0
	v_add_nc_u32_e32 v0, v2, v121
	s_delay_alu instid0(VALU_DEP_1) | instskip(SKIP_4) | instid1(VALU_DEP_1)
	v_mad_nc_i64_i32 v[0:1], v0, 36, v[74:75]
	global_load_b32 v0, v[0:1], off offset:4
	s_wait_loadcnt 0x0
	ds_store_b32 v142, v0
	v_add_nc_u32_e32 v0, v2, v122
	v_mad_nc_i64_i32 v[0:1], v0, 36, v[74:75]
	global_load_b32 v0, v[0:1], off offset:4
	s_wait_loadcnt 0x0
	ds_store_b32 v143, v0
	v_add_nc_u32_e32 v0, v2, v123
	s_delay_alu instid0(VALU_DEP_1) | instskip(SKIP_4) | instid1(VALU_DEP_1)
	v_mad_nc_i64_i32 v[0:1], v0, 36, v[74:75]
	global_load_b32 v0, v[0:1], off offset:4
	s_wait_loadcnt 0x0
	ds_store_b32 v144, v0
	v_add_nc_u32_e32 v0, v2, v124
	v_mad_nc_i64_i32 v[0:1], v0, 36, v[74:75]
	global_load_b32 v0, v[0:1], off offset:4
	s_wait_loadcnt 0x0
	ds_store_b32 v145, v0
	v_add_nc_u32_e32 v0, v2, v125
	s_delay_alu instid0(VALU_DEP_1)
	v_mad_nc_i64_i32 v[0:1], v0, 36, v[74:75]
	global_load_b32 v0, v[0:1], off offset:4
	s_wait_loadcnt 0x0
	ds_store_b32 v146, v0
	v_cvt_f32_f16_e32 v0, v3
	ds_store_b32 v81, v0
	s_wait_dscnt 0x0
	s_barrier_signal -1
	s_barrier_wait -1
.LBB145_6:                              ;   Parent Loop BB145_5 Depth=1
                                        ; =>  This Inner Loop Header: Depth=2
	s_lshl_b32 s16, s12, 2
	s_lshr_b32 s17, s12, 1
	s_add_co_i32 s13, s16, 0x4200
	s_add_co_i32 s15, s17, 0x6a40
	s_delay_alu instid0(SALU_CYCLE_1)
	v_dual_add_nc_u32 v4, s13, v17 :: v_dual_add_nc_u32 v0, s15, v159
	s_addk_co_i32 s17, 0x6200
	v_add_nc_u32_e32 v84, s16, v160
	ds_load_b32 v116, v0
	v_add3_u32 v0, s17, v164, v147
	ds_load_b32 v117, v0
	ds_load_b128 v[0:3], v4
	ds_load_b128 v[4:7], v4 offset:16
	ds_load_2addr_b32 v[94:95], v84 offset1:1
	ds_load_2addr_b32 v[92:93], v84 offset0:2 offset1:3
	ds_load_2addr_b32 v[90:91], v84 offset0:4 offset1:5
	;; [unrolled: 1-line block ×3, first 2 shown]
	s_wait_dscnt 0x5
	v_perm_b32 v86, v3, v2, 0x5010c0c
	v_perm_b32 v87, v3, v2, 0x7030c0c
	s_wait_dscnt 0x3
	v_perm_b32 v84, v94, v95, 0xc0c0501
	s_wait_dscnt 0x2
	v_perm_b32 v85, v93, v92, 0x5010c0c
	v_perm_b32 v96, v3, v2, 0x4000c0c
	;; [unrolled: 1-line block ×4, first 2 shown]
	s_wait_dscnt 0x0
	v_bfe_i32 v165, v88, 0, 8
	v_or_b32_e32 v84, v85, v84
	v_perm_b32 v85, v0, v1, 0xc0c0501
	v_perm_b32 v174, v88, v88, 0xc030201
	s_delay_alu instid0(VALU_DEP_2) | instskip(SKIP_1) | instid1(VALU_DEP_2)
	v_or_b32_e32 v85, v86, v85
	v_perm_b32 v86, v93, v92, 0x7030c0c
	v_dot4_i32_iu8 v84, v84, v85, 0 neg_lo:[1,1,0]
	v_perm_b32 v85, v94, v95, 0xc0c0703
	s_delay_alu instid0(VALU_DEP_1) | instskip(SKIP_1) | instid1(VALU_DEP_1)
	v_or_b32_e32 v85, v86, v85
	v_perm_b32 v86, v0, v1, 0xc0c0703
	v_or_b32_e32 v86, v87, v86
	v_perm_b32 v87, v93, v92, 0x4000c0c
	s_delay_alu instid0(VALU_DEP_2) | instskip(SKIP_1) | instid1(VALU_DEP_1)
	v_dot4_i32_iu8 v85, v85, v86, 0 neg_lo:[1,1,0]
	v_perm_b32 v86, v94, v95, 0xc0c0400
	v_or_b32_e32 v86, v87, v86
	v_perm_b32 v87, v0, v1, 0xc0c0400
	s_delay_alu instid0(VALU_DEP_1) | instskip(SKIP_1) | instid1(VALU_DEP_2)
	v_or_b32_e32 v87, v96, v87
	v_perm_b32 v96, v93, v92, 0x6020c0c
	v_dot4_i32_iu8 v86, v86, v87, 0 neg_lo:[1,1,0]
	v_perm_b32 v87, v94, v95, 0xc0c0602
	s_delay_alu instid0(VALU_DEP_1) | instskip(SKIP_1) | instid1(VALU_DEP_1)
	v_or_b32_e32 v87, v96, v87
	v_perm_b32 v96, v0, v1, 0xc0c0602
	v_or_b32_e32 v96, v97, v96
	v_perm_b32 v97, v89, v88, 0x6020c0c
	s_delay_alu instid0(VALU_DEP_2) | instskip(SKIP_1) | instid1(VALU_DEP_1)
	v_dot4_i32_iu8 v87, v87, v96, 0 neg_lo:[1,1,0]
	v_perm_b32 v96, v91, v90, 0xc0c0602
	v_or_b32_e32 v96, v97, v96
	v_perm_b32 v97, v5, v4, 0xc0c0602
	s_delay_alu instid0(VALU_DEP_1) | instskip(SKIP_1) | instid1(VALU_DEP_2)
	v_or_b32_e32 v97, v98, v97
	v_perm_b32 v98, v7, v6, 0x4000c0c
	v_dot4_i32_iu8 v87, v96, v97, v87 neg_lo:[1,1,0]
	v_perm_b32 v96, v91, v90, 0xc0c0400
	v_perm_b32 v97, v89, v88, 0x4000c0c
	s_delay_alu instid0(VALU_DEP_1) | instskip(SKIP_1) | instid1(VALU_DEP_1)
	v_or_b32_e32 v96, v97, v96
	v_perm_b32 v97, v5, v4, 0xc0c0400
	v_or_b32_e32 v97, v98, v97
	v_perm_b32 v98, v7, v6, 0x7030c0c
	s_delay_alu instid0(VALU_DEP_2) | instskip(SKIP_2) | instid1(VALU_DEP_1)
	v_dot4_i32_iu8 v86, v96, v97, v86 neg_lo:[1,1,0]
	v_perm_b32 v96, v91, v90, 0xc0c0703
	v_perm_b32 v97, v89, v88, 0x7030c0c
	v_or_b32_e32 v96, v97, v96
	v_perm_b32 v97, v5, v4, 0xc0c0703
	s_delay_alu instid0(VALU_DEP_1) | instskip(SKIP_1) | instid1(VALU_DEP_2)
	v_or_b32_e32 v97, v98, v97
	v_perm_b32 v98, v7, v6, 0x5010c0c
	v_dot4_i32_iu8 v85, v96, v97, v85 neg_lo:[1,1,0]
	v_perm_b32 v96, v91, v90, 0xc0c0501
	v_perm_b32 v97, v89, v88, 0x5010c0c
	s_delay_alu instid0(VALU_DEP_1) | instskip(SKIP_1) | instid1(VALU_DEP_1)
	v_or_b32_e32 v96, v97, v96
	v_perm_b32 v97, v5, v4, 0xc0c0501
	v_or_b32_e32 v97, v98, v97
	s_delay_alu instid0(VALU_DEP_1) | instskip(NEXT) | instid1(VALU_DEP_1)
	v_dot4_i32_iu8 v84, v96, v97, v84 neg_lo:[1,1,0]
	v_add_nc_u32_e32 v84, v84, v85
	v_mul_f32_e32 v85, v116, v117
	s_delay_alu instid0(VALU_DEP_2) | instskip(NEXT) | instid1(VALU_DEP_1)
	v_add3_u32 v84, v86, v87, v84
	v_cvt_f32_i32_e32 v84, v84
	s_delay_alu instid0(VALU_DEP_1)
	v_mul_f32_e32 v172, v85, v84
	v_add3_u32 v85, s17, v148, v134
	v_add_nc_u32_e32 v84, s16, v161
	ds_load_b32 v166, v85
	ds_load_2addr_b32 v[98:99], v84 offset1:1
	ds_load_2addr_b32 v[100:101], v84 offset0:2 offset1:3
	ds_load_2addr_b32 v[102:103], v84 offset0:4 offset1:5
	ds_load_2addr_b32 v[96:97], v84 offset0:6 offset1:7
	s_wait_dscnt 0x3
	v_dot4_i32_iu8 v85, v0, v98, 0 neg_lo:[1,1,0]
	s_wait_dscnt 0x1
	v_perm_b32 v169, v103, v103, 0x7060100
	s_wait_dscnt 0x0
	v_bfe_i32 v167, v96, 0, 8
	v_dot4_i32_iu8 v84, v1, v99, v85 neg_lo:[1,1,0]
	v_mul_f32_e32 v85, v116, v166
	s_delay_alu instid0(VALU_DEP_2) | instskip(NEXT) | instid1(VALU_DEP_1)
	v_dot4_i32_iu8 v84, v2, v100, v84 neg_lo:[1,1,0]
	v_dot4_i32_iu8 v84, v3, v101, v84 neg_lo:[1,1,0]
	s_delay_alu instid0(VALU_DEP_1) | instskip(NEXT) | instid1(VALU_DEP_1)
	v_dot4_i32_iu8 v84, v4, v102, v84 neg_lo:[1,1,0]
	v_dot4_i32_iu8 v84, v5, v169, v84 neg_lo:[1,1,0]
	s_delay_alu instid0(VALU_DEP_1) | instskip(NEXT) | instid1(VALU_DEP_1)
	;; [unrolled: 3-line block ×3, first 2 shown]
	v_cvt_f32_i32_e32 v84, v84
	v_mul_f32_e32 v176, v85, v84
	v_add3_u32 v85, s17, v149, v135
	v_add_nc_u32_e32 v84, s16, v162
	ds_load_b32 v168, v85
	ds_load_2addr_b32 v[108:109], v84 offset1:1
	ds_load_2addr_b32 v[110:111], v84 offset0:2 offset1:3
	ds_load_2addr_b32 v[112:113], v84 offset0:4 offset1:5
	;; [unrolled: 1-line block ×3, first 2 shown]
	s_wait_dscnt 0x3
	v_dot4_i32_iu8 v85, v0, v108, 0 neg_lo:[1,1,0]
	s_wait_dscnt 0x1
	v_perm_b32 v171, v113, v113, 0x7060100
	s_wait_dscnt 0x0
	v_bfe_i32 v170, v106, 0, 8
	v_dot4_i32_iu8 v84, v1, v109, v85 neg_lo:[1,1,0]
	v_mul_f32_e32 v85, v116, v168
	s_delay_alu instid0(VALU_DEP_2) | instskip(NEXT) | instid1(VALU_DEP_1)
	v_dot4_i32_iu8 v84, v2, v110, v84 neg_lo:[1,1,0]
	v_dot4_i32_iu8 v84, v3, v111, v84 neg_lo:[1,1,0]
	s_delay_alu instid0(VALU_DEP_1) | instskip(NEXT) | instid1(VALU_DEP_1)
	v_dot4_i32_iu8 v84, v4, v112, v84 neg_lo:[1,1,0]
	v_dot4_i32_iu8 v84, v5, v171, v84 neg_lo:[1,1,0]
	s_delay_alu instid0(VALU_DEP_1) | instskip(NEXT) | instid1(VALU_DEP_1)
	;; [unrolled: 3-line block ×3, first 2 shown]
	v_cvt_f32_i32_e32 v84, v84
	v_mul_f32_e32 v178, v85, v84
	v_add3_u32 v85, s17, v150, v136
	v_add_nc_u32_e32 v84, s16, v163
	ds_load_b32 v103, v85
	ds_load_2addr_b32 v[114:115], v84 offset1:1
	ds_load_2addr_b32 v[104:105], v84 offset0:2 offset1:3
	ds_load_2addr_b32 v[86:87], v84 offset0:4 offset1:5
	;; [unrolled: 1-line block ×3, first 2 shown]
	s_wait_dscnt 0x3
	v_dot4_i32_iu8 v0, v0, v114, 0 neg_lo:[1,1,0]
	s_wait_dscnt 0x1
	v_perm_b32 v87, v87, v87, 0x7060100
	s_wait_dscnt 0x0
	v_bfe_i32 v113, v84, 0, 8
	v_dot4_i32_iu8 v0, v1, v115, v0 neg_lo:[1,1,0]
	v_mul_f32_e32 v1, v116, v103
	s_delay_alu instid0(VALU_DEP_2) | instskip(NEXT) | instid1(VALU_DEP_1)
	v_dot4_i32_iu8 v0, v2, v104, v0 neg_lo:[1,1,0]
	v_dot4_i32_iu8 v0, v3, v105, v0 neg_lo:[1,1,0]
	s_delay_alu instid0(VALU_DEP_1) | instskip(SKIP_1) | instid1(VALU_DEP_2)
	v_dot4_i32_iu8 v0, v4, v86, v0 neg_lo:[1,1,0]
	v_add_nc_u32_e32 v4, s13, v21
	v_dot4_i32_iu8 v0, v5, v87, v0 neg_lo:[1,1,0]
	s_delay_alu instid0(VALU_DEP_1) | instskip(NEXT) | instid1(VALU_DEP_1)
	v_dot4_i32_iu8 v0, v6, v84, v0 neg_lo:[1,1,0]
	v_dot4_i32_iu8 v0, v7, v85, v0 neg_lo:[1,1,0]
	s_delay_alu instid0(VALU_DEP_1) | instskip(NEXT) | instid1(VALU_DEP_1)
	v_cvt_f32_i32_e32 v0, v0
	v_dual_mul_f32 v180, v1, v0 :: v_dual_add_nc_u32 v0, s15, v127
	ds_load_b32 v116, v0
	ds_load_b128 v[0:3], v4
	ds_load_b128 v[4:7], v4 offset:16
	s_wait_dscnt 0x1
	v_dot4_i32_iu8 v173, v94, v0, 0 neg_lo:[1,1,0]
	s_wait_dscnt 0x0
	v_perm_b32 v5, v5, v5, 0x7060100
	v_bfe_i32 v175, v6, 0, 8
	v_perm_b32 v6, v6, v6, 0xc030201
	v_dot4_i32_iu8 v173, v95, v1, v173 neg_lo:[1,1,0]
	s_delay_alu instid0(VALU_DEP_1) | instskip(NEXT) | instid1(VALU_DEP_1)
	v_dot4_i32_iu8 v173, v92, v2, v173 neg_lo:[1,1,0]
	v_dot4_i32_iu8 v173, v93, v3, v173 neg_lo:[1,1,0]
	s_delay_alu instid0(VALU_DEP_1) | instskip(NEXT) | instid1(VALU_DEP_1)
	v_dot4_i32_iu8 v173, v90, v4, v173 neg_lo:[1,1,0]
	v_dot4_i32_iu8 v173, v91, v5, v173 neg_lo:[1,1,0]
	s_delay_alu instid0(VALU_DEP_1) | instskip(NEXT) | instid1(VALU_DEP_1)
	v_mad_i32_i24 v173, v165, v175, v173
	v_dot4_i32_iu8 v88, v174, v6, v173 neg_lo:[1,1,0]
	v_mul_f32_e32 v173, v117, v116
	s_delay_alu instid0(VALU_DEP_2) | instskip(NEXT) | instid1(VALU_DEP_1)
	v_dot4_i32_iu8 v88, v89, v7, v88 neg_lo:[1,1,0]
	v_cvt_f32_i32_e32 v88, v88
	s_delay_alu instid0(VALU_DEP_1) | instskip(SKIP_1) | instid1(VALU_DEP_2)
	v_mul_f32_e32 v173, v173, v88
	v_dot4_i32_iu8 v88, v0, v98, 0 neg_lo:[1,1,0]
	v_pk_add_f32 v[64:65], v[64:65], v[172:173]
	s_delay_alu instid0(VALU_DEP_2)
	v_dot4_i32_iu8 v88, v1, v99, v88 neg_lo:[1,1,0]
	v_perm_b32 v173, v96, v96, 0xc030201
	v_mul_f32_e32 v96, v166, v116
	v_perm_b32 v172, v106, v106, 0xc030201
	v_perm_b32 v106, v84, v84, 0xc030201
	v_dot4_i32_iu8 v88, v2, v100, v88 neg_lo:[1,1,0]
	s_delay_alu instid0(VALU_DEP_1) | instskip(NEXT) | instid1(VALU_DEP_1)
	v_dot4_i32_iu8 v88, v3, v101, v88 neg_lo:[1,1,0]
	v_dot4_i32_iu8 v88, v4, v102, v88 neg_lo:[1,1,0]
	s_delay_alu instid0(VALU_DEP_1) | instskip(NEXT) | instid1(VALU_DEP_1)
	v_dot4_i32_iu8 v88, v5, v169, v88 neg_lo:[1,1,0]
	v_mad_i32_i24 v88, v175, v167, v88
	s_delay_alu instid0(VALU_DEP_1) | instskip(NEXT) | instid1(VALU_DEP_1)
	v_dot4_i32_iu8 v88, v6, v173, v88 neg_lo:[1,1,0]
	v_dot4_i32_iu8 v88, v7, v97, v88 neg_lo:[1,1,0]
	s_delay_alu instid0(VALU_DEP_1) | instskip(NEXT) | instid1(VALU_DEP_1)
	v_cvt_f32_i32_e32 v88, v88
	v_mul_f32_e32 v177, v96, v88
	v_dot4_i32_iu8 v88, v0, v108, 0 neg_lo:[1,1,0]
	v_dot4_i32_iu8 v0, v0, v114, 0 neg_lo:[1,1,0]
	v_mul_f32_e32 v96, v168, v116
	s_delay_alu instid0(VALU_DEP_4) | instskip(NEXT) | instid1(VALU_DEP_4)
	v_pk_add_f32 v[72:73], v[72:73], v[176:177]
	v_dot4_i32_iu8 v88, v1, v109, v88 neg_lo:[1,1,0]
	s_delay_alu instid0(VALU_DEP_4) | instskip(SKIP_1) | instid1(VALU_DEP_3)
	v_dot4_i32_iu8 v0, v1, v115, v0 neg_lo:[1,1,0]
	v_mul_f32_e32 v1, v103, v116
	v_dot4_i32_iu8 v88, v2, v110, v88 neg_lo:[1,1,0]
	s_delay_alu instid0(VALU_DEP_3) | instskip(NEXT) | instid1(VALU_DEP_2)
	v_dot4_i32_iu8 v0, v2, v104, v0 neg_lo:[1,1,0]
	v_dot4_i32_iu8 v88, v3, v111, v88 neg_lo:[1,1,0]
	s_delay_alu instid0(VALU_DEP_2) | instskip(NEXT) | instid1(VALU_DEP_2)
	v_dot4_i32_iu8 v0, v3, v105, v0 neg_lo:[1,1,0]
	v_dot4_i32_iu8 v88, v4, v112, v88 neg_lo:[1,1,0]
	s_delay_alu instid0(VALU_DEP_2) | instskip(SKIP_1) | instid1(VALU_DEP_3)
	v_dot4_i32_iu8 v0, v4, v86, v0 neg_lo:[1,1,0]
	v_add_nc_u32_e32 v4, s13, v23
	v_dot4_i32_iu8 v88, v5, v171, v88 neg_lo:[1,1,0]
	s_delay_alu instid0(VALU_DEP_3) | instskip(NEXT) | instid1(VALU_DEP_2)
	v_dot4_i32_iu8 v0, v5, v87, v0 neg_lo:[1,1,0]
	v_mad_i32_i24 v88, v175, v170, v88
	s_delay_alu instid0(VALU_DEP_2) | instskip(NEXT) | instid1(VALU_DEP_2)
	v_mad_i32_i24 v0, v175, v113, v0
	v_dot4_i32_iu8 v88, v6, v172, v88 neg_lo:[1,1,0]
	s_delay_alu instid0(VALU_DEP_2) | instskip(NEXT) | instid1(VALU_DEP_2)
	v_dot4_i32_iu8 v0, v6, v106, v0 neg_lo:[1,1,0]
	v_dot4_i32_iu8 v88, v7, v107, v88 neg_lo:[1,1,0]
	s_delay_alu instid0(VALU_DEP_2) | instskip(NEXT) | instid1(VALU_DEP_2)
	v_dot4_i32_iu8 v0, v7, v85, v0 neg_lo:[1,1,0]
	v_cvt_f32_i32_e32 v88, v88
	s_delay_alu instid0(VALU_DEP_2) | instskip(NEXT) | instid1(VALU_DEP_2)
	v_cvt_f32_i32_e32 v0, v0
	v_mul_f32_e32 v179, v96, v88
	s_delay_alu instid0(VALU_DEP_2)
	v_mul_f32_e32 v181, v1, v0
	v_add_nc_u32_e32 v0, s15, v128
	ds_load_b32 v84, v0
	ds_load_b128 v[0:3], v4
	ds_load_b128 v[4:7], v4 offset:16
	v_pk_add_f32 v[76:77], v[76:77], v[178:179]
	s_wait_dscnt 0x2
	v_mul_f32_e32 v116, v117, v84
	s_wait_dscnt 0x1
	v_dot4_i32_iu8 v88, v94, v0, 0 neg_lo:[1,1,0]
	s_wait_dscnt 0x0
	v_perm_b32 v5, v5, v5, 0x7060100
	v_bfe_i32 v96, v6, 0, 8
	v_perm_b32 v6, v6, v6, 0xc030201
	v_dot4_i32_iu8 v88, v95, v1, v88 neg_lo:[1,1,0]
	s_delay_alu instid0(VALU_DEP_1) | instskip(NEXT) | instid1(VALU_DEP_1)
	v_dot4_i32_iu8 v88, v92, v2, v88 neg_lo:[1,1,0]
	v_dot4_i32_iu8 v88, v93, v3, v88 neg_lo:[1,1,0]
	s_delay_alu instid0(VALU_DEP_1) | instskip(NEXT) | instid1(VALU_DEP_1)
	v_dot4_i32_iu8 v88, v90, v4, v88 neg_lo:[1,1,0]
	v_dot4_i32_iu8 v88, v91, v5, v88 neg_lo:[1,1,0]
	s_delay_alu instid0(VALU_DEP_1) | instskip(NEXT) | instid1(VALU_DEP_1)
	v_mad_i32_i24 v88, v165, v96, v88
	v_dot4_i32_iu8 v88, v174, v6, v88 neg_lo:[1,1,0]
	s_delay_alu instid0(VALU_DEP_1) | instskip(NEXT) | instid1(VALU_DEP_1)
	v_dot4_i32_iu8 v88, v89, v7, v88 neg_lo:[1,1,0]
	v_cvt_f32_i32_e32 v88, v88
	s_delay_alu instid0(VALU_DEP_1) | instskip(SKIP_2) | instid1(VALU_DEP_2)
	v_mul_f32_e32 v176, v116, v88
	v_dot4_i32_iu8 v88, v0, v98, 0 neg_lo:[1,1,0]
	v_mul_f32_e32 v116, v166, v84
	v_dot4_i32_iu8 v88, v1, v99, v88 neg_lo:[1,1,0]
	s_delay_alu instid0(VALU_DEP_1) | instskip(NEXT) | instid1(VALU_DEP_1)
	v_dot4_i32_iu8 v88, v2, v100, v88 neg_lo:[1,1,0]
	v_dot4_i32_iu8 v88, v3, v101, v88 neg_lo:[1,1,0]
	s_delay_alu instid0(VALU_DEP_1) | instskip(NEXT) | instid1(VALU_DEP_1)
	v_dot4_i32_iu8 v88, v4, v102, v88 neg_lo:[1,1,0]
	v_dot4_i32_iu8 v88, v5, v169, v88 neg_lo:[1,1,0]
	s_delay_alu instid0(VALU_DEP_1) | instskip(NEXT) | instid1(VALU_DEP_1)
	v_mad_i32_i24 v88, v96, v167, v88
	v_dot4_i32_iu8 v88, v6, v173, v88 neg_lo:[1,1,0]
	s_delay_alu instid0(VALU_DEP_1) | instskip(NEXT) | instid1(VALU_DEP_1)
	v_dot4_i32_iu8 v88, v7, v97, v88 neg_lo:[1,1,0]
	v_cvt_f32_i32_e32 v88, v88
	s_delay_alu instid0(VALU_DEP_1) | instskip(SKIP_3) | instid1(VALU_DEP_3)
	v_mul_f32_e32 v178, v116, v88
	v_dot4_i32_iu8 v88, v0, v108, 0 neg_lo:[1,1,0]
	v_dot4_i32_iu8 v0, v0, v114, 0 neg_lo:[1,1,0]
	v_mul_f32_e32 v116, v168, v84
	v_dot4_i32_iu8 v88, v1, v109, v88 neg_lo:[1,1,0]
	s_delay_alu instid0(VALU_DEP_3) | instskip(SKIP_1) | instid1(VALU_DEP_3)
	v_dot4_i32_iu8 v0, v1, v115, v0 neg_lo:[1,1,0]
	v_mul_f32_e32 v1, v103, v84
	v_dot4_i32_iu8 v88, v2, v110, v88 neg_lo:[1,1,0]
	s_delay_alu instid0(VALU_DEP_3) | instskip(NEXT) | instid1(VALU_DEP_2)
	v_dot4_i32_iu8 v0, v2, v104, v0 neg_lo:[1,1,0]
	v_dot4_i32_iu8 v88, v3, v111, v88 neg_lo:[1,1,0]
	s_delay_alu instid0(VALU_DEP_2) | instskip(NEXT) | instid1(VALU_DEP_2)
	v_dot4_i32_iu8 v0, v3, v105, v0 neg_lo:[1,1,0]
	v_dot4_i32_iu8 v88, v4, v112, v88 neg_lo:[1,1,0]
	s_delay_alu instid0(VALU_DEP_2) | instskip(SKIP_1) | instid1(VALU_DEP_3)
	v_dot4_i32_iu8 v0, v4, v86, v0 neg_lo:[1,1,0]
	v_add_nc_u32_e32 v4, s13, v25
	v_dot4_i32_iu8 v88, v5, v171, v88 neg_lo:[1,1,0]
	s_delay_alu instid0(VALU_DEP_3) | instskip(NEXT) | instid1(VALU_DEP_2)
	v_dot4_i32_iu8 v0, v5, v87, v0 neg_lo:[1,1,0]
	v_mad_i32_i24 v88, v96, v170, v88
	s_delay_alu instid0(VALU_DEP_2) | instskip(NEXT) | instid1(VALU_DEP_2)
	v_mad_i32_i24 v0, v96, v113, v0
	v_dot4_i32_iu8 v88, v6, v172, v88 neg_lo:[1,1,0]
	s_delay_alu instid0(VALU_DEP_2) | instskip(NEXT) | instid1(VALU_DEP_2)
	v_dot4_i32_iu8 v0, v6, v106, v0 neg_lo:[1,1,0]
	v_dot4_i32_iu8 v88, v7, v107, v88 neg_lo:[1,1,0]
	s_delay_alu instid0(VALU_DEP_2) | instskip(NEXT) | instid1(VALU_DEP_2)
	v_dot4_i32_iu8 v0, v7, v85, v0 neg_lo:[1,1,0]
	v_cvt_f32_i32_e32 v88, v88
	s_delay_alu instid0(VALU_DEP_2) | instskip(NEXT) | instid1(VALU_DEP_1)
	v_cvt_f32_i32_e32 v0, v0
	v_dual_mul_f32 v182, v1, v0 :: v_dual_add_nc_u32 v0, s15, v129
	ds_load_b32 v84, v0
	ds_load_b128 v[0:3], v4
	ds_load_b128 v[4:7], v4 offset:16
	v_pk_add_f32 v[78:79], v[78:79], v[180:181]
	v_mul_f32_e32 v180, v116, v88
	s_wait_dscnt 0x2
	v_mul_f32_e32 v116, v117, v84
	s_wait_dscnt 0x1
	v_dot4_i32_iu8 v88, v94, v0, 0 neg_lo:[1,1,0]
	s_wait_dscnt 0x0
	v_perm_b32 v5, v5, v5, 0x7060100
	v_bfe_i32 v96, v6, 0, 8
	v_perm_b32 v6, v6, v6, 0xc030201
	v_dot4_i32_iu8 v88, v95, v1, v88 neg_lo:[1,1,0]
	s_delay_alu instid0(VALU_DEP_1) | instskip(NEXT) | instid1(VALU_DEP_1)
	v_dot4_i32_iu8 v88, v92, v2, v88 neg_lo:[1,1,0]
	v_dot4_i32_iu8 v88, v93, v3, v88 neg_lo:[1,1,0]
	s_delay_alu instid0(VALU_DEP_1) | instskip(NEXT) | instid1(VALU_DEP_1)
	v_dot4_i32_iu8 v88, v90, v4, v88 neg_lo:[1,1,0]
	v_dot4_i32_iu8 v88, v91, v5, v88 neg_lo:[1,1,0]
	s_delay_alu instid0(VALU_DEP_1) | instskip(NEXT) | instid1(VALU_DEP_1)
	v_mad_i32_i24 v88, v165, v96, v88
	v_dot4_i32_iu8 v88, v174, v6, v88 neg_lo:[1,1,0]
	s_delay_alu instid0(VALU_DEP_1) | instskip(NEXT) | instid1(VALU_DEP_1)
	v_dot4_i32_iu8 v88, v89, v7, v88 neg_lo:[1,1,0]
	v_cvt_f32_i32_e32 v88, v88
	s_delay_alu instid0(VALU_DEP_1) | instskip(SKIP_2) | instid1(VALU_DEP_3)
	v_mul_f32_e32 v177, v116, v88
	v_dot4_i32_iu8 v88, v0, v98, 0 neg_lo:[1,1,0]
	v_mul_f32_e32 v116, v166, v84
	v_pk_add_f32 v[54:55], v[54:55], v[176:177]
	s_delay_alu instid0(VALU_DEP_3) | instskip(NEXT) | instid1(VALU_DEP_1)
	v_dot4_i32_iu8 v88, v1, v99, v88 neg_lo:[1,1,0]
	v_dot4_i32_iu8 v88, v2, v100, v88 neg_lo:[1,1,0]
	s_delay_alu instid0(VALU_DEP_1) | instskip(NEXT) | instid1(VALU_DEP_1)
	v_dot4_i32_iu8 v88, v3, v101, v88 neg_lo:[1,1,0]
	v_dot4_i32_iu8 v88, v4, v102, v88 neg_lo:[1,1,0]
	s_delay_alu instid0(VALU_DEP_1) | instskip(NEXT) | instid1(VALU_DEP_1)
	v_dot4_i32_iu8 v88, v5, v169, v88 neg_lo:[1,1,0]
	v_mad_i32_i24 v88, v96, v167, v88
	s_delay_alu instid0(VALU_DEP_1) | instskip(NEXT) | instid1(VALU_DEP_1)
	v_dot4_i32_iu8 v88, v6, v173, v88 neg_lo:[1,1,0]
	v_dot4_i32_iu8 v88, v7, v97, v88 neg_lo:[1,1,0]
	s_delay_alu instid0(VALU_DEP_1) | instskip(NEXT) | instid1(VALU_DEP_1)
	v_cvt_f32_i32_e32 v88, v88
	v_mul_f32_e32 v179, v116, v88
	v_dot4_i32_iu8 v88, v0, v108, 0 neg_lo:[1,1,0]
	v_dot4_i32_iu8 v0, v0, v114, 0 neg_lo:[1,1,0]
	v_mul_f32_e32 v116, v168, v84
	s_delay_alu instid0(VALU_DEP_3) | instskip(NEXT) | instid1(VALU_DEP_3)
	v_dot4_i32_iu8 v88, v1, v109, v88 neg_lo:[1,1,0]
	v_dot4_i32_iu8 v0, v1, v115, v0 neg_lo:[1,1,0]
	v_mul_f32_e32 v1, v103, v84
	s_delay_alu instid0(VALU_DEP_3) | instskip(NEXT) | instid1(VALU_DEP_3)
	v_dot4_i32_iu8 v88, v2, v110, v88 neg_lo:[1,1,0]
	v_dot4_i32_iu8 v0, v2, v104, v0 neg_lo:[1,1,0]
	s_delay_alu instid0(VALU_DEP_2) | instskip(NEXT) | instid1(VALU_DEP_2)
	v_dot4_i32_iu8 v88, v3, v111, v88 neg_lo:[1,1,0]
	v_dot4_i32_iu8 v0, v3, v105, v0 neg_lo:[1,1,0]
	s_delay_alu instid0(VALU_DEP_2) | instskip(NEXT) | instid1(VALU_DEP_2)
	v_dot4_i32_iu8 v88, v4, v112, v88 neg_lo:[1,1,0]
	v_dot4_i32_iu8 v0, v4, v86, v0 neg_lo:[1,1,0]
	v_add_nc_u32_e32 v4, s13, v27
	s_delay_alu instid0(VALU_DEP_3) | instskip(NEXT) | instid1(VALU_DEP_3)
	v_dot4_i32_iu8 v88, v5, v171, v88 neg_lo:[1,1,0]
	v_dot4_i32_iu8 v0, v5, v87, v0 neg_lo:[1,1,0]
	s_delay_alu instid0(VALU_DEP_2) | instskip(NEXT) | instid1(VALU_DEP_2)
	v_mad_i32_i24 v88, v96, v170, v88
	v_mad_i32_i24 v0, v96, v113, v0
	s_delay_alu instid0(VALU_DEP_2) | instskip(NEXT) | instid1(VALU_DEP_2)
	v_dot4_i32_iu8 v88, v6, v172, v88 neg_lo:[1,1,0]
	v_dot4_i32_iu8 v0, v6, v106, v0 neg_lo:[1,1,0]
	s_delay_alu instid0(VALU_DEP_2) | instskip(NEXT) | instid1(VALU_DEP_2)
	v_dot4_i32_iu8 v88, v7, v107, v88 neg_lo:[1,1,0]
	v_dot4_i32_iu8 v0, v7, v85, v0 neg_lo:[1,1,0]
	s_delay_alu instid0(VALU_DEP_2) | instskip(NEXT) | instid1(VALU_DEP_2)
	v_cvt_f32_i32_e32 v88, v88
	v_cvt_f32_i32_e32 v0, v0
	s_delay_alu instid0(VALU_DEP_2) | instskip(NEXT) | instid1(VALU_DEP_2)
	v_mul_f32_e32 v181, v116, v88
	v_dual_mul_f32 v183, v1, v0 :: v_dual_add_nc_u32 v0, s15, v130
	ds_load_b32 v84, v0
	ds_load_b128 v[0:3], v4
	ds_load_b128 v[4:7], v4 offset:16
	v_pk_add_f32 v[60:61], v[60:61], v[178:179]
	v_pk_add_f32 v[68:69], v[68:69], v[182:183]
	;; [unrolled: 1-line block ×3, first 2 shown]
	s_wait_dscnt 0x2
	v_mul_f32_e32 v116, v117, v84
	s_wait_dscnt 0x1
	v_dot4_i32_iu8 v88, v94, v0, 0 neg_lo:[1,1,0]
	s_wait_dscnt 0x0
	v_perm_b32 v5, v5, v5, 0x7060100
	v_bfe_i32 v96, v6, 0, 8
	v_perm_b32 v6, v6, v6, 0xc030201
	v_dot4_i32_iu8 v88, v95, v1, v88 neg_lo:[1,1,0]
	s_delay_alu instid0(VALU_DEP_1) | instskip(NEXT) | instid1(VALU_DEP_1)
	v_dot4_i32_iu8 v88, v92, v2, v88 neg_lo:[1,1,0]
	v_dot4_i32_iu8 v88, v93, v3, v88 neg_lo:[1,1,0]
	s_delay_alu instid0(VALU_DEP_1) | instskip(NEXT) | instid1(VALU_DEP_1)
	v_dot4_i32_iu8 v88, v90, v4, v88 neg_lo:[1,1,0]
	v_dot4_i32_iu8 v88, v91, v5, v88 neg_lo:[1,1,0]
	s_delay_alu instid0(VALU_DEP_1) | instskip(NEXT) | instid1(VALU_DEP_1)
	v_mad_i32_i24 v88, v165, v96, v88
	v_dot4_i32_iu8 v88, v174, v6, v88 neg_lo:[1,1,0]
	s_delay_alu instid0(VALU_DEP_1) | instskip(NEXT) | instid1(VALU_DEP_1)
	v_dot4_i32_iu8 v88, v89, v7, v88 neg_lo:[1,1,0]
	v_cvt_f32_i32_e32 v88, v88
	s_delay_alu instid0(VALU_DEP_1) | instskip(SKIP_2) | instid1(VALU_DEP_2)
	v_mul_f32_e32 v176, v116, v88
	v_dot4_i32_iu8 v88, v0, v98, 0 neg_lo:[1,1,0]
	v_mul_f32_e32 v116, v166, v84
	v_dot4_i32_iu8 v88, v1, v99, v88 neg_lo:[1,1,0]
	s_delay_alu instid0(VALU_DEP_1) | instskip(NEXT) | instid1(VALU_DEP_1)
	v_dot4_i32_iu8 v88, v2, v100, v88 neg_lo:[1,1,0]
	v_dot4_i32_iu8 v88, v3, v101, v88 neg_lo:[1,1,0]
	s_delay_alu instid0(VALU_DEP_1) | instskip(NEXT) | instid1(VALU_DEP_1)
	v_dot4_i32_iu8 v88, v4, v102, v88 neg_lo:[1,1,0]
	v_dot4_i32_iu8 v88, v5, v169, v88 neg_lo:[1,1,0]
	s_delay_alu instid0(VALU_DEP_1) | instskip(NEXT) | instid1(VALU_DEP_1)
	v_mad_i32_i24 v88, v96, v167, v88
	v_dot4_i32_iu8 v88, v6, v173, v88 neg_lo:[1,1,0]
	s_delay_alu instid0(VALU_DEP_1) | instskip(NEXT) | instid1(VALU_DEP_1)
	v_dot4_i32_iu8 v88, v7, v97, v88 neg_lo:[1,1,0]
	v_cvt_f32_i32_e32 v88, v88
	s_delay_alu instid0(VALU_DEP_1) | instskip(SKIP_3) | instid1(VALU_DEP_3)
	v_mul_f32_e32 v178, v116, v88
	v_dot4_i32_iu8 v88, v0, v108, 0 neg_lo:[1,1,0]
	v_dot4_i32_iu8 v0, v0, v114, 0 neg_lo:[1,1,0]
	v_mul_f32_e32 v116, v168, v84
	v_dot4_i32_iu8 v88, v1, v109, v88 neg_lo:[1,1,0]
	s_delay_alu instid0(VALU_DEP_3) | instskip(SKIP_1) | instid1(VALU_DEP_3)
	v_dot4_i32_iu8 v0, v1, v115, v0 neg_lo:[1,1,0]
	v_mul_f32_e32 v1, v103, v84
	v_dot4_i32_iu8 v88, v2, v110, v88 neg_lo:[1,1,0]
	s_delay_alu instid0(VALU_DEP_3) | instskip(NEXT) | instid1(VALU_DEP_2)
	v_dot4_i32_iu8 v0, v2, v104, v0 neg_lo:[1,1,0]
	v_dot4_i32_iu8 v88, v3, v111, v88 neg_lo:[1,1,0]
	s_delay_alu instid0(VALU_DEP_2) | instskip(NEXT) | instid1(VALU_DEP_2)
	v_dot4_i32_iu8 v0, v3, v105, v0 neg_lo:[1,1,0]
	v_dot4_i32_iu8 v88, v4, v112, v88 neg_lo:[1,1,0]
	s_delay_alu instid0(VALU_DEP_2) | instskip(SKIP_1) | instid1(VALU_DEP_3)
	v_dot4_i32_iu8 v0, v4, v86, v0 neg_lo:[1,1,0]
	v_add_nc_u32_e32 v4, s13, v29
	v_dot4_i32_iu8 v88, v5, v171, v88 neg_lo:[1,1,0]
	s_delay_alu instid0(VALU_DEP_3) | instskip(NEXT) | instid1(VALU_DEP_2)
	v_dot4_i32_iu8 v0, v5, v87, v0 neg_lo:[1,1,0]
	v_mad_i32_i24 v88, v96, v170, v88
	s_delay_alu instid0(VALU_DEP_2) | instskip(NEXT) | instid1(VALU_DEP_2)
	v_mad_i32_i24 v0, v96, v113, v0
	v_dot4_i32_iu8 v88, v6, v172, v88 neg_lo:[1,1,0]
	s_delay_alu instid0(VALU_DEP_2) | instskip(NEXT) | instid1(VALU_DEP_2)
	v_dot4_i32_iu8 v0, v6, v106, v0 neg_lo:[1,1,0]
	v_dot4_i32_iu8 v88, v7, v107, v88 neg_lo:[1,1,0]
	s_delay_alu instid0(VALU_DEP_2) | instskip(NEXT) | instid1(VALU_DEP_2)
	v_dot4_i32_iu8 v0, v7, v85, v0 neg_lo:[1,1,0]
	v_cvt_f32_i32_e32 v88, v88
	s_delay_alu instid0(VALU_DEP_2) | instskip(NEXT) | instid1(VALU_DEP_2)
	v_cvt_f32_i32_e32 v0, v0
	v_mul_f32_e32 v180, v116, v88
	s_delay_alu instid0(VALU_DEP_2)
	v_dual_mul_f32 v182, v1, v0 :: v_dual_add_nc_u32 v0, s15, v131
	ds_load_b32 v84, v0
	ds_load_b128 v[0:3], v4
	ds_load_b128 v[4:7], v4 offset:16
	s_wait_dscnt 0x2
	v_mul_f32_e32 v116, v117, v84
	s_wait_dscnt 0x1
	v_dot4_i32_iu8 v88, v94, v0, 0 neg_lo:[1,1,0]
	s_wait_dscnt 0x0
	v_perm_b32 v5, v5, v5, 0x7060100
	v_bfe_i32 v96, v6, 0, 8
	v_perm_b32 v6, v6, v6, 0xc030201
	v_dot4_i32_iu8 v88, v95, v1, v88 neg_lo:[1,1,0]
	s_delay_alu instid0(VALU_DEP_1) | instskip(NEXT) | instid1(VALU_DEP_1)
	v_dot4_i32_iu8 v88, v92, v2, v88 neg_lo:[1,1,0]
	v_dot4_i32_iu8 v88, v93, v3, v88 neg_lo:[1,1,0]
	s_delay_alu instid0(VALU_DEP_1) | instskip(NEXT) | instid1(VALU_DEP_1)
	v_dot4_i32_iu8 v88, v90, v4, v88 neg_lo:[1,1,0]
	v_dot4_i32_iu8 v88, v91, v5, v88 neg_lo:[1,1,0]
	s_delay_alu instid0(VALU_DEP_1) | instskip(NEXT) | instid1(VALU_DEP_1)
	v_mad_i32_i24 v88, v165, v96, v88
	v_dot4_i32_iu8 v88, v174, v6, v88 neg_lo:[1,1,0]
	s_delay_alu instid0(VALU_DEP_1) | instskip(NEXT) | instid1(VALU_DEP_1)
	v_dot4_i32_iu8 v88, v89, v7, v88 neg_lo:[1,1,0]
	v_cvt_f32_i32_e32 v88, v88
	s_delay_alu instid0(VALU_DEP_1) | instskip(SKIP_2) | instid1(VALU_DEP_3)
	v_mul_f32_e32 v177, v116, v88
	v_dot4_i32_iu8 v88, v0, v98, 0 neg_lo:[1,1,0]
	v_mul_f32_e32 v116, v166, v84
	v_pk_add_f32 v[42:43], v[42:43], v[176:177]
	s_delay_alu instid0(VALU_DEP_3) | instskip(NEXT) | instid1(VALU_DEP_1)
	v_dot4_i32_iu8 v88, v1, v99, v88 neg_lo:[1,1,0]
	v_dot4_i32_iu8 v88, v2, v100, v88 neg_lo:[1,1,0]
	s_delay_alu instid0(VALU_DEP_1) | instskip(NEXT) | instid1(VALU_DEP_1)
	v_dot4_i32_iu8 v88, v3, v101, v88 neg_lo:[1,1,0]
	v_dot4_i32_iu8 v88, v4, v102, v88 neg_lo:[1,1,0]
	s_delay_alu instid0(VALU_DEP_1) | instskip(NEXT) | instid1(VALU_DEP_1)
	v_dot4_i32_iu8 v88, v5, v169, v88 neg_lo:[1,1,0]
	v_mad_i32_i24 v88, v96, v167, v88
	s_delay_alu instid0(VALU_DEP_1) | instskip(NEXT) | instid1(VALU_DEP_1)
	v_dot4_i32_iu8 v88, v6, v173, v88 neg_lo:[1,1,0]
	v_dot4_i32_iu8 v88, v7, v97, v88 neg_lo:[1,1,0]
	s_delay_alu instid0(VALU_DEP_1) | instskip(NEXT) | instid1(VALU_DEP_1)
	v_cvt_f32_i32_e32 v88, v88
	v_mul_f32_e32 v179, v116, v88
	v_dot4_i32_iu8 v88, v0, v108, 0 neg_lo:[1,1,0]
	v_dot4_i32_iu8 v0, v0, v114, 0 neg_lo:[1,1,0]
	v_mul_f32_e32 v116, v168, v84
	s_delay_alu instid0(VALU_DEP_3) | instskip(NEXT) | instid1(VALU_DEP_3)
	v_dot4_i32_iu8 v88, v1, v109, v88 neg_lo:[1,1,0]
	v_dot4_i32_iu8 v0, v1, v115, v0 neg_lo:[1,1,0]
	v_mul_f32_e32 v1, v103, v84
	s_delay_alu instid0(VALU_DEP_3) | instskip(NEXT) | instid1(VALU_DEP_3)
	v_dot4_i32_iu8 v88, v2, v110, v88 neg_lo:[1,1,0]
	v_dot4_i32_iu8 v0, v2, v104, v0 neg_lo:[1,1,0]
	s_delay_alu instid0(VALU_DEP_2) | instskip(NEXT) | instid1(VALU_DEP_2)
	v_dot4_i32_iu8 v88, v3, v111, v88 neg_lo:[1,1,0]
	v_dot4_i32_iu8 v0, v3, v105, v0 neg_lo:[1,1,0]
	s_delay_alu instid0(VALU_DEP_2) | instskip(NEXT) | instid1(VALU_DEP_2)
	v_dot4_i32_iu8 v88, v4, v112, v88 neg_lo:[1,1,0]
	v_dot4_i32_iu8 v0, v4, v86, v0 neg_lo:[1,1,0]
	v_add_nc_u32_e32 v4, s13, v31
	s_delay_alu instid0(VALU_DEP_3) | instskip(NEXT) | instid1(VALU_DEP_3)
	v_dot4_i32_iu8 v88, v5, v171, v88 neg_lo:[1,1,0]
	v_dot4_i32_iu8 v0, v5, v87, v0 neg_lo:[1,1,0]
	s_delay_alu instid0(VALU_DEP_2) | instskip(NEXT) | instid1(VALU_DEP_2)
	v_mad_i32_i24 v88, v96, v170, v88
	v_mad_i32_i24 v0, v96, v113, v0
	s_delay_alu instid0(VALU_DEP_2) | instskip(NEXT) | instid1(VALU_DEP_2)
	v_dot4_i32_iu8 v88, v6, v172, v88 neg_lo:[1,1,0]
	v_dot4_i32_iu8 v0, v6, v106, v0 neg_lo:[1,1,0]
	s_delay_alu instid0(VALU_DEP_2) | instskip(NEXT) | instid1(VALU_DEP_2)
	v_dot4_i32_iu8 v88, v7, v107, v88 neg_lo:[1,1,0]
	v_dot4_i32_iu8 v0, v7, v85, v0 neg_lo:[1,1,0]
	s_delay_alu instid0(VALU_DEP_2) | instskip(NEXT) | instid1(VALU_DEP_2)
	v_cvt_f32_i32_e32 v88, v88
	v_cvt_f32_i32_e32 v0, v0
	s_delay_alu instid0(VALU_DEP_1)
	v_mul_f32_e32 v183, v1, v0
	v_add_nc_u32_e32 v0, s15, v132
	ds_load_b32 v84, v0
	ds_load_b128 v[0:3], v4
	ds_load_b128 v[4:7], v4 offset:16
	s_wait_dscnt 0x2
	v_mul_f32_e32 v176, v168, v84
	v_mul_f32_e32 v181, v116, v88
	s_wait_dscnt 0x1
	v_dot4_i32_iu8 v88, v94, v0, 0 neg_lo:[1,1,0]
	s_wait_dscnt 0x0
	v_perm_b32 v5, v5, v5, 0x7060100
	v_bfe_i32 v175, v6, 0, 8
	v_perm_b32 v6, v6, v6, 0xc030201
	v_mul_f32_e32 v96, v117, v84
	v_dot4_i32_iu8 v88, v95, v1, v88 neg_lo:[1,1,0]
	v_pk_add_f32 v[48:49], v[48:49], v[178:179]
	v_pk_add_f32 v[50:51], v[50:51], v[180:181]
	s_delay_alu instid0(VALU_DEP_3) | instskip(NEXT) | instid1(VALU_DEP_1)
	v_dot4_i32_iu8 v88, v92, v2, v88 neg_lo:[1,1,0]
	v_dot4_i32_iu8 v88, v93, v3, v88 neg_lo:[1,1,0]
	s_delay_alu instid0(VALU_DEP_1) | instskip(NEXT) | instid1(VALU_DEP_1)
	v_dot4_i32_iu8 v88, v90, v4, v88 neg_lo:[1,1,0]
	v_dot4_i32_iu8 v88, v91, v5, v88 neg_lo:[1,1,0]
	s_delay_alu instid0(VALU_DEP_1) | instskip(NEXT) | instid1(VALU_DEP_1)
	v_mad_i32_i24 v88, v165, v175, v88
	v_dot4_i32_iu8 v88, v174, v6, v88 neg_lo:[1,1,0]
	s_delay_alu instid0(VALU_DEP_1) | instskip(NEXT) | instid1(VALU_DEP_1)
	v_dot4_i32_iu8 v88, v89, v7, v88 neg_lo:[1,1,0]
	v_cvt_f32_i32_e32 v88, v88
	s_delay_alu instid0(VALU_DEP_1) | instskip(SKIP_2) | instid1(VALU_DEP_2)
	v_mul_f32_e32 v116, v96, v88
	v_dot4_i32_iu8 v88, v0, v98, 0 neg_lo:[1,1,0]
	v_mul_f32_e32 v96, v166, v84
	v_dot4_i32_iu8 v88, v1, v99, v88 neg_lo:[1,1,0]
	s_delay_alu instid0(VALU_DEP_1) | instskip(NEXT) | instid1(VALU_DEP_1)
	v_dot4_i32_iu8 v88, v2, v100, v88 neg_lo:[1,1,0]
	v_dot4_i32_iu8 v88, v3, v101, v88 neg_lo:[1,1,0]
	s_delay_alu instid0(VALU_DEP_1) | instskip(NEXT) | instid1(VALU_DEP_1)
	v_dot4_i32_iu8 v88, v4, v102, v88 neg_lo:[1,1,0]
	v_dot4_i32_iu8 v88, v5, v169, v88 neg_lo:[1,1,0]
	s_delay_alu instid0(VALU_DEP_1) | instskip(NEXT) | instid1(VALU_DEP_1)
	v_mad_i32_i24 v88, v175, v167, v88
	v_dot4_i32_iu8 v88, v6, v173, v88 neg_lo:[1,1,0]
	s_delay_alu instid0(VALU_DEP_1) | instskip(NEXT) | instid1(VALU_DEP_1)
	v_dot4_i32_iu8 v88, v7, v97, v88 neg_lo:[1,1,0]
	v_cvt_f32_i32_e32 v88, v88
	s_delay_alu instid0(VALU_DEP_1) | instskip(SKIP_2) | instid1(VALU_DEP_2)
	v_mul_f32_e32 v96, v96, v88
	v_dot4_i32_iu8 v88, v0, v108, 0 neg_lo:[1,1,0]
	v_dot4_i32_iu8 v0, v0, v114, 0 neg_lo:[1,1,0]
	v_dot4_i32_iu8 v88, v1, v109, v88 neg_lo:[1,1,0]
	s_delay_alu instid0(VALU_DEP_2) | instskip(SKIP_1) | instid1(VALU_DEP_3)
	v_dot4_i32_iu8 v0, v1, v115, v0 neg_lo:[1,1,0]
	v_mul_f32_e32 v1, v103, v84
	v_dot4_i32_iu8 v88, v2, v110, v88 neg_lo:[1,1,0]
	s_delay_alu instid0(VALU_DEP_3) | instskip(NEXT) | instid1(VALU_DEP_2)
	v_dot4_i32_iu8 v0, v2, v104, v0 neg_lo:[1,1,0]
	v_dot4_i32_iu8 v88, v3, v111, v88 neg_lo:[1,1,0]
	s_delay_alu instid0(VALU_DEP_2) | instskip(NEXT) | instid1(VALU_DEP_2)
	v_dot4_i32_iu8 v0, v3, v105, v0 neg_lo:[1,1,0]
	v_dot4_i32_iu8 v88, v4, v112, v88 neg_lo:[1,1,0]
	s_delay_alu instid0(VALU_DEP_2) | instskip(NEXT) | instid1(VALU_DEP_2)
	;; [unrolled: 3-line block ×3, first 2 shown]
	v_dot4_i32_iu8 v0, v5, v87, v0 neg_lo:[1,1,0]
	v_mad_i32_i24 v88, v175, v170, v88
	s_delay_alu instid0(VALU_DEP_2) | instskip(NEXT) | instid1(VALU_DEP_2)
	v_mad_i32_i24 v0, v175, v113, v0
	v_dot4_i32_iu8 v88, v6, v172, v88 neg_lo:[1,1,0]
	s_delay_alu instid0(VALU_DEP_2) | instskip(NEXT) | instid1(VALU_DEP_2)
	v_dot4_i32_iu8 v0, v6, v106, v0 neg_lo:[1,1,0]
	v_dot4_i32_iu8 v88, v7, v107, v88 neg_lo:[1,1,0]
	s_delay_alu instid0(VALU_DEP_2) | instskip(NEXT) | instid1(VALU_DEP_2)
	v_dot4_i32_iu8 v0, v7, v85, v0 neg_lo:[1,1,0]
	v_cvt_f32_i32_e32 v88, v88
	s_delay_alu instid0(VALU_DEP_2) | instskip(NEXT) | instid1(VALU_DEP_2)
	v_cvt_f32_i32_e32 v0, v0
	v_mul_f32_e32 v88, v176, v88
	s_delay_alu instid0(VALU_DEP_2)
	v_dual_mul_f32 v84, v1, v0 :: v_dual_add_nc_u32 v1, s15, v133
	v_add_nc_u32_e32 v0, s13, v126
	ds_load_b32 v175, v1
	ds_load_b128 v[4:7], v0
	ds_load_b128 v[0:3], v0 offset:16
	v_pk_add_f32 v[58:59], v[58:59], v[182:183]
	s_add_co_i32 s13, s12, 8
	s_cmp_lt_u32 s12, 24
	s_mov_b32 s12, s13
	s_wait_dscnt 0x1
	v_dot4_i32_iu8 v94, v94, v4, 0 neg_lo:[1,1,0]
	s_wait_dscnt 0x0
	v_perm_b32 v1, v1, v1, 0x7060100
	v_bfe_i32 v176, v2, 0, 8
	v_perm_b32 v2, v2, v2, 0xc030201
	v_dot4_i32_iu8 v94, v95, v5, v94 neg_lo:[1,1,0]
	s_delay_alu instid0(VALU_DEP_1) | instskip(NEXT) | instid1(VALU_DEP_1)
	v_dot4_i32_iu8 v92, v92, v6, v94 neg_lo:[1,1,0]
	v_dot4_i32_iu8 v92, v93, v7, v92 neg_lo:[1,1,0]
	s_delay_alu instid0(VALU_DEP_1) | instskip(NEXT) | instid1(VALU_DEP_1)
	v_dot4_i32_iu8 v90, v90, v0, v92 neg_lo:[1,1,0]
	v_dot4_i32_iu8 v90, v91, v1, v90 neg_lo:[1,1,0]
	s_delay_alu instid0(VALU_DEP_1) | instskip(NEXT) | instid1(VALU_DEP_1)
	v_mad_i32_i24 v90, v165, v176, v90
	v_dot4_i32_iu8 v90, v174, v2, v90 neg_lo:[1,1,0]
	s_delay_alu instid0(VALU_DEP_1) | instskip(SKIP_1) | instid1(VALU_DEP_2)
	v_dot4_i32_iu8 v89, v89, v3, v90 neg_lo:[1,1,0]
	v_mul_f32_e32 v90, v117, v175
	v_cvt_f32_i32_e32 v89, v89
	s_delay_alu instid0(VALU_DEP_1) | instskip(SKIP_2) | instid1(VALU_DEP_2)
	v_mul_f32_e32 v117, v90, v89
	v_dot4_i32_iu8 v89, v4, v98, 0 neg_lo:[1,1,0]
	v_mul_f32_e32 v90, v166, v175
	v_dot4_i32_iu8 v89, v5, v99, v89 neg_lo:[1,1,0]
	s_delay_alu instid0(VALU_DEP_1) | instskip(NEXT) | instid1(VALU_DEP_1)
	v_dot4_i32_iu8 v89, v6, v100, v89 neg_lo:[1,1,0]
	v_dot4_i32_iu8 v89, v7, v101, v89 neg_lo:[1,1,0]
	s_delay_alu instid0(VALU_DEP_1) | instskip(NEXT) | instid1(VALU_DEP_1)
	v_dot4_i32_iu8 v89, v0, v102, v89 neg_lo:[1,1,0]
	v_dot4_i32_iu8 v89, v1, v169, v89 neg_lo:[1,1,0]
	s_delay_alu instid0(VALU_DEP_1) | instskip(NEXT) | instid1(VALU_DEP_1)
	v_mad_i32_i24 v89, v176, v167, v89
	v_dot4_i32_iu8 v89, v2, v173, v89 neg_lo:[1,1,0]
	s_delay_alu instid0(VALU_DEP_1) | instskip(NEXT) | instid1(VALU_DEP_1)
	v_dot4_i32_iu8 v89, v3, v97, v89 neg_lo:[1,1,0]
	v_cvt_f32_i32_e32 v89, v89
	s_delay_alu instid0(VALU_DEP_1) | instskip(SKIP_3) | instid1(VALU_DEP_4)
	v_mul_f32_e32 v97, v90, v89
	v_dot4_i32_iu8 v89, v4, v108, 0 neg_lo:[1,1,0]
	v_dot4_i32_iu8 v4, v4, v114, 0 neg_lo:[1,1,0]
	v_pk_add_f32 v[34:35], v[34:35], v[116:117]
	v_pk_add_f32 v[36:37], v[36:37], v[96:97]
	s_delay_alu instid0(VALU_DEP_4) | instskip(NEXT) | instid1(VALU_DEP_4)
	v_dot4_i32_iu8 v89, v5, v109, v89 neg_lo:[1,1,0]
	v_dot4_i32_iu8 v4, v5, v115, v4 neg_lo:[1,1,0]
	s_delay_alu instid0(VALU_DEP_2) | instskip(NEXT) | instid1(VALU_DEP_2)
	v_dot4_i32_iu8 v89, v6, v110, v89 neg_lo:[1,1,0]
	v_dot4_i32_iu8 v4, v6, v104, v4 neg_lo:[1,1,0]
	s_delay_alu instid0(VALU_DEP_2) | instskip(NEXT) | instid1(VALU_DEP_2)
	;; [unrolled: 3-line block ×4, first 2 shown]
	v_dot4_i32_iu8 v89, v1, v171, v89 neg_lo:[1,1,0]
	v_dot4_i32_iu8 v0, v1, v87, v0 neg_lo:[1,1,0]
	v_mul_f32_e32 v1, v103, v175
	s_delay_alu instid0(VALU_DEP_3) | instskip(NEXT) | instid1(VALU_DEP_3)
	v_mad_i32_i24 v89, v176, v170, v89
	v_mad_i32_i24 v0, v176, v113, v0
	s_delay_alu instid0(VALU_DEP_2) | instskip(NEXT) | instid1(VALU_DEP_2)
	v_dot4_i32_iu8 v89, v2, v172, v89 neg_lo:[1,1,0]
	v_dot4_i32_iu8 v0, v2, v106, v0 neg_lo:[1,1,0]
	s_delay_alu instid0(VALU_DEP_2) | instskip(NEXT) | instid1(VALU_DEP_2)
	v_dot4_i32_iu8 v89, v3, v107, v89 neg_lo:[1,1,0]
	v_dot4_i32_iu8 v0, v3, v85, v0 neg_lo:[1,1,0]
	s_delay_alu instid0(VALU_DEP_2) | instskip(NEXT) | instid1(VALU_DEP_2)
	v_cvt_f32_i32_e32 v89, v89
	v_cvt_f32_i32_e32 v0, v0
	s_delay_alu instid0(VALU_DEP_1) | instskip(NEXT) | instid1(VALU_DEP_1)
	v_dual_mul_f32 v90, v168, v175 :: v_dual_mul_f32 v85, v1, v0
	v_mul_f32_e32 v89, v90, v89
	s_delay_alu instid0(VALU_DEP_2) | instskip(NEXT) | instid1(VALU_DEP_2)
	v_pk_add_f32 v[46:47], v[46:47], v[84:85]
	v_pk_add_f32 v[40:41], v[40:41], v[88:89]
	s_cbranch_scc1 .LBB145_6
; %bb.7:                                ;   in Loop: Header=BB145_5 Depth=1
	s_add_co_i32 s10, s10, 4
	s_delay_alu instid0(SALU_CYCLE_1)
	s_cmp_ge_i32 s10, s5
	s_barrier_signal -1
	s_barrier_wait -1
	s_cbranch_scc0 .LBB145_5
; %bb.8:
	v_cvt_f16_f32_e32 v44, v64
	v_cvt_f16_f32_e32 v39, v72
	;; [unrolled: 1-line block ×32, first 2 shown]
	v_dual_mov_b32 v6, v9 :: v_dual_mov_b32 v34, v13
.LBB145_9:
	s_wait_xcnt 0x0
	s_mov_b32 s0, exec_lo
	v_cmpx_gt_u32_e64 s4, v15
	s_cbranch_execz .LBB145_60
; %bb.10:
	v_mul_lo_u32 v35, v15, s6
	v_add_nc_u32_e32 v0, s14, v34
	s_delay_alu instid0(VALU_DEP_1)
	v_cmp_gt_u32_e32 vcc_lo, s6, v0
	s_and_saveexec_b32 s0, vcc_lo
	s_cbranch_execz .LBB145_12
; %bb.11:
	s_delay_alu instid0(VALU_DEP_3)
	v_add_nc_u32_e32 v9, v0, v35
	s_wait_kmcnt 0x0
	global_store_b16 v9, v44, s[8:9] scale_offset
.LBB145_12:
	s_wait_xcnt 0x0
	s_or_b32 exec_lo, exec_lo, s0
	v_add_nc_u32_e32 v9, 32, v0
	s_delay_alu instid0(VALU_DEP_1)
	v_cmp_gt_u32_e64 s0, s6, v9
	s_and_saveexec_b32 s1, s0
	s_cbranch_execz .LBB145_14
; %bb.13:
	v_add_nc_u32_e32 v13, v9, v35
	s_wait_kmcnt 0x0
	global_store_b16 v13, v39, s[8:9] scale_offset
.LBB145_14:
	s_wait_xcnt 0x0
	s_or_b32 exec_lo, exec_lo, s1
	v_add_nc_u32_e32 v13, 64, v0
	s_delay_alu instid0(VALU_DEP_1)
	v_cmp_gt_u32_e64 s1, s6, v13
	s_and_saveexec_b32 s2, s1
	s_cbranch_execz .LBB145_16
; %bb.15:
	v_add_nc_u32_e32 v15, v13, v35
	s_wait_kmcnt 0x0
	global_store_b16 v15, v38, s[8:9] scale_offset
.LBB145_16:
	;; [unrolled: 12-line block ×3, first 2 shown]
	s_wait_xcnt 0x0
	s_or_b32 exec_lo, exec_lo, s3
	v_add3_u32 v32, v6, s7, 8
	s_delay_alu instid0(VALU_DEP_1)
	v_cmp_gt_u32_e64 s3, s4, v32
	s_and_b32 exec_lo, exec_lo, s3
	s_cbranch_execz .LBB145_60
; %bb.19:
	v_mul_lo_u32 v32, v32, s6
	s_and_saveexec_b32 s3, vcc_lo
	s_cbranch_execnz .LBB145_61
; %bb.20:
	s_or_b32 exec_lo, exec_lo, s3
	s_and_saveexec_b32 s3, s0
	s_cbranch_execnz .LBB145_62
.LBB145_21:
	s_or_b32 exec_lo, exec_lo, s3
	s_and_saveexec_b32 s3, s1
	s_cbranch_execnz .LBB145_63
.LBB145_22:
	s_or_b32 exec_lo, exec_lo, s3
	s_and_saveexec_b32 s3, s2
	s_cbranch_execz .LBB145_24
.LBB145_23:
	v_add_nc_u32_e32 v30, v32, v15
	s_wait_kmcnt 0x0
	global_store_b16 v30, v28, s[8:9] scale_offset
.LBB145_24:
	s_wait_xcnt 0x0
	s_or_b32 exec_lo, exec_lo, s3
	v_add3_u32 v28, v6, s7, 16
	s_delay_alu instid0(VALU_DEP_1)
	v_cmp_gt_u32_e64 s3, s4, v28
	s_and_b32 exec_lo, exec_lo, s3
	s_cbranch_execz .LBB145_60
; %bb.25:
	v_mul_lo_u32 v28, v28, s6
	s_and_saveexec_b32 s3, vcc_lo
	s_cbranch_execnz .LBB145_64
; %bb.26:
	s_or_b32 exec_lo, exec_lo, s3
	s_and_saveexec_b32 s3, s0
	s_cbranch_execnz .LBB145_65
.LBB145_27:
	s_or_b32 exec_lo, exec_lo, s3
	s_and_saveexec_b32 s3, s1
	s_cbranch_execnz .LBB145_66
.LBB145_28:
	s_or_b32 exec_lo, exec_lo, s3
	s_and_saveexec_b32 s3, s2
	s_cbranch_execz .LBB145_30
.LBB145_29:
	v_add_nc_u32_e32 v26, v28, v15
	s_wait_kmcnt 0x0
	global_store_b16 v26, v24, s[8:9] scale_offset
.LBB145_30:
	s_wait_xcnt 0x0
	s_or_b32 exec_lo, exec_lo, s3
	v_add3_u32 v24, v6, s7, 24
	s_delay_alu instid0(VALU_DEP_1)
	v_cmp_gt_u32_e64 s3, s4, v24
	s_and_b32 exec_lo, exec_lo, s3
	s_cbranch_execz .LBB145_60
; %bb.31:
	v_mul_lo_u32 v24, v24, s6
	s_and_saveexec_b32 s3, vcc_lo
	s_cbranch_execnz .LBB145_67
; %bb.32:
	s_or_b32 exec_lo, exec_lo, s3
	s_and_saveexec_b32 s3, s0
	s_cbranch_execnz .LBB145_68
.LBB145_33:
	s_or_b32 exec_lo, exec_lo, s3
	s_and_saveexec_b32 s3, s1
	s_cbranch_execnz .LBB145_69
.LBB145_34:
	s_or_b32 exec_lo, exec_lo, s3
	s_and_saveexec_b32 s3, s2
	s_cbranch_execz .LBB145_36
.LBB145_35:
	v_add_nc_u32_e32 v22, v24, v15
	s_wait_kmcnt 0x0
	global_store_b16 v22, v20, s[8:9] scale_offset
.LBB145_36:
	s_wait_xcnt 0x0
	s_or_b32 exec_lo, exec_lo, s3
	v_add3_u32 v20, v6, s7, 32
	s_delay_alu instid0(VALU_DEP_1)
	v_cmp_gt_u32_e64 s3, s4, v20
	s_and_b32 exec_lo, exec_lo, s3
	s_cbranch_execz .LBB145_60
; %bb.37:
	v_mul_lo_u32 v20, v20, s6
	s_and_saveexec_b32 s3, vcc_lo
	s_cbranch_execnz .LBB145_70
; %bb.38:
	s_or_b32 exec_lo, exec_lo, s3
	s_and_saveexec_b32 s3, s0
	s_cbranch_execnz .LBB145_71
.LBB145_39:
	s_or_b32 exec_lo, exec_lo, s3
	s_and_saveexec_b32 s3, s1
	s_cbranch_execnz .LBB145_72
.LBB145_40:
	s_or_b32 exec_lo, exec_lo, s3
	s_and_saveexec_b32 s3, s2
	s_cbranch_execz .LBB145_42
.LBB145_41:
	v_add_nc_u32_e32 v18, v20, v15
	s_wait_kmcnt 0x0
	global_store_b16 v18, v16, s[8:9] scale_offset
.LBB145_42:
	s_wait_xcnt 0x0
	s_or_b32 exec_lo, exec_lo, s3
	v_add3_u32 v16, v6, s7, 40
	s_delay_alu instid0(VALU_DEP_1)
	v_cmp_gt_u32_e64 s3, s4, v16
	s_and_b32 exec_lo, exec_lo, s3
	s_cbranch_execz .LBB145_60
; %bb.43:
	v_mul_lo_u32 v16, v16, s6
	s_and_saveexec_b32 s3, vcc_lo
	s_cbranch_execnz .LBB145_73
; %bb.44:
	s_or_b32 exec_lo, exec_lo, s3
	s_and_saveexec_b32 s3, s0
	s_cbranch_execnz .LBB145_74
.LBB145_45:
	s_or_b32 exec_lo, exec_lo, s3
	s_and_saveexec_b32 s3, s1
	s_cbranch_execnz .LBB145_75
.LBB145_46:
	s_or_b32 exec_lo, exec_lo, s3
	s_and_saveexec_b32 s3, s2
	s_cbranch_execz .LBB145_48
.LBB145_47:
	v_add_nc_u32_e32 v12, v16, v15
	s_wait_kmcnt 0x0
	global_store_b16 v12, v10, s[8:9] scale_offset
.LBB145_48:
	s_wait_xcnt 0x0
	s_or_b32 exec_lo, exec_lo, s3
	v_add3_u32 v10, v6, s7, 48
	s_delay_alu instid0(VALU_DEP_1)
	v_cmp_gt_u32_e64 s3, s4, v10
	s_and_b32 exec_lo, exec_lo, s3
	s_cbranch_execz .LBB145_60
; %bb.49:
	v_mul_lo_u32 v10, v10, s6
	s_and_saveexec_b32 s3, vcc_lo
	s_cbranch_execnz .LBB145_76
; %bb.50:
	s_or_b32 exec_lo, exec_lo, s3
	s_and_saveexec_b32 s3, s0
	s_cbranch_execnz .LBB145_77
.LBB145_51:
	s_or_b32 exec_lo, exec_lo, s3
	s_and_saveexec_b32 s3, s1
	s_cbranch_execnz .LBB145_78
.LBB145_52:
	s_or_b32 exec_lo, exec_lo, s3
	s_and_saveexec_b32 s3, s2
	s_cbranch_execz .LBB145_54
.LBB145_53:
	v_add_nc_u32_e32 v7, v10, v15
	s_wait_kmcnt 0x0
	global_store_b16 v7, v4, s[8:9] scale_offset
.LBB145_54:
	s_wait_xcnt 0x0
	s_or_b32 exec_lo, exec_lo, s3
	v_add3_u32 v4, v6, s7, 56
	s_delay_alu instid0(VALU_DEP_1)
	v_cmp_gt_u32_e64 s3, s4, v4
	s_and_b32 exec_lo, exec_lo, s3
	s_cbranch_execz .LBB145_60
; %bb.55:
	v_mul_lo_u32 v4, v4, s6
	s_and_saveexec_b32 s3, vcc_lo
	s_cbranch_execnz .LBB145_79
; %bb.56:
	s_or_b32 exec_lo, exec_lo, s3
	s_and_saveexec_b32 s3, s0
	s_cbranch_execnz .LBB145_80
.LBB145_57:
	s_or_b32 exec_lo, exec_lo, s3
	s_and_saveexec_b32 s0, s1
	s_cbranch_execnz .LBB145_81
.LBB145_58:
	s_or_b32 exec_lo, exec_lo, s0
	s_delay_alu instid0(SALU_CYCLE_1)
	s_and_b32 exec_lo, exec_lo, s2
	s_cbranch_execz .LBB145_60
.LBB145_59:
	v_add_nc_u32_e32 v0, v4, v15
	s_wait_kmcnt 0x0
	global_store_b16 v0, v1, s[8:9] scale_offset
.LBB145_60:
	s_sendmsg sendmsg(MSG_DEALLOC_VGPRS)
	s_endpgm
.LBB145_61:
	s_delay_alu instid0(VALU_DEP_1)
	v_add_nc_u32_e32 v34, v32, v0
	s_wait_kmcnt 0x0
	global_store_b16 v34, v33, s[8:9] scale_offset
	s_wait_xcnt 0x0
	s_or_b32 exec_lo, exec_lo, s3
	s_and_saveexec_b32 s3, s0
	s_cbranch_execz .LBB145_21
.LBB145_62:
	s_delay_alu instid0(VALU_DEP_1)
	v_add_nc_u32_e32 v33, v32, v9
	s_wait_kmcnt 0x0
	global_store_b16 v33, v31, s[8:9] scale_offset
	s_wait_xcnt 0x0
	s_or_b32 exec_lo, exec_lo, s3
	s_and_saveexec_b32 s3, s1
	s_cbranch_execz .LBB145_22
.LBB145_63:
	s_delay_alu instid0(VALU_DEP_1)
	v_add_nc_u32_e32 v31, v32, v13
	s_wait_kmcnt 0x0
	global_store_b16 v31, v30, s[8:9] scale_offset
	s_wait_xcnt 0x0
	s_or_b32 exec_lo, exec_lo, s3
	s_and_saveexec_b32 s3, s2
	s_cbranch_execnz .LBB145_23
	s_branch .LBB145_24
.LBB145_64:
	s_delay_alu instid0(VALU_DEP_1)
	v_add_nc_u32_e32 v30, v28, v0
	s_wait_kmcnt 0x0
	global_store_b16 v30, v29, s[8:9] scale_offset
	s_wait_xcnt 0x0
	s_or_b32 exec_lo, exec_lo, s3
	s_and_saveexec_b32 s3, s0
	s_cbranch_execz .LBB145_27
.LBB145_65:
	s_delay_alu instid0(VALU_DEP_1)
	v_add_nc_u32_e32 v29, v28, v9
	s_wait_kmcnt 0x0
	global_store_b16 v29, v27, s[8:9] scale_offset
	s_wait_xcnt 0x0
	s_or_b32 exec_lo, exec_lo, s3
	s_and_saveexec_b32 s3, s1
	s_cbranch_execz .LBB145_28
.LBB145_66:
	s_delay_alu instid0(VALU_DEP_1)
	v_add_nc_u32_e32 v27, v28, v13
	s_wait_kmcnt 0x0
	global_store_b16 v27, v26, s[8:9] scale_offset
	s_wait_xcnt 0x0
	s_or_b32 exec_lo, exec_lo, s3
	s_and_saveexec_b32 s3, s2
	s_cbranch_execnz .LBB145_29
	s_branch .LBB145_30
.LBB145_67:
	s_delay_alu instid0(VALU_DEP_1)
	v_add_nc_u32_e32 v26, v24, v0
	s_wait_kmcnt 0x0
	global_store_b16 v26, v25, s[8:9] scale_offset
	s_wait_xcnt 0x0
	s_or_b32 exec_lo, exec_lo, s3
	s_and_saveexec_b32 s3, s0
	s_cbranch_execz .LBB145_33
.LBB145_68:
	s_delay_alu instid0(VALU_DEP_1)
	v_add_nc_u32_e32 v25, v24, v9
	s_wait_kmcnt 0x0
	global_store_b16 v25, v23, s[8:9] scale_offset
	s_wait_xcnt 0x0
	s_or_b32 exec_lo, exec_lo, s3
	s_and_saveexec_b32 s3, s1
	s_cbranch_execz .LBB145_34
.LBB145_69:
	s_delay_alu instid0(VALU_DEP_1)
	v_add_nc_u32_e32 v23, v24, v13
	s_wait_kmcnt 0x0
	global_store_b16 v23, v22, s[8:9] scale_offset
	s_wait_xcnt 0x0
	s_or_b32 exec_lo, exec_lo, s3
	s_and_saveexec_b32 s3, s2
	s_cbranch_execnz .LBB145_35
	s_branch .LBB145_36
.LBB145_70:
	s_delay_alu instid0(VALU_DEP_1)
	v_add_nc_u32_e32 v22, v20, v0
	s_wait_kmcnt 0x0
	global_store_b16 v22, v21, s[8:9] scale_offset
	s_wait_xcnt 0x0
	s_or_b32 exec_lo, exec_lo, s3
	s_and_saveexec_b32 s3, s0
	s_cbranch_execz .LBB145_39
.LBB145_71:
	s_delay_alu instid0(VALU_DEP_1)
	v_add_nc_u32_e32 v21, v20, v9
	s_wait_kmcnt 0x0
	global_store_b16 v21, v19, s[8:9] scale_offset
	s_wait_xcnt 0x0
	s_or_b32 exec_lo, exec_lo, s3
	s_and_saveexec_b32 s3, s1
	s_cbranch_execz .LBB145_40
.LBB145_72:
	s_delay_alu instid0(VALU_DEP_1)
	v_add_nc_u32_e32 v19, v20, v13
	s_wait_kmcnt 0x0
	global_store_b16 v19, v18, s[8:9] scale_offset
	s_wait_xcnt 0x0
	s_or_b32 exec_lo, exec_lo, s3
	s_and_saveexec_b32 s3, s2
	s_cbranch_execnz .LBB145_41
	s_branch .LBB145_42
.LBB145_73:
	s_delay_alu instid0(VALU_DEP_1)
	v_add_nc_u32_e32 v18, v16, v0
	s_wait_kmcnt 0x0
	global_store_b16 v18, v17, s[8:9] scale_offset
	s_wait_xcnt 0x0
	s_or_b32 exec_lo, exec_lo, s3
	s_and_saveexec_b32 s3, s0
	s_cbranch_execz .LBB145_45
.LBB145_74:
	s_delay_alu instid0(VALU_DEP_1)
	v_add_nc_u32_e32 v17, v16, v9
	s_wait_kmcnt 0x0
	global_store_b16 v17, v14, s[8:9] scale_offset
	s_wait_xcnt 0x0
	s_or_b32 exec_lo, exec_lo, s3
	s_and_saveexec_b32 s3, s1
	s_cbranch_execz .LBB145_46
.LBB145_75:
	s_delay_alu instid0(VALU_DEP_1)
	v_add_nc_u32_e32 v14, v16, v13
	s_wait_kmcnt 0x0
	global_store_b16 v14, v12, s[8:9] scale_offset
	s_wait_xcnt 0x0
	s_or_b32 exec_lo, exec_lo, s3
	s_and_saveexec_b32 s3, s2
	s_cbranch_execnz .LBB145_47
	s_branch .LBB145_48
.LBB145_76:
	s_delay_alu instid0(VALU_DEP_1)
	v_add_nc_u32_e32 v12, v10, v0
	s_wait_kmcnt 0x0
	global_store_b16 v12, v11, s[8:9] scale_offset
	s_wait_xcnt 0x0
	s_or_b32 exec_lo, exec_lo, s3
	s_and_saveexec_b32 s3, s0
	s_cbranch_execz .LBB145_51
.LBB145_77:
	s_delay_alu instid0(VALU_DEP_1)
	v_add_nc_u32_e32 v11, v10, v9
	s_wait_kmcnt 0x0
	global_store_b16 v11, v8, s[8:9] scale_offset
	s_wait_xcnt 0x0
	s_or_b32 exec_lo, exec_lo, s3
	s_and_saveexec_b32 s3, s1
	s_cbranch_execz .LBB145_52
.LBB145_78:
	s_delay_alu instid0(VALU_DEP_1)
	v_add_nc_u32_e32 v8, v10, v13
	s_wait_kmcnt 0x0
	global_store_b16 v8, v7, s[8:9] scale_offset
	s_wait_xcnt 0x0
	s_or_b32 exec_lo, exec_lo, s3
	s_and_saveexec_b32 s3, s2
	s_cbranch_execnz .LBB145_53
	s_branch .LBB145_54
.LBB145_79:
	s_delay_alu instid0(VALU_DEP_1)
	v_add_nc_u32_e32 v0, v4, v0
	s_wait_kmcnt 0x0
	global_store_b16 v0, v5, s[8:9] scale_offset
	s_wait_xcnt 0x0
	s_or_b32 exec_lo, exec_lo, s3
	s_and_saveexec_b32 s3, s0
	s_cbranch_execz .LBB145_57
.LBB145_80:
	s_delay_alu instid0(VALU_DEP_1)
	v_add_nc_u32_e32 v0, v4, v9
	s_wait_kmcnt 0x0
	global_store_b16 v0, v3, s[8:9] scale_offset
	s_wait_xcnt 0x0
	s_or_b32 exec_lo, exec_lo, s3
	s_and_saveexec_b32 s0, s1
	s_cbranch_execz .LBB145_58
.LBB145_81:
	s_delay_alu instid0(VALU_DEP_1) | instskip(SKIP_4) | instid1(SALU_CYCLE_1)
	v_add_nc_u32_e32 v0, v4, v13
	s_wait_kmcnt 0x0
	global_store_b16 v0, v2, s[8:9] scale_offset
	s_wait_xcnt 0x0
	s_or_b32 exec_lo, exec_lo, s0
	s_and_b32 exec_lo, exec_lo, s2
	s_cbranch_execnz .LBB145_59
	s_branch .LBB145_60
	.section	.rodata,"a",@progbits
	.p2align	6, 0x0
	.amdhsa_kernel _ZL12mul_mat_q8_0IN3c104HalfELb0EEvPKvS3_PT_iiiii
		.amdhsa_group_segment_fixed_size 28224
		.amdhsa_private_segment_fixed_size 0
		.amdhsa_kernarg_size 44
		.amdhsa_user_sgpr_count 2
		.amdhsa_user_sgpr_dispatch_ptr 0
		.amdhsa_user_sgpr_queue_ptr 0
		.amdhsa_user_sgpr_kernarg_segment_ptr 1
		.amdhsa_user_sgpr_dispatch_id 0
		.amdhsa_user_sgpr_kernarg_preload_length 0
		.amdhsa_user_sgpr_kernarg_preload_offset 0
		.amdhsa_user_sgpr_private_segment_size 0
		.amdhsa_wavefront_size32 1
		.amdhsa_uses_dynamic_stack 0
		.amdhsa_enable_private_segment 0
		.amdhsa_system_sgpr_workgroup_id_x 1
		.amdhsa_system_sgpr_workgroup_id_y 1
		.amdhsa_system_sgpr_workgroup_id_z 0
		.amdhsa_system_sgpr_workgroup_info 0
		.amdhsa_system_vgpr_workitem_id 1
		.amdhsa_next_free_vgpr 184
		.amdhsa_next_free_sgpr 21
		.amdhsa_named_barrier_count 0
		.amdhsa_reserve_vcc 1
		.amdhsa_float_round_mode_32 0
		.amdhsa_float_round_mode_16_64 0
		.amdhsa_float_denorm_mode_32 3
		.amdhsa_float_denorm_mode_16_64 3
		.amdhsa_fp16_overflow 0
		.amdhsa_memory_ordered 1
		.amdhsa_forward_progress 1
		.amdhsa_inst_pref_size 75
		.amdhsa_round_robin_scheduling 0
		.amdhsa_exception_fp_ieee_invalid_op 0
		.amdhsa_exception_fp_denorm_src 0
		.amdhsa_exception_fp_ieee_div_zero 0
		.amdhsa_exception_fp_ieee_overflow 0
		.amdhsa_exception_fp_ieee_underflow 0
		.amdhsa_exception_fp_ieee_inexact 0
		.amdhsa_exception_int_div_zero 0
	.end_amdhsa_kernel
	.section	.text._ZL12mul_mat_q8_0IN3c104HalfELb0EEvPKvS3_PT_iiiii,"axG",@progbits,_ZL12mul_mat_q8_0IN3c104HalfELb0EEvPKvS3_PT_iiiii,comdat
.Lfunc_end145:
	.size	_ZL12mul_mat_q8_0IN3c104HalfELb0EEvPKvS3_PT_iiiii, .Lfunc_end145-_ZL12mul_mat_q8_0IN3c104HalfELb0EEvPKvS3_PT_iiiii
                                        ; -- End function
	.set _ZL12mul_mat_q8_0IN3c104HalfELb0EEvPKvS3_PT_iiiii.num_vgpr, 184
	.set _ZL12mul_mat_q8_0IN3c104HalfELb0EEvPKvS3_PT_iiiii.num_agpr, 0
	.set _ZL12mul_mat_q8_0IN3c104HalfELb0EEvPKvS3_PT_iiiii.numbered_sgpr, 21
	.set _ZL12mul_mat_q8_0IN3c104HalfELb0EEvPKvS3_PT_iiiii.num_named_barrier, 0
	.set _ZL12mul_mat_q8_0IN3c104HalfELb0EEvPKvS3_PT_iiiii.private_seg_size, 0
	.set _ZL12mul_mat_q8_0IN3c104HalfELb0EEvPKvS3_PT_iiiii.uses_vcc, 1
	.set _ZL12mul_mat_q8_0IN3c104HalfELb0EEvPKvS3_PT_iiiii.uses_flat_scratch, 0
	.set _ZL12mul_mat_q8_0IN3c104HalfELb0EEvPKvS3_PT_iiiii.has_dyn_sized_stack, 0
	.set _ZL12mul_mat_q8_0IN3c104HalfELb0EEvPKvS3_PT_iiiii.has_recursion, 0
	.set _ZL12mul_mat_q8_0IN3c104HalfELb0EEvPKvS3_PT_iiiii.has_indirect_call, 0
	.section	.AMDGPU.csdata,"",@progbits
; Kernel info:
; codeLenInByte = 9544
; TotalNumSgprs: 23
; NumVgprs: 184
; ScratchSize: 0
; MemoryBound: 0
; FloatMode: 240
; IeeeMode: 1
; LDSByteSize: 28224 bytes/workgroup (compile time only)
; SGPRBlocks: 0
; VGPRBlocks: 11
; NumSGPRsForWavesPerEU: 23
; NumVGPRsForWavesPerEU: 184
; NamedBarCnt: 0
; Occupancy: 5
; WaveLimiterHint : 0
; COMPUTE_PGM_RSRC2:SCRATCH_EN: 0
; COMPUTE_PGM_RSRC2:USER_SGPR: 2
; COMPUTE_PGM_RSRC2:TRAP_HANDLER: 0
; COMPUTE_PGM_RSRC2:TGID_X_EN: 1
; COMPUTE_PGM_RSRC2:TGID_Y_EN: 1
; COMPUTE_PGM_RSRC2:TGID_Z_EN: 0
; COMPUTE_PGM_RSRC2:TIDIG_COMP_CNT: 1
	.section	.text._ZL12mul_mat_q8_0IN3c104HalfELb1EEvPKvS3_PT_iiiii,"axG",@progbits,_ZL12mul_mat_q8_0IN3c104HalfELb1EEvPKvS3_PT_iiiii,comdat
	.globl	_ZL12mul_mat_q8_0IN3c104HalfELb1EEvPKvS3_PT_iiiii ; -- Begin function _ZL12mul_mat_q8_0IN3c104HalfELb1EEvPKvS3_PT_iiiii
	.p2align	8
	.type	_ZL12mul_mat_q8_0IN3c104HalfELb1EEvPKvS3_PT_iiiii,@function
_ZL12mul_mat_q8_0IN3c104HalfELb1EEvPKvS3_PT_iiiii: ; @_ZL12mul_mat_q8_0IN3c104HalfELb1EEvPKvS3_PT_iiiii
; %bb.0:
	s_clause 0x1
	s_load_b128 s[4:7], s[0:1], 0x18
	s_load_b32 s12, s[0:1], 0x28
	s_bfe_u32 s2, ttmp6, 0x4000c
	s_bfe_u32 s8, ttmp6, 0x40010
	s_add_co_i32 s2, s2, 1
	s_and_b32 s3, ttmp6, 15
	s_mul_i32 s2, ttmp9, s2
	s_add_co_i32 s8, s8, 1
	s_add_co_i32 s3, s3, s2
	s_mul_i32 s2, ttmp7, s8
	s_bfe_u32 s8, ttmp6, 0x40004
	s_getreg_b32 s9, hwreg(HW_REG_IB_STS2, 6, 4)
	s_add_co_i32 s8, s8, s2
	s_cmp_eq_u32 s9, 0
	v_bfe_u32 v11, v0, 10, 10
	s_cselect_b32 s8, ttmp7, s8
	v_and_b32_e32 v13, 0x3ff, v0
	s_cselect_b32 s2, ttmp9, s3
	s_lshl_b32 s13, s8, 6
	s_mov_b32 s3, 0
	s_wait_kmcnt 0x0
	s_cmp_gt_i32 s4, 31
	s_cbranch_scc1 .LBB146_2
; %bb.1:
	v_bfe_u32 v6, v0, 10, 10
	v_and_b32_e32 v14, 0x3ff, v0
	s_delay_alu instid0(VALU_DEP_2)
	v_add_nc_u32_e32 v17, s13, v6
	s_branch .LBB146_3
.LBB146_2:
	s_mov_b32 s3, -1
                                        ; implicit-def: $vgpr6
                                        ; implicit-def: $vgpr14
                                        ; implicit-def: $vgpr17
.LBB146_3:
	s_load_b64 s[8:9], s[0:1], 0x10
	v_dual_mov_b32 v1, 0 :: v_dual_mov_b32 v4, 0
	v_dual_mov_b32 v9, 0 :: v_dual_mov_b32 v18, 0
	;; [unrolled: 1-line block ×16, first 2 shown]
	s_and_not1_b32 vcc_lo, exec_lo, s3
	s_lshl_b32 s14, s2, 7
	s_cbranch_vccnz .LBB146_9
; %bb.4:
	v_add_nc_u32_e32 v17, s13, v11
	s_add_co_i32 s15, s6, -1
	s_not_b32 s16, s14
	v_cvt_f64_i32_e32 v[2:3], s15
	v_bfe_u32 v37, v0, 2, 8
	v_add_nc_u32_e32 v9, 24, v17
	s_add_co_i32 s16, s5, s16
	v_dual_add_nc_u32 v18, 24, v11 :: v_dual_add_nc_u32 v36, 32, v11
	v_dual_add_nc_u32 v38, 40, v11 :: v_dual_add_nc_u32 v40, 48, v11
	s_delay_alu instid0(VALU_DEP_3) | instskip(SKIP_4) | instid1(VALU_DEP_4)
	v_cvt_f64_u32_e32 v[20:21], v9
	v_dual_mov_b32 v9, 0 :: v_dual_add_nc_u32 v1, 8, v17
	v_add_nc_u32_e32 v8, 16, v17
	v_cvt_f64_u32_e32 v[4:5], v17
	v_dual_add_nc_u32 v10, 32, v17 :: v_dual_add_nc_u32 v12, 40, v17
	v_cvt_f64_u32_e32 v[6:7], v1
	s_delay_alu instid0(VALU_DEP_4) | instskip(SKIP_1) | instid1(VALU_DEP_4)
	v_cvt_f64_u32_e32 v[14:15], v8
	v_dual_add_nc_u32 v1, 48, v17 :: v_dual_add_nc_u32 v8, 56, v17
	v_cvt_f64_u32_e32 v[22:23], v10
	v_cvt_f64_u32_e32 v[24:25], v12
	v_add_nc_u32_e32 v12, 8, v11
	s_delay_alu instid0(VALU_DEP_4)
	v_cvt_f64_u32_e32 v[26:27], v1
	v_cvt_f64_u32_e32 v[28:29], v8
	v_dual_lshlrev_b32 v1, 2, v13 :: v_dual_add_nc_u32 v16, 16, v11
	v_dual_add_nc_u32 v41, 56, v11 :: v_dual_bitop2_b32 v10, 3, v0 bitop3:0x40
	v_lshl_add_u32 v37, v11, 3, v37
	v_dual_lshlrev_b32 v19, 7, v11 :: v_dual_bitop2_b32 v39, 31, v0 bitop3:0x40
	s_ashr_i32 s10, s4, 31
	s_ashr_i32 s11, s7, 31
	s_delay_alu instid0(VALU_DEP_2) | instskip(NEXT) | instid1(VALU_DEP_2)
	v_add_min_i32_e64 v53, v37, 64, s16
	v_lshl_or_b32 v48, v39, 2, 0x4200
	s_wait_xcnt 0x0
	s_load_b128 s[0:3], s[0:1], 0x0
	s_lshr_b32 s10, s10, 27
	s_lshr_b32 s11, s11, 27
	s_add_co_i32 s4, s4, s10
	v_dual_min_num_f64 v[30:31], v[20:21], v[2:3] :: v_dual_bitop2_b32 v8, 28, v1 bitop3:0x40
	v_min_i32_e32 v42, s16, v36
	v_dual_lshlrev_b32 v43, 2, v10 :: v_dual_min_i32 v20, s16, v11
	v_dual_min_num_f64 v[4:5], v[4:5], v[2:3] :: v_dual_min_i32 v45, s16, v40
	v_dual_min_num_f64 v[6:7], v[6:7], v[2:3] :: v_dual_min_i32 v46, s16, v41
	;; [unrolled: 1-line block ×3, first 2 shown]
	v_dual_min_num_f64 v[22:23], v[22:23], v[2:3] :: v_dual_lshlrev_b32 v21, 7, v12
	v_dual_min_num_f64 v[32:33], v[24:25], v[2:3] :: v_dual_min_i32 v24, s16, v12
	v_min_num_f64_e32 v[34:35], v[26:27], v[2:3]
	v_dual_min_num_f64 v[2:3], v[28:29], v[2:3] :: v_dual_min_i32 v26, s16, v16
	v_dual_ashrrev_i32 v39, 31, v52 :: v_dual_min_i32 v44, s16, v38
	v_dual_lshlrev_b32 v27, 7, v18 :: v_dual_ashrrev_i32 v47, 31, v53
	v_lshlrev_b32_e32 v29, 7, v36
	s_add_co_i32 s10, s7, s11
	v_dual_lshlrev_b32 v25, 7, v16 :: v_dual_min_i32 v28, s16, v18
	s_ashr_i32 s17, s10, 5
	s_ashr_i32 s7, s4, 5
	v_dual_lshlrev_b32 v119, 4, v12 :: v_dual_lshlrev_b32 v121, 4, v18
	s_mul_i32 s4, s7, s14
	v_dual_lshlrev_b32 v120, 4, v16 :: v_dual_lshlrev_b32 v123, 4, v38
	v_dual_lshlrev_b32 v122, 4, v36 :: v_dual_lshlrev_b32 v125, 4, v41
	v_dual_add_nc_u32 v133, v48, v25 :: v_dual_add_nc_u32 v134, v48, v27
	v_cvt_i32_f64_e32 v4, v[4:5]
	v_mad_u32 v139, 0x84, v20, v1
	v_mad_u32 v140, 0x84, v24, v1
	v_cvt_i32_f64_e32 v5, v[6:7]
	v_cvt_i32_f64_e32 v6, v[14:15]
	;; [unrolled: 1-line block ×3, first 2 shown]
	v_lshrrev_b32_e32 v30, 29, v47
	v_cvt_i32_f64_e32 v14, v[22:23]
	v_cvt_i32_f64_e32 v15, v[32:33]
	v_lshrrev_b32_e32 v23, 29, v39
	v_cvt_i32_f64_e32 v22, v[34:35]
	v_cvt_i32_f64_e32 v2, v[2:3]
	v_dual_lshlrev_b32 v33, 7, v38 :: v_dual_bitop2_b32 v3, 63, v37 bitop3:0x40
	s_delay_alu instid0(VALU_DEP_4) | instskip(SKIP_1) | instid1(VALU_DEP_3)
	v_dual_add_nc_u32 v23, v52, v23 :: v_dual_add_nc_u32 v30, v53, v30
	v_dual_lshlrev_b32 v34, 4, v53 :: v_dual_lshlrev_b32 v65, 7, v40
	v_or_b32_e32 v31, s13, v3
	s_delay_alu instid0(VALU_DEP_3) | instskip(SKIP_1) | instid1(VALU_DEP_3)
	v_dual_ashrrev_i32 v23, 3, v23 :: v_dual_ashrrev_i32 v30, 3, v30
	v_lshl_or_b32 v3, v3, 4, v43
	v_dual_lshlrev_b32 v32, 4, v52 :: v_dual_min_i32 v31, s15, v31
	s_delay_alu instid0(VALU_DEP_3) | instskip(NEXT) | instid1(VALU_DEP_3)
	v_dual_lshlrev_b32 v23, 2, v23 :: v_dual_lshlrev_b32 v30, 2, v30
	v_add_nc_u32_e32 v37, 0x6a40, v3
	v_add_nc_u32_e32 v131, v48, v19
	s_delay_alu instid0(VALU_DEP_4) | instskip(NEXT) | instid1(VALU_DEP_4)
	v_mad_u32 v39, v31, s17, v10
	v_add3_u32 v3, v23, v43, 0x6200
	v_add3_u32 v23, v30, v43, 0x6200
	v_add_min_i32_e64 v30, 0x78, v11, s16
	v_mul_lo_u32 v43, s17, v4
	s_delay_alu instid0(VALU_DEP_4)
	v_dual_add_nc_u32 v4, 32, v13 :: v_dual_add_nc_u32 v129, v3, v32
	v_mul_lo_u32 v47, s17, v5
	v_mul_lo_u32 v49, s17, v6
	v_add_nc_u32_e32 v5, 64, v13
	v_add_nc_u32_e32 v6, 0x60, v13
	v_mul_lo_u32 v51, s17, v7
	v_mul_lo_u32 v55, s17, v14
	;; [unrolled: 1-line block ×5, first 2 shown]
	v_dual_lshlrev_b32 v118, 7, v41 :: v_dual_lshrrev_b32 v2, 3, v4
	v_dual_lshrrev_b32 v7, 3, v5 :: v_dual_lshrrev_b32 v14, 3, v6
	v_dual_lshlrev_b32 v124, 4, v40 :: v_dual_lshlrev_b32 v127, 4, v5
	v_dual_lshlrev_b32 v126, 4, v4 :: v_dual_lshlrev_b32 v128, 4, v6
	v_dual_add_nc_u32 v130, v23, v34 :: v_dual_add_nc_u32 v132, v48, v21
	v_add_min_i32_e64 v3, v11, 64, s16
	v_add_min_i32_e64 v4, 0x48, v11, s16
	;; [unrolled: 1-line block ×7, first 2 shown]
	v_dual_add_nc_u32 v135, v48, v29 :: v_dual_add_nc_u32 v138, v48, v118
	v_dual_add_nc_u32 v136, v48, v33 :: v_dual_lshlrev_b32 v156, 2, v2
	v_dual_add_nc_u32 v137, v48, v65 :: v_dual_lshlrev_b32 v157, 2, v7
	v_mad_u32 v141, 0x84, v26, v1
	v_mad_u32 v142, 0x84, v28, v1
	;; [unrolled: 1-line block ×14, first 2 shown]
	v_mul_lo_u32 v16, v20, s7
	v_mul_lo_u32 v18, v24, s7
	;; [unrolled: 1-line block ×18, first 2 shown]
	v_bfe_u32 v12, v0, 3, 7
	s_ashr_i32 s5, s4, 31
	s_movk_i32 s15, 0x3180
	s_mul_u64 s[10:11], s[4:5], 34
	s_movk_i32 s4, 0x1080
	s_movk_i32 s5, 0x2100
	v_dual_lshlrev_b32 v155, 2, v1 :: v_dual_lshlrev_b32 v158, 2, v14
	s_wait_kmcnt 0x0
	v_add_nc_u64_e32 v[78:79], s[2:3], v[8:9]
	v_mov_b64_e32 v[70:71], 0
	v_mov_b64_e32 v[56:57], 0
	;; [unrolled: 1-line block ×16, first 2 shown]
	v_dual_lshlrev_b32 v159, 4, v11 :: v_dual_lshlrev_b32 v164, 2, v12
	v_mul_u32_u24_e32 v160, 0x84, v13
	v_mad_u32_u24 v161, 0x84, v13, s4
	v_mad_u32_u24 v162, 0x84, v13, s5
	;; [unrolled: 1-line block ×3, first 2 shown]
	s_mov_b32 s5, 0
	s_add_nc_u64 s[0:1], s[0:1], s[10:11]
	s_mov_b32 s4, s5
.LBB146_5:                              ; =>This Loop Header: Depth=1
                                        ;     Child Loop BB146_6 Depth 2
	s_delay_alu instid0(SALU_CYCLE_1) | instskip(NEXT) | instid1(SALU_CYCLE_1)
	s_mul_u64 s[10:11], s[4:5], 34
	s_add_nc_u64 s[10:11], s[0:1], s[10:11]
	s_delay_alu instid0(SALU_CYCLE_1) | instskip(NEXT) | instid1(VALU_DEP_1)
	v_mad_nc_u64_u32 v[0:1], v12, 34, s[10:11]
	v_mad_nc_i64_i32 v[2:3], v16, 34, v[0:1]
	s_delay_alu instid0(VALU_DEP_1) | instskip(SKIP_4) | instid1(VALU_DEP_1)
	v_add_nc_u64_e32 v[2:3], v[2:3], v[8:9]
	global_load_b32 v2, v[2:3], off offset:2
	s_wait_loadcnt 0x0
	ds_store_b32 v139, v2
	v_mad_nc_i64_i32 v[2:3], v18, 34, v[0:1]
	v_add_nc_u64_e32 v[2:3], v[2:3], v[8:9]
	global_load_b32 v2, v[2:3], off offset:2
	s_wait_loadcnt 0x0
	ds_store_b32 v140, v2
	v_mad_nc_i64_i32 v[2:3], v20, 34, v[0:1]
	s_delay_alu instid0(VALU_DEP_1) | instskip(SKIP_4) | instid1(VALU_DEP_1)
	v_add_nc_u64_e32 v[2:3], v[2:3], v[8:9]
	global_load_b32 v2, v[2:3], off offset:2
	s_wait_loadcnt 0x0
	ds_store_b32 v141, v2
	v_mad_nc_i64_i32 v[2:3], v24, 34, v[0:1]
	v_add_nc_u64_e32 v[2:3], v[2:3], v[8:9]
	global_load_b32 v2, v[2:3], off offset:2
	s_wait_loadcnt 0x0
	ds_store_b32 v142, v2
	;; [unrolled: 11-line block ×7, first 2 shown]
	v_mad_nc_i64_i32 v[2:3], v58, 34, v[0:1]
	v_mad_nc_i64_i32 v[0:1], v60, 34, v[0:1]
	s_delay_alu instid0(VALU_DEP_2) | instskip(NEXT) | instid1(VALU_DEP_2)
	v_add_nc_u64_e32 v[2:3], v[2:3], v[8:9]
	v_add_nc_u64_e32 v[0:1], v[0:1], v[8:9]
	s_clause 0x1
	global_load_b32 v2, v[2:3], off offset:2
	global_load_b32 v0, v[0:1], off offset:2
	s_wait_loadcnt 0x1
	ds_store_b32 v153, v2
	s_wait_loadcnt 0x0
	ds_store_b32 v154, v0
	v_mad_nc_u64_u32 v[0:1], v10, 34, s[10:11]
	s_mov_b32 s10, 0
	s_delay_alu instid0(VALU_DEP_1)
	v_mad_nc_i64_i32 v[2:3], v64, 34, v[0:1]
	v_mad_nc_i64_i32 v[0:1], v68, 34, v[0:1]
	s_clause 0x1
	global_load_u16 v2, v[2:3], off
	global_load_u16 v0, v[0:1], off
	s_wait_loadcnt 0x1
	s_wait_xcnt 0x1
	v_cvt_f32_f16_e32 v2, v2
	s_wait_loadcnt 0x0
	v_cvt_f32_f16_e32 v0, v0
	ds_store_b32 v129, v2
	ds_store_b32 v130, v0
	v_dual_add_nc_u32 v2, s4, v12 :: v_dual_add_nc_u32 v0, s4, v39
	s_delay_alu instid0(VALU_DEP_1) | instskip(SKIP_3) | instid1(VALU_DEP_1)
	v_mad_nc_u64_u32 v[0:1], v0, 36, s[2:3]
	global_load_b32 v3, v[0:1], off
	s_wait_xcnt 0x0
	v_add_nc_u32_e32 v0, v2, v43
	v_mad_nc_i64_i32 v[0:1], v0, 36, v[78:79]
	global_load_b32 v0, v[0:1], off offset:4
	s_wait_loadcnt 0x0
	ds_store_b32 v131, v0
	v_add_nc_u32_e32 v0, v2, v47
	s_delay_alu instid0(VALU_DEP_1) | instskip(SKIP_4) | instid1(VALU_DEP_1)
	v_mad_nc_i64_i32 v[0:1], v0, 36, v[78:79]
	global_load_b32 v0, v[0:1], off offset:4
	s_wait_loadcnt 0x0
	ds_store_b32 v132, v0
	v_add_nc_u32_e32 v0, v2, v49
	v_mad_nc_i64_i32 v[0:1], v0, 36, v[78:79]
	global_load_b32 v0, v[0:1], off offset:4
	s_wait_loadcnt 0x0
	ds_store_b32 v133, v0
	v_add_nc_u32_e32 v0, v2, v51
	s_delay_alu instid0(VALU_DEP_1) | instskip(SKIP_4) | instid1(VALU_DEP_1)
	v_mad_nc_i64_i32 v[0:1], v0, 36, v[78:79]
	global_load_b32 v0, v[0:1], off offset:4
	s_wait_loadcnt 0x0
	ds_store_b32 v134, v0
	;; [unrolled: 11-line block ×3, first 2 shown]
	v_add_nc_u32_e32 v0, v2, v61
	v_mad_nc_i64_i32 v[0:1], v0, 36, v[78:79]
	global_load_b32 v0, v[0:1], off offset:4
	s_wait_loadcnt 0x0
	ds_store_b32 v137, v0
	v_add_nc_u32_e32 v0, v2, v69
	s_delay_alu instid0(VALU_DEP_1)
	v_mad_nc_i64_i32 v[0:1], v0, 36, v[78:79]
	global_load_b32 v0, v[0:1], off offset:4
	s_wait_loadcnt 0x0
	ds_store_b32 v138, v0
	v_cvt_f32_f16_e32 v0, v3
	ds_store_b32 v37, v0
	s_wait_dscnt 0x0
	s_barrier_signal -1
	s_barrier_wait -1
.LBB146_6:                              ;   Parent Loop BB146_5 Depth=1
                                        ; =>  This Inner Loop Header: Depth=2
	s_lshr_b32 s17, s10, 1
	s_lshl_b32 s16, s10, 2
	s_add_co_i32 s15, s17, 0x6a40
	s_addk_co_i32 s17, 0x6200
	v_add_nc_u32_e32 v0, s15, v159
	s_add_co_i32 s11, s16, 0x4200
	s_delay_alu instid0(SALU_CYCLE_1)
	v_dual_add_nc_u32 v84, s16, v160 :: v_dual_add_nc_u32 v4, s11, v19
	ds_load_b32 v116, v0
	v_add3_u32 v0, s17, v164, v155
	ds_load_b32 v117, v0
	ds_load_b128 v[0:3], v4
	ds_load_b128 v[4:7], v4 offset:16
	ds_load_2addr_b32 v[94:95], v84 offset1:1
	ds_load_2addr_b32 v[92:93], v84 offset0:2 offset1:3
	ds_load_2addr_b32 v[90:91], v84 offset0:4 offset1:5
	;; [unrolled: 1-line block ×3, first 2 shown]
	s_wait_dscnt 0x5
	v_perm_b32 v86, v3, v2, 0x5010c0c
	v_perm_b32 v87, v3, v2, 0x7030c0c
	s_wait_dscnt 0x3
	v_perm_b32 v84, v94, v95, 0xc0c0501
	s_wait_dscnt 0x2
	v_perm_b32 v85, v93, v92, 0x5010c0c
	v_perm_b32 v96, v3, v2, 0x4000c0c
	;; [unrolled: 1-line block ×4, first 2 shown]
	s_wait_dscnt 0x0
	v_bfe_i32 v165, v88, 0, 8
	v_or_b32_e32 v84, v85, v84
	v_perm_b32 v85, v0, v1, 0xc0c0501
	v_perm_b32 v174, v88, v88, 0xc030201
	s_delay_alu instid0(VALU_DEP_2) | instskip(SKIP_1) | instid1(VALU_DEP_2)
	v_or_b32_e32 v85, v86, v85
	v_perm_b32 v86, v93, v92, 0x7030c0c
	v_dot4_i32_iu8 v84, v84, v85, 0 neg_lo:[1,1,0]
	v_perm_b32 v85, v94, v95, 0xc0c0703
	s_delay_alu instid0(VALU_DEP_1) | instskip(SKIP_1) | instid1(VALU_DEP_1)
	v_or_b32_e32 v85, v86, v85
	v_perm_b32 v86, v0, v1, 0xc0c0703
	v_or_b32_e32 v86, v87, v86
	v_perm_b32 v87, v93, v92, 0x4000c0c
	s_delay_alu instid0(VALU_DEP_2) | instskip(SKIP_1) | instid1(VALU_DEP_1)
	v_dot4_i32_iu8 v85, v85, v86, 0 neg_lo:[1,1,0]
	v_perm_b32 v86, v94, v95, 0xc0c0400
	v_or_b32_e32 v86, v87, v86
	v_perm_b32 v87, v0, v1, 0xc0c0400
	s_delay_alu instid0(VALU_DEP_1) | instskip(SKIP_1) | instid1(VALU_DEP_2)
	v_or_b32_e32 v87, v96, v87
	v_perm_b32 v96, v93, v92, 0x6020c0c
	v_dot4_i32_iu8 v86, v86, v87, 0 neg_lo:[1,1,0]
	v_perm_b32 v87, v94, v95, 0xc0c0602
	s_delay_alu instid0(VALU_DEP_1) | instskip(SKIP_1) | instid1(VALU_DEP_1)
	v_or_b32_e32 v87, v96, v87
	v_perm_b32 v96, v0, v1, 0xc0c0602
	v_or_b32_e32 v96, v97, v96
	v_perm_b32 v97, v89, v88, 0x6020c0c
	s_delay_alu instid0(VALU_DEP_2) | instskip(SKIP_1) | instid1(VALU_DEP_1)
	v_dot4_i32_iu8 v87, v87, v96, 0 neg_lo:[1,1,0]
	v_perm_b32 v96, v91, v90, 0xc0c0602
	v_or_b32_e32 v96, v97, v96
	v_perm_b32 v97, v5, v4, 0xc0c0602
	s_delay_alu instid0(VALU_DEP_1) | instskip(SKIP_1) | instid1(VALU_DEP_2)
	v_or_b32_e32 v97, v98, v97
	v_perm_b32 v98, v7, v6, 0x4000c0c
	v_dot4_i32_iu8 v87, v96, v97, v87 neg_lo:[1,1,0]
	v_perm_b32 v96, v91, v90, 0xc0c0400
	v_perm_b32 v97, v89, v88, 0x4000c0c
	s_delay_alu instid0(VALU_DEP_1) | instskip(SKIP_1) | instid1(VALU_DEP_1)
	v_or_b32_e32 v96, v97, v96
	v_perm_b32 v97, v5, v4, 0xc0c0400
	v_or_b32_e32 v97, v98, v97
	v_perm_b32 v98, v7, v6, 0x7030c0c
	s_delay_alu instid0(VALU_DEP_2) | instskip(SKIP_2) | instid1(VALU_DEP_1)
	v_dot4_i32_iu8 v86, v96, v97, v86 neg_lo:[1,1,0]
	v_perm_b32 v96, v91, v90, 0xc0c0703
	v_perm_b32 v97, v89, v88, 0x7030c0c
	v_or_b32_e32 v96, v97, v96
	v_perm_b32 v97, v5, v4, 0xc0c0703
	s_delay_alu instid0(VALU_DEP_1) | instskip(SKIP_1) | instid1(VALU_DEP_2)
	v_or_b32_e32 v97, v98, v97
	v_perm_b32 v98, v7, v6, 0x5010c0c
	v_dot4_i32_iu8 v85, v96, v97, v85 neg_lo:[1,1,0]
	v_perm_b32 v96, v91, v90, 0xc0c0501
	v_perm_b32 v97, v89, v88, 0x5010c0c
	s_delay_alu instid0(VALU_DEP_1) | instskip(SKIP_1) | instid1(VALU_DEP_1)
	v_or_b32_e32 v96, v97, v96
	v_perm_b32 v97, v5, v4, 0xc0c0501
	v_or_b32_e32 v97, v98, v97
	s_delay_alu instid0(VALU_DEP_1) | instskip(NEXT) | instid1(VALU_DEP_1)
	v_dot4_i32_iu8 v84, v96, v97, v84 neg_lo:[1,1,0]
	v_add_nc_u32_e32 v84, v84, v85
	v_mul_f32_e32 v85, v116, v117
	s_delay_alu instid0(VALU_DEP_2) | instskip(NEXT) | instid1(VALU_DEP_1)
	v_add3_u32 v84, v86, v87, v84
	v_cvt_f32_i32_e32 v84, v84
	s_delay_alu instid0(VALU_DEP_1)
	v_mul_f32_e32 v172, v85, v84
	v_add3_u32 v85, s17, v156, v126
	v_add_nc_u32_e32 v84, s16, v161
	ds_load_b32 v166, v85
	ds_load_2addr_b32 v[98:99], v84 offset1:1
	ds_load_2addr_b32 v[100:101], v84 offset0:2 offset1:3
	ds_load_2addr_b32 v[102:103], v84 offset0:4 offset1:5
	;; [unrolled: 1-line block ×3, first 2 shown]
	s_wait_dscnt 0x3
	v_dot4_i32_iu8 v85, v0, v98, 0 neg_lo:[1,1,0]
	s_wait_dscnt 0x1
	v_perm_b32 v169, v103, v103, 0x7060100
	s_wait_dscnt 0x0
	v_bfe_i32 v167, v96, 0, 8
	v_dot4_i32_iu8 v84, v1, v99, v85 neg_lo:[1,1,0]
	v_mul_f32_e32 v85, v116, v166
	s_delay_alu instid0(VALU_DEP_2) | instskip(NEXT) | instid1(VALU_DEP_1)
	v_dot4_i32_iu8 v84, v2, v100, v84 neg_lo:[1,1,0]
	v_dot4_i32_iu8 v84, v3, v101, v84 neg_lo:[1,1,0]
	s_delay_alu instid0(VALU_DEP_1) | instskip(NEXT) | instid1(VALU_DEP_1)
	v_dot4_i32_iu8 v84, v4, v102, v84 neg_lo:[1,1,0]
	v_dot4_i32_iu8 v84, v5, v169, v84 neg_lo:[1,1,0]
	s_delay_alu instid0(VALU_DEP_1) | instskip(NEXT) | instid1(VALU_DEP_1)
	;; [unrolled: 3-line block ×3, first 2 shown]
	v_cvt_f32_i32_e32 v84, v84
	v_mul_f32_e32 v176, v85, v84
	v_add3_u32 v85, s17, v157, v127
	v_add_nc_u32_e32 v84, s16, v162
	ds_load_b32 v168, v85
	ds_load_2addr_b32 v[108:109], v84 offset1:1
	ds_load_2addr_b32 v[110:111], v84 offset0:2 offset1:3
	ds_load_2addr_b32 v[112:113], v84 offset0:4 offset1:5
	;; [unrolled: 1-line block ×3, first 2 shown]
	s_wait_dscnt 0x3
	v_dot4_i32_iu8 v85, v0, v108, 0 neg_lo:[1,1,0]
	s_wait_dscnt 0x1
	v_perm_b32 v171, v113, v113, 0x7060100
	s_wait_dscnt 0x0
	v_bfe_i32 v170, v106, 0, 8
	v_dot4_i32_iu8 v84, v1, v109, v85 neg_lo:[1,1,0]
	v_mul_f32_e32 v85, v116, v168
	s_delay_alu instid0(VALU_DEP_2) | instskip(NEXT) | instid1(VALU_DEP_1)
	v_dot4_i32_iu8 v84, v2, v110, v84 neg_lo:[1,1,0]
	v_dot4_i32_iu8 v84, v3, v111, v84 neg_lo:[1,1,0]
	s_delay_alu instid0(VALU_DEP_1) | instskip(NEXT) | instid1(VALU_DEP_1)
	v_dot4_i32_iu8 v84, v4, v112, v84 neg_lo:[1,1,0]
	v_dot4_i32_iu8 v84, v5, v171, v84 neg_lo:[1,1,0]
	s_delay_alu instid0(VALU_DEP_1) | instskip(NEXT) | instid1(VALU_DEP_1)
	;; [unrolled: 3-line block ×3, first 2 shown]
	v_cvt_f32_i32_e32 v84, v84
	v_mul_f32_e32 v178, v85, v84
	v_add3_u32 v85, s17, v158, v128
	v_add_nc_u32_e32 v84, s16, v163
	ds_load_b32 v103, v85
	ds_load_2addr_b32 v[114:115], v84 offset1:1
	ds_load_2addr_b32 v[104:105], v84 offset0:2 offset1:3
	ds_load_2addr_b32 v[86:87], v84 offset0:4 offset1:5
	;; [unrolled: 1-line block ×3, first 2 shown]
	s_wait_dscnt 0x3
	v_dot4_i32_iu8 v0, v0, v114, 0 neg_lo:[1,1,0]
	s_wait_dscnt 0x1
	v_perm_b32 v87, v87, v87, 0x7060100
	s_wait_dscnt 0x0
	v_bfe_i32 v113, v84, 0, 8
	v_dot4_i32_iu8 v0, v1, v115, v0 neg_lo:[1,1,0]
	v_mul_f32_e32 v1, v116, v103
	s_delay_alu instid0(VALU_DEP_2) | instskip(NEXT) | instid1(VALU_DEP_1)
	v_dot4_i32_iu8 v0, v2, v104, v0 neg_lo:[1,1,0]
	v_dot4_i32_iu8 v0, v3, v105, v0 neg_lo:[1,1,0]
	s_delay_alu instid0(VALU_DEP_1) | instskip(SKIP_1) | instid1(VALU_DEP_2)
	v_dot4_i32_iu8 v0, v4, v86, v0 neg_lo:[1,1,0]
	v_add_nc_u32_e32 v4, s11, v21
	v_dot4_i32_iu8 v0, v5, v87, v0 neg_lo:[1,1,0]
	s_delay_alu instid0(VALU_DEP_1) | instskip(NEXT) | instid1(VALU_DEP_1)
	v_dot4_i32_iu8 v0, v6, v84, v0 neg_lo:[1,1,0]
	v_dot4_i32_iu8 v0, v7, v85, v0 neg_lo:[1,1,0]
	s_delay_alu instid0(VALU_DEP_1) | instskip(NEXT) | instid1(VALU_DEP_1)
	v_cvt_f32_i32_e32 v0, v0
	v_dual_mul_f32 v180, v1, v0 :: v_dual_add_nc_u32 v0, s15, v119
	ds_load_b32 v116, v0
	ds_load_b128 v[0:3], v4
	ds_load_b128 v[4:7], v4 offset:16
	s_wait_dscnt 0x1
	v_dot4_i32_iu8 v173, v94, v0, 0 neg_lo:[1,1,0]
	s_wait_dscnt 0x0
	v_perm_b32 v5, v5, v5, 0x7060100
	v_bfe_i32 v175, v6, 0, 8
	v_perm_b32 v6, v6, v6, 0xc030201
	v_dot4_i32_iu8 v173, v95, v1, v173 neg_lo:[1,1,0]
	s_delay_alu instid0(VALU_DEP_1) | instskip(NEXT) | instid1(VALU_DEP_1)
	v_dot4_i32_iu8 v173, v92, v2, v173 neg_lo:[1,1,0]
	v_dot4_i32_iu8 v173, v93, v3, v173 neg_lo:[1,1,0]
	s_delay_alu instid0(VALU_DEP_1) | instskip(NEXT) | instid1(VALU_DEP_1)
	v_dot4_i32_iu8 v173, v90, v4, v173 neg_lo:[1,1,0]
	v_dot4_i32_iu8 v173, v91, v5, v173 neg_lo:[1,1,0]
	s_delay_alu instid0(VALU_DEP_1) | instskip(NEXT) | instid1(VALU_DEP_1)
	v_mad_i32_i24 v173, v165, v175, v173
	v_dot4_i32_iu8 v88, v174, v6, v173 neg_lo:[1,1,0]
	v_mul_f32_e32 v173, v117, v116
	s_delay_alu instid0(VALU_DEP_2) | instskip(NEXT) | instid1(VALU_DEP_1)
	v_dot4_i32_iu8 v88, v89, v7, v88 neg_lo:[1,1,0]
	v_cvt_f32_i32_e32 v88, v88
	s_delay_alu instid0(VALU_DEP_1) | instskip(SKIP_1) | instid1(VALU_DEP_2)
	v_mul_f32_e32 v173, v173, v88
	v_dot4_i32_iu8 v88, v0, v98, 0 neg_lo:[1,1,0]
	v_pk_add_f32 v[70:71], v[70:71], v[172:173]
	s_delay_alu instid0(VALU_DEP_2)
	v_dot4_i32_iu8 v88, v1, v99, v88 neg_lo:[1,1,0]
	v_perm_b32 v173, v96, v96, 0xc030201
	v_mul_f32_e32 v96, v166, v116
	v_perm_b32 v172, v106, v106, 0xc030201
	v_perm_b32 v106, v84, v84, 0xc030201
	v_dot4_i32_iu8 v88, v2, v100, v88 neg_lo:[1,1,0]
	s_delay_alu instid0(VALU_DEP_1) | instskip(NEXT) | instid1(VALU_DEP_1)
	v_dot4_i32_iu8 v88, v3, v101, v88 neg_lo:[1,1,0]
	v_dot4_i32_iu8 v88, v4, v102, v88 neg_lo:[1,1,0]
	s_delay_alu instid0(VALU_DEP_1) | instskip(NEXT) | instid1(VALU_DEP_1)
	v_dot4_i32_iu8 v88, v5, v169, v88 neg_lo:[1,1,0]
	v_mad_i32_i24 v88, v175, v167, v88
	s_delay_alu instid0(VALU_DEP_1) | instskip(NEXT) | instid1(VALU_DEP_1)
	v_dot4_i32_iu8 v88, v6, v173, v88 neg_lo:[1,1,0]
	v_dot4_i32_iu8 v88, v7, v97, v88 neg_lo:[1,1,0]
	s_delay_alu instid0(VALU_DEP_1) | instskip(NEXT) | instid1(VALU_DEP_1)
	v_cvt_f32_i32_e32 v88, v88
	v_mul_f32_e32 v177, v96, v88
	v_dot4_i32_iu8 v88, v0, v108, 0 neg_lo:[1,1,0]
	v_dot4_i32_iu8 v0, v0, v114, 0 neg_lo:[1,1,0]
	v_mul_f32_e32 v96, v168, v116
	s_delay_alu instid0(VALU_DEP_4) | instskip(NEXT) | instid1(VALU_DEP_4)
	v_pk_add_f32 v[76:77], v[76:77], v[176:177]
	v_dot4_i32_iu8 v88, v1, v109, v88 neg_lo:[1,1,0]
	s_delay_alu instid0(VALU_DEP_4) | instskip(SKIP_1) | instid1(VALU_DEP_3)
	v_dot4_i32_iu8 v0, v1, v115, v0 neg_lo:[1,1,0]
	v_mul_f32_e32 v1, v103, v116
	v_dot4_i32_iu8 v88, v2, v110, v88 neg_lo:[1,1,0]
	s_delay_alu instid0(VALU_DEP_3) | instskip(NEXT) | instid1(VALU_DEP_2)
	v_dot4_i32_iu8 v0, v2, v104, v0 neg_lo:[1,1,0]
	v_dot4_i32_iu8 v88, v3, v111, v88 neg_lo:[1,1,0]
	s_delay_alu instid0(VALU_DEP_2) | instskip(NEXT) | instid1(VALU_DEP_2)
	v_dot4_i32_iu8 v0, v3, v105, v0 neg_lo:[1,1,0]
	v_dot4_i32_iu8 v88, v4, v112, v88 neg_lo:[1,1,0]
	s_delay_alu instid0(VALU_DEP_2) | instskip(SKIP_1) | instid1(VALU_DEP_3)
	v_dot4_i32_iu8 v0, v4, v86, v0 neg_lo:[1,1,0]
	v_add_nc_u32_e32 v4, s11, v25
	v_dot4_i32_iu8 v88, v5, v171, v88 neg_lo:[1,1,0]
	s_delay_alu instid0(VALU_DEP_3) | instskip(NEXT) | instid1(VALU_DEP_2)
	v_dot4_i32_iu8 v0, v5, v87, v0 neg_lo:[1,1,0]
	v_mad_i32_i24 v88, v175, v170, v88
	s_delay_alu instid0(VALU_DEP_2) | instskip(NEXT) | instid1(VALU_DEP_2)
	v_mad_i32_i24 v0, v175, v113, v0
	v_dot4_i32_iu8 v88, v6, v172, v88 neg_lo:[1,1,0]
	s_delay_alu instid0(VALU_DEP_2) | instskip(NEXT) | instid1(VALU_DEP_2)
	v_dot4_i32_iu8 v0, v6, v106, v0 neg_lo:[1,1,0]
	v_dot4_i32_iu8 v88, v7, v107, v88 neg_lo:[1,1,0]
	s_delay_alu instid0(VALU_DEP_2) | instskip(NEXT) | instid1(VALU_DEP_2)
	v_dot4_i32_iu8 v0, v7, v85, v0 neg_lo:[1,1,0]
	v_cvt_f32_i32_e32 v88, v88
	s_delay_alu instid0(VALU_DEP_2) | instskip(NEXT) | instid1(VALU_DEP_2)
	v_cvt_f32_i32_e32 v0, v0
	v_mul_f32_e32 v179, v96, v88
	s_delay_alu instid0(VALU_DEP_2)
	v_mul_f32_e32 v181, v1, v0
	v_add_nc_u32_e32 v0, s15, v120
	ds_load_b32 v84, v0
	ds_load_b128 v[0:3], v4
	ds_load_b128 v[4:7], v4 offset:16
	v_pk_add_f32 v[80:81], v[80:81], v[178:179]
	s_wait_dscnt 0x2
	v_mul_f32_e32 v116, v117, v84
	s_wait_dscnt 0x1
	v_dot4_i32_iu8 v88, v94, v0, 0 neg_lo:[1,1,0]
	s_wait_dscnt 0x0
	v_perm_b32 v5, v5, v5, 0x7060100
	v_bfe_i32 v96, v6, 0, 8
	v_perm_b32 v6, v6, v6, 0xc030201
	v_dot4_i32_iu8 v88, v95, v1, v88 neg_lo:[1,1,0]
	s_delay_alu instid0(VALU_DEP_1) | instskip(NEXT) | instid1(VALU_DEP_1)
	v_dot4_i32_iu8 v88, v92, v2, v88 neg_lo:[1,1,0]
	v_dot4_i32_iu8 v88, v93, v3, v88 neg_lo:[1,1,0]
	s_delay_alu instid0(VALU_DEP_1) | instskip(NEXT) | instid1(VALU_DEP_1)
	v_dot4_i32_iu8 v88, v90, v4, v88 neg_lo:[1,1,0]
	v_dot4_i32_iu8 v88, v91, v5, v88 neg_lo:[1,1,0]
	s_delay_alu instid0(VALU_DEP_1) | instskip(NEXT) | instid1(VALU_DEP_1)
	v_mad_i32_i24 v88, v165, v96, v88
	v_dot4_i32_iu8 v88, v174, v6, v88 neg_lo:[1,1,0]
	s_delay_alu instid0(VALU_DEP_1) | instskip(NEXT) | instid1(VALU_DEP_1)
	v_dot4_i32_iu8 v88, v89, v7, v88 neg_lo:[1,1,0]
	v_cvt_f32_i32_e32 v88, v88
	s_delay_alu instid0(VALU_DEP_1) | instskip(SKIP_2) | instid1(VALU_DEP_2)
	v_mul_f32_e32 v176, v116, v88
	v_dot4_i32_iu8 v88, v0, v98, 0 neg_lo:[1,1,0]
	v_mul_f32_e32 v116, v166, v84
	v_dot4_i32_iu8 v88, v1, v99, v88 neg_lo:[1,1,0]
	s_delay_alu instid0(VALU_DEP_1) | instskip(NEXT) | instid1(VALU_DEP_1)
	v_dot4_i32_iu8 v88, v2, v100, v88 neg_lo:[1,1,0]
	v_dot4_i32_iu8 v88, v3, v101, v88 neg_lo:[1,1,0]
	s_delay_alu instid0(VALU_DEP_1) | instskip(NEXT) | instid1(VALU_DEP_1)
	v_dot4_i32_iu8 v88, v4, v102, v88 neg_lo:[1,1,0]
	v_dot4_i32_iu8 v88, v5, v169, v88 neg_lo:[1,1,0]
	s_delay_alu instid0(VALU_DEP_1) | instskip(NEXT) | instid1(VALU_DEP_1)
	v_mad_i32_i24 v88, v96, v167, v88
	v_dot4_i32_iu8 v88, v6, v173, v88 neg_lo:[1,1,0]
	s_delay_alu instid0(VALU_DEP_1) | instskip(NEXT) | instid1(VALU_DEP_1)
	v_dot4_i32_iu8 v88, v7, v97, v88 neg_lo:[1,1,0]
	v_cvt_f32_i32_e32 v88, v88
	s_delay_alu instid0(VALU_DEP_1) | instskip(SKIP_3) | instid1(VALU_DEP_3)
	v_mul_f32_e32 v178, v116, v88
	v_dot4_i32_iu8 v88, v0, v108, 0 neg_lo:[1,1,0]
	v_dot4_i32_iu8 v0, v0, v114, 0 neg_lo:[1,1,0]
	v_mul_f32_e32 v116, v168, v84
	v_dot4_i32_iu8 v88, v1, v109, v88 neg_lo:[1,1,0]
	s_delay_alu instid0(VALU_DEP_3) | instskip(SKIP_1) | instid1(VALU_DEP_3)
	v_dot4_i32_iu8 v0, v1, v115, v0 neg_lo:[1,1,0]
	v_mul_f32_e32 v1, v103, v84
	v_dot4_i32_iu8 v88, v2, v110, v88 neg_lo:[1,1,0]
	s_delay_alu instid0(VALU_DEP_3) | instskip(NEXT) | instid1(VALU_DEP_2)
	v_dot4_i32_iu8 v0, v2, v104, v0 neg_lo:[1,1,0]
	v_dot4_i32_iu8 v88, v3, v111, v88 neg_lo:[1,1,0]
	s_delay_alu instid0(VALU_DEP_2) | instskip(NEXT) | instid1(VALU_DEP_2)
	v_dot4_i32_iu8 v0, v3, v105, v0 neg_lo:[1,1,0]
	v_dot4_i32_iu8 v88, v4, v112, v88 neg_lo:[1,1,0]
	s_delay_alu instid0(VALU_DEP_2) | instskip(SKIP_1) | instid1(VALU_DEP_3)
	v_dot4_i32_iu8 v0, v4, v86, v0 neg_lo:[1,1,0]
	v_add_nc_u32_e32 v4, s11, v27
	v_dot4_i32_iu8 v88, v5, v171, v88 neg_lo:[1,1,0]
	s_delay_alu instid0(VALU_DEP_3) | instskip(NEXT) | instid1(VALU_DEP_2)
	v_dot4_i32_iu8 v0, v5, v87, v0 neg_lo:[1,1,0]
	v_mad_i32_i24 v88, v96, v170, v88
	s_delay_alu instid0(VALU_DEP_2) | instskip(NEXT) | instid1(VALU_DEP_2)
	v_mad_i32_i24 v0, v96, v113, v0
	v_dot4_i32_iu8 v88, v6, v172, v88 neg_lo:[1,1,0]
	s_delay_alu instid0(VALU_DEP_2) | instskip(NEXT) | instid1(VALU_DEP_2)
	v_dot4_i32_iu8 v0, v6, v106, v0 neg_lo:[1,1,0]
	v_dot4_i32_iu8 v88, v7, v107, v88 neg_lo:[1,1,0]
	s_delay_alu instid0(VALU_DEP_2) | instskip(NEXT) | instid1(VALU_DEP_2)
	v_dot4_i32_iu8 v0, v7, v85, v0 neg_lo:[1,1,0]
	v_cvt_f32_i32_e32 v88, v88
	s_delay_alu instid0(VALU_DEP_2) | instskip(NEXT) | instid1(VALU_DEP_1)
	v_cvt_f32_i32_e32 v0, v0
	v_dual_mul_f32 v182, v1, v0 :: v_dual_add_nc_u32 v0, s15, v121
	ds_load_b32 v84, v0
	ds_load_b128 v[0:3], v4
	ds_load_b128 v[4:7], v4 offset:16
	v_pk_add_f32 v[82:83], v[82:83], v[180:181]
	v_mul_f32_e32 v180, v116, v88
	s_wait_dscnt 0x2
	v_mul_f32_e32 v116, v117, v84
	s_wait_dscnt 0x1
	v_dot4_i32_iu8 v88, v94, v0, 0 neg_lo:[1,1,0]
	s_wait_dscnt 0x0
	v_perm_b32 v5, v5, v5, 0x7060100
	v_bfe_i32 v96, v6, 0, 8
	v_perm_b32 v6, v6, v6, 0xc030201
	v_dot4_i32_iu8 v88, v95, v1, v88 neg_lo:[1,1,0]
	s_delay_alu instid0(VALU_DEP_1) | instskip(NEXT) | instid1(VALU_DEP_1)
	v_dot4_i32_iu8 v88, v92, v2, v88 neg_lo:[1,1,0]
	v_dot4_i32_iu8 v88, v93, v3, v88 neg_lo:[1,1,0]
	s_delay_alu instid0(VALU_DEP_1) | instskip(NEXT) | instid1(VALU_DEP_1)
	v_dot4_i32_iu8 v88, v90, v4, v88 neg_lo:[1,1,0]
	v_dot4_i32_iu8 v88, v91, v5, v88 neg_lo:[1,1,0]
	s_delay_alu instid0(VALU_DEP_1) | instskip(NEXT) | instid1(VALU_DEP_1)
	v_mad_i32_i24 v88, v165, v96, v88
	v_dot4_i32_iu8 v88, v174, v6, v88 neg_lo:[1,1,0]
	s_delay_alu instid0(VALU_DEP_1) | instskip(NEXT) | instid1(VALU_DEP_1)
	v_dot4_i32_iu8 v88, v89, v7, v88 neg_lo:[1,1,0]
	v_cvt_f32_i32_e32 v88, v88
	s_delay_alu instid0(VALU_DEP_1) | instskip(SKIP_2) | instid1(VALU_DEP_3)
	v_mul_f32_e32 v177, v116, v88
	v_dot4_i32_iu8 v88, v0, v98, 0 neg_lo:[1,1,0]
	v_mul_f32_e32 v116, v166, v84
	v_pk_add_f32 v[56:57], v[56:57], v[176:177]
	s_delay_alu instid0(VALU_DEP_3) | instskip(NEXT) | instid1(VALU_DEP_1)
	v_dot4_i32_iu8 v88, v1, v99, v88 neg_lo:[1,1,0]
	v_dot4_i32_iu8 v88, v2, v100, v88 neg_lo:[1,1,0]
	s_delay_alu instid0(VALU_DEP_1) | instskip(NEXT) | instid1(VALU_DEP_1)
	v_dot4_i32_iu8 v88, v3, v101, v88 neg_lo:[1,1,0]
	v_dot4_i32_iu8 v88, v4, v102, v88 neg_lo:[1,1,0]
	s_delay_alu instid0(VALU_DEP_1) | instskip(NEXT) | instid1(VALU_DEP_1)
	v_dot4_i32_iu8 v88, v5, v169, v88 neg_lo:[1,1,0]
	v_mad_i32_i24 v88, v96, v167, v88
	s_delay_alu instid0(VALU_DEP_1) | instskip(NEXT) | instid1(VALU_DEP_1)
	v_dot4_i32_iu8 v88, v6, v173, v88 neg_lo:[1,1,0]
	v_dot4_i32_iu8 v88, v7, v97, v88 neg_lo:[1,1,0]
	s_delay_alu instid0(VALU_DEP_1) | instskip(NEXT) | instid1(VALU_DEP_1)
	v_cvt_f32_i32_e32 v88, v88
	v_mul_f32_e32 v179, v116, v88
	v_dot4_i32_iu8 v88, v0, v108, 0 neg_lo:[1,1,0]
	v_dot4_i32_iu8 v0, v0, v114, 0 neg_lo:[1,1,0]
	v_mul_f32_e32 v116, v168, v84
	s_delay_alu instid0(VALU_DEP_3) | instskip(NEXT) | instid1(VALU_DEP_3)
	v_dot4_i32_iu8 v88, v1, v109, v88 neg_lo:[1,1,0]
	v_dot4_i32_iu8 v0, v1, v115, v0 neg_lo:[1,1,0]
	v_mul_f32_e32 v1, v103, v84
	s_delay_alu instid0(VALU_DEP_3) | instskip(NEXT) | instid1(VALU_DEP_3)
	v_dot4_i32_iu8 v88, v2, v110, v88 neg_lo:[1,1,0]
	v_dot4_i32_iu8 v0, v2, v104, v0 neg_lo:[1,1,0]
	s_delay_alu instid0(VALU_DEP_2) | instskip(NEXT) | instid1(VALU_DEP_2)
	v_dot4_i32_iu8 v88, v3, v111, v88 neg_lo:[1,1,0]
	v_dot4_i32_iu8 v0, v3, v105, v0 neg_lo:[1,1,0]
	s_delay_alu instid0(VALU_DEP_2) | instskip(NEXT) | instid1(VALU_DEP_2)
	v_dot4_i32_iu8 v88, v4, v112, v88 neg_lo:[1,1,0]
	v_dot4_i32_iu8 v0, v4, v86, v0 neg_lo:[1,1,0]
	v_add_nc_u32_e32 v4, s11, v29
	s_delay_alu instid0(VALU_DEP_3) | instskip(NEXT) | instid1(VALU_DEP_3)
	v_dot4_i32_iu8 v88, v5, v171, v88 neg_lo:[1,1,0]
	v_dot4_i32_iu8 v0, v5, v87, v0 neg_lo:[1,1,0]
	s_delay_alu instid0(VALU_DEP_2) | instskip(NEXT) | instid1(VALU_DEP_2)
	v_mad_i32_i24 v88, v96, v170, v88
	v_mad_i32_i24 v0, v96, v113, v0
	s_delay_alu instid0(VALU_DEP_2) | instskip(NEXT) | instid1(VALU_DEP_2)
	v_dot4_i32_iu8 v88, v6, v172, v88 neg_lo:[1,1,0]
	v_dot4_i32_iu8 v0, v6, v106, v0 neg_lo:[1,1,0]
	s_delay_alu instid0(VALU_DEP_2) | instskip(NEXT) | instid1(VALU_DEP_2)
	v_dot4_i32_iu8 v88, v7, v107, v88 neg_lo:[1,1,0]
	v_dot4_i32_iu8 v0, v7, v85, v0 neg_lo:[1,1,0]
	s_delay_alu instid0(VALU_DEP_2) | instskip(NEXT) | instid1(VALU_DEP_2)
	v_cvt_f32_i32_e32 v88, v88
	v_cvt_f32_i32_e32 v0, v0
	s_delay_alu instid0(VALU_DEP_2) | instskip(NEXT) | instid1(VALU_DEP_2)
	v_mul_f32_e32 v181, v116, v88
	v_dual_mul_f32 v183, v1, v0 :: v_dual_add_nc_u32 v0, s15, v122
	ds_load_b32 v84, v0
	ds_load_b128 v[0:3], v4
	ds_load_b128 v[4:7], v4 offset:16
	v_pk_add_f32 v[66:67], v[66:67], v[178:179]
	v_pk_add_f32 v[74:75], v[74:75], v[182:183]
	;; [unrolled: 1-line block ×3, first 2 shown]
	s_wait_dscnt 0x2
	v_mul_f32_e32 v116, v117, v84
	s_wait_dscnt 0x1
	v_dot4_i32_iu8 v88, v94, v0, 0 neg_lo:[1,1,0]
	s_wait_dscnt 0x0
	v_perm_b32 v5, v5, v5, 0x7060100
	v_bfe_i32 v96, v6, 0, 8
	v_perm_b32 v6, v6, v6, 0xc030201
	v_dot4_i32_iu8 v88, v95, v1, v88 neg_lo:[1,1,0]
	s_delay_alu instid0(VALU_DEP_1) | instskip(NEXT) | instid1(VALU_DEP_1)
	v_dot4_i32_iu8 v88, v92, v2, v88 neg_lo:[1,1,0]
	v_dot4_i32_iu8 v88, v93, v3, v88 neg_lo:[1,1,0]
	s_delay_alu instid0(VALU_DEP_1) | instskip(NEXT) | instid1(VALU_DEP_1)
	v_dot4_i32_iu8 v88, v90, v4, v88 neg_lo:[1,1,0]
	v_dot4_i32_iu8 v88, v91, v5, v88 neg_lo:[1,1,0]
	s_delay_alu instid0(VALU_DEP_1) | instskip(NEXT) | instid1(VALU_DEP_1)
	v_mad_i32_i24 v88, v165, v96, v88
	v_dot4_i32_iu8 v88, v174, v6, v88 neg_lo:[1,1,0]
	s_delay_alu instid0(VALU_DEP_1) | instskip(NEXT) | instid1(VALU_DEP_1)
	v_dot4_i32_iu8 v88, v89, v7, v88 neg_lo:[1,1,0]
	v_cvt_f32_i32_e32 v88, v88
	s_delay_alu instid0(VALU_DEP_1) | instskip(SKIP_2) | instid1(VALU_DEP_2)
	v_mul_f32_e32 v176, v116, v88
	v_dot4_i32_iu8 v88, v0, v98, 0 neg_lo:[1,1,0]
	v_mul_f32_e32 v116, v166, v84
	v_dot4_i32_iu8 v88, v1, v99, v88 neg_lo:[1,1,0]
	s_delay_alu instid0(VALU_DEP_1) | instskip(NEXT) | instid1(VALU_DEP_1)
	v_dot4_i32_iu8 v88, v2, v100, v88 neg_lo:[1,1,0]
	v_dot4_i32_iu8 v88, v3, v101, v88 neg_lo:[1,1,0]
	s_delay_alu instid0(VALU_DEP_1) | instskip(NEXT) | instid1(VALU_DEP_1)
	v_dot4_i32_iu8 v88, v4, v102, v88 neg_lo:[1,1,0]
	v_dot4_i32_iu8 v88, v5, v169, v88 neg_lo:[1,1,0]
	s_delay_alu instid0(VALU_DEP_1) | instskip(NEXT) | instid1(VALU_DEP_1)
	v_mad_i32_i24 v88, v96, v167, v88
	v_dot4_i32_iu8 v88, v6, v173, v88 neg_lo:[1,1,0]
	s_delay_alu instid0(VALU_DEP_1) | instskip(NEXT) | instid1(VALU_DEP_1)
	v_dot4_i32_iu8 v88, v7, v97, v88 neg_lo:[1,1,0]
	v_cvt_f32_i32_e32 v88, v88
	s_delay_alu instid0(VALU_DEP_1) | instskip(SKIP_3) | instid1(VALU_DEP_3)
	v_mul_f32_e32 v178, v116, v88
	v_dot4_i32_iu8 v88, v0, v108, 0 neg_lo:[1,1,0]
	v_dot4_i32_iu8 v0, v0, v114, 0 neg_lo:[1,1,0]
	v_mul_f32_e32 v116, v168, v84
	v_dot4_i32_iu8 v88, v1, v109, v88 neg_lo:[1,1,0]
	s_delay_alu instid0(VALU_DEP_3) | instskip(SKIP_1) | instid1(VALU_DEP_3)
	v_dot4_i32_iu8 v0, v1, v115, v0 neg_lo:[1,1,0]
	v_mul_f32_e32 v1, v103, v84
	v_dot4_i32_iu8 v88, v2, v110, v88 neg_lo:[1,1,0]
	s_delay_alu instid0(VALU_DEP_3) | instskip(NEXT) | instid1(VALU_DEP_2)
	v_dot4_i32_iu8 v0, v2, v104, v0 neg_lo:[1,1,0]
	v_dot4_i32_iu8 v88, v3, v111, v88 neg_lo:[1,1,0]
	s_delay_alu instid0(VALU_DEP_2) | instskip(NEXT) | instid1(VALU_DEP_2)
	v_dot4_i32_iu8 v0, v3, v105, v0 neg_lo:[1,1,0]
	v_dot4_i32_iu8 v88, v4, v112, v88 neg_lo:[1,1,0]
	s_delay_alu instid0(VALU_DEP_2) | instskip(SKIP_1) | instid1(VALU_DEP_3)
	v_dot4_i32_iu8 v0, v4, v86, v0 neg_lo:[1,1,0]
	v_add_nc_u32_e32 v4, s11, v33
	v_dot4_i32_iu8 v88, v5, v171, v88 neg_lo:[1,1,0]
	s_delay_alu instid0(VALU_DEP_3) | instskip(NEXT) | instid1(VALU_DEP_2)
	v_dot4_i32_iu8 v0, v5, v87, v0 neg_lo:[1,1,0]
	v_mad_i32_i24 v88, v96, v170, v88
	s_delay_alu instid0(VALU_DEP_2) | instskip(NEXT) | instid1(VALU_DEP_2)
	v_mad_i32_i24 v0, v96, v113, v0
	v_dot4_i32_iu8 v88, v6, v172, v88 neg_lo:[1,1,0]
	s_delay_alu instid0(VALU_DEP_2) | instskip(NEXT) | instid1(VALU_DEP_2)
	v_dot4_i32_iu8 v0, v6, v106, v0 neg_lo:[1,1,0]
	v_dot4_i32_iu8 v88, v7, v107, v88 neg_lo:[1,1,0]
	s_delay_alu instid0(VALU_DEP_2) | instskip(NEXT) | instid1(VALU_DEP_2)
	v_dot4_i32_iu8 v0, v7, v85, v0 neg_lo:[1,1,0]
	v_cvt_f32_i32_e32 v88, v88
	s_delay_alu instid0(VALU_DEP_2) | instskip(NEXT) | instid1(VALU_DEP_2)
	v_cvt_f32_i32_e32 v0, v0
	v_mul_f32_e32 v180, v116, v88
	s_delay_alu instid0(VALU_DEP_2)
	v_dual_mul_f32 v182, v1, v0 :: v_dual_add_nc_u32 v0, s15, v123
	ds_load_b32 v84, v0
	ds_load_b128 v[0:3], v4
	ds_load_b128 v[4:7], v4 offset:16
	s_wait_dscnt 0x2
	v_mul_f32_e32 v116, v117, v84
	s_wait_dscnt 0x1
	v_dot4_i32_iu8 v88, v94, v0, 0 neg_lo:[1,1,0]
	s_wait_dscnt 0x0
	v_perm_b32 v5, v5, v5, 0x7060100
	v_bfe_i32 v96, v6, 0, 8
	v_perm_b32 v6, v6, v6, 0xc030201
	v_dot4_i32_iu8 v88, v95, v1, v88 neg_lo:[1,1,0]
	s_delay_alu instid0(VALU_DEP_1) | instskip(NEXT) | instid1(VALU_DEP_1)
	v_dot4_i32_iu8 v88, v92, v2, v88 neg_lo:[1,1,0]
	v_dot4_i32_iu8 v88, v93, v3, v88 neg_lo:[1,1,0]
	s_delay_alu instid0(VALU_DEP_1) | instskip(NEXT) | instid1(VALU_DEP_1)
	v_dot4_i32_iu8 v88, v90, v4, v88 neg_lo:[1,1,0]
	v_dot4_i32_iu8 v88, v91, v5, v88 neg_lo:[1,1,0]
	s_delay_alu instid0(VALU_DEP_1) | instskip(NEXT) | instid1(VALU_DEP_1)
	v_mad_i32_i24 v88, v165, v96, v88
	v_dot4_i32_iu8 v88, v174, v6, v88 neg_lo:[1,1,0]
	s_delay_alu instid0(VALU_DEP_1) | instskip(NEXT) | instid1(VALU_DEP_1)
	v_dot4_i32_iu8 v88, v89, v7, v88 neg_lo:[1,1,0]
	v_cvt_f32_i32_e32 v88, v88
	s_delay_alu instid0(VALU_DEP_1) | instskip(SKIP_2) | instid1(VALU_DEP_3)
	v_mul_f32_e32 v177, v116, v88
	v_dot4_i32_iu8 v88, v0, v98, 0 neg_lo:[1,1,0]
	v_mul_f32_e32 v116, v166, v84
	v_pk_add_f32 v[34:35], v[34:35], v[176:177]
	s_delay_alu instid0(VALU_DEP_3) | instskip(NEXT) | instid1(VALU_DEP_1)
	v_dot4_i32_iu8 v88, v1, v99, v88 neg_lo:[1,1,0]
	v_dot4_i32_iu8 v88, v2, v100, v88 neg_lo:[1,1,0]
	s_delay_alu instid0(VALU_DEP_1) | instskip(NEXT) | instid1(VALU_DEP_1)
	v_dot4_i32_iu8 v88, v3, v101, v88 neg_lo:[1,1,0]
	v_dot4_i32_iu8 v88, v4, v102, v88 neg_lo:[1,1,0]
	s_delay_alu instid0(VALU_DEP_1) | instskip(NEXT) | instid1(VALU_DEP_1)
	v_dot4_i32_iu8 v88, v5, v169, v88 neg_lo:[1,1,0]
	v_mad_i32_i24 v88, v96, v167, v88
	s_delay_alu instid0(VALU_DEP_1) | instskip(NEXT) | instid1(VALU_DEP_1)
	v_dot4_i32_iu8 v88, v6, v173, v88 neg_lo:[1,1,0]
	v_dot4_i32_iu8 v88, v7, v97, v88 neg_lo:[1,1,0]
	s_delay_alu instid0(VALU_DEP_1) | instskip(NEXT) | instid1(VALU_DEP_1)
	v_cvt_f32_i32_e32 v88, v88
	v_mul_f32_e32 v179, v116, v88
	v_dot4_i32_iu8 v88, v0, v108, 0 neg_lo:[1,1,0]
	v_dot4_i32_iu8 v0, v0, v114, 0 neg_lo:[1,1,0]
	v_mul_f32_e32 v116, v168, v84
	s_delay_alu instid0(VALU_DEP_3) | instskip(NEXT) | instid1(VALU_DEP_3)
	v_dot4_i32_iu8 v88, v1, v109, v88 neg_lo:[1,1,0]
	v_dot4_i32_iu8 v0, v1, v115, v0 neg_lo:[1,1,0]
	v_mul_f32_e32 v1, v103, v84
	s_delay_alu instid0(VALU_DEP_3) | instskip(NEXT) | instid1(VALU_DEP_3)
	v_dot4_i32_iu8 v88, v2, v110, v88 neg_lo:[1,1,0]
	v_dot4_i32_iu8 v0, v2, v104, v0 neg_lo:[1,1,0]
	s_delay_alu instid0(VALU_DEP_2) | instskip(NEXT) | instid1(VALU_DEP_2)
	v_dot4_i32_iu8 v88, v3, v111, v88 neg_lo:[1,1,0]
	v_dot4_i32_iu8 v0, v3, v105, v0 neg_lo:[1,1,0]
	s_delay_alu instid0(VALU_DEP_2) | instskip(NEXT) | instid1(VALU_DEP_2)
	v_dot4_i32_iu8 v88, v4, v112, v88 neg_lo:[1,1,0]
	v_dot4_i32_iu8 v0, v4, v86, v0 neg_lo:[1,1,0]
	v_add_nc_u32_e32 v4, s11, v65
	s_delay_alu instid0(VALU_DEP_3) | instskip(NEXT) | instid1(VALU_DEP_3)
	v_dot4_i32_iu8 v88, v5, v171, v88 neg_lo:[1,1,0]
	v_dot4_i32_iu8 v0, v5, v87, v0 neg_lo:[1,1,0]
	s_delay_alu instid0(VALU_DEP_2) | instskip(NEXT) | instid1(VALU_DEP_2)
	v_mad_i32_i24 v88, v96, v170, v88
	v_mad_i32_i24 v0, v96, v113, v0
	s_delay_alu instid0(VALU_DEP_2) | instskip(NEXT) | instid1(VALU_DEP_2)
	v_dot4_i32_iu8 v88, v6, v172, v88 neg_lo:[1,1,0]
	v_dot4_i32_iu8 v0, v6, v106, v0 neg_lo:[1,1,0]
	s_delay_alu instid0(VALU_DEP_2) | instskip(NEXT) | instid1(VALU_DEP_2)
	v_dot4_i32_iu8 v88, v7, v107, v88 neg_lo:[1,1,0]
	v_dot4_i32_iu8 v0, v7, v85, v0 neg_lo:[1,1,0]
	s_delay_alu instid0(VALU_DEP_2) | instskip(NEXT) | instid1(VALU_DEP_2)
	v_cvt_f32_i32_e32 v88, v88
	v_cvt_f32_i32_e32 v0, v0
	s_delay_alu instid0(VALU_DEP_1)
	v_mul_f32_e32 v183, v1, v0
	v_add_nc_u32_e32 v0, s15, v124
	ds_load_b32 v84, v0
	ds_load_b128 v[0:3], v4
	ds_load_b128 v[4:7], v4 offset:16
	s_wait_dscnt 0x2
	v_mul_f32_e32 v176, v168, v84
	v_mul_f32_e32 v181, v116, v88
	s_wait_dscnt 0x1
	v_dot4_i32_iu8 v88, v94, v0, 0 neg_lo:[1,1,0]
	s_wait_dscnt 0x0
	v_perm_b32 v5, v5, v5, 0x7060100
	v_bfe_i32 v175, v6, 0, 8
	v_perm_b32 v6, v6, v6, 0xc030201
	v_mul_f32_e32 v96, v117, v84
	v_dot4_i32_iu8 v88, v95, v1, v88 neg_lo:[1,1,0]
	v_pk_add_f32 v[44:45], v[44:45], v[178:179]
	v_pk_add_f32 v[52:53], v[52:53], v[180:181]
	s_delay_alu instid0(VALU_DEP_3) | instskip(NEXT) | instid1(VALU_DEP_1)
	v_dot4_i32_iu8 v88, v92, v2, v88 neg_lo:[1,1,0]
	v_dot4_i32_iu8 v88, v93, v3, v88 neg_lo:[1,1,0]
	s_delay_alu instid0(VALU_DEP_1) | instskip(NEXT) | instid1(VALU_DEP_1)
	v_dot4_i32_iu8 v88, v90, v4, v88 neg_lo:[1,1,0]
	v_dot4_i32_iu8 v88, v91, v5, v88 neg_lo:[1,1,0]
	s_delay_alu instid0(VALU_DEP_1) | instskip(NEXT) | instid1(VALU_DEP_1)
	v_mad_i32_i24 v88, v165, v175, v88
	v_dot4_i32_iu8 v88, v174, v6, v88 neg_lo:[1,1,0]
	s_delay_alu instid0(VALU_DEP_1) | instskip(NEXT) | instid1(VALU_DEP_1)
	v_dot4_i32_iu8 v88, v89, v7, v88 neg_lo:[1,1,0]
	v_cvt_f32_i32_e32 v88, v88
	s_delay_alu instid0(VALU_DEP_1) | instskip(SKIP_2) | instid1(VALU_DEP_2)
	v_mul_f32_e32 v116, v96, v88
	v_dot4_i32_iu8 v88, v0, v98, 0 neg_lo:[1,1,0]
	v_mul_f32_e32 v96, v166, v84
	v_dot4_i32_iu8 v88, v1, v99, v88 neg_lo:[1,1,0]
	s_delay_alu instid0(VALU_DEP_1) | instskip(NEXT) | instid1(VALU_DEP_1)
	v_dot4_i32_iu8 v88, v2, v100, v88 neg_lo:[1,1,0]
	v_dot4_i32_iu8 v88, v3, v101, v88 neg_lo:[1,1,0]
	s_delay_alu instid0(VALU_DEP_1) | instskip(NEXT) | instid1(VALU_DEP_1)
	v_dot4_i32_iu8 v88, v4, v102, v88 neg_lo:[1,1,0]
	v_dot4_i32_iu8 v88, v5, v169, v88 neg_lo:[1,1,0]
	s_delay_alu instid0(VALU_DEP_1) | instskip(NEXT) | instid1(VALU_DEP_1)
	v_mad_i32_i24 v88, v175, v167, v88
	v_dot4_i32_iu8 v88, v6, v173, v88 neg_lo:[1,1,0]
	s_delay_alu instid0(VALU_DEP_1) | instskip(NEXT) | instid1(VALU_DEP_1)
	v_dot4_i32_iu8 v88, v7, v97, v88 neg_lo:[1,1,0]
	v_cvt_f32_i32_e32 v88, v88
	s_delay_alu instid0(VALU_DEP_1) | instskip(SKIP_2) | instid1(VALU_DEP_2)
	v_mul_f32_e32 v96, v96, v88
	v_dot4_i32_iu8 v88, v0, v108, 0 neg_lo:[1,1,0]
	v_dot4_i32_iu8 v0, v0, v114, 0 neg_lo:[1,1,0]
	;; [unrolled: 1-line block ×3, first 2 shown]
	s_delay_alu instid0(VALU_DEP_2) | instskip(SKIP_1) | instid1(VALU_DEP_3)
	v_dot4_i32_iu8 v0, v1, v115, v0 neg_lo:[1,1,0]
	v_mul_f32_e32 v1, v103, v84
	v_dot4_i32_iu8 v88, v2, v110, v88 neg_lo:[1,1,0]
	s_delay_alu instid0(VALU_DEP_3) | instskip(NEXT) | instid1(VALU_DEP_2)
	v_dot4_i32_iu8 v0, v2, v104, v0 neg_lo:[1,1,0]
	v_dot4_i32_iu8 v88, v3, v111, v88 neg_lo:[1,1,0]
	s_delay_alu instid0(VALU_DEP_2) | instskip(NEXT) | instid1(VALU_DEP_2)
	v_dot4_i32_iu8 v0, v3, v105, v0 neg_lo:[1,1,0]
	v_dot4_i32_iu8 v88, v4, v112, v88 neg_lo:[1,1,0]
	s_delay_alu instid0(VALU_DEP_2) | instskip(NEXT) | instid1(VALU_DEP_2)
	;; [unrolled: 3-line block ×3, first 2 shown]
	v_dot4_i32_iu8 v0, v5, v87, v0 neg_lo:[1,1,0]
	v_mad_i32_i24 v88, v175, v170, v88
	s_delay_alu instid0(VALU_DEP_2) | instskip(NEXT) | instid1(VALU_DEP_2)
	v_mad_i32_i24 v0, v175, v113, v0
	v_dot4_i32_iu8 v88, v6, v172, v88 neg_lo:[1,1,0]
	s_delay_alu instid0(VALU_DEP_2) | instskip(NEXT) | instid1(VALU_DEP_2)
	v_dot4_i32_iu8 v0, v6, v106, v0 neg_lo:[1,1,0]
	v_dot4_i32_iu8 v88, v7, v107, v88 neg_lo:[1,1,0]
	s_delay_alu instid0(VALU_DEP_2) | instskip(NEXT) | instid1(VALU_DEP_2)
	v_dot4_i32_iu8 v0, v7, v85, v0 neg_lo:[1,1,0]
	v_cvt_f32_i32_e32 v88, v88
	s_delay_alu instid0(VALU_DEP_2) | instskip(NEXT) | instid1(VALU_DEP_2)
	v_cvt_f32_i32_e32 v0, v0
	v_mul_f32_e32 v88, v176, v88
	s_delay_alu instid0(VALU_DEP_2)
	v_dual_mul_f32 v84, v1, v0 :: v_dual_add_nc_u32 v1, s15, v125
	v_add_nc_u32_e32 v0, s11, v118
	ds_load_b32 v175, v1
	ds_load_b128 v[4:7], v0
	ds_load_b128 v[0:3], v0 offset:16
	v_pk_add_f32 v[62:63], v[62:63], v[182:183]
	s_add_co_i32 s11, s10, 8
	s_cmp_lt_u32 s10, 24
	s_mov_b32 s10, s11
	s_wait_dscnt 0x1
	v_dot4_i32_iu8 v94, v94, v4, 0 neg_lo:[1,1,0]
	s_wait_dscnt 0x0
	v_perm_b32 v1, v1, v1, 0x7060100
	v_bfe_i32 v176, v2, 0, 8
	v_perm_b32 v2, v2, v2, 0xc030201
	v_dot4_i32_iu8 v94, v95, v5, v94 neg_lo:[1,1,0]
	s_delay_alu instid0(VALU_DEP_1) | instskip(NEXT) | instid1(VALU_DEP_1)
	v_dot4_i32_iu8 v92, v92, v6, v94 neg_lo:[1,1,0]
	v_dot4_i32_iu8 v92, v93, v7, v92 neg_lo:[1,1,0]
	s_delay_alu instid0(VALU_DEP_1) | instskip(NEXT) | instid1(VALU_DEP_1)
	v_dot4_i32_iu8 v90, v90, v0, v92 neg_lo:[1,1,0]
	v_dot4_i32_iu8 v90, v91, v1, v90 neg_lo:[1,1,0]
	s_delay_alu instid0(VALU_DEP_1) | instskip(NEXT) | instid1(VALU_DEP_1)
	v_mad_i32_i24 v90, v165, v176, v90
	v_dot4_i32_iu8 v90, v174, v2, v90 neg_lo:[1,1,0]
	s_delay_alu instid0(VALU_DEP_1) | instskip(SKIP_1) | instid1(VALU_DEP_2)
	v_dot4_i32_iu8 v89, v89, v3, v90 neg_lo:[1,1,0]
	v_mul_f32_e32 v90, v117, v175
	v_cvt_f32_i32_e32 v89, v89
	s_delay_alu instid0(VALU_DEP_1) | instskip(SKIP_2) | instid1(VALU_DEP_2)
	v_mul_f32_e32 v117, v90, v89
	v_dot4_i32_iu8 v89, v4, v98, 0 neg_lo:[1,1,0]
	v_mul_f32_e32 v90, v166, v175
	v_dot4_i32_iu8 v89, v5, v99, v89 neg_lo:[1,1,0]
	s_delay_alu instid0(VALU_DEP_1) | instskip(NEXT) | instid1(VALU_DEP_1)
	v_dot4_i32_iu8 v89, v6, v100, v89 neg_lo:[1,1,0]
	v_dot4_i32_iu8 v89, v7, v101, v89 neg_lo:[1,1,0]
	s_delay_alu instid0(VALU_DEP_1) | instskip(NEXT) | instid1(VALU_DEP_1)
	v_dot4_i32_iu8 v89, v0, v102, v89 neg_lo:[1,1,0]
	v_dot4_i32_iu8 v89, v1, v169, v89 neg_lo:[1,1,0]
	s_delay_alu instid0(VALU_DEP_1) | instskip(NEXT) | instid1(VALU_DEP_1)
	v_mad_i32_i24 v89, v176, v167, v89
	v_dot4_i32_iu8 v89, v2, v173, v89 neg_lo:[1,1,0]
	s_delay_alu instid0(VALU_DEP_1) | instskip(NEXT) | instid1(VALU_DEP_1)
	v_dot4_i32_iu8 v89, v3, v97, v89 neg_lo:[1,1,0]
	v_cvt_f32_i32_e32 v89, v89
	s_delay_alu instid0(VALU_DEP_1) | instskip(SKIP_3) | instid1(VALU_DEP_4)
	v_mul_f32_e32 v97, v90, v89
	v_dot4_i32_iu8 v89, v4, v108, 0 neg_lo:[1,1,0]
	v_dot4_i32_iu8 v4, v4, v114, 0 neg_lo:[1,1,0]
	v_pk_add_f32 v[14:15], v[14:15], v[116:117]
	v_pk_add_f32 v[22:23], v[22:23], v[96:97]
	s_delay_alu instid0(VALU_DEP_4) | instskip(NEXT) | instid1(VALU_DEP_4)
	v_dot4_i32_iu8 v89, v5, v109, v89 neg_lo:[1,1,0]
	v_dot4_i32_iu8 v4, v5, v115, v4 neg_lo:[1,1,0]
	s_delay_alu instid0(VALU_DEP_2) | instskip(NEXT) | instid1(VALU_DEP_2)
	v_dot4_i32_iu8 v89, v6, v110, v89 neg_lo:[1,1,0]
	v_dot4_i32_iu8 v4, v6, v104, v4 neg_lo:[1,1,0]
	s_delay_alu instid0(VALU_DEP_2) | instskip(NEXT) | instid1(VALU_DEP_2)
	v_dot4_i32_iu8 v89, v7, v111, v89 neg_lo:[1,1,0]
	v_dot4_i32_iu8 v4, v7, v105, v4 neg_lo:[1,1,0]
	s_delay_alu instid0(VALU_DEP_2) | instskip(NEXT) | instid1(VALU_DEP_2)
	v_dot4_i32_iu8 v89, v0, v112, v89 neg_lo:[1,1,0]
	v_dot4_i32_iu8 v0, v0, v86, v4 neg_lo:[1,1,0]
	s_delay_alu instid0(VALU_DEP_2) | instskip(NEXT) | instid1(VALU_DEP_2)
	v_dot4_i32_iu8 v89, v1, v171, v89 neg_lo:[1,1,0]
	v_dot4_i32_iu8 v0, v1, v87, v0 neg_lo:[1,1,0]
	v_mul_f32_e32 v1, v103, v175
	s_delay_alu instid0(VALU_DEP_3) | instskip(NEXT) | instid1(VALU_DEP_3)
	v_mad_i32_i24 v89, v176, v170, v89
	v_mad_i32_i24 v0, v176, v113, v0
	s_delay_alu instid0(VALU_DEP_2) | instskip(NEXT) | instid1(VALU_DEP_2)
	v_dot4_i32_iu8 v89, v2, v172, v89 neg_lo:[1,1,0]
	v_dot4_i32_iu8 v0, v2, v106, v0 neg_lo:[1,1,0]
	s_delay_alu instid0(VALU_DEP_2) | instskip(NEXT) | instid1(VALU_DEP_2)
	v_dot4_i32_iu8 v89, v3, v107, v89 neg_lo:[1,1,0]
	v_dot4_i32_iu8 v0, v3, v85, v0 neg_lo:[1,1,0]
	s_delay_alu instid0(VALU_DEP_2) | instskip(NEXT) | instid1(VALU_DEP_2)
	v_cvt_f32_i32_e32 v89, v89
	v_cvt_f32_i32_e32 v0, v0
	s_delay_alu instid0(VALU_DEP_1) | instskip(NEXT) | instid1(VALU_DEP_1)
	v_dual_mul_f32 v90, v168, v175 :: v_dual_mul_f32 v85, v1, v0
	v_mul_f32_e32 v89, v90, v89
	s_delay_alu instid0(VALU_DEP_2) | instskip(NEXT) | instid1(VALU_DEP_2)
	v_pk_add_f32 v[40:41], v[40:41], v[84:85]
	v_pk_add_f32 v[30:31], v[30:31], v[88:89]
	s_cbranch_scc1 .LBB146_6
; %bb.7:                                ;   in Loop: Header=BB146_5 Depth=1
	s_add_co_i32 s4, s4, 4
	s_delay_alu instid0(SALU_CYCLE_1)
	s_cmp_ge_i32 s4, s7
	s_barrier_signal -1
	s_barrier_wait -1
	s_cbranch_scc0 .LBB146_5
; %bb.8:
	v_cvt_f16_f32_e32 v48, v70
	v_cvt_f16_f32_e32 v47, v76
	v_cvt_f16_f32_e32 v46, v80
	v_cvt_f16_f32_e32 v42, v82
	v_cvt_f16_f32_e32 v43, v71
	v_cvt_f16_f32_e32 v39, v77
	v_cvt_f16_f32_e32 v38, v81
	v_cvt_f16_f32_e32 v36, v83
	v_cvt_f16_f32_e32 v37, v56
	v_cvt_f16_f32_e32 v33, v66
	v_cvt_f16_f32_e32 v32, v72
	v_cvt_f16_f32_e32 v28, v74
	v_cvt_f16_f32_e32 v29, v57
	v_cvt_f16_f32_e32 v27, v67
	v_cvt_f16_f32_e32 v26, v73
	v_cvt_f16_f32_e32 v24, v75
	v_cvt_f16_f32_e32 v25, v34
	v_cvt_f16_f32_e32 v21, v44
	v_cvt_f16_f32_e32 v20, v52
	v_cvt_f16_f32_e32 v18, v62
	v_cvt_f16_f32_e32 v19, v35
	v_cvt_f16_f32_e32 v16, v45
	v_cvt_f16_f32_e32 v12, v53
	v_cvt_f16_f32_e32 v9, v63
	v_cvt_f16_f32_e32 v10, v14
	v_cvt_f16_f32_e32 v8, v22
	v_cvt_f16_f32_e32 v7, v30
	v_cvt_f16_f32_e32 v4, v40
	v_cvt_f16_f32_e32 v5, v15
	v_cvt_f16_f32_e32 v3, v23
	v_cvt_f16_f32_e32 v2, v31
	v_cvt_f16_f32_e32 v1, v41
	v_dual_mov_b32 v6, v11 :: v_dual_mov_b32 v14, v13
.LBB146_9:
	s_wait_xcnt 0x0
	s_mov_b32 s0, exec_lo
	v_cmpx_gt_u32_e64 s6, v17
	s_cbranch_execz .LBB146_60
; %bb.10:
	v_mul_lo_u32 v15, v17, s12
	v_add_nc_u32_e32 v0, s14, v14
	s_delay_alu instid0(VALU_DEP_1)
	v_cmp_gt_u32_e32 vcc_lo, s12, v0
	s_and_saveexec_b32 s0, vcc_lo
	s_cbranch_execz .LBB146_12
; %bb.11:
	s_delay_alu instid0(VALU_DEP_3)
	v_add_nc_u32_e32 v11, v0, v15
	s_wait_kmcnt 0x0
	global_store_b16 v11, v48, s[8:9] scale_offset
.LBB146_12:
	s_wait_xcnt 0x0
	s_or_b32 exec_lo, exec_lo, s0
	v_add_nc_u32_e32 v11, 32, v0
	s_delay_alu instid0(VALU_DEP_1)
	v_cmp_gt_u32_e64 s0, s12, v11
	s_and_saveexec_b32 s1, s0
	s_cbranch_execz .LBB146_14
; %bb.13:
	v_add_nc_u32_e32 v13, v11, v15
	s_wait_kmcnt 0x0
	global_store_b16 v13, v47, s[8:9] scale_offset
.LBB146_14:
	s_wait_xcnt 0x0
	s_or_b32 exec_lo, exec_lo, s1
	v_add_nc_u32_e32 v13, 64, v0
	s_delay_alu instid0(VALU_DEP_1)
	v_cmp_gt_u32_e64 s1, s12, v13
	s_and_saveexec_b32 s2, s1
	s_cbranch_execz .LBB146_16
; %bb.15:
	v_add_nc_u32_e32 v14, v13, v15
	s_wait_kmcnt 0x0
	global_store_b16 v14, v46, s[8:9] scale_offset
.LBB146_16:
	;; [unrolled: 12-line block ×3, first 2 shown]
	s_wait_xcnt 0x0
	s_or_b32 exec_lo, exec_lo, s3
	v_add3_u32 v15, v6, s13, 8
	s_delay_alu instid0(VALU_DEP_1)
	v_cmp_gt_u32_e64 s3, s6, v15
	s_and_b32 exec_lo, exec_lo, s3
	s_cbranch_execz .LBB146_60
; %bb.19:
	v_mul_lo_u32 v15, v15, s12
	s_and_saveexec_b32 s3, vcc_lo
	s_cbranch_execnz .LBB146_61
; %bb.20:
	s_or_b32 exec_lo, exec_lo, s3
	s_and_saveexec_b32 s3, s0
	s_cbranch_execnz .LBB146_62
.LBB146_21:
	s_or_b32 exec_lo, exec_lo, s3
	s_and_saveexec_b32 s3, s1
	s_cbranch_execnz .LBB146_63
.LBB146_22:
	s_or_b32 exec_lo, exec_lo, s3
	s_and_saveexec_b32 s3, s2
	s_cbranch_execz .LBB146_24
.LBB146_23:
	v_add_nc_u32_e32 v15, v15, v14
	s_wait_kmcnt 0x0
	global_store_b16 v15, v36, s[8:9] scale_offset
.LBB146_24:
	s_wait_xcnt 0x0
	s_or_b32 exec_lo, exec_lo, s3
	v_add3_u32 v15, v6, s13, 16
	s_delay_alu instid0(VALU_DEP_1)
	v_cmp_gt_u32_e64 s3, s6, v15
	s_and_b32 exec_lo, exec_lo, s3
	s_cbranch_execz .LBB146_60
; %bb.25:
	v_mul_lo_u32 v15, v15, s12
	s_and_saveexec_b32 s3, vcc_lo
	s_cbranch_execnz .LBB146_64
; %bb.26:
	s_or_b32 exec_lo, exec_lo, s3
	s_and_saveexec_b32 s3, s0
	s_cbranch_execnz .LBB146_65
.LBB146_27:
	s_or_b32 exec_lo, exec_lo, s3
	s_and_saveexec_b32 s3, s1
	s_cbranch_execnz .LBB146_66
.LBB146_28:
	s_or_b32 exec_lo, exec_lo, s3
	s_and_saveexec_b32 s3, s2
	s_cbranch_execz .LBB146_30
.LBB146_29:
	v_add_nc_u32_e32 v15, v15, v14
	s_wait_kmcnt 0x0
	global_store_b16 v15, v28, s[8:9] scale_offset
.LBB146_30:
	s_wait_xcnt 0x0
	s_or_b32 exec_lo, exec_lo, s3
	v_add3_u32 v15, v6, s13, 24
	s_delay_alu instid0(VALU_DEP_1)
	v_cmp_gt_u32_e64 s3, s6, v15
	s_and_b32 exec_lo, exec_lo, s3
	s_cbranch_execz .LBB146_60
; %bb.31:
	v_mul_lo_u32 v15, v15, s12
	s_and_saveexec_b32 s3, vcc_lo
	s_cbranch_execnz .LBB146_67
; %bb.32:
	s_or_b32 exec_lo, exec_lo, s3
	s_and_saveexec_b32 s3, s0
	s_cbranch_execnz .LBB146_68
.LBB146_33:
	s_or_b32 exec_lo, exec_lo, s3
	s_and_saveexec_b32 s3, s1
	s_cbranch_execnz .LBB146_69
.LBB146_34:
	s_or_b32 exec_lo, exec_lo, s3
	s_and_saveexec_b32 s3, s2
	s_cbranch_execz .LBB146_36
.LBB146_35:
	v_add_nc_u32_e32 v15, v15, v14
	s_wait_kmcnt 0x0
	global_store_b16 v15, v24, s[8:9] scale_offset
.LBB146_36:
	s_wait_xcnt 0x0
	s_or_b32 exec_lo, exec_lo, s3
	v_add3_u32 v15, v6, s13, 32
	s_delay_alu instid0(VALU_DEP_1)
	v_cmp_gt_u32_e64 s3, s6, v15
	s_and_b32 exec_lo, exec_lo, s3
	s_cbranch_execz .LBB146_60
; %bb.37:
	v_mul_lo_u32 v15, v15, s12
	s_and_saveexec_b32 s3, vcc_lo
	s_cbranch_execnz .LBB146_70
; %bb.38:
	s_or_b32 exec_lo, exec_lo, s3
	s_and_saveexec_b32 s3, s0
	s_cbranch_execnz .LBB146_71
.LBB146_39:
	s_or_b32 exec_lo, exec_lo, s3
	s_and_saveexec_b32 s3, s1
	s_cbranch_execnz .LBB146_72
.LBB146_40:
	s_or_b32 exec_lo, exec_lo, s3
	s_and_saveexec_b32 s3, s2
	s_cbranch_execz .LBB146_42
.LBB146_41:
	v_add_nc_u32_e32 v15, v15, v14
	s_wait_kmcnt 0x0
	global_store_b16 v15, v18, s[8:9] scale_offset
.LBB146_42:
	s_wait_xcnt 0x0
	s_or_b32 exec_lo, exec_lo, s3
	v_add3_u32 v15, v6, s13, 40
	s_delay_alu instid0(VALU_DEP_1)
	v_cmp_gt_u32_e64 s3, s6, v15
	s_and_b32 exec_lo, exec_lo, s3
	s_cbranch_execz .LBB146_60
; %bb.43:
	v_mul_lo_u32 v15, v15, s12
	s_and_saveexec_b32 s3, vcc_lo
	s_cbranch_execnz .LBB146_73
; %bb.44:
	s_or_b32 exec_lo, exec_lo, s3
	s_and_saveexec_b32 s3, s0
	s_cbranch_execnz .LBB146_74
.LBB146_45:
	s_or_b32 exec_lo, exec_lo, s3
	s_and_saveexec_b32 s3, s1
	s_cbranch_execnz .LBB146_75
.LBB146_46:
	s_or_b32 exec_lo, exec_lo, s3
	s_and_saveexec_b32 s3, s2
	s_cbranch_execz .LBB146_48
.LBB146_47:
	v_add_nc_u32_e32 v12, v15, v14
	s_wait_kmcnt 0x0
	global_store_b16 v12, v9, s[8:9] scale_offset
.LBB146_48:
	s_wait_xcnt 0x0
	s_or_b32 exec_lo, exec_lo, s3
	v_add3_u32 v9, v6, s13, 48
	s_delay_alu instid0(VALU_DEP_1)
	v_cmp_gt_u32_e64 s3, s6, v9
	s_and_b32 exec_lo, exec_lo, s3
	s_cbranch_execz .LBB146_60
; %bb.49:
	v_mul_lo_u32 v9, v9, s12
	s_and_saveexec_b32 s3, vcc_lo
	s_cbranch_execnz .LBB146_76
; %bb.50:
	s_or_b32 exec_lo, exec_lo, s3
	s_and_saveexec_b32 s3, s0
	s_cbranch_execnz .LBB146_77
.LBB146_51:
	s_or_b32 exec_lo, exec_lo, s3
	s_and_saveexec_b32 s3, s1
	s_cbranch_execnz .LBB146_78
.LBB146_52:
	s_or_b32 exec_lo, exec_lo, s3
	s_and_saveexec_b32 s3, s2
	s_cbranch_execz .LBB146_54
.LBB146_53:
	v_add_nc_u32_e32 v7, v9, v14
	s_wait_kmcnt 0x0
	global_store_b16 v7, v4, s[8:9] scale_offset
.LBB146_54:
	s_wait_xcnt 0x0
	s_or_b32 exec_lo, exec_lo, s3
	v_add3_u32 v4, v6, s13, 56
	s_delay_alu instid0(VALU_DEP_1)
	v_cmp_gt_u32_e64 s3, s6, v4
	s_and_b32 exec_lo, exec_lo, s3
	s_cbranch_execz .LBB146_60
; %bb.55:
	v_mul_lo_u32 v4, v4, s12
	s_and_saveexec_b32 s3, vcc_lo
	s_cbranch_execnz .LBB146_79
; %bb.56:
	s_or_b32 exec_lo, exec_lo, s3
	s_and_saveexec_b32 s3, s0
	s_cbranch_execnz .LBB146_80
.LBB146_57:
	s_or_b32 exec_lo, exec_lo, s3
	s_and_saveexec_b32 s0, s1
	s_cbranch_execnz .LBB146_81
.LBB146_58:
	s_or_b32 exec_lo, exec_lo, s0
	s_delay_alu instid0(SALU_CYCLE_1)
	s_and_b32 exec_lo, exec_lo, s2
	s_cbranch_execz .LBB146_60
.LBB146_59:
	v_add_nc_u32_e32 v0, v4, v14
	s_wait_kmcnt 0x0
	global_store_b16 v0, v1, s[8:9] scale_offset
.LBB146_60:
	s_sendmsg sendmsg(MSG_DEALLOC_VGPRS)
	s_endpgm
.LBB146_61:
	s_delay_alu instid0(VALU_DEP_1)
	v_add_nc_u32_e32 v17, v15, v0
	s_wait_kmcnt 0x0
	global_store_b16 v17, v43, s[8:9] scale_offset
	s_wait_xcnt 0x0
	s_or_b32 exec_lo, exec_lo, s3
	s_and_saveexec_b32 s3, s0
	s_cbranch_execz .LBB146_21
.LBB146_62:
	s_delay_alu instid0(VALU_DEP_1)
	v_add_nc_u32_e32 v17, v15, v11
	s_wait_kmcnt 0x0
	global_store_b16 v17, v39, s[8:9] scale_offset
	s_wait_xcnt 0x0
	s_or_b32 exec_lo, exec_lo, s3
	s_and_saveexec_b32 s3, s1
	s_cbranch_execz .LBB146_22
.LBB146_63:
	s_delay_alu instid0(VALU_DEP_1)
	v_add_nc_u32_e32 v17, v15, v13
	s_wait_kmcnt 0x0
	global_store_b16 v17, v38, s[8:9] scale_offset
	s_wait_xcnt 0x0
	s_or_b32 exec_lo, exec_lo, s3
	s_and_saveexec_b32 s3, s2
	s_cbranch_execnz .LBB146_23
	s_branch .LBB146_24
.LBB146_64:
	s_delay_alu instid0(VALU_DEP_1)
	v_add_nc_u32_e32 v17, v15, v0
	s_wait_kmcnt 0x0
	global_store_b16 v17, v37, s[8:9] scale_offset
	s_wait_xcnt 0x0
	s_or_b32 exec_lo, exec_lo, s3
	s_and_saveexec_b32 s3, s0
	s_cbranch_execz .LBB146_27
.LBB146_65:
	s_delay_alu instid0(VALU_DEP_1)
	v_add_nc_u32_e32 v17, v15, v11
	s_wait_kmcnt 0x0
	global_store_b16 v17, v33, s[8:9] scale_offset
	s_wait_xcnt 0x0
	s_or_b32 exec_lo, exec_lo, s3
	s_and_saveexec_b32 s3, s1
	s_cbranch_execz .LBB146_28
.LBB146_66:
	s_delay_alu instid0(VALU_DEP_1)
	v_add_nc_u32_e32 v17, v15, v13
	s_wait_kmcnt 0x0
	global_store_b16 v17, v32, s[8:9] scale_offset
	s_wait_xcnt 0x0
	s_or_b32 exec_lo, exec_lo, s3
	s_and_saveexec_b32 s3, s2
	s_cbranch_execnz .LBB146_29
	s_branch .LBB146_30
.LBB146_67:
	s_delay_alu instid0(VALU_DEP_1)
	v_add_nc_u32_e32 v17, v15, v0
	s_wait_kmcnt 0x0
	global_store_b16 v17, v29, s[8:9] scale_offset
	s_wait_xcnt 0x0
	s_or_b32 exec_lo, exec_lo, s3
	s_and_saveexec_b32 s3, s0
	s_cbranch_execz .LBB146_33
.LBB146_68:
	s_delay_alu instid0(VALU_DEP_1)
	v_add_nc_u32_e32 v17, v15, v11
	s_wait_kmcnt 0x0
	global_store_b16 v17, v27, s[8:9] scale_offset
	s_wait_xcnt 0x0
	s_or_b32 exec_lo, exec_lo, s3
	s_and_saveexec_b32 s3, s1
	s_cbranch_execz .LBB146_34
.LBB146_69:
	s_delay_alu instid0(VALU_DEP_1)
	v_add_nc_u32_e32 v17, v15, v13
	s_wait_kmcnt 0x0
	global_store_b16 v17, v26, s[8:9] scale_offset
	s_wait_xcnt 0x0
	s_or_b32 exec_lo, exec_lo, s3
	s_and_saveexec_b32 s3, s2
	s_cbranch_execnz .LBB146_35
	s_branch .LBB146_36
.LBB146_70:
	s_delay_alu instid0(VALU_DEP_1)
	v_add_nc_u32_e32 v17, v15, v0
	s_wait_kmcnt 0x0
	global_store_b16 v17, v25, s[8:9] scale_offset
	s_wait_xcnt 0x0
	s_or_b32 exec_lo, exec_lo, s3
	s_and_saveexec_b32 s3, s0
	s_cbranch_execz .LBB146_39
.LBB146_71:
	s_delay_alu instid0(VALU_DEP_1)
	v_add_nc_u32_e32 v17, v15, v11
	s_wait_kmcnt 0x0
	global_store_b16 v17, v21, s[8:9] scale_offset
	s_wait_xcnt 0x0
	s_or_b32 exec_lo, exec_lo, s3
	s_and_saveexec_b32 s3, s1
	s_cbranch_execz .LBB146_40
.LBB146_72:
	s_delay_alu instid0(VALU_DEP_1)
	v_add_nc_u32_e32 v17, v15, v13
	s_wait_kmcnt 0x0
	global_store_b16 v17, v20, s[8:9] scale_offset
	s_wait_xcnt 0x0
	s_or_b32 exec_lo, exec_lo, s3
	s_and_saveexec_b32 s3, s2
	s_cbranch_execnz .LBB146_41
	s_branch .LBB146_42
.LBB146_73:
	s_delay_alu instid0(VALU_DEP_1)
	v_add_nc_u32_e32 v17, v15, v0
	s_wait_kmcnt 0x0
	global_store_b16 v17, v19, s[8:9] scale_offset
	s_wait_xcnt 0x0
	s_or_b32 exec_lo, exec_lo, s3
	s_and_saveexec_b32 s3, s0
	s_cbranch_execz .LBB146_45
.LBB146_74:
	s_delay_alu instid0(VALU_DEP_1)
	v_add_nc_u32_e32 v17, v15, v11
	s_wait_kmcnt 0x0
	global_store_b16 v17, v16, s[8:9] scale_offset
	s_wait_xcnt 0x0
	s_or_b32 exec_lo, exec_lo, s3
	s_and_saveexec_b32 s3, s1
	s_cbranch_execz .LBB146_46
.LBB146_75:
	s_delay_alu instid0(VALU_DEP_1)
	v_add_nc_u32_e32 v16, v15, v13
	s_wait_kmcnt 0x0
	global_store_b16 v16, v12, s[8:9] scale_offset
	s_wait_xcnt 0x0
	s_or_b32 exec_lo, exec_lo, s3
	s_and_saveexec_b32 s3, s2
	s_cbranch_execnz .LBB146_47
	s_branch .LBB146_48
.LBB146_76:
	s_delay_alu instid0(VALU_DEP_1)
	v_add_nc_u32_e32 v12, v9, v0
	s_wait_kmcnt 0x0
	global_store_b16 v12, v10, s[8:9] scale_offset
	s_wait_xcnt 0x0
	s_or_b32 exec_lo, exec_lo, s3
	s_and_saveexec_b32 s3, s0
	s_cbranch_execz .LBB146_51
.LBB146_77:
	s_delay_alu instid0(VALU_DEP_1)
	v_add_nc_u32_e32 v10, v9, v11
	s_wait_kmcnt 0x0
	global_store_b16 v10, v8, s[8:9] scale_offset
	s_wait_xcnt 0x0
	s_or_b32 exec_lo, exec_lo, s3
	s_and_saveexec_b32 s3, s1
	s_cbranch_execz .LBB146_52
.LBB146_78:
	s_delay_alu instid0(VALU_DEP_1)
	v_add_nc_u32_e32 v8, v9, v13
	s_wait_kmcnt 0x0
	global_store_b16 v8, v7, s[8:9] scale_offset
	s_wait_xcnt 0x0
	s_or_b32 exec_lo, exec_lo, s3
	s_and_saveexec_b32 s3, s2
	s_cbranch_execnz .LBB146_53
	s_branch .LBB146_54
.LBB146_79:
	s_delay_alu instid0(VALU_DEP_1)
	v_add_nc_u32_e32 v0, v4, v0
	s_wait_kmcnt 0x0
	global_store_b16 v0, v5, s[8:9] scale_offset
	s_wait_xcnt 0x0
	s_or_b32 exec_lo, exec_lo, s3
	s_and_saveexec_b32 s3, s0
	s_cbranch_execz .LBB146_57
.LBB146_80:
	s_delay_alu instid0(VALU_DEP_1)
	v_add_nc_u32_e32 v0, v4, v11
	s_wait_kmcnt 0x0
	global_store_b16 v0, v3, s[8:9] scale_offset
	s_wait_xcnt 0x0
	s_or_b32 exec_lo, exec_lo, s3
	s_and_saveexec_b32 s0, s1
	s_cbranch_execz .LBB146_58
.LBB146_81:
	s_delay_alu instid0(VALU_DEP_1) | instskip(SKIP_4) | instid1(SALU_CYCLE_1)
	v_add_nc_u32_e32 v0, v4, v13
	s_wait_kmcnt 0x0
	global_store_b16 v0, v2, s[8:9] scale_offset
	s_wait_xcnt 0x0
	s_or_b32 exec_lo, exec_lo, s0
	s_and_b32 exec_lo, exec_lo, s2
	s_cbranch_execnz .LBB146_59
	s_branch .LBB146_60
	.section	.rodata,"a",@progbits
	.p2align	6, 0x0
	.amdhsa_kernel _ZL12mul_mat_q8_0IN3c104HalfELb1EEvPKvS3_PT_iiiii
		.amdhsa_group_segment_fixed_size 28224
		.amdhsa_private_segment_fixed_size 0
		.amdhsa_kernarg_size 44
		.amdhsa_user_sgpr_count 2
		.amdhsa_user_sgpr_dispatch_ptr 0
		.amdhsa_user_sgpr_queue_ptr 0
		.amdhsa_user_sgpr_kernarg_segment_ptr 1
		.amdhsa_user_sgpr_dispatch_id 0
		.amdhsa_user_sgpr_kernarg_preload_length 0
		.amdhsa_user_sgpr_kernarg_preload_offset 0
		.amdhsa_user_sgpr_private_segment_size 0
		.amdhsa_wavefront_size32 1
		.amdhsa_uses_dynamic_stack 0
		.amdhsa_enable_private_segment 0
		.amdhsa_system_sgpr_workgroup_id_x 1
		.amdhsa_system_sgpr_workgroup_id_y 1
		.amdhsa_system_sgpr_workgroup_id_z 0
		.amdhsa_system_sgpr_workgroup_info 0
		.amdhsa_system_vgpr_workitem_id 1
		.amdhsa_next_free_vgpr 184
		.amdhsa_next_free_sgpr 18
		.amdhsa_named_barrier_count 0
		.amdhsa_reserve_vcc 1
		.amdhsa_float_round_mode_32 0
		.amdhsa_float_round_mode_16_64 0
		.amdhsa_float_denorm_mode_32 3
		.amdhsa_float_denorm_mode_16_64 3
		.amdhsa_fp16_overflow 0
		.amdhsa_memory_ordered 1
		.amdhsa_forward_progress 1
		.amdhsa_inst_pref_size 77
		.amdhsa_round_robin_scheduling 0
		.amdhsa_exception_fp_ieee_invalid_op 0
		.amdhsa_exception_fp_denorm_src 0
		.amdhsa_exception_fp_ieee_div_zero 0
		.amdhsa_exception_fp_ieee_overflow 0
		.amdhsa_exception_fp_ieee_underflow 0
		.amdhsa_exception_fp_ieee_inexact 0
		.amdhsa_exception_int_div_zero 0
	.end_amdhsa_kernel
	.section	.text._ZL12mul_mat_q8_0IN3c104HalfELb1EEvPKvS3_PT_iiiii,"axG",@progbits,_ZL12mul_mat_q8_0IN3c104HalfELb1EEvPKvS3_PT_iiiii,comdat
.Lfunc_end146:
	.size	_ZL12mul_mat_q8_0IN3c104HalfELb1EEvPKvS3_PT_iiiii, .Lfunc_end146-_ZL12mul_mat_q8_0IN3c104HalfELb1EEvPKvS3_PT_iiiii
                                        ; -- End function
	.set _ZL12mul_mat_q8_0IN3c104HalfELb1EEvPKvS3_PT_iiiii.num_vgpr, 184
	.set _ZL12mul_mat_q8_0IN3c104HalfELb1EEvPKvS3_PT_iiiii.num_agpr, 0
	.set _ZL12mul_mat_q8_0IN3c104HalfELb1EEvPKvS3_PT_iiiii.numbered_sgpr, 18
	.set _ZL12mul_mat_q8_0IN3c104HalfELb1EEvPKvS3_PT_iiiii.num_named_barrier, 0
	.set _ZL12mul_mat_q8_0IN3c104HalfELb1EEvPKvS3_PT_iiiii.private_seg_size, 0
	.set _ZL12mul_mat_q8_0IN3c104HalfELb1EEvPKvS3_PT_iiiii.uses_vcc, 1
	.set _ZL12mul_mat_q8_0IN3c104HalfELb1EEvPKvS3_PT_iiiii.uses_flat_scratch, 0
	.set _ZL12mul_mat_q8_0IN3c104HalfELb1EEvPKvS3_PT_iiiii.has_dyn_sized_stack, 0
	.set _ZL12mul_mat_q8_0IN3c104HalfELb1EEvPKvS3_PT_iiiii.has_recursion, 0
	.set _ZL12mul_mat_q8_0IN3c104HalfELb1EEvPKvS3_PT_iiiii.has_indirect_call, 0
	.section	.AMDGPU.csdata,"",@progbits
; Kernel info:
; codeLenInByte = 9812
; TotalNumSgprs: 20
; NumVgprs: 184
; ScratchSize: 0
; MemoryBound: 0
; FloatMode: 240
; IeeeMode: 1
; LDSByteSize: 28224 bytes/workgroup (compile time only)
; SGPRBlocks: 0
; VGPRBlocks: 11
; NumSGPRsForWavesPerEU: 20
; NumVGPRsForWavesPerEU: 184
; NamedBarCnt: 0
; Occupancy: 5
; WaveLimiterHint : 0
; COMPUTE_PGM_RSRC2:SCRATCH_EN: 0
; COMPUTE_PGM_RSRC2:USER_SGPR: 2
; COMPUTE_PGM_RSRC2:TRAP_HANDLER: 0
; COMPUTE_PGM_RSRC2:TGID_X_EN: 1
; COMPUTE_PGM_RSRC2:TGID_Y_EN: 1
; COMPUTE_PGM_RSRC2:TGID_Z_EN: 0
; COMPUTE_PGM_RSRC2:TIDIG_COMP_CNT: 1
	.section	.text._ZL12mul_mat_q2_KIN3c104HalfELb0EEvPKvS3_PT_iiiii,"axG",@progbits,_ZL12mul_mat_q2_KIN3c104HalfELb0EEvPKvS3_PT_iiiii,comdat
	.globl	_ZL12mul_mat_q2_KIN3c104HalfELb0EEvPKvS3_PT_iiiii ; -- Begin function _ZL12mul_mat_q2_KIN3c104HalfELb0EEvPKvS3_PT_iiiii
	.p2align	8
	.type	_ZL12mul_mat_q2_KIN3c104HalfELb0EEvPKvS3_PT_iiiii,@function
_ZL12mul_mat_q2_KIN3c104HalfELb0EEvPKvS3_PT_iiiii: ; @_ZL12mul_mat_q2_KIN3c104HalfELb0EEvPKvS3_PT_iiiii
; %bb.0:
	s_clause 0x1
	s_load_b32 s10, s[0:1], 0x18
	s_load_b96 s[4:6], s[0:1], 0x20
	s_bfe_u32 s2, ttmp6, 0x4000c
	s_bfe_u32 s7, ttmp6, 0x40010
	s_add_co_i32 s2, s2, 1
	s_and_b32 s3, ttmp6, 15
	s_mul_i32 s2, ttmp9, s2
	s_add_co_i32 s7, s7, 1
	s_add_co_i32 s3, s3, s2
	s_mul_i32 s2, ttmp7, s7
	s_bfe_u32 s7, ttmp6, 0x40004
	s_getreg_b32 s8, hwreg(HW_REG_IB_STS2, 6, 4)
	s_add_co_i32 s7, s7, s2
	s_cmp_eq_u32 s8, 0
	v_bfe_u32 v5, v0, 10, 10
	s_cselect_b32 s7, ttmp7, s7
	v_and_b32_e32 v9, 0x3ff, v0
	s_cselect_b32 s2, ttmp9, s3
	s_lshl_b32 s7, s7, 6
	s_mov_b32 s3, 0
	s_wait_kmcnt 0x0
	s_cmp_gt_i32 s10, 0xff
	s_cbranch_scc1 .LBB147_2
; %bb.1:
	v_bfe_u32 v4, v0, 10, 10
	v_and_b32_e32 v15, 0x3ff, v0
	s_delay_alu instid0(VALU_DEP_2)
	v_add_nc_u32_e32 v13, s7, v4
	s_branch .LBB147_3
.LBB147_2:
	s_mov_b32 s3, -1
                                        ; implicit-def: $vgpr4
                                        ; implicit-def: $vgpr15
                                        ; implicit-def: $vgpr13
.LBB147_3:
	s_load_b64 s[8:9], s[0:1], 0x10
	s_lshl_b32 s14, s2, 7
	s_and_not1_b32 vcc_lo, exec_lo, s3
	s_mov_b32 s11, 0
	s_cbranch_vccnz .LBB147_14
; %bb.4:
	v_dual_add_nc_u32 v13, s7, v5 :: v_dual_mov_b32 v7, 0
	s_add_co_i32 s16, s4, -1
	v_bfe_u32 v8, v0, 1, 9
	v_cvt_f64_i32_e32 v[2:3], s16
	s_delay_alu instid0(VALU_DEP_3) | instskip(SKIP_4) | instid1(VALU_DEP_4)
	v_cvt_f64_u32_e32 v[10:11], v13
	v_dual_add_nc_u32 v1, 8, v13 :: v_dual_add_nc_u32 v4, 16, v13
	v_add_nc_u32_e32 v6, 24, v13
	v_add_nc_u32_e32 v36, 24, v5
	v_bfe_u32 v12, v0, 3, 7
	v_cvt_f64_u32_e32 v[18:19], v1
	v_add_nc_u32_e32 v1, 32, v13
	v_cvt_f64_u32_e32 v[20:21], v4
	v_add_nc_u32_e32 v4, 40, v13
	;; [unrolled: 2-line block ×4, first 2 shown]
	v_cvt_f64_u32_e32 v[26:27], v4
	v_lshl_add_u32 v39, v5, 2, v12
	v_cvt_f64_u32_e32 v[28:29], v6
	s_ashr_i32 s12, s10, 31
	v_dual_add_nc_u32 v14, 8, v5 :: v_dual_add_nc_u32 v16, 16, v5
	s_lshr_b32 s12, s12, 24
	v_and_b32_e32 v12, 0x7fc, v39
	s_add_co_i32 s10, s10, s12
	v_bfe_u32 v4, v0, 4, 6
	s_ashr_i32 s15, s10, 8
	s_ashr_i32 s10, s5, 31
	v_dual_lshlrev_b32 v59, 5, v14 :: v_dual_lshlrev_b32 v69, 5, v16
	s_lshr_b32 s10, s10, 27
	v_add_nc_u32_e32 v56, 0x60, v9
	s_add_co_i32 s5, s5, s10
	s_wait_xcnt 0x0
	s_load_b128 s[0:3], s[0:1], 0x0
	v_min_num_f64_e32 v[32:33], v[10:11], v[2:3]
	v_cvt_f64_u32_e32 v[30:31], v1
	v_lshlrev_b32_e32 v1, 2, v9
	v_lshl_add_u32 v10, v5, 4, v8
	v_and_b32_e32 v8, 1, v0
	s_ashr_i32 s17, s5, 5
	s_delay_alu instid0(VALU_DEP_3) | instskip(SKIP_1) | instid1(VALU_DEP_3)
	v_dual_min_num_f64 v[34:35], v[18:19], v[2:3] :: v_dual_bitop2_b32 v6, 60, v1 bitop3:0x40
	v_dual_min_num_f64 v[20:21], v[20:21], v[2:3] :: v_dual_add_nc_u32 v18, 32, v5
	v_dual_min_num_f64 v[22:23], v[22:23], v[2:3] :: v_dual_lshlrev_b32 v11, 2, v8
	v_min_num_f64_e32 v[24:25], v[24:25], v[2:3]
	v_and_b32_e32 v37, 0x7f, v10
	v_dual_min_num_f64 v[26:27], v[26:27], v[2:3] :: v_dual_add_nc_u32 v38, 40, v5
	v_dual_min_num_f64 v[28:29], v[28:29], v[2:3] :: v_dual_bitop2_b32 v86, 7, v0 bitop3:0x40
	v_lshrrev_b32_e32 v10, 2, v10
	s_delay_alu instid0(VALU_DEP_4)
	v_lshl_or_b32 v11, v37, 3, v11
	s_lshl_b32 s5, s15, 3
	v_mad_u32_u24 v15, 0x84, v5, v1
	v_lshlrev_b32_e32 v41, 2, v86
	s_lshl_b32 s10, s15, 5
	v_cmp_lt_u32_e32 vcc_lo, 3, v86
	s_mul_i32 s12, s15, s14
	v_dual_lshlrev_b32 v73, 5, v36 :: v_dual_lshlrev_b32 v87, 5, v38
	v_mov_b64_e32 v[74:75], 0
	v_mov_b64_e32 v[78:79], 0
	;; [unrolled: 1-line block ×4, first 2 shown]
	v_cvt_i32_f64_e32 v32, v[32:33]
	v_dual_min_num_f64 v[2:3], v[30:31], v[2:3] :: v_dual_add_nc_u32 v40, 56, v5
	v_dual_add_nc_u32 v30, 48, v5 :: v_dual_bitop2_b32 v10, 28, v10 bitop3:0x40
	v_add_nc_u32_e32 v31, 32, v39
	v_cvt_i32_f64_e32 v33, v[34:35]
	v_bfe_u32 v34, v0, 2, 8
	v_cvt_i32_f64_e32 v20, v[20:21]
	v_add3_u32 v19, v11, v10, 0x7280
	v_cvt_i32_f64_e32 v22, v[22:23]
	v_and_b32_e32 v10, 12, v1
	v_cvt_i32_f64_e32 v24, v[24:25]
	v_lshl_add_u32 v23, v5, 3, v34
	v_add_nc_u32_e32 v25, 0x60, v39
	v_cvt_i32_f64_e32 v26, v[26:27]
	v_dual_mov_b32 v11, v7 :: v_dual_lshlrev_b32 v44, 5, v39
	v_and_b32_e32 v42, 0xffc, v31
	v_add3_u32 v12, v12, v41, 0x6200
	v_lshlrev_b32_e32 v46, 5, v31
	v_dual_add_nc_u32 v21, 64, v39 :: v_dual_lshlrev_b32 v50, 5, v25
	v_and_b32_e32 v23, 63, v23
	v_add3_u32 v42, v42, v41, 0x6200
	v_cvt_i32_f64_e32 v27, v[28:29]
	s_delay_alu instid0(VALU_DEP_4) | instskip(SKIP_3) | instid1(VALU_DEP_4)
	v_and_b32_e32 v28, 0xffc, v21
	v_and_b32_e32 v29, 0xffc, v25
	v_dual_lshlrev_b32 v48, 5, v21 :: v_dual_bitop2_b32 v21, s7, v23 bitop3:0x54
	v_dual_lshlrev_b32 v89, 5, v30 :: v_dual_lshlrev_b32 v128, 5, v40
	v_add3_u32 v28, v28, v41, 0x6200
	v_cvt_i32_f64_e32 v2, v[2:3]
	v_and_b32_e32 v3, 3, v0
	v_dual_add_nc_u32 v49, v12, v44 :: v_dual_add_nc_u32 v51, v42, v46
	v_and_b32_e32 v25, 31, v0
	v_mad_i32_i24 v12, s15, v5, s5
	s_delay_alu instid0(VALU_DEP_4)
	v_dual_lshlrev_b32 v31, 2, v3 :: v_dual_bitop2_b32 v0, 28, v1 bitop3:0x40
	v_dual_lshlrev_b32 v53, 7, v16 :: v_dual_mov_b32 v1, v7
	v_min_i32_e32 v21, s16, v21
	v_lshl_or_b32 v52, v25, 2, 0x4200
	v_mul_lo_u32 v25, s17, v32
	v_dual_lshlrev_b32 v32, 7, v14 :: v_dual_add_nc_u32 v14, s5, v12
	v_lshlrev_b32_e32 v77, 5, v18
	v_add3_u32 v41, v29, v41, 0x6200
	v_lshl_or_b32 v23, v23, 4, v31
	v_mad_u32 v21, v21, s17, v3
	v_dual_add_nc_u32 v16, s5, v14 :: v_dual_add_nc_u32 v129, v28, v48
	v_lshlrev_b32_e32 v3, 7, v5
	v_mul_lo_u32 v31, s17, v20
	v_mul_lo_u32 v35, s17, v24
	v_dual_lshlrev_b32 v24, 7, v18 :: v_dual_add_nc_u32 v20, 32, v9
	v_dual_add_nc_u32 v18, s5, v16 :: v_dual_add_nc_u32 v132, v41, v50
	v_mul_lo_u32 v29, s17, v33
	v_mul_lo_u32 v33, s17, v22
	v_lshlrev_b32_e32 v22, 7, v36
	v_dual_lshrrev_b32 v55, 2, v20 :: v_dual_lshrrev_b32 v57, 4, v20
	v_dual_lshlrev_b32 v130, 5, v20 :: v_dual_lshlrev_b32 v131, 3, v20
	v_dual_add_nc_u32 v135, v52, v3 :: v_dual_add_nc_u32 v20, s5, v18
	v_mul_lo_u32 v43, s17, v26
	v_lshlrev_b32_e32 v26, 7, v38
	v_mul_lo_u32 v47, s17, v2
	v_dual_add_nc_u32 v2, 64, v9 :: v_dual_add_nc_u32 v138, v52, v22
	v_add_nc_u32_e32 v139, v52, v24
	s_delay_alu instid0(VALU_DEP_4) | instskip(SKIP_3) | instid1(VALU_DEP_4)
	v_dual_add_nc_u32 v22, s5, v20 :: v_dual_add_nc_u32 v140, v52, v26
	v_lshlrev_b32_e32 v143, 5, v56
	v_mul_lo_u32 v45, s17, v27
	v_dual_lshlrev_b32 v27, 7, v30 :: v_dual_lshlrev_b32 v54, 7, v40
	v_dual_add_nc_u32 v24, s5, v22 :: v_dual_lshlrev_b32 v146, 2, v55
	v_dual_lshrrev_b32 v44, 2, v56 :: v_dual_lshrrev_b32 v42, 4, v56
	v_dual_add_nc_u32 v136, v52, v32 :: v_dual_add_nc_u32 v137, v52, v53
	s_delay_alu instid0(VALU_DEP_3) | instskip(SKIP_1) | instid1(VALU_DEP_2)
	v_dual_add_nc_u32 v28, s5, v24 :: v_dual_lshrrev_b32 v58, 2, v2
	v_dual_lshrrev_b32 v60, 4, v2 :: v_dual_lshlrev_b32 v144, 3, v56
	v_dual_lshlrev_b32 v145, 2, v34 :: v_dual_add_nc_u32 v30, s5, v28
	v_lshlrev_b32_e32 v150, 2, v44
	s_delay_alu instid0(VALU_DEP_3) | instskip(SKIP_1) | instid1(VALU_DEP_4)
	v_dual_lshlrev_b32 v149, 2, v60 :: v_dual_lshlrev_b32 v151, 2, v42
	v_mad_i32_i24 v50, s15, v39, s10
	v_dual_add_nc_u32 v32, s5, v30 :: v_dual_lshlrev_b32 v147, 2, v57
	v_dual_lshlrev_b32 v148, 2, v58 :: v_dual_add_nc_u32 v141, v52, v27
	s_delay_alu instid0(VALU_DEP_2) | instskip(NEXT) | instid1(VALU_DEP_4)
	v_dual_add_nc_u32 v142, v52, v54 :: v_dual_add_nc_u32 v34, s5, v32
	v_add_nc_u32_e32 v76, s10, v50
	s_wait_kmcnt 0x0
	v_add_nc_u64_e32 v[26:27], s[2:3], v[0:1]
	v_mul_i32_i24_e32 v44, s15, v37
	v_mul_i32_i24_e32 v48, s15, v39
	v_add_nc_u32_e32 v42, s5, v34
	v_mov_b64_e32 v[36:37], 0
	v_mov_b64_e32 v[38:39], 0
	;; [unrolled: 1-line block ×4, first 2 shown]
	v_dual_add_nc_u32 v46, s5, v42 :: v_dual_lshlrev_b32 v166, 5, v5
	v_mov_b64_e32 v[62:63], 0
	v_mov_b64_e32 v[54:55], 0
	;; [unrolled: 1-line block ×3, first 2 shown]
	s_delay_alu instid0(VALU_DEP_4)
	v_add_nc_u32_e32 v58, s5, v46
	v_mov_b64_e32 v[56:57], 0
	v_mov_b64_e32 v[66:67], 0
	;; [unrolled: 1-line block ×5, first 2 shown]
	s_ashr_i32 s13, s12, 31
	v_add_nc_u32_e32 v17, 0x420, v15
	v_add_nc_u32_e32 v23, 0x76a0, v23
	v_dual_lshlrev_b32 v133, 5, v2 :: v_dual_lshlrev_b32 v134, 3, v2
	v_add_nc_u32_e32 v152, 0x840, v15
	v_add_nc_u32_e32 v153, 0xc60, v15
	;; [unrolled: 1-line block ×14, first 2 shown]
	v_mul_u32_u24_e32 v167, 0x84, v9
	v_dual_lshlrev_b32 v168, 5, v9 :: v_dual_lshlrev_b32 v169, 3, v9
	v_dual_lshlrev_b32 v170, 2, v4 :: v_dual_add_nc_u32 v72, s5, v58
	v_mul_i32_i24_e32 v68, s15, v5
	v_cndmask_b32_e64 v86, 0, 1, vcc_lo
	v_add_nc_u32_e32 v88, s10, v76
	s_mul_u64 s[12:13], s[12:13], 0x54
	s_mov_b32 s10, s11
	s_add_nc_u64 s[0:1], s[0:1], s[12:13]
	s_branch .LBB147_6
.LBB147_5:                              ;   in Loop: Header=BB147_6 Depth=1
	s_add_co_i32 s10, s10, 2
	s_delay_alu instid0(SALU_CYCLE_1)
	s_cmp_ge_i32 s10, s15
	s_cbranch_scc1 .LBB147_16
.LBB147_6:                              ; =>This Loop Header: Depth=1
                                        ;     Child Loop BB147_8 Depth 2
                                        ;       Child Loop BB147_10 Depth 3
                                        ;       Child Loop BB147_12 Depth 3
	s_mul_u64 s[12:13], s[10:11], 0x54
	s_lshl_b32 s5, s10, 3
	s_add_nc_u64 s[12:13], s[0:1], s[12:13]
	v_add_nc_u32_e32 v171, s5, v21
	s_wait_xcnt 0x0
	v_mad_nc_u64_u32 v[0:1], 0x54, v4, s[12:13]
	s_delay_alu instid0(VALU_DEP_1) | instskip(NEXT) | instid1(VALU_DEP_1)
	v_mad_nc_u64_u32 v[2:3], 0x54, v68, v[0:1]
	v_add_nc_u64_e32 v[2:3], v[2:3], v[6:7]
	global_load_b32 v2, v[2:3], off offset:16
	s_wait_loadcnt 0x0
	ds_store_b32 v15, v2
	s_wait_xcnt 0x0
	v_mad_nc_u64_u32 v[2:3], 0x54, v12, v[0:1]
	s_delay_alu instid0(VALU_DEP_1)
	v_add_nc_u64_e32 v[2:3], v[2:3], v[6:7]
	global_load_b32 v2, v[2:3], off offset:16
	s_wait_loadcnt 0x0
	ds_store_b32 v17, v2
	s_wait_xcnt 0x0
	v_mad_nc_u64_u32 v[2:3], 0x54, v14, v[0:1]
	s_delay_alu instid0(VALU_DEP_1)
	;; [unrolled: 7-line block ×13, first 2 shown]
	v_add_nc_u64_e32 v[2:3], v[2:3], v[6:7]
	global_load_b32 v2, v[2:3], off offset:16
	s_wait_loadcnt 0x0
	ds_store_b32 v163, v2
	s_wait_xcnt 0x0
	v_mad_nc_u64_u32 v[2:3], 0x54, v58, v[0:1]
	v_mad_nc_u64_u32 v[0:1], 0x54, v72, v[0:1]
	s_delay_alu instid0(VALU_DEP_2) | instskip(NEXT) | instid1(VALU_DEP_2)
	v_add_nc_u64_e32 v[2:3], v[2:3], v[6:7]
	v_add_nc_u64_e32 v[0:1], v[0:1], v[6:7]
	s_clause 0x1
	global_load_b32 v2, v[2:3], off offset:16
	global_load_b32 v0, v[0:1], off offset:16
	s_wait_loadcnt 0x1
	ds_store_b32 v164, v2
	s_wait_loadcnt 0x0
	ds_store_b32 v165, v0
	s_wait_xcnt 0x0
	v_mad_nc_u64_u32 v[0:1], 0x54, v44, s[12:13]
	s_delay_alu instid0(VALU_DEP_1)
	v_mad_nc_u64_u32 v[0:1], 0x54, v8, v[0:1]
	global_load_b32 v0, v[0:1], off offset:80
	s_wait_loadcnt 0x0
	ds_store_b32 v19, v0
	s_wait_xcnt 0x0
	v_mad_nc_u64_u32 v[0:1], 0x54, v86, s[12:13]
	s_mov_b32 s12, 0
	s_delay_alu instid0(VALU_DEP_1) | instskip(NEXT) | instid1(VALU_DEP_1)
	v_add_nc_u64_e32 v[0:1], v[0:1], v[10:11]
	v_mad_nc_u64_u32 v[2:3], 0x54, v48, v[0:1]
	global_load_b32 v2, v[2:3], off
	s_wait_loadcnt 0x0
	ds_store_b32 v49, v2
	s_wait_xcnt 0x0
	v_mad_nc_u64_u32 v[2:3], 0x54, v50, v[0:1]
	global_load_b32 v2, v[2:3], off
	s_wait_loadcnt 0x0
	ds_store_b32 v51, v2
	s_wait_xcnt 0x0
	v_mad_nc_u64_u32 v[2:3], 0x54, v76, v[0:1]
	v_mad_nc_u64_u32 v[0:1], 0x54, v88, v[0:1]
	s_clause 0x1
	global_load_b32 v2, v[2:3], off
	global_load_b32 v0, v[0:1], off
	s_wait_loadcnt 0x1
	ds_store_b32 v129, v2
	s_wait_loadcnt 0x0
	ds_store_b32 v132, v0
	s_branch .LBB147_8
.LBB147_7:                              ;   in Loop: Header=BB147_8 Depth=2
                                        ; implicit-def: $sgpr12
	s_and_b32 vcc_lo, exec_lo, s13
	s_cbranch_vccnz .LBB147_5
.LBB147_8:                              ;   Parent Loop BB147_6 Depth=1
                                        ; =>  This Loop Header: Depth=2
                                        ;       Child Loop BB147_10 Depth 3
                                        ;       Child Loop BB147_12 Depth 3
	s_lshr_b32 s13, s12, 1
	s_delay_alu instid0(SALU_CYCLE_1) | instskip(NEXT) | instid1(SALU_CYCLE_1)
	s_or_b32 s13, s13, s10
	s_cmp_lt_i32 s13, s15
	s_mov_b32 s13, -1
	s_cbranch_scc0 .LBB147_7
; %bb.9:                                ;   in Loop: Header=BB147_8 Depth=2
	s_wait_xcnt 0x0
	v_lshl_add_u32 v0, s12, 5, v9
	s_or_b32 s16, s12, 1
	s_lshl_b32 s17, s12, 3
	s_lshl_b32 s13, s16, 3
	s_delay_alu instid0(VALU_DEP_1) | instskip(NEXT) | instid1(VALU_DEP_1)
	v_lshrrev_b32_e32 v0, 3, v0
	v_add_nc_u32_e32 v2, s5, v0
	s_delay_alu instid0(VALU_DEP_1) | instskip(NEXT) | instid1(VALU_DEP_1)
	v_add_nc_u32_e32 v0, v2, v25
	v_mad_nc_i64_i32 v[0:1], v0, 36, v[26:27]
	global_load_b32 v0, v[0:1], off offset:4
	s_wait_loadcnt 0x0
	ds_store_b32 v135, v0
	s_wait_xcnt 0x0
	v_add_nc_u32_e32 v0, v2, v29
	s_delay_alu instid0(VALU_DEP_1)
	v_mad_nc_i64_i32 v[0:1], v0, 36, v[26:27]
	global_load_b32 v0, v[0:1], off offset:4
	s_wait_loadcnt 0x0
	ds_store_b32 v136, v0
	s_wait_xcnt 0x0
	v_add_nc_u32_e32 v0, v2, v31
	s_delay_alu instid0(VALU_DEP_1)
	;; [unrolled: 7-line block ×7, first 2 shown]
	v_mad_nc_i64_i32 v[0:1], v0, 36, v[26:27]
	global_load_b32 v0, v[0:1], off offset:4
	s_wait_loadcnt 0x0
	ds_store_b32 v142, v0
	s_wait_xcnt 0x0
	v_lshl_add_u32 v0, s12, 2, v171
	s_delay_alu instid0(VALU_DEP_1)
	v_mad_nc_u64_u32 v[0:1], v0, 36, s[2:3]
	global_load_b32 v0, v[0:1], off
	s_wait_loadcnt 0x0
	s_wait_xcnt 0x0
	v_cvt_f32_f16_e32 v0, v0
	ds_store_b32 v23, v0
	s_wait_dscnt 0x0
	s_barrier_signal -1
	s_barrier_wait -1
.LBB147_10:                             ;   Parent Loop BB147_6 Depth=1
                                        ;     Parent Loop BB147_8 Depth=2
                                        ; =>    This Inner Loop Header: Depth=3
	s_lshl_b32 s18, s17, 2
	s_and_b32 s19, s17, 6
	s_and_b32 s18, s18, 24
	s_and_b32 s20, s17, 0x3ffffff8
	v_or_b32_e32 v0, s18, v166
	v_lshl_add_u32 v172, s20, 2, v167
	s_and_b32 s21, s17, 0x7ffffffe
	s_delay_alu instid0(SALU_CYCLE_1) | instskip(NEXT) | instid1(VALU_DEP_2)
	s_add_co_i32 s20, s21, 0x6200
	v_dual_lshlrev_b32 v1, 2, v0 :: v_dual_lshrrev_b32 v0, 1, v0
	s_lshr_b32 s21, s17, 2
	s_set_vgpr_msb 64                       ;  msbs: dst=1 src0=0 src1=0 src2=0
	v_add3_u32 v51 /*v307*/, s20, v145, v168
	s_and_b32 s21, s21, 0x3ffffffc
	s_set_vgpr_msb 0                        ;  msbs: dst=0 src0=0 src1=0 src2=0
	ds_load_b32 v91, v0 offset:30368
	ds_load_b128 v[92:95], v1 offset:16896
	ds_load_b128 v[0:3], v1 offset:16912
	s_addk_co_i32 s21, 0x7280
	s_set_vgpr_msb 64                       ;  msbs: dst=1 src0=0 src1=0 src2=0
	v_add3_u32 v65 /*v321*/, s20, v148, v133
	v_add3_u32 v77 /*v333*/, s20, v150, v143
	s_add_co_i32 s17, s17, 2
	s_delay_alu instid0(SALU_CYCLE_1)
	s_cmp_lt_u32 s17, s13
	s_wait_dscnt 0x1
	s_set_vgpr_msb 0                        ;  msbs: dst=0 src0=0 src1=0 src2=0
	v_bfe_i32 v113, v95, 0, 8
	v_bfe_i32 v114, v95, 8, 8
	;; [unrolled: 1-line block ×3, first 2 shown]
	s_wait_dscnt 0x0
	v_dual_ashrrev_i32 v97, 24, v95 :: v_dual_ashrrev_i32 v120, 24, v0
	v_bfe_i32 v95, v0, 0, 8
	v_bfe_i32 v193, v1, 0, 8
	;; [unrolled: 1-line block ×7, first 2 shown]
	v_add_nc_u32_e32 v0, v193, v95
	v_bfe_i32 v90, v92, 0, 8
	v_bfe_i32 v96, v92, 8, 8
	;; [unrolled: 1-line block ×3, first 2 shown]
	v_ashrrev_i32_e32 v92, 24, v92
	v_bfe_i32 v99, v93, 0, 8
	v_bfe_i32 v101, v93, 8, 8
	;; [unrolled: 1-line block ×3, first 2 shown]
	v_dual_ashrrev_i32 v93, 24, v93 :: v_dual_ashrrev_i32 v112, 24, v94
	v_bfe_i32 v198, v2, 8, 8
	v_bfe_i32 v202, v3, 8, 8
	v_add3_u32 v108, v0, v197, v201
	v_add_nc_u32_e32 v0, v194, v117
	v_bfe_i32 v107, v94, 16, 8
	v_bfe_i32 v106, v94, 8, 8
	;; [unrolled: 1-line block ×4, first 2 shown]
	v_add3_u32 v103, v0, v198, v202
	v_dual_add_nc_u32 v0, v93, v92 :: v_dual_ashrrev_i32 v196, 24, v1
	v_add3_u32 v94, s21, v170, v169
	s_set_vgpr_msb 64                       ;  msbs: dst=1 src0=0 src1=0 src2=0
	v_bfe_i32 v50 /*v306*/, v2, 16, 8
	s_set_vgpr_msb 0                        ;  msbs: dst=0 src0=0 src1=0 src2=0
	v_ashrrev_i32_e32 v2, 24, v2
	v_add3_u32 v110, v0, v112, v97
	v_add_nc_u32_e32 v0, v104, v98
	ds_load_b32 v94, v94
	s_set_vgpr_msb 64                       ;  msbs: dst=1 src0=0 src1=0 src2=0
	v_dual_add_nc_u32 v49 /*v305*/, v196, v120 :: v_dual_add_nc_u32 v60 /*v316*/, v195, v118
	v_bfe_i32 v59 /*v315*/, v3, 16, 8
	s_set_vgpr_msb 0                        ;  msbs: dst=0 src0=0 src1=0 src2=0
	v_add3_u32 v111, v0, v107, v115
	v_add_nc_u32_e32 v0, v101, v96
	s_delay_alu instid0(VALU_DEP_1) | instskip(SKIP_1) | instid1(VALU_DEP_1)
	v_add3_u32 v122, v0, v106, v114
	v_add_nc_u32_e32 v0, v99, v90
	v_add3_u32 v124, v0, v105, v113
	ds_load_2addr_b32 v[0:1], v172 offset1:1
	s_wait_dscnt 0x0
	v_dual_ashrrev_i32 v100, s19, v0 :: v_dual_ashrrev_i32 v102, s19, v1
	ds_load_2addr_b32 v[0:1], v172 offset0:2 offset1:3
	v_and_b32_e32 v222, 3, v102
	v_bfe_u32 v225, v102, 8, 2
	v_bfe_u32 v226, v102, 16, 2
	;; [unrolled: 1-line block ×3, first 2 shown]
	s_delay_alu instid0(VALU_DEP_4) | instskip(NEXT) | instid1(VALU_DEP_3)
	v_mul_i32_i24_e32 v175, v222, v99
	v_mul_i32_i24_e32 v176, v226, v104
	s_delay_alu instid0(VALU_DEP_3) | instskip(NEXT) | instid1(VALU_DEP_3)
	v_mul_i32_i24_e32 v102, v228, v93
	v_mad_i32_i24 v175, v225, v101, v175
	s_delay_alu instid0(VALU_DEP_1)
	v_add3_u32 v102, v175, v176, v102
	s_wait_dscnt 0x0
	v_dual_ashrrev_i32 v109, s19, v0 :: v_dual_ashrrev_i32 v116, s19, v1
	ds_load_2addr_b32 v[0:1], v172 offset0:4 offset1:5
	v_and_b32_e32 v121, 3, v100
	v_bfe_u32 v119, v100, 8, 2
	v_and_b32_e32 v230, 3, v109
	v_bfe_u32 v224, v100, 16, 2
	v_bfe_u32 v127, v100, 24, 2
	v_mul_i32_i24_e32 v173, v90, v121
	v_mul_i32_i24_e32 v126, v96, v119
	;; [unrolled: 1-line block ×4, first 2 shown]
	v_bfe_u32 v232, v109, 8, 2
	v_mul_i32_i24_e32 v100, v92, v127
	v_bfe_u32 v234, v109, 16, 2
	v_add3_u32 v102, v102, v177, v173
	v_bfe_u32 v236, v109, 24, 2
	v_mul_i32_i24_e32 v178, v232, v106
	v_and_b32_e32 v239, 3, v116
	v_mul_i32_i24_e32 v179, v234, v107
	v_add3_u32 v102, v102, v126, v174
	v_mul_i32_i24_e32 v109, v236, v112
	s_wait_dscnt 0x0
	v_dual_ashrrev_i32 v123, s19, v0 :: v_dual_ashrrev_i32 v125, s19, v1
	ds_load_2addr_b32 v[0:1], v172 offset0:6 offset1:7
	v_bfe_u32 v241, v116, 8, 2
	v_add3_u32 v100, v102, v100, v178
	v_mul_i32_i24_e32 v180, v239, v113
	s_set_vgpr_msb 64                       ;  msbs: dst=1 src0=0 src1=0 src2=0
	v_and_b32_e32 v6 /*v262*/, 3, v125
	v_bfe_u32 v9 /*v265*/, v125, 8, 2
	s_set_vgpr_msb 0                        ;  msbs: dst=0 src0=0 src1=0 src2=0
	v_mul_i32_i24_e32 v181, v241, v114
	v_add3_u32 v100, v100, v179, v109
	s_set_vgpr_msb 64                       ;  msbs: dst=1 src0=0 src1=0 src2=0
	v_bfe_u32 v11 /*v267*/, v125, 16, 2
	v_bfe_u32 v13 /*v269*/, v125, 24, 2
	s_set_vgpr_msb 0                        ;  msbs: dst=0 src0=0 src1=0 src2=0
	v_bfe_u32 v244, v116, 16, 2
	v_bfe_u32 v116, v116, 24, 2
	s_set_vgpr_msb 64                       ;  msbs: dst=1 src0=0 src1=0 src2=0
	v_add3_u32 v62 /*v318*/, v100, v180, v181
	s_set_vgpr_msb 1                        ;  msbs: dst=0 src0=1 src1=0 src2=0
	v_mul_i32_i24_e32 v125, v13 /*v269*/, v196
	s_set_vgpr_msb 64                       ;  msbs: dst=1 src0=0 src1=0 src2=0
	v_mul_i32_i24_e32 v61 /*v317*/, v244, v115
	s_wait_dscnt 0x0
	s_set_vgpr_msb 0                        ;  msbs: dst=0 src0=0 src1=0 src2=0
	v_dual_ashrrev_i32 v0, s19, v0 :: v_dual_bitop2_b32 v255, 3, v123 bitop3:0x40
	v_bfe_u32 v251, v123, 8, 2
	s_set_vgpr_msb 64                       ;  msbs: dst=1 src0=0 src1=0 src2=0
	v_bfe_u32 v2 /*v258*/, v123, 16, 2
	v_bfe_u32 v4 /*v260*/, v123, 24, 2
	s_set_vgpr_msb 0                        ;  msbs: dst=0 src0=0 src1=0 src2=0
	v_ashrrev_i32_e32 v1, s19, v1
	v_mul_i32_i24_e32 v100, v255, v95
	s_set_vgpr_msb 1                        ;  msbs: dst=0 src0=1 src1=0 src2=0
	v_mul_i32_i24_e32 v123, v11 /*v267*/, v195
	v_mul_i32_i24_e32 v102, v2 /*v258*/, v118
	;; [unrolled: 1-line block ×3, first 2 shown]
	s_set_vgpr_msb 64                       ;  msbs: dst=1 src0=0 src1=0 src2=0
	v_and_b32_e32 v15 /*v271*/, 3, v0
	s_set_vgpr_msb 0                        ;  msbs: dst=0 src0=0 src1=0 src2=0
	v_mad_i32_i24 v100, v251, v117, v100
	s_set_vgpr_msb 64                       ;  msbs: dst=1 src0=0 src1=0 src2=0
	v_bfe_u32 v16 /*v272*/, v0, 8, 2
	v_and_b32_e32 v21 /*v277*/, 3, v1
	v_bfe_u32 v22 /*v278*/, v1, 8, 2
	v_bfe_u32 v24 /*v280*/, v1, 16, 2
	s_set_vgpr_msb 0                        ;  msbs: dst=0 src0=0 src1=0 src2=0
	v_add3_u32 v100, v100, v102, v109
	s_set_vgpr_msb 1                        ;  msbs: dst=0 src0=1 src1=0 src2=0
	v_mul_i32_i24_e32 v102, v6 /*v262*/, v193
	v_mul_i32_i24_e32 v109, v9 /*v265*/, v194
	s_set_vgpr_msb 0                        ;  msbs: dst=0 src0=0 src1=0 src2=0
	v_bfe_u32 v246, v1, 24, 2
	s_set_vgpr_msb 1                        ;  msbs: dst=0 src0=1 src1=0 src2=0
	v_mul_i32_i24_e32 v126, v15 /*v271*/, v197
	v_mul_i32_i24_e32 v173, v16 /*v272*/, v198
	s_set_vgpr_msb 64                       ;  msbs: dst=1 src0=0 src1=0 src2=0
	v_bfe_u32 v17 /*v273*/, v0, 16, 2
	s_set_vgpr_msb 0                        ;  msbs: dst=0 src0=0 src1=0 src2=0
	v_add3_u32 v1, v100, v102, v109
	s_set_vgpr_msb 64                       ;  msbs: dst=1 src0=0 src1=0 src2=0
	v_bfe_u32 v19 /*v275*/, v0, 24, 2
	s_set_vgpr_msb 1                        ;  msbs: dst=0 src0=1 src1=0 src2=0
	v_mul_i32_i24_e32 v175, v21 /*v277*/, v201
	v_mul_i32_i24_e32 v176, v22 /*v278*/, v202
	s_set_vgpr_msb 5                        ;  msbs: dst=0 src0=1 src1=1 src2=0
	v_mul_i32_i24_e32 v174, v17 /*v273*/, v50 /*v306*/
	s_set_vgpr_msb 0                        ;  msbs: dst=0 src0=0 src1=0 src2=0
	v_add3_u32 v1, v1, v123, v125
	s_set_vgpr_msb 1                        ;  msbs: dst=0 src0=1 src1=0 src2=0
	v_mul_i32_i24_e32 v0, v19 /*v275*/, v2
	v_add3_u32 v100, s21, v147, v131
	s_set_vgpr_msb 0x45                     ;  msbs: dst=1 src0=1 src1=1 src2=0
	v_mul_i32_i24_e32 v63 /*v319*/, v24 /*v280*/, v59 /*v315*/
	s_set_vgpr_msb 0                        ;  msbs: dst=0 src0=0 src1=0 src2=0
	v_add3_u32 v102, s20, v146, v130
	v_add3_u32 v1, v1, v126, v173
	ds_load_b32 v100, v100
	v_add3_u32 v0, v1, v174, v0
	s_set_vgpr_msb 64                       ;  msbs: dst=1 src0=0 src1=0 src2=0
	s_delay_alu instid0(VALU_DEP_1)
	v_add3_u32 v64 /*v320*/, v0, v175, v176
	s_set_vgpr_msb 0                        ;  msbs: dst=0 src0=0 src1=0 src2=0
	v_add_nc_u32_e32 v0, 0x1080, v172
	ds_load_2addr_b32 v[0:1], v0 offset1:1
	s_wait_dscnt 0x0
	v_ashrrev_i32_e32 v109, s19, v0
	v_add_nc_u32_e32 v0, 0x1088, v172
	v_ashrrev_i32_e32 v126, s19, v1
	s_delay_alu instid0(VALU_DEP_3)
	v_and_b32_e32 v125, 3, v109
	ds_load_2addr_b32 v[0:1], v0 offset1:1
	v_bfe_u32 v207, v126, 8, 2
	v_bfe_u32 v208, v126, 16, 2
	;; [unrolled: 1-line block ×6, first 2 shown]
	v_mul_i32_i24_e32 v182, v208, v104
	v_mul_i32_i24_e32 v178, v90, v125
	v_mul_i32_i24_e32 v177, v96, v123
	v_mul_i32_i24_e32 v179, v92, v204
	v_mul_i32_i24_e32 v180, v98, v206
	v_and_b32_e32 v205, 3, v126
	v_mul_i32_i24_e32 v126, v210, v93
	s_delay_alu instid0(VALU_DEP_2) | instskip(SKIP_4) | instid1(VALU_DEP_3)
	v_mul_i32_i24_e32 v181, v205, v99
	s_wait_dscnt 0x0
	v_ashrrev_i32_e32 v173, s19, v0
	v_add_nc_u32_e32 v0, 0x1090, v172
	v_ashrrev_i32_e32 v174, s19, v1
	v_and_b32_e32 v211, 3, v173
	ds_load_2addr_b32 v[0:1], v0 offset1:1
	v_bfe_u32 v212, v173, 8, 2
	v_bfe_u32 v213, v173, 16, 2
	;; [unrolled: 1-line block ×3, first 2 shown]
	v_mul_i32_i24_e32 v183, v211, v105
	s_delay_alu instid0(VALU_DEP_4) | instskip(NEXT) | instid1(VALU_DEP_4)
	v_mul_i32_i24_e32 v184, v212, v106
	v_mul_i32_i24_e32 v185, v213, v107
	s_delay_alu instid0(VALU_DEP_4)
	v_mul_i32_i24_e32 v173, v214, v112
	s_wait_dscnt 0x0
	v_ashrrev_i32_e32 v175, s19, v0
	v_add_nc_u32_e32 v0, 0x1098, v172
	v_dual_ashrrev_i32 v176, s19, v1 :: v_dual_bitop2_b32 v215, 3, v174 bitop3:0x40
	v_bfe_u32 v216, v174, 8, 2
	v_bfe_u32 v217, v174, 16, 2
	ds_load_2addr_b32 v[0:1], v0 offset1:1
	v_bfe_u32 v109, v174, 24, 2
	v_mad_i32_i24 v174, v207, v101, v181
	v_mul_i32_i24_e32 v186, v215, v113
	v_mul_i32_i24_e32 v187, v216, v114
	v_and_b32_e32 v220, 3, v175
	v_bfe_u32 v219, v175, 8, 2
	v_add3_u32 v126, v174, v182, v126
	v_bfe_u32 v221, v175, 16, 2
	v_bfe_u32 v223, v175, 24, 2
	s_set_vgpr_msb 64                       ;  msbs: dst=1 src0=0 src1=0 src2=0
	v_mul_i32_i24_e32 v39 /*v295*/, v217, v115
	s_set_vgpr_msb 0                        ;  msbs: dst=0 src0=0 src1=0 src2=0
	v_add3_u32 v126, v126, v183, v178
	v_mul_i32_i24_e32 v174, v223, v120
	s_delay_alu instid0(VALU_DEP_2) | instskip(SKIP_2) | instid1(VALU_DEP_2)
	v_add3_u32 v126, v126, v177, v180
	s_wait_dscnt 0x0
	v_dual_ashrrev_i32 v1, s19, v1 :: v_dual_ashrrev_i32 v0, s19, v0
	v_add3_u32 v126, v126, v179, v184
	v_and_b32_e32 v227, 3, v176
	v_bfe_u32 v229, v176, 8, 2
	v_bfe_u32 v231, v176, 16, 2
	;; [unrolled: 1-line block ×3, first 2 shown]
	v_add3_u32 v126, v126, v185, v173
	v_mul_i32_i24_e32 v173, v221, v118
	v_and_b32_e32 v235, 3, v0
	v_mul_i32_i24_e32 v175, v231, v195
	v_mul_i32_i24_e32 v176, v233, v196
	s_set_vgpr_msb 64                       ;  msbs: dst=1 src0=0 src1=0 src2=0
	v_add3_u32 v41 /*v297*/, v126, v186, v187
	s_set_vgpr_msb 0                        ;  msbs: dst=0 src0=0 src1=0 src2=0
	v_mul_i32_i24_e32 v126, v220, v95
	v_bfe_u32 v237, v0, 8, 2
	v_and_b32_e32 v245, 3, v1
	v_bfe_u32 v247, v1, 8, 2
	v_bfe_u32 v249, v1, 16, 2
	v_mad_i32_i24 v126, v219, v117, v126
	v_bfe_u32 v218, v1, 24, 2
	v_mul_i32_i24_e32 v177, v235, v197
	v_mul_i32_i24_e32 v178, v237, v198
	v_bfe_u32 v240, v0, 16, 2
	v_add3_u32 v126, v126, v173, v174
	v_mul_i32_i24_e32 v173, v227, v193
	v_mul_i32_i24_e32 v174, v229, v194
	v_bfe_u32 v242, v0, 24, 2
	s_set_vgpr_msb 4                        ;  msbs: dst=0 src0=0 src1=1 src2=0
	v_mul_i32_i24_e32 v179, v240, v50 /*v306*/
	s_set_vgpr_msb 0                        ;  msbs: dst=0 src0=0 src1=0 src2=0
	v_mul_i32_i24_e32 v180, v245, v201
	v_mul_i32_i24_e32 v181, v247, v202
	v_add3_u32 v1, v126, v173, v174
	v_mul_i32_i24_e32 v0, v242, v2
	v_add3_u32 v126, s21, v149, v134
	s_set_vgpr_msb 0x44                     ;  msbs: dst=1 src0=0 src1=1 src2=0
	v_mul_i32_i24_e32 v45 /*v301*/, v249, v59 /*v315*/
	s_set_vgpr_msb 0                        ;  msbs: dst=0 src0=0 src1=0 src2=0
	v_add3_u32 v1, v1, v175, v176
	ds_load_b32 v126, v126
	v_add3_u32 v1, v1, v177, v178
	s_delay_alu instid0(VALU_DEP_1) | instskip(SKIP_1) | instid1(VALU_DEP_1)
	v_add3_u32 v0, v1, v179, v0
	s_set_vgpr_msb 64                       ;  msbs: dst=1 src0=0 src1=0 src2=0
	v_add3_u32 v46 /*v302*/, v0, v180, v181
	s_set_vgpr_msb 0                        ;  msbs: dst=0 src0=0 src1=0 src2=0
	v_add_nc_u32_e32 v0, 0x2100, v172
	ds_load_2addr_b32 v[0:1], v0 offset1:1
	s_wait_dscnt 0x0
	v_ashrrev_i32_e32 v173, s19, v0
	v_add_nc_u32_e32 v0, 0x2108, v172
	v_ashrrev_i32_e32 v174, s19, v1
	s_delay_alu instid0(VALU_DEP_3)
	v_and_b32_e32 v243, 3, v173
	ds_load_2addr_b32 v[0:1], v0 offset1:1
	v_bfe_u32 v253, v174, 8, 2
	v_bfe_u32 v254, v174, 16, 2
	s_set_vgpr_msb 64                       ;  msbs: dst=1 src0=0 src1=0 src2=0
	v_bfe_u32 v0 /*v256*/, v174, 24, 2
	s_set_vgpr_msb 0                        ;  msbs: dst=0 src0=0 src1=0 src2=0
	v_bfe_u32 v238, v173, 8, 2
	v_mul_i32_i24_e32 v180, v90, v243
	v_bfe_u32 v252, v173, 16, 2
	v_mul_i32_i24_e32 v183, v254, v104
	;; [unrolled: 2-line block ×3, first 2 shown]
	v_and_b32_e32 v250, 3, v174
	s_set_vgpr_msb 1                        ;  msbs: dst=0 src0=1 src1=0 src2=0
	v_mul_i32_i24_e32 v174, v0 /*v256*/, v93
	s_set_vgpr_msb 0                        ;  msbs: dst=0 src0=0 src1=0 src2=0
	v_mul_i32_i24_e32 v181, v98, v252
	v_mul_i32_i24_e32 v173, v92, v248
	;; [unrolled: 1-line block ×3, first 2 shown]
	s_wait_dscnt 0x0
	v_ashrrev_i32_e32 v175, s19, v0
	v_add_nc_u32_e32 v0, 0x2110, v172
	v_ashrrev_i32_e32 v176, s19, v1
	s_set_vgpr_msb 64                       ;  msbs: dst=1 src0=0 src1=0 src2=0
	s_delay_alu instid0(VALU_DEP_3)
	v_and_b32_e32 v1 /*v257*/, 3, v175
	s_set_vgpr_msb 0                        ;  msbs: dst=0 src0=0 src1=0 src2=0
	ds_load_2addr_b32 v[0:1], v0 offset1:1
	s_set_vgpr_msb 64                       ;  msbs: dst=1 src0=0 src1=0 src2=0
	v_and_b32_e32 v10 /*v266*/, 3, v176
	v_bfe_u32 v12 /*v268*/, v176, 8, 2
	v_bfe_u32 v14 /*v270*/, v176, 16, 2
	s_set_vgpr_msb 0                        ;  msbs: dst=0 src0=0 src1=0 src2=0
	v_bfe_u32 v209, v176, 24, 2
	s_set_vgpr_msb 1                        ;  msbs: dst=0 src0=1 src1=0 src2=0
	v_mul_i32_i24_e32 v184, v1 /*v257*/, v105
	s_set_vgpr_msb 64                       ;  msbs: dst=1 src0=0 src1=0 src2=0
	v_bfe_u32 v3 /*v259*/, v175, 8, 2
	v_bfe_u32 v5 /*v261*/, v175, 16, 2
	;; [unrolled: 1-line block ×3, first 2 shown]
	s_set_vgpr_msb 1                        ;  msbs: dst=0 src0=1 src1=0 src2=0
	v_mul_i32_i24_e32 v187, v10 /*v266*/, v113
	v_mul_i32_i24_e32 v188, v12 /*v268*/, v114
	;; [unrolled: 1-line block ×5, first 2 shown]
	s_set_vgpr_msb 0x41                     ;  msbs: dst=1 src0=1 src1=0 src2=0
	v_mul_i32_i24_e32 v37 /*v293*/, v14 /*v270*/, v115
	s_set_vgpr_msb 0                        ;  msbs: dst=0 src0=0 src1=0 src2=0
	v_mad_i32_i24 v176, v253, v101, v182
	s_wait_dscnt 0x0
	v_ashrrev_i32_e32 v177, s19, v0
	v_add_nc_u32_e32 v0, 0x2118, v172
	v_ashrrev_i32_e32 v178, s19, v1
	v_add3_u32 v174, v176, v183, v174
	s_set_vgpr_msb 64                       ;  msbs: dst=1 src0=0 src1=0 src2=0
	v_and_b32_e32 v20 /*v276*/, 3, v177
	s_set_vgpr_msb 0                        ;  msbs: dst=0 src0=0 src1=0 src2=0
	ds_load_2addr_b32 v[0:1], v0 offset1:1
	s_set_vgpr_msb 64                       ;  msbs: dst=1 src0=0 src1=0 src2=0
	v_bfe_u32 v18 /*v274*/, v177, 8, 2
	v_bfe_u32 v23 /*v279*/, v177, 16, 2
	;; [unrolled: 1-line block ×3, first 2 shown]
	v_and_b32_e32 v26 /*v282*/, 3, v178
	v_bfe_u32 v27 /*v283*/, v178, 8, 2
	v_bfe_u32 v28 /*v284*/, v178, 16, 2
	;; [unrolled: 1-line block ×3, first 2 shown]
	s_set_vgpr_msb 0                        ;  msbs: dst=0 src0=0 src1=0 src2=0
	v_add3_u32 v174, v174, v184, v180
	s_set_vgpr_msb 1                        ;  msbs: dst=0 src0=1 src1=0 src2=0
	v_mul_i32_i24_e32 v176, v28 /*v284*/, v195
	v_mul_i32_i24_e32 v177, v29 /*v285*/, v196
	s_set_vgpr_msb 0                        ;  msbs: dst=0 src0=0 src1=0 src2=0
	v_add3_u32 v174, v174, v179, v181
	s_delay_alu instid0(VALU_DEP_1)
	v_add3_u32 v173, v174, v173, v185
	s_set_vgpr_msb 1                        ;  msbs: dst=0 src0=1 src1=0 src2=0
	v_mul_i32_i24_e32 v174, v23 /*v279*/, v118
	s_wait_dscnt 0x0
	v_dual_ashrrev_i32 v1, s19, v1 :: v_dual_ashrrev_i32 v0, s19, v0
	s_set_vgpr_msb 0                        ;  msbs: dst=0 src0=0 src1=0 src2=0
	v_add3_u32 v173, v173, v186, v175
	s_set_vgpr_msb 1                        ;  msbs: dst=0 src0=1 src1=0 src2=0
	v_mul_i32_i24_e32 v175, v25 /*v281*/, v120
	s_set_vgpr_msb 64                       ;  msbs: dst=1 src0=0 src1=0 src2=0
	v_and_b32_e32 v34 /*v290*/, 3, v1
	v_and_b32_e32 v30 /*v286*/, 3, v0
	v_bfe_u32 v31 /*v287*/, v0, 8, 2
	v_bfe_u32 v35 /*v291*/, v1, 8, 2
	;; [unrolled: 1-line block ×4, first 2 shown]
	s_set_vgpr_msb 1                        ;  msbs: dst=0 src0=1 src1=0 src2=0
	v_mul_i32_i24_e32 v178, v30 /*v286*/, v197
	v_mul_i32_i24_e32 v179, v31 /*v287*/, v198
	s_set_vgpr_msb 64                       ;  msbs: dst=1 src0=0 src1=0 src2=0
	v_bfe_u32 v32 /*v288*/, v0, 16, 2
	v_bfe_u32 v33 /*v289*/, v0, 24, 2
	s_set_vgpr_msb 1                        ;  msbs: dst=0 src0=1 src1=0 src2=0
	v_mul_i32_i24_e32 v181, v34 /*v290*/, v201
	v_mul_i32_i24_e32 v182, v35 /*v291*/, v202
	s_set_vgpr_msb 0x45                     ;  msbs: dst=1 src0=1 src1=1 src2=0
	v_mul_i32_i24_e32 v43 /*v299*/, v36 /*v292*/, v59 /*v315*/
	s_set_vgpr_msb 5                        ;  msbs: dst=0 src0=1 src1=1 src2=0
	v_mul_i32_i24_e32 v180, v32 /*v288*/, v50 /*v306*/
	s_set_vgpr_msb 1                        ;  msbs: dst=0 src0=1 src1=0 src2=0
	v_mul_i32_i24_e32 v0, v33 /*v289*/, v2
	s_set_vgpr_msb 64                       ;  msbs: dst=1 src0=0 src1=0 src2=0
	v_add3_u32 v38 /*v294*/, v173, v187, v188
	s_set_vgpr_msb 1                        ;  msbs: dst=0 src0=1 src1=0 src2=0
	v_mul_i32_i24_e32 v173, v20 /*v276*/, v95
	s_delay_alu instid0(VALU_DEP_1) | instskip(SKIP_1) | instid1(VALU_DEP_1)
	v_mad_i32_i24 v173, v18 /*v274*/, v117, v173
	s_set_vgpr_msb 0                        ;  msbs: dst=0 src0=0 src1=0 src2=0
	v_add3_u32 v173, v173, v174, v175
	s_set_vgpr_msb 1                        ;  msbs: dst=0 src0=1 src1=0 src2=0
	v_mul_i32_i24_e32 v174, v26 /*v282*/, v193
	v_mul_i32_i24_e32 v175, v27 /*v283*/, v194
	s_set_vgpr_msb 0                        ;  msbs: dst=0 src0=0 src1=0 src2=0
	s_delay_alu instid0(VALU_DEP_1) | instskip(NEXT) | instid1(VALU_DEP_1)
	v_add3_u32 v1, v173, v174, v175
	v_add3_u32 v1, v1, v176, v177
	s_delay_alu instid0(VALU_DEP_1) | instskip(NEXT) | instid1(VALU_DEP_1)
	v_add3_u32 v1, v1, v178, v179
	v_add3_u32 v0, v1, v180, v0
	s_set_vgpr_msb 64                       ;  msbs: dst=1 src0=0 src1=0 src2=0
	s_delay_alu instid0(VALU_DEP_1)
	v_add3_u32 v44 /*v300*/, v0, v181, v182
	s_set_vgpr_msb 0                        ;  msbs: dst=0 src0=0 src1=0 src2=0
	v_add_nc_u32_e32 v0, 0x3180, v172
	ds_load_2addr_b32 v[0:1], v0 offset1:1
	s_wait_dscnt 0x0
	v_ashrrev_i32_e32 v175, s19, v0
	v_add_nc_u32_e32 v0, 0x3188, v172
	v_ashrrev_i32_e32 v179, s19, v1
	s_delay_alu instid0(VALU_DEP_3) | instskip(SKIP_4) | instid1(VALU_DEP_3)
	v_bfe_u32 v174, v175, 24, 2
	ds_load_2addr_b32 v[0:1], v0 offset1:1
	v_bfe_u32 v176, v175, 16, 2
	v_and_b32_e32 v173, 3, v175
	v_mul_i32_i24_e32 v92, v92, v174
	v_mul_i32_i24_e32 v98, v98, v176
	s_delay_alu instid0(VALU_DEP_3)
	v_mul_i32_i24_e32 v90, v90, v173
	s_wait_dscnt 0x0
	v_ashrrev_i32_e32 v183, s19, v0
	v_add_nc_u32_e32 v0, 0x3190, v172
	v_ashrrev_i32_e32 v187, s19, v1
	v_bfe_u32 v177, v179, 8, 2
	v_bfe_u32 v178, v179, 16, 2
	v_and_b32_e32 v180, 3, v183
	ds_load_2addr_b32 v[0:1], v0 offset1:1
	v_bfe_u32 v181, v183, 8, 2
	v_bfe_u32 v182, v183, 16, 2
	v_mul_i32_i24_e32 v104, v178, v104
	v_mul_i32_i24_e32 v105, v180, v105
	v_bfe_u32 v183, v183, 24, 2
	v_mul_i32_i24_e32 v106, v181, v106
	v_mul_i32_i24_e32 v107, v182, v107
	s_delay_alu instid0(VALU_DEP_3)
	v_mul_i32_i24_e32 v112, v183, v112
	s_wait_dscnt 0x0
	v_ashrrev_i32_e32 v191, s19, v0
	v_add_nc_u32_e32 v0, 0x3198, v172
	v_ashrrev_i32_e32 v199, s19, v1
	v_add3_u32 v172, s21, v151, v144
	v_and_b32_e32 v184, 3, v187
	v_bfe_u32 v185, v187, 8, 2
	ds_load_2addr_b32 v[0:1], v0 offset1:1
	v_and_b32_e32 v189, 3, v191
	s_set_vgpr_msb 64                       ;  msbs: dst=1 src0=0 src1=0 src2=0
	ds_load_b32 v78 /*v334*/, v172
	s_set_vgpr_msb 0                        ;  msbs: dst=0 src0=0 src1=0 src2=0
	v_bfe_u32 v172, v175, 8, 2
	v_and_b32_e32 v175, 3, v179
	v_bfe_u32 v179, v179, 24, 2
	v_mul_i32_i24_e32 v113, v184, v113
	v_mul_i32_i24_e32 v114, v185, v114
	;; [unrolled: 1-line block ×5, first 2 shown]
	v_bfe_u32 v186, v187, 16, 2
	v_bfe_u32 v188, v187, 24, 2
	;; [unrolled: 1-line block ×5, first 2 shown]
	s_set_vgpr_msb 64                       ;  msbs: dst=1 src0=0 src1=0 src2=0
	v_mul_i32_i24_e32 v40 /*v296*/, v186, v115
	s_set_vgpr_msb 0                        ;  msbs: dst=0 src0=0 src1=0 src2=0
	v_mad_i32_i24 v99, v177, v101, v99
	s_wait_dscnt 0x1
	v_dual_ashrrev_i32 v1, s19, v1 :: v_dual_ashrrev_i32 v0, s19, v0
	v_and_b32_e32 v192, 3, v199
	s_delay_alu instid0(VALU_DEP_3) | instskip(NEXT) | instid1(VALU_DEP_3)
	v_add3_u32 v93, v99, v104, v93
	v_and_b32_e32 v200, 3, v1
	v_bfe_u32 v203, v1, 24, 2
	s_delay_alu instid0(VALU_DEP_3) | instskip(SKIP_1) | instid1(VALU_DEP_4)
	v_add3_u32 v90, v93, v105, v90
	v_mul_i32_i24_e32 v93, v191, v120
	v_mul_i32_i24_e32 v104, v200, v201
	v_bfe_u32 v201, v1, 8, 2
	s_delay_alu instid0(VALU_DEP_4) | instskip(NEXT) | instid1(VALU_DEP_2)
	v_add3_u32 v90, v90, v96, v98
	v_mul_i32_i24_e32 v105, v201, v202
	v_bfe_u32 v202, v1, 16, 2
	s_delay_alu instid0(VALU_DEP_3) | instskip(SKIP_2) | instid1(VALU_DEP_3)
	v_add3_u32 v90, v90, v92, v106
	v_mul_i32_i24_e32 v92, v190, v118
	s_set_vgpr_msb 0x44                     ;  msbs: dst=1 src0=0 src1=1 src2=0
	v_mul_i32_i24_e32 v47 /*v303*/, v202, v59 /*v315*/
	s_set_vgpr_msb 0                        ;  msbs: dst=0 src0=0 src1=0 src2=0
	v_add3_u32 v90, v90, v107, v112
	s_set_vgpr_msb 64                       ;  msbs: dst=1 src0=0 src1=0 src2=0
	s_delay_alu instid0(VALU_DEP_1) | instskip(SKIP_2) | instid1(VALU_DEP_1)
	v_add3_u32 v42 /*v298*/, v90, v113, v114
	s_set_vgpr_msb 0                        ;  msbs: dst=0 src0=0 src1=0 src2=0
	v_mul_i32_i24_e32 v90, v189, v95
	v_mad_i32_i24 v90, v187, v117, v90
	s_delay_alu instid0(VALU_DEP_1) | instskip(SKIP_2) | instid1(VALU_DEP_1)
	v_add3_u32 v90, v90, v92, v93
	v_mul_i32_i24_e32 v92, v192, v193
	v_bfe_u32 v193, v199, 8, 2
	v_mul_i32_i24_e32 v93, v193, v194
	v_bfe_u32 v194, v199, 16, 2
	s_delay_alu instid0(VALU_DEP_2) | instskip(NEXT) | instid1(VALU_DEP_2)
	v_add3_u32 v1, v90, v92, v93
	v_mul_i32_i24_e32 v95, v194, v195
	v_bfe_u32 v195, v199, 24, 2
	v_bfe_u32 v199, v0, 24, 2
	s_delay_alu instid0(VALU_DEP_2) | instskip(SKIP_1) | instid1(VALU_DEP_2)
	v_mul_i32_i24_e32 v96, v195, v196
	v_and_b32_e32 v196, 3, v0
	v_add3_u32 v1, v1, v95, v96
	s_delay_alu instid0(VALU_DEP_2) | instskip(SKIP_1) | instid1(VALU_DEP_1)
	v_mul_i32_i24_e32 v98, v196, v197
	v_bfe_u32 v197, v0, 8, 2
	v_mul_i32_i24_e32 v99, v197, v198
	v_bfe_u32 v198, v0, 16, 2
	v_mul_i32_i24_e32 v0, v199, v2
	s_delay_alu instid0(VALU_DEP_3) | instskip(SKIP_1) | instid1(VALU_DEP_3)
	v_add3_u32 v1, v1, v98, v99
	s_set_vgpr_msb 4                        ;  msbs: dst=0 src0=0 src1=1 src2=0
	v_mul_i32_i24_e32 v101, v198, v50 /*v306*/
	s_set_vgpr_msb 0x55                     ;  msbs: dst=1 src0=1 src1=1 src2=1
	v_add3_u32 v50 /*v306*/, v60 /*v316*/, v50 /*v306*/, v59 /*v315*/
	s_set_vgpr_msb 0                        ;  msbs: dst=0 src0=0 src1=0 src2=0
	s_delay_alu instid0(VALU_DEP_2) | instskip(SKIP_1) | instid1(VALU_DEP_1)
	v_add3_u32 v0, v1, v101, v0
	s_set_vgpr_msb 64                       ;  msbs: dst=1 src0=0 src1=0 src2=0
	v_add3_u32 v48 /*v304*/, v0, v104, v105
	s_set_vgpr_msb 0                        ;  msbs: dst=0 src0=0 src1=0 src2=0
	v_or_b32_e32 v0, s18, v59
	s_delay_alu instid0(VALU_DEP_1)
	v_dual_lshlrev_b32 v1, 2, v0 :: v_dual_lshrrev_b32 v0, 1, v0
	ds_load_b32 v90, v0 offset:30368
	ds_load_b128 v[104:107], v1 offset:16896
	ds_load_b128 v[112:115], v1 offset:16912
	s_wait_dscnt 0x1
	v_bfe_i32 v120, v107, 0, 8
	s_set_vgpr_msb 64                       ;  msbs: dst=1 src0=0 src1=0 src2=0
	v_bfe_i32 v66 /*v322*/, v107, 8, 8
	v_bfe_i32 v67 /*v323*/, v107, 16, 8
	v_ashrrev_i32_e32 v79 /*v335*/, 24, v107
	s_wait_dscnt 0x0
	v_bfe_i32 v68 /*v324*/, v112, 0, 8
	v_bfe_i32 v72 /*v328*/, v113, 0, 8
	v_bfe_i32 v69 /*v325*/, v112, 8, 8
	v_bfe_i32 v73 /*v329*/, v113, 8, 8
	v_bfe_i32 v76 /*v332*/, v114, 0, 8
	v_bfe_i32 v89 /*v345*/, v115, 0, 8
	s_set_vgpr_msb 5                        ;  msbs: dst=0 src0=1 src1=1 src2=0
	v_add_nc_u32_e32 v107, v72 /*v328*/, v68 /*v324*/
	s_set_vgpr_msb 0                        ;  msbs: dst=0 src0=0 src1=0 src2=0
	v_dual_ashrrev_i32 v93, 24, v104 :: v_dual_ashrrev_i32 v99, 24, v105
	s_set_vgpr_msb 0x54                     ;  msbs: dst=1 src0=0 src1=1 src2=1
	v_bfe_i32 v81 /*v337*/, v114, 8, 8
	v_bfe_i32 v90 /*v346*/, v115, 8, 8
	v_add3_u32 v83 /*v339*/, v107, v76 /*v332*/, v89 /*v345*/
	s_set_vgpr_msb 5                        ;  msbs: dst=0 src0=1 src1=1 src2=0
	v_add_nc_u32_e32 v107, v73 /*v329*/, v69 /*v325*/
	s_set_vgpr_msb 0                        ;  msbs: dst=0 src0=0 src1=0 src2=0
	v_bfe_i32 v92, v104, 16, 8
	v_bfe_i32 v98, v105, 16, 8
	;; [unrolled: 1-line block ×5, first 2 shown]
	v_ashrrev_i32_e32 v106, 24, v106
	s_set_vgpr_msb 0x54                     ;  msbs: dst=1 src0=0 src1=1 src2=1
	v_add3_u32 v80 /*v336*/, v107, v81 /*v337*/, v90 /*v346*/
	s_set_vgpr_msb 0                        ;  msbs: dst=0 src0=0 src1=0 src2=0
	v_add_nc_u32_e32 v107, v99, v93
	v_bfe_i32 v1, v104, 8, 8
	v_bfe_i32 v96, v105, 8, 8
	;; [unrolled: 1-line block ×4, first 2 shown]
	s_set_vgpr_msb 0x50                     ;  msbs: dst=1 src0=0 src1=0 src2=1
	v_add3_u32 v84 /*v340*/, v107, v106, v79 /*v335*/
	s_set_vgpr_msb 0                        ;  msbs: dst=0 src0=0 src1=0 src2=0
	v_add_nc_u32_e32 v107, v98, v92
	s_set_vgpr_msb 0x50                     ;  msbs: dst=1 src0=0 src1=0 src2=1
	v_bfe_i32 v70 /*v326*/, v112, 16, 8
	v_ashrrev_i32_e32 v71 /*v327*/, 24, v112
	v_bfe_i32 v74 /*v330*/, v113, 16, 8
	v_ashrrev_i32_e32 v75 /*v331*/, 24, v113
	v_add3_u32 v85 /*v341*/, v107, v118, v67 /*v323*/
	s_set_vgpr_msb 0                        ;  msbs: dst=0 src0=0 src1=0 src2=0
	v_add_nc_u32_e32 v107, v96, v1
	v_mul_i32_i24_e32 v112, v224, v92
	v_mul_i32_i24_e32 v113, v127, v93
	s_set_vgpr_msb 0x50                     ;  msbs: dst=1 src0=0 src1=0 src2=1
	v_mul_i32_i24_e32 v52 /*v308*/, v226, v98
	v_mul_i32_i24_e32 v53 /*v309*/, v228, v99
	v_add3_u32 v86 /*v342*/, v107, v117, v66 /*v322*/
	s_set_vgpr_msb 0                        ;  msbs: dst=0 src0=0 src1=0 src2=0
	v_add_nc_u32_e32 v107, v95, v0
	s_set_vgpr_msb 64                       ;  msbs: dst=1 src0=0 src1=0 src2=0
	v_mul_i32_i24_e32 v54 /*v310*/, v230, v101
	v_mul_i32_i24_e32 v55 /*v311*/, v232, v117
	v_mul_i32_i24_e32 v56 /*v312*/, v234, v118
	v_mul_i32_i24_e32 v57 /*v313*/, v236, v106
	v_add3_u32 v87 /*v343*/, v107, v101, v120
	s_set_vgpr_msb 0                        ;  msbs: dst=0 src0=0 src1=0 src2=0
	v_mul_i32_i24_e32 v107, v121, v0
	s_set_vgpr_msb 64                       ;  msbs: dst=1 src0=0 src1=0 src2=0
	v_bfe_i32 v82 /*v338*/, v114, 16, 8
	s_set_vgpr_msb 0                        ;  msbs: dst=0 src0=0 src1=0 src2=0
	v_ashrrev_i32_e32 v114, 24, v114
	s_set_vgpr_msb 64                       ;  msbs: dst=1 src0=0 src1=0 src2=0
	v_mul_i32_i24_e32 v58 /*v314*/, v239, v120
	s_set_vgpr_msb 0x44                     ;  msbs: dst=1 src0=0 src1=1 src2=0
	v_mul_i32_i24_e32 v88 /*v344*/, v241, v66 /*v322*/
	s_set_vgpr_msb 0                        ;  msbs: dst=0 src0=0 src1=0 src2=0
	v_mad_i32_i24 v107, v119, v1, v107
	s_set_vgpr_msb 0x45                     ;  msbs: dst=1 src0=1 src1=1 src2=0
	v_mul_i32_i24_e32 v93 /*v349*/, v22 /*v278*/, v90 /*v346*/
	s_set_vgpr_msb 0x44                     ;  msbs: dst=1 src0=0 src1=1 src2=0
	v_mul_i32_i24_e32 v92 /*v348*/, v244, v67 /*v323*/
	v_bfe_i32 v91 /*v347*/, v115, 16, 8
	s_set_vgpr_msb 5                        ;  msbs: dst=0 src0=1 src1=1 src2=0
	v_dual_add_nc_u32 v104, v75 /*v331*/, v71 /*v327*/ :: v_dual_add_nc_u32 v105, v74 /*v330*/, v70 /*v326*/
	s_set_vgpr_msb 0                        ;  msbs: dst=0 src0=0 src1=0 src2=0
	v_add3_u32 v107, v107, v112, v113
	v_mul_i32_i24_e32 v112, v222, v95
	v_mul_i32_i24_e32 v113, v225, v96
	s_set_vgpr_msb 0x45                     ;  msbs: dst=1 src0=1 src1=1 src2=0
	v_mul_i32_i24_e32 v94 /*v350*/, v24 /*v280*/, v91 /*v347*/
	s_set_vgpr_msb 0x44                     ;  msbs: dst=1 src0=0 src1=1 src2=0
	v_mul_i32_i24_e32 v97 /*v353*/, v216, v66 /*v322*/
	v_mul_i32_i24_e32 v98 /*v354*/, v247, v90 /*v346*/
	s_set_vgpr_msb 0x45                     ;  msbs: dst=1 src0=1 src1=1 src2=0
	v_mul_i32_i24_e32 v101 /*v357*/, v12 /*v268*/, v66 /*v322*/
	s_set_vgpr_msb 0                        ;  msbs: dst=0 src0=0 src1=0 src2=0
	v_add3_u32 v107, v107, v112, v113
	s_set_vgpr_msb 4                        ;  msbs: dst=0 src0=0 src1=1 src2=0
	v_mul_i32_i24_e32 v112, v255, v68 /*v324*/
	s_set_vgpr_msb 5                        ;  msbs: dst=0 src0=1 src1=1 src2=0
	v_mul_i32_i24_e32 v113, v2 /*v258*/, v70 /*v326*/
	s_set_vgpr_msb 0x44                     ;  msbs: dst=1 src0=0 src1=1 src2=0
	v_mul_i32_i24_e32 v99 /*v355*/, v249, v91 /*v347*/
	s_set_vgpr_msb 0x45                     ;  msbs: dst=1 src0=1 src1=1 src2=0
	v_mul_i32_i24_e32 v103 /*v359*/, v36 /*v292*/, v91 /*v347*/
	s_set_vgpr_msb 20                       ;  msbs: dst=0 src0=0 src1=1 src2=1
	v_add3_u32 v107, v107, v52 /*v308*/, v53 /*v309*/
	s_set_vgpr_msb 0x45                     ;  msbs: dst=1 src0=1 src1=1 src2=0
	v_mul_i32_i24_e32 v52 /*v308*/, v4 /*v260*/, v71 /*v327*/
	s_set_vgpr_msb 4                        ;  msbs: dst=0 src0=0 src1=1 src2=0
	v_mad_i32_i24 v112, v251, v69 /*v325*/, v112
	s_set_vgpr_msb 0x45                     ;  msbs: dst=1 src0=1 src1=1 src2=0
	v_mul_i32_i24_e32 v53 /*v309*/, v11 /*v267*/, v74 /*v330*/
	s_set_vgpr_msb 0x44                     ;  msbs: dst=1 src0=0 src1=1 src2=0
	v_mul_i32_i24_e32 v105 /*v361*/, v202, v91 /*v347*/
	s_set_vgpr_msb 20                       ;  msbs: dst=0 src0=0 src1=1 src2=1
	v_add3_u32 v107, v107, v54 /*v310*/, v55 /*v311*/
	s_set_vgpr_msb 0x45                     ;  msbs: dst=1 src0=1 src1=1 src2=0
	v_mul_i32_i24_e32 v54 /*v310*/, v13 /*v269*/, v75 /*v331*/
	s_set_vgpr_msb 16                       ;  msbs: dst=0 src0=0 src1=0 src2=1
	v_add3_u32 v112, v112, v113, v52 /*v308*/
	s_set_vgpr_msb 5                        ;  msbs: dst=0 src0=1 src1=1 src2=0
	v_mul_i32_i24_e32 v113, v6 /*v262*/, v72 /*v328*/
	s_set_vgpr_msb 0x45                     ;  msbs: dst=1 src0=1 src1=1 src2=0
	v_mul_i32_i24_e32 v52 /*v308*/, v9 /*v265*/, v73 /*v329*/
	s_set_vgpr_msb 20                       ;  msbs: dst=0 src0=0 src1=1 src2=1
	v_add3_u32 v107, v107, v56 /*v312*/, v57 /*v313*/
	s_set_vgpr_msb 0x45                     ;  msbs: dst=1 src0=1 src1=1 src2=0
	v_mul_i32_i24_e32 v55 /*v311*/, v15 /*v271*/, v76 /*v332*/
	v_mul_i32_i24_e32 v56 /*v312*/, v16 /*v272*/, v81 /*v337*/
	;; [unrolled: 1-line block ×3, first 2 shown]
	s_set_vgpr_msb 16                       ;  msbs: dst=0 src0=0 src1=0 src2=1
	v_add3_u32 v112, v112, v113, v52 /*v308*/
	s_set_vgpr_msb 1                        ;  msbs: dst=0 src0=1 src1=0 src2=0
	ds_load_u16 v113, v51 /*v307*/
	s_set_vgpr_msb 20                       ;  msbs: dst=0 src0=0 src1=1 src2=1
	v_add3_u32 v107, v107, v58 /*v314*/, v88 /*v344*/
	s_set_vgpr_msb 0x41                     ;  msbs: dst=1 src0=1 src1=0 src2=0
	v_mul_i32_i24_e32 v58 /*v314*/, v19 /*v275*/, v114
	s_set_vgpr_msb 0x45                     ;  msbs: dst=1 src0=1 src1=1 src2=0
	v_mul_i32_i24_e32 v88 /*v344*/, v21 /*v277*/, v89 /*v345*/
	s_set_vgpr_msb 20                       ;  msbs: dst=0 src0=0 src1=1 src2=1
	v_add3_u32 v112, v112, v53 /*v309*/, v54 /*v310*/
	s_delay_alu instid0(VALU_DEP_1) | instskip(NEXT) | instid1(VALU_DEP_1)
	v_add3_u32 v112, v112, v55 /*v311*/, v56 /*v312*/
	v_add3_u32 v112, v112, v57 /*v313*/, v58 /*v314*/
	s_delay_alu instid0(VALU_DEP_1)
	v_add3_u32 v112, v112, v88 /*v344*/, v93 /*v349*/
	s_wait_dscnt 0x0
	s_set_vgpr_msb 64                       ;  msbs: dst=1 src0=0 src1=0 src2=0
	v_bfe_u32 v53 /*v309*/, v113, 4, 4
	v_lshrrev_b16 v51 /*v307*/, 8, v113
	s_set_vgpr_msb 0                        ;  msbs: dst=0 src0=0 src1=0 src2=0
	v_and_b32_e32 v113, 15, v113
	s_set_vgpr_msb 64                       ;  msbs: dst=1 src0=0 src1=0 src2=0
	v_ashrrev_i32_e32 v88 /*v344*/, 24, v115
	s_set_vgpr_msb 0x44                     ;  msbs: dst=1 src0=0 src1=1 src2=0
	v_mul_lo_u32 v93 /*v349*/, 0x1010101, v53 /*v309*/
	s_set_vgpr_msb 64                       ;  msbs: dst=1 src0=0 src1=0 src2=0
	v_ashrrev_i32_e32 v53 /*v309*/, 24, v3
	s_set_vgpr_msb 0x44                     ;  msbs: dst=1 src0=0 src1=1 src2=0
	v_and_b32_e32 v52 /*v308*/, 0xffff, v51 /*v307*/
	v_and_b32_e32 v51 /*v307*/, 15, v51 /*v307*/
	s_set_vgpr_msb 4                        ;  msbs: dst=0 src0=0 src1=1 src2=0
	v_mul_i32_i24_e32 v3, v116, v79 /*v335*/
	s_set_vgpr_msb 0x51                     ;  msbs: dst=1 src0=1 src1=0 src2=1
	v_and_b32_e32 v57 /*v313*/, 0xffff, v113
	v_add3_u32 v49 /*v305*/, v49 /*v305*/, v2, v53 /*v309*/
	s_set_vgpr_msb 4                        ;  msbs: dst=0 src0=0 src1=1 src2=0
	v_mul_i32_i24_e32 v2, v246, v53 /*v309*/
	s_set_vgpr_msb 0x44                     ;  msbs: dst=1 src0=0 src1=1 src2=0
	v_and_b32_e32 v54 /*v310*/, 0xffff, v51 /*v307*/
	v_lshrrev_b32_e32 v52 /*v308*/, 4, v52 /*v308*/
	s_set_vgpr_msb 4                        ;  msbs: dst=0 src0=0 src1=1 src2=0
	v_add3_u32 v3, v107, v92 /*v348*/, v3
	s_set_vgpr_msb 0x44                     ;  msbs: dst=1 src0=0 src1=1 src2=0
	v_lshrrev_b32_e32 v56 /*v312*/, 24, v93 /*v349*/
	s_set_vgpr_msb 5                        ;  msbs: dst=0 src0=1 src1=1 src2=0
	v_add3_u32 v2, v64 /*v320*/, v63 /*v319*/, v2
	s_set_vgpr_msb 0x50                     ;  msbs: dst=1 src0=0 src1=0 src2=1
	v_add3_u32 v51 /*v307*/, v104, v114, v88 /*v344*/
	s_set_vgpr_msb 0x54                     ;  msbs: dst=1 src0=0 src1=1 src2=1
	v_mul_lo_u32 v107 /*v363*/, 0x1010101, v52 /*v308*/
	v_add3_u32 v52 /*v308*/, v105, v82 /*v338*/, v91 /*v347*/
	s_set_vgpr_msb 0                        ;  msbs: dst=0 src0=0 src1=0 src2=0
	v_mul_i32_i24_e32 v105, v116, v97
	s_set_vgpr_msb 4                        ;  msbs: dst=0 src0=0 src1=1 src2=0
	v_mul_lo_u32 v2, v2, v54 /*v310*/
	v_mul_lo_u32 v3, v3, v57 /*v313*/
	v_mul_i32_i24_e32 v104, v246, v88 /*v344*/
	s_set_vgpr_msb 0                        ;  msbs: dst=0 src0=0 src1=0 src2=0
	v_mul_i32_i24_e32 v107, v204, v93
	s_set_vgpr_msb 5                        ;  msbs: dst=0 src0=1 src1=1 src2=0
	v_add3_u32 v105, v62 /*v318*/, v61 /*v317*/, v105
	s_set_vgpr_msb 0                        ;  msbs: dst=0 src0=0 src1=0 src2=0
	v_mul_i32_i24_e32 v113, v208, v98
	s_set_vgpr_msb 64                       ;  msbs: dst=1 src0=0 src1=0 src2=0
	v_mul_i32_i24_e32 v61 /*v317*/, v210, v99
	s_set_vgpr_msb 4                        ;  msbs: dst=0 src0=0 src1=1 src2=0
	v_add3_u32 v104, v112, v94 /*v350*/, v104
	s_set_vgpr_msb 0                        ;  msbs: dst=0 src0=0 src1=0 src2=0
	v_mul_i32_i24_e32 v112, v207, v96
	s_set_vgpr_msb 64                       ;  msbs: dst=1 src0=0 src1=0 src2=0
	v_mul_i32_i24_e32 v62 /*v318*/, v211, v101
	v_mul_i32_i24_e32 v63 /*v319*/, v212, v117
	s_set_vgpr_msb 4                        ;  msbs: dst=0 src0=0 src1=1 src2=0
	v_mad_u32 v2, v105, v57 /*v313*/, v2
	v_mad_u32 v3, v104, v54 /*v310*/, v3
	s_set_vgpr_msb 64                       ;  msbs: dst=1 src0=0 src1=0 src2=0
	v_mul_i32_i24_e32 v64 /*v320*/, v213, v118
	v_mul_i32_i24_e32 v92 /*v348*/, v214, v106
	;; [unrolled: 1-line block ×3, first 2 shown]
	s_set_vgpr_msb 0x44                     ;  msbs: dst=1 src0=0 src1=1 src2=0
	v_lshrrev_b16 v95 /*v351*/, 8, v93 /*v349*/
	s_set_vgpr_msb 0x41                     ;  msbs: dst=1 src0=1 src1=0 src2=0
	v_bfe_i32 v58 /*v314*/, v107 /*v363*/, 0, 8
	v_bfe_i32 v55 /*v311*/, v107 /*v363*/, 8, 8
	s_set_vgpr_msb 0                        ;  msbs: dst=0 src0=0 src1=0 src2=0
	v_cvt_f32_i32_e32 v105, v2
	v_mul_i32_i24_e32 v2, v125, v0
	v_cvt_f32_i32_e32 v104, v3
	v_mul_i32_i24_e32 v3, v206, v92
	s_set_vgpr_msb 0x44                     ;  msbs: dst=1 src0=0 src1=1 src2=0
	v_mul_i32_i24_e32 v96 /*v352*/, v108, v58 /*v314*/
	s_set_vgpr_msb 5                        ;  msbs: dst=0 src0=1 src1=1 src2=0
	v_mul_i32_i24_e32 v115, v83 /*v339*/, v58 /*v314*/
	s_set_vgpr_msb 0                        ;  msbs: dst=0 src0=0 src1=0 src2=0
	v_mad_i32_i24 v2, v123, v1, v2
	s_set_vgpr_msb 0x45                     ;  msbs: dst=1 src0=1 src1=1 src2=0
	v_mul_i32_i24_e32 v59 /*v315*/, v80 /*v336*/, v55 /*v311*/
	s_set_vgpr_msb 0x44                     ;  msbs: dst=1 src0=0 src1=1 src2=0
	v_mul_i32_i24_e32 v60 /*v316*/, v103, v55 /*v311*/
	s_set_vgpr_msb 0                        ;  msbs: dst=0 src0=0 src1=0 src2=0
	v_add3_u32 v2, v2, v3, v107
	v_mul_i32_i24_e32 v3, v205, v95
	s_set_vgpr_msb 4                        ;  msbs: dst=0 src0=0 src1=1 src2=0
	v_mul_i32_i24_e32 v107, v217, v67 /*v323*/
	s_set_vgpr_msb 0                        ;  msbs: dst=0 src0=0 src1=0 src2=0
	s_delay_alu instid0(VALU_DEP_2) | instskip(SKIP_3) | instid1(VALU_DEP_2)
	v_add3_u32 v2, v2, v3, v112
	s_set_vgpr_msb 4                        ;  msbs: dst=0 src0=0 src1=1 src2=0
	v_mul_i32_i24_e32 v3, v221, v70 /*v326*/
	s_set_vgpr_msb 16                       ;  msbs: dst=0 src0=0 src1=0 src2=1
	v_add3_u32 v2, v2, v113, v61 /*v317*/
	s_set_vgpr_msb 4                        ;  msbs: dst=0 src0=0 src1=1 src2=0
	v_mul_i32_i24_e32 v113, v223, v71 /*v327*/
	s_set_vgpr_msb 0x44                     ;  msbs: dst=1 src0=0 src1=1 src2=0
	v_mul_i32_i24_e32 v61 /*v317*/, v231, v74 /*v330*/
	s_set_vgpr_msb 20                       ;  msbs: dst=0 src0=0 src1=1 src2=1
	v_add3_u32 v2, v2, v62 /*v318*/, v63 /*v319*/
	s_set_vgpr_msb 0x44                     ;  msbs: dst=1 src0=0 src1=1 src2=0
	v_mul_i32_i24_e32 v62 /*v318*/, v233, v75 /*v331*/
	v_mul_i32_i24_e32 v63 /*v319*/, v235, v76 /*v332*/
	s_set_vgpr_msb 20                       ;  msbs: dst=0 src0=0 src1=1 src2=1
	v_add3_u32 v2, v2, v64 /*v320*/, v92 /*v348*/
	s_set_vgpr_msb 0x44                     ;  msbs: dst=1 src0=0 src1=1 src2=0
	v_mul_i32_i24_e32 v64 /*v320*/, v237, v81 /*v337*/
	v_mul_i32_i24_e32 v92 /*v348*/, v240, v82 /*v338*/
	s_set_vgpr_msb 20                       ;  msbs: dst=0 src0=0 src1=1 src2=1
	v_add3_u32 v112, v2, v94 /*v350*/, v97 /*v353*/
	v_mul_i32_i24_e32 v2, v220, v68 /*v324*/
	s_set_vgpr_msb 64                       ;  msbs: dst=1 src0=0 src1=0 src2=0
	v_mul_i32_i24_e32 v94 /*v350*/, v242, v114
	s_set_vgpr_msb 0x44                     ;  msbs: dst=1 src0=0 src1=1 src2=0
	v_mul_i32_i24_e32 v97 /*v353*/, v245, v89 /*v345*/
	s_set_vgpr_msb 4                        ;  msbs: dst=0 src0=0 src1=1 src2=0
	v_mad_i32_i24 v2, v219, v69 /*v325*/, v2
	s_set_vgpr_msb 0                        ;  msbs: dst=0 src0=0 src1=0 src2=0
	s_delay_alu instid0(VALU_DEP_1) | instskip(SKIP_4) | instid1(VALU_DEP_1)
	v_add3_u32 v2, v2, v3, v113
	s_set_vgpr_msb 4                        ;  msbs: dst=0 src0=0 src1=1 src2=0
	v_mul_i32_i24_e32 v3, v227, v72 /*v328*/
	v_mul_i32_i24_e32 v113, v229, v73 /*v329*/
	s_set_vgpr_msb 0                        ;  msbs: dst=0 src0=0 src1=0 src2=0
	v_add3_u32 v2, v2, v3, v113
	v_mul_i32_i24_e32 v3, v252, v92
	v_mul_i32_i24_e32 v113, v248, v93
	s_set_vgpr_msb 20                       ;  msbs: dst=0 src0=0 src1=1 src2=1
	s_delay_alu instid0(VALU_DEP_3)
	v_add3_u32 v2, v2, v61 /*v317*/, v62 /*v318*/
	s_set_vgpr_msb 64                       ;  msbs: dst=1 src0=0 src1=0 src2=0
	v_mul_i32_i24_e32 v61 /*v317*/, v253, v96
	v_mul_i32_i24_e32 v62 /*v318*/, v254, v98
	s_set_vgpr_msb 20                       ;  msbs: dst=0 src0=0 src1=1 src2=1
	v_add3_u32 v2, v2, v63 /*v319*/, v64 /*v320*/
	s_set_vgpr_msb 0x41                     ;  msbs: dst=1 src0=1 src1=0 src2=0
	v_mul_i32_i24_e32 v63 /*v319*/, v0 /*v256*/, v99
	v_mul_i32_i24_e32 v64 /*v320*/, v1 /*v257*/, v101
	s_set_vgpr_msb 20                       ;  msbs: dst=0 src0=0 src1=1 src2=1
	v_add3_u32 v2, v2, v92 /*v348*/, v94 /*v350*/
	s_set_vgpr_msb 0x41                     ;  msbs: dst=1 src0=1 src1=0 src2=0
	v_mul_i32_i24_e32 v92 /*v348*/, v3 /*v259*/, v117
	v_mul_i32_i24_e32 v94 /*v350*/, v5 /*v261*/, v118
	s_set_vgpr_msb 0x54                     ;  msbs: dst=1 src0=0 src1=1 src2=1
	v_add3_u32 v100 /*v356*/, v2, v97 /*v353*/, v98 /*v354*/
	s_set_vgpr_msb 0                        ;  msbs: dst=0 src0=0 src1=0 src2=0
	v_mul_i32_i24_e32 v2, v243, v0
	s_set_vgpr_msb 0x41                     ;  msbs: dst=1 src0=1 src1=0 src2=0
	v_mul_i32_i24_e32 v97 /*v353*/, v7 /*v263*/, v106
	v_mul_i32_i24_e32 v98 /*v354*/, v10 /*v266*/, v120
	s_set_vgpr_msb 0                        ;  msbs: dst=0 src0=0 src1=0 src2=0
	v_mul_i32_i24_e32 v0, v173, v0
	v_mad_i32_i24 v2, v238, v1, v2
	s_delay_alu instid0(VALU_DEP_2) | instskip(SKIP_1) | instid1(VALU_DEP_3)
	v_mad_i32_i24 v0, v172, v1, v0
	v_mul_i32_i24_e32 v1, v175, v95
	v_add3_u32 v2, v2, v3, v113
	v_mul_i32_i24_e32 v3, v250, v95
	v_mul_i32_i24_e32 v95, v181, v117
	s_set_vgpr_msb 5                        ;  msbs: dst=0 src0=1 src1=1 src2=0
	v_mul_i32_i24_e32 v113, v14 /*v270*/, v67 /*v323*/
	s_set_vgpr_msb 16                       ;  msbs: dst=0 src0=0 src1=0 src2=1
	v_add3_u32 v2, v2, v3, v61 /*v317*/
	s_set_vgpr_msb 5                        ;  msbs: dst=0 src0=1 src1=1 src2=0
	v_mul_i32_i24_e32 v3, v23 /*v279*/, v70 /*v326*/
	s_set_vgpr_msb 0x45                     ;  msbs: dst=1 src0=1 src1=1 src2=0
	v_mul_i32_i24_e32 v61 /*v317*/, v25 /*v281*/, v71 /*v327*/
	s_set_vgpr_msb 20                       ;  msbs: dst=0 src0=0 src1=1 src2=1
	v_add3_u32 v2, v2, v62 /*v318*/, v63 /*v319*/
	s_set_vgpr_msb 0x45                     ;  msbs: dst=1 src0=1 src1=1 src2=0
	v_mul_i32_i24_e32 v62 /*v318*/, v28 /*v284*/, v74 /*v330*/
	v_mul_i32_i24_e32 v63 /*v319*/, v29 /*v285*/, v75 /*v331*/
	s_set_vgpr_msb 20                       ;  msbs: dst=0 src0=0 src1=1 src2=1
	v_add3_u32 v2, v2, v64 /*v320*/, v92 /*v348*/
	s_set_vgpr_msb 0x45                     ;  msbs: dst=1 src0=1 src1=1 src2=0
	v_mul_i32_i24_e32 v64 /*v320*/, v30 /*v286*/, v76 /*v332*/
	v_mul_i32_i24_e32 v92 /*v348*/, v31 /*v287*/, v81 /*v337*/
	s_set_vgpr_msb 20                       ;  msbs: dst=0 src0=0 src1=1 src2=1
	v_add3_u32 v2, v2, v94 /*v350*/, v97 /*v353*/
	s_set_vgpr_msb 0x45                     ;  msbs: dst=1 src0=1 src1=1 src2=0
	v_mul_i32_i24_e32 v94 /*v350*/, v32 /*v288*/, v82 /*v338*/
	s_set_vgpr_msb 0x41                     ;  msbs: dst=1 src0=1 src1=0 src2=0
	v_mul_i32_i24_e32 v97 /*v353*/, v33 /*v289*/, v114
	s_set_vgpr_msb 0x54                     ;  msbs: dst=1 src0=0 src1=1 src2=1
	v_add3_u32 v125 /*v381*/, v2, v98 /*v354*/, v101 /*v357*/
	s_set_vgpr_msb 5                        ;  msbs: dst=0 src0=1 src1=1 src2=0
	v_mul_i32_i24_e32 v2, v20 /*v276*/, v68 /*v324*/
	s_set_vgpr_msb 0x45                     ;  msbs: dst=1 src0=1 src1=1 src2=0
	v_mul_i32_i24_e32 v98 /*v354*/, v34 /*v290*/, v89 /*v345*/
	v_mul_i32_i24_e32 v101 /*v357*/, v35 /*v291*/, v90 /*v346*/
	s_set_vgpr_msb 5                        ;  msbs: dst=0 src0=1 src1=1 src2=0
	v_mad_i32_i24 v2, v18 /*v274*/, v69 /*v325*/, v2
	s_set_vgpr_msb 16                       ;  msbs: dst=0 src0=0 src1=0 src2=1
	s_delay_alu instid0(VALU_DEP_1)
	v_add3_u32 v2, v2, v3, v61 /*v317*/
	s_set_vgpr_msb 5                        ;  msbs: dst=0 src0=1 src1=1 src2=0
	v_mul_i32_i24_e32 v3, v26 /*v282*/, v72 /*v328*/
	s_set_vgpr_msb 0x45                     ;  msbs: dst=1 src0=1 src1=1 src2=0
	v_mul_i32_i24_e32 v61 /*v317*/, v27 /*v283*/, v73 /*v329*/
	s_set_vgpr_msb 16                       ;  msbs: dst=0 src0=0 src1=0 src2=1
	s_delay_alu instid0(VALU_DEP_1)
	v_add3_u32 v2, v2, v3, v61 /*v317*/
	v_mul_i32_i24_e32 v3, v174, v93
	v_mul_i32_i24_e32 v93, v180, v101
	s_set_vgpr_msb 20                       ;  msbs: dst=0 src0=0 src1=1 src2=1
	v_mul_i32_i24_e32 v101, v185, v66 /*v322*/
	v_add3_u32 v2, v2, v62 /*v318*/, v63 /*v319*/
	s_delay_alu instid0(VALU_DEP_1) | instskip(NEXT) | instid1(VALU_DEP_1)
	v_add3_u32 v2, v2, v64 /*v320*/, v92 /*v348*/
	v_add3_u32 v2, v2, v94 /*v350*/, v97 /*v353*/
	s_set_vgpr_msb 0x54                     ;  msbs: dst=1 src0=0 src1=1 src2=1
	s_delay_alu instid0(VALU_DEP_1)
	v_add3_u32 v92 /*v348*/, v2, v98 /*v354*/, v101 /*v357*/
	s_set_vgpr_msb 0                        ;  msbs: dst=0 src0=0 src1=0 src2=0
	v_mul_i32_i24_e32 v2, v176, v92
	v_mul_i32_i24_e32 v92, v179, v99
	;; [unrolled: 1-line block ×3, first 2 shown]
	s_set_vgpr_msb 0x44                     ;  msbs: dst=1 src0=0 src1=1 src2=0
	v_mul_i32_i24_e32 v101 /*v357*/, v186, v67 /*v323*/
	s_set_vgpr_msb 0                        ;  msbs: dst=0 src0=0 src1=0 src2=0
	v_add3_u32 v0, v0, v2, v3
	v_mul_i32_i24_e32 v2, v177, v96
	v_mul_i32_i24_e32 v3, v178, v98
	;; [unrolled: 1-line block ×4, first 2 shown]
	s_delay_alu instid0(VALU_DEP_4)
	v_add3_u32 v0, v0, v1, v2
	s_set_vgpr_msb 4                        ;  msbs: dst=0 src0=0 src1=1 src2=0
	v_mul_i32_i24_e32 v1, v190, v70 /*v326*/
	v_mul_i32_i24_e32 v2, v191, v71 /*v327*/
	s_set_vgpr_msb 0x41                     ;  msbs: dst=1 src0=1 src1=0 src2=0
	v_bfe_i32 v70 /*v326*/, v95 /*v351*/, 0, 8
	s_set_vgpr_msb 0                        ;  msbs: dst=0 src0=0 src1=0 src2=0
	v_add3_u32 v0, v0, v3, v92
	s_set_vgpr_msb 4                        ;  msbs: dst=0 src0=0 src1=1 src2=0
	v_mul_i32_i24_e32 v3, v194, v74 /*v330*/
	v_mul_i32_i24_e32 v92, v195, v75 /*v331*/
	s_set_vgpr_msb 0                        ;  msbs: dst=0 src0=0 src1=0 src2=0
	v_add3_u32 v0, v0, v93, v95
	s_set_vgpr_msb 4                        ;  msbs: dst=0 src0=0 src1=1 src2=0
	v_mul_i32_i24_e32 v93, v196, v76 /*v332*/
	v_mul_i32_i24_e32 v95, v197, v81 /*v337*/
	s_set_vgpr_msb 0                        ;  msbs: dst=0 src0=0 src1=0 src2=0
	v_add3_u32 v0, v0, v96, v98
	s_set_vgpr_msb 4                        ;  msbs: dst=0 src0=0 src1=1 src2=0
	v_mul_i32_i24_e32 v96, v198, v82 /*v338*/
	s_set_vgpr_msb 0                        ;  msbs: dst=0 src0=0 src1=0 src2=0
	v_mul_i32_i24_e32 v98, v199, v114
	s_set_vgpr_msb 64                       ;  msbs: dst=1 src0=0 src1=0 src2=0
	v_add3_u32 v102 /*v358*/, v0, v99, v101
	s_set_vgpr_msb 4                        ;  msbs: dst=0 src0=0 src1=1 src2=0
	v_mul_i32_i24_e32 v0, v189, v68 /*v324*/
	v_mul_i32_i24_e32 v99, v200, v89 /*v345*/
	;; [unrolled: 1-line block ×3, first 2 shown]
	s_delay_alu instid0(VALU_DEP_3) | instskip(SKIP_1) | instid1(VALU_DEP_1)
	v_mad_i32_i24 v0, v187, v69 /*v325*/, v0
	s_set_vgpr_msb 0                        ;  msbs: dst=0 src0=0 src1=0 src2=0
	v_add3_u32 v0, v0, v1, v2
	s_set_vgpr_msb 4                        ;  msbs: dst=0 src0=0 src1=1 src2=0
	v_mul_i32_i24_e32 v1, v192, v72 /*v328*/
	v_mul_i32_i24_e32 v2, v193, v73 /*v329*/
	s_set_vgpr_msb 0x41                     ;  msbs: dst=1 src0=1 src1=0 src2=0
	v_bfe_i32 v72 /*v328*/, v93 /*v349*/, 0, 8
	v_bfe_i32 v73 /*v329*/, v93 /*v349*/, 16, 8
	s_set_vgpr_msb 0                        ;  msbs: dst=0 src0=0 src1=0 src2=0
	v_add3_u32 v0, v0, v1, v2
	s_set_vgpr_msb 4                        ;  msbs: dst=0 src0=0 src1=1 src2=0
	s_delay_alu instid0(VALU_DEP_2) | instskip(SKIP_1) | instid1(VALU_DEP_2)
	v_mul_i32_i24_e32 v2, v111, v73 /*v329*/
	s_set_vgpr_msb 0                        ;  msbs: dst=0 src0=0 src1=0 src2=0
	v_add3_u32 v0, v0, v3, v92
	s_set_vgpr_msb 4                        ;  msbs: dst=0 src0=0 src1=1 src2=0
	v_mul_i32_i24_e32 v3, v124, v72 /*v328*/
	s_set_vgpr_msb 0                        ;  msbs: dst=0 src0=0 src1=0 src2=0
	s_delay_alu instid0(VALU_DEP_2) | instskip(SKIP_1) | instid1(VALU_DEP_2)
	v_add3_u32 v0, v0, v93, v95
	s_set_vgpr_msb 4                        ;  msbs: dst=0 src0=0 src1=1 src2=0
	v_mad_i32_i24 v3, v122, v70 /*v326*/, v3
	s_set_vgpr_msb 5                        ;  msbs: dst=0 src0=1 src1=1 src2=0
	v_mul_i32_i24_e32 v93, v87 /*v343*/, v72 /*v328*/
	s_set_vgpr_msb 0                        ;  msbs: dst=0 src0=0 src1=0 src2=0
	v_add3_u32 v0, v0, v96, v98
	s_set_vgpr_msb 5                        ;  msbs: dst=0 src0=1 src1=1 src2=0
	s_delay_alu instid0(VALU_DEP_2) | instskip(SKIP_1) | instid1(VALU_DEP_2)
	v_mad_i32_i24 v93, v86 /*v342*/, v70 /*v326*/, v93
	s_set_vgpr_msb 64                       ;  msbs: dst=1 src0=0 src1=0 src2=0
	v_add3_u32 v106 /*v362*/, v0, v99, v101
	s_set_vgpr_msb 0                        ;  msbs: dst=0 src0=0 src1=0 src2=0
	v_or_b32_e32 v0, s18, v69
	s_delay_alu instid0(VALU_DEP_1) | instskip(SKIP_4) | instid1(VALU_DEP_1)
	v_dual_lshlrev_b32 v1, 2, v0 :: v_dual_lshrrev_b32 v0, 1, v0
	ds_load_b32 v92, v0 offset:30368
	s_set_vgpr_msb 4                        ;  msbs: dst=0 src0=0 src1=1 src2=0
	v_mul_i32_i24_e32 v0, v110, v56 /*v312*/
	s_set_vgpr_msb 0                        ;  msbs: dst=0 src0=0 src1=0 src2=0
	v_add3_u32 v0, v3, v2, v0
	s_set_vgpr_msb 5                        ;  msbs: dst=0 src0=1 src1=1 src2=0
	v_mul_i32_i24_e32 v2, v84 /*v340*/, v56 /*v312*/
	v_mul_i32_i24_e32 v3, v85 /*v341*/, v73 /*v329*/
	s_set_vgpr_msb 20                       ;  msbs: dst=0 src0=0 src1=1 src2=1
	v_add3_u32 v117, v0, v96 /*v352*/, v60 /*v316*/
	s_set_vgpr_msb 0                        ;  msbs: dst=0 src0=0 src1=0 src2=0
	s_delay_alu instid0(VALU_DEP_2) | instskip(SKIP_1) | instid1(VALU_DEP_1)
	v_add3_u32 v2, v93, v3, v2
	s_set_vgpr_msb 16                       ;  msbs: dst=0 src0=0 src1=0 src2=1
	v_add3_u32 v115, v2, v115, v59 /*v315*/
	s_set_vgpr_msb 64                       ;  msbs: dst=1 src0=0 src1=0 src2=0
	ds_load_b128 v[60:63] /*v[316:319]*/, v1 offset:16896
	s_set_vgpr_msb 4                        ;  msbs: dst=0 src0=0 src1=1 src2=0
	ds_load_b128 v[0:3], v1 offset:16912
	s_wait_dscnt 0x1
	v_lshrrev_b16 v93, 8, v60 /*v316*/
	v_lshrrev_b16 v95, 8, v61 /*v317*/
	;; [unrolled: 1-line block ×4, first 2 shown]
	s_set_vgpr_msb 1                        ;  msbs: dst=0 src0=1 src1=0 src2=0
	v_bfe_i32 v99, v60 /*v316*/, 0, 8
	s_set_vgpr_msb 0                        ;  msbs: dst=0 src0=0 src1=0 src2=0
	v_bfe_i32 v114, v93, 0, 8
	v_bfe_i32 v95, v95, 0, 8
	s_set_vgpr_msb 1                        ;  msbs: dst=0 src0=1 src1=0 src2=0
	v_bfe_i32 v101, v60 /*v316*/, 16, 8
	s_set_vgpr_msb 4                        ;  msbs: dst=0 src0=0 src1=1 src2=0
	v_ashrrev_i32_e32 v106, 24, v60 /*v316*/
	s_set_vgpr_msb 1                        ;  msbs: dst=0 src0=1 src1=0 src2=0
	v_bfe_i32 v120, v61 /*v317*/, 16, 8
	s_set_vgpr_msb 0x44                     ;  msbs: dst=1 src0=0 src1=1 src2=0
	v_ashrrev_i32_e32 v68 /*v324*/, 24, v61 /*v317*/
	s_set_vgpr_msb 0                        ;  msbs: dst=0 src0=0 src1=0 src2=0
	v_bfe_i32 v96, v96, 0, 8
	v_bfe_i32 v98, v98, 0, 8
	v_add_nc_u32_e32 v93, v95, v114
	s_set_vgpr_msb 0x44                     ;  msbs: dst=1 src0=0 src1=1 src2=0
	v_dual_ashrrev_i32 v69 /*v325*/, 24, v62 /*v318*/ :: v_dual_ashrrev_i32 v113 /*v369*/, 24, v63 /*v319*/
	s_set_vgpr_msb 0x41                     ;  msbs: dst=1 src0=1 src1=0 src2=0
	v_bfe_i32 v75 /*v331*/, v62 /*v318*/, 16, 8
	v_bfe_i32 v81 /*v337*/, v63 /*v319*/, 16, 8
	v_add_nc_u32_e32 v59 /*v315*/, v68 /*v324*/, v106
	s_set_vgpr_msb 64                       ;  msbs: dst=1 src0=0 src1=0 src2=0
	v_add_nc_u32_e32 v60 /*v316*/, v120, v101
	v_add3_u32 v111 /*v367*/, v93, v96, v98
	s_set_vgpr_msb 0                        ;  msbs: dst=0 src0=0 src1=0 src2=0
	v_mul_i32_i24_e32 v93, v99, v121
	s_set_vgpr_msb 1                        ;  msbs: dst=0 src0=1 src1=0 src2=0
	v_bfe_i32 v118, v61 /*v317*/, 0, 8
	s_set_vgpr_msb 0x55                     ;  msbs: dst=1 src0=1 src1=1 src2=1
	v_add3_u32 v112 /*v368*/, v59 /*v315*/, v69 /*v325*/, v113 /*v369*/
	v_add3_u32 v110 /*v366*/, v60 /*v316*/, v75 /*v331*/, v81 /*v337*/
	s_set_vgpr_msb 64                       ;  msbs: dst=1 src0=0 src1=0 src2=0
	v_mul_i32_i24_e32 v59 /*v315*/, v101, v224
	v_mul_i32_i24_e32 v60 /*v316*/, v106, v127
	s_set_vgpr_msb 0                        ;  msbs: dst=0 src0=0 src1=0 src2=0
	v_mad_i32_i24 v93, v114, v119, v93
	s_set_vgpr_msb 0x41                     ;  msbs: dst=1 src0=1 src1=0 src2=0
	v_bfe_i32 v76 /*v332*/, v62 /*v318*/, 0, 8
	v_bfe_i32 v82 /*v338*/, v63 /*v319*/, 0, 8
	s_set_vgpr_msb 64                       ;  msbs: dst=1 src0=0 src1=0 src2=0
	v_add_nc_u32_e32 v61 /*v317*/, v118, v99
	s_set_vgpr_msb 0x44                     ;  msbs: dst=1 src0=0 src1=1 src2=0
	v_mul_i32_i24_e32 v62 /*v318*/, v228, v68 /*v324*/
	s_set_vgpr_msb 20                       ;  msbs: dst=0 src0=0 src1=1 src2=1
	v_add3_u32 v93, v93, v59 /*v315*/, v60 /*v316*/
	s_set_vgpr_msb 64                       ;  msbs: dst=1 src0=0 src1=0 src2=0
	v_mul_i32_i24_e32 v59 /*v315*/, v222, v118
	v_mul_i32_i24_e32 v60 /*v316*/, v225, v95
	s_set_vgpr_msb 0x55                     ;  msbs: dst=1 src0=1 src1=1 src2=1
	v_add3_u32 v109 /*v365*/, v61 /*v317*/, v76 /*v332*/, v82 /*v338*/
	s_set_vgpr_msb 64                       ;  msbs: dst=1 src0=0 src1=0 src2=0
	v_mul_i32_i24_e32 v61 /*v317*/, v226, v120
	s_set_vgpr_msb 0x44                     ;  msbs: dst=1 src0=0 src1=1 src2=0
	v_mul_i32_i24_e32 v63 /*v319*/, v230, v76 /*v332*/
	s_set_vgpr_msb 64                       ;  msbs: dst=1 src0=0 src1=0 src2=0
	v_mul_i32_i24_e32 v64 /*v320*/, v232, v96
	s_set_vgpr_msb 20                       ;  msbs: dst=0 src0=0 src1=1 src2=1
	v_add3_u32 v93, v93, v59 /*v315*/, v60 /*v316*/
	s_set_vgpr_msb 0x44                     ;  msbs: dst=1 src0=0 src1=1 src2=0
	v_mul_i32_i24_e32 v66 /*v322*/, v234, v75 /*v331*/
	v_mul_i32_i24_e32 v67 /*v323*/, v236, v69 /*v325*/
	;; [unrolled: 1-line block ×3, first 2 shown]
	s_set_vgpr_msb 64                       ;  msbs: dst=1 src0=0 src1=0 src2=0
	v_mul_i32_i24_e32 v74 /*v330*/, v241, v98
	s_set_vgpr_msb 20                       ;  msbs: dst=0 src0=0 src1=1 src2=1
	v_add3_u32 v93, v93, v61 /*v317*/, v62 /*v318*/
	s_set_vgpr_msb 0x44                     ;  msbs: dst=1 src0=0 src1=1 src2=0
	v_mul_i32_i24_e32 v89 /*v345*/, v244, v81 /*v337*/
	v_mul_i32_i24_e32 v90 /*v346*/, v116, v113 /*v369*/
	s_set_vgpr_msb 64                       ;  msbs: dst=1 src0=0 src1=0 src2=0
	v_mul_i32_i24_e32 v59 /*v315*/, v101, v206
	v_mul_i32_i24_e32 v60 /*v316*/, v106, v204
	s_set_vgpr_msb 20                       ;  msbs: dst=0 src0=0 src1=1 src2=1
	v_add3_u32 v93, v93, v63 /*v319*/, v64 /*v320*/
	s_set_vgpr_msb 64                       ;  msbs: dst=1 src0=0 src1=0 src2=0
	v_mul_i32_i24_e32 v61 /*v317*/, v208, v120
	s_set_vgpr_msb 0x44                     ;  msbs: dst=1 src0=0 src1=1 src2=0
	v_mul_i32_i24_e32 v62 /*v318*/, v210, v68 /*v324*/
	v_mul_i32_i24_e32 v63 /*v319*/, v211, v76 /*v332*/
	s_set_vgpr_msb 64                       ;  msbs: dst=1 src0=0 src1=0 src2=0
	v_mul_i32_i24_e32 v64 /*v320*/, v212, v96
	s_set_vgpr_msb 20                       ;  msbs: dst=0 src0=0 src1=1 src2=1
	v_add3_u32 v93, v93, v66 /*v322*/, v67 /*v323*/
	s_set_vgpr_msb 0x44                     ;  msbs: dst=1 src0=0 src1=1 src2=0
	v_mul_i32_i24_e32 v66 /*v322*/, v213, v75 /*v331*/
	v_mul_i32_i24_e32 v67 /*v323*/, v214, v69 /*v325*/
	;; [unrolled: 1-line block ×3, first 2 shown]
	s_wait_dscnt 0x0
	v_bfe_i32 v181 /*v437*/, v3, 0, 8
	s_set_vgpr_msb 20                       ;  msbs: dst=0 src0=0 src1=1 src2=1
	v_add3_u32 v93, v93, v71 /*v327*/, v74 /*v330*/
	s_set_vgpr_msb 0x44                     ;  msbs: dst=1 src0=0 src1=1 src2=0
	v_mul_i32_i24_e32 v71 /*v327*/, v215, v82 /*v338*/
	s_set_vgpr_msb 64                       ;  msbs: dst=1 src0=0 src1=0 src2=0
	v_mul_i32_i24_e32 v74 /*v330*/, v216, v98
	s_set_vgpr_msb 0x45                     ;  msbs: dst=1 src0=1 src1=1 src2=0
	v_mul_i32_i24_e32 v129 /*v385*/, v111 /*v367*/, v70 /*v326*/
	v_mul_i32_i24_e32 v191 /*v447*/, v21 /*v277*/, v181 /*v437*/
	s_set_vgpr_msb 20                       ;  msbs: dst=0 src0=0 src1=1 src2=1
	v_add3_u32 v93, v93, v89 /*v345*/, v90 /*v346*/
	s_set_vgpr_msb 0x45                     ;  msbs: dst=1 src0=1 src1=1 src2=0
	v_mul_i32_i24_e32 v90 /*v346*/, v14 /*v270*/, v81 /*v337*/
	s_set_vgpr_msb 0x44                     ;  msbs: dst=1 src0=0 src1=1 src2=0
	v_mul_i32_i24_e32 v89 /*v345*/, v217, v81 /*v337*/
	v_mul_i32_i24_e32 v195 /*v451*/, v245, v181 /*v437*/
	v_mul_lo_u32 v127 /*v383*/, v93, v57 /*v313*/
	s_set_vgpr_msb 0                        ;  msbs: dst=0 src0=0 src1=0 src2=0
	v_mul_i32_i24_e32 v93, v99, v125
	s_delay_alu instid0(VALU_DEP_1) | instskip(SKIP_1) | instid1(VALU_DEP_1)
	v_mad_i32_i24 v93, v114, v123, v93
	s_set_vgpr_msb 20                       ;  msbs: dst=0 src0=0 src1=1 src2=1
	v_add3_u32 v93, v93, v59 /*v315*/, v60 /*v316*/
	s_set_vgpr_msb 64                       ;  msbs: dst=1 src0=0 src1=0 src2=0
	v_mul_i32_i24_e32 v59 /*v315*/, v205, v118
	v_mul_i32_i24_e32 v60 /*v316*/, v207, v95
	s_set_vgpr_msb 20                       ;  msbs: dst=0 src0=0 src1=1 src2=1
	s_delay_alu instid0(VALU_DEP_1)
	v_add3_u32 v93, v93, v59 /*v315*/, v60 /*v316*/
	s_set_vgpr_msb 64                       ;  msbs: dst=1 src0=0 src1=0 src2=0
	v_mul_i32_i24_e32 v59 /*v315*/, v101, v252
	v_mul_i32_i24_e32 v60 /*v316*/, v106, v248
	s_set_vgpr_msb 0                        ;  msbs: dst=0 src0=0 src1=0 src2=0
	v_mul_i32_i24_e32 v101, v101, v176
	v_mul_i32_i24_e32 v106, v106, v174
	s_set_vgpr_msb 20                       ;  msbs: dst=0 src0=0 src1=1 src2=1
	v_add3_u32 v93, v93, v61 /*v317*/, v62 /*v318*/
	s_set_vgpr_msb 64                       ;  msbs: dst=1 src0=0 src1=0 src2=0
	v_mul_i32_i24_e32 v61 /*v317*/, v254, v120
	s_set_vgpr_msb 0x45                     ;  msbs: dst=1 src0=1 src1=1 src2=0
	v_mul_i32_i24_e32 v62 /*v318*/, v0 /*v256*/, v68 /*v324*/
	s_set_vgpr_msb 20                       ;  msbs: dst=0 src0=0 src1=1 src2=1
	v_add3_u32 v93, v93, v63 /*v319*/, v64 /*v320*/
	s_set_vgpr_msb 0x45                     ;  msbs: dst=1 src0=1 src1=1 src2=0
	v_mul_i32_i24_e32 v63 /*v319*/, v1 /*v257*/, v76 /*v332*/
	s_set_vgpr_msb 0x41                     ;  msbs: dst=1 src0=1 src1=0 src2=0
	v_mul_i32_i24_e32 v64 /*v320*/, v3 /*v259*/, v96
	s_set_vgpr_msb 0                        ;  msbs: dst=0 src0=0 src1=0 src2=0
	v_mul_i32_i24_e32 v96, v181, v96
	s_set_vgpr_msb 20                       ;  msbs: dst=0 src0=0 src1=1 src2=1
	v_add3_u32 v93, v93, v66 /*v322*/, v67 /*v323*/
	s_set_vgpr_msb 0x45                     ;  msbs: dst=1 src0=1 src1=1 src2=0
	v_mul_i32_i24_e32 v66 /*v322*/, v5 /*v261*/, v75 /*v331*/
	v_mul_i32_i24_e32 v67 /*v323*/, v7 /*v263*/, v69 /*v325*/
	s_set_vgpr_msb 0x54                     ;  msbs: dst=1 src0=0 src1=1 src2=1
	v_add3_u32 v108 /*v364*/, v93, v71 /*v327*/, v74 /*v330*/
	s_set_vgpr_msb 0                        ;  msbs: dst=0 src0=0 src1=0 src2=0
	v_mul_i32_i24_e32 v93, v99, v243
	v_mul_i32_i24_e32 v99, v99, v173
	s_set_vgpr_msb 0x45                     ;  msbs: dst=1 src0=1 src1=1 src2=0
	v_mul_i32_i24_e32 v71 /*v327*/, v10 /*v266*/, v82 /*v338*/
	s_set_vgpr_msb 0x41                     ;  msbs: dst=1 src0=1 src1=0 src2=0
	v_mul_i32_i24_e32 v74 /*v330*/, v12 /*v268*/, v98
	s_set_vgpr_msb 0                        ;  msbs: dst=0 src0=0 src1=0 src2=0
	v_mul_i32_i24_e32 v98, v185, v98
	v_mad_i32_i24 v93, v114, v238, v93
	v_mad_i32_i24 v99, v114, v172, v99
	s_set_vgpr_msb 4                        ;  msbs: dst=0 src0=0 src1=1 src2=0
	v_mul_i32_i24_e32 v114, v179, v68 /*v324*/
	s_set_vgpr_msb 0x44                     ;  msbs: dst=1 src0=0 src1=1 src2=0
	v_mul_i32_i24_e32 v68 /*v324*/, v183, v69 /*v325*/
	v_mul_i32_i24_e32 v69 /*v325*/, v184, v82 /*v338*/
	s_set_vgpr_msb 20                       ;  msbs: dst=0 src0=0 src1=1 src2=1
	v_add3_u32 v93, v93, v59 /*v315*/, v60 /*v316*/
	s_set_vgpr_msb 64                       ;  msbs: dst=1 src0=0 src1=0 src2=0
	v_mul_i32_i24_e32 v59 /*v315*/, v250, v118
	v_mul_i32_i24_e32 v60 /*v316*/, v253, v95
	s_set_vgpr_msb 0                        ;  msbs: dst=0 src0=0 src1=0 src2=0
	v_add3_u32 v99, v99, v101, v106
	v_mul_i32_i24_e32 v101, v175, v118
	v_mul_i32_i24_e32 v95, v177, v95
	v_mul_i32_i24_e32 v106, v178, v120
	s_set_vgpr_msb 20                       ;  msbs: dst=0 src0=0 src1=1 src2=1
	v_add3_u32 v93, v93, v59 /*v315*/, v60 /*v316*/
	s_set_vgpr_msb 0x41                     ;  msbs: dst=1 src0=1 src1=0 src2=0
	ds_load_u16 v60 /*v316*/, v65 /*v321*/
	s_set_vgpr_msb 4                        ;  msbs: dst=0 src0=0 src1=1 src2=0
	v_mul_i32_i24_e32 v118, v180, v76 /*v332*/
	s_set_vgpr_msb 0                        ;  msbs: dst=0 src0=0 src1=0 src2=0
	v_add3_u32 v95, v99, v101, v95
	s_set_vgpr_msb 20                       ;  msbs: dst=0 src0=0 src1=1 src2=1
	v_mul_i32_i24_e32 v120, v182, v75 /*v331*/
	v_add3_u32 v93, v93, v61 /*v317*/, v62 /*v318*/
	s_set_vgpr_msb 0                        ;  msbs: dst=0 src0=0 src1=0 src2=0
	v_add3_u32 v95, v95, v106, v114
	s_set_vgpr_msb 20                       ;  msbs: dst=0 src0=0 src1=1 src2=1
	s_delay_alu instid0(VALU_DEP_2) | instskip(SKIP_1) | instid1(VALU_DEP_2)
	v_add3_u32 v93, v93, v63 /*v319*/, v64 /*v320*/
	s_set_vgpr_msb 0                        ;  msbs: dst=0 src0=0 src1=0 src2=0
	v_add3_u32 v95, v95, v118, v96
	s_set_vgpr_msb 20                       ;  msbs: dst=0 src0=0 src1=1 src2=1
	s_delay_alu instid0(VALU_DEP_2) | instskip(SKIP_1) | instid1(VALU_DEP_2)
	v_add3_u32 v93, v93, v66 /*v322*/, v67 /*v323*/
	s_set_vgpr_msb 16                       ;  msbs: dst=0 src0=0 src1=0 src2=1
	v_add3_u32 v95, v95, v120, v68 /*v324*/
	s_set_vgpr_msb 20                       ;  msbs: dst=0 src0=0 src1=1 src2=1
	s_delay_alu instid0(VALU_DEP_2)
	v_add3_u32 v93, v93, v71 /*v327*/, v74 /*v330*/
	s_wait_dscnt 0x0
	s_set_vgpr_msb 0x41                     ;  msbs: dst=1 src0=1 src1=0 src2=0
	v_bfe_u32 v61 /*v317*/, v60 /*v316*/, 4, 4
	s_set_vgpr_msb 0x44                     ;  msbs: dst=1 src0=0 src1=1 src2=0
	v_lshrrev_b16 v66 /*v322*/, 8, v60 /*v316*/
	v_and_b32_e32 v60 /*v316*/, 15, v60 /*v316*/
	v_add3_u32 v136 /*v392*/, v95, v69 /*v325*/, v98
	s_set_vgpr_msb 0                        ;  msbs: dst=0 src0=0 src1=0 src2=0
	v_or_b32_e32 v95, s18, v73
	s_set_vgpr_msb 0x44                     ;  msbs: dst=1 src0=0 src1=1 src2=0
	v_mul_lo_u32 v61 /*v317*/, 0x1010101, v61 /*v317*/
	v_and_b32_e32 v59 /*v315*/, 0xffff, v66 /*v322*/
	s_set_vgpr_msb 0                        ;  msbs: dst=0 src0=0 src1=0 src2=0
	v_dual_lshlrev_b32 v96, 2, v95 :: v_dual_lshrrev_b32 v95, 1, v95
	s_set_vgpr_msb 0x44                     ;  msbs: dst=1 src0=0 src1=1 src2=0
	s_delay_alu instid0(VALU_DEP_2)
	v_dual_lshrrev_b32 v59 /*v315*/, 4, v59 /*v315*/ :: v_dual_lshrrev_b32 v65 /*v321*/, 24, v61 /*v317*/
	s_set_vgpr_msb 0x41                     ;  msbs: dst=1 src0=1 src1=0 src2=0
	v_bfe_i32 v62 /*v318*/, v61 /*v317*/, 0, 8
	v_bfe_i32 v63 /*v319*/, v61 /*v317*/, 8, 8
	;; [unrolled: 1-line block ×3, first 2 shown]
	s_set_vgpr_msb 0x44                     ;  msbs: dst=1 src0=0 src1=1 src2=0
	v_mul_lo_u32 v61 /*v317*/, 0x1010101, v59 /*v315*/
	v_mul_i32_i24_e32 v74 /*v330*/, v110, v65 /*v321*/
	v_mul_i32_i24_e32 v93 /*v349*/, v124, v62 /*v318*/
	s_set_vgpr_msb 0x45                     ;  msbs: dst=1 src0=1 src1=1 src2=0
	v_mul_i32_i24_e32 v94 /*v350*/, v87 /*v343*/, v62 /*v318*/
	s_set_vgpr_msb 0x54                     ;  msbs: dst=1 src0=0 src1=1 src2=1
	v_mul_i32_i24_e32 v91 /*v347*/, v111, v64 /*v320*/
	v_mad_i32_i24 v93 /*v349*/, v122, v63 /*v319*/, v93 /*v349*/
	s_set_vgpr_msb 0x55                     ;  msbs: dst=1 src0=1 src1=1 src2=1
	v_mad_i32_i24 v94 /*v350*/, v86 /*v342*/, v63 /*v319*/, v94 /*v350*/
	v_bfe_i32 v67 /*v323*/, v61 /*v317*/, 0, 8
	s_delay_alu instid0(VALU_DEP_3)
	v_add3_u32 v74 /*v330*/, v93 /*v349*/, v91 /*v347*/, v74 /*v330*/
	v_and_b32_e32 v91 /*v347*/, 15, v66 /*v322*/
	v_and_b32_e32 v66 /*v322*/, 0xffff, v60 /*v316*/
	v_mul_i32_i24_e32 v93 /*v349*/, v85 /*v341*/, v64 /*v320*/
	v_bfe_i32 v59 /*v315*/, v61 /*v317*/, 8, 8
	v_mul_i32_i24_e32 v130 /*v386*/, v83 /*v339*/, v67 /*v323*/
	v_and_b32_e32 v60 /*v316*/, 0xffff, v91 /*v347*/
	v_mul_i32_i24_e32 v91 /*v347*/, v84 /*v340*/, v65 /*v321*/
	s_set_vgpr_msb 0x44                     ;  msbs: dst=1 src0=0 src1=1 src2=0
	v_mul_i32_i24_e32 v71 /*v327*/, v108, v67 /*v323*/
	s_set_vgpr_msb 0x55                     ;  msbs: dst=1 src0=1 src1=1 src2=1
	s_delay_alu instid0(VALU_DEP_2) | instskip(SKIP_4) | instid1(VALU_DEP_1)
	v_add3_u32 v131 /*v387*/, v94 /*v350*/, v93 /*v349*/, v91 /*v347*/
	v_mul_i32_i24_e32 v91 /*v347*/, v8 /*v264*/, v88 /*v344*/
	s_set_vgpr_msb 0x44                     ;  msbs: dst=1 src0=0 src1=1 src2=0
	v_mul_i32_i24_e32 v93 /*v349*/, v209, v113 /*v369*/
	s_set_vgpr_msb 20                       ;  msbs: dst=0 src0=0 src1=1 src2=1
	v_add3_u32 v93, v93, v90 /*v346*/, v93 /*v349*/
	s_set_vgpr_msb 0x55                     ;  msbs: dst=1 src0=1 src1=1 src2=1
	v_add3_u32 v90 /*v346*/, v92 /*v348*/, v103 /*v359*/, v91 /*v347*/
	v_mul_i32_i24_e32 v91 /*v347*/, v109 /*v365*/, v62 /*v318*/
	s_set_vgpr_msb 0x44                     ;  msbs: dst=1 src0=0 src1=1 src2=0
	v_mul_lo_u32 v133 /*v389*/, v93, v66 /*v322*/
	s_set_vgpr_msb 0x45                     ;  msbs: dst=1 src0=1 src1=1 src2=0
	v_mul_lo_u32 v132 /*v388*/, v90 /*v346*/, v60 /*v316*/
	s_set_vgpr_msb 5                        ;  msbs: dst=0 src0=1 src1=1 src2=0
	v_mul_i32_i24_e32 v93, v112 /*v368*/, v65 /*v321*/
	s_set_vgpr_msb 0x55                     ;  msbs: dst=1 src0=1 src1=1 src2=1
	v_mul_i32_i24_e32 v90 /*v346*/, v110 /*v366*/, v64 /*v320*/
	v_mad_i32_i24 v91 /*v347*/, v111 /*v367*/, v63 /*v319*/, v91 /*v347*/
	s_set_vgpr_msb 0x45                     ;  msbs: dst=1 src0=1 src1=1 src2=0
	s_delay_alu instid0(VALU_DEP_1)
	v_add3_u32 v134 /*v390*/, v91 /*v347*/, v90 /*v346*/, v93
	s_set_vgpr_msb 0                        ;  msbs: dst=0 src0=0 src1=0 src2=0
	ds_load_b32 v95, v95 offset:30368
	s_set_vgpr_msb 64                       ;  msbs: dst=1 src0=0 src1=0 src2=0
	ds_load_b128 v[90:93] /*v[346:349]*/, v96 offset:16896
	ds_load_b128 v[94:97] /*v[350:353]*/, v96 offset:16912
	s_set_vgpr_msb 0                        ;  msbs: dst=0 src0=0 src1=0 src2=0
	v_mov_b32_e32 v93, v90
	s_wait_dscnt 0x1
	s_set_vgpr_msb 0x41                     ;  msbs: dst=1 src0=1 src1=0 src2=0
	v_bfe_i32 v98 /*v354*/, v93 /*v349*/, 0, 8
	v_bfe_i32 v103 /*v359*/, v93 /*v349*/, 8, 8
	;; [unrolled: 1-line block ×3, first 2 shown]
	s_set_vgpr_msb 0x44                     ;  msbs: dst=1 src0=0 src1=1 src2=0
	v_ashrrev_i32_e32 v93 /*v349*/, 24, v93 /*v349*/
	s_wait_dscnt 0x0
	s_set_vgpr_msb 0x41                     ;  msbs: dst=1 src0=1 src1=0 src2=0
	v_bfe_i32 v114 /*v370*/, v94 /*v350*/, 0, 8
	v_bfe_i32 v115 /*v371*/, v94 /*v350*/, 8, 8
	v_bfe_i32 v116 /*v372*/, v94 /*v350*/, 16, 8
	s_set_vgpr_msb 0x44                     ;  msbs: dst=1 src0=0 src1=1 src2=0
	v_ashrrev_i32_e32 v94 /*v350*/, 24, v94 /*v350*/
	s_set_vgpr_msb 0x41                     ;  msbs: dst=1 src0=1 src1=0 src2=0
	v_bfe_i32 v117 /*v373*/, v95 /*v351*/, 0, 8
	v_bfe_i32 v118 /*v374*/, v95 /*v351*/, 8, 8
	v_bfe_i32 v119 /*v375*/, v95 /*v351*/, 16, 8
	s_set_vgpr_msb 0x44                     ;  msbs: dst=1 src0=0 src1=1 src2=0
	v_ashrrev_i32_e32 v95 /*v351*/, 24, v95 /*v351*/
	;; [unrolled: 6-line block ×4, first 2 shown]
	s_set_vgpr_msb 5                        ;  msbs: dst=0 src0=1 src1=1 src2=0
	v_add_nc_u32_e32 v96, v95 /*v351*/, v94 /*v350*/
	v_ashrrev_i32_e32 v114, 24, v90 /*v346*/
	s_set_vgpr_msb 0x44                     ;  msbs: dst=1 src0=0 src1=1 src2=0
	v_ashrrev_i32_e32 v81 /*v337*/, 24, v91 /*v347*/
	s_set_vgpr_msb 1                        ;  msbs: dst=0 src0=1 src1=0 src2=0
	v_bfe_i32 v98, v90 /*v346*/, 0, 8
	v_bfe_i32 v99, v90 /*v346*/, 8, 8
	s_set_vgpr_msb 0x54                     ;  msbs: dst=1 src0=0 src1=1 src2=1
	v_add3_u32 v68 /*v324*/, v96, v96 /*v352*/, v97 /*v353*/
	s_set_vgpr_msb 5                        ;  msbs: dst=0 src0=1 src1=1 src2=0
	v_add_nc_u32_e32 v96, v119 /*v375*/, v116 /*v372*/
	v_bfe_i32 v101, v90 /*v346*/, 16, 8
	v_bfe_i32 v118, v91 /*v347*/, 0, 8
	;; [unrolled: 1-line block ×3, first 2 shown]
	s_set_vgpr_msb 0x41                     ;  msbs: dst=1 src0=1 src1=0 src2=0
	v_bfe_i32 v76 /*v332*/, v91 /*v347*/, 16, 8
	s_set_vgpr_msb 0x54                     ;  msbs: dst=1 src0=0 src1=1 src2=1
	v_add3_u32 v69 /*v325*/, v96, v122 /*v378*/, v126 /*v382*/
	s_set_vgpr_msb 5                        ;  msbs: dst=0 src0=1 src1=1 src2=0
	v_add_nc_u32_e32 v96, v117 /*v373*/, v114 /*v370*/
	s_set_vgpr_msb 0x41                     ;  msbs: dst=1 src0=1 src1=0 src2=0
	v_bfe_i32 v82 /*v338*/, v92 /*v348*/, 0, 8
	v_bfe_i32 v90 /*v346*/, v92 /*v348*/, 8, 8
	;; [unrolled: 1-line block ×3, first 2 shown]
	s_set_vgpr_msb 0x54                     ;  msbs: dst=1 src0=0 src1=1 src2=1
	v_ashrrev_i32_e32 v92 /*v348*/, 24, v92 /*v348*/
	v_add3_u32 v137 /*v393*/, v96, v120 /*v376*/, v123 /*v379*/
	s_set_vgpr_msb 5                        ;  msbs: dst=0 src0=1 src1=1 src2=0
	v_add_nc_u32_e32 v96, v118 /*v374*/, v115 /*v371*/
	s_set_vgpr_msb 0                        ;  msbs: dst=0 src0=0 src1=0 src2=0
	v_mul_i32_i24_e32 v106, v224, v101
	s_set_vgpr_msb 64                       ;  msbs: dst=1 src0=0 src1=0 src2=0
	v_mul_i32_i24_e32 v75 /*v331*/, v127, v114
	s_set_vgpr_msb 0x54                     ;  msbs: dst=1 src0=0 src1=1 src2=1
	v_mul_i32_i24_e32 v128 /*v384*/, v226, v76 /*v332*/
	v_mul_i32_i24_e32 v143 /*v399*/, v228, v81 /*v337*/
	v_add3_u32 v138 /*v394*/, v96, v121 /*v377*/, v124 /*v380*/
	s_set_vgpr_msb 1                        ;  msbs: dst=0 src0=1 src1=0 src2=0
	v_add_nc_u32_e32 v96, v81 /*v337*/, v114
	s_set_vgpr_msb 0x54                     ;  msbs: dst=1 src0=0 src1=1 src2=1
	v_mul_i32_i24_e32 v144 /*v400*/, v230, v82 /*v338*/
	v_mul_i32_i24_e32 v145 /*v401*/, v232, v90 /*v346*/
	;; [unrolled: 1-line block ×4, first 2 shown]
	v_add3_u32 v139 /*v395*/, v96, v92 /*v348*/, v93 /*v349*/
	s_set_vgpr_msb 1                        ;  msbs: dst=0 src0=1 src1=0 src2=0
	v_add_nc_u32_e32 v96, v76 /*v332*/, v101
	s_set_vgpr_msb 0x54                     ;  msbs: dst=1 src0=0 src1=1 src2=1
	v_mul_i32_i24_e32 v148 /*v404*/, v239, v98 /*v354*/
	v_mul_i32_i24_e32 v149 /*v405*/, v241, v103 /*v359*/
	v_mul_i32_i24_e32 v150 /*v406*/, v244, v104 /*v360*/
	v_mul_i32_i24_e32 v151 /*v407*/, v116, v93 /*v349*/
	v_add3_u32 v140 /*v396*/, v96, v91 /*v347*/, v104 /*v360*/
	s_set_vgpr_msb 0                        ;  msbs: dst=0 src0=0 src1=0 src2=0
	v_add_nc_u32_e32 v96, v120, v99
	s_set_vgpr_msb 0x54                     ;  msbs: dst=1 src0=0 src1=1 src2=1
	v_mul_i32_i24_e32 v152 /*v408*/, v246, v97 /*v353*/
	v_mul_i32_i24_e32 v153 /*v409*/, v109, v93 /*v349*/
	;; [unrolled: 1-line block ×4, first 2 shown]
	v_add3_u32 v141 /*v397*/, v96, v90 /*v346*/, v103 /*v359*/
	s_set_vgpr_msb 0                        ;  msbs: dst=0 src0=0 src1=0 src2=0
	v_add_nc_u32_e32 v96, v118, v98
	s_set_vgpr_msb 0x45                     ;  msbs: dst=1 src0=1 src1=1 src2=0
	v_mul_i32_i24_e32 v156 /*v412*/, v8 /*v264*/, v97 /*v353*/
	s_set_vgpr_msb 0x54                     ;  msbs: dst=1 src0=0 src1=1 src2=1
	v_mul_i32_i24_e32 v93 /*v349*/, v188, v93 /*v349*/
	v_add3_u32 v142 /*v398*/, v96, v82 /*v338*/, v98 /*v354*/
	s_set_vgpr_msb 0                        ;  msbs: dst=0 src0=0 src1=0 src2=0
	v_mul_i32_i24_e32 v96, v121, v98
	s_delay_alu instid0(VALU_DEP_1) | instskip(SKIP_1) | instid1(VALU_DEP_1)
	v_mad_i32_i24 v96, v119, v99, v96
	s_set_vgpr_msb 16                       ;  msbs: dst=0 src0=0 src1=0 src2=1
	v_add3_u32 v96, v96, v106, v75 /*v331*/
	v_mul_i32_i24_e32 v106, v222, v118
	s_set_vgpr_msb 64                       ;  msbs: dst=1 src0=0 src1=0 src2=0
	v_mul_i32_i24_e32 v75 /*v331*/, v225, v120
	s_set_vgpr_msb 16                       ;  msbs: dst=0 src0=0 src1=0 src2=1
	s_delay_alu instid0(VALU_DEP_1)
	v_add3_u32 v96, v96, v106, v75 /*v331*/
	s_set_vgpr_msb 4                        ;  msbs: dst=0 src0=0 src1=1 src2=0
	v_mul_i32_i24_e32 v106, v255, v114 /*v370*/
	s_set_vgpr_msb 0x45                     ;  msbs: dst=1 src0=1 src1=1 src2=0
	v_mul_i32_i24_e32 v75 /*v331*/, v2 /*v258*/, v116 /*v372*/
	s_set_vgpr_msb 20                       ;  msbs: dst=0 src0=0 src1=1 src2=1
	v_add3_u32 v96, v96, v128 /*v384*/, v143 /*v399*/
	s_set_vgpr_msb 0x45                     ;  msbs: dst=1 src0=1 src1=1 src2=0
	v_mul_i32_i24_e32 v128 /*v384*/, v4 /*v260*/, v94 /*v350*/
	s_set_vgpr_msb 4                        ;  msbs: dst=0 src0=0 src1=1 src2=0
	v_mad_i32_i24 v106, v251, v115 /*v371*/, v106
	s_set_vgpr_msb 0x45                     ;  msbs: dst=1 src0=1 src1=1 src2=0
	v_mul_i32_i24_e32 v143 /*v399*/, v11 /*v267*/, v119 /*v375*/
	s_set_vgpr_msb 20                       ;  msbs: dst=0 src0=0 src1=1 src2=1
	v_add3_u32 v96, v96, v144 /*v400*/, v145 /*v401*/
	s_set_vgpr_msb 0x45                     ;  msbs: dst=1 src0=1 src1=1 src2=0
	v_mul_i32_i24_e32 v144 /*v400*/, v13 /*v269*/, v95 /*v351*/
	s_set_vgpr_msb 20                       ;  msbs: dst=0 src0=0 src1=1 src2=1
	v_add3_u32 v106, v106, v75 /*v331*/, v128 /*v384*/
	s_set_vgpr_msb 0x45                     ;  msbs: dst=1 src0=1 src1=1 src2=0
	v_mul_i32_i24_e32 v75 /*v331*/, v6 /*v262*/, v117 /*v373*/
	v_mul_i32_i24_e32 v128 /*v384*/, v9 /*v265*/, v118 /*v374*/
	s_set_vgpr_msb 20                       ;  msbs: dst=0 src0=0 src1=1 src2=1
	v_add3_u32 v96, v96, v146 /*v402*/, v147 /*v403*/
	s_set_vgpr_msb 0x45                     ;  msbs: dst=1 src0=1 src1=1 src2=0
	v_mul_i32_i24_e32 v145 /*v401*/, v15 /*v271*/, v120 /*v376*/
	v_mul_i32_i24_e32 v146 /*v402*/, v16 /*v272*/, v121 /*v377*/
	v_mul_i32_i24_e32 v147 /*v403*/, v17 /*v273*/, v122 /*v378*/
	s_set_vgpr_msb 20                       ;  msbs: dst=0 src0=0 src1=1 src2=1
	v_add3_u32 v106, v106, v75 /*v331*/, v128 /*v384*/
	v_add3_u32 v96, v96, v148 /*v404*/, v149 /*v405*/
	s_set_vgpr_msb 0x45                     ;  msbs: dst=1 src0=1 src1=1 src2=0
	v_mul_i32_i24_e32 v148 /*v404*/, v19 /*v275*/, v96 /*v352*/
	v_mul_i32_i24_e32 v149 /*v405*/, v21 /*v277*/, v123 /*v379*/
	v_mul_i32_i24_e32 v75 /*v331*/, v137 /*v393*/, v58 /*v314*/
	s_set_vgpr_msb 20                       ;  msbs: dst=0 src0=0 src1=1 src2=1
	v_add3_u32 v106, v106, v143 /*v399*/, v144 /*v400*/
	;; [unrolled: 7-line block ×3, first 2 shown]
	v_mul_lo_u32 v96, v96, v57 /*v313*/
	s_set_vgpr_msb 0x45                     ;  msbs: dst=1 src0=1 src1=1 src2=0
	v_mul_i32_i24_e32 v145 /*v401*/, v142 /*v398*/, v72 /*v328*/
	v_mul_i32_i24_e32 v144 /*v400*/, v140 /*v396*/, v73 /*v329*/
	;; [unrolled: 1-line block ×3, first 2 shown]
	s_set_vgpr_msb 20                       ;  msbs: dst=0 src0=0 src1=1 src2=1
	v_add3_u32 v106, v106, v147 /*v403*/, v148 /*v404*/
	s_set_vgpr_msb 0x44                     ;  msbs: dst=1 src0=0 src1=1 src2=0
	v_mul_i32_i24_e32 v146 /*v402*/, v211, v82 /*v338*/
	s_set_vgpr_msb 0x55                     ;  msbs: dst=1 src0=1 src1=1 src2=1
	v_mad_i32_i24 v145 /*v401*/, v141 /*v397*/, v70 /*v326*/, v145 /*v401*/
	s_set_vgpr_msb 0x44                     ;  msbs: dst=1 src0=0 src1=1 src2=0
	v_mul_i32_i24_e32 v147 /*v403*/, v212, v90 /*v346*/
	v_mul_i32_i24_e32 v148 /*v404*/, v213, v91 /*v347*/
	s_set_vgpr_msb 20                       ;  msbs: dst=0 src0=0 src1=1 src2=1
	v_add3_u32 v106, v106, v149 /*v405*/, v150 /*v406*/
	s_set_vgpr_msb 0x44                     ;  msbs: dst=1 src0=0 src1=1 src2=0
	v_mul_i32_i24_e32 v149 /*v405*/, v214, v92 /*v348*/
	s_set_vgpr_msb 0x55                     ;  msbs: dst=1 src0=1 src1=1 src2=1
	v_add3_u32 v143 /*v399*/, v145 /*v401*/, v144 /*v400*/, v143 /*v399*/
	s_set_vgpr_msb 0x44                     ;  msbs: dst=1 src0=0 src1=1 src2=0
	v_mul_i32_i24_e32 v144 /*v400*/, v208, v76 /*v332*/
	v_mul_i32_i24_e32 v145 /*v401*/, v210, v81 /*v337*/
	s_set_vgpr_msb 20                       ;  msbs: dst=0 src0=0 src1=1 src2=1
	v_add3_u32 v106, v106, v151 /*v407*/, v152 /*v408*/
	s_set_vgpr_msb 0x44                     ;  msbs: dst=1 src0=0 src1=1 src2=0
	v_mul_i32_i24_e32 v150 /*v406*/, v215, v98 /*v354*/
	s_set_vgpr_msb 0x55                     ;  msbs: dst=1 src0=1 src1=1 src2=1
	v_add3_u32 v143 /*v399*/, v143 /*v399*/, v75 /*v331*/, v128 /*v384*/
	s_set_vgpr_msb 64                       ;  msbs: dst=1 src0=0 src1=0 src2=0
	v_mul_i32_i24_e32 v75 /*v331*/, v206, v101
	v_mul_i32_i24_e32 v128 /*v384*/, v204, v114
	s_set_vgpr_msb 4                        ;  msbs: dst=0 src0=0 src1=1 src2=0
	v_mad_u32 v96, v106, v54 /*v310*/, v96
	s_set_vgpr_msb 0x44                     ;  msbs: dst=1 src0=0 src1=1 src2=0
	v_mul_i32_i24_e32 v151 /*v407*/, v216, v103 /*v359*/
	v_mul_i32_i24_e32 v152 /*v408*/, v217, v104 /*v360*/
	s_set_vgpr_msb 0                        ;  msbs: dst=0 src0=0 src1=0 src2=0
	s_delay_alu instid0(VALU_DEP_3) | instskip(SKIP_1) | instid1(VALU_DEP_1)
	v_cvt_f32_i32_e32 v106, v96
	v_mul_i32_i24_e32 v96, v125, v98
	v_mad_i32_i24 v96, v123, v99, v96
	s_set_vgpr_msb 20                       ;  msbs: dst=0 src0=0 src1=1 src2=1
	s_delay_alu instid0(VALU_DEP_1) | instskip(SKIP_4) | instid1(VALU_DEP_1)
	v_add3_u32 v96, v96, v75 /*v331*/, v128 /*v384*/
	s_set_vgpr_msb 64                       ;  msbs: dst=1 src0=0 src1=0 src2=0
	v_mul_i32_i24_e32 v75 /*v331*/, v205, v118
	v_mul_i32_i24_e32 v128 /*v384*/, v207, v120
	s_set_vgpr_msb 20                       ;  msbs: dst=0 src0=0 src1=1 src2=1
	v_add3_u32 v96, v96, v75 /*v331*/, v128 /*v384*/
	s_set_vgpr_msb 0x44                     ;  msbs: dst=1 src0=0 src1=1 src2=0
	v_mul_i32_i24_e32 v75 /*v331*/, v221, v116 /*v372*/
	s_set_vgpr_msb 20                       ;  msbs: dst=0 src0=0 src1=1 src2=1
	s_delay_alu instid0(VALU_DEP_2)
	v_add3_u32 v96, v96, v144 /*v400*/, v145 /*v401*/
	s_set_vgpr_msb 0x44                     ;  msbs: dst=1 src0=0 src1=1 src2=0
	v_mul_i32_i24_e32 v144 /*v400*/, v223, v94 /*v350*/
	v_mul_i32_i24_e32 v145 /*v401*/, v231, v119 /*v375*/
	s_set_vgpr_msb 20                       ;  msbs: dst=0 src0=0 src1=1 src2=1
	v_add3_u32 v96, v96, v146 /*v402*/, v147 /*v403*/
	s_set_vgpr_msb 0x44                     ;  msbs: dst=1 src0=0 src1=1 src2=0
	v_mul_i32_i24_e32 v146 /*v402*/, v233, v95 /*v351*/
	v_mul_i32_i24_e32 v147 /*v403*/, v235, v120 /*v376*/
	s_set_vgpr_msb 20                       ;  msbs: dst=0 src0=0 src1=1 src2=1
	;; [unrolled: 5-line block ×3, first 2 shown]
	v_add3_u32 v96, v96, v150 /*v406*/, v151 /*v407*/
	s_set_vgpr_msb 0x54                     ;  msbs: dst=1 src0=0 src1=1 src2=1
	v_mul_i32_i24_e32 v150 /*v406*/, v242, v96 /*v352*/
	v_mul_i32_i24_e32 v151 /*v407*/, v245, v123 /*v379*/
	s_delay_alu instid0(VALU_DEP_3)
	v_add3_u32 v128 /*v384*/, v96, v152 /*v408*/, v153 /*v409*/
	s_set_vgpr_msb 4                        ;  msbs: dst=0 src0=0 src1=1 src2=0
	v_mul_i32_i24_e32 v96, v220, v114 /*v370*/
	s_set_vgpr_msb 0x44                     ;  msbs: dst=1 src0=0 src1=1 src2=0
	v_mul_i32_i24_e32 v152 /*v408*/, v247, v124 /*v380*/
	v_mul_i32_i24_e32 v153 /*v409*/, v249, v126 /*v382*/
	s_set_vgpr_msb 4                        ;  msbs: dst=0 src0=0 src1=1 src2=0
	v_mad_i32_i24 v96, v219, v115 /*v371*/, v96
	s_set_vgpr_msb 20                       ;  msbs: dst=0 src0=0 src1=1 src2=1
	s_delay_alu instid0(VALU_DEP_1) | instskip(SKIP_4) | instid1(VALU_DEP_1)
	v_add3_u32 v96, v96, v75 /*v331*/, v144 /*v400*/
	s_set_vgpr_msb 0x44                     ;  msbs: dst=1 src0=0 src1=1 src2=0
	v_mul_i32_i24_e32 v75 /*v331*/, v227, v117 /*v373*/
	v_mul_i32_i24_e32 v144 /*v400*/, v229, v118 /*v374*/
	s_set_vgpr_msb 20                       ;  msbs: dst=0 src0=0 src1=1 src2=1
	v_add3_u32 v96, v96, v75 /*v331*/, v144 /*v400*/
	s_set_vgpr_msb 64                       ;  msbs: dst=1 src0=0 src1=0 src2=0
	v_mul_i32_i24_e32 v75 /*v331*/, v252, v101
	s_set_vgpr_msb 0                        ;  msbs: dst=0 src0=0 src1=0 src2=0
	v_mul_i32_i24_e32 v101, v176, v101
	s_set_vgpr_msb 20                       ;  msbs: dst=0 src0=0 src1=1 src2=1
	v_add3_u32 v96, v96, v145 /*v401*/, v146 /*v402*/
	s_set_vgpr_msb 64                       ;  msbs: dst=1 src0=0 src1=0 src2=0
	v_mul_i32_i24_e32 v145 /*v401*/, v248, v114
	s_set_vgpr_msb 0x44                     ;  msbs: dst=1 src0=0 src1=1 src2=0
	v_mul_i32_i24_e32 v146 /*v402*/, v254, v76 /*v332*/
	s_set_vgpr_msb 0                        ;  msbs: dst=0 src0=0 src1=0 src2=0
	v_mul_i32_i24_e32 v114, v174, v114
	s_set_vgpr_msb 20                       ;  msbs: dst=0 src0=0 src1=1 src2=1
	v_add3_u32 v96, v96, v147 /*v403*/, v148 /*v404*/
	s_set_vgpr_msb 0x45                     ;  msbs: dst=1 src0=1 src1=1 src2=0
	v_mul_i32_i24_e32 v147 /*v403*/, v0 /*v256*/, v81 /*v337*/
	v_mul_i32_i24_e32 v148 /*v404*/, v1 /*v257*/, v82 /*v338*/
	s_set_vgpr_msb 20                       ;  msbs: dst=0 src0=0 src1=1 src2=1
	v_add3_u32 v96, v96, v149 /*v405*/, v150 /*v406*/
	s_set_vgpr_msb 0x45                     ;  msbs: dst=1 src0=1 src1=1 src2=0
	v_mul_i32_i24_e32 v149 /*v405*/, v3 /*v259*/, v90 /*v346*/
	v_mul_i32_i24_e32 v150 /*v406*/, v5 /*v261*/, v91 /*v347*/
	s_set_vgpr_msb 20                       ;  msbs: dst=0 src0=0 src1=1 src2=1
	v_add3_u32 v96, v96, v151 /*v407*/, v152 /*v408*/
	s_set_vgpr_msb 0x45                     ;  msbs: dst=1 src0=1 src1=1 src2=0
	v_mul_i32_i24_e32 v151 /*v407*/, v7 /*v263*/, v92 /*v348*/
	v_mul_i32_i24_e32 v152 /*v408*/, v10 /*v266*/, v98 /*v354*/
	s_set_vgpr_msb 0x54                     ;  msbs: dst=1 src0=0 src1=1 src2=1
	v_add3_u32 v144 /*v400*/, v96, v153 /*v409*/, v154 /*v410*/
	s_set_vgpr_msb 0                        ;  msbs: dst=0 src0=0 src1=0 src2=0
	v_mul_i32_i24_e32 v96, v243, v98
	v_mul_i32_i24_e32 v98, v173, v98
	s_set_vgpr_msb 0x45                     ;  msbs: dst=1 src0=1 src1=1 src2=0
	v_mul_i32_i24_e32 v153 /*v409*/, v12 /*v268*/, v103 /*v359*/
	v_mul_i32_i24_e32 v154 /*v410*/, v14 /*v270*/, v104 /*v360*/
	s_set_vgpr_msb 0                        ;  msbs: dst=0 src0=0 src1=0 src2=0
	v_mad_i32_i24 v96, v238, v99, v96
	v_mad_i32_i24 v98, v172, v99, v98
	v_mul_i32_i24_e32 v99, v175, v118
	s_set_vgpr_msb 20                       ;  msbs: dst=0 src0=0 src1=1 src2=1
	s_delay_alu instid0(VALU_DEP_3)
	v_add3_u32 v96, v96, v75 /*v331*/, v145 /*v401*/
	s_set_vgpr_msb 64                       ;  msbs: dst=1 src0=0 src1=0 src2=0
	v_mul_i32_i24_e32 v75 /*v331*/, v250, v118
	v_mul_i32_i24_e32 v145 /*v401*/, v253, v120
	s_set_vgpr_msb 0                        ;  msbs: dst=0 src0=0 src1=0 src2=0
	v_add3_u32 v98, v98, v101, v114
	v_mul_i32_i24_e32 v101, v177, v120
	s_set_vgpr_msb 20                       ;  msbs: dst=0 src0=0 src1=1 src2=1
	v_mul_i32_i24_e32 v114, v178, v76 /*v332*/
	v_mul_i32_i24_e32 v118, v179, v81 /*v337*/
	v_add3_u32 v96, v96, v75 /*v331*/, v145 /*v401*/
	s_set_vgpr_msb 0x45                     ;  msbs: dst=1 src0=1 src1=1 src2=0
	v_mul_i32_i24_e32 v75 /*v331*/, v20 /*v276*/, v114 /*v370*/
	v_mul_i32_i24_e32 v145 /*v401*/, v23 /*v279*/, v116 /*v372*/
	s_set_vgpr_msb 0                        ;  msbs: dst=0 src0=0 src1=0 src2=0
	v_add3_u32 v98, v98, v99, v101
	s_set_vgpr_msb 20                       ;  msbs: dst=0 src0=0 src1=1 src2=1
	v_mul_i32_i24_e32 v120, v180, v82 /*v338*/
	v_add3_u32 v96, v96, v146 /*v402*/, v147 /*v403*/
	s_set_vgpr_msb 0x55                     ;  msbs: dst=1 src0=1 src1=1 src2=1
	v_mul_i32_i24_e32 v146 /*v402*/, v25 /*v281*/, v94 /*v350*/
	v_mad_i32_i24 v75 /*v331*/, v18 /*v274*/, v115 /*v371*/, v75 /*v331*/
	v_mul_i32_i24_e32 v147 /*v403*/, v28 /*v284*/, v119 /*v375*/
	s_set_vgpr_msb 0x44                     ;  msbs: dst=1 src0=0 src1=1 src2=0
	v_mul_i32_i24_e32 v76 /*v332*/, v181, v90 /*v346*/
	s_set_vgpr_msb 20                       ;  msbs: dst=0 src0=0 src1=1 src2=1
	v_add3_u32 v96, v96, v148 /*v404*/, v149 /*v405*/
	s_set_vgpr_msb 0x55                     ;  msbs: dst=1 src0=1 src1=1 src2=1
	v_mul_i32_i24_e32 v148 /*v404*/, v29 /*v285*/, v95 /*v351*/
	v_add3_u32 v75 /*v331*/, v75 /*v331*/, v145 /*v401*/, v146 /*v402*/
	v_mul_i32_i24_e32 v145 /*v401*/, v26 /*v282*/, v117 /*v373*/
	v_mul_i32_i24_e32 v146 /*v402*/, v27 /*v283*/, v118 /*v374*/
	s_set_vgpr_msb 20                       ;  msbs: dst=0 src0=0 src1=1 src2=1
	v_add3_u32 v96, v96, v150 /*v406*/, v151 /*v407*/
	s_set_vgpr_msb 0x55                     ;  msbs: dst=1 src0=1 src1=1 src2=1
	v_mul_i32_i24_e32 v149 /*v405*/, v30 /*v286*/, v120 /*v376*/
	v_mul_i32_i24_e32 v150 /*v406*/, v31 /*v287*/, v121 /*v377*/
	;; [unrolled: 1-line block ×3, first 2 shown]
	v_add3_u32 v75 /*v331*/, v75 /*v331*/, v145 /*v401*/, v146 /*v402*/
	s_set_vgpr_msb 20                       ;  msbs: dst=0 src0=0 src1=1 src2=1
	v_add3_u32 v96, v96, v152 /*v408*/, v153 /*v409*/
	s_set_vgpr_msb 0x45                     ;  msbs: dst=1 src0=1 src1=1 src2=0
	v_mul_i32_i24_e32 v152 /*v408*/, v33 /*v289*/, v96 /*v352*/
	s_set_vgpr_msb 0                        ;  msbs: dst=0 src0=0 src1=0 src2=0
	v_add3_u32 v98, v98, v114, v118
	s_set_vgpr_msb 0x55                     ;  msbs: dst=1 src0=1 src1=1 src2=1
	v_mul_i32_i24_e32 v153 /*v409*/, v34 /*v290*/, v123 /*v379*/
	v_add3_u32 v75 /*v331*/, v75 /*v331*/, v147 /*v403*/, v148 /*v404*/
	s_set_vgpr_msb 20                       ;  msbs: dst=0 src0=0 src1=1 src2=1
	v_add3_u32 v96, v96, v154 /*v410*/, v155 /*v411*/
	s_set_vgpr_msb 0x45                     ;  msbs: dst=1 src0=1 src1=1 src2=0
	v_mul_i32_i24_e32 v154 /*v410*/, v35 /*v291*/, v124 /*v380*/
	s_set_vgpr_msb 0x44                     ;  msbs: dst=1 src0=0 src1=1 src2=0
	v_mul_i32_i24_e32 v81 /*v337*/, v182, v91 /*v347*/
	v_mul_i32_i24_e32 v82 /*v338*/, v183, v92 /*v348*/
	s_set_vgpr_msb 0x55                     ;  msbs: dst=1 src0=1 src1=1 src2=1
	v_add3_u32 v75 /*v331*/, v75 /*v331*/, v149 /*v405*/, v150 /*v406*/
	s_set_vgpr_msb 16                       ;  msbs: dst=0 src0=0 src1=0 src2=1
	v_add3_u32 v98, v98, v120, v76 /*v332*/
	s_set_vgpr_msb 4                        ;  msbs: dst=0 src0=0 src1=1 src2=0
	v_mul_lo_u32 v96, v96, v66 /*v322*/
	s_set_vgpr_msb 0x45                     ;  msbs: dst=1 src0=1 src1=1 src2=0
	v_mul_i32_i24_e32 v155 /*v411*/, v36 /*v292*/, v126 /*v382*/
	s_set_vgpr_msb 0x44                     ;  msbs: dst=1 src0=0 src1=1 src2=0
	v_mul_i32_i24_e32 v90 /*v346*/, v184, v98 /*v354*/
	s_set_vgpr_msb 0x55                     ;  msbs: dst=1 src0=1 src1=1 src2=1
	v_add3_u32 v75 /*v331*/, v75 /*v331*/, v151 /*v407*/, v152 /*v408*/
	s_set_vgpr_msb 0x44                     ;  msbs: dst=1 src0=0 src1=1 src2=0
	v_mul_i32_i24_e32 v91 /*v347*/, v185, v103 /*v359*/
	s_set_vgpr_msb 20                       ;  msbs: dst=0 src0=0 src1=1 src2=1
	v_add3_u32 v98, v98, v81 /*v337*/, v82 /*v338*/
	s_set_vgpr_msb 0x44                     ;  msbs: dst=1 src0=0 src1=1 src2=0
	v_mul_i32_i24_e32 v92 /*v348*/, v186, v104 /*v360*/
	s_set_vgpr_msb 4                        ;  msbs: dst=0 src0=0 src1=1 src2=0
	v_mul_i32_i24_e32 v99, v190, v116 /*v372*/
	s_set_vgpr_msb 0x55                     ;  msbs: dst=1 src0=1 src1=1 src2=1
	v_add3_u32 v75 /*v331*/, v75 /*v331*/, v153 /*v409*/, v154 /*v410*/
	s_set_vgpr_msb 20                       ;  msbs: dst=0 src0=0 src1=1 src2=1
	v_mul_i32_i24_e32 v101, v191, v94 /*v350*/
	v_add3_u32 v98, v98, v90 /*v346*/, v91 /*v347*/
	v_mul_i32_i24_e32 v114, v194, v119 /*v375*/
	v_mul_i32_i24_e32 v118, v195, v95 /*v351*/
	s_set_vgpr_msb 0x55                     ;  msbs: dst=1 src0=1 src1=1 src2=1
	v_add3_u32 v145 /*v401*/, v75 /*v331*/, v155 /*v411*/, v156 /*v412*/
	s_set_vgpr_msb 4                        ;  msbs: dst=0 src0=0 src1=1 src2=0
	v_mul_i32_i24_e32 v120, v196, v120 /*v376*/
	s_set_vgpr_msb 0x44                     ;  msbs: dst=1 src0=0 src1=1 src2=0
	v_mul_i32_i24_e32 v76 /*v332*/, v197, v121 /*v377*/
	s_set_vgpr_msb 0x45                     ;  msbs: dst=1 src0=1 src1=1 src2=0
	v_mul_i32_i24_e32 v149 /*v405*/, v142 /*v398*/, v62 /*v318*/
	s_set_vgpr_msb 0x44                     ;  msbs: dst=1 src0=0 src1=1 src2=0
	v_mul_i32_i24_e32 v81 /*v337*/, v198, v122 /*v378*/
	s_set_vgpr_msb 5                        ;  msbs: dst=0 src0=1 src1=1 src2=0
	v_mad_u32 v96, v145 /*v401*/, v60 /*v316*/, v96
	s_set_vgpr_msb 0x54                     ;  msbs: dst=1 src0=0 src1=1 src2=1
	v_add3_u32 v145 /*v401*/, v98, v92 /*v348*/, v93 /*v349*/
	s_set_vgpr_msb 4                        ;  msbs: dst=0 src0=0 src1=1 src2=0
	v_mul_i32_i24_e32 v98, v189, v114 /*v370*/
	s_set_vgpr_msb 0x44                     ;  msbs: dst=1 src0=0 src1=1 src2=0
	v_mul_i32_i24_e32 v82 /*v338*/, v199, v96 /*v352*/
	s_set_vgpr_msb 0x55                     ;  msbs: dst=1 src0=1 src1=1 src2=1
	v_mul_i32_i24_e32 v147 /*v403*/, v139 /*v395*/, v65 /*v321*/
	v_mul_i32_i24_e32 v148 /*v404*/, v140 /*v396*/, v64 /*v320*/
	v_mad_i32_i24 v149 /*v405*/, v141 /*v397*/, v63 /*v319*/, v149 /*v405*/
	s_set_vgpr_msb 4                        ;  msbs: dst=0 src0=0 src1=1 src2=0
	v_mad_i32_i24 v98, v187, v115 /*v371*/, v98
	s_set_vgpr_msb 0x44                     ;  msbs: dst=1 src0=0 src1=1 src2=0
	v_mul_i32_i24_e32 v90 /*v346*/, v200, v123 /*v379*/
	v_mul_i32_i24_e32 v91 /*v347*/, v201, v124 /*v380*/
	s_set_vgpr_msb 0x45                     ;  msbs: dst=1 src0=1 src1=1 src2=0
	v_mul_i32_i24_e32 v75 /*v331*/, v137 /*v393*/, v67 /*v323*/
	v_mul_i32_i24_e32 v146 /*v402*/, v138 /*v394*/, v59 /*v315*/
	s_set_vgpr_msb 0                        ;  msbs: dst=0 src0=0 src1=0 src2=0
	v_add3_u32 v98, v98, v99, v101
	s_set_vgpr_msb 4                        ;  msbs: dst=0 src0=0 src1=1 src2=0
	v_mul_i32_i24_e32 v99, v192, v117 /*v373*/
	v_mul_i32_i24_e32 v101, v193, v118 /*v374*/
	s_set_vgpr_msb 0x55                     ;  msbs: dst=1 src0=1 src1=1 src2=1
	v_add3_u32 v147 /*v403*/, v149 /*v405*/, v148 /*v404*/, v147 /*v403*/
	s_set_vgpr_msb 0x44                     ;  msbs: dst=1 src0=0 src1=1 src2=0
	v_mul_i32_i24_e32 v92 /*v348*/, v202, v126 /*v382*/
	v_mul_i32_i24_e32 v93 /*v349*/, v203, v97 /*v353*/
	s_set_vgpr_msb 0                        ;  msbs: dst=0 src0=0 src1=0 src2=0
	v_cvt_f32_i32_e32 v96, v96
	v_add3_u32 v98, v98, v99, v101
	s_set_vgpr_msb 0x55                     ;  msbs: dst=1 src0=1 src1=1 src2=1
	v_add3_u32 v75 /*v331*/, v147 /*v403*/, v75 /*v331*/, v146 /*v402*/
	s_set_vgpr_msb 0                        ;  msbs: dst=0 src0=0 src1=0 src2=0
	s_delay_alu instid0(VALU_DEP_2) | instskip(SKIP_1) | instid1(VALU_DEP_1)
	v_add3_u32 v98, v98, v114, v118
	s_set_vgpr_msb 16                       ;  msbs: dst=0 src0=0 src1=0 src2=1
	v_add3_u32 v98, v98, v120, v76 /*v332*/
	s_set_vgpr_msb 20                       ;  msbs: dst=0 src0=0 src1=1 src2=1
	s_delay_alu instid0(VALU_DEP_1) | instskip(NEXT) | instid1(VALU_DEP_1)
	v_add3_u32 v98, v98, v81 /*v337*/, v82 /*v338*/
	v_add3_u32 v98, v98, v90 /*v346*/, v91 /*v347*/
	s_set_vgpr_msb 0x54                     ;  msbs: dst=1 src0=0 src1=1 src2=1
	s_delay_alu instid0(VALU_DEP_1) | instskip(SKIP_2) | instid1(VALU_DEP_1)
	v_add3_u32 v146 /*v402*/, v98, v92 /*v348*/, v93 /*v349*/
	s_set_vgpr_msb 0                        ;  msbs: dst=0 src0=0 src1=0 src2=0
	v_or_b32_e32 v98, s18, v77
	v_dual_lshlrev_b32 v99, 2, v98 :: v_dual_lshrrev_b32 v98, 1, v98
	s_set_vgpr_msb 64                       ;  msbs: dst=1 src0=0 src1=0 src2=0
	ds_load_b32 v76 /*v332*/, v98 offset:30368
	ds_load_b128 v[90:93] /*v[346:349]*/, v99 offset:16896
	ds_load_b128 v[116:119] /*v[372:375]*/, v99 offset:16912
	s_set_vgpr_msb 4                        ;  msbs: dst=0 src0=0 src1=1 src2=0
	ds_load_u16 v102, v102
	s_wait_dscnt 0x2
	v_ashrrev_i32_e32 v114, 24, v90 /*v346*/
	s_set_vgpr_msb 0x44                     ;  msbs: dst=1 src0=0 src1=1 src2=0
	v_ashrrev_i32_e32 v82 /*v338*/, 24, v91 /*v347*/
	s_set_vgpr_msb 1                        ;  msbs: dst=0 src0=1 src1=0 src2=0
	v_bfe_i32 v98, v90 /*v346*/, 0, 8
	v_bfe_i32 v99, v90 /*v346*/, 8, 8
	v_bfe_i32 v101, v90 /*v346*/, 16, 8
	v_bfe_i32 v118, v91 /*v347*/, 0, 8
	v_bfe_i32 v120, v91 /*v347*/, 8, 8
	s_set_vgpr_msb 0x41                     ;  msbs: dst=1 src0=1 src1=0 src2=0
	v_bfe_i32 v81 /*v337*/, v91 /*v347*/, 16, 8
	v_bfe_i32 v90 /*v346*/, v92 /*v348*/, 0, 8
	;; [unrolled: 1-line block ×4, first 2 shown]
	s_set_vgpr_msb 0x44                     ;  msbs: dst=1 src0=0 src1=1 src2=0
	v_ashrrev_i32_e32 v92 /*v348*/, 24, v92 /*v348*/
	s_set_vgpr_msb 0x41                     ;  msbs: dst=1 src0=1 src1=0 src2=0
	v_bfe_i32 v95 /*v351*/, v93 /*v349*/, 0, 8
	v_bfe_i32 v96 /*v352*/, v93 /*v349*/, 8, 8
	;; [unrolled: 1-line block ×3, first 2 shown]
	s_set_vgpr_msb 0x44                     ;  msbs: dst=1 src0=0 src1=1 src2=0
	v_ashrrev_i32_e32 v93 /*v349*/, 24, v93 /*v349*/
	s_set_vgpr_msb 0x41                     ;  msbs: dst=1 src0=1 src1=0 src2=0
	v_add_nc_u32_e32 v98 /*v354*/, v82 /*v338*/, v114
	s_set_vgpr_msb 64                       ;  msbs: dst=1 src0=0 src1=0 src2=0
	v_mul_i32_i24_e32 v103 /*v359*/, v224, v101
	v_mul_i32_i24_e32 v104 /*v360*/, v127, v114
	s_set_vgpr_msb 0x44                     ;  msbs: dst=1 src0=0 src1=1 src2=0
	v_mul_i32_i24_e32 v114 /*v370*/, v226, v81 /*v337*/
	v_mul_i32_i24_e32 v115 /*v371*/, v228, v82 /*v338*/
	s_set_vgpr_msb 0x55                     ;  msbs: dst=1 src0=1 src1=1 src2=1
	v_add3_u32 v147 /*v403*/, v98 /*v354*/, v92 /*v348*/, v93 /*v349*/
	s_set_vgpr_msb 0x41                     ;  msbs: dst=1 src0=1 src1=0 src2=0
	v_add_nc_u32_e32 v98 /*v354*/, v81 /*v337*/, v101
	s_set_vgpr_msb 0x44                     ;  msbs: dst=1 src0=0 src1=1 src2=0
	v_mul_i32_i24_e32 v123 /*v379*/, v230, v90 /*v346*/
	v_mul_i32_i24_e32 v124 /*v380*/, v232, v91 /*v347*/
	;; [unrolled: 1-line block ×4, first 2 shown]
	s_set_vgpr_msb 0x55                     ;  msbs: dst=1 src0=1 src1=1 src2=1
	v_add3_u32 v148 /*v404*/, v98 /*v354*/, v94 /*v350*/, v97 /*v353*/
	s_set_vgpr_msb 64                       ;  msbs: dst=1 src0=0 src1=0 src2=0
	v_add_nc_u32_e32 v98 /*v354*/, v120, v99
	s_set_vgpr_msb 0x44                     ;  msbs: dst=1 src0=0 src1=1 src2=0
	v_mul_i32_i24_e32 v152 /*v408*/, v239, v95 /*v351*/
	v_mul_i32_i24_e32 v153 /*v409*/, v241, v96 /*v352*/
	;; [unrolled: 1-line block ×4, first 2 shown]
	s_set_vgpr_msb 0x55                     ;  msbs: dst=1 src0=1 src1=1 src2=1
	v_add3_u32 v149 /*v405*/, v98 /*v354*/, v91 /*v347*/, v96 /*v352*/
	s_set_vgpr_msb 64                       ;  msbs: dst=1 src0=0 src1=0 src2=0
	v_add_nc_u32_e32 v98 /*v354*/, v118, v98
	s_wait_dscnt 0x1
	s_set_vgpr_msb 0x41                     ;  msbs: dst=1 src0=1 src1=0 src2=0
	v_bfe_i32 v120 /*v376*/, v116 /*v372*/, 0, 8
	v_bfe_i32 v121 /*v377*/, v116 /*v372*/, 8, 8
	;; [unrolled: 1-line block ×3, first 2 shown]
	s_set_vgpr_msb 0x55                     ;  msbs: dst=1 src0=1 src1=1 src2=1
	v_ashrrev_i32_e32 v116 /*v372*/, 24, v116 /*v372*/
	v_add3_u32 v150 /*v406*/, v98 /*v354*/, v90 /*v346*/, v95 /*v351*/
	s_set_vgpr_msb 64                       ;  msbs: dst=1 src0=0 src1=0 src2=0
	v_mul_i32_i24_e32 v98 /*v354*/, v121, v98
	s_set_vgpr_msb 0x44                     ;  msbs: dst=1 src0=0 src1=1 src2=0
	v_mul_i32_i24_e32 v156 /*v412*/, v216, v96 /*v352*/
	v_mul_i32_i24_e32 v157 /*v413*/, v217, v97 /*v353*/
	;; [unrolled: 1-line block ×4, first 2 shown]
	s_set_vgpr_msb 0x50                     ;  msbs: dst=1 src0=0 src1=0 src2=1
	v_mad_i32_i24 v98 /*v354*/, v119, v99, v98 /*v354*/
	s_set_vgpr_msb 0x44                     ;  msbs: dst=1 src0=0 src1=1 src2=0
	v_mul_i32_i24_e32 v93 /*v349*/, v188, v93 /*v349*/
	s_set_vgpr_msb 0x55                     ;  msbs: dst=1 src0=1 src1=1 src2=1
	v_mul_i32_i24_e32 v159 /*v415*/, v14 /*v270*/, v97 /*v353*/
	v_bfe_i32 v168 /*v424*/, v118 /*v374*/, 16, 8
	v_bfe_i32 v169 /*v425*/, v119 /*v375*/, 0, 8
	v_add3_u32 v98 /*v354*/, v98 /*v354*/, v103 /*v359*/, v104 /*v360*/
	s_set_vgpr_msb 64                       ;  msbs: dst=1 src0=0 src1=0 src2=0
	v_mul_i32_i24_e32 v103 /*v359*/, v222, v118
	v_mul_i32_i24_e32 v104 /*v360*/, v225, v120
	s_set_vgpr_msb 0x41                     ;  msbs: dst=1 src0=1 src1=0 src2=0
	v_bfe_i32 v170 /*v426*/, v119 /*v375*/, 8, 8
	v_bfe_i32 v171 /*v427*/, v119 /*v375*/, 16, 8
	s_set_vgpr_msb 0x55                     ;  msbs: dst=1 src0=1 src1=1 src2=1
	v_ashrrev_i32_e32 v119 /*v375*/, 24, v119 /*v375*/
	v_mul_i32_i24_e32 v175 /*v431*/, v21 /*v277*/, v169 /*v425*/
	v_add3_u32 v98 /*v354*/, v98 /*v354*/, v103 /*v359*/, v104 /*v360*/
	v_mul_i32_i24_e32 v103 /*v359*/, v2 /*v258*/, v122 /*v378*/
	v_mul_i32_i24_e32 v104 /*v360*/, v4 /*v260*/, v116 /*v372*/
	;; [unrolled: 1-line block ×4, first 2 shown]
	v_add3_u32 v98 /*v354*/, v98 /*v354*/, v114 /*v370*/, v115 /*v371*/
	s_set_vgpr_msb 0x44                     ;  msbs: dst=1 src0=0 src1=1 src2=0
	v_mul_i32_i24_e32 v114 /*v370*/, v208, v81 /*v337*/
	v_mul_i32_i24_e32 v115 /*v371*/, v210, v82 /*v338*/
	;; [unrolled: 1-line block ×3, first 2 shown]
	s_set_vgpr_msb 0x55                     ;  msbs: dst=1 src0=1 src1=1 src2=1
	v_add3_u32 v98 /*v354*/, v98 /*v354*/, v123 /*v379*/, v124 /*v380*/
	s_set_vgpr_msb 0x44                     ;  msbs: dst=1 src0=0 src1=1 src2=0
	v_mul_i32_i24_e32 v124 /*v380*/, v211, v90 /*v346*/
	s_set_vgpr_msb 0x55                     ;  msbs: dst=1 src0=1 src1=1 src2=1
	s_delay_alu instid0(VALU_DEP_2) | instskip(NEXT) | instid1(VALU_DEP_1)
	v_add3_u32 v98 /*v354*/, v98 /*v354*/, v126 /*v382*/, v151 /*v407*/
	v_add3_u32 v98 /*v354*/, v98 /*v354*/, v152 /*v408*/, v153 /*v409*/
	s_set_vgpr_msb 0x44                     ;  msbs: dst=1 src0=0 src1=1 src2=0
	v_mul_i32_i24_e32 v152 /*v408*/, v212, v91 /*v347*/
	v_mul_i32_i24_e32 v153 /*v409*/, v213, v94 /*v350*/
	s_set_vgpr_msb 0x55                     ;  msbs: dst=1 src0=1 src1=1 src2=1
	v_add3_u32 v98 /*v354*/, v98 /*v354*/, v154 /*v410*/, v155 /*v411*/
	s_set_vgpr_msb 0x44                     ;  msbs: dst=1 src0=0 src1=1 src2=0
	v_mul_i32_i24_e32 v154 /*v410*/, v214, v92 /*v348*/
	v_mul_i32_i24_e32 v155 /*v411*/, v215, v95 /*v351*/
	s_set_vgpr_msb 0x45                     ;  msbs: dst=1 src0=1 src1=1 src2=0
	v_mul_lo_u32 v123 /*v379*/, v98 /*v354*/, v57 /*v313*/
	s_set_vgpr_msb 0x54                     ;  msbs: dst=1 src0=0 src1=1 src2=1
	v_mul_i32_i24_e32 v98 /*v354*/, v255, v120 /*v376*/
	s_delay_alu instid0(VALU_DEP_1) | instskip(SKIP_1) | instid1(VALU_DEP_1)
	v_mad_i32_i24 v98 /*v354*/, v251, v121 /*v377*/, v98 /*v354*/
	s_set_vgpr_msb 0x55                     ;  msbs: dst=1 src0=1 src1=1 src2=1
	v_add3_u32 v126 /*v382*/, v98 /*v354*/, v103 /*v359*/, v104 /*v360*/
	v_mul_i32_i24_e32 v104 /*v360*/, v150 /*v406*/, v72 /*v328*/
	v_mul_i32_i24_e32 v98 /*v354*/, v147 /*v403*/, v56 /*v312*/
	;; [unrolled: 1-line block ×3, first 2 shown]
	s_delay_alu instid0(VALU_DEP_3) | instskip(NEXT) | instid1(VALU_DEP_1)
	v_mad_i32_i24 v104 /*v360*/, v149 /*v405*/, v70 /*v326*/, v104 /*v360*/
	v_add3_u32 v151 /*v407*/, v104 /*v360*/, v103 /*v359*/, v98 /*v354*/
	s_set_vgpr_msb 0x50                     ;  msbs: dst=1 src0=0 src1=0 src2=1
	v_mul_i32_i24_e32 v98 /*v354*/, v125, v98
	v_mul_i32_i24_e32 v103 /*v359*/, v206, v101
	;; [unrolled: 1-line block ×3, first 2 shown]
	s_delay_alu instid0(VALU_DEP_3) | instskip(SKIP_1) | instid1(VALU_DEP_1)
	v_mad_i32_i24 v98 /*v354*/, v123, v99, v98 /*v354*/
	s_set_vgpr_msb 0x55                     ;  msbs: dst=1 src0=1 src1=1 src2=1
	v_add3_u32 v98 /*v354*/, v98 /*v354*/, v103 /*v359*/, v104 /*v360*/
	s_set_vgpr_msb 64                       ;  msbs: dst=1 src0=0 src1=0 src2=0
	v_mul_i32_i24_e32 v103 /*v359*/, v205, v118
	v_mul_i32_i24_e32 v104 /*v360*/, v207, v120
	s_set_vgpr_msb 0x55                     ;  msbs: dst=1 src0=1 src1=1 src2=1
	s_delay_alu instid0(VALU_DEP_1)
	v_add3_u32 v98 /*v354*/, v98 /*v354*/, v103 /*v359*/, v104 /*v360*/
	s_set_vgpr_msb 0x44                     ;  msbs: dst=1 src0=0 src1=1 src2=0
	v_mul_i32_i24_e32 v103 /*v359*/, v221, v122 /*v378*/
	v_mul_i32_i24_e32 v104 /*v360*/, v223, v116 /*v372*/
	s_set_vgpr_msb 0x55                     ;  msbs: dst=1 src0=1 src1=1 src2=1
	v_add3_u32 v98 /*v354*/, v98 /*v354*/, v114 /*v370*/, v115 /*v371*/
	s_set_vgpr_msb 0x44                     ;  msbs: dst=1 src0=0 src1=1 src2=0
	v_mul_i32_i24_e32 v114 /*v370*/, v254, v81 /*v337*/
	s_set_vgpr_msb 0x55                     ;  msbs: dst=1 src0=1 src1=1 src2=1
	v_mul_i32_i24_e32 v115 /*v371*/, v0 /*v256*/, v82 /*v338*/
	v_add3_u32 v98 /*v354*/, v98 /*v354*/, v124 /*v380*/, v152 /*v408*/
	v_mul_i32_i24_e32 v124 /*v380*/, v1 /*v257*/, v90 /*v346*/
	s_delay_alu instid0(VALU_DEP_2) | instskip(SKIP_1) | instid1(VALU_DEP_2)
	v_add3_u32 v98 /*v354*/, v98 /*v354*/, v153 /*v409*/, v154 /*v410*/
	v_mul_i32_i24_e32 v154 /*v410*/, v3 /*v259*/, v91 /*v347*/
	v_add3_u32 v98 /*v354*/, v98 /*v354*/, v155 /*v411*/, v156 /*v412*/
	v_mul_i32_i24_e32 v155 /*v411*/, v5 /*v261*/, v94 /*v350*/
	v_mul_i32_i24_e32 v156 /*v412*/, v7 /*v263*/, v92 /*v348*/
	s_delay_alu instid0(VALU_DEP_3)
	v_add3_u32 v152 /*v408*/, v98 /*v354*/, v157 /*v413*/, v158 /*v414*/
	s_set_vgpr_msb 0x44                     ;  msbs: dst=1 src0=0 src1=1 src2=0
	v_mul_i32_i24_e32 v98 /*v354*/, v220, v120 /*v376*/
	s_set_vgpr_msb 0x45                     ;  msbs: dst=1 src0=1 src1=1 src2=0
	v_mul_i32_i24_e32 v157 /*v413*/, v10 /*v266*/, v95 /*v351*/
	v_mul_i32_i24_e32 v158 /*v414*/, v12 /*v268*/, v96 /*v352*/
	s_set_vgpr_msb 0x54                     ;  msbs: dst=1 src0=0 src1=1 src2=1
	v_mad_i32_i24 v98 /*v354*/, v219, v121 /*v377*/, v98 /*v354*/
	s_set_vgpr_msb 0x55                     ;  msbs: dst=1 src0=1 src1=1 src2=1
	s_delay_alu instid0(VALU_DEP_1)
	v_add3_u32 v153 /*v409*/, v98 /*v354*/, v103 /*v359*/, v104 /*v360*/
	s_set_vgpr_msb 64                       ;  msbs: dst=1 src0=0 src1=0 src2=0
	v_mul_i32_i24_e32 v98 /*v354*/, v243, v98
	s_set_vgpr_msb 0                        ;  msbs: dst=0 src0=0 src1=0 src2=0
	v_mul_i32_i24_e32 v98, v173, v98
	s_set_vgpr_msb 64                       ;  msbs: dst=1 src0=0 src1=0 src2=0
	v_mul_i32_i24_e32 v103 /*v359*/, v252, v101
	v_mul_i32_i24_e32 v104 /*v360*/, v248, v114
	s_set_vgpr_msb 0                        ;  msbs: dst=0 src0=0 src1=0 src2=0
	v_mul_i32_i24_e32 v101, v176, v101
	v_mul_i32_i24_e32 v114, v174, v114
	v_mad_i32_i24 v98, v172, v99, v98
	s_set_vgpr_msb 0x50                     ;  msbs: dst=1 src0=0 src1=0 src2=1
	v_mad_i32_i24 v98 /*v354*/, v238, v99, v98 /*v354*/
	s_set_vgpr_msb 0                        ;  msbs: dst=0 src0=0 src1=0 src2=0
	v_mul_i32_i24_e32 v99, v175, v118
	v_add3_u32 v98, v98, v101, v114
	v_mul_i32_i24_e32 v101, v177, v120
	s_set_vgpr_msb 0x55                     ;  msbs: dst=1 src0=1 src1=1 src2=1
	v_add3_u32 v98 /*v354*/, v98 /*v354*/, v103 /*v359*/, v104 /*v360*/
	s_set_vgpr_msb 64                       ;  msbs: dst=1 src0=0 src1=0 src2=0
	v_mul_i32_i24_e32 v103 /*v359*/, v250, v118
	s_set_vgpr_msb 4                        ;  msbs: dst=0 src0=0 src1=1 src2=0
	v_mul_i32_i24_e32 v114, v178, v81 /*v337*/
	v_mul_i32_i24_e32 v118, v179, v82 /*v338*/
	s_set_vgpr_msb 0                        ;  msbs: dst=0 src0=0 src1=0 src2=0
	v_add3_u32 v98, v98, v99, v101
	s_set_vgpr_msb 64                       ;  msbs: dst=1 src0=0 src1=0 src2=0
	v_mul_i32_i24_e32 v104 /*v360*/, v253, v120
	s_set_vgpr_msb 4                        ;  msbs: dst=0 src0=0 src1=1 src2=0
	v_mul_i32_i24_e32 v120, v180, v90 /*v346*/
	s_set_vgpr_msb 0x44                     ;  msbs: dst=1 src0=0 src1=1 src2=0
	v_mul_i32_i24_e32 v81 /*v337*/, v181, v91 /*v347*/
	v_mul_i32_i24_e32 v82 /*v338*/, v182, v94 /*v350*/
	s_set_vgpr_msb 0                        ;  msbs: dst=0 src0=0 src1=0 src2=0
	v_add3_u32 v98, v98, v114, v118
	s_set_vgpr_msb 0x55                     ;  msbs: dst=1 src0=1 src1=1 src2=1
	v_add3_u32 v98 /*v354*/, v98 /*v354*/, v103 /*v359*/, v104 /*v360*/
	s_set_vgpr_msb 0x44                     ;  msbs: dst=1 src0=0 src1=1 src2=0
	v_mul_i32_i24_e32 v90 /*v346*/, v183, v92 /*v348*/
	v_mul_i32_i24_e32 v91 /*v347*/, v184, v95 /*v351*/
	;; [unrolled: 1-line block ×3, first 2 shown]
	s_set_vgpr_msb 16                       ;  msbs: dst=0 src0=0 src1=0 src2=1
	v_add3_u32 v98, v98, v120, v81 /*v337*/
	s_set_vgpr_msb 0x55                     ;  msbs: dst=1 src0=1 src1=1 src2=1
	v_add3_u32 v98 /*v354*/, v98 /*v354*/, v114 /*v370*/, v115 /*v371*/
	s_set_vgpr_msb 0x44                     ;  msbs: dst=1 src0=0 src1=1 src2=0
	v_mul_i32_i24_e32 v94 /*v350*/, v186, v97 /*v353*/
	s_set_vgpr_msb 4                        ;  msbs: dst=0 src0=0 src1=1 src2=0
	v_mul_i32_i24_e32 v99, v190, v122 /*v378*/
	s_wait_dscnt 0x0
	s_set_vgpr_msb 64                       ;  msbs: dst=1 src0=0 src1=0 src2=0
	v_lshrrev_b16 v81 /*v337*/, 8, v102
	s_set_vgpr_msb 20                       ;  msbs: dst=0 src0=0 src1=1 src2=1
	v_add3_u32 v98, v98, v82 /*v338*/, v90 /*v346*/
	s_set_vgpr_msb 64                       ;  msbs: dst=1 src0=0 src1=0 src2=0
	v_bfe_u32 v90 /*v346*/, v102, 4, 4
	s_set_vgpr_msb 0x55                     ;  msbs: dst=1 src0=1 src1=1 src2=1
	v_add3_u32 v98 /*v354*/, v98 /*v354*/, v124 /*v380*/, v154 /*v410*/
	v_mul_i32_i24_e32 v103 /*v359*/, v23 /*v279*/, v122 /*v378*/
	v_and_b32_e32 v82 /*v338*/, 0xffff, v81 /*v337*/
	s_set_vgpr_msb 20                       ;  msbs: dst=0 src0=0 src1=1 src2=1
	v_add3_u32 v98, v98, v91 /*v347*/, v92 /*v348*/
	s_set_vgpr_msb 0x55                     ;  msbs: dst=1 src0=1 src1=1 src2=1
	v_mul_lo_u32 v90 /*v346*/, 0x1010101, v90 /*v346*/
	v_add3_u32 v98 /*v354*/, v98 /*v354*/, v155 /*v411*/, v156 /*v412*/
	v_dual_lshrrev_b32 v82 /*v338*/, 4, v82 /*v338*/ :: v_dual_bitop2_b32 v81 /*v337*/, 15, v81 /*v337*/ bitop3:0x40
	s_set_vgpr_msb 0                        ;  msbs: dst=0 src0=0 src1=0 src2=0
	v_and_b32_e32 v102, 15, v102
	s_set_vgpr_msb 0x55                     ;  msbs: dst=1 src0=1 src1=1 src2=1
	v_add3_u32 v98 /*v354*/, v98 /*v354*/, v157 /*v413*/, v158 /*v414*/
	s_set_vgpr_msb 0x54                     ;  msbs: dst=1 src0=0 src1=1 src2=1
	v_add3_u32 v157 /*v413*/, v98, v94 /*v350*/, v93 /*v349*/
	s_set_vgpr_msb 4                        ;  msbs: dst=0 src0=0 src1=1 src2=0
	v_mul_i32_i24_e32 v98, v189, v120 /*v376*/
	s_set_vgpr_msb 0x55                     ;  msbs: dst=1 src0=1 src1=1 src2=1
	v_mul_lo_u32 v161 /*v417*/, 0x1010101, v82 /*v338*/
	v_add3_u32 v98 /*v354*/, v98 /*v354*/, v159 /*v415*/, v160 /*v416*/
	v_lshrrev_b32_e32 v96 /*v352*/, 24, v90 /*v346*/
	s_set_vgpr_msb 4                        ;  msbs: dst=0 src0=0 src1=1 src2=0
	v_mul_i32_i24_e32 v101, v191, v116 /*v372*/
	v_mad_i32_i24 v98, v187, v121 /*v377*/, v98
	s_set_vgpr_msb 0x45                     ;  msbs: dst=1 src0=1 src1=1 src2=0
	v_mul_i32_i24_e32 v104 /*v360*/, v25 /*v281*/, v116 /*v372*/
	v_mul_lo_u32 v154 /*v410*/, v98 /*v354*/, v66 /*v322*/
	v_mul_i32_i24_e32 v98 /*v354*/, v20 /*v276*/, v120 /*v376*/
	v_bfe_i32 v93 /*v349*/, v90 /*v346*/, 0, 8
	s_set_vgpr_msb 0                        ;  msbs: dst=0 src0=0 src1=0 src2=0
	v_add3_u32 v118, v98, v99, v101
	v_or_b32_e32 v98, s18, v87
	v_cvt_f32_f16_e32 v99, v94
	s_set_vgpr_msb 0x55                     ;  msbs: dst=1 src0=1 src1=1 src2=1
	v_mad_i32_i24 v98 /*v354*/, v18 /*v274*/, v121 /*v377*/, v98 /*v354*/
	s_set_vgpr_msb 0                        ;  msbs: dst=0 src0=0 src1=0 src2=0
	v_lshrrev_b32_e32 v94, 16, v94
	s_set_vgpr_msb 0x41                     ;  msbs: dst=1 src0=1 src1=0 src2=0
	v_bfe_i32 v94 /*v350*/, v90 /*v346*/, 8, 8
	s_set_vgpr_msb 0                        ;  msbs: dst=0 src0=0 src1=0 src2=0
	v_lshlrev_b32_e32 v120, 2, v98
	s_set_vgpr_msb 64                       ;  msbs: dst=1 src0=0 src1=0 src2=0
	v_lshrrev_b32_e32 v158 /*v414*/, 1, v98
	s_set_vgpr_msb 0                        ;  msbs: dst=0 src0=0 src1=0 src2=0
	v_or_b32_e32 v98, s18, v89
	s_set_vgpr_msb 0x55                     ;  msbs: dst=1 src0=1 src1=1 src2=1
	v_add3_u32 v155 /*v411*/, v98 /*v354*/, v103 /*v359*/, v104 /*v360*/
	v_mul_i32_i24_e32 v104 /*v360*/, v150 /*v406*/, v62 /*v318*/
	v_bfe_i32 v95 /*v351*/, v90 /*v346*/, 16, 8
	s_set_vgpr_msb 0x44                     ;  msbs: dst=1 src0=0 src1=1 src2=0
	v_mul_i32_i24_e32 v92 /*v348*/, v124, v93 /*v349*/
	s_set_vgpr_msb 64                       ;  msbs: dst=1 src0=0 src1=0 src2=0
	v_dual_lshlrev_b32 v159 /*v415*/, 2, v98 :: v_dual_lshrrev_b32 v160 /*v416*/, 1, v98
	s_set_vgpr_msb 0                        ;  msbs: dst=0 src0=0 src1=0 src2=0
	v_or_b32_e32 v98, s18, v128
	s_set_vgpr_msb 0x55                     ;  msbs: dst=1 src0=1 src1=1 src2=1
	v_mul_i32_i24_e32 v98 /*v354*/, v147 /*v403*/, v65 /*v321*/
	v_mul_i32_i24_e32 v103 /*v359*/, v148 /*v404*/, v64 /*v320*/
	v_mad_i32_i24 v104 /*v360*/, v149 /*v405*/, v63 /*v319*/, v104 /*v360*/
	s_set_vgpr_msb 0                        ;  msbs: dst=0 src0=0 src1=0 src2=0
	v_cvt_f32_f16_e32 v101, v94
	s_set_vgpr_msb 0x54                     ;  msbs: dst=1 src0=0 src1=1 src2=1
	v_mul_i32_i24_e32 v82 /*v338*/, v110, v96 /*v352*/
	v_mul_i32_i24_e32 v91 /*v347*/, v111, v95 /*v351*/
	v_mad_i32_i24 v92 /*v348*/, v122, v94 /*v350*/, v92 /*v348*/
	s_set_vgpr_msb 0x55                     ;  msbs: dst=1 src0=1 src1=1 src2=1
	v_add3_u32 v156 /*v412*/, v104 /*v360*/, v103 /*v359*/, v98 /*v354*/
	s_set_vgpr_msb 0                        ;  msbs: dst=0 src0=0 src1=0 src2=0
	v_mov_b32_e32 v114, v101
	s_set_vgpr_msb 64                       ;  msbs: dst=1 src0=0 src1=0 src2=0
	v_and_b32_e32 v98 /*v354*/, 0xffff, v102
	s_set_vgpr_msb 5                        ;  msbs: dst=0 src0=1 src1=1 src2=0
	v_mul_i32_i24_e32 v102, v84 /*v340*/, v96 /*v352*/
	s_set_vgpr_msb 0x55                     ;  msbs: dst=1 src0=1 src1=1 src2=1
	v_add3_u32 v104 /*v360*/, v92 /*v348*/, v91 /*v347*/, v82 /*v338*/
	v_mul_i32_i24_e32 v82 /*v338*/, v87 /*v343*/, v93 /*v349*/
	v_and_b32_e32 v92 /*v348*/, 0xffff, v81 /*v337*/
	v_mul_i32_i24_e32 v81 /*v337*/, v85 /*v341*/, v95 /*v351*/
	v_bfe_i32 v97 /*v353*/, v161 /*v417*/, 0, 8
	v_bfe_i32 v90 /*v346*/, v161 /*v417*/, 8, 8
	v_mad_i32_i24 v82 /*v338*/, v86 /*v342*/, v94 /*v350*/, v82 /*v338*/
	v_mul_i32_i24_e32 v91 /*v347*/, v140 /*v396*/, v95 /*v351*/
	s_set_vgpr_msb 64                       ;  msbs: dst=1 src0=0 src1=0 src2=0
	v_dual_lshlrev_b32 v114 /*v370*/, 2, v98 :: v_dual_lshrrev_b32 v115 /*v371*/, 1, v98
	s_set_vgpr_msb 0                        ;  msbs: dst=0 src0=0 src1=0 src2=0
	v_cvt_f32_f16_e32 v98, v100
	s_set_vgpr_msb 0x45                     ;  msbs: dst=1 src0=1 src1=1 src2=0
	v_add3_u32 v163 /*v419*/, v82 /*v338*/, v81 /*v337*/, v102
	s_set_vgpr_msb 4                        ;  msbs: dst=0 src0=0 src1=1 src2=0
	v_mul_i32_i24_e32 v102, v218, v88 /*v344*/
	s_set_vgpr_msb 0x44                     ;  msbs: dst=1 src0=0 src1=1 src2=0
	v_mul_i32_i24_e32 v81 /*v337*/, v109, v113 /*v369*/
	s_set_vgpr_msb 0x45                     ;  msbs: dst=1 src0=1 src1=1 src2=0
	v_mul_i32_i24_e32 v82 /*v338*/, v109 /*v365*/, v93 /*v349*/
	s_set_vgpr_msb 0                        ;  msbs: dst=0 src0=0 src1=0 src2=0
	v_dual_lshrrev_b32 v100, 16, v100 :: v_dual_mov_b32 v94, v99
	s_set_vgpr_msb 5                        ;  msbs: dst=0 src0=1 src1=1 src2=0
	v_add3_u32 v102, v100 /*v356*/, v99 /*v355*/, v102
	s_set_vgpr_msb 0x55                     ;  msbs: dst=1 src0=1 src1=1 src2=1
	v_add3_u32 v81 /*v337*/, v108 /*v364*/, v89 /*v345*/, v81 /*v337*/
	v_mad_i32_i24 v82 /*v338*/, v111 /*v367*/, v94 /*v350*/, v82 /*v338*/
	v_mul_i32_i24_e32 v99 /*v355*/, v142 /*v398*/, v93 /*v349*/
	v_mul_i32_i24_e32 v89 /*v345*/, v139 /*v395*/, v96 /*v352*/
	s_set_vgpr_msb 0x44                     ;  msbs: dst=1 src0=0 src1=1 src2=0
	v_mul_lo_u32 v164 /*v420*/, v102, v92 /*v348*/
	s_set_vgpr_msb 0x45                     ;  msbs: dst=1 src0=1 src1=1 src2=0
	v_mul_lo_u32 v165 /*v421*/, v81 /*v337*/, v98 /*v354*/
	s_set_vgpr_msb 5                        ;  msbs: dst=0 src0=1 src1=1 src2=0
	v_mul_i32_i24_e32 v102, v112 /*v368*/, v96 /*v352*/
	s_set_vgpr_msb 0x55                     ;  msbs: dst=1 src0=1 src1=1 src2=1
	v_mul_i32_i24_e32 v81 /*v337*/, v110 /*v366*/, v95 /*v351*/
	v_mad_i32_i24 v99 /*v355*/, v141 /*v397*/, v94 /*v350*/, v99 /*v355*/
	v_ashrrev_i32_e32 v108 /*v364*/, 24, v117 /*v373*/
	v_bfe_i32 v100 /*v356*/, v117 /*v373*/, 16, 8
	v_mul_i32_i24_e32 v162 /*v418*/, v83 /*v339*/, v97 /*v353*/
	s_set_vgpr_msb 0x45                     ;  msbs: dst=1 src0=1 src1=1 src2=0
	v_add3_u32 v166 /*v422*/, v82 /*v338*/, v81 /*v337*/, v102
	s_set_vgpr_msb 5                        ;  msbs: dst=0 src0=1 src1=1 src2=0
	v_mul_lo_u32 v102, v128 /*v384*/, v98 /*v354*/
	s_set_vgpr_msb 0x55                     ;  msbs: dst=1 src0=1 src1=1 src2=1
	v_mul_i32_i24_e32 v81 /*v337*/, v137 /*v393*/, v97 /*v353*/
	v_mul_i32_i24_e32 v82 /*v338*/, v138 /*v394*/, v90 /*v346*/
	v_add3_u32 v89 /*v345*/, v99 /*v355*/, v91 /*v347*/, v89 /*v345*/
	v_bfe_i32 v99 /*v355*/, v117 /*v373*/, 8, 8
	v_mul_i32_i24_e32 v128 /*v384*/, v17 /*v273*/, v168 /*v424*/
	s_set_vgpr_msb 0                        ;  msbs: dst=0 src0=0 src1=0 src2=0
	v_cvt_f32_f16_e32 v100, v100
	s_set_vgpr_msb 0x44                     ;  msbs: dst=1 src0=0 src1=1 src2=0
	v_mul_i32_i24_e32 v103 /*v359*/, v108, v97 /*v353*/
	s_set_vgpr_msb 0x55                     ;  msbs: dst=1 src0=1 src1=1 src2=1
	v_add3_u32 v167 /*v423*/, v89 /*v345*/, v81 /*v337*/, v82 /*v338*/
	v_bfe_i32 v89 /*v345*/, v117 /*v373*/, 0, 8
	v_bfe_i32 v117 /*v373*/, v118 /*v374*/, 0, 8
	s_set_vgpr_msb 5                        ;  msbs: dst=0 src0=1 src1=1 src2=0
	v_mad_u32 v102, v144 /*v400*/, v92 /*v348*/, v102
	s_set_vgpr_msb 0x41                     ;  msbs: dst=1 src0=1 src1=0 src2=0
	v_bfe_i32 v144 /*v400*/, v118 /*v374*/, 8, 8
	s_set_vgpr_msb 0x45                     ;  msbs: dst=1 src0=1 src1=1 src2=0
	v_ashrrev_i32_e32 v118 /*v374*/, 24, v118 /*v374*/
	v_mul_i32_i24_e32 v91 /*v347*/, v9 /*v265*/, v99 /*v355*/
	s_delay_alu instid0(VALU_DEP_2)
	v_mul_i32_i24_e32 v174 /*v430*/, v19 /*v275*/, v118 /*v374*/
	s_set_vgpr_msb 64                       ;  msbs: dst=1 src0=0 src1=0 src2=0
	v_cvt_f32_i32_e32 v124 /*v380*/, v102
	s_set_vgpr_msb 5                        ;  msbs: dst=0 src0=1 src1=1 src2=0
	v_add_nc_u32_e32 v102, v108 /*v364*/, v116 /*v372*/
	s_set_vgpr_msb 0x45                     ;  msbs: dst=1 src0=1 src1=1 src2=0
	v_mul_i32_i24_e32 v116 /*v372*/, v11 /*v267*/, v100 /*v356*/
	s_set_vgpr_msb 0x54                     ;  msbs: dst=1 src0=0 src1=1 src2=1
	s_delay_alu instid0(VALU_DEP_2)
	v_add3_u32 v81 /*v337*/, v102, v118 /*v374*/, v119 /*v375*/
	s_set_vgpr_msb 5                        ;  msbs: dst=0 src0=1 src1=1 src2=0
	v_add_nc_u32_e32 v102, v100 /*v356*/, v122 /*v378*/
	s_set_vgpr_msb 0x45                     ;  msbs: dst=1 src0=1 src1=1 src2=0
	v_mul_i32_i24_e32 v122 /*v378*/, v16 /*v272*/, v144 /*v400*/
	s_set_vgpr_msb 0x54                     ;  msbs: dst=1 src0=0 src1=1 src2=1
	s_delay_alu instid0(VALU_DEP_2)
	v_add3_u32 v82 /*v338*/, v102, v168 /*v424*/, v171 /*v427*/
	;; [unrolled: 7-line block ×3, first 2 shown]
	s_set_vgpr_msb 5                        ;  msbs: dst=0 src0=1 src1=1 src2=0
	v_add_nc_u32_e32 v102, v99 /*v355*/, v121 /*v377*/
	s_set_vgpr_msb 0x45                     ;  msbs: dst=1 src0=1 src1=1 src2=0
	v_mul_i32_i24_e32 v121 /*v377*/, v15 /*v271*/, v117 /*v373*/
	s_set_vgpr_msb 0x54                     ;  msbs: dst=1 src0=0 src1=1 src2=1
	s_delay_alu instid0(VALU_DEP_2) | instskip(SKIP_3) | instid1(VALU_DEP_1)
	v_add3_u32 v173 /*v429*/, v102, v144 /*v400*/, v170 /*v426*/
	s_set_vgpr_msb 5                        ;  msbs: dst=0 src0=1 src1=1 src2=0
	v_mul_i32_i24_e32 v102, v6 /*v262*/, v89 /*v345*/
	s_set_vgpr_msb 17                       ;  msbs: dst=0 src0=1 src1=0 src2=1
	v_add3_u32 v102, v126 /*v382*/, v102, v91 /*v347*/
	s_set_vgpr_msb 0x45                     ;  msbs: dst=1 src0=1 src1=1 src2=0
	v_mul_i32_i24_e32 v91 /*v347*/, v172 /*v428*/, v58 /*v314*/
	s_set_vgpr_msb 20                       ;  msbs: dst=0 src0=0 src1=1 src2=1
	s_delay_alu instid0(VALU_DEP_2)
	v_add3_u32 v102, v102, v116 /*v372*/, v120 /*v376*/
	s_set_vgpr_msb 0x45                     ;  msbs: dst=1 src0=1 src1=1 src2=0
	v_mul_i32_i24_e32 v116 /*v372*/, v173 /*v429*/, v55 /*v311*/
	s_set_vgpr_msb 0x44                     ;  msbs: dst=1 src0=0 src1=1 src2=0
	v_mul_i32_i24_e32 v120 /*v376*/, v231, v100 /*v356*/
	s_set_vgpr_msb 20                       ;  msbs: dst=0 src0=0 src1=1 src2=1
	v_add3_u32 v102, v102, v121 /*v377*/, v122 /*v378*/
	s_set_vgpr_msb 0x55                     ;  msbs: dst=1 src0=1 src1=1 src2=1
	v_add3_u32 v151 /*v407*/, v151 /*v407*/, v91 /*v347*/, v116 /*v372*/
	s_set_vgpr_msb 0x44                     ;  msbs: dst=1 src0=0 src1=1 src2=0
	v_mul_i32_i24_e32 v91 /*v347*/, v227, v89 /*v345*/
	v_mul_i32_i24_e32 v116 /*v372*/, v229, v99 /*v355*/
	;; [unrolled: 1-line block ×3, first 2 shown]
	s_set_vgpr_msb 20                       ;  msbs: dst=0 src0=0 src1=1 src2=1
	v_add3_u32 v102, v102, v128 /*v384*/, v174 /*v430*/
	s_set_vgpr_msb 0x44                     ;  msbs: dst=1 src0=0 src1=1 src2=0
	v_mul_i32_i24_e32 v122 /*v378*/, v235, v117 /*v373*/
	v_mul_i32_i24_e32 v128 /*v384*/, v240, v168 /*v424*/
	s_set_vgpr_msb 0x55                     ;  msbs: dst=1 src0=1 src1=1 src2=1
	v_add3_u32 v91 /*v347*/, v153 /*v409*/, v91 /*v347*/, v116 /*v372*/
	s_set_vgpr_msb 0x44                     ;  msbs: dst=1 src0=0 src1=1 src2=0
	v_mul_i32_i24_e32 v174 /*v430*/, v245, v169 /*v425*/
	s_set_vgpr_msb 20                       ;  msbs: dst=0 src0=0 src1=1 src2=1
	v_add3_u32 v102, v102, v175 /*v431*/, v176 /*v432*/
	s_set_vgpr_msb 0x44                     ;  msbs: dst=1 src0=0 src1=1 src2=0
	v_mul_i32_i24_e32 v175 /*v431*/, v247, v170 /*v426*/
	v_mul_i32_i24_e32 v176 /*v432*/, v249, v171 /*v427*/
	s_set_vgpr_msb 0x55                     ;  msbs: dst=1 src0=1 src1=1 src2=1
	v_add3_u32 v91 /*v347*/, v91 /*v347*/, v120 /*v376*/, v121 /*v377*/
	v_mul_i32_i24_e32 v121 /*v377*/, v147 /*v403*/, v96 /*v352*/
	s_set_vgpr_msb 20                       ;  msbs: dst=0 src0=0 src1=1 src2=1
	v_add3_u32 v102, v102, v177 /*v433*/, v178 /*v434*/
	s_set_vgpr_msb 0x44                     ;  msbs: dst=1 src0=0 src1=1 src2=0
	v_mul_i32_i24_e32 v177 /*v433*/, v218, v119 /*v375*/
	s_set_vgpr_msb 0x45                     ;  msbs: dst=1 src0=1 src1=1 src2=0
	v_mul_i32_i24_e32 v116 /*v372*/, v172 /*v428*/, v97 /*v353*/
	v_mul_i32_i24_e32 v120 /*v376*/, v173 /*v429*/, v90 /*v346*/
	;; [unrolled: 1-line block ×3, first 2 shown]
	s_set_vgpr_msb 20                       ;  msbs: dst=0 src0=0 src1=1 src2=1
	v_mad_u32 v102, v102, v54 /*v310*/, v123 /*v379*/
	s_set_vgpr_msb 0x44                     ;  msbs: dst=1 src0=0 src1=1 src2=0
	v_mul_i32_i24_e32 v123 /*v379*/, v237, v144 /*v400*/
	s_set_vgpr_msb 0x55                     ;  msbs: dst=1 src0=1 src1=1 src2=1
	s_delay_alu instid0(VALU_DEP_1)
	v_add3_u32 v91 /*v347*/, v91 /*v347*/, v122 /*v378*/, v123 /*v379*/
	v_mul_i32_i24_e32 v123 /*v379*/, v150 /*v406*/, v93 /*v349*/
	v_mul_i32_i24_e32 v122 /*v378*/, v148 /*v404*/, v95 /*v351*/
	s_set_vgpr_msb 64                       ;  msbs: dst=1 src0=0 src1=0 src2=0
	v_cvt_f32_i32_e32 v126 /*v382*/, v102
	s_set_vgpr_msb 5                        ;  msbs: dst=0 src0=1 src1=1 src2=0
	v_mul_lo_u32 v102, v152 /*v408*/, v98 /*v354*/
	s_set_vgpr_msb 0x44                     ;  msbs: dst=1 src0=0 src1=1 src2=0
	v_mul_i32_i24_e32 v152 /*v408*/, v242, v118 /*v374*/
	s_set_vgpr_msb 0x55                     ;  msbs: dst=1 src0=1 src1=1 src2=1
	v_mad_i32_i24 v123 /*v379*/, v149 /*v405*/, v94 /*v350*/, v123 /*v379*/
	s_set_vgpr_msb 0x44                     ;  msbs: dst=1 src0=0 src1=1 src2=0
	v_mul_i32_i24_e32 v118 /*v374*/, v199, v118 /*v374*/
	s_set_vgpr_msb 0x55                     ;  msbs: dst=1 src0=1 src1=1 src2=1
	v_add3_u32 v91 /*v347*/, v91 /*v347*/, v128 /*v384*/, v152 /*v408*/
	v_add3_u32 v121 /*v377*/, v123 /*v379*/, v122 /*v378*/, v121 /*v377*/
	v_mul_i32_i24_e32 v122 /*v378*/, v31 /*v287*/, v144 /*v400*/
	v_mul_i32_i24_e32 v123 /*v379*/, v32 /*v288*/, v168 /*v424*/
	s_delay_alu instid0(VALU_DEP_4) | instskip(NEXT) | instid1(VALU_DEP_4)
	v_add3_u32 v91 /*v347*/, v91 /*v347*/, v174 /*v430*/, v175 /*v431*/
	v_add3_u32 v152 /*v408*/, v121 /*v377*/, v116 /*v372*/, v120 /*v376*/
	v_mul_i32_i24_e32 v116 /*v372*/, v28 /*v284*/, v100 /*v356*/
	v_mul_i32_i24_e32 v120 /*v376*/, v29 /*v285*/, v108 /*v364*/
	s_set_vgpr_msb 0x44                     ;  msbs: dst=1 src0=0 src1=1 src2=0
	v_mul_i32_i24_e32 v100 /*v356*/, v194, v100 /*v356*/
	s_set_vgpr_msb 0x55                     ;  msbs: dst=1 src0=1 src1=1 src2=1
	v_add3_u32 v91 /*v347*/, v91 /*v347*/, v176 /*v432*/, v177 /*v433*/
	s_set_vgpr_msb 0x44                     ;  msbs: dst=1 src0=0 src1=1 src2=0
	v_mul_i32_i24_e32 v108 /*v364*/, v195, v108 /*v364*/
	s_set_vgpr_msb 0x45                     ;  msbs: dst=1 src0=1 src1=1 src2=0
	v_mul_i32_i24_e32 v121 /*v377*/, v30 /*v286*/, v117 /*v373*/
	v_mul_i32_i24_e32 v177 /*v433*/, v8 /*v264*/, v119 /*v375*/
	s_set_vgpr_msb 0x44                     ;  msbs: dst=1 src0=0 src1=1 src2=0
	v_mul_i32_i24_e32 v119 /*v375*/, v203, v119 /*v375*/
	s_set_vgpr_msb 5                        ;  msbs: dst=0 src0=1 src1=1 src2=0
	v_mad_u32 v102, v91 /*v347*/, v92 /*v348*/, v102
	s_set_vgpr_msb 0x45                     ;  msbs: dst=1 src0=1 src1=1 src2=0
	v_mul_i32_i24_e32 v91 /*v347*/, v27 /*v283*/, v99 /*v355*/
	s_set_vgpr_msb 0x44                     ;  msbs: dst=1 src0=0 src1=1 src2=0
	v_mul_i32_i24_e32 v99 /*v355*/, v193, v99 /*v355*/
	s_set_vgpr_msb 0x45                     ;  msbs: dst=1 src0=1 src1=1 src2=0
	v_mul_i32_i24_e32 v174 /*v430*/, v34 /*v290*/, v169 /*v425*/
	v_mul_i32_i24_e32 v175 /*v431*/, v35 /*v291*/, v170 /*v426*/
	;; [unrolled: 1-line block ×3, first 2 shown]
	s_set_vgpr_msb 64                       ;  msbs: dst=1 src0=0 src1=0 src2=0
	v_cvt_f32_i32_e32 v128 /*v384*/, v102
	s_set_vgpr_msb 5                        ;  msbs: dst=0 src0=1 src1=1 src2=0
	v_mul_i32_i24_e32 v102, v26 /*v282*/, v89 /*v345*/
	s_set_vgpr_msb 0x44                     ;  msbs: dst=1 src0=0 src1=1 src2=0
	v_mul_i32_i24_e32 v89 /*v345*/, v192, v89 /*v345*/
	s_set_vgpr_msb 17                       ;  msbs: dst=0 src0=1 src1=0 src2=1
	s_delay_alu instid0(VALU_DEP_2)
	v_add3_u32 v102, v155 /*v411*/, v102, v91 /*v347*/
	s_set_vgpr_msb 0x45                     ;  msbs: dst=1 src0=1 src1=1 src2=0
	v_mul_i32_i24_e32 v91 /*v347*/, v172 /*v428*/, v67 /*v323*/
	s_set_vgpr_msb 20                       ;  msbs: dst=0 src0=0 src1=1 src2=1
	v_add3_u32 v118, v118, v89 /*v345*/, v99 /*v355*/
	v_add3_u32 v102, v102, v116 /*v372*/, v120 /*v376*/
	s_set_vgpr_msb 0x45                     ;  msbs: dst=1 src0=1 src1=1 src2=0
	v_mul_i32_i24_e32 v116 /*v372*/, v173 /*v429*/, v59 /*v315*/
	s_set_vgpr_msb 20                       ;  msbs: dst=0 src0=0 src1=1 src2=1
	v_add3_u32 v118, v118, v100 /*v356*/, v108 /*v364*/
	s_set_vgpr_msb 0x44                     ;  msbs: dst=1 src0=0 src1=1 src2=0
	v_mul_i32_i24_e32 v120 /*v376*/, v198, v168 /*v424*/
	s_set_vgpr_msb 20                       ;  msbs: dst=0 src0=0 src1=1 src2=1
	v_add3_u32 v102, v102, v121 /*v377*/, v122 /*v378*/
	s_set_vgpr_msb 0x55                     ;  msbs: dst=1 src0=1 src1=1 src2=1
	v_add3_u32 v91 /*v347*/, v156 /*v412*/, v91 /*v347*/, v116 /*v372*/
	s_set_vgpr_msb 0x44                     ;  msbs: dst=1 src0=0 src1=1 src2=0
	v_mul_i32_i24_e32 v116 /*v372*/, v196, v117 /*v373*/
	v_mul_i32_i24_e32 v117 /*v373*/, v197, v144 /*v400*/
	;; [unrolled: 1-line block ×4, first 2 shown]
	s_set_vgpr_msb 20                       ;  msbs: dst=0 src0=0 src1=1 src2=1
	v_add3_u32 v102, v102, v123 /*v379*/, v153 /*v409*/
	s_set_vgpr_msb 0x44                     ;  msbs: dst=1 src0=0 src1=1 src2=0
	v_mul_i32_i24_e32 v123 /*v379*/, v202, v171 /*v427*/
	s_set_vgpr_msb 20                       ;  msbs: dst=0 src0=0 src1=1 src2=1
	v_add3_u32 v118, v118, v116 /*v372*/, v117 /*v373*/
	v_add3_u32 v102, v102, v174 /*v430*/, v175 /*v431*/
	s_delay_alu instid0(VALU_DEP_2) | instskip(NEXT) | instid1(VALU_DEP_2)
	v_add3_u32 v118, v118, v120 /*v376*/, v118 /*v374*/
	v_add3_u32 v102, v102, v176 /*v432*/, v177 /*v433*/
	s_delay_alu instid0(VALU_DEP_2) | instskip(NEXT) | instid1(VALU_DEP_2)
	v_add3_u32 v118, v118, v121 /*v377*/, v122 /*v378*/
	v_mad_u32 v102, v102, v60 /*v316*/, v154 /*v410*/
	s_set_vgpr_msb 0x54                     ;  msbs: dst=1 src0=0 src1=1 src2=1
	s_delay_alu instid0(VALU_DEP_2)
	v_add3_u32 v144 /*v400*/, v118, v123 /*v379*/, v119 /*v375*/
	s_set_vgpr_msb 0x41                     ;  msbs: dst=1 src0=1 src1=0 src2=0
	ds_load_b32 v89 /*v345*/, v158 /*v414*/ offset:30368
	s_set_vgpr_msb 64                       ;  msbs: dst=1 src0=0 src1=0 src2=0
	ds_load_b128 v[116:119] /*v[372:375]*/, v120 offset:16896
	ds_load_b128 v[120:123] /*v[376:379]*/, v120 offset:16912
	s_set_vgpr_msb 0                        ;  msbs: dst=0 src0=0 src1=0 src2=0
	v_cvt_f32_i32_e32 v102, v102
	s_wait_dscnt 0x1
	s_set_vgpr_msb 1                        ;  msbs: dst=0 src0=1 src1=0 src2=0
	v_bfe_i32 v118, v116 /*v372*/, 0, 8
	v_bfe_i32 v120, v116 /*v372*/, 8, 8
	s_set_vgpr_msb 0x41                     ;  msbs: dst=1 src0=1 src1=0 src2=0
	v_bfe_i32 v99 /*v355*/, v116 /*v372*/, 16, 8
	s_set_vgpr_msb 0x44                     ;  msbs: dst=1 src0=0 src1=1 src2=0
	v_ashrrev_i32_e32 v100 /*v356*/, 24, v116 /*v372*/
	s_set_vgpr_msb 0x41                     ;  msbs: dst=1 src0=1 src1=0 src2=0
	v_bfe_i32 v108 /*v364*/, v117 /*v373*/, 0, 8
	s_set_vgpr_msb 64                       ;  msbs: dst=1 src0=0 src1=0 src2=0
	v_mul_i32_i24_e32 v169 /*v425*/, v121, v118
	s_set_vgpr_msb 0x41                     ;  msbs: dst=1 src0=1 src1=0 src2=0
	v_bfe_i32 v116 /*v372*/, v117 /*v373*/, 8, 8
	s_set_vgpr_msb 0x44                     ;  msbs: dst=1 src0=0 src1=1 src2=0
	v_mul_i32_i24_e32 v170 /*v426*/, v224, v99 /*v355*/
	v_mul_i32_i24_e32 v171 /*v427*/, v127, v100 /*v356*/
	s_set_vgpr_msb 0x41                     ;  msbs: dst=1 src0=1 src1=0 src2=0
	v_bfe_i32 v153 /*v409*/, v117 /*v373*/, 16, 8
	s_set_vgpr_msb 0x50                     ;  msbs: dst=1 src0=0 src1=0 src2=1
	v_mad_i32_i24 v169 /*v425*/, v119, v120, v169 /*v425*/
	s_set_vgpr_msb 0x44                     ;  msbs: dst=1 src0=0 src1=1 src2=0
	v_ashrrev_i32_e32 v117 /*v373*/, 24, v117 /*v373*/
	s_set_vgpr_msb 0x41                     ;  msbs: dst=1 src0=1 src1=0 src2=0
	v_add_nc_u32_e32 v168 /*v424*/, v108 /*v364*/, v118
	v_add_nc_u32_e32 v158 /*v414*/, v116 /*v372*/, v120
	s_set_vgpr_msb 0x55                     ;  msbs: dst=1 src0=1 src1=1 src2=1
	v_add_nc_u32_e32 v156 /*v412*/, v153 /*v409*/, v99 /*v355*/
	v_add3_u32 v169 /*v425*/, v169 /*v425*/, v170 /*v426*/, v171 /*v427*/
	s_set_vgpr_msb 0x44                     ;  msbs: dst=1 src0=0 src1=1 src2=0
	v_mul_i32_i24_e32 v170 /*v426*/, v222, v108 /*v364*/
	v_mul_i32_i24_e32 v171 /*v427*/, v225, v116 /*v372*/
	;; [unrolled: 1-line block ×5, first 2 shown]
	s_set_vgpr_msb 0x55                     ;  msbs: dst=1 src0=1 src1=1 src2=1
	v_add_nc_u32_e32 v155 /*v411*/, v117 /*v373*/, v100 /*v356*/
	v_add3_u32 v169 /*v425*/, v169 /*v425*/, v170 /*v426*/, v171 /*v427*/
	s_set_vgpr_msb 64                       ;  msbs: dst=1 src0=0 src1=0 src2=0
	v_mul_i32_i24_e32 v170 /*v426*/, v125, v118
	s_set_vgpr_msb 0x44                     ;  msbs: dst=1 src0=0 src1=1 src2=0
	v_mul_i32_i24_e32 v171 /*v427*/, v206, v99 /*v355*/
	s_set_vgpr_msb 0x55                     ;  msbs: dst=1 src0=1 src1=1 src2=1
	v_mul_i32_i24_e32 v179 /*v435*/, v0 /*v256*/, v117 /*v373*/
	v_bfe_i32 v154 /*v410*/, v118 /*v374*/, 0, 8
	v_add3_u32 v169 /*v425*/, v169 /*v425*/, v174 /*v430*/, v175 /*v431*/
	s_set_vgpr_msb 0x44                     ;  msbs: dst=1 src0=0 src1=1 src2=0
	v_mul_i32_i24_e32 v174 /*v430*/, v204, v100 /*v356*/
	s_set_vgpr_msb 0x50                     ;  msbs: dst=1 src0=0 src1=0 src2=1
	v_mad_i32_i24 v170 /*v426*/, v123, v120, v170 /*v426*/
	s_set_vgpr_msb 0x44                     ;  msbs: dst=1 src0=0 src1=1 src2=0
	v_mul_i32_i24_e32 v175 /*v431*/, v208, v153 /*v409*/
	v_mul_i32_i24_e32 v176 /*v432*/, v230, v154 /*v410*/
	;; [unrolled: 1-line block ×3, first 2 shown]
	s_set_vgpr_msb 0x55                     ;  msbs: dst=1 src0=1 src1=1 src2=1
	v_mul_i32_i24_e32 v180 /*v436*/, v1 /*v257*/, v154 /*v410*/
	v_add3_u32 v170 /*v426*/, v170 /*v426*/, v171 /*v427*/, v174 /*v430*/
	s_set_vgpr_msb 0x44                     ;  msbs: dst=1 src0=0 src1=1 src2=0
	v_mul_i32_i24_e32 v171 /*v427*/, v205, v108 /*v364*/
	v_mul_i32_i24_e32 v174 /*v430*/, v207, v116 /*v372*/
	s_set_vgpr_msb 0x55                     ;  msbs: dst=1 src0=1 src1=1 src2=1
	s_delay_alu instid0(VALU_DEP_1)
	v_add3_u32 v170 /*v426*/, v170 /*v426*/, v171 /*v427*/, v174 /*v430*/
	s_set_vgpr_msb 64                       ;  msbs: dst=1 src0=0 src1=0 src2=0
	v_mul_i32_i24_e32 v171 /*v427*/, v243, v118
	s_set_vgpr_msb 0                        ;  msbs: dst=0 src0=0 src1=0 src2=0
	v_mul_i32_i24_e32 v118, v173, v118
	s_set_vgpr_msb 0x44                     ;  msbs: dst=1 src0=0 src1=1 src2=0
	v_mul_i32_i24_e32 v174 /*v430*/, v252, v99 /*v355*/
	v_mul_i32_i24_e32 v99 /*v355*/, v176, v99 /*v355*/
	s_set_vgpr_msb 0x55                     ;  msbs: dst=1 src0=1 src1=1 src2=1
	v_add3_u32 v170 /*v426*/, v170 /*v426*/, v175 /*v431*/, v177 /*v433*/
	s_set_vgpr_msb 0x44                     ;  msbs: dst=1 src0=0 src1=1 src2=0
	v_mul_i32_i24_e32 v175 /*v431*/, v248, v100 /*v356*/
	v_mul_i32_i24_e32 v100 /*v356*/, v174, v100 /*v356*/
	s_set_vgpr_msb 0                        ;  msbs: dst=0 src0=0 src1=0 src2=0
	v_mad_i32_i24 v118, v172, v120, v118
	s_set_vgpr_msb 0x50                     ;  msbs: dst=1 src0=0 src1=0 src2=1
	v_mad_i32_i24 v171 /*v427*/, v238, v120, v171 /*v427*/
	s_set_vgpr_msb 4                        ;  msbs: dst=0 src0=0 src1=1 src2=0
	v_mul_i32_i24_e32 v120, v175, v108 /*v364*/
	s_set_vgpr_msb 0x44                     ;  msbs: dst=1 src0=0 src1=1 src2=0
	v_mul_i32_i24_e32 v177 /*v433*/, v254, v153 /*v409*/
	s_set_vgpr_msb 20                       ;  msbs: dst=0 src0=0 src1=1 src2=1
	v_add3_u32 v118, v118, v99 /*v355*/, v100 /*v356*/
	s_set_vgpr_msb 0x44                     ;  msbs: dst=1 src0=0 src1=1 src2=0
	v_mul_i32_i24_e32 v99 /*v355*/, v177, v116 /*v372*/
	s_set_vgpr_msb 0x55                     ;  msbs: dst=1 src0=1 src1=1 src2=1
	v_add3_u32 v171 /*v427*/, v171 /*v427*/, v174 /*v430*/, v175 /*v431*/
	s_set_vgpr_msb 0x44                     ;  msbs: dst=1 src0=0 src1=1 src2=0
	v_mul_i32_i24_e32 v174 /*v430*/, v250, v108 /*v364*/
	v_mul_i32_i24_e32 v175 /*v431*/, v253, v116 /*v372*/
	;; [unrolled: 1-line block ×4, first 2 shown]
	s_set_vgpr_msb 16                       ;  msbs: dst=0 src0=0 src1=0 src2=1
	v_add3_u32 v118, v118, v120, v99 /*v355*/
	s_set_vgpr_msb 0x55                     ;  msbs: dst=1 src0=1 src1=1 src2=1
	v_lshrrev_b32_e32 v99 /*v355*/, 24, v161 /*v417*/
	v_add3_u32 v171 /*v427*/, v171 /*v427*/, v174 /*v430*/, v175 /*v431*/
	v_lshrrev_b32_e32 v175 /*v431*/, 24, v107 /*v363*/
	s_set_vgpr_msb 0x54                     ;  msbs: dst=1 src0=0 src1=1 src2=1
	v_mul_i32_i24_e32 v153 /*v409*/, v180, v154 /*v410*/
	v_add3_u32 v174 /*v430*/, v118, v100 /*v356*/, v108 /*v364*/
	s_set_vgpr_msb 0x41                     ;  msbs: dst=1 src0=1 src1=0 src2=0
	v_bfe_i32 v100 /*v356*/, v161 /*v417*/, 16, 8
	v_bfe_i32 v161 /*v417*/, v107 /*v363*/, 16, 8
	s_set_vgpr_msb 5                        ;  msbs: dst=0 src0=1 src1=1 src2=0
	v_mul_i32_i24_e32 v118, v49 /*v305*/, v175 /*v431*/
	v_mul_i32_i24_e32 v120, v51 /*v307*/, v175 /*v431*/
	s_set_vgpr_msb 0x55                     ;  msbs: dst=1 src0=1 src1=1 src2=1
	v_add3_u32 v171 /*v427*/, v171 /*v427*/, v177 /*v433*/, v179 /*v435*/
	s_set_vgpr_msb 64                       ;  msbs: dst=1 src0=0 src1=0 src2=0
	v_bfe_i32 v177 /*v433*/, v2, 0, 8
	s_set_vgpr_msb 0x45                     ;  msbs: dst=1 src0=1 src1=1 src2=0
	v_mul_i32_i24_e32 v107 /*v363*/, v50 /*v306*/, v161 /*v417*/
	v_mul_i32_i24_e32 v108 /*v364*/, v52 /*v308*/, v161 /*v417*/
	s_set_vgpr_msb 64                       ;  msbs: dst=1 src0=0 src1=0 src2=0
	v_ashrrev_i32_e32 v179 /*v435*/, 24, v3
	s_set_vgpr_msb 0x45                     ;  msbs: dst=1 src0=1 src1=1 src2=0
	v_mul_i32_i24_e32 v187 /*v443*/, v15 /*v271*/, v177 /*v433*/
	s_set_vgpr_msb 4                        ;  msbs: dst=0 src0=0 src1=1 src2=0
	v_add3_u32 v117, v117, v107 /*v363*/, v118
	v_add3_u32 v115, v115, v108 /*v364*/, v120
	v_bfe_i32 v120, v1, 0, 8
	v_bfe_i32 v118, v1, 16, 8
	s_set_vgpr_msb 0x44                     ;  msbs: dst=1 src0=0 src1=1 src2=0
	v_mul_i32_i24_e32 v194 /*v450*/, v246, v179 /*v435*/
	v_cvt_f32_i32_e32 v117 /*v373*/, v117
	v_cvt_f32_i32_e32 v116 /*v372*/, v115
	s_set_vgpr_msb 0x41                     ;  msbs: dst=1 src0=1 src1=0 src2=0
	v_mul_i32_i24_e32 v185 /*v441*/, v11 /*v267*/, v118
	s_set_vgpr_msb 4                        ;  msbs: dst=0 src0=0 src1=1 src2=0
	s_delay_alu instid0(VALU_DEP_2) | instskip(SKIP_3) | instid1(VALU_DEP_2)
	v_pk_mul_f32 v[114:115], v[114:115], v[116:117] /*v[372:373]*/ op_sel_hi:[0,1]
	s_set_vgpr_msb 64                       ;  msbs: dst=1 src0=0 src1=0 src2=0
	v_ashrrev_i32_e32 v116 /*v372*/, 24, v1
	s_set_vgpr_msb 0                        ;  msbs: dst=0 src0=0 src1=0 src2=0
	v_pk_fma_f32 v[104:105], v[94:95], v[104:105], v[114:115] op_sel_hi:[0,1,1] neg_lo:[0,0,1] neg_hi:[0,0,1]
	v_lshrrev_b16 v94, 8, v1
	v_bfe_i32 v114, v0, 16, 8
	v_bfe_i32 v115, v0, 0, 8
	s_set_vgpr_msb 64                       ;  msbs: dst=1 src0=0 src1=0 src2=0
	v_ashrrev_i32_e32 v117 /*v373*/, 24, v2
	s_set_vgpr_msb 0                        ;  msbs: dst=0 src0=0 src1=0 src2=0
	v_pk_fma_f32 v[74:75], v[90:91], v[104:105], v[74:75]
	v_lshrrev_b16 v90, 8, v0
	v_lshrrev_b16 v104, 8, v2
	;; [unrolled: 1-line block ×3, first 2 shown]
	v_bfe_i32 v94, v94, 0, 8
	s_set_vgpr_msb 64                       ;  msbs: dst=1 src0=0 src1=0 src2=0
	v_add_nc_u32_e32 v108 /*v364*/, v120, v115
	s_set_vgpr_msb 0                        ;  msbs: dst=0 src0=0 src1=0 src2=0
	v_bfe_i32 v90, v90, 0, 8
	v_ashrrev_i32_e32 v117, 24, v0
	v_bfe_i32 v104, v104, 0, 8
	v_bfe_i32 v105, v105, 0, 8
	s_set_vgpr_msb 0x55                     ;  msbs: dst=1 src0=1 src1=1 src2=1
	v_add3_u32 v182 /*v438*/, v108 /*v364*/, v177 /*v433*/, v181 /*v437*/
	s_set_vgpr_msb 0                        ;  msbs: dst=0 src0=0 src1=0 src2=0
	v_add_nc_u32_e32 v0, v94, v90
	s_set_vgpr_msb 1                        ;  msbs: dst=0 src0=1 src1=0 src2=0
	v_add_nc_u32_e32 v1, v116 /*v372*/, v117
	s_set_vgpr_msb 0x41                     ;  msbs: dst=1 src0=1 src1=0 src2=0
	v_mul_i32_i24_e32 v184 /*v440*/, v4 /*v260*/, v117
	s_set_vgpr_msb 0x45                     ;  msbs: dst=1 src0=1 src1=1 src2=0
	v_mul_i32_i24_e32 v186 /*v442*/, v13 /*v269*/, v116 /*v372*/
	s_set_vgpr_msb 0                        ;  msbs: dst=0 src0=0 src1=0 src2=0
	v_bfe_i32 v2, v2, 16, 8
	s_set_vgpr_msb 64                       ;  msbs: dst=1 src0=0 src1=0 src2=0
	v_add3_u32 v183 /*v439*/, v0, v104, v105
	s_set_vgpr_msb 0                        ;  msbs: dst=0 src0=0 src1=0 src2=0
	v_mul_i32_i24_e32 v0, v255, v115
	s_set_vgpr_msb 0x54                     ;  msbs: dst=1 src0=0 src1=1 src2=1
	v_add3_u32 v108 /*v364*/, v1, v117 /*v373*/, v179 /*v435*/
	s_set_vgpr_msb 1                        ;  msbs: dst=0 src0=1 src1=0 src2=0
	v_mul_i32_i24_e32 v1, v2 /*v258*/, v114
	s_set_vgpr_msb 0x41                     ;  msbs: dst=1 src0=1 src1=0 src2=0
	v_mul_i32_i24_e32 v188 /*v444*/, v16 /*v272*/, v104
	v_mul_i32_i24_e32 v189 /*v445*/, v17 /*v273*/, v2
	s_set_vgpr_msb 0                        ;  msbs: dst=0 src0=0 src1=0 src2=0
	v_mad_i32_i24 v0, v251, v90, v0
	s_set_vgpr_msb 0x45                     ;  msbs: dst=1 src0=1 src1=1 src2=0
	v_mul_i32_i24_e32 v190 /*v446*/, v19 /*v275*/, v117 /*v373*/
	s_set_vgpr_msb 0                        ;  msbs: dst=0 src0=0 src1=0 src2=0
	v_bfe_i32 v3, v3, 16, 8
	s_set_vgpr_msb 0x41                     ;  msbs: dst=1 src0=1 src1=0 src2=0
	v_mul_i32_i24_e32 v192 /*v448*/, v22 /*v278*/, v105
	s_set_vgpr_msb 64                       ;  msbs: dst=1 src0=0 src1=0 src2=0
	v_mul_i32_i24_e32 v196 /*v452*/, v247, v105
	s_set_vgpr_msb 16                       ;  msbs: dst=0 src0=0 src1=0 src2=1
	v_add3_u32 v0, v0, v1, v184 /*v440*/
	s_set_vgpr_msb 1                        ;  msbs: dst=0 src0=1 src1=0 src2=0
	v_mul_i32_i24_e32 v1, v6 /*v262*/, v120
	s_set_vgpr_msb 0x41                     ;  msbs: dst=1 src0=1 src1=0 src2=0
	v_mul_i32_i24_e32 v184 /*v440*/, v9 /*v265*/, v94
	v_mul_i32_i24_e32 v193 /*v449*/, v24 /*v280*/, v3
	;; [unrolled: 1-line block ×4, first 2 shown]
	s_set_vgpr_msb 64                       ;  msbs: dst=1 src0=0 src1=0 src2=0
	v_add_nc_u32_e32 v107 /*v363*/, v118, v114
	s_set_vgpr_msb 16                       ;  msbs: dst=0 src0=0 src1=0 src2=1
	v_add3_u32 v0, v0, v1, v184 /*v440*/
	v_mul_i32_i24_e32 v1, v221, v114
	s_set_vgpr_msb 64                       ;  msbs: dst=1 src0=0 src1=0 src2=0
	v_mul_i32_i24_e32 v197 /*v453*/, v249, v3
	s_set_vgpr_msb 0                        ;  msbs: dst=0 src0=0 src1=0 src2=0
	v_mul_i32_i24_e32 v105, v201, v105
	s_set_vgpr_msb 0x41                     ;  msbs: dst=1 src0=1 src1=0 src2=0
	v_add3_u32 v107 /*v363*/, v107 /*v363*/, v2, v3
	s_set_vgpr_msb 20                       ;  msbs: dst=0 src0=0 src1=1 src2=1
	v_add3_u32 v0, v0, v185 /*v441*/, v186 /*v442*/
	s_set_vgpr_msb 0x45                     ;  msbs: dst=1 src0=1 src1=1 src2=0
	v_mul_i32_i24_e32 v185 /*v441*/, v108 /*v364*/, v175 /*v431*/
	v_mul_i32_i24_e32 v184 /*v440*/, v183 /*v439*/, v55 /*v311*/
	;; [unrolled: 1-line block ×3, first 2 shown]
	s_set_vgpr_msb 20                       ;  msbs: dst=0 src0=0 src1=1 src2=1
	v_add3_u32 v0, v0, v187 /*v443*/, v188 /*v444*/
	s_set_vgpr_msb 64                       ;  msbs: dst=1 src0=0 src1=0 src2=0
	v_mul_i32_i24_e32 v188 /*v444*/, v223, v117
	s_set_vgpr_msb 0x45                     ;  msbs: dst=1 src0=1 src1=1 src2=0
	v_mul_i32_i24_e32 v187 /*v443*/, v107 /*v363*/, v161 /*v417*/
	s_set_vgpr_msb 20                       ;  msbs: dst=0 src0=0 src1=1 src2=1
	v_add3_u32 v0, v0, v189 /*v445*/, v190 /*v446*/
	s_set_vgpr_msb 64                       ;  msbs: dst=1 src0=0 src1=0 src2=0
	v_mul_i32_i24_e32 v189 /*v445*/, v231, v118
	s_set_vgpr_msb 0x44                     ;  msbs: dst=1 src0=0 src1=1 src2=0
	v_mul_i32_i24_e32 v190 /*v446*/, v233, v116 /*v372*/
	s_set_vgpr_msb 20                       ;  msbs: dst=0 src0=0 src1=1 src2=1
	v_add3_u32 v0, v0, v191 /*v447*/, v192 /*v448*/
	s_set_vgpr_msb 0x44                     ;  msbs: dst=1 src0=0 src1=1 src2=0
	v_mul_i32_i24_e32 v191 /*v447*/, v235, v177 /*v433*/
	s_set_vgpr_msb 64                       ;  msbs: dst=1 src0=0 src1=0 src2=0
	v_mul_i32_i24_e32 v192 /*v448*/, v237, v104
	s_set_vgpr_msb 20                       ;  msbs: dst=0 src0=0 src1=1 src2=1
	v_add3_u32 v0, v0, v193 /*v449*/, v194 /*v450*/
	s_set_vgpr_msb 64                       ;  msbs: dst=1 src0=0 src1=0 src2=0
	v_mul_i32_i24_e32 v193 /*v449*/, v240, v2
	s_set_vgpr_msb 0x44                     ;  msbs: dst=1 src0=0 src1=1 src2=0
	v_mul_i32_i24_e32 v194 /*v450*/, v242, v117 /*v373*/
	s_set_vgpr_msb 20                       ;  msbs: dst=0 src0=0 src1=1 src2=1
	v_mad_u32 v0, v0, v54 /*v310*/, v127 /*v383*/
	s_set_vgpr_msb 64                       ;  msbs: dst=1 src0=0 src1=0 src2=0
	s_delay_alu instid0(VALU_DEP_1) | instskip(SKIP_2) | instid1(VALU_DEP_1)
	v_cvt_f32_i32_e32 v127 /*v383*/, v0
	s_set_vgpr_msb 0                        ;  msbs: dst=0 src0=0 src1=0 src2=0
	v_mul_i32_i24_e32 v0, v220, v115
	v_mad_i32_i24 v0, v219, v90, v0
	s_set_vgpr_msb 16                       ;  msbs: dst=0 src0=0 src1=0 src2=1
	s_delay_alu instid0(VALU_DEP_1) | instskip(SKIP_4) | instid1(VALU_DEP_1)
	v_add3_u32 v0, v0, v1, v188 /*v444*/
	v_mul_i32_i24_e32 v1, v227, v120
	s_set_vgpr_msb 64                       ;  msbs: dst=1 src0=0 src1=0 src2=0
	v_mul_i32_i24_e32 v188 /*v444*/, v229, v94
	s_set_vgpr_msb 16                       ;  msbs: dst=0 src0=0 src1=0 src2=1
	v_add3_u32 v0, v0, v1, v188 /*v444*/
	s_set_vgpr_msb 1                        ;  msbs: dst=0 src0=1 src1=0 src2=0
	v_mul_i32_i24_e32 v1, v23 /*v279*/, v114
	s_set_vgpr_msb 0                        ;  msbs: dst=0 src0=0 src1=0 src2=0
	v_mul_i32_i24_e32 v114, v190, v114
	s_set_vgpr_msb 20                       ;  msbs: dst=0 src0=0 src1=1 src2=1
	v_add3_u32 v0, v0, v189 /*v445*/, v190 /*v446*/
	s_set_vgpr_msb 0x41                     ;  msbs: dst=1 src0=1 src1=0 src2=0
	v_mul_i32_i24_e32 v189 /*v445*/, v25 /*v281*/, v117
	v_mul_i32_i24_e32 v190 /*v446*/, v28 /*v284*/, v118
	s_set_vgpr_msb 20                       ;  msbs: dst=0 src0=0 src1=1 src2=1
	v_add3_u32 v0, v0, v191 /*v447*/, v192 /*v448*/
	s_set_vgpr_msb 0x45                     ;  msbs: dst=1 src0=1 src1=1 src2=0
	v_mul_i32_i24_e32 v191 /*v447*/, v29 /*v285*/, v116 /*v372*/
	v_mul_i32_i24_e32 v192 /*v448*/, v30 /*v286*/, v177 /*v433*/
	s_set_vgpr_msb 20                       ;  msbs: dst=0 src0=0 src1=1 src2=1
	v_add3_u32 v0, v0, v193 /*v449*/, v194 /*v450*/
	s_set_vgpr_msb 0x41                     ;  msbs: dst=1 src0=1 src1=0 src2=0
	v_mul_i32_i24_e32 v193 /*v449*/, v31 /*v287*/, v104
	v_mul_i32_i24_e32 v194 /*v450*/, v32 /*v288*/, v2
	s_set_vgpr_msb 0                        ;  msbs: dst=0 src0=0 src1=0 src2=0
	v_mul_i32_i24_e32 v104, v197, v104
	v_mul_i32_i24_e32 v2, v198, v2
	s_set_vgpr_msb 0x54                     ;  msbs: dst=1 src0=0 src1=1 src2=1
	v_add3_u32 v188 /*v444*/, v0, v195 /*v451*/, v196 /*v452*/
	s_set_vgpr_msb 1                        ;  msbs: dst=0 src0=1 src1=0 src2=0
	v_mul_i32_i24_e32 v0, v20 /*v276*/, v115
	s_set_vgpr_msb 0x45                     ;  msbs: dst=1 src0=1 src1=1 src2=0
	v_mul_i32_i24_e32 v195 /*v451*/, v33 /*v289*/, v117 /*v373*/
	v_mul_i32_i24_e32 v196 /*v452*/, v34 /*v290*/, v181 /*v437*/
	s_set_vgpr_msb 1                        ;  msbs: dst=0 src0=1 src1=0 src2=0
	v_mad_i32_i24 v0, v18 /*v274*/, v90, v0
	s_set_vgpr_msb 16                       ;  msbs: dst=0 src0=0 src1=0 src2=1
	s_delay_alu instid0(VALU_DEP_1)
	v_add3_u32 v0, v0, v1, v189 /*v445*/
	s_set_vgpr_msb 1                        ;  msbs: dst=0 src0=1 src1=0 src2=0
	v_mul_i32_i24_e32 v1, v26 /*v282*/, v120
	s_set_vgpr_msb 0x41                     ;  msbs: dst=1 src0=1 src1=0 src2=0
	v_mul_i32_i24_e32 v189 /*v445*/, v27 /*v283*/, v94
	s_set_vgpr_msb 16                       ;  msbs: dst=0 src0=0 src1=0 src2=1
	v_mul_i32_i24_e32 v94, v193, v94
	s_delay_alu instid0(VALU_DEP_2)
	v_add3_u32 v0, v0, v1, v189 /*v445*/
	s_set_vgpr_msb 5                        ;  msbs: dst=0 src0=1 src1=1 src2=0
	v_mul_i32_i24_e32 v1, v8 /*v264*/, v179 /*v435*/
	s_set_vgpr_msb 0x44                     ;  msbs: dst=1 src0=0 src1=1 src2=0
	v_mul_i32_i24_e32 v189 /*v445*/, v209, v79 /*v335*/
	s_set_vgpr_msb 20                       ;  msbs: dst=0 src0=0 src1=1 src2=1
	v_add3_u32 v0, v0, v190 /*v446*/, v191 /*v447*/
	s_set_vgpr_msb 17                       ;  msbs: dst=0 src0=1 src1=0 src2=1
	s_delay_alu instid0(VALU_DEP_2)
	v_add3_u32 v113, v125 /*v381*/, v113, v189 /*v445*/
	s_set_vgpr_msb 0x45                     ;  msbs: dst=1 src0=1 src1=1 src2=0
	v_mul_i32_i24_e32 v125 /*v381*/, v183 /*v439*/, v59 /*v315*/
	v_mul_i32_i24_e32 v189 /*v445*/, v80 /*v336*/, v59 /*v315*/
	s_set_vgpr_msb 20                       ;  msbs: dst=0 src0=0 src1=1 src2=1
	v_add3_u32 v0, v0, v192 /*v448*/, v193 /*v449*/
	s_set_vgpr_msb 0x55                     ;  msbs: dst=1 src0=1 src1=1 src2=1
	s_delay_alu instid0(VALU_DEP_2) | instskip(SKIP_1) | instid1(VALU_DEP_2)
	v_add3_u32 v130 /*v386*/, v131 /*v387*/, v130 /*v386*/, v189 /*v445*/
	s_set_vgpr_msb 20                       ;  msbs: dst=0 src0=0 src1=1 src2=1
	v_add3_u32 v0, v0, v194 /*v450*/, v195 /*v451*/
	s_delay_alu instid0(VALU_DEP_1) | instskip(SKIP_1) | instid1(VALU_DEP_1)
	v_add3_u32 v0, v0, v196 /*v452*/, v198 /*v454*/
	s_set_vgpr_msb 4                        ;  msbs: dst=0 src0=0 src1=1 src2=0
	v_add3_u32 v0, v0, v199 /*v455*/, v1
	s_set_vgpr_msb 5                        ;  msbs: dst=0 src0=1 src1=1 src2=0
	v_mul_i32_i24_e32 v1, v182 /*v438*/, v67 /*v323*/
	s_set_vgpr_msb 20                       ;  msbs: dst=0 src0=0 src1=1 src2=1
	s_delay_alu instid0(VALU_DEP_2) | instskip(SKIP_1) | instid1(VALU_DEP_2)
	v_mad_u32 v0, v0, v60 /*v316*/, v133 /*v389*/
	s_set_vgpr_msb 0x51                     ;  msbs: dst=1 src0=1 src1=0 src2=1
	v_add3_u32 v131 /*v387*/, v134 /*v390*/, v1, v125 /*v381*/
	s_set_vgpr_msb 20                       ;  msbs: dst=0 src0=0 src1=1 src2=1
	v_mad_u32 v1, v113, v66 /*v322*/, v132 /*v388*/
	s_set_vgpr_msb 0                        ;  msbs: dst=0 src0=0 src1=0 src2=0
	v_mul_i32_i24_e32 v113, v189, v115
	v_mul_i32_i24_e32 v115, v191, v117
	s_set_vgpr_msb 4                        ;  msbs: dst=0 src0=0 src1=1 src2=0
	v_mul_i32_i24_e32 v117, v196, v177 /*v433*/
	s_set_vgpr_msb 0                        ;  msbs: dst=0 src0=0 src1=0 src2=0
	v_mad_i32_i24 v90, v187, v90, v113
	v_mul_i32_i24_e32 v113, v192, v120
	s_set_vgpr_msb 4                        ;  msbs: dst=0 src0=0 src1=1 src2=0
	v_mul_i32_i24_e32 v120, v200, v181 /*v437*/
	v_cvt_f32_i32_e32 v0, v0
	s_set_vgpr_msb 0                        ;  msbs: dst=0 src0=0 src1=0 src2=0
	v_add3_u32 v90, v90, v114, v115
	v_mul_i32_i24_e32 v114, v194, v118
	s_set_vgpr_msb 4                        ;  msbs: dst=0 src0=0 src1=1 src2=0
	v_mul_i32_i24_e32 v115, v195, v116 /*v372*/
	s_set_vgpr_msb 64                       ;  msbs: dst=1 src0=0 src1=0 src2=0
	v_mul_i32_i24_e32 v116 /*v372*/, v202, v3
	s_set_vgpr_msb 4                        ;  msbs: dst=0 src0=0 src1=1 src2=0
	v_mul_i32_i24_e32 v118, v199, v117 /*v373*/
	s_set_vgpr_msb 0                        ;  msbs: dst=0 src0=0 src1=0 src2=0
	v_add3_u32 v3, v90, v113, v94
	s_set_vgpr_msb 4                        ;  msbs: dst=0 src0=0 src1=1 src2=0
	v_mul_i32_i24_e32 v90, v109, v79 /*v335*/
	s_set_vgpr_msb 5                        ;  msbs: dst=0 src0=1 src1=1 src2=0
	v_mul_i32_i24_e32 v94, v182 /*v438*/, v97 /*v353*/
	v_mul_i32_i24_e32 v113, v107 /*v363*/, v100 /*v356*/
	s_set_vgpr_msb 0                        ;  msbs: dst=0 src0=0 src1=0 src2=0
	v_cvt_f32_i32_e32 v1, v1
	v_add3_u32 v3, v3, v114, v115
	v_add3_u32 v90, v112, v107, v90
	s_set_vgpr_msb 5                        ;  msbs: dst=0 src0=1 src1=1 src2=0
	v_mul_i32_i24_e32 v112, v52 /*v308*/, v100 /*v356*/
	s_set_vgpr_msb 0                        ;  msbs: dst=0 src0=0 src1=0 src2=0
	v_add3_u32 v3, v3, v117, v104
	s_set_vgpr_msb 20                       ;  msbs: dst=0 src0=0 src1=1 src2=1
	v_mad_u32 v90, v90, v98 /*v354*/, v164 /*v420*/
	s_set_vgpr_msb 5                        ;  msbs: dst=0 src0=1 src1=1 src2=0
	v_mul_i32_i24_e32 v104, v183 /*v439*/, v90 /*v346*/
	s_set_vgpr_msb 0                        ;  msbs: dst=0 src0=0 src1=0 src2=0
	v_add3_u32 v2, v3, v2, v118
	s_set_vgpr_msb 4                        ;  msbs: dst=0 src0=0 src1=1 src2=0
	v_mul_i32_i24_e32 v3, v218, v179 /*v435*/
	s_set_vgpr_msb 1                        ;  msbs: dst=0 src0=1 src1=0 src2=0
	v_add3_u32 v94, v166 /*v422*/, v94, v104
	s_set_vgpr_msb 64                       ;  msbs: dst=1 src0=0 src1=0 src2=0
	v_add3_u32 v117 /*v373*/, v2, v120, v105
	s_set_vgpr_msb 5                        ;  msbs: dst=0 src0=1 src1=1 src2=0
	v_add3_u32 v3, v188 /*v444*/, v197 /*v453*/, v3
	v_mul_i32_i24_e32 v105, v80 /*v336*/, v90 /*v346*/
	s_set_vgpr_msb 20                       ;  msbs: dst=0 src0=0 src1=1 src2=1
	v_mul_f32_e32 v2, v99, v127 /*v383*/
	s_delay_alu instid0(VALU_DEP_3)
	v_mad_u32 v3, v3, v92 /*v348*/, v165 /*v421*/
	s_set_vgpr_msb 5                        ;  msbs: dst=0 src0=1 src1=1 src2=0
	v_add3_u32 v107, v163 /*v419*/, v162 /*v418*/, v105
	s_set_vgpr_msb 0                        ;  msbs: dst=0 src0=0 src1=0 src2=0
	v_cvt_f32_i32_e32 v105, v90
	s_set_vgpr_msb 5                        ;  msbs: dst=0 src0=1 src1=1 src2=0
	v_mul_i32_i24_e32 v90, v108 /*v364*/, v99 /*v355*/
	s_set_vgpr_msb 0                        ;  msbs: dst=0 src0=0 src1=0 src2=0
	s_delay_alu instid0(VALU_DEP_1)
	v_add3_u32 v90, v94, v113, v90
	s_set_vgpr_msb 21                       ;  msbs: dst=0 src0=1 src1=1 src2=1
	v_mad_i32_i24 v94, v112 /*v368*/, v56 /*v312*/, v185 /*v441*/
	s_set_vgpr_msb 0                        ;  msbs: dst=0 src0=0 src1=0 src2=0
	v_cvt_f32_i32_e32 v104, v3
	s_set_vgpr_msb 5                        ;  msbs: dst=0 src0=1 src1=1 src2=0
	v_mul_i32_i24_e32 v3, v51 /*v307*/, v99 /*v355*/
	v_add3_u32 v94, v129 /*v385*/, v184 /*v440*/, v94
	s_set_vgpr_msb 0                        ;  msbs: dst=0 src0=0 src1=0 src2=0
	s_delay_alu instid0(VALU_DEP_2)
	v_add3_u32 v3, v107, v112, v3
	v_cvt_f32_i32_e32 v112, v90
	s_set_vgpr_msb 21                       ;  msbs: dst=0 src0=1 src1=1 src2=1
	v_mad_i32_i24 v90, v109 /*v365*/, v72 /*v328*/, v186 /*v442*/
	s_set_vgpr_msb 0                        ;  msbs: dst=0 src0=0 src1=0 src2=0
	v_cvt_f32_i32_e32 v113, v3
	s_set_vgpr_msb 21                       ;  msbs: dst=0 src0=1 src1=1 src2=1
	v_mad_i32_i24 v3, v110 /*v366*/, v73 /*v329*/, v187 /*v443*/
	s_set_vgpr_msb 0                        ;  msbs: dst=0 src0=0 src1=0 src2=0
	s_delay_alu instid0(VALU_DEP_2) | instskip(NEXT) | instid1(VALU_DEP_2)
	v_pk_mul_f32 v[112:113], v[100:101], v[112:113] op_sel_hi:[0,1]
	v_add3_u32 v3, v90, v3, v94
	s_set_vgpr_msb 5                        ;  msbs: dst=0 src0=1 src1=1 src2=0
	v_mul_i32_i24_e32 v90, v69 /*v325*/, v161 /*v417*/
	s_set_vgpr_msb 0                        ;  msbs: dst=0 src0=0 src1=0 src2=0
	v_mov_b32_e32 v94, v92
	v_pk_fma_f32 v[104:105], v[98:99], v[104:105], v[112:113] op_sel_hi:[0,1,1] neg_lo:[0,0,1] neg_hi:[0,0,1]
	v_cvt_f32_i32_e32 v3, v3
	v_dual_mov_b32 v112, v99 :: v_dual_mov_b32 v113, v101
	s_delay_alu instid0(VALU_DEP_3) | instskip(NEXT) | instid1(VALU_DEP_3)
	v_pk_fma_f32 v[78:79], v[92:93], v[104:105], v[78:79]
	v_mul_f32_e32 v114, v101, v3
	s_set_vgpr_msb 5                        ;  msbs: dst=0 src0=1 src1=1 src2=0
	v_mul_i32_i24_e32 v3, v68 /*v324*/, v175 /*v431*/
	s_set_vgpr_msb 1                        ;  msbs: dst=0 src0=1 src1=0 src2=0
	s_delay_alu instid0(VALU_DEP_1) | instskip(SKIP_2) | instid1(VALU_DEP_2)
	v_add3_u32 v3, v143 /*v399*/, v90, v3
	v_lshrrev_b32_e32 v90, 16, v126
	s_set_vgpr_msb 0                        ;  msbs: dst=0 src0=0 src1=0 src2=0
	v_cvt_f32_i32_e32 v107, v3
	s_delay_alu instid0(VALU_DEP_1)
	v_pk_mul_f32 v[104:105], v[112:113], v[106:107]
	s_set_vgpr_msb 1                        ;  msbs: dst=0 src0=1 src1=0 src2=0
	ds_load_u16 v106, v77 /*v333*/
	s_set_vgpr_msb 0                        ;  msbs: dst=0 src0=0 src1=0 src2=0
	v_dual_mov_b32 v3, v104 :: v_dual_mov_b32 v115, v105
	v_cvt_f32_f16_e32 v105, v90
	s_delay_alu instid0(VALU_DEP_2) | instskip(SKIP_1) | instid1(VALU_DEP_2)
	v_pk_add_f32 v[2:3], v[2:3], v[114:115] neg_lo:[0,1] neg_hi:[0,1]
	v_dual_mov_b32 v114, v98 :: v_dual_mov_b32 v115, v100
	v_pk_fma_f32 v[84:85], v[94:95], v[2:3], v[84:85]
	s_set_vgpr_msb 5                        ;  msbs: dst=0 src0=1 src1=1 src2=0
	v_mul_i32_i24_e32 v2, v68 /*v324*/, v99 /*v355*/
	v_mul_i32_i24_e32 v3, v69 /*v325*/, v100 /*v356*/
	v_lshrrev_b32_e32 v94, 16, v78 /*v334*/
	s_wait_dscnt 0x0
	s_set_vgpr_msb 0                        ;  msbs: dst=0 src0=0 src1=0 src2=0
	v_lshrrev_b16 v107, 8, v106
	s_set_vgpr_msb 64                       ;  msbs: dst=1 src0=0 src1=0 src2=0
	v_bfe_u32 v77 /*v333*/, v106, 4, 4
	s_set_vgpr_msb 1                        ;  msbs: dst=0 src0=1 src1=0 src2=0
	v_add3_u32 v2, v167 /*v423*/, v3, v2
	s_set_vgpr_msb 0                        ;  msbs: dst=0 src0=0 src1=0 src2=0
	v_cvt_f32_f16_e32 v104, v94
	v_dual_mov_b32 v94, v105 :: v_dual_bitop2_b32 v106, 15, v106 bitop3:0x40
	s_set_vgpr_msb 64                       ;  msbs: dst=1 src0=0 src1=0 src2=0
	v_cvt_f32_i32_e32 v125 /*v381*/, v2
	s_delay_alu instid0(VALU_DEP_2) | instskip(SKIP_1) | instid1(VALU_DEP_2)
	v_and_b32_e32 v134 /*v390*/, 0xffff, v106
	s_set_vgpr_msb 4                        ;  msbs: dst=0 src0=0 src1=1 src2=0
	v_pk_mul_f32 v[2:3], v[114:115], v[124:125] /*v[380:381]*/
	s_set_vgpr_msb 0                        ;  msbs: dst=0 src0=0 src1=0 src2=0
	s_delay_alu instid0(VALU_DEP_1) | instskip(SKIP_3) | instid1(VALU_DEP_2)
	v_sub_f32_e32 v2, v2, v3
	s_set_vgpr_msb 5                        ;  msbs: dst=0 src0=1 src1=1 src2=0
	v_mul_i32_i24_e32 v3, v82 /*v338*/, v161 /*v417*/
	s_set_vgpr_msb 0                        ;  msbs: dst=0 src0=0 src1=0 src2=0
	v_mul_f32_e32 v117, v95, v2
	s_set_vgpr_msb 5                        ;  msbs: dst=0 src0=1 src1=1 src2=0
	v_mul_i32_i24_e32 v2, v81 /*v337*/, v175 /*v431*/
	s_set_vgpr_msb 1                        ;  msbs: dst=0 src0=1 src1=0 src2=0
	s_delay_alu instid0(VALU_DEP_1) | instskip(SKIP_1) | instid1(VALU_DEP_1)
	v_add3_u32 v2, v151 /*v407*/, v3, v2
	s_set_vgpr_msb 64                       ;  msbs: dst=1 src0=0 src1=0 src2=0
	v_cvt_f32_i32_e32 v127 /*v383*/, v2
	s_set_vgpr_msb 4                        ;  msbs: dst=0 src0=0 src1=1 src2=0
	s_delay_alu instid0(VALU_DEP_1) | instskip(SKIP_1) | instid1(VALU_DEP_1)
	v_pk_mul_f32 v[2:3], v[112:113], v[126:127] /*v[382:383]*/
	s_set_vgpr_msb 0                        ;  msbs: dst=0 src0=0 src1=0 src2=0
	v_sub_f32_e32 v2, v2, v3
	s_set_vgpr_msb 5                        ;  msbs: dst=0 src0=1 src1=1 src2=0
	v_mul_i32_i24_e32 v3, v82 /*v338*/, v100 /*v356*/
	s_set_vgpr_msb 1                        ;  msbs: dst=0 src0=1 src1=0 src2=0
	s_delay_alu instid0(VALU_DEP_2) | instskip(SKIP_3) | instid1(VALU_DEP_1)
	v_mul_f32_e32 v120, v76 /*v332*/, v2
	s_set_vgpr_msb 5                        ;  msbs: dst=0 src0=1 src1=1 src2=0
	v_mul_i32_i24_e32 v2, v81 /*v337*/, v99 /*v355*/
	s_set_vgpr_msb 1                        ;  msbs: dst=0 src0=1 src1=0 src2=0
	v_add3_u32 v2, v152 /*v408*/, v3, v2
	s_set_vgpr_msb 64                       ;  msbs: dst=1 src0=0 src1=0 src2=0
	s_delay_alu instid0(VALU_DEP_1) | instskip(SKIP_1) | instid1(VALU_DEP_1)
	v_cvt_f32_i32_e32 v129 /*v385*/, v2
	s_set_vgpr_msb 4                        ;  msbs: dst=0 src0=0 src1=1 src2=0
	v_pk_mul_f32 v[2:3], v[114:115], v[128:129] /*v[384:385]*/
	s_set_vgpr_msb 0                        ;  msbs: dst=0 src0=0 src1=0 src2=0
	s_delay_alu instid0(VALU_DEP_1) | instskip(SKIP_3) | instid1(VALU_DEP_3)
	v_sub_f32_e32 v2, v2, v3
	v_cvt_f32_f16_e32 v3, v126
	v_and_b32_e32 v126, 0xffff, v107
	s_set_vgpr_msb 1                        ;  msbs: dst=0 src0=1 src1=0 src2=0
	v_dual_mul_f32 v118, v76 /*v332*/, v2 :: v_dual_bitop2_b32 v107, 15, v107 bitop3:0x40
	v_cvt_f32_f16_e64 v2, v78 /*v334*/
	s_delay_alu instid0(VALU_DEP_3)
	v_lshrrev_b32_e32 v126, 4, v126
	s_set_vgpr_msb 0x44                     ;  msbs: dst=1 src0=0 src1=1 src2=0
	v_mul_lo_u32 v78 /*v334*/, 0x1010101, v77 /*v333*/
	s_set_vgpr_msb 64                       ;  msbs: dst=1 src0=0 src1=0 src2=0
	v_and_b32_e32 v143 /*v399*/, 0xffff, v107
	s_set_vgpr_msb 0                        ;  msbs: dst=0 src0=0 src1=0 src2=0
	v_mov_b32_e32 v90, v3
	s_set_vgpr_msb 0x41                     ;  msbs: dst=1 src0=1 src1=0 src2=0
	v_mul_lo_u32 v127 /*v383*/, 0x1010101, v126
	s_delay_alu instid0(VALU_DEP_4)
	v_bfe_i32 v77 /*v333*/, v78 /*v334*/, 0, 8
	v_bfe_i32 v125 /*v381*/, v78 /*v334*/, 16, 8
	s_set_vgpr_msb 0x44                     ;  msbs: dst=1 src0=0 src1=1 src2=0
	v_lshrrev_b32_e32 v126 /*v382*/, 24, v78 /*v334*/
	s_set_vgpr_msb 0x41                     ;  msbs: dst=1 src0=1 src1=0 src2=0
	v_bfe_i32 v124 /*v380*/, v78 /*v334*/, 8, 8
	v_bfe_i32 v128 /*v384*/, v127 /*v383*/, 0, 8
	;; [unrolled: 1-line block ×3, first 2 shown]
	s_set_vgpr_msb 5                        ;  msbs: dst=0 src0=1 src1=1 src2=0
	v_mul_i32_i24_e32 v107, v84 /*v340*/, v126 /*v382*/
	s_set_vgpr_msb 0x41                     ;  msbs: dst=1 src0=1 src1=0 src2=0
	v_bfe_i32 v84 /*v340*/, v119 /*v375*/, 0, 8
	s_set_vgpr_msb 0x44                     ;  msbs: dst=1 src0=0 src1=1 src2=0
	v_mul_i32_i24_e32 v132 /*v388*/, v108, v128 /*v384*/
	s_set_vgpr_msb 4                        ;  msbs: dst=0 src0=0 src1=1 src2=0
	v_mul_i32_i24_e32 v108, v110, v126 /*v382*/
	v_mul_i32_i24_e32 v110, v111, v125 /*v381*/
	;; [unrolled: 1-line block ×3, first 2 shown]
	s_set_vgpr_msb 5                        ;  msbs: dst=0 src0=1 src1=1 src2=0
	v_mul_i32_i24_e32 v106, v83 /*v339*/, v128 /*v384*/
	s_set_vgpr_msb 0x45                     ;  msbs: dst=1 src0=1 src1=1 src2=0
	v_mul_i32_i24_e32 v83 /*v339*/, v109 /*v365*/, v77 /*v333*/
	v_mul_i32_i24_e32 v78 /*v334*/, v80 /*v336*/, v129 /*v385*/
	;; [unrolled: 1-line block ×3, first 2 shown]
	s_set_vgpr_msb 4                        ;  msbs: dst=0 src0=0 src1=1 src2=0
	v_mad_i32_i24 v111, v122, v124 /*v380*/, v111
	v_mul_i32_i24_e32 v122, v188, v79 /*v335*/
	s_set_vgpr_msb 0x55                     ;  msbs: dst=1 src0=1 src1=1 src2=1
	v_mul_i32_i24_e32 v79 /*v335*/, v112 /*v368*/, v126 /*v382*/
	v_mad_i32_i24 v83 /*v339*/, v111 /*v367*/, v124 /*v380*/, v83 /*v339*/
	s_set_vgpr_msb 5                        ;  msbs: dst=0 src0=1 src1=1 src2=0
	v_mul_i32_i24_e32 v124, v182 /*v438*/, v128 /*v384*/
	s_set_vgpr_msb 64                       ;  msbs: dst=1 src0=0 src1=0 src2=0
	v_add3_u32 v133 /*v389*/, v111, v110, v108
	s_set_vgpr_msb 5                        ;  msbs: dst=0 src0=1 src1=1 src2=0
	v_mul_i32_i24_e32 v110, v87 /*v343*/, v77 /*v333*/
	v_mul_i32_i24_e32 v108, v85 /*v341*/, v125 /*v381*/
	v_add3_u32 v122, v102 /*v358*/, v101 /*v357*/, v122
	s_set_vgpr_msb 4                        ;  msbs: dst=0 src0=0 src1=1 src2=0
	v_mul_i32_i24_e32 v111, v203, v179 /*v435*/
	s_set_vgpr_msb 5                        ;  msbs: dst=0 src0=1 src1=1 src2=0
	v_mul_i32_i24_e32 v126, v183 /*v439*/, v129 /*v385*/
	v_mad_i32_i24 v110, v86 /*v342*/, v124 /*v380*/, v110
	s_set_vgpr_msb 0x55                     ;  msbs: dst=1 src0=1 src1=1 src2=1
	v_add3_u32 v79 /*v335*/, v83 /*v339*/, v80 /*v336*/, v79 /*v335*/
	v_ashrrev_i32_e32 v109 /*v365*/, 24, v120 /*v376*/
	s_set_vgpr_msb 5                        ;  msbs: dst=0 src0=1 src1=1 src2=0
	v_add3_u32 v111, v117 /*v373*/, v116 /*v372*/, v111
	s_set_vgpr_msb 0x44                     ;  msbs: dst=1 src0=0 src1=1 src2=0
	v_dual_ashrrev_i32 v80 /*v336*/, 24, v118 /*v374*/ :: v_dual_ashrrev_i32 v87 /*v343*/, 24, v119 /*v375*/
	s_set_vgpr_msb 0                        ;  msbs: dst=0 src0=0 src1=0 src2=0
	v_add3_u32 v107, v110, v108, v107
	s_set_vgpr_msb 4                        ;  msbs: dst=0 src0=0 src1=1 src2=0
	v_mul_i32_i24_e32 v108, v203, v88 /*v344*/
	v_mul_i32_i24_e32 v110, v188, v113 /*v369*/
	s_set_vgpr_msb 0x41                     ;  msbs: dst=1 src0=1 src1=0 src2=0
	v_add3_u32 v83 /*v339*/, v79 /*v335*/, v124, v126
	s_set_vgpr_msb 5                        ;  msbs: dst=0 src0=1 src1=1 src2=0
	v_mul_i32_i24_e32 v124, v139 /*v395*/, v126 /*v382*/
	s_set_vgpr_msb 16                       ;  msbs: dst=0 src0=0 src1=0 src2=1
	v_add3_u32 v107, v107, v106, v78 /*v334*/
	s_set_vgpr_msb 5                        ;  msbs: dst=0 src0=1 src1=1 src2=0
	v_add3_u32 v108, v106 /*v362*/, v105 /*v361*/, v108
	v_add3_u32 v110, v136 /*v392*/, v135 /*v391*/, v110
	s_set_vgpr_msb 0x45                     ;  msbs: dst=1 src0=1 src1=1 src2=0
	v_mul_i32_i24_e32 v78 /*v334*/, v142 /*v398*/, v77 /*v333*/
	s_set_vgpr_msb 5                        ;  msbs: dst=0 src0=1 src1=1 src2=0
	v_mul_i32_i24_e32 v126, v140 /*v396*/, v125 /*v381*/
	s_set_vgpr_msb 0x44                     ;  msbs: dst=1 src0=0 src1=1 src2=0
	v_ashrrev_i32_e32 v113 /*v369*/, 24, v121 /*v377*/
	s_set_vgpr_msb 4                        ;  msbs: dst=0 src0=0 src1=1 src2=0
	v_mul_lo_u32 v108, v108, v143 /*v399*/
	v_mul_lo_u32 v110, v110, v134 /*v390*/
	s_set_vgpr_msb 0x55                     ;  msbs: dst=1 src0=1 src1=1 src2=1
	v_mad_i32_i24 v78 /*v334*/, v141 /*v397*/, v124 /*v380*/, v78 /*v334*/
	v_bfe_i32 v79 /*v335*/, v118 /*v374*/, 16, 8
	v_bfe_i32 v85 /*v341*/, v119 /*v375*/, 8, 8
	;; [unrolled: 1-line block ×4, first 2 shown]
	s_set_vgpr_msb 1                        ;  msbs: dst=0 src0=1 src1=0 src2=0
	v_add3_u32 v124, v78 /*v334*/, v126, v124
	s_set_vgpr_msb 5                        ;  msbs: dst=0 src0=1 src1=1 src2=0
	v_mul_i32_i24_e32 v126, v150 /*v406*/, v77 /*v333*/
	s_set_vgpr_msb 0x41                     ;  msbs: dst=1 src0=1 src1=0 src2=0
	v_bfe_i32 v102 /*v358*/, v120 /*v376*/, 8, 8
	v_bfe_i32 v105 /*v361*/, v120 /*v376*/, 16, 8
	s_set_vgpr_msb 4                        ;  msbs: dst=0 src0=0 src1=1 src2=0
	v_mad_u32 v108, v122, v134 /*v390*/, v108
	v_mad_u32 v106, v111, v143 /*v399*/, v110
	s_set_vgpr_msb 5                        ;  msbs: dst=0 src0=1 src1=1 src2=0
	v_mul_i32_i24_e32 v122, v138 /*v394*/, v129 /*v385*/
	v_mad_i32_i24 v126, v149 /*v405*/, v124 /*v380*/, v126
	s_set_vgpr_msb 0x41                     ;  msbs: dst=1 src0=1 src1=0 src2=0
	v_bfe_i32 v110 /*v366*/, v121 /*v377*/, 0, 8
	v_bfe_i32 v111 /*v367*/, v121 /*v377*/, 8, 8
	;; [unrolled: 1-line block ×5, first 2 shown]
	s_set_vgpr_msb 0x44                     ;  msbs: dst=1 src0=0 src1=1 src2=0
	v_ashrrev_i32_e32 v119 /*v375*/, 24, v122 /*v378*/
	s_set_vgpr_msb 0x41                     ;  msbs: dst=1 src0=1 src1=0 src2=0
	v_bfe_i32 v120 /*v376*/, v123 /*v379*/, 0, 8
	s_set_vgpr_msb 0                        ;  msbs: dst=0 src0=0 src1=0 src2=0
	v_cvt_f32_i32_e32 v111, v108
	s_set_vgpr_msb 5                        ;  msbs: dst=0 src0=1 src1=1 src2=0
	v_mul_i32_i24_e32 v108, v137 /*v393*/, v128 /*v384*/
	s_set_vgpr_msb 0                        ;  msbs: dst=0 src0=0 src1=0 src2=0
	v_cvt_f32_i32_e32 v110, v106
	s_set_vgpr_msb 5                        ;  msbs: dst=0 src0=1 src1=1 src2=0
	v_mul_lo_u32 v106, v145 /*v401*/, v134 /*v390*/
	s_set_vgpr_msb 0x41                     ;  msbs: dst=1 src0=1 src1=0 src2=0
	v_bfe_i32 v121 /*v377*/, v123 /*v379*/, 8, 8
	s_set_vgpr_msb 0x44                     ;  msbs: dst=1 src0=0 src1=1 src2=0
	v_mul_i32_i24_e32 v78 /*v334*/, v236, v80 /*v336*/
	s_set_vgpr_msb 64                       ;  msbs: dst=1 src0=0 src1=0 src2=0
	v_add3_u32 v101 /*v357*/, v124, v108, v122
	s_set_vgpr_msb 5                        ;  msbs: dst=0 src0=1 src1=1 src2=0
	v_mul_i32_i24_e32 v122, v147 /*v403*/, v126 /*v382*/
	v_mul_i32_i24_e32 v124, v148 /*v404*/, v125 /*v381*/
	s_set_vgpr_msb 0x44                     ;  msbs: dst=1 src0=0 src1=1 src2=0
	v_mul_i32_i24_e32 v145 /*v401*/, v241, v85 /*v341*/
	v_mul_i32_i24_e32 v147 /*v403*/, v116, v87 /*v343*/
	s_set_vgpr_msb 0x45                     ;  msbs: dst=1 src0=1 src1=1 src2=0
	v_mul_i32_i24_e32 v148 /*v404*/, v16 /*v272*/, v117 /*v373*/
	v_mul_i32_i24_e32 v151 /*v407*/, v21 /*v277*/, v120 /*v376*/
	s_set_vgpr_msb 0                        ;  msbs: dst=0 src0=0 src1=0 src2=0
	v_add3_u32 v122, v126, v124, v122
	s_set_vgpr_msb 5                        ;  msbs: dst=0 src0=1 src1=1 src2=0
	v_mul_i32_i24_e32 v124, v172 /*v428*/, v128 /*v384*/
	v_mul_i32_i24_e32 v126, v173 /*v429*/, v129 /*v385*/
	v_mad_u32 v106, v146 /*v402*/, v143 /*v399*/, v106
	s_set_vgpr_msb 0x44                     ;  msbs: dst=1 src0=0 src1=1 src2=0
	v_mul_i32_i24_e32 v146 /*v402*/, v244, v86 /*v342*/
	s_set_vgpr_msb 0x55                     ;  msbs: dst=1 src0=1 src1=1 src2=1
	v_mul_i32_i24_e32 v152 /*v408*/, v22 /*v278*/, v121 /*v377*/
	v_add3_u32 v139 /*v395*/, v155 /*v411*/, v80 /*v336*/, v87 /*v343*/
	s_set_vgpr_msb 64                       ;  msbs: dst=1 src0=0 src1=0 src2=0
	v_add3_u32 v106 /*v362*/, v122, v124, v126
	s_set_vgpr_msb 1                        ;  msbs: dst=0 src0=1 src1=0 src2=0
	v_bfe_i32 v124, v118 /*v374*/, 8, 8
	s_set_vgpr_msb 0x41                     ;  msbs: dst=1 src0=1 src1=0 src2=0
	v_bfe_i32 v118 /*v374*/, v122 /*v378*/, 16, 8
	v_bfe_i32 v122 /*v378*/, v123 /*v379*/, 16, 8
	s_set_vgpr_msb 0x44                     ;  msbs: dst=1 src0=0 src1=1 src2=0
	v_ashrrev_i32_e32 v123 /*v379*/, 24, v123 /*v379*/
	s_set_vgpr_msb 5                        ;  msbs: dst=0 src0=1 src1=1 src2=0
	v_add_nc_u32_e32 v122, v113 /*v369*/, v109 /*v365*/
	s_set_vgpr_msb 4                        ;  msbs: dst=0 src0=0 src1=1 src2=0
	v_mul_i32_i24_e32 v126, v234, v79 /*v335*/
	v_cvt_f32_i32_e32 v108, v106
	s_set_vgpr_msb 5                        ;  msbs: dst=0 src0=1 src1=1 src2=0
	v_mul_lo_u32 v106, v157 /*v413*/, v134 /*v390*/
	s_set_vgpr_msb 0x45                     ;  msbs: dst=1 src0=1 src1=1 src2=0
	v_mul_i32_i24_e32 v149 /*v405*/, v17 /*v273*/, v118 /*v374*/
	s_set_vgpr_msb 0x54                     ;  msbs: dst=1 src0=0 src1=1 src2=1
	v_add3_u32 v135 /*v391*/, v122, v119 /*v375*/, v123 /*v379*/
	s_set_vgpr_msb 5                        ;  msbs: dst=0 src0=1 src1=1 src2=0
	v_add_nc_u32_e32 v122, v112 /*v368*/, v105 /*v361*/
	s_set_vgpr_msb 0x55                     ;  msbs: dst=1 src0=1 src1=1 src2=1
	v_mul_i32_i24_e32 v150 /*v406*/, v19 /*v275*/, v119 /*v375*/
	v_add3_u32 v142 /*v398*/, v168 /*v424*/, v154 /*v410*/, v84 /*v340*/
	v_mul_i32_i24_e32 v154 /*v410*/, v24 /*v280*/, v122 /*v378*/
	s_set_vgpr_msb 0x54                     ;  msbs: dst=1 src0=0 src1=1 src2=1
	v_mul_i32_i24_e32 v155 /*v411*/, v246, v123 /*v379*/
	v_add3_u32 v136 /*v392*/, v122, v118 /*v374*/, v122 /*v378*/
	s_set_vgpr_msb 5                        ;  msbs: dst=0 src0=1 src1=1 src2=0
	v_add_nc_u32_e32 v122, v110 /*v366*/, v88 /*v344*/
	s_set_vgpr_msb 0x55                     ;  msbs: dst=1 src0=1 src1=1 src2=1
	v_add3_u32 v140 /*v396*/, v156 /*v412*/, v79 /*v335*/, v86 /*v342*/
	s_set_vgpr_msb 5                        ;  msbs: dst=0 src0=1 src1=1 src2=0
	v_mad_u32 v106, v144 /*v400*/, v143 /*v399*/, v106
	s_set_vgpr_msb 0x44                     ;  msbs: dst=1 src0=0 src1=1 src2=0
	v_mul_i32_i24_e32 v144 /*v400*/, v239, v84 /*v340*/
	s_set_vgpr_msb 0x51                     ;  msbs: dst=1 src0=1 src1=0 src2=1
	v_add3_u32 v141 /*v397*/, v158 /*v414*/, v124, v85 /*v341*/
	s_set_vgpr_msb 0x54                     ;  msbs: dst=1 src0=0 src1=1 src2=1
	v_add3_u32 v137 /*v393*/, v122, v116 /*v372*/, v120 /*v376*/
	s_set_vgpr_msb 5                        ;  msbs: dst=0 src0=1 src1=1 src2=0
	v_add_nc_u32_e32 v122, v111 /*v367*/, v102 /*v358*/
	s_set_vgpr_msb 0x44                     ;  msbs: dst=1 src0=0 src1=1 src2=0
	v_mul_i32_i24_e32 v156 /*v412*/, v249, v122 /*v378*/
	v_mul_i32_i24_e32 v157 /*v413*/, v218, v123 /*v379*/
	s_set_vgpr_msb 0x45                     ;  msbs: dst=1 src0=1 src1=1 src2=0
	v_mul_i32_i24_e32 v158 /*v414*/, v36 /*v292*/, v122 /*v378*/
	v_mul_i32_i24_e32 v162 /*v418*/, v8 /*v264*/, v123 /*v379*/
	s_set_vgpr_msb 0x54                     ;  msbs: dst=1 src0=0 src1=1 src2=1
	v_add3_u32 v138 /*v394*/, v122, v117 /*v373*/, v121 /*v377*/
	s_set_vgpr_msb 0                        ;  msbs: dst=0 src0=0 src1=0 src2=0
	v_mul_i32_i24_e32 v122, v232, v124
	v_cvt_f32_i32_e32 v106, v106
	s_set_vgpr_msb 5                        ;  msbs: dst=0 src0=1 src1=1 src2=0
	s_delay_alu instid0(VALU_DEP_2) | instskip(SKIP_1) | instid1(VALU_DEP_1)
	v_add3_u32 v122, v169 /*v425*/, v176 /*v432*/, v122
	s_set_vgpr_msb 16                       ;  msbs: dst=0 src0=0 src1=0 src2=1
	v_add3_u32 v122, v122, v126, v78 /*v334*/
	s_set_vgpr_msb 4                        ;  msbs: dst=0 src0=0 src1=1 src2=0
	v_mul_i32_i24_e32 v126, v255, v88 /*v344*/
	s_set_vgpr_msb 0x45                     ;  msbs: dst=1 src0=1 src1=1 src2=0
	v_mul_i32_i24_e32 v78 /*v334*/, v2 /*v258*/, v105 /*v361*/
	s_set_vgpr_msb 20                       ;  msbs: dst=0 src0=0 src1=1 src2=1
	v_add3_u32 v122, v122, v144 /*v400*/, v145 /*v401*/
	s_set_vgpr_msb 0x45                     ;  msbs: dst=1 src0=1 src1=1 src2=0
	v_mul_i32_i24_e32 v144 /*v400*/, v4 /*v260*/, v109 /*v365*/
	s_set_vgpr_msb 4                        ;  msbs: dst=0 src0=0 src1=1 src2=0
	v_mad_i32_i24 v126, v251, v102 /*v358*/, v126
	s_set_vgpr_msb 0x45                     ;  msbs: dst=1 src0=1 src1=1 src2=0
	v_mul_i32_i24_e32 v145 /*v401*/, v11 /*v267*/, v112 /*v368*/
	s_set_vgpr_msb 20                       ;  msbs: dst=0 src0=0 src1=1 src2=1
	v_add3_u32 v122, v122, v146 /*v402*/, v147 /*v403*/
	s_set_vgpr_msb 0x45                     ;  msbs: dst=1 src0=1 src1=1 src2=0
	v_mul_i32_i24_e32 v146 /*v402*/, v13 /*v269*/, v113 /*v369*/
	s_set_vgpr_msb 20                       ;  msbs: dst=0 src0=0 src1=1 src2=1
	v_add3_u32 v126, v126, v78 /*v334*/, v144 /*v400*/
	s_set_vgpr_msb 0x45                     ;  msbs: dst=1 src0=1 src1=1 src2=0
	v_mul_i32_i24_e32 v78 /*v334*/, v6 /*v262*/, v110 /*v366*/
	v_mul_i32_i24_e32 v144 /*v400*/, v9 /*v265*/, v111 /*v367*/
	;; [unrolled: 1-line block ×3, first 2 shown]
	s_set_vgpr_msb 20                       ;  msbs: dst=0 src0=0 src1=1 src2=1
	v_mul_lo_u32 v122, v122, v57 /*v313*/
	s_delay_alu instid0(VALU_DEP_3)
	v_add3_u32 v126, v126, v78 /*v334*/, v144 /*v400*/
	s_set_vgpr_msb 0x45                     ;  msbs: dst=1 src0=1 src1=1 src2=0
	v_mul_i32_i24_e32 v78 /*v334*/, v137 /*v393*/, v58 /*v314*/
	v_mul_i32_i24_e32 v144 /*v400*/, v138 /*v394*/, v55 /*v311*/
	s_set_vgpr_msb 20                       ;  msbs: dst=0 src0=0 src1=1 src2=1
	v_add3_u32 v126, v126, v145 /*v401*/, v146 /*v402*/
	s_set_vgpr_msb 0x45                     ;  msbs: dst=1 src0=1 src1=1 src2=0
	v_mul_i32_i24_e32 v145 /*v401*/, v139 /*v395*/, v56 /*v312*/
	v_mul_i32_i24_e32 v146 /*v402*/, v140 /*v396*/, v73 /*v329*/
	s_set_vgpr_msb 20                       ;  msbs: dst=0 src0=0 src1=1 src2=1
	v_add3_u32 v126, v126, v147 /*v403*/, v148 /*v404*/
	s_set_vgpr_msb 0x45                     ;  msbs: dst=1 src0=1 src1=1 src2=0
	v_mul_i32_i24_e32 v147 /*v403*/, v142 /*v398*/, v72 /*v328*/
	s_set_vgpr_msb 0x44                     ;  msbs: dst=1 src0=0 src1=1 src2=0
	v_mul_i32_i24_e32 v148 /*v404*/, v217, v86 /*v342*/
	s_set_vgpr_msb 20                       ;  msbs: dst=0 src0=0 src1=1 src2=1
	v_add3_u32 v126, v126, v149 /*v405*/, v150 /*v406*/
	s_set_vgpr_msb 0x55                     ;  msbs: dst=1 src0=1 src1=1 src2=1
	v_mad_i32_i24 v147 /*v403*/, v141 /*v397*/, v70 /*v326*/, v147 /*v403*/
	s_set_vgpr_msb 0x44                     ;  msbs: dst=1 src0=0 src1=1 src2=0
	v_mul_i32_i24_e32 v149 /*v405*/, v109, v87 /*v343*/
	v_mul_i32_i24_e32 v150 /*v406*/, v237, v117 /*v373*/
	s_set_vgpr_msb 20                       ;  msbs: dst=0 src0=0 src1=1 src2=1
	v_add3_u32 v126, v126, v151 /*v407*/, v152 /*v408*/
	s_set_vgpr_msb 0x55                     ;  msbs: dst=1 src0=1 src1=1 src2=1
	v_add3_u32 v145 /*v401*/, v147 /*v403*/, v146 /*v402*/, v145 /*v401*/
	s_set_vgpr_msb 0x44                     ;  msbs: dst=1 src0=0 src1=1 src2=0
	v_mul_i32_i24_e32 v146 /*v402*/, v215, v84 /*v340*/
	v_mul_i32_i24_e32 v147 /*v403*/, v216, v85 /*v341*/
	;; [unrolled: 1-line block ×3, first 2 shown]
	s_set_vgpr_msb 20                       ;  msbs: dst=0 src0=0 src1=1 src2=1
	v_add3_u32 v126, v126, v154 /*v410*/, v155 /*v411*/
	s_set_vgpr_msb 0x55                     ;  msbs: dst=1 src0=1 src1=1 src2=1
	v_add3_u32 v144 /*v400*/, v145 /*v401*/, v78 /*v334*/, v144 /*v400*/
	s_set_vgpr_msb 0x44                     ;  msbs: dst=1 src0=0 src1=1 src2=0
	v_mul_i32_i24_e32 v78 /*v334*/, v213, v79 /*v335*/
	v_mul_i32_i24_e32 v145 /*v401*/, v214, v80 /*v336*/
	;; [unrolled: 1-line block ×3, first 2 shown]
	s_set_vgpr_msb 4                        ;  msbs: dst=0 src0=0 src1=1 src2=0
	v_mad_u32 v122, v126, v54 /*v310*/, v122
	s_set_vgpr_msb 0x44                     ;  msbs: dst=1 src0=0 src1=1 src2=0
	v_mul_i32_i24_e32 v154 /*v410*/, v245, v120 /*v376*/
	v_mul_i32_i24_e32 v155 /*v411*/, v247, v121 /*v377*/
	s_set_vgpr_msb 0                        ;  msbs: dst=0 src0=0 src1=0 src2=0
	s_delay_alu instid0(VALU_DEP_3) | instskip(SKIP_2) | instid1(VALU_DEP_1)
	v_cvt_f32_i32_e32 v126, v122
	v_mul_i32_i24_e32 v122, v212, v124
	s_set_vgpr_msb 5                        ;  msbs: dst=0 src0=1 src1=1 src2=0
	v_add3_u32 v122, v170 /*v426*/, v178 /*v434*/, v122
	s_set_vgpr_msb 20                       ;  msbs: dst=0 src0=0 src1=1 src2=1
	s_delay_alu instid0(VALU_DEP_1)
	v_add3_u32 v122, v122, v78 /*v334*/, v145 /*v401*/
	s_set_vgpr_msb 0x44                     ;  msbs: dst=1 src0=0 src1=1 src2=0
	v_mul_i32_i24_e32 v78 /*v334*/, v220, v88 /*v344*/
	v_mul_i32_i24_e32 v145 /*v401*/, v221, v105 /*v361*/
	s_set_vgpr_msb 20                       ;  msbs: dst=0 src0=0 src1=1 src2=1
	v_add3_u32 v122, v122, v146 /*v402*/, v147 /*v403*/
	s_set_vgpr_msb 0x54                     ;  msbs: dst=1 src0=0 src1=1 src2=1
	v_mul_i32_i24_e32 v146 /*v402*/, v223, v109 /*v365*/
	v_mad_i32_i24 v78 /*v334*/, v219, v102 /*v358*/, v78 /*v334*/
	v_mul_i32_i24_e32 v147 /*v403*/, v231, v112 /*v368*/
	s_set_vgpr_msb 20                       ;  msbs: dst=0 src0=0 src1=1 src2=1
	v_add3_u32 v122, v122, v148 /*v404*/, v149 /*v405*/
	s_set_vgpr_msb 0x44                     ;  msbs: dst=1 src0=0 src1=1 src2=0
	v_mul_i32_i24_e32 v148 /*v404*/, v233, v113 /*v369*/
	s_set_vgpr_msb 0x55                     ;  msbs: dst=1 src0=1 src1=1 src2=1
	v_add3_u32 v78 /*v334*/, v78 /*v334*/, v145 /*v401*/, v146 /*v402*/
	s_set_vgpr_msb 0x44                     ;  msbs: dst=1 src0=0 src1=1 src2=0
	v_mul_i32_i24_e32 v145 /*v401*/, v227, v110 /*v366*/
	v_mul_i32_i24_e32 v146 /*v402*/, v229, v111 /*v367*/
	;; [unrolled: 1-line block ×3, first 2 shown]
	s_set_vgpr_msb 4                        ;  msbs: dst=0 src0=0 src1=1 src2=0
	v_mul_lo_u32 v122, v122, v98 /*v354*/
	s_set_vgpr_msb 0x55                     ;  msbs: dst=1 src0=1 src1=1 src2=1
	v_add3_u32 v78 /*v334*/, v78 /*v334*/, v145 /*v401*/, v146 /*v402*/
	v_mul_i32_i24_e32 v145 /*v401*/, v137 /*v393*/, v97 /*v353*/
	v_mul_i32_i24_e32 v146 /*v402*/, v138 /*v394*/, v90 /*v346*/
	s_delay_alu instid0(VALU_DEP_3) | instskip(SKIP_2) | instid1(VALU_DEP_3)
	v_add3_u32 v78 /*v334*/, v78 /*v334*/, v147 /*v403*/, v148 /*v404*/
	v_mul_i32_i24_e32 v147 /*v403*/, v139 /*v395*/, v96 /*v352*/
	v_mul_i32_i24_e32 v148 /*v404*/, v140 /*v396*/, v95 /*v351*/
	v_add3_u32 v78 /*v334*/, v78 /*v334*/, v149 /*v405*/, v150 /*v406*/
	v_mul_i32_i24_e32 v149 /*v405*/, v142 /*v398*/, v93 /*v349*/
	v_mul_i32_i24_e32 v150 /*v406*/, v14 /*v270*/, v86 /*v342*/
	s_set_vgpr_msb 0x44                     ;  msbs: dst=1 src0=0 src1=1 src2=0
	v_mul_i32_i24_e32 v86 /*v342*/, v186, v86 /*v342*/
	s_set_vgpr_msb 0x55                     ;  msbs: dst=1 src0=1 src1=1 src2=1
	v_add3_u32 v78 /*v334*/, v78 /*v334*/, v151 /*v407*/, v152 /*v408*/
	v_mad_i32_i24 v149 /*v405*/, v141 /*v397*/, v94 /*v350*/, v149 /*v405*/
	s_set_vgpr_msb 0x44                     ;  msbs: dst=1 src0=0 src1=1 src2=0
	v_mul_i32_i24_e32 v151 /*v407*/, v209, v87 /*v343*/
	v_mul_i32_i24_e32 v87 /*v343*/, v188, v87 /*v343*/
	s_set_vgpr_msb 0x55                     ;  msbs: dst=1 src0=1 src1=1 src2=1
	v_mul_i32_i24_e32 v152 /*v408*/, v31 /*v287*/, v117 /*v373*/
	v_add3_u32 v78 /*v334*/, v78 /*v334*/, v154 /*v410*/, v155 /*v411*/
	v_add3_u32 v147 /*v403*/, v149 /*v405*/, v148 /*v404*/, v147 /*v403*/
	v_mul_i32_i24_e32 v148 /*v404*/, v10 /*v266*/, v84 /*v340*/
	v_mul_i32_i24_e32 v149 /*v405*/, v12 /*v268*/, v85 /*v341*/
	s_set_vgpr_msb 0x44                     ;  msbs: dst=1 src0=0 src1=1 src2=0
	v_mul_i32_i24_e32 v84 /*v340*/, v184, v84 /*v340*/
	s_set_vgpr_msb 0x55                     ;  msbs: dst=1 src0=1 src1=1 src2=1
	v_add3_u32 v78 /*v334*/, v78 /*v334*/, v156 /*v412*/, v157 /*v413*/
	v_add3_u32 v145 /*v401*/, v147 /*v403*/, v145 /*v401*/, v146 /*v402*/
	v_mul_i32_i24_e32 v146 /*v402*/, v5 /*v261*/, v79 /*v335*/
	v_mul_i32_i24_e32 v147 /*v403*/, v7 /*v263*/, v80 /*v336*/
	s_set_vgpr_msb 0x44                     ;  msbs: dst=1 src0=0 src1=1 src2=0
	v_mul_i32_i24_e32 v79 /*v335*/, v182, v79 /*v335*/
	s_set_vgpr_msb 5                        ;  msbs: dst=0 src0=1 src1=1 src2=0
	v_mad_u32 v122, v78 /*v334*/, v92 /*v348*/, v122
	s_set_vgpr_msb 0x44                     ;  msbs: dst=1 src0=0 src1=1 src2=0
	v_mul_i32_i24_e32 v80 /*v336*/, v183, v80 /*v336*/
	v_mul_i32_i24_e32 v85 /*v341*/, v185, v85 /*v341*/
	s_set_vgpr_msb 0x45                     ;  msbs: dst=1 src0=1 src1=1 src2=0
	v_mul_i32_i24_e32 v154 /*v410*/, v32 /*v288*/, v118 /*v374*/
	v_mul_i32_i24_e32 v155 /*v411*/, v33 /*v289*/, v119 /*v375*/
	;; [unrolled: 1-line block ×4, first 2 shown]
	s_set_vgpr_msb 64                       ;  msbs: dst=1 src0=0 src1=0 src2=0
	v_cvt_f32_i32_e32 v78 /*v334*/, v122
	s_set_vgpr_msb 1                        ;  msbs: dst=0 src0=1 src1=0 src2=0
	v_mul_i32_i24_e32 v122, v3 /*v259*/, v124
	s_set_vgpr_msb 0                        ;  msbs: dst=0 src0=0 src1=0 src2=0
	v_mul_i32_i24_e32 v124, v181, v124
	s_set_vgpr_msb 5                        ;  msbs: dst=0 src0=1 src1=1 src2=0
	s_delay_alu instid0(VALU_DEP_2) | instskip(NEXT) | instid1(VALU_DEP_2)
	v_add3_u32 v122, v171 /*v427*/, v180 /*v436*/, v122
	v_add3_u32 v124, v174 /*v430*/, v153 /*v409*/, v124
	s_set_vgpr_msb 20                       ;  msbs: dst=0 src0=0 src1=1 src2=1
	s_delay_alu instid0(VALU_DEP_2) | instskip(NEXT) | instid1(VALU_DEP_2)
	v_add3_u32 v122, v122, v146 /*v402*/, v147 /*v403*/
	v_add3_u32 v124, v124, v79 /*v335*/, v80 /*v336*/
	s_set_vgpr_msb 0x44                     ;  msbs: dst=1 src0=0 src1=1 src2=0
	v_mul_i32_i24_e32 v79 /*v335*/, v189, v88 /*v344*/
	v_mul_i32_i24_e32 v80 /*v336*/, v190, v105 /*v361*/
	s_set_vgpr_msb 0x45                     ;  msbs: dst=1 src0=1 src1=1 src2=0
	v_mul_i32_i24_e32 v146 /*v402*/, v20 /*v276*/, v88 /*v344*/
	s_set_vgpr_msb 20                       ;  msbs: dst=0 src0=0 src1=1 src2=1
	v_add3_u32 v122, v122, v148 /*v404*/, v149 /*v405*/
	v_add3_u32 v124, v124, v84 /*v340*/, v85 /*v341*/
	s_set_vgpr_msb 0x54                     ;  msbs: dst=1 src0=0 src1=1 src2=1
	v_mul_i32_i24_e32 v84 /*v340*/, v191, v109 /*v365*/
	v_mad_i32_i24 v79 /*v335*/, v187, v102 /*v358*/, v79 /*v335*/
	v_mul_i32_i24_e32 v85 /*v341*/, v194, v112 /*v368*/
	s_set_vgpr_msb 0x45                     ;  msbs: dst=1 src0=1 src1=1 src2=0
	v_mul_i32_i24_e32 v147 /*v403*/, v23 /*v279*/, v105 /*v361*/
	s_set_vgpr_msb 20                       ;  msbs: dst=0 src0=0 src1=1 src2=1
	v_add3_u32 v124, v124, v86 /*v342*/, v87 /*v343*/
	s_set_vgpr_msb 0x44                     ;  msbs: dst=1 src0=0 src1=1 src2=0
	v_mul_i32_i24_e32 v86 /*v342*/, v195, v113 /*v369*/
	s_set_vgpr_msb 0x55                     ;  msbs: dst=1 src0=1 src1=1 src2=1
	v_add3_u32 v79 /*v335*/, v79 /*v335*/, v80 /*v336*/, v84 /*v340*/
	s_set_vgpr_msb 0x44                     ;  msbs: dst=1 src0=0 src1=1 src2=0
	v_mul_i32_i24_e32 v80 /*v336*/, v192, v110 /*v366*/
	v_mul_i32_i24_e32 v84 /*v340*/, v193, v111 /*v367*/
	s_set_vgpr_msb 0x55                     ;  msbs: dst=1 src0=1 src1=1 src2=1
	v_mul_i32_i24_e32 v148 /*v404*/, v25 /*v281*/, v109 /*v365*/
	v_mad_i32_i24 v146 /*v402*/, v18 /*v274*/, v102 /*v358*/, v146 /*v402*/
	s_set_vgpr_msb 0x44                     ;  msbs: dst=1 src0=0 src1=1 src2=0
	v_mul_i32_i24_e32 v87 /*v343*/, v196, v116 /*v372*/
	v_mul_i32_i24_e32 v88 /*v344*/, v197, v117 /*v373*/
	s_set_vgpr_msb 0x55                     ;  msbs: dst=1 src0=1 src1=1 src2=1
	v_add3_u32 v79 /*v335*/, v79 /*v335*/, v80 /*v336*/, v84 /*v340*/
	s_set_vgpr_msb 0x44                     ;  msbs: dst=1 src0=0 src1=1 src2=0
	v_mul_i32_i24_e32 v102 /*v358*/, v198, v118 /*v374*/
	s_set_vgpr_msb 0x55                     ;  msbs: dst=1 src0=1 src1=1 src2=1
	v_add3_u32 v146 /*v402*/, v146 /*v402*/, v147 /*v403*/, v148 /*v404*/
	v_mul_i32_i24_e32 v147 /*v403*/, v26 /*v282*/, v110 /*v366*/
	v_mul_i32_i24_e32 v148 /*v404*/, v27 /*v283*/, v111 /*v367*/
	v_add3_u32 v79 /*v335*/, v79 /*v335*/, v85 /*v341*/, v86 /*v342*/
	s_set_vgpr_msb 0x44                     ;  msbs: dst=1 src0=0 src1=1 src2=0
	v_mul_i32_i24_e32 v105 /*v361*/, v199, v119 /*v375*/
	s_set_vgpr_msb 20                       ;  msbs: dst=0 src0=0 src1=1 src2=1
	v_add3_u32 v122, v122, v150 /*v406*/, v151 /*v407*/
	s_set_vgpr_msb 0x55                     ;  msbs: dst=1 src0=1 src1=1 src2=1
	v_mul_i32_i24_e32 v149 /*v405*/, v28 /*v284*/, v112 /*v368*/
	v_mul_i32_i24_e32 v150 /*v406*/, v29 /*v285*/, v113 /*v369*/
	v_add3_u32 v79 /*v335*/, v79 /*v335*/, v87 /*v343*/, v88 /*v344*/
	v_mul_i32_i24_e32 v87 /*v343*/, v142 /*v398*/, v77 /*v333*/
	v_add3_u32 v146 /*v402*/, v146 /*v402*/, v147 /*v403*/, v148 /*v404*/
	s_set_vgpr_msb 0x44                     ;  msbs: dst=1 src0=0 src1=1 src2=0
	v_mul_i32_i24_e32 v109 /*v365*/, v200, v120 /*v376*/
	v_mul_i32_i24_e32 v110 /*v366*/, v201, v121 /*v377*/
	s_set_vgpr_msb 0x55                     ;  msbs: dst=1 src0=1 src1=1 src2=1
	v_add3_u32 v79 /*v335*/, v79 /*v335*/, v102 /*v358*/, v105 /*v361*/
	v_mul_i32_i24_e32 v85 /*v341*/, v139 /*v395*/, v126 /*v382*/
	v_mul_i32_i24_e32 v86 /*v342*/, v140 /*v396*/, v125 /*v381*/
	v_mad_i32_i24 v87 /*v343*/, v141 /*v397*/, v124 /*v380*/, v87 /*v343*/
	v_mul_i32_i24_e32 v151 /*v407*/, v30 /*v286*/, v116 /*v372*/
	v_add3_u32 v146 /*v402*/, v146 /*v402*/, v149 /*v405*/, v150 /*v406*/
	s_set_vgpr_msb 0x44                     ;  msbs: dst=1 src0=0 src1=1 src2=0
	v_mul_i32_i24_e32 v111 /*v367*/, v202, v122 /*v378*/
	v_mul_i32_i24_e32 v112 /*v368*/, v203, v123 /*v379*/
	s_set_vgpr_msb 0x55                     ;  msbs: dst=1 src0=1 src1=1 src2=1
	v_add3_u32 v79 /*v335*/, v79 /*v335*/, v109 /*v365*/, v110 /*v366*/
	v_mul_i32_i24_e32 v80 /*v336*/, v137 /*v393*/, v128 /*v384*/
	v_mul_i32_i24_e32 v84 /*v340*/, v138 /*v394*/, v129 /*v385*/
	v_add3_u32 v85 /*v341*/, v87 /*v343*/, v86 /*v342*/, v85 /*v341*/
	v_add3_u32 v146 /*v402*/, v146 /*v402*/, v151 /*v407*/, v152 /*v408*/
	;; [unrolled: 1-line block ×3, first 2 shown]
	v_mul_i32_i24_e32 v151 /*v407*/, v142 /*v398*/, v62 /*v318*/
	s_set_vgpr_msb 4                        ;  msbs: dst=0 src0=0 src1=1 src2=0
	v_mul_lo_u32 v122, v122, v66 /*v322*/
	s_set_vgpr_msb 0x55                     ;  msbs: dst=1 src0=1 src1=1 src2=1
	v_add3_u32 v109 /*v365*/, v85 /*v341*/, v80 /*v336*/, v84 /*v340*/
	ds_load_b32 v118 /*v374*/, v160 /*v416*/ offset:30368
	ds_load_b128 v[84:87] /*v[340:343]*/, v159 /*v415*/ offset:16896
	ds_load_b128 v[110:113] /*v[366:369]*/, v159 /*v415*/ offset:16912
	v_add3_u32 v146 /*v402*/, v146 /*v402*/, v154 /*v410*/, v155 /*v411*/
	v_mul_i32_i24_e32 v149 /*v405*/, v139 /*v395*/, v65 /*v321*/
	v_mul_i32_i24_e32 v150 /*v406*/, v140 /*v396*/, v64 /*v320*/
	v_mad_i32_i24 v151 /*v407*/, v141 /*v397*/, v63 /*v319*/, v151 /*v407*/
	v_mul_i32_i24_e32 v147 /*v403*/, v137 /*v393*/, v67 /*v323*/
	v_add3_u32 v146 /*v402*/, v146 /*v402*/, v156 /*v412*/, v157 /*v413*/
	v_mul_i32_i24_e32 v148 /*v404*/, v138 /*v394*/, v59 /*v315*/
	s_set_vgpr_msb 4                        ;  msbs: dst=0 src0=0 src1=1 src2=0
	v_mul_lo_u32 v124, v124, v134 /*v390*/
	s_set_vgpr_msb 0x55                     ;  msbs: dst=1 src0=1 src1=1 src2=1
	v_add3_u32 v149 /*v405*/, v151 /*v407*/, v150 /*v406*/, v149 /*v405*/
	v_add3_u32 v146 /*v402*/, v146 /*v402*/, v158 /*v414*/, v162 /*v418*/
	s_delay_alu instid0(VALU_DEP_2) | instskip(SKIP_1) | instid1(VALU_DEP_2)
	v_add3_u32 v147 /*v403*/, v149 /*v405*/, v147 /*v403*/, v148 /*v404*/
	s_set_vgpr_msb 5                        ;  msbs: dst=0 src0=1 src1=1 src2=0
	v_mad_u32 v122, v146 /*v402*/, v60 /*v316*/, v122
	v_mad_u32 v124, v79 /*v335*/, v143 /*v399*/, v124
	s_wait_dscnt 0x0
	s_set_vgpr_msb 0x41                     ;  msbs: dst=1 src0=1 src1=0 src2=0
	v_bfe_i32 v140 /*v396*/, v110 /*v366*/, 0, 8
	v_bfe_i32 v141 /*v397*/, v110 /*v366*/, 8, 8
	v_bfe_i32 v142 /*v398*/, v110 /*v366*/, 16, 8
	s_set_vgpr_msb 0x44                     ;  msbs: dst=1 src0=0 src1=1 src2=0
	v_ashrrev_i32_e32 v110 /*v366*/, 24, v110 /*v366*/
	s_set_vgpr_msb 0x41                     ;  msbs: dst=1 src0=1 src1=0 src2=0
	v_bfe_i32 v146 /*v402*/, v111 /*v367*/, 0, 8
	v_bfe_i32 v148 /*v404*/, v111 /*v367*/, 8, 8
	v_bfe_i32 v149 /*v405*/, v111 /*v367*/, 16, 8
	s_set_vgpr_msb 0x44                     ;  msbs: dst=1 src0=0 src1=1 src2=0
	v_ashrrev_i32_e32 v111 /*v367*/, 24, v111 /*v367*/
	;; [unrolled: 6-line block ×3, first 2 shown]
	s_set_vgpr_msb 0x55                     ;  msbs: dst=1 src0=1 src1=1 src2=1
	v_bfe_i32 v153 /*v409*/, v113 /*v369*/, 0, 8
	v_bfe_i32 v154 /*v410*/, v113 /*v369*/, 8, 8
	;; [unrolled: 1-line block ×3, first 2 shown]
	v_dual_ashrrev_i32 v113 /*v369*/, 24, v113 /*v369*/ :: v_dual_add_nc_u32 v80 /*v336*/, v111 /*v367*/, v110 /*v366*/
	v_bfe_i32 v79 /*v335*/, v84 /*v340*/, 0, 8
	v_bfe_i32 v88 /*v344*/, v84 /*v340*/, 8, 8
	v_bfe_i32 v105 /*v361*/, v84 /*v340*/, 16, 8
	v_ashrrev_i32_e32 v84 /*v340*/, 24, v84 /*v340*/
	v_add3_u32 v156 /*v412*/, v80 /*v336*/, v112 /*v368*/, v113 /*v369*/
	v_add_nc_u32_e32 v80 /*v336*/, v149 /*v405*/, v142 /*v398*/
	v_bfe_i32 v117 /*v373*/, v85 /*v341*/, 0, 8
	v_bfe_i32 v119 /*v375*/, v85 /*v341*/, 8, 8
	v_bfe_i32 v120 /*v376*/, v85 /*v341*/, 16, 8
	v_ashrrev_i32_e32 v85 /*v341*/, 24, v85 /*v341*/
	v_add3_u32 v157 /*v413*/, v80 /*v336*/, v152 /*v408*/, v155 /*v411*/
	v_add_nc_u32_e32 v80 /*v336*/, v146 /*v402*/, v140 /*v396*/
	;; [unrolled: 6-line block ×4, first 2 shown]
	s_set_vgpr_msb 0x44                     ;  msbs: dst=1 src0=0 src1=1 src2=0
	v_mul_i32_i24_e32 v102 /*v358*/, v224, v105 /*v361*/
	v_mul_i32_i24_e32 v116 /*v372*/, v127, v84 /*v340*/
	v_mul_i32_i24_e32 v165 /*v421*/, v226, v120 /*v376*/
	v_mul_i32_i24_e32 v166 /*v422*/, v228, v85 /*v341*/
	s_set_vgpr_msb 0x55                     ;  msbs: dst=1 src0=1 src1=1 src2=1
	v_add3_u32 v160 /*v416*/, v80 /*v336*/, v86 /*v342*/, v87 /*v343*/
	v_add_nc_u32_e32 v80 /*v336*/, v120 /*v376*/, v105 /*v361*/
	s_set_vgpr_msb 0x44                     ;  msbs: dst=1 src0=0 src1=1 src2=0
	v_mul_i32_i24_e32 v167 /*v423*/, v230, v121 /*v377*/
	v_mul_i32_i24_e32 v168 /*v424*/, v232, v122 /*v378*/
	v_mul_i32_i24_e32 v169 /*v425*/, v234, v123 /*v379*/
	v_mul_i32_i24_e32 v170 /*v426*/, v236, v86 /*v342*/
	s_set_vgpr_msb 0x55                     ;  msbs: dst=1 src0=1 src1=1 src2=1
	v_add3_u32 v162 /*v418*/, v80 /*v336*/, v123 /*v379*/, v139 /*v395*/
	v_add_nc_u32_e32 v80 /*v336*/, v119 /*v375*/, v88 /*v344*/
	;; [unrolled: 8-line block ×3, first 2 shown]
	s_set_vgpr_msb 0x44                     ;  msbs: dst=1 src0=0 src1=1 src2=0
	v_mul_i32_i24_e32 v176 /*v432*/, v246, v113 /*v369*/
	v_mul_i32_i24_e32 v177 /*v433*/, v109, v87 /*v343*/
	;; [unrolled: 1-line block ×4, first 2 shown]
	s_set_vgpr_msb 0x55                     ;  msbs: dst=1 src0=1 src1=1 src2=1
	v_add3_u32 v164 /*v420*/, v80 /*v336*/, v121 /*v377*/, v137 /*v393*/
	s_set_vgpr_msb 0x44                     ;  msbs: dst=1 src0=0 src1=1 src2=0
	v_mul_i32_i24_e32 v80 /*v336*/, v121, v79 /*v335*/
	v_mul_i32_i24_e32 v87 /*v343*/, v188, v87 /*v343*/
	s_set_vgpr_msb 0x45                     ;  msbs: dst=1 src0=1 src1=1 src2=0
	v_mul_i32_i24_e32 v180 /*v436*/, v8 /*v264*/, v113 /*v369*/
	s_set_vgpr_msb 0x44                     ;  msbs: dst=1 src0=0 src1=1 src2=0
	v_mul_i32_i24_e32 v113 /*v369*/, v203, v113 /*v369*/
	s_set_vgpr_msb 0                        ;  msbs: dst=0 src0=0 src1=0 src2=0
	v_cvt_f32_i32_e32 v122, v122
	s_set_vgpr_msb 0x54                     ;  msbs: dst=1 src0=0 src1=1 src2=1
	v_mad_i32_i24 v80 /*v336*/, v119, v88 /*v344*/, v80 /*v336*/
	s_set_vgpr_msb 0                        ;  msbs: dst=0 src0=0 src1=0 src2=0
	v_cvt_f32_i32_e32 v124, v124
	s_set_vgpr_msb 0x55                     ;  msbs: dst=1 src0=1 src1=1 src2=1
	s_delay_alu instid0(VALU_DEP_2) | instskip(SKIP_4) | instid1(VALU_DEP_1)
	v_add3_u32 v80 /*v336*/, v80 /*v336*/, v102 /*v358*/, v116 /*v372*/
	s_set_vgpr_msb 0x44                     ;  msbs: dst=1 src0=0 src1=1 src2=0
	v_mul_i32_i24_e32 v102 /*v358*/, v222, v117 /*v373*/
	v_mul_i32_i24_e32 v116 /*v372*/, v225, v119 /*v375*/
	s_set_vgpr_msb 0x55                     ;  msbs: dst=1 src0=1 src1=1 src2=1
	v_add3_u32 v80 /*v336*/, v80 /*v336*/, v102 /*v358*/, v116 /*v372*/
	s_set_vgpr_msb 0x44                     ;  msbs: dst=1 src0=0 src1=1 src2=0
	v_mul_i32_i24_e32 v102 /*v358*/, v255, v140 /*v396*/
	s_set_vgpr_msb 0x55                     ;  msbs: dst=1 src0=1 src1=1 src2=1
	v_mul_i32_i24_e32 v116 /*v372*/, v2 /*v258*/, v142 /*v398*/
	v_add3_u32 v80 /*v336*/, v80 /*v336*/, v165 /*v421*/, v166 /*v422*/
	v_mul_i32_i24_e32 v165 /*v421*/, v4 /*v260*/, v110 /*v366*/
	s_set_vgpr_msb 0x54                     ;  msbs: dst=1 src0=0 src1=1 src2=1
	v_mad_i32_i24 v102 /*v358*/, v251, v141 /*v397*/, v102 /*v358*/
	s_set_vgpr_msb 0x55                     ;  msbs: dst=1 src0=1 src1=1 src2=1
	v_mul_i32_i24_e32 v166 /*v422*/, v11 /*v267*/, v149 /*v405*/
	v_add3_u32 v80 /*v336*/, v80 /*v336*/, v167 /*v423*/, v168 /*v424*/
	v_mul_i32_i24_e32 v167 /*v423*/, v13 /*v269*/, v111 /*v367*/
	v_add3_u32 v102 /*v358*/, v102 /*v358*/, v116 /*v372*/, v165 /*v421*/
	v_mul_i32_i24_e32 v116 /*v372*/, v6 /*v262*/, v146 /*v402*/
	v_mul_i32_i24_e32 v165 /*v421*/, v9 /*v265*/, v148 /*v404*/
	v_add3_u32 v80 /*v336*/, v80 /*v336*/, v169 /*v425*/, v170 /*v426*/
	v_mul_i32_i24_e32 v168 /*v424*/, v15 /*v271*/, v150 /*v406*/
	v_mul_i32_i24_e32 v169 /*v425*/, v16 /*v272*/, v151 /*v407*/
	v_mul_i32_i24_e32 v170 /*v426*/, v17 /*v273*/, v152 /*v408*/
	v_add3_u32 v102 /*v358*/, v102 /*v358*/, v116 /*v372*/, v165 /*v421*/
	v_add3_u32 v80 /*v336*/, v80 /*v336*/, v171 /*v427*/, v172 /*v428*/
	v_mul_i32_i24_e32 v171 /*v427*/, v19 /*v275*/, v112 /*v368*/
	v_mul_i32_i24_e32 v172 /*v428*/, v21 /*v277*/, v153 /*v409*/
	v_mul_i32_i24_e32 v116 /*v372*/, v158 /*v414*/, v58 /*v314*/
	v_add3_u32 v102 /*v358*/, v102 /*v358*/, v166 /*v422*/, v167 /*v423*/
	;; [unrolled: 5-line block ×3, first 2 shown]
	v_mul_lo_u32 v80 /*v336*/, v80 /*v336*/, v57 /*v313*/
	v_mul_i32_i24_e32 v168 /*v424*/, v164 /*v420*/, v72 /*v328*/
	v_mul_i32_i24_e32 v167 /*v423*/, v162 /*v418*/, v73 /*v329*/
	;; [unrolled: 1-line block ×3, first 2 shown]
	v_add3_u32 v102 /*v358*/, v102 /*v358*/, v170 /*v426*/, v171 /*v427*/
	s_set_vgpr_msb 0x44                     ;  msbs: dst=1 src0=0 src1=1 src2=0
	v_mul_i32_i24_e32 v169 /*v425*/, v211, v121 /*v377*/
	s_set_vgpr_msb 0x55                     ;  msbs: dst=1 src0=1 src1=1 src2=1
	v_mad_i32_i24 v168 /*v424*/, v163 /*v419*/, v70 /*v326*/, v168 /*v424*/
	s_set_vgpr_msb 0x44                     ;  msbs: dst=1 src0=0 src1=1 src2=0
	v_mul_i32_i24_e32 v170 /*v426*/, v212, v122 /*v378*/
	v_mul_i32_i24_e32 v171 /*v427*/, v213, v123 /*v379*/
	s_set_vgpr_msb 0x55                     ;  msbs: dst=1 src0=1 src1=1 src2=1
	v_add3_u32 v102 /*v358*/, v102 /*v358*/, v172 /*v428*/, v173 /*v429*/
	s_set_vgpr_msb 0x44                     ;  msbs: dst=1 src0=0 src1=1 src2=0
	v_mul_i32_i24_e32 v172 /*v428*/, v214, v86 /*v342*/
	s_set_vgpr_msb 0x55                     ;  msbs: dst=1 src0=1 src1=1 src2=1
	v_add3_u32 v166 /*v422*/, v168 /*v424*/, v167 /*v423*/, v166 /*v422*/
	s_set_vgpr_msb 0x44                     ;  msbs: dst=1 src0=0 src1=1 src2=0
	v_mul_i32_i24_e32 v167 /*v423*/, v208, v120 /*v376*/
	v_mul_i32_i24_e32 v168 /*v424*/, v210, v85 /*v341*/
	s_set_vgpr_msb 0x55                     ;  msbs: dst=1 src0=1 src1=1 src2=1
	v_add3_u32 v102 /*v358*/, v102 /*v358*/, v174 /*v430*/, v176 /*v432*/
	s_set_vgpr_msb 0x44                     ;  msbs: dst=1 src0=0 src1=1 src2=0
	v_mul_i32_i24_e32 v173 /*v429*/, v215, v137 /*v393*/
	s_set_vgpr_msb 0x55                     ;  msbs: dst=1 src0=1 src1=1 src2=1
	v_add3_u32 v165 /*v421*/, v166 /*v422*/, v116 /*v372*/, v165 /*v421*/
	s_set_vgpr_msb 0x44                     ;  msbs: dst=1 src0=0 src1=1 src2=0
	v_mul_i32_i24_e32 v116 /*v372*/, v206, v105 /*v361*/
	v_mul_i32_i24_e32 v166 /*v422*/, v204, v84 /*v340*/
	s_set_vgpr_msb 0x55                     ;  msbs: dst=1 src0=1 src1=1 src2=1
	v_mad_u32 v80 /*v336*/, v102 /*v358*/, v54 /*v310*/, v80 /*v336*/
	s_set_vgpr_msb 0x44                     ;  msbs: dst=1 src0=0 src1=1 src2=0
	v_mul_i32_i24_e32 v174 /*v430*/, v216, v138 /*v394*/
	v_mul_i32_i24_e32 v176 /*v432*/, v217, v139 /*v395*/
	s_set_vgpr_msb 0x41                     ;  msbs: dst=1 src0=1 src1=0 src2=0
	s_delay_alu instid0(VALU_DEP_3) | instskip(SKIP_2) | instid1(VALU_DEP_1)
	v_cvt_f32_i32_e32 v102 /*v358*/, v80 /*v336*/
	s_set_vgpr_msb 0x54                     ;  msbs: dst=1 src0=0 src1=1 src2=1
	v_mul_i32_i24_e32 v80 /*v336*/, v125, v79 /*v335*/
	v_mad_i32_i24 v80 /*v336*/, v123, v88 /*v344*/, v80 /*v336*/
	s_set_vgpr_msb 0x55                     ;  msbs: dst=1 src0=1 src1=1 src2=1
	s_delay_alu instid0(VALU_DEP_1) | instskip(SKIP_4) | instid1(VALU_DEP_1)
	v_add3_u32 v80 /*v336*/, v80 /*v336*/, v116 /*v372*/, v166 /*v422*/
	s_set_vgpr_msb 0x44                     ;  msbs: dst=1 src0=0 src1=1 src2=0
	v_mul_i32_i24_e32 v116 /*v372*/, v205, v117 /*v373*/
	v_mul_i32_i24_e32 v166 /*v422*/, v207, v119 /*v375*/
	s_set_vgpr_msb 0x55                     ;  msbs: dst=1 src0=1 src1=1 src2=1
	v_add3_u32 v80 /*v336*/, v80 /*v336*/, v116 /*v372*/, v166 /*v422*/
	s_set_vgpr_msb 0x44                     ;  msbs: dst=1 src0=0 src1=1 src2=0
	v_mul_i32_i24_e32 v116 /*v372*/, v220, v140 /*v396*/
	v_mul_i32_i24_e32 v166 /*v422*/, v221, v142 /*v398*/
	s_set_vgpr_msb 0x55                     ;  msbs: dst=1 src0=1 src1=1 src2=1
	v_add3_u32 v80 /*v336*/, v80 /*v336*/, v167 /*v423*/, v168 /*v424*/
	s_set_vgpr_msb 0x54                     ;  msbs: dst=1 src0=0 src1=1 src2=1
	v_mul_i32_i24_e32 v167 /*v423*/, v223, v110 /*v366*/
	v_mad_i32_i24 v116 /*v372*/, v219, v141 /*v397*/, v116 /*v372*/
	v_mul_i32_i24_e32 v168 /*v424*/, v231, v149 /*v405*/
	s_set_vgpr_msb 0x55                     ;  msbs: dst=1 src0=1 src1=1 src2=1
	v_add3_u32 v80 /*v336*/, v80 /*v336*/, v169 /*v425*/, v170 /*v426*/
	s_set_vgpr_msb 0x44                     ;  msbs: dst=1 src0=0 src1=1 src2=0
	v_mul_i32_i24_e32 v169 /*v425*/, v233, v111 /*v367*/
	s_set_vgpr_msb 0x55                     ;  msbs: dst=1 src0=1 src1=1 src2=1
	v_add3_u32 v116 /*v372*/, v116 /*v372*/, v166 /*v422*/, v167 /*v423*/
	s_set_vgpr_msb 0x44                     ;  msbs: dst=1 src0=0 src1=1 src2=0
	v_mul_i32_i24_e32 v166 /*v422*/, v227, v146 /*v402*/
	v_mul_i32_i24_e32 v167 /*v423*/, v229, v148 /*v404*/
	s_set_vgpr_msb 0x55                     ;  msbs: dst=1 src0=1 src1=1 src2=1
	v_add3_u32 v80 /*v336*/, v80 /*v336*/, v171 /*v427*/, v172 /*v428*/
	s_set_vgpr_msb 0x44                     ;  msbs: dst=1 src0=0 src1=1 src2=0
	v_mul_i32_i24_e32 v170 /*v426*/, v235, v150 /*v406*/
	v_mul_i32_i24_e32 v171 /*v427*/, v237, v151 /*v407*/
	;; [unrolled: 1-line block ×3, first 2 shown]
	s_set_vgpr_msb 0x55                     ;  msbs: dst=1 src0=1 src1=1 src2=1
	v_add3_u32 v116 /*v372*/, v116 /*v372*/, v166 /*v422*/, v167 /*v423*/
	v_add3_u32 v80 /*v336*/, v80 /*v336*/, v173 /*v429*/, v174 /*v430*/
	s_set_vgpr_msb 0x44                     ;  msbs: dst=1 src0=0 src1=1 src2=0
	v_mul_i32_i24_e32 v173 /*v429*/, v242, v112 /*v368*/
	v_mul_i32_i24_e32 v174 /*v430*/, v245, v153 /*v409*/
	s_set_vgpr_msb 0x55                     ;  msbs: dst=1 src0=1 src1=1 src2=1
	v_mul_i32_i24_e32 v166 /*v422*/, v158 /*v414*/, v97 /*v353*/
	v_add3_u32 v116 /*v372*/, v116 /*v372*/, v168 /*v424*/, v169 /*v425*/
	v_add3_u32 v80 /*v336*/, v80 /*v336*/, v176 /*v432*/, v177 /*v433*/
	s_set_vgpr_msb 0x44                     ;  msbs: dst=1 src0=0 src1=1 src2=0
	v_mul_i32_i24_e32 v176 /*v432*/, v247, v154 /*v410*/
	v_mul_i32_i24_e32 v177 /*v433*/, v249, v155 /*v411*/
	s_set_vgpr_msb 0x55                     ;  msbs: dst=1 src0=1 src1=1 src2=1
	v_mul_i32_i24_e32 v168 /*v424*/, v160 /*v416*/, v96 /*v352*/
	v_add3_u32 v116 /*v372*/, v116 /*v372*/, v170 /*v426*/, v171 /*v427*/
	v_mul_lo_u32 v80 /*v336*/, v80 /*v336*/, v98 /*v354*/
	v_mul_i32_i24_e32 v170 /*v426*/, v164 /*v420*/, v93 /*v349*/
	v_mul_i32_i24_e32 v169 /*v425*/, v162 /*v418*/, v95 /*v351*/
	;; [unrolled: 1-line block ×3, first 2 shown]
	v_add3_u32 v116 /*v372*/, v116 /*v372*/, v172 /*v428*/, v173 /*v429*/
	v_mul_i32_i24_e32 v171 /*v427*/, v1 /*v257*/, v121 /*v377*/
	v_mad_i32_i24 v170 /*v426*/, v163 /*v419*/, v94 /*v350*/, v170 /*v426*/
	v_mul_i32_i24_e32 v172 /*v428*/, v3 /*v259*/, v122 /*v378*/
	v_mul_i32_i24_e32 v173 /*v429*/, v5 /*v261*/, v123 /*v379*/
	v_add3_u32 v116 /*v372*/, v116 /*v372*/, v174 /*v430*/, v176 /*v432*/
	v_mul_i32_i24_e32 v174 /*v430*/, v7 /*v263*/, v86 /*v342*/
	v_add3_u32 v168 /*v424*/, v170 /*v426*/, v169 /*v425*/, v168 /*v424*/
	v_mul_i32_i24_e32 v170 /*v426*/, v0 /*v256*/, v85 /*v341*/
	s_set_vgpr_msb 0x44                     ;  msbs: dst=1 src0=0 src1=1 src2=0
	v_mul_i32_i24_e32 v85 /*v341*/, v179, v85 /*v341*/
	s_set_vgpr_msb 0x55                     ;  msbs: dst=1 src0=1 src1=1 src2=1
	v_add3_u32 v116 /*v372*/, v116 /*v372*/, v177 /*v433*/, v178 /*v434*/
	s_set_vgpr_msb 0x44                     ;  msbs: dst=1 src0=0 src1=1 src2=0
	v_mul_i32_i24_e32 v169 /*v425*/, v254, v120 /*v376*/
	s_set_vgpr_msb 0x55                     ;  msbs: dst=1 src0=1 src1=1 src2=1
	v_add3_u32 v166 /*v422*/, v168 /*v424*/, v166 /*v422*/, v167 /*v423*/
	s_set_vgpr_msb 0x44                     ;  msbs: dst=1 src0=0 src1=1 src2=0
	v_mul_i32_i24_e32 v167 /*v423*/, v252, v105 /*v361*/
	v_mul_i32_i24_e32 v168 /*v424*/, v248, v84 /*v340*/
	s_set_vgpr_msb 0x55                     ;  msbs: dst=1 src0=1 src1=1 src2=1
	v_mad_u32 v80 /*v336*/, v116 /*v372*/, v92 /*v348*/, v80 /*v336*/
	s_set_vgpr_msb 0x44                     ;  msbs: dst=1 src0=0 src1=1 src2=0
	v_mul_i32_i24_e32 v105 /*v361*/, v176, v105 /*v361*/
	v_mul_i32_i24_e32 v84 /*v340*/, v174, v84 /*v340*/
	;; [unrolled: 1-line block ×3, first 2 shown]
	s_set_vgpr_msb 0x45                     ;  msbs: dst=1 src0=1 src1=1 src2=0
	v_mul_i32_i24_e32 v176 /*v432*/, v10 /*v266*/, v137 /*v393*/
	v_mul_i32_i24_e32 v177 /*v433*/, v12 /*v268*/, v138 /*v394*/
	;; [unrolled: 1-line block ×3, first 2 shown]
	v_cvt_f32_i32_e32 v116 /*v372*/, v80 /*v336*/
	s_set_vgpr_msb 0x54                     ;  msbs: dst=1 src0=0 src1=1 src2=1
	v_mul_i32_i24_e32 v80 /*v336*/, v243, v79 /*v335*/
	v_mul_i32_i24_e32 v79 /*v335*/, v173, v79 /*v335*/
	s_delay_alu instid0(VALU_DEP_2) | instskip(NEXT) | instid1(VALU_DEP_2)
	v_mad_i32_i24 v80 /*v336*/, v238, v88 /*v344*/, v80 /*v336*/
	v_mad_i32_i24 v79 /*v335*/, v172, v88 /*v344*/, v79 /*v335*/
	v_mul_i32_i24_e32 v88 /*v344*/, v177, v119 /*v375*/
	s_set_vgpr_msb 0x55                     ;  msbs: dst=1 src0=1 src1=1 src2=1
	s_delay_alu instid0(VALU_DEP_3) | instskip(NEXT) | instid1(VALU_DEP_3)
	v_add3_u32 v80 /*v336*/, v80 /*v336*/, v167 /*v423*/, v168 /*v424*/
	v_add3_u32 v79 /*v335*/, v79 /*v335*/, v105 /*v361*/, v84 /*v340*/
	s_set_vgpr_msb 0x44                     ;  msbs: dst=1 src0=0 src1=1 src2=0
	v_mul_i32_i24_e32 v84 /*v340*/, v175, v117 /*v373*/
	v_mul_i32_i24_e32 v105 /*v361*/, v178, v120 /*v376*/
	;; [unrolled: 1-line block ×5, first 2 shown]
	s_set_vgpr_msb 0x55                     ;  msbs: dst=1 src0=1 src1=1 src2=1
	v_add3_u32 v79 /*v335*/, v79 /*v335*/, v84 /*v340*/, v88 /*v344*/
	s_set_vgpr_msb 0x44                     ;  msbs: dst=1 src0=0 src1=1 src2=0
	v_mul_i32_i24_e32 v119 /*v375*/, v181, v122 /*v378*/
	v_mul_i32_i24_e32 v120 /*v376*/, v182, v123 /*v379*/
	v_mul_i32_i24_e32 v84 /*v340*/, v189, v140 /*v396*/
	s_set_vgpr_msb 0x55                     ;  msbs: dst=1 src0=1 src1=1 src2=1
	v_add3_u32 v80 /*v336*/, v80 /*v336*/, v167 /*v423*/, v168 /*v424*/
	v_add3_u32 v79 /*v335*/, v79 /*v335*/, v105 /*v361*/, v85 /*v341*/
	s_set_vgpr_msb 0x54                     ;  msbs: dst=1 src0=0 src1=1 src2=1
	v_mul_i32_i24_e32 v121 /*v377*/, v184, v137 /*v393*/
	v_mul_i32_i24_e32 v122 /*v378*/, v185, v138 /*v394*/
	;; [unrolled: 1-line block ×3, first 2 shown]
	v_mad_i32_i24 v84 /*v340*/, v187, v141 /*v397*/, v84 /*v340*/
	s_set_vgpr_msb 0x55                     ;  msbs: dst=1 src0=1 src1=1 src2=1
	v_add3_u32 v79 /*v335*/, v79 /*v335*/, v117 /*v373*/, v119 /*v375*/
	v_add3_u32 v80 /*v336*/, v80 /*v336*/, v169 /*v425*/, v170 /*v426*/
	s_set_vgpr_msb 0x44                     ;  msbs: dst=1 src0=0 src1=1 src2=0
	v_mul_i32_i24_e32 v123 /*v379*/, v186, v139 /*v395*/
	v_mul_i32_i24_e32 v88 /*v344*/, v195, v111 /*v367*/
	s_set_vgpr_msb 0x55                     ;  msbs: dst=1 src0=1 src1=1 src2=1
	v_mul_i32_i24_e32 v169 /*v425*/, v25 /*v281*/, v110 /*v366*/
	v_add3_u32 v79 /*v335*/, v79 /*v335*/, v120 /*v376*/, v86 /*v342*/
	s_set_vgpr_msb 0x44                     ;  msbs: dst=1 src0=0 src1=1 src2=0
	v_mul_i32_i24_e32 v86 /*v342*/, v191, v110 /*v366*/
	s_set_vgpr_msb 0x55                     ;  msbs: dst=1 src0=1 src1=1 src2=1
	v_add3_u32 v80 /*v336*/, v80 /*v336*/, v171 /*v427*/, v172 /*v428*/
	s_set_vgpr_msb 0x44                     ;  msbs: dst=1 src0=0 src1=1 src2=0
	v_mul_i32_i24_e32 v105 /*v361*/, v196, v150 /*v406*/
	v_mul_i32_i24_e32 v110 /*v366*/, v197, v151 /*v407*/
	s_set_vgpr_msb 0x55                     ;  msbs: dst=1 src0=1 src1=1 src2=1
	v_add3_u32 v79 /*v335*/, v79 /*v335*/, v121 /*v377*/, v122 /*v378*/
	v_add3_u32 v84 /*v340*/, v84 /*v340*/, v85 /*v341*/, v86 /*v342*/
	s_set_vgpr_msb 0x44                     ;  msbs: dst=1 src0=0 src1=1 src2=0
	v_mul_i32_i24_e32 v85 /*v341*/, v192, v146 /*v402*/
	v_mul_i32_i24_e32 v86 /*v342*/, v193, v148 /*v404*/
	s_set_vgpr_msb 0x55                     ;  msbs: dst=1 src0=1 src1=1 src2=1
	v_add3_u32 v80 /*v336*/, v80 /*v336*/, v173 /*v429*/, v174 /*v430*/
	v_add3_u32 v79 /*v335*/, v79 /*v335*/, v123 /*v379*/, v87 /*v343*/
	s_set_vgpr_msb 0x44                     ;  msbs: dst=1 src0=0 src1=1 src2=0
	v_mul_i32_i24_e32 v87 /*v343*/, v194, v149 /*v405*/
	s_set_vgpr_msb 0x55                     ;  msbs: dst=1 src0=1 src1=1 src2=1
	v_mul_i32_i24_e32 v171 /*v427*/, v29 /*v285*/, v111 /*v367*/
	v_add3_u32 v84 /*v340*/, v84 /*v340*/, v85 /*v341*/, v86 /*v342*/
	v_add3_u32 v80 /*v336*/, v80 /*v336*/, v176 /*v432*/, v177 /*v433*/
	v_mul_i32_i24_e32 v176 /*v432*/, v33 /*v289*/, v112 /*v368*/
	s_set_vgpr_msb 0x44                     ;  msbs: dst=1 src0=0 src1=1 src2=0
	v_mul_i32_i24_e32 v111 /*v367*/, v198, v152 /*v408*/
	v_mul_i32_i24_e32 v112 /*v368*/, v199, v112 /*v368*/
	s_set_vgpr_msb 0x55                     ;  msbs: dst=1 src0=1 src1=1 src2=1
	v_add3_u32 v84 /*v340*/, v84 /*v340*/, v87 /*v343*/, v88 /*v344*/
	s_set_vgpr_msb 0x44                     ;  msbs: dst=1 src0=0 src1=1 src2=0
	v_mul_i32_i24_e32 v117 /*v373*/, v200, v153 /*v409*/
	v_mul_i32_i24_e32 v119 /*v375*/, v201, v154 /*v410*/
	s_set_vgpr_msb 0x45                     ;  msbs: dst=1 src0=1 src1=1 src2=0
	v_mul_lo_u32 v79 /*v335*/, v79 /*v335*/, v134 /*v390*/
	s_set_vgpr_msb 0x44                     ;  msbs: dst=1 src0=0 src1=1 src2=0
	v_mul_i32_i24_e32 v120 /*v376*/, v202, v155 /*v411*/
	s_set_vgpr_msb 0x55                     ;  msbs: dst=1 src0=1 src1=1 src2=1
	v_add3_u32 v84 /*v340*/, v84 /*v340*/, v105 /*v361*/, v110 /*v366*/
	v_mul_i32_i24_e32 v105 /*v361*/, v164 /*v420*/, v77 /*v333*/
	v_mul_i32_i24_e32 v87 /*v343*/, v160 /*v416*/, v126 /*v382*/
	;; [unrolled: 1-line block ×4, first 2 shown]
	v_add3_u32 v84 /*v340*/, v84 /*v340*/, v111 /*v367*/, v112 /*v368*/
	v_mad_i32_i24 v105 /*v361*/, v163 /*v419*/, v124 /*v380*/, v105 /*v361*/
	v_mul_i32_i24_e32 v86 /*v342*/, v159 /*v415*/, v129 /*v385*/
	v_mul_i32_i24_e32 v167 /*v423*/, v20 /*v276*/, v140 /*v396*/
	;; [unrolled: 1-line block ×3, first 2 shown]
	v_add3_u32 v84 /*v340*/, v84 /*v340*/, v117 /*v373*/, v119 /*v375*/
	v_add3_u32 v87 /*v343*/, v105 /*v361*/, v88 /*v344*/, v87 /*v343*/
	v_mul_i32_i24_e32 v170 /*v426*/, v28 /*v284*/, v149 /*v405*/
	v_mad_i32_i24 v167 /*v423*/, v18 /*v274*/, v141 /*v397*/, v167 /*v423*/
	v_mul_i32_i24_e32 v172 /*v428*/, v30 /*v286*/, v150 /*v406*/
	v_add3_u32 v84 /*v340*/, v84 /*v340*/, v120 /*v376*/, v113 /*v369*/
	v_add3_u32 v119 /*v375*/, v87 /*v343*/, v85 /*v341*/, v86 /*v342*/
	v_mul_i32_i24_e32 v173 /*v429*/, v31 /*v287*/, v151 /*v407*/
	v_add3_u32 v167 /*v423*/, v167 /*v423*/, v168 /*v424*/, v169 /*v425*/
	v_mul_i32_i24_e32 v168 /*v424*/, v26 /*v282*/, v146 /*v402*/
	v_mad_u32 v79 /*v335*/, v84 /*v340*/, v143 /*v399*/, v79 /*v335*/
	ds_load_b32 v105 /*v361*/, v115 /*v371*/ offset:30368
	ds_load_b128 v[84:87] /*v[340:343]*/, v114 /*v370*/ offset:16896
	ds_load_b128 v[110:113] /*v[366:369]*/, v114 /*v370*/ offset:16912
	v_mul_i32_i24_e32 v169 /*v425*/, v27 /*v283*/, v148 /*v404*/
	v_mul_i32_i24_e32 v174 /*v430*/, v32 /*v288*/, v152 /*v408*/
	v_add3_u32 v80 /*v336*/, v80 /*v336*/, v178 /*v434*/, v179 /*v435*/
	v_mul_i32_i24_e32 v177 /*v433*/, v34 /*v290*/, v153 /*v409*/
	v_mul_i32_i24_e32 v178 /*v434*/, v35 /*v291*/, v154 /*v410*/
	v_add3_u32 v167 /*v423*/, v167 /*v423*/, v168 /*v424*/, v169 /*v425*/
	v_mul_i32_i24_e32 v179 /*v435*/, v36 /*v292*/, v155 /*v411*/
	v_mul_i32_i24_e32 v168 /*v424*/, v158 /*v414*/, v67 /*v323*/
	;; [unrolled: 1-line block ×3, first 2 shown]
	v_cvt_f32_i32_e32 v88 /*v344*/, v79 /*v335*/
	v_add3_u32 v167 /*v423*/, v167 /*v423*/, v170 /*v426*/, v171 /*v427*/
	v_mul_i32_i24_e32 v170 /*v426*/, v160 /*v416*/, v65 /*v321*/
	v_mul_i32_i24_e32 v171 /*v427*/, v162 /*v418*/, v64 /*v320*/
	v_mul_lo_u32 v80 /*v336*/, v80 /*v336*/, v66 /*v322*/
	s_delay_alu instid0(VALU_DEP_4)
	v_add3_u32 v167 /*v423*/, v167 /*v423*/, v172 /*v428*/, v173 /*v429*/
	v_mul_i32_i24_e32 v172 /*v428*/, v164 /*v420*/, v62 /*v318*/
	s_wait_dscnt 0x1
	v_bfe_i32 v114 /*v370*/, v84 /*v340*/, 0, 8
	s_wait_dscnt 0x0
	v_bfe_i32 v146 /*v402*/, v110 /*v366*/, 0, 8
	v_bfe_i32 v148 /*v404*/, v110 /*v366*/, 8, 8
	v_bfe_i32 v149 /*v405*/, v110 /*v366*/, 16, 8
	v_ashrrev_i32_e32 v110 /*v366*/, 24, v110 /*v366*/
	v_bfe_i32 v150 /*v406*/, v111 /*v367*/, 0, 8
	v_bfe_i32 v151 /*v407*/, v111 /*v367*/, 8, 8
	v_bfe_i32 v152 /*v408*/, v111 /*v367*/, 16, 8
	v_ashrrev_i32_e32 v111 /*v367*/, 24, v111 /*v367*/
	;; [unrolled: 4-line block ×3, first 2 shown]
	v_bfe_i32 v158 /*v414*/, v113 /*v369*/, 0, 8
	v_bfe_i32 v159 /*v415*/, v113 /*v369*/, 8, 8
	;; [unrolled: 1-line block ×3, first 2 shown]
	v_dual_ashrrev_i32 v113 /*v369*/, 24, v113 /*v369*/ :: v_dual_add_nc_u32 v79 /*v335*/, v111 /*v367*/, v110 /*v366*/
	v_add3_u32 v167 /*v423*/, v167 /*v423*/, v174 /*v430*/, v176 /*v432*/
	v_mad_i32_i24 v172 /*v428*/, v163 /*v419*/, v63 /*v319*/, v172 /*v428*/
	v_bfe_i32 v115 /*v371*/, v84 /*v340*/, 8, 8
	v_bfe_i32 v120 /*v376*/, v84 /*v340*/, 16, 8
	v_add3_u32 v162 /*v418*/, v79 /*v335*/, v112 /*v368*/, v113 /*v369*/
	v_add_nc_u32_e32 v79 /*v335*/, v152 /*v408*/, v149 /*v405*/
	v_add3_u32 v167 /*v423*/, v167 /*v423*/, v177 /*v433*/, v178 /*v434*/
	v_ashrrev_i32_e32 v84 /*v340*/, 24, v84 /*v340*/
	s_set_vgpr_msb 4                        ;  msbs: dst=0 src0=0 src1=1 src2=0
	v_mul_i32_i24_e32 v121, v121, v114 /*v370*/
	s_set_vgpr_msb 0x55                     ;  msbs: dst=1 src0=1 src1=1 src2=1
	v_bfe_i32 v121 /*v377*/, v85 /*v341*/, 0, 8
	v_add3_u32 v163 /*v419*/, v79 /*v335*/, v155 /*v411*/, v160 /*v416*/
	v_add_nc_u32_e32 v79 /*v335*/, v150 /*v406*/, v146 /*v402*/
	v_add3_u32 v167 /*v423*/, v167 /*v423*/, v179 /*v435*/, v180 /*v436*/
	v_bfe_i32 v122 /*v378*/, v85 /*v341*/, 8, 8
	v_bfe_i32 v123 /*v379*/, v85 /*v341*/, 16, 8
	v_ashrrev_i32_e32 v85 /*v341*/, 24, v85 /*v341*/
	v_add3_u32 v164 /*v420*/, v79 /*v335*/, v153 /*v409*/, v158 /*v414*/
	v_add_nc_u32_e32 v79 /*v335*/, v151 /*v407*/, v148 /*v404*/
	s_set_vgpr_msb 4                        ;  msbs: dst=0 src0=0 src1=1 src2=0
	v_mul_i32_i24_e32 v224, v224, v120 /*v376*/
	v_mul_i32_i24_e32 v127, v127, v84 /*v340*/
	v_mad_i32_i24 v119, v119, v115 /*v371*/, v121
	s_set_vgpr_msb 0x55                     ;  msbs: dst=1 src0=1 src1=1 src2=1
	v_add3_u32 v170 /*v426*/, v172 /*v428*/, v171 /*v427*/, v170 /*v426*/
	v_mad_u32 v80 /*v336*/, v167 /*v423*/, v60 /*v316*/, v80 /*v336*/
	v_bfe_i32 v137 /*v393*/, v86 /*v342*/, 0, 8
	v_bfe_i32 v138 /*v394*/, v86 /*v342*/, 8, 8
	;; [unrolled: 1-line block ×3, first 2 shown]
	v_ashrrev_i32_e32 v86 /*v342*/, 24, v86 /*v342*/
	v_bfe_i32 v140 /*v396*/, v87 /*v343*/, 0, 8
	v_bfe_i32 v141 /*v397*/, v87 /*v343*/, 8, 8
	;; [unrolled: 1-line block ×3, first 2 shown]
	v_ashrrev_i32_e32 v87 /*v343*/, 24, v87 /*v343*/
	v_add3_u32 v167 /*v423*/, v79 /*v335*/, v154 /*v410*/, v159 /*v415*/
	v_add_nc_u32_e32 v79 /*v335*/, v85 /*v341*/, v84 /*v340*/
	s_set_vgpr_msb 0                        ;  msbs: dst=0 src0=0 src1=0 src2=0
	v_add3_u32 v119, v119, v224, v127
	s_set_vgpr_msb 4                        ;  msbs: dst=0 src0=0 src1=1 src2=0
	v_mul_i32_i24_e32 v121, v222, v121 /*v377*/
	v_mul_i32_i24_e32 v127, v225, v122 /*v378*/
	s_set_vgpr_msb 0x55                     ;  msbs: dst=1 src0=1 src1=1 src2=1
	v_add3_u32 v168 /*v424*/, v170 /*v426*/, v168 /*v424*/, v169 /*v425*/
	v_add3_u32 v169 /*v425*/, v79 /*v335*/, v86 /*v342*/, v87 /*v343*/
	v_add_nc_u32_e32 v79 /*v335*/, v123 /*v379*/, v120 /*v376*/
	s_set_vgpr_msb 4                        ;  msbs: dst=0 src0=0 src1=1 src2=0
	v_mul_i32_i24_e32 v222, v226, v123 /*v379*/
	v_mul_i32_i24_e32 v224, v228, v85 /*v341*/
	s_set_vgpr_msb 0                        ;  msbs: dst=0 src0=0 src1=0 src2=0
	v_add3_u32 v119, v119, v121, v127
	s_set_vgpr_msb 4                        ;  msbs: dst=0 src0=0 src1=1 src2=0
	v_mul_i32_i24_e32 v121, v255, v146 /*v402*/
	s_set_vgpr_msb 0x55                     ;  msbs: dst=1 src0=1 src1=1 src2=1
	v_add3_u32 v170 /*v426*/, v79 /*v335*/, v139 /*v395*/, v142 /*v398*/
	v_add_nc_u32_e32 v79 /*v335*/, v122 /*v378*/, v115 /*v371*/
	s_set_vgpr_msb 5                        ;  msbs: dst=0 src0=1 src1=1 src2=0
	v_mul_i32_i24_e32 v127, v2 /*v258*/, v149 /*v405*/
	s_set_vgpr_msb 0                        ;  msbs: dst=0 src0=0 src1=0 src2=0
	v_add3_u32 v119, v119, v222, v224
	s_set_vgpr_msb 5                        ;  msbs: dst=0 src0=1 src1=1 src2=0
	v_mul_i32_i24_e32 v222, v4 /*v260*/, v110 /*v366*/
	s_set_vgpr_msb 4                        ;  msbs: dst=0 src0=0 src1=1 src2=0
	v_mad_i32_i24 v121, v251, v148 /*v404*/, v121
	s_set_vgpr_msb 0x55                     ;  msbs: dst=1 src0=1 src1=1 src2=1
	v_add3_u32 v171 /*v427*/, v79 /*v335*/, v138 /*v394*/, v141 /*v397*/
	v_add_nc_u32_e32 v79 /*v335*/, v121 /*v377*/, v114 /*v370*/
	s_set_vgpr_msb 4                        ;  msbs: dst=0 src0=0 src1=1 src2=0
	v_mul_i32_i24_e32 v225, v230, v137 /*v393*/
	v_mul_i32_i24_e32 v226, v232, v138 /*v394*/
	s_set_vgpr_msb 0                        ;  msbs: dst=0 src0=0 src1=0 src2=0
	v_add3_u32 v121, v121, v127, v222
	s_set_vgpr_msb 5                        ;  msbs: dst=0 src0=1 src1=1 src2=0
	v_mul_i32_i24_e32 v127, v6 /*v262*/, v150 /*v406*/
	v_mul_i32_i24_e32 v222, v9 /*v265*/, v151 /*v407*/
	s_set_vgpr_msb 0x55                     ;  msbs: dst=1 src0=1 src1=1 src2=1
	v_add3_u32 v172 /*v428*/, v79 /*v335*/, v137 /*v393*/, v140 /*v396*/
	s_set_vgpr_msb 0                        ;  msbs: dst=0 src0=0 src1=0 src2=0
	v_add3_u32 v119, v119, v225, v226
	s_set_vgpr_msb 5                        ;  msbs: dst=0 src0=1 src1=1 src2=0
	v_mul_i32_i24_e32 v224, v11 /*v267*/, v152 /*v408*/
	v_mul_i32_i24_e32 v225, v13 /*v269*/, v111 /*v367*/
	s_set_vgpr_msb 0                        ;  msbs: dst=0 src0=0 src1=0 src2=0
	v_add3_u32 v121, v121, v127, v222
	s_set_vgpr_msb 4                        ;  msbs: dst=0 src0=0 src1=1 src2=0
	v_mul_i32_i24_e32 v228, v234, v139 /*v395*/
	v_mul_i32_i24_e32 v230, v236, v86 /*v342*/
	v_mul_i32_i24_e32 v232, v239, v140 /*v396*/
	v_mul_i32_i24_e32 v234, v241, v141 /*v397*/
	s_set_vgpr_msb 0                        ;  msbs: dst=0 src0=0 src1=0 src2=0
	v_add3_u32 v121, v121, v224, v225
	s_set_vgpr_msb 5                        ;  msbs: dst=0 src0=1 src1=1 src2=0
	v_mul_i32_i24_e32 v225, v172 /*v428*/, v72 /*v328*/
	s_set_vgpr_msb 0                        ;  msbs: dst=0 src0=0 src1=0 src2=0
	v_add3_u32 v119, v119, v228, v230
	s_set_vgpr_msb 5                        ;  msbs: dst=0 src0=1 src1=1 src2=0
	v_mul_i32_i24_e32 v222, v169 /*v425*/, v56 /*v312*/
	v_mul_i32_i24_e32 v224, v170 /*v426*/, v73 /*v329*/
	;; [unrolled: 1-line block ×3, first 2 shown]
	v_mad_i32_i24 v225, v171 /*v427*/, v70 /*v326*/, v225
	v_mul_i32_i24_e32 v228, v16 /*v272*/, v154 /*v410*/
	s_set_vgpr_msb 4                        ;  msbs: dst=0 src0=0 src1=1 src2=0
	v_mul_i32_i24_e32 v236, v244, v142 /*v398*/
	s_set_vgpr_msb 0                        ;  msbs: dst=0 src0=0 src1=0 src2=0
	v_add3_u32 v119, v119, v232, v234
	s_set_vgpr_msb 4                        ;  msbs: dst=0 src0=0 src1=1 src2=0
	v_mul_i32_i24_e32 v116, v116, v87 /*v343*/
	s_set_vgpr_msb 0                        ;  msbs: dst=0 src0=0 src1=0 src2=0
	v_add3_u32 v222, v225, v224, v222
	v_mul_i32_i24_e32 v224, v109, v97
	s_set_vgpr_msb 5                        ;  msbs: dst=0 src0=1 src1=1 src2=0
	v_mul_i32_i24_e32 v230, v17 /*v273*/, v155 /*v411*/
	v_mul_i32_i24_e32 v232, v19 /*v275*/, v112 /*v368*/
	s_set_vgpr_msb 0                        ;  msbs: dst=0 src0=0 src1=0 src2=0
	v_add3_u32 v121, v121, v226, v228
	v_add3_u32 v116, v119, v236, v116
	s_set_vgpr_msb 5                        ;  msbs: dst=0 src0=1 src1=1 src2=0
	v_add3_u32 v224, v41 /*v297*/, v39 /*v295*/, v224
	v_mul_i32_i24_e32 v234, v21 /*v277*/, v158 /*v414*/
	v_mul_i32_i24_e32 v239, v22 /*v278*/, v159 /*v415*/
	s_set_vgpr_msb 0                        ;  msbs: dst=0 src0=0 src1=0 src2=0
	v_add3_u32 v121, v121, v230, v232
	s_set_vgpr_msb 4                        ;  msbs: dst=0 src0=0 src1=1 src2=0
	v_mul_lo_u32 v116, v116, v57 /*v313*/
	v_mul_lo_u32 v119, v224, v98 /*v354*/
	s_set_vgpr_msb 5                        ;  msbs: dst=0 src0=1 src1=1 src2=0
	v_mul_i32_i24_e32 v241, v24 /*v280*/, v160 /*v416*/
	s_set_vgpr_msb 4                        ;  msbs: dst=0 src0=0 src1=1 src2=0
	v_mul_i32_i24_e32 v224, v218, v53 /*v309*/
	s_set_vgpr_msb 0                        ;  msbs: dst=0 src0=0 src1=0 src2=0
	v_add3_u32 v121, v121, v234, v239
	s_set_vgpr_msb 4                        ;  msbs: dst=0 src0=0 src1=1 src2=0
	v_mul_i32_i24_e32 v225, v246, v113 /*v369*/
	s_set_vgpr_msb 5                        ;  msbs: dst=0 src0=1 src1=1 src2=0
	v_mul_i32_i24_e32 v127, v164 /*v420*/, v58 /*v314*/
	v_mul_i32_i24_e32 v232, v167 /*v423*/, v55 /*v311*/
	s_set_vgpr_msb 4                        ;  msbs: dst=0 src0=0 src1=1 src2=0
	v_mul_i32_i24_e32 v234, v103, v90 /*v346*/
	s_set_vgpr_msb 5                        ;  msbs: dst=0 src0=1 src1=1 src2=0
	v_add3_u32 v224, v46 /*v302*/, v45 /*v301*/, v224
	s_set_vgpr_msb 0                        ;  msbs: dst=0 src0=0 src1=0 src2=0
	v_add3_u32 v121, v121, v241, v225
	s_set_vgpr_msb 5                        ;  msbs: dst=0 src0=1 src1=1 src2=0
	v_mul_i32_i24_e32 v225, v49 /*v305*/, v99 /*v355*/
	v_mul_i32_i24_e32 v226, v162 /*v418*/, v175 /*v431*/
	v_mul_i32_i24_e32 v228, v50 /*v306*/, v100 /*v356*/
	v_mul_i32_i24_e32 v230, v163 /*v419*/, v161 /*v417*/
	v_add3_u32 v234, v104 /*v360*/, v103 /*v359*/, v234
	s_set_vgpr_msb 0                        ;  msbs: dst=0 src0=0 src1=0 src2=0
	v_add3_u32 v127, v222, v127, v232
	s_set_vgpr_msb 4                        ;  msbs: dst=0 src0=0 src1=1 src2=0
	v_mad_u32 v119, v224, v92 /*v348*/, v119
	v_mad_u32 v116, v121, v54 /*v310*/, v116
	s_set_vgpr_msb 64                       ;  msbs: dst=1 src0=0 src1=0 src2=0
	v_mov_b32_e32 v104 /*v360*/, v91
	s_set_vgpr_msb 0                        ;  msbs: dst=0 src0=0 src1=0 src2=0
	v_add3_u32 v222, v234, v228, v225
	v_add3_u32 v127, v127, v230, v226
	s_set_vgpr_msb 5                        ;  msbs: dst=0 src0=1 src1=1 src2=0
	v_mul_i32_i24_e32 v91, v135 /*v391*/, v175 /*v431*/
	s_set_vgpr_msb 4                        ;  msbs: dst=0 src0=0 src1=1 src2=0
	v_mul_i32_i24_e32 v109, v109, v87 /*v343*/
	s_set_vgpr_msb 0x41                     ;  msbs: dst=1 src0=1 src1=0 src2=0
	v_cvt_f32_i32_e32 v80 /*v336*/, v80 /*v336*/
	s_set_vgpr_msb 64                       ;  msbs: dst=1 src0=0 src1=0 src2=0
	v_cvt_f32_i32_e32 v16 /*v272*/, v222
	v_cvt_f32_i32_e32 v17 /*v273*/, v127
	s_set_vgpr_msb 0                        ;  msbs: dst=0 src0=0 src1=0 src2=0
	v_cvt_f32_i32_e32 v224, v119
	v_cvt_f32_i32_e32 v225, v116
	s_set_vgpr_msb 0x44                     ;  msbs: dst=1 src0=0 src1=1 src2=0
	v_pk_mul_f32 v[16:17] /*v[272:273]*/, v[100:101], v[16:17] /*v[272:273]*/
	s_set_vgpr_msb 4                        ;  msbs: dst=0 src0=0 src1=1 src2=0
	v_mul_i32_i24_e32 v101, v204, v84 /*v340*/
	s_set_vgpr_msb 5                        ;  msbs: dst=0 src0=1 src1=1 src2=0
	v_mul_i32_i24_e32 v204, v36 /*v292*/, v160 /*v416*/
	s_set_vgpr_msb 16                       ;  msbs: dst=0 src0=0 src1=0 src2=1
	v_pk_fma_f32 v[224:225], v[98:99], v[224:225], v[16:17] /*v[272:273]*/ neg_lo:[0,0,1] neg_hi:[0,0,1]
	s_set_vgpr_msb 5                        ;  msbs: dst=0 src0=1 src1=1 src2=0
	v_mul_i32_i24_e32 v99, v136 /*v392*/, v161 /*v417*/
	s_set_vgpr_msb 1                        ;  msbs: dst=0 src0=1 src1=0 src2=0
	s_delay_alu instid0(VALU_DEP_2) | instskip(NEXT) | instid1(VALU_DEP_2)
	v_pk_fma_f32 v[36:37], v[104:105] /*v[360:361]*/, v[224:225], v[36:37]
	v_add3_u32 v91, v144 /*v400*/, v99, v91
	s_set_vgpr_msb 5                        ;  msbs: dst=0 src0=1 src1=1 src2=0
	v_mul_i32_i24_e32 v99, v136 /*v392*/, v100 /*v356*/
	s_set_vgpr_msb 0                        ;  msbs: dst=0 src0=0 src1=0 src2=0
	s_delay_alu instid0(VALU_DEP_2) | instskip(NEXT) | instid1(VALU_DEP_1)
	v_cvt_f32_i32_e32 v127, v91
	v_pk_mul_f32 v[126:127], v[112:113], v[126:127]
	s_delay_alu instid0(VALU_DEP_1)
	v_sub_f32_e32 v91, v126, v127
	s_set_vgpr_msb 5                        ;  msbs: dst=0 src0=1 src1=1 src2=0
	v_mul_i32_i24_e32 v126, v14 /*v270*/, v142 /*v398*/
	v_mul_i32_i24_e32 v127, v35 /*v291*/, v159 /*v415*/
	s_set_vgpr_msb 1                        ;  msbs: dst=0 src0=1 src1=0 src2=0
	v_mul_f32_e32 v121, v89 /*v345*/, v91
	s_set_vgpr_msb 5                        ;  msbs: dst=0 src0=1 src1=1 src2=0
	v_mul_i32_i24_e32 v91, v135 /*v391*/, v99 /*v355*/
	s_set_vgpr_msb 0                        ;  msbs: dst=0 src0=0 src1=0 src2=0
	s_delay_alu instid0(VALU_DEP_2) | instskip(SKIP_1) | instid1(VALU_DEP_2)
	v_pk_add_f32 v[62:63], v[62:63], v[120:121]
	s_set_vgpr_msb 1                        ;  msbs: dst=0 src0=1 src1=0 src2=0
	v_add3_u32 v91, v145 /*v401*/, v99, v91
	s_set_vgpr_msb 5                        ;  msbs: dst=0 src0=1 src1=1 src2=0
	v_mul_i32_i24_e32 v99, v157 /*v413*/, v161 /*v417*/
	s_set_vgpr_msb 64                       ;  msbs: dst=1 src0=0 src1=0 src2=0
	s_delay_alu instid0(VALU_DEP_2) | instskip(SKIP_1) | instid1(VALU_DEP_1)
	v_cvt_f32_i32_e32 v79 /*v335*/, v91
	s_set_vgpr_msb 4                        ;  msbs: dst=0 src0=0 src1=1 src2=0
	v_pk_mul_f32 v[120:121], v[114:115], v[78:79] /*v[334:335]*/
	s_set_vgpr_msb 0                        ;  msbs: dst=0 src0=0 src1=0 src2=0
	s_delay_alu instid0(VALU_DEP_1)
	v_sub_f32_e32 v91, v120, v121
	s_set_vgpr_msb 4                        ;  msbs: dst=0 src0=0 src1=1 src2=0
	v_mul_i32_i24_e32 v120, v216, v141 /*v397*/
	v_mul_i32_i24_e32 v121, v217, v142 /*v398*/
	s_set_vgpr_msb 1                        ;  msbs: dst=0 src0=1 src1=0 src2=0
	v_mul_f32_e32 v119, v89 /*v345*/, v91
	s_set_vgpr_msb 5                        ;  msbs: dst=0 src0=1 src1=1 src2=0
	v_mul_i32_i24_e32 v91, v156 /*v412*/, v175 /*v431*/
	s_set_vgpr_msb 0                        ;  msbs: dst=0 src0=0 src1=0 src2=0
	s_delay_alu instid0(VALU_DEP_2) | instskip(SKIP_1) | instid1(VALU_DEP_2)
	v_pk_add_f32 v[64:65], v[64:65], v[118:119]
	s_set_vgpr_msb 1                        ;  msbs: dst=0 src0=1 src1=0 src2=0
	v_add3_u32 v91, v165 /*v421*/, v99, v91
	s_set_vgpr_msb 5                        ;  msbs: dst=0 src0=1 src1=1 src2=0
	v_mul_i32_i24_e32 v99, v157 /*v413*/, v100 /*v356*/
	s_set_vgpr_msb 4                        ;  msbs: dst=0 src0=0 src1=1 src2=0
	v_mul_i32_i24_e32 v118, v214, v86 /*v342*/
	v_mul_i32_i24_e32 v119, v215, v140 /*v396*/
	s_set_vgpr_msb 64                       ;  msbs: dst=1 src0=0 src1=0 src2=0
	v_cvt_f32_i32_e32 v103 /*v359*/, v91
	s_set_vgpr_msb 4                        ;  msbs: dst=0 src0=0 src1=1 src2=0
	s_delay_alu instid0(VALU_DEP_1) | instskip(SKIP_1) | instid1(VALU_DEP_1)
	v_pk_mul_f32 v[112:113], v[112:113], v[102:103] /*v[358:359]*/
	s_set_vgpr_msb 0                        ;  msbs: dst=0 src0=0 src1=0 src2=0
	v_sub_f32_e32 v91, v112, v113
	s_set_vgpr_msb 1                        ;  msbs: dst=0 src0=1 src1=0 src2=0
	s_delay_alu instid0(VALU_DEP_1) | instskip(SKIP_3) | instid1(VALU_DEP_1)
	v_mul_f32_e32 v116, v118 /*v374*/, v91
	s_set_vgpr_msb 5                        ;  msbs: dst=0 src0=1 src1=1 src2=0
	v_mul_i32_i24_e32 v91, v156 /*v412*/, v99 /*v355*/
	s_set_vgpr_msb 1                        ;  msbs: dst=0 src0=1 src1=0 src2=0
	v_add3_u32 v91, v166 /*v422*/, v99, v91
	s_set_vgpr_msb 4                        ;  msbs: dst=0 src0=0 src1=1 src2=0
	v_mul_i32_i24_e32 v99, v206, v120 /*v376*/
	s_set_vgpr_msb 1                        ;  msbs: dst=0 src0=1 src1=0 src2=0
	v_bfe_i32 v206, v61 /*v317*/, 16, 8
	s_set_vgpr_msb 64                       ;  msbs: dst=1 src0=0 src1=0 src2=0
	v_cvt_f32_i32_e32 v117 /*v373*/, v91
	s_set_vgpr_msb 4                        ;  msbs: dst=0 src0=0 src1=1 src2=0
	s_delay_alu instid0(VALU_DEP_1) | instskip(SKIP_3) | instid1(VALU_DEP_3)
	v_pk_mul_f32 v[112:113], v[114:115], v[116:117] /*v[372:373]*/
	v_mul_i32_i24_e32 v114, v210, v85 /*v341*/
	v_mul_i32_i24_e32 v115, v211, v137 /*v393*/
	s_set_vgpr_msb 0                        ;  msbs: dst=0 src0=0 src1=0 src2=0
	v_sub_f32_e32 v91, v112, v113
	s_set_vgpr_msb 4                        ;  msbs: dst=0 src0=0 src1=1 src2=0
	v_mul_i32_i24_e32 v113, v208, v123 /*v379*/
	s_set_vgpr_msb 1                        ;  msbs: dst=0 src0=1 src1=0 src2=0
	s_delay_alu instid0(VALU_DEP_2)
	v_mul_f32_e32 v112, v118 /*v374*/, v91
	s_set_vgpr_msb 4                        ;  msbs: dst=0 src0=0 src1=1 src2=0
	v_mul_i32_i24_e32 v91, v125, v114 /*v370*/
	s_set_vgpr_msb 0                        ;  msbs: dst=0 src0=0 src1=0 src2=0
	v_pk_add_f32 v[54:55], v[54:55], v[116:117]
	s_set_vgpr_msb 4                        ;  msbs: dst=0 src0=0 src1=1 src2=0
	v_mul_i32_i24_e32 v116, v212, v138 /*v394*/
	v_mul_i32_i24_e32 v117, v213, v139 /*v395*/
	;; [unrolled: 1-line block ×3, first 2 shown]
	v_mad_i32_i24 v91, v123, v115 /*v371*/, v91
	v_mul_i32_i24_e32 v123, v247, v159 /*v415*/
	s_set_vgpr_msb 0                        ;  msbs: dst=0 src0=0 src1=0 src2=0
	s_delay_alu instid0(VALU_DEP_2)
	v_add3_u32 v91, v91, v99, v101
	s_set_vgpr_msb 4                        ;  msbs: dst=0 src0=0 src1=1 src2=0
	v_mul_i32_i24_e32 v99, v205, v121 /*v377*/
	v_mul_i32_i24_e32 v101, v207, v122 /*v378*/
	s_set_vgpr_msb 1                        ;  msbs: dst=0 src0=1 src1=0 src2=0
	v_bfe_i32 v205, v127 /*v383*/, 16, 8
	s_set_vgpr_msb 0                        ;  msbs: dst=0 src0=0 src1=0 src2=0
	s_delay_alu instid0(VALU_DEP_2)
	v_add3_u32 v91, v91, v99, v101
	s_set_vgpr_msb 4                        ;  msbs: dst=0 src0=0 src1=1 src2=0
	v_mul_i32_i24_e32 v99, v220, v146 /*v402*/
	v_mul_i32_i24_e32 v101, v221, v149 /*v405*/
	s_set_vgpr_msb 0                        ;  msbs: dst=0 src0=0 src1=0 src2=0
	v_add3_u32 v91, v91, v113, v114
	s_set_vgpr_msb 4                        ;  msbs: dst=0 src0=0 src1=1 src2=0
	v_mul_i32_i24_e32 v113, v223, v110 /*v366*/
	v_mad_i32_i24 v99, v219, v148 /*v404*/, v99
	v_mul_i32_i24_e32 v114, v231, v152 /*v408*/
	s_set_vgpr_msb 0                        ;  msbs: dst=0 src0=0 src1=0 src2=0
	v_add3_u32 v91, v91, v115, v116
	s_set_vgpr_msb 4                        ;  msbs: dst=0 src0=0 src1=1 src2=0
	v_mul_i32_i24_e32 v115, v233, v111 /*v367*/
	s_set_vgpr_msb 0                        ;  msbs: dst=0 src0=0 src1=0 src2=0
	v_add3_u32 v99, v99, v101, v113
	s_set_vgpr_msb 4                        ;  msbs: dst=0 src0=0 src1=1 src2=0
	v_mul_i32_i24_e32 v101, v227, v150 /*v406*/
	v_mul_i32_i24_e32 v113, v229, v151 /*v407*/
	s_set_vgpr_msb 0                        ;  msbs: dst=0 src0=0 src1=0 src2=0
	v_add3_u32 v91, v91, v117, v118
	s_set_vgpr_msb 4                        ;  msbs: dst=0 src0=0 src1=1 src2=0
	v_mul_i32_i24_e32 v116, v235, v153 /*v409*/
	v_mul_i32_i24_e32 v117, v237, v154 /*v410*/
	;; [unrolled: 1-line block ×3, first 2 shown]
	s_set_vgpr_msb 0                        ;  msbs: dst=0 src0=0 src1=0 src2=0
	v_add3_u32 v99, v99, v101, v113
	v_add3_u32 v91, v91, v119, v120
	s_set_vgpr_msb 5                        ;  msbs: dst=0 src0=1 src1=1 src2=0
	v_mul_i32_i24_e32 v113, v169 /*v425*/, v96 /*v352*/
	s_set_vgpr_msb 4                        ;  msbs: dst=0 src0=0 src1=1 src2=0
	v_mul_i32_i24_e32 v119, v242, v112 /*v368*/
	v_mul_i32_i24_e32 v120, v245, v158 /*v414*/
	s_set_vgpr_msb 0                        ;  msbs: dst=0 src0=0 src1=0 src2=0
	v_add3_u32 v99, v99, v114, v115
	s_set_vgpr_msb 5                        ;  msbs: dst=0 src0=1 src1=1 src2=0
	v_mul_i32_i24_e32 v115, v172 /*v428*/, v93 /*v349*/
	v_mul_i32_i24_e32 v114, v170 /*v426*/, v95 /*v351*/
	s_set_vgpr_msb 0                        ;  msbs: dst=0 src0=0 src1=0 src2=0
	v_add3_u32 v91, v91, v121, v109
	s_set_vgpr_msb 5                        ;  msbs: dst=0 src0=1 src1=1 src2=0
	v_mul_i32_i24_e32 v101, v164 /*v420*/, v97 /*v353*/
	s_set_vgpr_msb 0                        ;  msbs: dst=0 src0=0 src1=0 src2=0
	v_add3_u32 v99, v99, v116, v117
	s_set_vgpr_msb 5                        ;  msbs: dst=0 src0=1 src1=1 src2=0
	v_mad_i32_i24 v115, v171 /*v427*/, v94 /*v350*/, v115
	v_mul_i32_i24_e32 v116, v167 /*v423*/, v90 /*v346*/
	s_set_vgpr_msb 4                        ;  msbs: dst=0 src0=0 src1=1 src2=0
	v_mul_lo_u32 v91, v91, v98 /*v354*/
	s_set_vgpr_msb 5                        ;  msbs: dst=0 src0=1 src1=1 src2=0
	v_mul_i32_i24_e32 v117, v1 /*v257*/, v137 /*v393*/
	s_set_vgpr_msb 0                        ;  msbs: dst=0 src0=0 src1=0 src2=0
	v_add3_u32 v99, v99, v118, v119
	v_add3_u32 v113, v115, v114, v113
	v_mul_i32_i24_e32 v114, v209, v97
	s_set_vgpr_msb 4                        ;  msbs: dst=0 src0=0 src1=1 src2=0
	v_mul_i32_i24_e32 v115, v218, v113 /*v369*/
	s_set_vgpr_msb 5                        ;  msbs: dst=0 src0=1 src1=1 src2=0
	v_mul_i32_i24_e32 v118, v3 /*v259*/, v138 /*v394*/
	s_set_vgpr_msb 0                        ;  msbs: dst=0 src0=0 src1=0 src2=0
	v_add3_u32 v99, v99, v120, v123
	v_add3_u32 v101, v113, v101, v116
	s_set_vgpr_msb 5                        ;  msbs: dst=0 src0=1 src1=1 src2=0
	v_add3_u32 v114, v38 /*v294*/, v37 /*v293*/, v114
	s_set_vgpr_msb 4                        ;  msbs: dst=0 src0=0 src1=1 src2=0
	v_mul_i32_i24_e32 v113, v254, v123 /*v379*/
	s_set_vgpr_msb 5                        ;  msbs: dst=0 src0=1 src1=1 src2=0
	v_mul_i32_i24_e32 v116, v0 /*v256*/, v85 /*v341*/
	s_set_vgpr_msb 0                        ;  msbs: dst=0 src0=0 src1=0 src2=0
	v_add3_u32 v99, v99, v125, v115
	s_set_vgpr_msb 4                        ;  msbs: dst=0 src0=0 src1=1 src2=0
	v_mul_i32_i24_e32 v115, v103, v59 /*v315*/
	v_mul_lo_u32 v109, v114, v66 /*v322*/
	s_set_vgpr_msb 5                        ;  msbs: dst=0 src0=1 src1=1 src2=0
	v_mul_i32_i24_e32 v114, v8 /*v264*/, v53 /*v309*/
	v_mul_i32_i24_e32 v119, v5 /*v261*/, v139 /*v395*/
	s_set_vgpr_msb 4                        ;  msbs: dst=0 src0=0 src1=1 src2=0
	v_mad_u32 v91, v99, v92 /*v348*/, v91
	s_set_vgpr_msb 5                        ;  msbs: dst=0 src0=1 src1=1 src2=0
	v_add3_u32 v120, v74 /*v330*/, v71 /*v327*/, v115
	s_set_vgpr_msb 4                        ;  msbs: dst=0 src0=0 src1=1 src2=0
	v_mul_i32_i24_e32 v99, v252, v120 /*v376*/
	s_set_vgpr_msb 5                        ;  msbs: dst=0 src0=1 src1=1 src2=0
	v_add3_u32 v114, v44 /*v300*/, v43 /*v299*/, v114
	v_mul_i32_i24_e32 v121, v7 /*v263*/, v86 /*v342*/
	v_mul_i32_i24_e32 v123, v10 /*v266*/, v140 /*v396*/
	;; [unrolled: 1-line block ×3, first 2 shown]
	s_set_vgpr_msb 0                        ;  msbs: dst=0 src0=0 src1=0 src2=0
	v_mul_i32_i24_e32 v97, v188, v97
	s_set_vgpr_msb 4                        ;  msbs: dst=0 src0=0 src1=1 src2=0
	v_mad_u32 v109, v114, v60 /*v316*/, v109
	v_mul_i32_i24_e32 v103, v103, v129 /*v385*/
	v_cvt_f32_i32_e32 v115, v91
	v_mul_i32_i24_e32 v91, v243, v114 /*v370*/
	s_set_vgpr_msb 5                        ;  msbs: dst=0 src0=1 src1=1 src2=0
	v_add3_u32 v97, v42 /*v298*/, v40 /*v296*/, v97
	v_add3_u32 v103, v133 /*v389*/, v132 /*v388*/, v103
	s_set_vgpr_msb 4                        ;  msbs: dst=0 src0=0 src1=1 src2=0
	v_mad_i32_i24 v91, v238, v115 /*v371*/, v91
	s_delay_alu instid0(VALU_DEP_3) | instskip(SKIP_3) | instid1(VALU_DEP_1)
	v_mul_lo_u32 v97, v97, v134 /*v390*/
	v_cvt_f32_i32_e32 v114, v109
	v_mul_i32_i24_e32 v109, v248, v84 /*v340*/
	s_set_vgpr_msb 0                        ;  msbs: dst=0 src0=0 src1=0 src2=0
	v_add3_u32 v91, v91, v99, v109
	s_set_vgpr_msb 4                        ;  msbs: dst=0 src0=0 src1=1 src2=0
	v_mul_i32_i24_e32 v99, v250, v121 /*v377*/
	v_mul_i32_i24_e32 v109, v253, v122 /*v378*/
	s_set_vgpr_msb 0                        ;  msbs: dst=0 src0=0 src1=0 src2=0
	s_delay_alu instid0(VALU_DEP_1)
	v_add3_u32 v91, v91, v99, v109
	s_set_vgpr_msb 5                        ;  msbs: dst=0 src0=1 src1=1 src2=0
	v_mul_i32_i24_e32 v99, v20 /*v276*/, v146 /*v402*/
	v_mul_i32_i24_e32 v109, v23 /*v279*/, v149 /*v405*/
	s_set_vgpr_msb 0                        ;  msbs: dst=0 src0=0 src1=0 src2=0
	v_add3_u32 v91, v91, v113, v116
	s_set_vgpr_msb 5                        ;  msbs: dst=0 src0=1 src1=1 src2=0
	v_mul_i32_i24_e32 v113, v25 /*v281*/, v110 /*v366*/
	v_mad_i32_i24 v99, v18 /*v274*/, v148 /*v404*/, v99
	v_mul_i32_i24_e32 v116, v28 /*v284*/, v152 /*v408*/
	s_set_vgpr_msb 0                        ;  msbs: dst=0 src0=0 src1=0 src2=0
	v_add3_u32 v91, v91, v117, v118
	s_set_vgpr_msb 5                        ;  msbs: dst=0 src0=1 src1=1 src2=0
	v_mul_i32_i24_e32 v117, v29 /*v285*/, v111 /*v367*/
	s_set_vgpr_msb 0                        ;  msbs: dst=0 src0=0 src1=0 src2=0
	v_add3_u32 v99, v99, v109, v113
	s_set_vgpr_msb 5                        ;  msbs: dst=0 src0=1 src1=1 src2=0
	v_mul_i32_i24_e32 v109, v26 /*v282*/, v150 /*v406*/
	v_mul_i32_i24_e32 v113, v27 /*v283*/, v151 /*v407*/
	s_set_vgpr_msb 0                        ;  msbs: dst=0 src0=0 src1=0 src2=0
	v_add3_u32 v91, v91, v119, v121
	s_set_vgpr_msb 5                        ;  msbs: dst=0 src0=1 src1=1 src2=0
	v_mul_i32_i24_e32 v118, v30 /*v286*/, v153 /*v409*/
	v_mul_i32_i24_e32 v119, v31 /*v287*/, v154 /*v410*/
	;; [unrolled: 1-line block ×3, first 2 shown]
	s_set_vgpr_msb 0                        ;  msbs: dst=0 src0=0 src1=0 src2=0
	v_add3_u32 v99, v99, v109, v113
	s_set_vgpr_msb 5                        ;  msbs: dst=0 src0=1 src1=1 src2=0
	v_mul_i32_i24_e32 v113, v169 /*v425*/, v65 /*v321*/
	s_set_vgpr_msb 0                        ;  msbs: dst=0 src0=0 src1=0 src2=0
	v_add3_u32 v91, v91, v123, v125
	s_set_vgpr_msb 5                        ;  msbs: dst=0 src0=1 src1=1 src2=0
	v_mul_i32_i24_e32 v123, v33 /*v289*/, v112 /*v368*/
	v_mul_i32_i24_e32 v125, v34 /*v290*/, v158 /*v414*/
	s_set_vgpr_msb 0                        ;  msbs: dst=0 src0=0 src1=0 src2=0
	v_add3_u32 v99, v99, v116, v117
	s_set_vgpr_msb 5                        ;  msbs: dst=0 src0=1 src1=1 src2=0
	v_mul_i32_i24_e32 v117, v172 /*v428*/, v62 /*v318*/
	v_mul_i32_i24_e32 v116, v170 /*v426*/, v64 /*v320*/
	;; [unrolled: 1-line block ×3, first 2 shown]
	s_set_vgpr_msb 0                        ;  msbs: dst=0 src0=0 src1=0 src2=0
	v_add3_u32 v99, v99, v118, v119
	s_set_vgpr_msb 5                        ;  msbs: dst=0 src0=1 src1=1 src2=0
	v_mad_i32_i24 v117, v171 /*v427*/, v63 /*v319*/, v117
	s_set_vgpr_msb 1                        ;  msbs: dst=0 src0=1 src1=0 src2=0
	v_mul_i32_i24_e32 v119, v163 /*v419*/, v206
	s_set_vgpr_msb 0                        ;  msbs: dst=0 src0=0 src1=0 src2=0
	v_add3_u32 v99, v99, v121, v123
	v_add3_u32 v113, v117, v116, v113
	s_set_vgpr_msb 4                        ;  msbs: dst=0 src0=0 src1=1 src2=0
	v_mul_i32_i24_e32 v116, v209, v87 /*v343*/
	s_set_vgpr_msb 5                        ;  msbs: dst=0 src0=1 src1=1 src2=0
	v_mul_i32_i24_e32 v117, v8 /*v264*/, v113 /*v369*/
	v_lshrrev_b32_e32 v121, 24, v127 /*v383*/
	s_set_vgpr_msb 0                        ;  msbs: dst=0 src0=0 src1=0 src2=0
	v_add3_u32 v99, v99, v125, v127
	s_set_vgpr_msb 4                        ;  msbs: dst=0 src0=0 src1=1 src2=0
	v_lshrrev_b32_e32 v127, 24, v61 /*v317*/
	s_set_vgpr_msb 0                        ;  msbs: dst=0 src0=0 src1=0 src2=0
	v_add3_u32 v91, v91, v126, v116
	s_set_vgpr_msb 4                        ;  msbs: dst=0 src0=0 src1=1 src2=0
	v_mul_i32_i24_e32 v116, v203, v53 /*v309*/
	s_set_vgpr_msb 5                        ;  msbs: dst=0 src0=1 src1=1 src2=0
	v_mul_i32_i24_e32 v125, v167 /*v423*/, v59 /*v315*/
	s_set_vgpr_msb 0                        ;  msbs: dst=0 src0=0 src1=0 src2=0
	v_add3_u32 v99, v99, v204, v117
	s_set_vgpr_msb 1                        ;  msbs: dst=0 src0=1 src1=0 src2=0
	v_mul_i32_i24_e32 v117, v162 /*v418*/, v127
	s_set_vgpr_msb 4                        ;  msbs: dst=0 src0=0 src1=1 src2=0
	v_mul_lo_u32 v91, v91, v66 /*v322*/
	s_set_vgpr_msb 5                        ;  msbs: dst=0 src0=1 src1=1 src2=0
	v_add3_u32 v116, v48 /*v304*/, v47 /*v303*/, v116
	s_set_vgpr_msb 1                        ;  msbs: dst=0 src0=1 src1=0 src2=0
	v_mul_i32_i24_e32 v118, v49 /*v305*/, v121
	v_mul_i32_i24_e32 v123, v50 /*v306*/, v205
	s_set_vgpr_msb 0                        ;  msbs: dst=0 src0=0 src1=0 src2=0
	v_add3_u32 v109, v113, v109, v125
	s_set_vgpr_msb 4                        ;  msbs: dst=0 src0=0 src1=1 src2=0
	v_mad_u32 v97, v116, v143 /*v399*/, v97
	s_set_vgpr_msb 0                        ;  msbs: dst=0 src0=0 src1=0 src2=0
	v_add3_u32 v103, v103, v123, v118
	v_add3_u32 v109, v109, v119, v117
	s_set_vgpr_msb 4                        ;  msbs: dst=0 src0=0 src1=1 src2=0
	v_mad_u32 v91, v99, v60 /*v316*/, v91
	s_set_vgpr_msb 1                        ;  msbs: dst=0 src0=1 src1=0 src2=0
	v_mul_i32_i24_e32 v99, v52 /*v308*/, v205
	s_set_vgpr_msb 0                        ;  msbs: dst=0 src0=0 src1=0 src2=0
	v_cvt_f32_i32_e32 v118, v103
	v_cvt_f32_i32_e32 v119, v109
	s_set_vgpr_msb 1                        ;  msbs: dst=0 src0=1 src1=0 src2=0
	v_mul_i32_i24_e32 v103, v107 /*v363*/, v205
	s_set_vgpr_msb 0                        ;  msbs: dst=0 src0=0 src1=0 src2=0
	v_cvt_f32_i32_e32 v116, v97
	s_set_vgpr_msb 1                        ;  msbs: dst=0 src0=1 src1=0 src2=0
	v_mul_i32_i24_e32 v97, v108 /*v364*/, v121
	s_set_vgpr_msb 0                        ;  msbs: dst=0 src0=0 src1=0 src2=0
	v_pk_mul_f32 v[118:119], v[104:105], v[118:119]
	v_cvt_f32_i32_e32 v117, v91
	s_set_vgpr_msb 1                        ;  msbs: dst=0 src0=1 src1=0 src2=0
	v_mul_i32_i24_e32 v91, v51 /*v307*/, v121
	v_add3_u32 v97, v83 /*v339*/, v103, v97
	v_mul_i32_i24_e32 v103, v107 /*v363*/, v206
	s_set_vgpr_msb 0                        ;  msbs: dst=0 src0=0 src1=0 src2=0
	v_pk_fma_f32 v[116:117], v[2:3], v[116:117], v[118:119] neg_lo:[0,0,1] neg_hi:[0,0,1]
	v_add3_u32 v91, v107, v99, v91
	v_cvt_f32_i32_e32 v118, v97
	s_set_vgpr_msb 1                        ;  msbs: dst=0 src0=1 src1=0 src2=0
	v_mul_i32_i24_e32 v97, v108 /*v364*/, v127
	v_mul_i32_i24_e32 v99, v52 /*v308*/, v206
	v_pk_fma_f32 v[40:41], v[104:105] /*v[360:361]*/, v[116:117], v[40:41]
	s_set_vgpr_msb 0                        ;  msbs: dst=0 src0=0 src1=0 src2=0
	v_cvt_f32_i32_e32 v119, v91
	s_set_vgpr_msb 1                        ;  msbs: dst=0 src0=1 src1=0 src2=0
	v_mul_i32_i24_e32 v91, v51 /*v307*/, v127
	v_add3_u32 v97, v131 /*v387*/, v103, v97
	s_set_vgpr_msb 0                        ;  msbs: dst=0 src0=0 src1=0 src2=0
	v_pk_mul_f32 v[118:119], v[104:105], v[118:119] op_sel_hi:[0,1]
	s_set_vgpr_msb 1                        ;  msbs: dst=0 src0=1 src1=0 src2=0
	v_add3_u32 v91, v130 /*v386*/, v99, v91
	s_set_vgpr_msb 4                        ;  msbs: dst=0 src0=0 src1=1 src2=0
	v_mul_i32_i24_e32 v99, v185, v141 /*v397*/
	s_set_vgpr_msb 0                        ;  msbs: dst=0 src0=0 src1=0 src2=0
	v_pk_fma_f32 v[110:111], v[2:3], v[110:111], v[118:119] op_sel_hi:[0,1,1] neg_lo:[0,0,1] neg_hi:[0,0,1]
	v_cvt_f32_i32_e32 v119, v91
	v_cvt_f32_i32_e32 v118, v97
	s_delay_alu instid0(VALU_DEP_3) | instskip(NEXT) | instid1(VALU_DEP_2)
	v_pk_fma_f32 v[82:83], v[92:93], v[110:111], v[82:83]
	v_pk_mul_f32 v[118:119], v[94:95], v[118:119] op_sel_hi:[0,1]
	s_delay_alu instid0(VALU_DEP_1) | instskip(NEXT) | instid1(VALU_DEP_1)
	v_pk_fma_f32 v[0:1], v[90:91], v[0:1], v[118:119] op_sel_hi:[0,1,1] neg_lo:[0,0,1] neg_hi:[0,0,1]
	v_pk_fma_f32 v[80:81], v[92:93], v[0:1], v[80:81]
	s_set_vgpr_msb 1                        ;  msbs: dst=0 src0=1 src1=0 src2=0
	v_mul_i32_i24_e32 v0, v68 /*v324*/, v127
	v_mul_i32_i24_e32 v1, v69 /*v325*/, v206
	s_delay_alu instid0(VALU_DEP_1) | instskip(SKIP_2) | instid1(VALU_DEP_2)
	v_add3_u32 v0, v75 /*v331*/, v1, v0
	s_set_vgpr_msb 0                        ;  msbs: dst=0 src0=0 src1=0 src2=0
	v_mov_b32_e32 v1, v105
	v_cvt_f32_i32_e32 v97, v0
	v_mov_b32_e32 v0, v3
	s_delay_alu instid0(VALU_DEP_1) | instskip(NEXT) | instid1(VALU_DEP_1)
	v_pk_mul_f32 v[90:91], v[0:1], v[96:97]
	v_sub_f32_e32 v90, v90, v91
	s_set_vgpr_msb 1                        ;  msbs: dst=0 src0=1 src1=0 src2=0
	v_mul_i32_i24_e32 v91, v69 /*v325*/, v205
	s_set_vgpr_msb 0                        ;  msbs: dst=0 src0=0 src1=0 src2=0
	s_delay_alu instid0(VALU_DEP_2) | instskip(SKIP_2) | instid1(VALU_DEP_1)
	v_mul_f32_e32 v113, v95, v90
	s_set_vgpr_msb 1                        ;  msbs: dst=0 src0=1 src1=0 src2=0
	v_mul_i32_i24_e32 v90, v68 /*v324*/, v121
	v_add3_u32 v90, v101 /*v357*/, v91, v90
	s_set_vgpr_msb 0                        ;  msbs: dst=0 src0=0 src1=0 src2=0
	v_mov_b32_e32 v91, v104
	s_delay_alu instid0(VALU_DEP_2) | instskip(SKIP_2) | instid1(VALU_DEP_2)
	v_cvt_f32_i32_e32 v109, v90
	v_mov_b32_e32 v90, v2
	v_pk_add_f32 v[56:57], v[56:57], v[112:113]
	v_pk_mul_f32 v[92:93], v[90:91], v[108:109]
	s_delay_alu instid0(VALU_DEP_1) | instskip(SKIP_3) | instid1(VALU_DEP_2)
	v_sub_f32_e32 v2, v92, v93
	s_set_vgpr_msb 1                        ;  msbs: dst=0 src0=1 src1=0 src2=0
	v_mul_i32_i24_e32 v92, v82 /*v338*/, v206
	s_set_vgpr_msb 0                        ;  msbs: dst=0 src0=0 src1=0 src2=0
	v_mul_f32_e32 v93, v95, v2
	s_set_vgpr_msb 1                        ;  msbs: dst=0 src0=1 src1=0 src2=0
	v_mul_i32_i24_e32 v2, v81 /*v337*/, v127
	s_delay_alu instid0(VALU_DEP_1) | instskip(SKIP_2) | instid1(VALU_DEP_2)
	v_add3_u32 v2, v91 /*v347*/, v92, v2
	v_mul_i32_i24_e32 v92, v82 /*v338*/, v205
	s_set_vgpr_msb 0                        ;  msbs: dst=0 src0=0 src1=0 src2=0
	v_cvt_f32_i32_e32 v103, v2
	s_delay_alu instid0(VALU_DEP_1) | instskip(NEXT) | instid1(VALU_DEP_1)
	v_pk_mul_f32 v[94:95], v[0:1], v[102:103]
	v_sub_f32_e32 v2, v94, v95
	s_set_vgpr_msb 1                        ;  msbs: dst=0 src0=1 src1=0 src2=0
	s_delay_alu instid0(VALU_DEP_1) | instskip(SKIP_1) | instid1(VALU_DEP_1)
	v_mul_f32_e32 v94, v76 /*v332*/, v2
	v_mul_i32_i24_e32 v2, v81 /*v337*/, v121
	v_add3_u32 v2, v106 /*v362*/, v92, v2
	v_mul_i32_i24_e32 v92, v136 /*v392*/, v206
	s_set_vgpr_msb 0                        ;  msbs: dst=0 src0=0 src1=0 src2=0
	s_delay_alu instid0(VALU_DEP_2) | instskip(NEXT) | instid1(VALU_DEP_1)
	v_cvt_f32_i32_e32 v107, v2
	v_pk_mul_f32 v[96:97], v[90:91], v[106:107]
	s_delay_alu instid0(VALU_DEP_1) | instskip(SKIP_1) | instid1(VALU_DEP_1)
	v_sub_f32_e32 v2, v96, v97
	s_set_vgpr_msb 1                        ;  msbs: dst=0 src0=1 src1=0 src2=0
	v_mul_f32_e32 v96, v76 /*v332*/, v2
	v_mul_i32_i24_e32 v2, v135 /*v391*/, v127
	s_delay_alu instid0(VALU_DEP_1) | instskip(SKIP_2) | instid1(VALU_DEP_2)
	v_add3_u32 v2, v147 /*v403*/, v92, v2
	v_mul_i32_i24_e32 v92, v136 /*v392*/, v205
	s_set_vgpr_msb 0                        ;  msbs: dst=0 src0=0 src1=0 src2=0
	v_cvt_f32_i32_e32 v123, v2
	s_delay_alu instid0(VALU_DEP_1) | instskip(NEXT) | instid1(VALU_DEP_1)
	v_pk_mul_f32 v[102:103], v[0:1], v[122:123]
	v_sub_f32_e32 v2, v102, v103
	s_set_vgpr_msb 4                        ;  msbs: dst=0 src0=0 src1=1 src2=0
	v_mul_i32_i24_e32 v102, v203, v113 /*v369*/
	s_set_vgpr_msb 1                        ;  msbs: dst=0 src0=1 src1=0 src2=0
	s_delay_alu instid0(VALU_DEP_2) | instskip(SKIP_2) | instid1(VALU_DEP_2)
	v_mul_f32_e32 v95, v89 /*v345*/, v2
	v_mul_i32_i24_e32 v2, v135 /*v391*/, v121
	s_set_vgpr_msb 0                        ;  msbs: dst=0 src0=0 src1=0 src2=0
	v_pk_add_f32 v[66:67], v[66:67], v[94:95]
	s_set_vgpr_msb 1                        ;  msbs: dst=0 src0=1 src1=0 src2=0
	s_delay_alu instid0(VALU_DEP_2) | instskip(SKIP_2) | instid1(VALU_DEP_2)
	v_add3_u32 v2, v109 /*v365*/, v92, v2
	v_mul_i32_i24_e32 v92, v157 /*v413*/, v206
	s_set_vgpr_msb 0                        ;  msbs: dst=0 src0=0 src1=0 src2=0
	v_cvt_f32_i32_e32 v125, v2
	s_delay_alu instid0(VALU_DEP_1) | instskip(NEXT) | instid1(VALU_DEP_1)
	v_pk_mul_f32 v[94:95], v[90:91], v[124:125]
	v_dual_sub_f32 v2, v94, v95 :: v_dual_mov_b32 v95, v100
	s_set_vgpr_msb 4                        ;  msbs: dst=0 src0=0 src1=1 src2=0
	v_mul_i32_i24_e32 v100, v186, v142 /*v398*/
	s_set_vgpr_msb 1                        ;  msbs: dst=0 src0=1 src1=0 src2=0
	s_delay_alu instid0(VALU_DEP_2) | instskip(SKIP_2) | instid1(VALU_DEP_2)
	v_mul_f32_e32 v97, v89 /*v345*/, v2
	v_mul_i32_i24_e32 v2, v156 /*v412*/, v127
	s_set_vgpr_msb 0                        ;  msbs: dst=0 src0=0 src1=0 src2=0
	v_pk_add_f32 v[70:71], v[70:71], v[96:97]
	s_set_vgpr_msb 1                        ;  msbs: dst=0 src0=1 src1=0 src2=0
	s_delay_alu instid0(VALU_DEP_2)
	v_add3_u32 v2, v168 /*v424*/, v92, v2
	s_set_vgpr_msb 4                        ;  msbs: dst=0 src0=0 src1=1 src2=0
	v_mul_i32_i24_e32 v96, v182, v139 /*v395*/
	v_mul_i32_i24_e32 v97, v183, v86 /*v342*/
	s_set_vgpr_msb 64                       ;  msbs: dst=1 src0=0 src1=0 src2=0
	v_cvt_f32_i32_e32 v81 /*v337*/, v2
	s_set_vgpr_msb 4                        ;  msbs: dst=0 src0=0 src1=1 src2=0
	v_mul_i32_i24_e32 v2, v127, v49 /*v305*/
	s_delay_alu instid0(VALU_DEP_2) | instskip(SKIP_1) | instid1(VALU_DEP_1)
	v_pk_mul_f32 v[0:1], v[0:1], v[80:81] /*v[336:337]*/
	s_set_vgpr_msb 0                        ;  msbs: dst=0 src0=0 src1=0 src2=0
	v_sub_f32_e32 v0, v0, v1
	s_set_vgpr_msb 1                        ;  msbs: dst=0 src0=1 src1=0 src2=0
	v_mul_i32_i24_e32 v1, v157 /*v413*/, v205
	s_delay_alu instid0(VALU_DEP_2) | instskip(SKIP_1) | instid1(VALU_DEP_1)
	v_mul_f32_e32 v92, v118 /*v374*/, v0
	v_mul_i32_i24_e32 v0, v156 /*v412*/, v121
	v_add3_u32 v0, v119 /*v375*/, v1, v0
	s_set_vgpr_msb 64                       ;  msbs: dst=1 src0=0 src1=0 src2=0
	s_delay_alu instid0(VALU_DEP_1) | instskip(SKIP_1) | instid1(VALU_DEP_1)
	v_cvt_f32_i32_e32 v89 /*v345*/, v0
	s_set_vgpr_msb 4                        ;  msbs: dst=0 src0=0 src1=1 src2=0
	v_pk_mul_f32 v[0:1], v[90:91], v[88:89] /*v[344:345]*/
	s_set_vgpr_msb 0                        ;  msbs: dst=0 src0=0 src1=0 src2=0
	s_delay_alu instid0(VALU_DEP_1) | instskip(SKIP_3) | instid1(VALU_DEP_2)
	v_sub_f32_e32 v0, v0, v1
	s_set_vgpr_msb 5                        ;  msbs: dst=0 src0=1 src1=1 src2=0
	v_mul_i32_i24_e32 v1, v162 /*v418*/, v99 /*v355*/
	s_set_vgpr_msb 1                        ;  msbs: dst=0 src0=1 src1=0 src2=0
	v_mul_f32_e32 v0, v118 /*v374*/, v0
	s_set_vgpr_msb 0                        ;  msbs: dst=0 src0=0 src1=0 src2=0
	v_pk_add_f32 v[60:61], v[60:61], v[92:93]
	s_set_vgpr_msb 5                        ;  msbs: dst=0 src0=1 src1=1 src2=0
	v_mul_i32_i24_e32 v92, v163 /*v419*/, v100 /*v356*/
	s_set_vgpr_msb 4                        ;  msbs: dst=0 src0=0 src1=1 src2=0
	v_mul_i32_i24_e32 v93, v206, v50 /*v306*/
	s_set_vgpr_msb 0                        ;  msbs: dst=0 src0=0 src1=0 src2=0
	s_delay_alu instid0(VALU_DEP_2) | instskip(NEXT) | instid1(VALU_DEP_2)
	v_add3_u32 v1, v101, v92, v1
	v_add3_u32 v94, v120, v93, v2
	v_dual_mov_b32 v2, v3 :: v_dual_mov_b32 v3, v98
	s_set_vgpr_msb 4                        ;  msbs: dst=0 src0=0 src1=1 src2=0
	v_mul_i32_i24_e32 v98, v184, v140 /*v396*/
	v_cvt_f32_i32_e32 v93, v1
	v_cvt_f32_i32_e32 v92, v94
	v_mov_b32_e32 v94, v105
	v_mul_i32_i24_e32 v1, v173, v114 /*v370*/
	v_mul_i32_i24_e32 v101, v188, v87 /*v343*/
	s_set_vgpr_msb 0                        ;  msbs: dst=0 src0=0 src1=0 src2=0
	s_delay_alu instid0(VALU_DEP_3)
	v_pk_mul_f32 v[92:93], v[94:95], v[92:93]
	s_set_vgpr_msb 4                        ;  msbs: dst=0 src0=0 src1=1 src2=0
	v_mad_i32_i24 v1, v172, v115 /*v371*/, v1
	v_mul_i32_i24_e32 v94, v180, v137 /*v393*/
	v_mul_i32_i24_e32 v95, v181, v138 /*v394*/
	s_set_vgpr_msb 0                        ;  msbs: dst=0 src0=0 src1=0 src2=0
	v_pk_fma_f32 v[2:3], v[2:3], v[114:115], v[92:93] neg_lo:[0,0,1] neg_hi:[0,0,1]
	s_set_vgpr_msb 4                        ;  msbs: dst=0 src0=0 src1=1 src2=0
	v_mul_i32_i24_e32 v92, v178, v123 /*v379*/
	v_mul_i32_i24_e32 v93, v179, v85 /*v341*/
	s_set_vgpr_msb 1                        ;  msbs: dst=0 src0=1 src1=0 src2=0
	v_pk_fma_f32 v[38:39], v[104:105] /*v[360:361]*/, v[2:3], v[38:39]
	s_set_vgpr_msb 4                        ;  msbs: dst=0 src0=0 src1=1 src2=0
	v_mul_i32_i24_e32 v2, v176, v120 /*v376*/
	v_mul_i32_i24_e32 v3, v174, v84 /*v340*/
	s_set_vgpr_msb 0                        ;  msbs: dst=0 src0=0 src1=0 src2=0
	s_delay_alu instid0(VALU_DEP_1) | instskip(SKIP_4) | instid1(VALU_DEP_1)
	v_add3_u32 v1, v1, v2, v3
	s_set_vgpr_msb 4                        ;  msbs: dst=0 src0=0 src1=1 src2=0
	v_mul_i32_i24_e32 v2, v175, v121 /*v377*/
	v_mul_i32_i24_e32 v3, v177, v122 /*v378*/
	s_set_vgpr_msb 0                        ;  msbs: dst=0 src0=0 src1=0 src2=0
	v_add3_u32 v1, v1, v2, v3
	s_set_vgpr_msb 4                        ;  msbs: dst=0 src0=0 src1=1 src2=0
	v_mul_i32_i24_e32 v2, v189, v146 /*v402*/
	v_mul_i32_i24_e32 v3, v190, v149 /*v405*/
	s_set_vgpr_msb 0                        ;  msbs: dst=0 src0=0 src1=0 src2=0
	v_add3_u32 v1, v1, v92, v93
	s_set_vgpr_msb 4                        ;  msbs: dst=0 src0=0 src1=1 src2=0
	v_mul_i32_i24_e32 v92, v191, v110 /*v366*/
	v_mad_i32_i24 v2, v187, v148 /*v404*/, v2
	v_mul_i32_i24_e32 v93, v194, v152 /*v408*/
	s_set_vgpr_msb 0                        ;  msbs: dst=0 src0=0 src1=0 src2=0
	v_add3_u32 v1, v1, v94, v95
	s_set_vgpr_msb 4                        ;  msbs: dst=0 src0=0 src1=1 src2=0
	v_mul_i32_i24_e32 v94, v195, v111 /*v367*/
	s_set_vgpr_msb 0                        ;  msbs: dst=0 src0=0 src1=0 src2=0
	v_add3_u32 v2, v2, v3, v92
	s_set_vgpr_msb 4                        ;  msbs: dst=0 src0=0 src1=1 src2=0
	v_mul_i32_i24_e32 v3, v192, v150 /*v406*/
	v_mul_i32_i24_e32 v92, v193, v151 /*v407*/
	s_set_vgpr_msb 0                        ;  msbs: dst=0 src0=0 src1=0 src2=0
	v_add3_u32 v1, v1, v96, v97
	s_set_vgpr_msb 4                        ;  msbs: dst=0 src0=0 src1=1 src2=0
	v_mul_i32_i24_e32 v95, v196, v153 /*v409*/
	v_mul_i32_i24_e32 v96, v197, v154 /*v410*/
	;; [unrolled: 1-line block ×3, first 2 shown]
	s_set_vgpr_msb 0                        ;  msbs: dst=0 src0=0 src1=0 src2=0
	v_add3_u32 v2, v2, v3, v92
	v_add3_u32 v1, v1, v98, v99
	s_set_vgpr_msb 4                        ;  msbs: dst=0 src0=0 src1=1 src2=0
	v_mul_i32_i24_e32 v98, v199, v112 /*v368*/
	v_mul_i32_i24_e32 v99, v200, v158 /*v414*/
	s_set_vgpr_msb 5                        ;  msbs: dst=0 src0=1 src1=1 src2=0
	v_mul_i32_i24_e32 v92, v164 /*v420*/, v128 /*v384*/
	s_set_vgpr_msb 0                        ;  msbs: dst=0 src0=0 src1=0 src2=0
	v_add3_u32 v2, v2, v93, v94
	v_add3_u32 v1, v1, v100, v101
	s_set_vgpr_msb 4                        ;  msbs: dst=0 src0=0 src1=1 src2=0
	v_mul_i32_i24_e32 v100, v201, v159 /*v415*/
	v_mul_i32_i24_e32 v101, v202, v160 /*v416*/
	s_set_vgpr_msb 5                        ;  msbs: dst=0 src0=1 src1=1 src2=0
	v_mul_i32_i24_e32 v94, v169 /*v425*/, v126 /*v382*/
	s_set_vgpr_msb 0                        ;  msbs: dst=0 src0=0 src1=0 src2=0
	v_add3_u32 v2, v2, v95, v96
	s_set_vgpr_msb 5                        ;  msbs: dst=0 src0=1 src1=1 src2=0
	v_mul_i32_i24_e32 v95, v170 /*v426*/, v125 /*v381*/
	v_mul_i32_i24_e32 v96, v171 /*v427*/, v124 /*v380*/
	s_set_vgpr_msb 4                        ;  msbs: dst=0 src0=0 src1=1 src2=0
	v_mul_lo_u32 v1, v1, v134 /*v390*/
	s_set_vgpr_msb 1                        ;  msbs: dst=0 src0=1 src1=0 src2=0
	v_mul_i32_i24_e32 v3, v163 /*v419*/, v205
	s_set_vgpr_msb 0                        ;  msbs: dst=0 src0=0 src1=0 src2=0
	v_add3_u32 v2, v2, v97, v98
	s_set_vgpr_msb 5                        ;  msbs: dst=0 src0=1 src1=1 src2=0
	v_mul_i32_i24_e32 v97, v172 /*v428*/, v77 /*v333*/
	v_mul_i32_i24_e32 v93, v167 /*v423*/, v129 /*v385*/
	s_set_vgpr_msb 0                        ;  msbs: dst=0 src0=0 src1=0 src2=0
	v_add3_u32 v2, v2, v99, v100
	s_delay_alu instid0(VALU_DEP_3) | instskip(NEXT) | instid1(VALU_DEP_2)
	v_add3_u32 v95, v96, v97, v95
	v_add3_u32 v2, v2, v101, v102
	s_delay_alu instid0(VALU_DEP_2) | instskip(SKIP_1) | instid1(VALU_DEP_2)
	v_add3_u32 v92, v95, v94, v92
	s_set_vgpr_msb 4                        ;  msbs: dst=0 src0=0 src1=1 src2=0
	v_mad_u32 v1, v2, v143 /*v399*/, v1
	s_set_vgpr_msb 0                        ;  msbs: dst=0 src0=0 src1=0 src2=0
	s_delay_alu instid0(VALU_DEP_2) | instskip(SKIP_1) | instid1(VALU_DEP_1)
	v_add3_u32 v3, v92, v93, v3
	s_set_vgpr_msb 1                        ;  msbs: dst=0 src0=1 src1=0 src2=0
	v_mad_i32_i24 v3, v162 /*v418*/, v121, v3
	s_set_vgpr_msb 0                        ;  msbs: dst=0 src0=0 src1=0 src2=0
	s_delay_alu instid0(VALU_DEP_1) | instskip(NEXT) | instid1(VALU_DEP_4)
	v_cvt_f32_i32_e32 v3, v3
	v_cvt_f32_i32_e32 v2, v1
	s_delay_alu instid0(VALU_DEP_1) | instskip(NEXT) | instid1(VALU_DEP_1)
	v_pk_mul_f32 v[2:3], v[90:91], v[2:3]
	v_sub_f32_e32 v1, v2, v3
	s_set_vgpr_msb 1                        ;  msbs: dst=0 src0=1 src1=0 src2=0
	s_delay_alu instid0(VALU_DEP_1) | instskip(SKIP_1) | instid1(VALU_DEP_1)
	v_mul_f32_e32 v1, v105 /*v361*/, v1
	s_set_vgpr_msb 0                        ;  msbs: dst=0 src0=0 src1=0 src2=0
	v_pk_add_f32 v[52:53], v[52:53], v[0:1]
	s_cbranch_scc1 .LBB147_10
; %bb.11:                               ;   in Loop: Header=BB147_8 Depth=2
	v_lshl_add_u32 v0, s16, 5, v9
	v_lshl_add_u32 v1, s16, 2, v171
	s_barrier_signal -1
	s_barrier_wait -1
	s_delay_alu instid0(VALU_DEP_2) | instskip(SKIP_1) | instid1(SALU_CYCLE_1)
	v_lshrrev_b32_e32 v0, 3, v0
	s_add_co_i32 s12, s12, 2
	s_lshl_b32 s16, s12, 3
	s_delay_alu instid0(VALU_DEP_1) | instskip(SKIP_1) | instid1(VALU_DEP_2)
	v_add_nc_u32_e32 v2, s5, v0
	v_mad_nc_u64_u32 v[0:1], v1, 36, s[2:3]
	v_dual_add_nc_u32 v3, v2, v47 :: v_dual_add_nc_u32 v96, v2, v33
	v_add_nc_u32_e32 v90, v2, v25
	v_dual_add_nc_u32 v92, v2, v29 :: v_dual_add_nc_u32 v94, v2, v31
	v_dual_add_nc_u32 v98, v2, v35 :: v_dual_add_nc_u32 v102, v2, v45
	v_add_nc_u32_e32 v100, v2, v43
	v_mad_nc_i64_i32 v[2:3], v3, 36, v[26:27]
	v_mad_nc_i64_i32 v[90:91], v90, 36, v[26:27]
	;; [unrolled: 1-line block ×8, first 2 shown]
	s_clause 0x8
	global_load_b32 v104, v[0:1], off
	global_load_b32 v105, v[2:3], off offset:4
	global_load_b32 v106, v[90:91], off offset:4
	;; [unrolled: 1-line block ×8, first 2 shown]
	s_wait_loadcnt 0x8
	s_wait_xcnt 0x8
	v_cvt_f32_f16_e32 v0, v104
	s_wait_loadcnt 0x7
	ds_store_b32 v142, v105
	s_wait_loadcnt 0x6
	ds_store_b32 v135, v106
	;; [unrolled: 2-line block ×8, first 2 shown]
	ds_store_b32 v23, v0
	s_wait_dscnt 0x0
	s_barrier_signal -1
	s_barrier_wait -1
.LBB147_12:                             ;   Parent Loop BB147_6 Depth=1
                                        ;     Parent Loop BB147_8 Depth=2
                                        ; =>    This Inner Loop Header: Depth=3
	s_lshl_b32 s17, s13, 2
	s_and_b32 s18, s13, 6
	s_and_b32 s17, s17, 24
	s_and_b32 s19, s13, 0x3ffffff8
	v_or_b32_e32 v0, s17, v166
	v_lshl_add_u32 v172, s19, 2, v167
	s_and_b32 s20, s13, 0x7ffffffe
	s_delay_alu instid0(SALU_CYCLE_1) | instskip(NEXT) | instid1(VALU_DEP_2)
	s_add_co_i32 s19, s20, 0x6200
	v_dual_lshlrev_b32 v1, 2, v0 :: v_dual_lshrrev_b32 v0, 1, v0
	s_lshr_b32 s20, s13, 2
	s_set_vgpr_msb 64                       ;  msbs: dst=1 src0=0 src1=0 src2=0
	v_add3_u32 v51 /*v307*/, s19, v145, v168
	s_and_b32 s20, s20, 0x3ffffffc
	s_set_vgpr_msb 0                        ;  msbs: dst=0 src0=0 src1=0 src2=0
	ds_load_b32 v91, v0 offset:30368
	ds_load_b128 v[92:95], v1 offset:16896
	ds_load_b128 v[0:3], v1 offset:16912
	s_addk_co_i32 s20, 0x7280
	s_set_vgpr_msb 64                       ;  msbs: dst=1 src0=0 src1=0 src2=0
	v_add3_u32 v65 /*v321*/, s19, v148, v133
	v_add3_u32 v77 /*v333*/, s19, v150, v143
	s_add_co_i32 s13, s13, 2
	s_delay_alu instid0(SALU_CYCLE_1)
	s_cmp_lt_u32 s13, s16
	s_wait_dscnt 0x1
	s_set_vgpr_msb 0                        ;  msbs: dst=0 src0=0 src1=0 src2=0
	v_bfe_i32 v113, v95, 0, 8
	v_bfe_i32 v114, v95, 8, 8
	;; [unrolled: 1-line block ×3, first 2 shown]
	s_wait_dscnt 0x0
	v_dual_ashrrev_i32 v97, 24, v95 :: v_dual_ashrrev_i32 v120, 24, v0
	v_bfe_i32 v95, v0, 0, 8
	v_bfe_i32 v193, v1, 0, 8
	;; [unrolled: 1-line block ×7, first 2 shown]
	v_add_nc_u32_e32 v0, v193, v95
	v_bfe_i32 v90, v92, 0, 8
	v_bfe_i32 v96, v92, 8, 8
	;; [unrolled: 1-line block ×3, first 2 shown]
	v_ashrrev_i32_e32 v92, 24, v92
	v_bfe_i32 v99, v93, 0, 8
	v_bfe_i32 v101, v93, 8, 8
	;; [unrolled: 1-line block ×3, first 2 shown]
	v_dual_ashrrev_i32 v93, 24, v93 :: v_dual_ashrrev_i32 v112, 24, v94
	v_bfe_i32 v198, v2, 8, 8
	v_bfe_i32 v202, v3, 8, 8
	v_add3_u32 v108, v0, v197, v201
	v_add_nc_u32_e32 v0, v194, v117
	v_bfe_i32 v107, v94, 16, 8
	v_bfe_i32 v106, v94, 8, 8
	;; [unrolled: 1-line block ×4, first 2 shown]
	v_add3_u32 v103, v0, v198, v202
	v_dual_add_nc_u32 v0, v93, v92 :: v_dual_ashrrev_i32 v196, 24, v1
	v_add3_u32 v94, s20, v170, v169
	s_set_vgpr_msb 64                       ;  msbs: dst=1 src0=0 src1=0 src2=0
	v_bfe_i32 v50 /*v306*/, v2, 16, 8
	s_set_vgpr_msb 0                        ;  msbs: dst=0 src0=0 src1=0 src2=0
	v_ashrrev_i32_e32 v2, 24, v2
	v_add3_u32 v110, v0, v112, v97
	v_add_nc_u32_e32 v0, v104, v98
	ds_load_b32 v94, v94
	s_set_vgpr_msb 64                       ;  msbs: dst=1 src0=0 src1=0 src2=0
	v_dual_add_nc_u32 v49 /*v305*/, v196, v120 :: v_dual_add_nc_u32 v60 /*v316*/, v195, v118
	v_bfe_i32 v59 /*v315*/, v3, 16, 8
	s_set_vgpr_msb 0                        ;  msbs: dst=0 src0=0 src1=0 src2=0
	v_add3_u32 v111, v0, v107, v115
	v_add_nc_u32_e32 v0, v101, v96
	s_delay_alu instid0(VALU_DEP_1) | instskip(SKIP_1) | instid1(VALU_DEP_1)
	v_add3_u32 v122, v0, v106, v114
	v_add_nc_u32_e32 v0, v99, v90
	v_add3_u32 v124, v0, v105, v113
	ds_load_2addr_b32 v[0:1], v172 offset1:1
	s_wait_dscnt 0x0
	v_dual_ashrrev_i32 v100, s18, v0 :: v_dual_ashrrev_i32 v102, s18, v1
	ds_load_2addr_b32 v[0:1], v172 offset0:2 offset1:3
	v_and_b32_e32 v222, 3, v102
	v_bfe_u32 v225, v102, 8, 2
	v_bfe_u32 v226, v102, 16, 2
	;; [unrolled: 1-line block ×3, first 2 shown]
	s_delay_alu instid0(VALU_DEP_4) | instskip(NEXT) | instid1(VALU_DEP_3)
	v_mul_i32_i24_e32 v175, v222, v99
	v_mul_i32_i24_e32 v176, v226, v104
	s_delay_alu instid0(VALU_DEP_3) | instskip(NEXT) | instid1(VALU_DEP_3)
	v_mul_i32_i24_e32 v102, v228, v93
	v_mad_i32_i24 v175, v225, v101, v175
	s_delay_alu instid0(VALU_DEP_1)
	v_add3_u32 v102, v175, v176, v102
	s_wait_dscnt 0x0
	v_dual_ashrrev_i32 v109, s18, v0 :: v_dual_ashrrev_i32 v116, s18, v1
	ds_load_2addr_b32 v[0:1], v172 offset0:4 offset1:5
	v_and_b32_e32 v121, 3, v100
	v_bfe_u32 v119, v100, 8, 2
	v_and_b32_e32 v230, 3, v109
	v_bfe_u32 v224, v100, 16, 2
	v_bfe_u32 v127, v100, 24, 2
	v_mul_i32_i24_e32 v173, v90, v121
	v_mul_i32_i24_e32 v126, v96, v119
	;; [unrolled: 1-line block ×4, first 2 shown]
	v_bfe_u32 v232, v109, 8, 2
	v_mul_i32_i24_e32 v100, v92, v127
	v_bfe_u32 v234, v109, 16, 2
	v_add3_u32 v102, v102, v177, v173
	v_bfe_u32 v236, v109, 24, 2
	v_mul_i32_i24_e32 v178, v232, v106
	v_and_b32_e32 v239, 3, v116
	v_mul_i32_i24_e32 v179, v234, v107
	v_add3_u32 v102, v102, v126, v174
	v_mul_i32_i24_e32 v109, v236, v112
	s_wait_dscnt 0x0
	v_dual_ashrrev_i32 v123, s18, v0 :: v_dual_ashrrev_i32 v125, s18, v1
	ds_load_2addr_b32 v[0:1], v172 offset0:6 offset1:7
	v_bfe_u32 v241, v116, 8, 2
	v_add3_u32 v100, v102, v100, v178
	v_mul_i32_i24_e32 v180, v239, v113
	s_set_vgpr_msb 64                       ;  msbs: dst=1 src0=0 src1=0 src2=0
	v_and_b32_e32 v6 /*v262*/, 3, v125
	v_bfe_u32 v9 /*v265*/, v125, 8, 2
	s_set_vgpr_msb 0                        ;  msbs: dst=0 src0=0 src1=0 src2=0
	v_mul_i32_i24_e32 v181, v241, v114
	v_add3_u32 v100, v100, v179, v109
	s_set_vgpr_msb 64                       ;  msbs: dst=1 src0=0 src1=0 src2=0
	v_bfe_u32 v11 /*v267*/, v125, 16, 2
	v_bfe_u32 v13 /*v269*/, v125, 24, 2
	s_set_vgpr_msb 0                        ;  msbs: dst=0 src0=0 src1=0 src2=0
	v_bfe_u32 v244, v116, 16, 2
	v_bfe_u32 v116, v116, 24, 2
	s_set_vgpr_msb 64                       ;  msbs: dst=1 src0=0 src1=0 src2=0
	v_add3_u32 v62 /*v318*/, v100, v180, v181
	s_set_vgpr_msb 1                        ;  msbs: dst=0 src0=1 src1=0 src2=0
	v_mul_i32_i24_e32 v125, v13 /*v269*/, v196
	s_set_vgpr_msb 64                       ;  msbs: dst=1 src0=0 src1=0 src2=0
	v_mul_i32_i24_e32 v61 /*v317*/, v244, v115
	s_wait_dscnt 0x0
	s_set_vgpr_msb 0                        ;  msbs: dst=0 src0=0 src1=0 src2=0
	v_dual_ashrrev_i32 v0, s18, v0 :: v_dual_bitop2_b32 v255, 3, v123 bitop3:0x40
	v_bfe_u32 v251, v123, 8, 2
	s_set_vgpr_msb 64                       ;  msbs: dst=1 src0=0 src1=0 src2=0
	v_bfe_u32 v2 /*v258*/, v123, 16, 2
	v_bfe_u32 v4 /*v260*/, v123, 24, 2
	s_set_vgpr_msb 0                        ;  msbs: dst=0 src0=0 src1=0 src2=0
	v_ashrrev_i32_e32 v1, s18, v1
	v_mul_i32_i24_e32 v100, v255, v95
	s_set_vgpr_msb 1                        ;  msbs: dst=0 src0=1 src1=0 src2=0
	v_mul_i32_i24_e32 v123, v11 /*v267*/, v195
	v_mul_i32_i24_e32 v102, v2 /*v258*/, v118
	;; [unrolled: 1-line block ×3, first 2 shown]
	s_set_vgpr_msb 64                       ;  msbs: dst=1 src0=0 src1=0 src2=0
	v_and_b32_e32 v15 /*v271*/, 3, v0
	s_set_vgpr_msb 0                        ;  msbs: dst=0 src0=0 src1=0 src2=0
	v_mad_i32_i24 v100, v251, v117, v100
	s_set_vgpr_msb 64                       ;  msbs: dst=1 src0=0 src1=0 src2=0
	v_bfe_u32 v16 /*v272*/, v0, 8, 2
	v_and_b32_e32 v21 /*v277*/, 3, v1
	v_bfe_u32 v22 /*v278*/, v1, 8, 2
	v_bfe_u32 v24 /*v280*/, v1, 16, 2
	s_set_vgpr_msb 0                        ;  msbs: dst=0 src0=0 src1=0 src2=0
	v_add3_u32 v100, v100, v102, v109
	s_set_vgpr_msb 1                        ;  msbs: dst=0 src0=1 src1=0 src2=0
	v_mul_i32_i24_e32 v102, v6 /*v262*/, v193
	v_mul_i32_i24_e32 v109, v9 /*v265*/, v194
	s_set_vgpr_msb 0                        ;  msbs: dst=0 src0=0 src1=0 src2=0
	v_bfe_u32 v246, v1, 24, 2
	s_set_vgpr_msb 1                        ;  msbs: dst=0 src0=1 src1=0 src2=0
	v_mul_i32_i24_e32 v126, v15 /*v271*/, v197
	v_mul_i32_i24_e32 v173, v16 /*v272*/, v198
	s_set_vgpr_msb 64                       ;  msbs: dst=1 src0=0 src1=0 src2=0
	v_bfe_u32 v17 /*v273*/, v0, 16, 2
	s_set_vgpr_msb 0                        ;  msbs: dst=0 src0=0 src1=0 src2=0
	v_add3_u32 v1, v100, v102, v109
	s_set_vgpr_msb 64                       ;  msbs: dst=1 src0=0 src1=0 src2=0
	v_bfe_u32 v19 /*v275*/, v0, 24, 2
	s_set_vgpr_msb 1                        ;  msbs: dst=0 src0=1 src1=0 src2=0
	v_mul_i32_i24_e32 v175, v21 /*v277*/, v201
	v_mul_i32_i24_e32 v176, v22 /*v278*/, v202
	s_set_vgpr_msb 5                        ;  msbs: dst=0 src0=1 src1=1 src2=0
	v_mul_i32_i24_e32 v174, v17 /*v273*/, v50 /*v306*/
	s_set_vgpr_msb 0                        ;  msbs: dst=0 src0=0 src1=0 src2=0
	v_add3_u32 v1, v1, v123, v125
	s_set_vgpr_msb 1                        ;  msbs: dst=0 src0=1 src1=0 src2=0
	v_mul_i32_i24_e32 v0, v19 /*v275*/, v2
	v_add3_u32 v100, s20, v147, v131
	s_set_vgpr_msb 0x45                     ;  msbs: dst=1 src0=1 src1=1 src2=0
	v_mul_i32_i24_e32 v63 /*v319*/, v24 /*v280*/, v59 /*v315*/
	s_set_vgpr_msb 0                        ;  msbs: dst=0 src0=0 src1=0 src2=0
	v_add3_u32 v102, s19, v146, v130
	v_add3_u32 v1, v1, v126, v173
	ds_load_b32 v100, v100
	v_add3_u32 v0, v1, v174, v0
	s_set_vgpr_msb 64                       ;  msbs: dst=1 src0=0 src1=0 src2=0
	s_delay_alu instid0(VALU_DEP_1)
	v_add3_u32 v64 /*v320*/, v0, v175, v176
	s_set_vgpr_msb 0                        ;  msbs: dst=0 src0=0 src1=0 src2=0
	v_add_nc_u32_e32 v0, 0x1080, v172
	ds_load_2addr_b32 v[0:1], v0 offset1:1
	s_wait_dscnt 0x0
	v_ashrrev_i32_e32 v109, s18, v0
	v_add_nc_u32_e32 v0, 0x1088, v172
	v_ashrrev_i32_e32 v126, s18, v1
	s_delay_alu instid0(VALU_DEP_3)
	v_and_b32_e32 v125, 3, v109
	ds_load_2addr_b32 v[0:1], v0 offset1:1
	v_bfe_u32 v207, v126, 8, 2
	v_bfe_u32 v208, v126, 16, 2
	;; [unrolled: 1-line block ×6, first 2 shown]
	v_mul_i32_i24_e32 v182, v208, v104
	v_mul_i32_i24_e32 v178, v90, v125
	;; [unrolled: 1-line block ×5, first 2 shown]
	v_and_b32_e32 v205, 3, v126
	v_mul_i32_i24_e32 v126, v210, v93
	s_delay_alu instid0(VALU_DEP_2) | instskip(SKIP_4) | instid1(VALU_DEP_3)
	v_mul_i32_i24_e32 v181, v205, v99
	s_wait_dscnt 0x0
	v_ashrrev_i32_e32 v173, s18, v0
	v_add_nc_u32_e32 v0, 0x1090, v172
	v_ashrrev_i32_e32 v174, s18, v1
	v_and_b32_e32 v211, 3, v173
	ds_load_2addr_b32 v[0:1], v0 offset1:1
	v_bfe_u32 v212, v173, 8, 2
	v_bfe_u32 v213, v173, 16, 2
	;; [unrolled: 1-line block ×3, first 2 shown]
	v_mul_i32_i24_e32 v183, v211, v105
	s_delay_alu instid0(VALU_DEP_4) | instskip(NEXT) | instid1(VALU_DEP_4)
	v_mul_i32_i24_e32 v184, v212, v106
	v_mul_i32_i24_e32 v185, v213, v107
	s_delay_alu instid0(VALU_DEP_4)
	v_mul_i32_i24_e32 v173, v214, v112
	s_wait_dscnt 0x0
	v_ashrrev_i32_e32 v175, s18, v0
	v_add_nc_u32_e32 v0, 0x1098, v172
	v_dual_ashrrev_i32 v176, s18, v1 :: v_dual_bitop2_b32 v215, 3, v174 bitop3:0x40
	v_bfe_u32 v216, v174, 8, 2
	v_bfe_u32 v217, v174, 16, 2
	ds_load_2addr_b32 v[0:1], v0 offset1:1
	v_bfe_u32 v109, v174, 24, 2
	v_mad_i32_i24 v174, v207, v101, v181
	v_mul_i32_i24_e32 v186, v215, v113
	v_mul_i32_i24_e32 v187, v216, v114
	v_and_b32_e32 v220, 3, v175
	v_bfe_u32 v219, v175, 8, 2
	v_add3_u32 v126, v174, v182, v126
	v_bfe_u32 v221, v175, 16, 2
	v_bfe_u32 v223, v175, 24, 2
	s_set_vgpr_msb 64                       ;  msbs: dst=1 src0=0 src1=0 src2=0
	v_mul_i32_i24_e32 v39 /*v295*/, v217, v115
	s_set_vgpr_msb 0                        ;  msbs: dst=0 src0=0 src1=0 src2=0
	v_add3_u32 v126, v126, v183, v178
	v_mul_i32_i24_e32 v174, v223, v120
	s_delay_alu instid0(VALU_DEP_2) | instskip(SKIP_2) | instid1(VALU_DEP_2)
	v_add3_u32 v126, v126, v177, v180
	s_wait_dscnt 0x0
	v_dual_ashrrev_i32 v1, s18, v1 :: v_dual_ashrrev_i32 v0, s18, v0
	v_add3_u32 v126, v126, v179, v184
	v_and_b32_e32 v227, 3, v176
	v_bfe_u32 v229, v176, 8, 2
	v_bfe_u32 v231, v176, 16, 2
	;; [unrolled: 1-line block ×3, first 2 shown]
	v_add3_u32 v126, v126, v185, v173
	v_mul_i32_i24_e32 v173, v221, v118
	v_and_b32_e32 v235, 3, v0
	v_mul_i32_i24_e32 v175, v231, v195
	v_mul_i32_i24_e32 v176, v233, v196
	s_set_vgpr_msb 64                       ;  msbs: dst=1 src0=0 src1=0 src2=0
	v_add3_u32 v41 /*v297*/, v126, v186, v187
	s_set_vgpr_msb 0                        ;  msbs: dst=0 src0=0 src1=0 src2=0
	v_mul_i32_i24_e32 v126, v220, v95
	v_bfe_u32 v237, v0, 8, 2
	v_and_b32_e32 v245, 3, v1
	v_bfe_u32 v247, v1, 8, 2
	v_bfe_u32 v249, v1, 16, 2
	v_mad_i32_i24 v126, v219, v117, v126
	v_bfe_u32 v218, v1, 24, 2
	v_mul_i32_i24_e32 v177, v235, v197
	v_mul_i32_i24_e32 v178, v237, v198
	v_bfe_u32 v240, v0, 16, 2
	v_add3_u32 v126, v126, v173, v174
	v_mul_i32_i24_e32 v173, v227, v193
	v_mul_i32_i24_e32 v174, v229, v194
	v_bfe_u32 v242, v0, 24, 2
	s_set_vgpr_msb 4                        ;  msbs: dst=0 src0=0 src1=1 src2=0
	v_mul_i32_i24_e32 v179, v240, v50 /*v306*/
	s_set_vgpr_msb 0                        ;  msbs: dst=0 src0=0 src1=0 src2=0
	v_mul_i32_i24_e32 v180, v245, v201
	v_mul_i32_i24_e32 v181, v247, v202
	v_add3_u32 v1, v126, v173, v174
	v_mul_i32_i24_e32 v0, v242, v2
	v_add3_u32 v126, s20, v149, v134
	s_set_vgpr_msb 0x44                     ;  msbs: dst=1 src0=0 src1=1 src2=0
	v_mul_i32_i24_e32 v45 /*v301*/, v249, v59 /*v315*/
	s_set_vgpr_msb 0                        ;  msbs: dst=0 src0=0 src1=0 src2=0
	v_add3_u32 v1, v1, v175, v176
	ds_load_b32 v126, v126
	v_add3_u32 v1, v1, v177, v178
	s_delay_alu instid0(VALU_DEP_1) | instskip(SKIP_1) | instid1(VALU_DEP_1)
	v_add3_u32 v0, v1, v179, v0
	s_set_vgpr_msb 64                       ;  msbs: dst=1 src0=0 src1=0 src2=0
	v_add3_u32 v46 /*v302*/, v0, v180, v181
	s_set_vgpr_msb 0                        ;  msbs: dst=0 src0=0 src1=0 src2=0
	v_add_nc_u32_e32 v0, 0x2100, v172
	ds_load_2addr_b32 v[0:1], v0 offset1:1
	s_wait_dscnt 0x0
	v_ashrrev_i32_e32 v173, s18, v0
	v_add_nc_u32_e32 v0, 0x2108, v172
	v_ashrrev_i32_e32 v174, s18, v1
	s_delay_alu instid0(VALU_DEP_3)
	v_and_b32_e32 v243, 3, v173
	ds_load_2addr_b32 v[0:1], v0 offset1:1
	v_bfe_u32 v253, v174, 8, 2
	v_bfe_u32 v254, v174, 16, 2
	s_set_vgpr_msb 64                       ;  msbs: dst=1 src0=0 src1=0 src2=0
	v_bfe_u32 v0 /*v256*/, v174, 24, 2
	s_set_vgpr_msb 0                        ;  msbs: dst=0 src0=0 src1=0 src2=0
	v_bfe_u32 v238, v173, 8, 2
	v_mul_i32_i24_e32 v180, v90, v243
	v_bfe_u32 v252, v173, 16, 2
	v_mul_i32_i24_e32 v183, v254, v104
	v_bfe_u32 v248, v173, 24, 2
	v_mul_i32_i24_e32 v179, v96, v238
	v_and_b32_e32 v250, 3, v174
	s_set_vgpr_msb 1                        ;  msbs: dst=0 src0=1 src1=0 src2=0
	v_mul_i32_i24_e32 v174, v0 /*v256*/, v93
	s_set_vgpr_msb 0                        ;  msbs: dst=0 src0=0 src1=0 src2=0
	v_mul_i32_i24_e32 v181, v98, v252
	v_mul_i32_i24_e32 v173, v92, v248
	;; [unrolled: 1-line block ×3, first 2 shown]
	s_wait_dscnt 0x0
	v_ashrrev_i32_e32 v175, s18, v0
	v_add_nc_u32_e32 v0, 0x2110, v172
	v_ashrrev_i32_e32 v176, s18, v1
	s_set_vgpr_msb 64                       ;  msbs: dst=1 src0=0 src1=0 src2=0
	s_delay_alu instid0(VALU_DEP_3)
	v_and_b32_e32 v1 /*v257*/, 3, v175
	s_set_vgpr_msb 0                        ;  msbs: dst=0 src0=0 src1=0 src2=0
	ds_load_2addr_b32 v[0:1], v0 offset1:1
	s_set_vgpr_msb 64                       ;  msbs: dst=1 src0=0 src1=0 src2=0
	v_and_b32_e32 v10 /*v266*/, 3, v176
	v_bfe_u32 v12 /*v268*/, v176, 8, 2
	v_bfe_u32 v14 /*v270*/, v176, 16, 2
	s_set_vgpr_msb 0                        ;  msbs: dst=0 src0=0 src1=0 src2=0
	v_bfe_u32 v209, v176, 24, 2
	s_set_vgpr_msb 1                        ;  msbs: dst=0 src0=1 src1=0 src2=0
	v_mul_i32_i24_e32 v184, v1 /*v257*/, v105
	s_set_vgpr_msb 64                       ;  msbs: dst=1 src0=0 src1=0 src2=0
	v_bfe_u32 v3 /*v259*/, v175, 8, 2
	v_bfe_u32 v5 /*v261*/, v175, 16, 2
	;; [unrolled: 1-line block ×3, first 2 shown]
	s_set_vgpr_msb 1                        ;  msbs: dst=0 src0=1 src1=0 src2=0
	v_mul_i32_i24_e32 v187, v10 /*v266*/, v113
	v_mul_i32_i24_e32 v188, v12 /*v268*/, v114
	;; [unrolled: 1-line block ×5, first 2 shown]
	s_set_vgpr_msb 0x41                     ;  msbs: dst=1 src0=1 src1=0 src2=0
	v_mul_i32_i24_e32 v37 /*v293*/, v14 /*v270*/, v115
	s_set_vgpr_msb 0                        ;  msbs: dst=0 src0=0 src1=0 src2=0
	v_mad_i32_i24 v176, v253, v101, v182
	s_wait_dscnt 0x0
	v_ashrrev_i32_e32 v177, s18, v0
	v_add_nc_u32_e32 v0, 0x2118, v172
	v_ashrrev_i32_e32 v178, s18, v1
	v_add3_u32 v174, v176, v183, v174
	s_set_vgpr_msb 64                       ;  msbs: dst=1 src0=0 src1=0 src2=0
	v_and_b32_e32 v20 /*v276*/, 3, v177
	s_set_vgpr_msb 0                        ;  msbs: dst=0 src0=0 src1=0 src2=0
	ds_load_2addr_b32 v[0:1], v0 offset1:1
	s_set_vgpr_msb 64                       ;  msbs: dst=1 src0=0 src1=0 src2=0
	v_bfe_u32 v18 /*v274*/, v177, 8, 2
	v_bfe_u32 v23 /*v279*/, v177, 16, 2
	;; [unrolled: 1-line block ×3, first 2 shown]
	v_and_b32_e32 v26 /*v282*/, 3, v178
	v_bfe_u32 v27 /*v283*/, v178, 8, 2
	v_bfe_u32 v28 /*v284*/, v178, 16, 2
	v_bfe_u32 v29 /*v285*/, v178, 24, 2
	s_set_vgpr_msb 0                        ;  msbs: dst=0 src0=0 src1=0 src2=0
	v_add3_u32 v174, v174, v184, v180
	s_set_vgpr_msb 1                        ;  msbs: dst=0 src0=1 src1=0 src2=0
	v_mul_i32_i24_e32 v176, v28 /*v284*/, v195
	v_mul_i32_i24_e32 v177, v29 /*v285*/, v196
	s_set_vgpr_msb 0                        ;  msbs: dst=0 src0=0 src1=0 src2=0
	v_add3_u32 v174, v174, v179, v181
	s_delay_alu instid0(VALU_DEP_1)
	v_add3_u32 v173, v174, v173, v185
	s_set_vgpr_msb 1                        ;  msbs: dst=0 src0=1 src1=0 src2=0
	v_mul_i32_i24_e32 v174, v23 /*v279*/, v118
	s_wait_dscnt 0x0
	v_dual_ashrrev_i32 v1, s18, v1 :: v_dual_ashrrev_i32 v0, s18, v0
	s_set_vgpr_msb 0                        ;  msbs: dst=0 src0=0 src1=0 src2=0
	v_add3_u32 v173, v173, v186, v175
	s_set_vgpr_msb 1                        ;  msbs: dst=0 src0=1 src1=0 src2=0
	v_mul_i32_i24_e32 v175, v25 /*v281*/, v120
	s_set_vgpr_msb 64                       ;  msbs: dst=1 src0=0 src1=0 src2=0
	v_and_b32_e32 v34 /*v290*/, 3, v1
	v_and_b32_e32 v30 /*v286*/, 3, v0
	v_bfe_u32 v31 /*v287*/, v0, 8, 2
	v_bfe_u32 v35 /*v291*/, v1, 8, 2
	;; [unrolled: 1-line block ×4, first 2 shown]
	s_set_vgpr_msb 1                        ;  msbs: dst=0 src0=1 src1=0 src2=0
	v_mul_i32_i24_e32 v178, v30 /*v286*/, v197
	v_mul_i32_i24_e32 v179, v31 /*v287*/, v198
	s_set_vgpr_msb 64                       ;  msbs: dst=1 src0=0 src1=0 src2=0
	v_bfe_u32 v32 /*v288*/, v0, 16, 2
	v_bfe_u32 v33 /*v289*/, v0, 24, 2
	s_set_vgpr_msb 1                        ;  msbs: dst=0 src0=1 src1=0 src2=0
	v_mul_i32_i24_e32 v181, v34 /*v290*/, v201
	v_mul_i32_i24_e32 v182, v35 /*v291*/, v202
	s_set_vgpr_msb 0x45                     ;  msbs: dst=1 src0=1 src1=1 src2=0
	v_mul_i32_i24_e32 v43 /*v299*/, v36 /*v292*/, v59 /*v315*/
	s_set_vgpr_msb 5                        ;  msbs: dst=0 src0=1 src1=1 src2=0
	v_mul_i32_i24_e32 v180, v32 /*v288*/, v50 /*v306*/
	s_set_vgpr_msb 1                        ;  msbs: dst=0 src0=1 src1=0 src2=0
	v_mul_i32_i24_e32 v0, v33 /*v289*/, v2
	s_set_vgpr_msb 64                       ;  msbs: dst=1 src0=0 src1=0 src2=0
	v_add3_u32 v38 /*v294*/, v173, v187, v188
	s_set_vgpr_msb 1                        ;  msbs: dst=0 src0=1 src1=0 src2=0
	v_mul_i32_i24_e32 v173, v20 /*v276*/, v95
	s_delay_alu instid0(VALU_DEP_1) | instskip(SKIP_1) | instid1(VALU_DEP_1)
	v_mad_i32_i24 v173, v18 /*v274*/, v117, v173
	s_set_vgpr_msb 0                        ;  msbs: dst=0 src0=0 src1=0 src2=0
	v_add3_u32 v173, v173, v174, v175
	s_set_vgpr_msb 1                        ;  msbs: dst=0 src0=1 src1=0 src2=0
	v_mul_i32_i24_e32 v174, v26 /*v282*/, v193
	v_mul_i32_i24_e32 v175, v27 /*v283*/, v194
	s_set_vgpr_msb 0                        ;  msbs: dst=0 src0=0 src1=0 src2=0
	s_delay_alu instid0(VALU_DEP_1) | instskip(NEXT) | instid1(VALU_DEP_1)
	v_add3_u32 v1, v173, v174, v175
	v_add3_u32 v1, v1, v176, v177
	s_delay_alu instid0(VALU_DEP_1) | instskip(NEXT) | instid1(VALU_DEP_1)
	v_add3_u32 v1, v1, v178, v179
	v_add3_u32 v0, v1, v180, v0
	s_set_vgpr_msb 64                       ;  msbs: dst=1 src0=0 src1=0 src2=0
	s_delay_alu instid0(VALU_DEP_1)
	v_add3_u32 v44 /*v300*/, v0, v181, v182
	s_set_vgpr_msb 0                        ;  msbs: dst=0 src0=0 src1=0 src2=0
	v_add_nc_u32_e32 v0, 0x3180, v172
	ds_load_2addr_b32 v[0:1], v0 offset1:1
	s_wait_dscnt 0x0
	v_ashrrev_i32_e32 v175, s18, v0
	v_add_nc_u32_e32 v0, 0x3188, v172
	v_ashrrev_i32_e32 v179, s18, v1
	s_delay_alu instid0(VALU_DEP_3) | instskip(SKIP_4) | instid1(VALU_DEP_3)
	v_bfe_u32 v174, v175, 24, 2
	ds_load_2addr_b32 v[0:1], v0 offset1:1
	v_bfe_u32 v176, v175, 16, 2
	v_and_b32_e32 v173, 3, v175
	v_mul_i32_i24_e32 v92, v92, v174
	v_mul_i32_i24_e32 v98, v98, v176
	s_delay_alu instid0(VALU_DEP_3)
	v_mul_i32_i24_e32 v90, v90, v173
	s_wait_dscnt 0x0
	v_ashrrev_i32_e32 v183, s18, v0
	v_add_nc_u32_e32 v0, 0x3190, v172
	v_ashrrev_i32_e32 v187, s18, v1
	v_bfe_u32 v177, v179, 8, 2
	v_bfe_u32 v178, v179, 16, 2
	v_and_b32_e32 v180, 3, v183
	ds_load_2addr_b32 v[0:1], v0 offset1:1
	v_bfe_u32 v181, v183, 8, 2
	v_bfe_u32 v182, v183, 16, 2
	v_mul_i32_i24_e32 v104, v178, v104
	v_mul_i32_i24_e32 v105, v180, v105
	v_bfe_u32 v183, v183, 24, 2
	v_mul_i32_i24_e32 v106, v181, v106
	v_mul_i32_i24_e32 v107, v182, v107
	s_delay_alu instid0(VALU_DEP_3)
	v_mul_i32_i24_e32 v112, v183, v112
	s_wait_dscnt 0x0
	v_ashrrev_i32_e32 v191, s18, v0
	v_add_nc_u32_e32 v0, 0x3198, v172
	v_ashrrev_i32_e32 v199, s18, v1
	v_add3_u32 v172, s20, v151, v144
	v_and_b32_e32 v184, 3, v187
	v_bfe_u32 v185, v187, 8, 2
	ds_load_2addr_b32 v[0:1], v0 offset1:1
	v_and_b32_e32 v189, 3, v191
	s_set_vgpr_msb 64                       ;  msbs: dst=1 src0=0 src1=0 src2=0
	ds_load_b32 v78 /*v334*/, v172
	s_set_vgpr_msb 0                        ;  msbs: dst=0 src0=0 src1=0 src2=0
	v_bfe_u32 v172, v175, 8, 2
	v_and_b32_e32 v175, 3, v179
	v_bfe_u32 v179, v179, 24, 2
	v_mul_i32_i24_e32 v113, v184, v113
	v_mul_i32_i24_e32 v114, v185, v114
	;; [unrolled: 1-line block ×5, first 2 shown]
	v_bfe_u32 v186, v187, 16, 2
	v_bfe_u32 v188, v187, 24, 2
	v_bfe_u32 v187, v191, 8, 2
	v_bfe_u32 v190, v191, 16, 2
	v_bfe_u32 v191, v191, 24, 2
	s_set_vgpr_msb 64                       ;  msbs: dst=1 src0=0 src1=0 src2=0
	v_mul_i32_i24_e32 v40 /*v296*/, v186, v115
	s_set_vgpr_msb 0                        ;  msbs: dst=0 src0=0 src1=0 src2=0
	v_mad_i32_i24 v99, v177, v101, v99
	s_wait_dscnt 0x1
	v_dual_ashrrev_i32 v1, s18, v1 :: v_dual_ashrrev_i32 v0, s18, v0
	v_and_b32_e32 v192, 3, v199
	s_delay_alu instid0(VALU_DEP_3) | instskip(NEXT) | instid1(VALU_DEP_3)
	v_add3_u32 v93, v99, v104, v93
	v_and_b32_e32 v200, 3, v1
	v_bfe_u32 v203, v1, 24, 2
	s_delay_alu instid0(VALU_DEP_3) | instskip(SKIP_1) | instid1(VALU_DEP_4)
	v_add3_u32 v90, v93, v105, v90
	v_mul_i32_i24_e32 v93, v191, v120
	v_mul_i32_i24_e32 v104, v200, v201
	v_bfe_u32 v201, v1, 8, 2
	s_delay_alu instid0(VALU_DEP_4) | instskip(NEXT) | instid1(VALU_DEP_2)
	v_add3_u32 v90, v90, v96, v98
	v_mul_i32_i24_e32 v105, v201, v202
	v_bfe_u32 v202, v1, 16, 2
	s_delay_alu instid0(VALU_DEP_3) | instskip(SKIP_2) | instid1(VALU_DEP_3)
	v_add3_u32 v90, v90, v92, v106
	v_mul_i32_i24_e32 v92, v190, v118
	s_set_vgpr_msb 0x44                     ;  msbs: dst=1 src0=0 src1=1 src2=0
	v_mul_i32_i24_e32 v47 /*v303*/, v202, v59 /*v315*/
	s_set_vgpr_msb 0                        ;  msbs: dst=0 src0=0 src1=0 src2=0
	v_add3_u32 v90, v90, v107, v112
	s_set_vgpr_msb 64                       ;  msbs: dst=1 src0=0 src1=0 src2=0
	s_delay_alu instid0(VALU_DEP_1) | instskip(SKIP_2) | instid1(VALU_DEP_1)
	v_add3_u32 v42 /*v298*/, v90, v113, v114
	s_set_vgpr_msb 0                        ;  msbs: dst=0 src0=0 src1=0 src2=0
	v_mul_i32_i24_e32 v90, v189, v95
	v_mad_i32_i24 v90, v187, v117, v90
	s_delay_alu instid0(VALU_DEP_1) | instskip(SKIP_2) | instid1(VALU_DEP_1)
	v_add3_u32 v90, v90, v92, v93
	v_mul_i32_i24_e32 v92, v192, v193
	v_bfe_u32 v193, v199, 8, 2
	v_mul_i32_i24_e32 v93, v193, v194
	v_bfe_u32 v194, v199, 16, 2
	s_delay_alu instid0(VALU_DEP_2) | instskip(NEXT) | instid1(VALU_DEP_2)
	v_add3_u32 v1, v90, v92, v93
	v_mul_i32_i24_e32 v95, v194, v195
	v_bfe_u32 v195, v199, 24, 2
	v_bfe_u32 v199, v0, 24, 2
	s_delay_alu instid0(VALU_DEP_2) | instskip(SKIP_1) | instid1(VALU_DEP_2)
	v_mul_i32_i24_e32 v96, v195, v196
	v_and_b32_e32 v196, 3, v0
	v_add3_u32 v1, v1, v95, v96
	s_delay_alu instid0(VALU_DEP_2) | instskip(SKIP_1) | instid1(VALU_DEP_1)
	v_mul_i32_i24_e32 v98, v196, v197
	v_bfe_u32 v197, v0, 8, 2
	v_mul_i32_i24_e32 v99, v197, v198
	v_bfe_u32 v198, v0, 16, 2
	v_mul_i32_i24_e32 v0, v199, v2
	s_delay_alu instid0(VALU_DEP_3) | instskip(SKIP_1) | instid1(VALU_DEP_3)
	v_add3_u32 v1, v1, v98, v99
	s_set_vgpr_msb 4                        ;  msbs: dst=0 src0=0 src1=1 src2=0
	v_mul_i32_i24_e32 v101, v198, v50 /*v306*/
	s_set_vgpr_msb 0x55                     ;  msbs: dst=1 src0=1 src1=1 src2=1
	v_add3_u32 v50 /*v306*/, v60 /*v316*/, v50 /*v306*/, v59 /*v315*/
	s_set_vgpr_msb 0                        ;  msbs: dst=0 src0=0 src1=0 src2=0
	s_delay_alu instid0(VALU_DEP_2) | instskip(SKIP_1) | instid1(VALU_DEP_1)
	v_add3_u32 v0, v1, v101, v0
	s_set_vgpr_msb 64                       ;  msbs: dst=1 src0=0 src1=0 src2=0
	v_add3_u32 v48 /*v304*/, v0, v104, v105
	s_set_vgpr_msb 0                        ;  msbs: dst=0 src0=0 src1=0 src2=0
	v_or_b32_e32 v0, s17, v59
	s_delay_alu instid0(VALU_DEP_1)
	v_dual_lshlrev_b32 v1, 2, v0 :: v_dual_lshrrev_b32 v0, 1, v0
	ds_load_b32 v90, v0 offset:30368
	ds_load_b128 v[104:107], v1 offset:16896
	ds_load_b128 v[112:115], v1 offset:16912
	s_wait_dscnt 0x1
	v_bfe_i32 v120, v107, 0, 8
	s_set_vgpr_msb 64                       ;  msbs: dst=1 src0=0 src1=0 src2=0
	v_bfe_i32 v66 /*v322*/, v107, 8, 8
	v_bfe_i32 v67 /*v323*/, v107, 16, 8
	v_ashrrev_i32_e32 v79 /*v335*/, 24, v107
	s_wait_dscnt 0x0
	v_bfe_i32 v68 /*v324*/, v112, 0, 8
	v_bfe_i32 v72 /*v328*/, v113, 0, 8
	v_bfe_i32 v69 /*v325*/, v112, 8, 8
	v_bfe_i32 v73 /*v329*/, v113, 8, 8
	v_bfe_i32 v76 /*v332*/, v114, 0, 8
	v_bfe_i32 v89 /*v345*/, v115, 0, 8
	s_set_vgpr_msb 5                        ;  msbs: dst=0 src0=1 src1=1 src2=0
	v_add_nc_u32_e32 v107, v72 /*v328*/, v68 /*v324*/
	s_set_vgpr_msb 0                        ;  msbs: dst=0 src0=0 src1=0 src2=0
	v_dual_ashrrev_i32 v93, 24, v104 :: v_dual_ashrrev_i32 v99, 24, v105
	s_set_vgpr_msb 0x54                     ;  msbs: dst=1 src0=0 src1=1 src2=1
	v_bfe_i32 v81 /*v337*/, v114, 8, 8
	v_bfe_i32 v90 /*v346*/, v115, 8, 8
	v_add3_u32 v83 /*v339*/, v107, v76 /*v332*/, v89 /*v345*/
	s_set_vgpr_msb 5                        ;  msbs: dst=0 src0=1 src1=1 src2=0
	v_add_nc_u32_e32 v107, v73 /*v329*/, v69 /*v325*/
	s_set_vgpr_msb 0                        ;  msbs: dst=0 src0=0 src1=0 src2=0
	v_bfe_i32 v92, v104, 16, 8
	v_bfe_i32 v98, v105, 16, 8
	;; [unrolled: 1-line block ×5, first 2 shown]
	v_ashrrev_i32_e32 v106, 24, v106
	s_set_vgpr_msb 0x54                     ;  msbs: dst=1 src0=0 src1=1 src2=1
	v_add3_u32 v80 /*v336*/, v107, v81 /*v337*/, v90 /*v346*/
	s_set_vgpr_msb 0                        ;  msbs: dst=0 src0=0 src1=0 src2=0
	v_add_nc_u32_e32 v107, v99, v93
	v_bfe_i32 v1, v104, 8, 8
	v_bfe_i32 v96, v105, 8, 8
	;; [unrolled: 1-line block ×4, first 2 shown]
	s_set_vgpr_msb 0x50                     ;  msbs: dst=1 src0=0 src1=0 src2=1
	v_add3_u32 v84 /*v340*/, v107, v106, v79 /*v335*/
	s_set_vgpr_msb 0                        ;  msbs: dst=0 src0=0 src1=0 src2=0
	v_add_nc_u32_e32 v107, v98, v92
	s_set_vgpr_msb 0x50                     ;  msbs: dst=1 src0=0 src1=0 src2=1
	v_bfe_i32 v70 /*v326*/, v112, 16, 8
	v_ashrrev_i32_e32 v71 /*v327*/, 24, v112
	v_bfe_i32 v74 /*v330*/, v113, 16, 8
	v_ashrrev_i32_e32 v75 /*v331*/, 24, v113
	v_add3_u32 v85 /*v341*/, v107, v118, v67 /*v323*/
	s_set_vgpr_msb 0                        ;  msbs: dst=0 src0=0 src1=0 src2=0
	v_add_nc_u32_e32 v107, v96, v1
	v_mul_i32_i24_e32 v112, v224, v92
	v_mul_i32_i24_e32 v113, v127, v93
	s_set_vgpr_msb 0x50                     ;  msbs: dst=1 src0=0 src1=0 src2=1
	v_mul_i32_i24_e32 v52 /*v308*/, v226, v98
	v_mul_i32_i24_e32 v53 /*v309*/, v228, v99
	v_add3_u32 v86 /*v342*/, v107, v117, v66 /*v322*/
	s_set_vgpr_msb 0                        ;  msbs: dst=0 src0=0 src1=0 src2=0
	v_add_nc_u32_e32 v107, v95, v0
	s_set_vgpr_msb 64                       ;  msbs: dst=1 src0=0 src1=0 src2=0
	v_mul_i32_i24_e32 v54 /*v310*/, v230, v101
	v_mul_i32_i24_e32 v55 /*v311*/, v232, v117
	v_mul_i32_i24_e32 v56 /*v312*/, v234, v118
	v_mul_i32_i24_e32 v57 /*v313*/, v236, v106
	v_add3_u32 v87 /*v343*/, v107, v101, v120
	s_set_vgpr_msb 0                        ;  msbs: dst=0 src0=0 src1=0 src2=0
	v_mul_i32_i24_e32 v107, v121, v0
	s_set_vgpr_msb 64                       ;  msbs: dst=1 src0=0 src1=0 src2=0
	v_bfe_i32 v82 /*v338*/, v114, 16, 8
	s_set_vgpr_msb 0                        ;  msbs: dst=0 src0=0 src1=0 src2=0
	v_ashrrev_i32_e32 v114, 24, v114
	s_set_vgpr_msb 64                       ;  msbs: dst=1 src0=0 src1=0 src2=0
	v_mul_i32_i24_e32 v58 /*v314*/, v239, v120
	s_set_vgpr_msb 0x44                     ;  msbs: dst=1 src0=0 src1=1 src2=0
	v_mul_i32_i24_e32 v88 /*v344*/, v241, v66 /*v322*/
	s_set_vgpr_msb 0                        ;  msbs: dst=0 src0=0 src1=0 src2=0
	v_mad_i32_i24 v107, v119, v1, v107
	s_set_vgpr_msb 0x45                     ;  msbs: dst=1 src0=1 src1=1 src2=0
	v_mul_i32_i24_e32 v93 /*v349*/, v22 /*v278*/, v90 /*v346*/
	s_set_vgpr_msb 0x44                     ;  msbs: dst=1 src0=0 src1=1 src2=0
	v_mul_i32_i24_e32 v92 /*v348*/, v244, v67 /*v323*/
	v_bfe_i32 v91 /*v347*/, v115, 16, 8
	s_set_vgpr_msb 5                        ;  msbs: dst=0 src0=1 src1=1 src2=0
	v_dual_add_nc_u32 v104, v75 /*v331*/, v71 /*v327*/ :: v_dual_add_nc_u32 v105, v74 /*v330*/, v70 /*v326*/
	s_set_vgpr_msb 0                        ;  msbs: dst=0 src0=0 src1=0 src2=0
	v_add3_u32 v107, v107, v112, v113
	v_mul_i32_i24_e32 v112, v222, v95
	v_mul_i32_i24_e32 v113, v225, v96
	s_set_vgpr_msb 0x45                     ;  msbs: dst=1 src0=1 src1=1 src2=0
	v_mul_i32_i24_e32 v94 /*v350*/, v24 /*v280*/, v91 /*v347*/
	s_set_vgpr_msb 0x44                     ;  msbs: dst=1 src0=0 src1=1 src2=0
	v_mul_i32_i24_e32 v97 /*v353*/, v216, v66 /*v322*/
	v_mul_i32_i24_e32 v98 /*v354*/, v247, v90 /*v346*/
	s_set_vgpr_msb 0x45                     ;  msbs: dst=1 src0=1 src1=1 src2=0
	v_mul_i32_i24_e32 v101 /*v357*/, v12 /*v268*/, v66 /*v322*/
	s_set_vgpr_msb 0                        ;  msbs: dst=0 src0=0 src1=0 src2=0
	v_add3_u32 v107, v107, v112, v113
	s_set_vgpr_msb 4                        ;  msbs: dst=0 src0=0 src1=1 src2=0
	v_mul_i32_i24_e32 v112, v255, v68 /*v324*/
	s_set_vgpr_msb 5                        ;  msbs: dst=0 src0=1 src1=1 src2=0
	v_mul_i32_i24_e32 v113, v2 /*v258*/, v70 /*v326*/
	s_set_vgpr_msb 0x44                     ;  msbs: dst=1 src0=0 src1=1 src2=0
	v_mul_i32_i24_e32 v99 /*v355*/, v249, v91 /*v347*/
	s_set_vgpr_msb 0x45                     ;  msbs: dst=1 src0=1 src1=1 src2=0
	v_mul_i32_i24_e32 v103 /*v359*/, v36 /*v292*/, v91 /*v347*/
	s_set_vgpr_msb 20                       ;  msbs: dst=0 src0=0 src1=1 src2=1
	v_add3_u32 v107, v107, v52 /*v308*/, v53 /*v309*/
	s_set_vgpr_msb 0x45                     ;  msbs: dst=1 src0=1 src1=1 src2=0
	v_mul_i32_i24_e32 v52 /*v308*/, v4 /*v260*/, v71 /*v327*/
	s_set_vgpr_msb 4                        ;  msbs: dst=0 src0=0 src1=1 src2=0
	v_mad_i32_i24 v112, v251, v69 /*v325*/, v112
	s_set_vgpr_msb 0x45                     ;  msbs: dst=1 src0=1 src1=1 src2=0
	v_mul_i32_i24_e32 v53 /*v309*/, v11 /*v267*/, v74 /*v330*/
	s_set_vgpr_msb 0x44                     ;  msbs: dst=1 src0=0 src1=1 src2=0
	v_mul_i32_i24_e32 v105 /*v361*/, v202, v91 /*v347*/
	s_set_vgpr_msb 20                       ;  msbs: dst=0 src0=0 src1=1 src2=1
	v_add3_u32 v107, v107, v54 /*v310*/, v55 /*v311*/
	s_set_vgpr_msb 0x45                     ;  msbs: dst=1 src0=1 src1=1 src2=0
	v_mul_i32_i24_e32 v54 /*v310*/, v13 /*v269*/, v75 /*v331*/
	s_set_vgpr_msb 16                       ;  msbs: dst=0 src0=0 src1=0 src2=1
	v_add3_u32 v112, v112, v113, v52 /*v308*/
	s_set_vgpr_msb 5                        ;  msbs: dst=0 src0=1 src1=1 src2=0
	v_mul_i32_i24_e32 v113, v6 /*v262*/, v72 /*v328*/
	s_set_vgpr_msb 0x45                     ;  msbs: dst=1 src0=1 src1=1 src2=0
	v_mul_i32_i24_e32 v52 /*v308*/, v9 /*v265*/, v73 /*v329*/
	s_set_vgpr_msb 20                       ;  msbs: dst=0 src0=0 src1=1 src2=1
	v_add3_u32 v107, v107, v56 /*v312*/, v57 /*v313*/
	s_set_vgpr_msb 0x45                     ;  msbs: dst=1 src0=1 src1=1 src2=0
	v_mul_i32_i24_e32 v55 /*v311*/, v15 /*v271*/, v76 /*v332*/
	v_mul_i32_i24_e32 v56 /*v312*/, v16 /*v272*/, v81 /*v337*/
	;; [unrolled: 1-line block ×3, first 2 shown]
	s_set_vgpr_msb 16                       ;  msbs: dst=0 src0=0 src1=0 src2=1
	v_add3_u32 v112, v112, v113, v52 /*v308*/
	s_set_vgpr_msb 1                        ;  msbs: dst=0 src0=1 src1=0 src2=0
	ds_load_u16 v113, v51 /*v307*/
	s_set_vgpr_msb 20                       ;  msbs: dst=0 src0=0 src1=1 src2=1
	v_add3_u32 v107, v107, v58 /*v314*/, v88 /*v344*/
	s_set_vgpr_msb 0x41                     ;  msbs: dst=1 src0=1 src1=0 src2=0
	v_mul_i32_i24_e32 v58 /*v314*/, v19 /*v275*/, v114
	s_set_vgpr_msb 0x45                     ;  msbs: dst=1 src0=1 src1=1 src2=0
	v_mul_i32_i24_e32 v88 /*v344*/, v21 /*v277*/, v89 /*v345*/
	s_set_vgpr_msb 20                       ;  msbs: dst=0 src0=0 src1=1 src2=1
	v_add3_u32 v112, v112, v53 /*v309*/, v54 /*v310*/
	s_delay_alu instid0(VALU_DEP_1) | instskip(NEXT) | instid1(VALU_DEP_1)
	v_add3_u32 v112, v112, v55 /*v311*/, v56 /*v312*/
	v_add3_u32 v112, v112, v57 /*v313*/, v58 /*v314*/
	s_delay_alu instid0(VALU_DEP_1)
	v_add3_u32 v112, v112, v88 /*v344*/, v93 /*v349*/
	s_wait_dscnt 0x0
	s_set_vgpr_msb 64                       ;  msbs: dst=1 src0=0 src1=0 src2=0
	v_bfe_u32 v53 /*v309*/, v113, 4, 4
	v_lshrrev_b16 v51 /*v307*/, 8, v113
	s_set_vgpr_msb 0                        ;  msbs: dst=0 src0=0 src1=0 src2=0
	v_and_b32_e32 v113, 15, v113
	s_set_vgpr_msb 64                       ;  msbs: dst=1 src0=0 src1=0 src2=0
	v_ashrrev_i32_e32 v88 /*v344*/, 24, v115
	s_set_vgpr_msb 0x44                     ;  msbs: dst=1 src0=0 src1=1 src2=0
	v_mul_lo_u32 v93 /*v349*/, 0x1010101, v53 /*v309*/
	s_set_vgpr_msb 64                       ;  msbs: dst=1 src0=0 src1=0 src2=0
	v_ashrrev_i32_e32 v53 /*v309*/, 24, v3
	s_set_vgpr_msb 0x44                     ;  msbs: dst=1 src0=0 src1=1 src2=0
	v_and_b32_e32 v52 /*v308*/, 0xffff, v51 /*v307*/
	v_and_b32_e32 v51 /*v307*/, 15, v51 /*v307*/
	s_set_vgpr_msb 4                        ;  msbs: dst=0 src0=0 src1=1 src2=0
	v_mul_i32_i24_e32 v3, v116, v79 /*v335*/
	s_set_vgpr_msb 0x51                     ;  msbs: dst=1 src0=1 src1=0 src2=1
	v_and_b32_e32 v57 /*v313*/, 0xffff, v113
	v_add3_u32 v49 /*v305*/, v49 /*v305*/, v2, v53 /*v309*/
	s_set_vgpr_msb 4                        ;  msbs: dst=0 src0=0 src1=1 src2=0
	v_mul_i32_i24_e32 v2, v246, v53 /*v309*/
	s_set_vgpr_msb 0x44                     ;  msbs: dst=1 src0=0 src1=1 src2=0
	v_and_b32_e32 v54 /*v310*/, 0xffff, v51 /*v307*/
	v_lshrrev_b32_e32 v52 /*v308*/, 4, v52 /*v308*/
	s_set_vgpr_msb 4                        ;  msbs: dst=0 src0=0 src1=1 src2=0
	v_add3_u32 v3, v107, v92 /*v348*/, v3
	s_set_vgpr_msb 0x44                     ;  msbs: dst=1 src0=0 src1=1 src2=0
	v_lshrrev_b32_e32 v56 /*v312*/, 24, v93 /*v349*/
	s_set_vgpr_msb 5                        ;  msbs: dst=0 src0=1 src1=1 src2=0
	v_add3_u32 v2, v64 /*v320*/, v63 /*v319*/, v2
	s_set_vgpr_msb 0x50                     ;  msbs: dst=1 src0=0 src1=0 src2=1
	v_add3_u32 v51 /*v307*/, v104, v114, v88 /*v344*/
	s_set_vgpr_msb 0x54                     ;  msbs: dst=1 src0=0 src1=1 src2=1
	v_mul_lo_u32 v107 /*v363*/, 0x1010101, v52 /*v308*/
	v_add3_u32 v52 /*v308*/, v105, v82 /*v338*/, v91 /*v347*/
	s_set_vgpr_msb 0                        ;  msbs: dst=0 src0=0 src1=0 src2=0
	v_mul_i32_i24_e32 v105, v116, v97
	s_set_vgpr_msb 4                        ;  msbs: dst=0 src0=0 src1=1 src2=0
	v_mul_lo_u32 v2, v2, v54 /*v310*/
	v_mul_lo_u32 v3, v3, v57 /*v313*/
	v_mul_i32_i24_e32 v104, v246, v88 /*v344*/
	s_set_vgpr_msb 0                        ;  msbs: dst=0 src0=0 src1=0 src2=0
	v_mul_i32_i24_e32 v107, v204, v93
	s_set_vgpr_msb 5                        ;  msbs: dst=0 src0=1 src1=1 src2=0
	v_add3_u32 v105, v62 /*v318*/, v61 /*v317*/, v105
	s_set_vgpr_msb 0                        ;  msbs: dst=0 src0=0 src1=0 src2=0
	v_mul_i32_i24_e32 v113, v208, v98
	s_set_vgpr_msb 64                       ;  msbs: dst=1 src0=0 src1=0 src2=0
	v_mul_i32_i24_e32 v61 /*v317*/, v210, v99
	s_set_vgpr_msb 4                        ;  msbs: dst=0 src0=0 src1=1 src2=0
	v_add3_u32 v104, v112, v94 /*v350*/, v104
	s_set_vgpr_msb 0                        ;  msbs: dst=0 src0=0 src1=0 src2=0
	v_mul_i32_i24_e32 v112, v207, v96
	s_set_vgpr_msb 64                       ;  msbs: dst=1 src0=0 src1=0 src2=0
	v_mul_i32_i24_e32 v62 /*v318*/, v211, v101
	v_mul_i32_i24_e32 v63 /*v319*/, v212, v117
	s_set_vgpr_msb 4                        ;  msbs: dst=0 src0=0 src1=1 src2=0
	v_mad_u32 v2, v105, v57 /*v313*/, v2
	v_mad_u32 v3, v104, v54 /*v310*/, v3
	s_set_vgpr_msb 64                       ;  msbs: dst=1 src0=0 src1=0 src2=0
	v_mul_i32_i24_e32 v64 /*v320*/, v213, v118
	v_mul_i32_i24_e32 v92 /*v348*/, v214, v106
	;; [unrolled: 1-line block ×3, first 2 shown]
	s_set_vgpr_msb 0x44                     ;  msbs: dst=1 src0=0 src1=1 src2=0
	v_lshrrev_b16 v95 /*v351*/, 8, v93 /*v349*/
	s_set_vgpr_msb 0x41                     ;  msbs: dst=1 src0=1 src1=0 src2=0
	v_bfe_i32 v58 /*v314*/, v107 /*v363*/, 0, 8
	v_bfe_i32 v55 /*v311*/, v107 /*v363*/, 8, 8
	s_set_vgpr_msb 0                        ;  msbs: dst=0 src0=0 src1=0 src2=0
	v_cvt_f32_i32_e32 v105, v2
	v_mul_i32_i24_e32 v2, v125, v0
	v_cvt_f32_i32_e32 v104, v3
	v_mul_i32_i24_e32 v3, v206, v92
	s_set_vgpr_msb 0x44                     ;  msbs: dst=1 src0=0 src1=1 src2=0
	v_mul_i32_i24_e32 v96 /*v352*/, v108, v58 /*v314*/
	s_set_vgpr_msb 5                        ;  msbs: dst=0 src0=1 src1=1 src2=0
	v_mul_i32_i24_e32 v115, v83 /*v339*/, v58 /*v314*/
	s_set_vgpr_msb 0                        ;  msbs: dst=0 src0=0 src1=0 src2=0
	v_mad_i32_i24 v2, v123, v1, v2
	s_set_vgpr_msb 0x45                     ;  msbs: dst=1 src0=1 src1=1 src2=0
	v_mul_i32_i24_e32 v59 /*v315*/, v80 /*v336*/, v55 /*v311*/
	s_set_vgpr_msb 0x44                     ;  msbs: dst=1 src0=0 src1=1 src2=0
	v_mul_i32_i24_e32 v60 /*v316*/, v103, v55 /*v311*/
	s_set_vgpr_msb 0                        ;  msbs: dst=0 src0=0 src1=0 src2=0
	v_add3_u32 v2, v2, v3, v107
	v_mul_i32_i24_e32 v3, v205, v95
	s_set_vgpr_msb 4                        ;  msbs: dst=0 src0=0 src1=1 src2=0
	v_mul_i32_i24_e32 v107, v217, v67 /*v323*/
	s_set_vgpr_msb 0                        ;  msbs: dst=0 src0=0 src1=0 src2=0
	s_delay_alu instid0(VALU_DEP_2) | instskip(SKIP_3) | instid1(VALU_DEP_2)
	v_add3_u32 v2, v2, v3, v112
	s_set_vgpr_msb 4                        ;  msbs: dst=0 src0=0 src1=1 src2=0
	v_mul_i32_i24_e32 v3, v221, v70 /*v326*/
	s_set_vgpr_msb 16                       ;  msbs: dst=0 src0=0 src1=0 src2=1
	v_add3_u32 v2, v2, v113, v61 /*v317*/
	s_set_vgpr_msb 4                        ;  msbs: dst=0 src0=0 src1=1 src2=0
	v_mul_i32_i24_e32 v113, v223, v71 /*v327*/
	s_set_vgpr_msb 0x44                     ;  msbs: dst=1 src0=0 src1=1 src2=0
	v_mul_i32_i24_e32 v61 /*v317*/, v231, v74 /*v330*/
	s_set_vgpr_msb 20                       ;  msbs: dst=0 src0=0 src1=1 src2=1
	v_add3_u32 v2, v2, v62 /*v318*/, v63 /*v319*/
	s_set_vgpr_msb 0x44                     ;  msbs: dst=1 src0=0 src1=1 src2=0
	v_mul_i32_i24_e32 v62 /*v318*/, v233, v75 /*v331*/
	v_mul_i32_i24_e32 v63 /*v319*/, v235, v76 /*v332*/
	s_set_vgpr_msb 20                       ;  msbs: dst=0 src0=0 src1=1 src2=1
	v_add3_u32 v2, v2, v64 /*v320*/, v92 /*v348*/
	s_set_vgpr_msb 0x44                     ;  msbs: dst=1 src0=0 src1=1 src2=0
	v_mul_i32_i24_e32 v64 /*v320*/, v237, v81 /*v337*/
	v_mul_i32_i24_e32 v92 /*v348*/, v240, v82 /*v338*/
	s_set_vgpr_msb 20                       ;  msbs: dst=0 src0=0 src1=1 src2=1
	v_add3_u32 v112, v2, v94 /*v350*/, v97 /*v353*/
	v_mul_i32_i24_e32 v2, v220, v68 /*v324*/
	s_set_vgpr_msb 64                       ;  msbs: dst=1 src0=0 src1=0 src2=0
	v_mul_i32_i24_e32 v94 /*v350*/, v242, v114
	s_set_vgpr_msb 0x44                     ;  msbs: dst=1 src0=0 src1=1 src2=0
	v_mul_i32_i24_e32 v97 /*v353*/, v245, v89 /*v345*/
	s_set_vgpr_msb 4                        ;  msbs: dst=0 src0=0 src1=1 src2=0
	v_mad_i32_i24 v2, v219, v69 /*v325*/, v2
	s_set_vgpr_msb 0                        ;  msbs: dst=0 src0=0 src1=0 src2=0
	s_delay_alu instid0(VALU_DEP_1) | instskip(SKIP_4) | instid1(VALU_DEP_1)
	v_add3_u32 v2, v2, v3, v113
	s_set_vgpr_msb 4                        ;  msbs: dst=0 src0=0 src1=1 src2=0
	v_mul_i32_i24_e32 v3, v227, v72 /*v328*/
	v_mul_i32_i24_e32 v113, v229, v73 /*v329*/
	s_set_vgpr_msb 0                        ;  msbs: dst=0 src0=0 src1=0 src2=0
	v_add3_u32 v2, v2, v3, v113
	v_mul_i32_i24_e32 v3, v252, v92
	v_mul_i32_i24_e32 v113, v248, v93
	s_set_vgpr_msb 20                       ;  msbs: dst=0 src0=0 src1=1 src2=1
	s_delay_alu instid0(VALU_DEP_3)
	v_add3_u32 v2, v2, v61 /*v317*/, v62 /*v318*/
	s_set_vgpr_msb 64                       ;  msbs: dst=1 src0=0 src1=0 src2=0
	v_mul_i32_i24_e32 v61 /*v317*/, v253, v96
	v_mul_i32_i24_e32 v62 /*v318*/, v254, v98
	s_set_vgpr_msb 20                       ;  msbs: dst=0 src0=0 src1=1 src2=1
	v_add3_u32 v2, v2, v63 /*v319*/, v64 /*v320*/
	s_set_vgpr_msb 0x41                     ;  msbs: dst=1 src0=1 src1=0 src2=0
	v_mul_i32_i24_e32 v63 /*v319*/, v0 /*v256*/, v99
	v_mul_i32_i24_e32 v64 /*v320*/, v1 /*v257*/, v101
	s_set_vgpr_msb 20                       ;  msbs: dst=0 src0=0 src1=1 src2=1
	v_add3_u32 v2, v2, v92 /*v348*/, v94 /*v350*/
	s_set_vgpr_msb 0x41                     ;  msbs: dst=1 src0=1 src1=0 src2=0
	v_mul_i32_i24_e32 v92 /*v348*/, v3 /*v259*/, v117
	v_mul_i32_i24_e32 v94 /*v350*/, v5 /*v261*/, v118
	s_set_vgpr_msb 0x54                     ;  msbs: dst=1 src0=0 src1=1 src2=1
	v_add3_u32 v100 /*v356*/, v2, v97 /*v353*/, v98 /*v354*/
	s_set_vgpr_msb 0                        ;  msbs: dst=0 src0=0 src1=0 src2=0
	v_mul_i32_i24_e32 v2, v243, v0
	s_set_vgpr_msb 0x41                     ;  msbs: dst=1 src0=1 src1=0 src2=0
	v_mul_i32_i24_e32 v97 /*v353*/, v7 /*v263*/, v106
	v_mul_i32_i24_e32 v98 /*v354*/, v10 /*v266*/, v120
	s_set_vgpr_msb 0                        ;  msbs: dst=0 src0=0 src1=0 src2=0
	v_mul_i32_i24_e32 v0, v173, v0
	v_mad_i32_i24 v2, v238, v1, v2
	s_delay_alu instid0(VALU_DEP_2) | instskip(SKIP_1) | instid1(VALU_DEP_3)
	v_mad_i32_i24 v0, v172, v1, v0
	v_mul_i32_i24_e32 v1, v175, v95
	v_add3_u32 v2, v2, v3, v113
	v_mul_i32_i24_e32 v3, v250, v95
	v_mul_i32_i24_e32 v95, v181, v117
	s_set_vgpr_msb 5                        ;  msbs: dst=0 src0=1 src1=1 src2=0
	v_mul_i32_i24_e32 v113, v14 /*v270*/, v67 /*v323*/
	s_set_vgpr_msb 16                       ;  msbs: dst=0 src0=0 src1=0 src2=1
	v_add3_u32 v2, v2, v3, v61 /*v317*/
	s_set_vgpr_msb 5                        ;  msbs: dst=0 src0=1 src1=1 src2=0
	v_mul_i32_i24_e32 v3, v23 /*v279*/, v70 /*v326*/
	s_set_vgpr_msb 0x45                     ;  msbs: dst=1 src0=1 src1=1 src2=0
	v_mul_i32_i24_e32 v61 /*v317*/, v25 /*v281*/, v71 /*v327*/
	s_set_vgpr_msb 20                       ;  msbs: dst=0 src0=0 src1=1 src2=1
	v_add3_u32 v2, v2, v62 /*v318*/, v63 /*v319*/
	s_set_vgpr_msb 0x45                     ;  msbs: dst=1 src0=1 src1=1 src2=0
	v_mul_i32_i24_e32 v62 /*v318*/, v28 /*v284*/, v74 /*v330*/
	v_mul_i32_i24_e32 v63 /*v319*/, v29 /*v285*/, v75 /*v331*/
	s_set_vgpr_msb 20                       ;  msbs: dst=0 src0=0 src1=1 src2=1
	v_add3_u32 v2, v2, v64 /*v320*/, v92 /*v348*/
	s_set_vgpr_msb 0x45                     ;  msbs: dst=1 src0=1 src1=1 src2=0
	v_mul_i32_i24_e32 v64 /*v320*/, v30 /*v286*/, v76 /*v332*/
	;; [unrolled: 5-line block ×3, first 2 shown]
	s_set_vgpr_msb 0x41                     ;  msbs: dst=1 src0=1 src1=0 src2=0
	v_mul_i32_i24_e32 v97 /*v353*/, v33 /*v289*/, v114
	s_set_vgpr_msb 0x54                     ;  msbs: dst=1 src0=0 src1=1 src2=1
	v_add3_u32 v125 /*v381*/, v2, v98 /*v354*/, v101 /*v357*/
	s_set_vgpr_msb 5                        ;  msbs: dst=0 src0=1 src1=1 src2=0
	v_mul_i32_i24_e32 v2, v20 /*v276*/, v68 /*v324*/
	s_set_vgpr_msb 0x45                     ;  msbs: dst=1 src0=1 src1=1 src2=0
	v_mul_i32_i24_e32 v98 /*v354*/, v34 /*v290*/, v89 /*v345*/
	v_mul_i32_i24_e32 v101 /*v357*/, v35 /*v291*/, v90 /*v346*/
	s_set_vgpr_msb 5                        ;  msbs: dst=0 src0=1 src1=1 src2=0
	v_mad_i32_i24 v2, v18 /*v274*/, v69 /*v325*/, v2
	s_set_vgpr_msb 16                       ;  msbs: dst=0 src0=0 src1=0 src2=1
	s_delay_alu instid0(VALU_DEP_1)
	v_add3_u32 v2, v2, v3, v61 /*v317*/
	s_set_vgpr_msb 5                        ;  msbs: dst=0 src0=1 src1=1 src2=0
	v_mul_i32_i24_e32 v3, v26 /*v282*/, v72 /*v328*/
	s_set_vgpr_msb 0x45                     ;  msbs: dst=1 src0=1 src1=1 src2=0
	v_mul_i32_i24_e32 v61 /*v317*/, v27 /*v283*/, v73 /*v329*/
	s_set_vgpr_msb 16                       ;  msbs: dst=0 src0=0 src1=0 src2=1
	s_delay_alu instid0(VALU_DEP_1)
	v_add3_u32 v2, v2, v3, v61 /*v317*/
	v_mul_i32_i24_e32 v3, v174, v93
	v_mul_i32_i24_e32 v93, v180, v101
	s_set_vgpr_msb 20                       ;  msbs: dst=0 src0=0 src1=1 src2=1
	v_mul_i32_i24_e32 v101, v185, v66 /*v322*/
	v_add3_u32 v2, v2, v62 /*v318*/, v63 /*v319*/
	s_delay_alu instid0(VALU_DEP_1) | instskip(NEXT) | instid1(VALU_DEP_1)
	v_add3_u32 v2, v2, v64 /*v320*/, v92 /*v348*/
	v_add3_u32 v2, v2, v94 /*v350*/, v97 /*v353*/
	s_set_vgpr_msb 0x54                     ;  msbs: dst=1 src0=0 src1=1 src2=1
	s_delay_alu instid0(VALU_DEP_1)
	v_add3_u32 v92 /*v348*/, v2, v98 /*v354*/, v101 /*v357*/
	s_set_vgpr_msb 0                        ;  msbs: dst=0 src0=0 src1=0 src2=0
	v_mul_i32_i24_e32 v2, v176, v92
	v_mul_i32_i24_e32 v92, v179, v99
	v_mul_i32_i24_e32 v99, v184, v120
	s_set_vgpr_msb 0x44                     ;  msbs: dst=1 src0=0 src1=1 src2=0
	v_mul_i32_i24_e32 v101 /*v357*/, v186, v67 /*v323*/
	s_set_vgpr_msb 0                        ;  msbs: dst=0 src0=0 src1=0 src2=0
	v_add3_u32 v0, v0, v2, v3
	v_mul_i32_i24_e32 v2, v177, v96
	v_mul_i32_i24_e32 v3, v178, v98
	;; [unrolled: 1-line block ×4, first 2 shown]
	s_delay_alu instid0(VALU_DEP_4)
	v_add3_u32 v0, v0, v1, v2
	s_set_vgpr_msb 4                        ;  msbs: dst=0 src0=0 src1=1 src2=0
	v_mul_i32_i24_e32 v1, v190, v70 /*v326*/
	v_mul_i32_i24_e32 v2, v191, v71 /*v327*/
	s_set_vgpr_msb 0x41                     ;  msbs: dst=1 src0=1 src1=0 src2=0
	v_bfe_i32 v70 /*v326*/, v95 /*v351*/, 0, 8
	s_set_vgpr_msb 0                        ;  msbs: dst=0 src0=0 src1=0 src2=0
	v_add3_u32 v0, v0, v3, v92
	s_set_vgpr_msb 4                        ;  msbs: dst=0 src0=0 src1=1 src2=0
	v_mul_i32_i24_e32 v3, v194, v74 /*v330*/
	v_mul_i32_i24_e32 v92, v195, v75 /*v331*/
	s_set_vgpr_msb 0                        ;  msbs: dst=0 src0=0 src1=0 src2=0
	v_add3_u32 v0, v0, v93, v95
	s_set_vgpr_msb 4                        ;  msbs: dst=0 src0=0 src1=1 src2=0
	v_mul_i32_i24_e32 v93, v196, v76 /*v332*/
	v_mul_i32_i24_e32 v95, v197, v81 /*v337*/
	s_set_vgpr_msb 0                        ;  msbs: dst=0 src0=0 src1=0 src2=0
	v_add3_u32 v0, v0, v96, v98
	s_set_vgpr_msb 4                        ;  msbs: dst=0 src0=0 src1=1 src2=0
	v_mul_i32_i24_e32 v96, v198, v82 /*v338*/
	s_set_vgpr_msb 0                        ;  msbs: dst=0 src0=0 src1=0 src2=0
	v_mul_i32_i24_e32 v98, v199, v114
	s_set_vgpr_msb 64                       ;  msbs: dst=1 src0=0 src1=0 src2=0
	v_add3_u32 v102 /*v358*/, v0, v99, v101
	s_set_vgpr_msb 4                        ;  msbs: dst=0 src0=0 src1=1 src2=0
	v_mul_i32_i24_e32 v0, v189, v68 /*v324*/
	v_mul_i32_i24_e32 v99, v200, v89 /*v345*/
	;; [unrolled: 1-line block ×3, first 2 shown]
	s_delay_alu instid0(VALU_DEP_3) | instskip(SKIP_1) | instid1(VALU_DEP_1)
	v_mad_i32_i24 v0, v187, v69 /*v325*/, v0
	s_set_vgpr_msb 0                        ;  msbs: dst=0 src0=0 src1=0 src2=0
	v_add3_u32 v0, v0, v1, v2
	s_set_vgpr_msb 4                        ;  msbs: dst=0 src0=0 src1=1 src2=0
	v_mul_i32_i24_e32 v1, v192, v72 /*v328*/
	v_mul_i32_i24_e32 v2, v193, v73 /*v329*/
	s_set_vgpr_msb 0x41                     ;  msbs: dst=1 src0=1 src1=0 src2=0
	v_bfe_i32 v72 /*v328*/, v93 /*v349*/, 0, 8
	v_bfe_i32 v73 /*v329*/, v93 /*v349*/, 16, 8
	s_set_vgpr_msb 0                        ;  msbs: dst=0 src0=0 src1=0 src2=0
	v_add3_u32 v0, v0, v1, v2
	s_set_vgpr_msb 4                        ;  msbs: dst=0 src0=0 src1=1 src2=0
	s_delay_alu instid0(VALU_DEP_2) | instskip(SKIP_1) | instid1(VALU_DEP_2)
	v_mul_i32_i24_e32 v2, v111, v73 /*v329*/
	s_set_vgpr_msb 0                        ;  msbs: dst=0 src0=0 src1=0 src2=0
	v_add3_u32 v0, v0, v3, v92
	s_set_vgpr_msb 4                        ;  msbs: dst=0 src0=0 src1=1 src2=0
	v_mul_i32_i24_e32 v3, v124, v72 /*v328*/
	s_set_vgpr_msb 0                        ;  msbs: dst=0 src0=0 src1=0 src2=0
	s_delay_alu instid0(VALU_DEP_2) | instskip(SKIP_1) | instid1(VALU_DEP_2)
	v_add3_u32 v0, v0, v93, v95
	s_set_vgpr_msb 4                        ;  msbs: dst=0 src0=0 src1=1 src2=0
	v_mad_i32_i24 v3, v122, v70 /*v326*/, v3
	s_set_vgpr_msb 5                        ;  msbs: dst=0 src0=1 src1=1 src2=0
	v_mul_i32_i24_e32 v93, v87 /*v343*/, v72 /*v328*/
	s_set_vgpr_msb 0                        ;  msbs: dst=0 src0=0 src1=0 src2=0
	v_add3_u32 v0, v0, v96, v98
	s_set_vgpr_msb 5                        ;  msbs: dst=0 src0=1 src1=1 src2=0
	s_delay_alu instid0(VALU_DEP_2) | instskip(SKIP_1) | instid1(VALU_DEP_2)
	v_mad_i32_i24 v93, v86 /*v342*/, v70 /*v326*/, v93
	s_set_vgpr_msb 64                       ;  msbs: dst=1 src0=0 src1=0 src2=0
	v_add3_u32 v106 /*v362*/, v0, v99, v101
	s_set_vgpr_msb 0                        ;  msbs: dst=0 src0=0 src1=0 src2=0
	v_or_b32_e32 v0, s17, v69
	s_delay_alu instid0(VALU_DEP_1) | instskip(SKIP_4) | instid1(VALU_DEP_1)
	v_dual_lshlrev_b32 v1, 2, v0 :: v_dual_lshrrev_b32 v0, 1, v0
	ds_load_b32 v92, v0 offset:30368
	s_set_vgpr_msb 4                        ;  msbs: dst=0 src0=0 src1=1 src2=0
	v_mul_i32_i24_e32 v0, v110, v56 /*v312*/
	s_set_vgpr_msb 0                        ;  msbs: dst=0 src0=0 src1=0 src2=0
	v_add3_u32 v0, v3, v2, v0
	s_set_vgpr_msb 5                        ;  msbs: dst=0 src0=1 src1=1 src2=0
	v_mul_i32_i24_e32 v2, v84 /*v340*/, v56 /*v312*/
	v_mul_i32_i24_e32 v3, v85 /*v341*/, v73 /*v329*/
	s_set_vgpr_msb 20                       ;  msbs: dst=0 src0=0 src1=1 src2=1
	v_add3_u32 v117, v0, v96 /*v352*/, v60 /*v316*/
	s_set_vgpr_msb 0                        ;  msbs: dst=0 src0=0 src1=0 src2=0
	s_delay_alu instid0(VALU_DEP_2) | instskip(SKIP_1) | instid1(VALU_DEP_1)
	v_add3_u32 v2, v93, v3, v2
	s_set_vgpr_msb 16                       ;  msbs: dst=0 src0=0 src1=0 src2=1
	v_add3_u32 v115, v2, v115, v59 /*v315*/
	s_set_vgpr_msb 64                       ;  msbs: dst=1 src0=0 src1=0 src2=0
	ds_load_b128 v[60:63] /*v[316:319]*/, v1 offset:16896
	s_set_vgpr_msb 4                        ;  msbs: dst=0 src0=0 src1=1 src2=0
	ds_load_b128 v[0:3], v1 offset:16912
	s_wait_dscnt 0x1
	v_lshrrev_b16 v93, 8, v60 /*v316*/
	v_lshrrev_b16 v95, 8, v61 /*v317*/
	;; [unrolled: 1-line block ×4, first 2 shown]
	s_set_vgpr_msb 1                        ;  msbs: dst=0 src0=1 src1=0 src2=0
	v_bfe_i32 v99, v60 /*v316*/, 0, 8
	s_set_vgpr_msb 0                        ;  msbs: dst=0 src0=0 src1=0 src2=0
	v_bfe_i32 v114, v93, 0, 8
	v_bfe_i32 v95, v95, 0, 8
	s_set_vgpr_msb 1                        ;  msbs: dst=0 src0=1 src1=0 src2=0
	v_bfe_i32 v101, v60 /*v316*/, 16, 8
	s_set_vgpr_msb 4                        ;  msbs: dst=0 src0=0 src1=1 src2=0
	v_ashrrev_i32_e32 v106, 24, v60 /*v316*/
	s_set_vgpr_msb 1                        ;  msbs: dst=0 src0=1 src1=0 src2=0
	v_bfe_i32 v120, v61 /*v317*/, 16, 8
	s_set_vgpr_msb 0x44                     ;  msbs: dst=1 src0=0 src1=1 src2=0
	v_ashrrev_i32_e32 v68 /*v324*/, 24, v61 /*v317*/
	s_set_vgpr_msb 0                        ;  msbs: dst=0 src0=0 src1=0 src2=0
	v_bfe_i32 v96, v96, 0, 8
	v_bfe_i32 v98, v98, 0, 8
	v_add_nc_u32_e32 v93, v95, v114
	s_set_vgpr_msb 0x44                     ;  msbs: dst=1 src0=0 src1=1 src2=0
	v_dual_ashrrev_i32 v69 /*v325*/, 24, v62 /*v318*/ :: v_dual_ashrrev_i32 v113 /*v369*/, 24, v63 /*v319*/
	s_set_vgpr_msb 0x41                     ;  msbs: dst=1 src0=1 src1=0 src2=0
	v_bfe_i32 v75 /*v331*/, v62 /*v318*/, 16, 8
	v_bfe_i32 v81 /*v337*/, v63 /*v319*/, 16, 8
	v_add_nc_u32_e32 v59 /*v315*/, v68 /*v324*/, v106
	s_set_vgpr_msb 64                       ;  msbs: dst=1 src0=0 src1=0 src2=0
	v_add_nc_u32_e32 v60 /*v316*/, v120, v101
	v_add3_u32 v111 /*v367*/, v93, v96, v98
	s_set_vgpr_msb 0                        ;  msbs: dst=0 src0=0 src1=0 src2=0
	v_mul_i32_i24_e32 v93, v99, v121
	s_set_vgpr_msb 1                        ;  msbs: dst=0 src0=1 src1=0 src2=0
	v_bfe_i32 v118, v61 /*v317*/, 0, 8
	s_set_vgpr_msb 0x55                     ;  msbs: dst=1 src0=1 src1=1 src2=1
	v_add3_u32 v112 /*v368*/, v59 /*v315*/, v69 /*v325*/, v113 /*v369*/
	v_add3_u32 v110 /*v366*/, v60 /*v316*/, v75 /*v331*/, v81 /*v337*/
	s_set_vgpr_msb 64                       ;  msbs: dst=1 src0=0 src1=0 src2=0
	v_mul_i32_i24_e32 v59 /*v315*/, v101, v224
	v_mul_i32_i24_e32 v60 /*v316*/, v106, v127
	s_set_vgpr_msb 0                        ;  msbs: dst=0 src0=0 src1=0 src2=0
	v_mad_i32_i24 v93, v114, v119, v93
	s_set_vgpr_msb 0x41                     ;  msbs: dst=1 src0=1 src1=0 src2=0
	v_bfe_i32 v76 /*v332*/, v62 /*v318*/, 0, 8
	v_bfe_i32 v82 /*v338*/, v63 /*v319*/, 0, 8
	s_set_vgpr_msb 64                       ;  msbs: dst=1 src0=0 src1=0 src2=0
	v_add_nc_u32_e32 v61 /*v317*/, v118, v99
	s_set_vgpr_msb 0x44                     ;  msbs: dst=1 src0=0 src1=1 src2=0
	v_mul_i32_i24_e32 v62 /*v318*/, v228, v68 /*v324*/
	s_set_vgpr_msb 20                       ;  msbs: dst=0 src0=0 src1=1 src2=1
	v_add3_u32 v93, v93, v59 /*v315*/, v60 /*v316*/
	s_set_vgpr_msb 64                       ;  msbs: dst=1 src0=0 src1=0 src2=0
	v_mul_i32_i24_e32 v59 /*v315*/, v222, v118
	v_mul_i32_i24_e32 v60 /*v316*/, v225, v95
	s_set_vgpr_msb 0x55                     ;  msbs: dst=1 src0=1 src1=1 src2=1
	v_add3_u32 v109 /*v365*/, v61 /*v317*/, v76 /*v332*/, v82 /*v338*/
	s_set_vgpr_msb 64                       ;  msbs: dst=1 src0=0 src1=0 src2=0
	v_mul_i32_i24_e32 v61 /*v317*/, v226, v120
	s_set_vgpr_msb 0x44                     ;  msbs: dst=1 src0=0 src1=1 src2=0
	v_mul_i32_i24_e32 v63 /*v319*/, v230, v76 /*v332*/
	s_set_vgpr_msb 64                       ;  msbs: dst=1 src0=0 src1=0 src2=0
	v_mul_i32_i24_e32 v64 /*v320*/, v232, v96
	s_set_vgpr_msb 20                       ;  msbs: dst=0 src0=0 src1=1 src2=1
	v_add3_u32 v93, v93, v59 /*v315*/, v60 /*v316*/
	s_set_vgpr_msb 0x44                     ;  msbs: dst=1 src0=0 src1=1 src2=0
	v_mul_i32_i24_e32 v66 /*v322*/, v234, v75 /*v331*/
	v_mul_i32_i24_e32 v67 /*v323*/, v236, v69 /*v325*/
	;; [unrolled: 1-line block ×3, first 2 shown]
	s_set_vgpr_msb 64                       ;  msbs: dst=1 src0=0 src1=0 src2=0
	v_mul_i32_i24_e32 v74 /*v330*/, v241, v98
	s_set_vgpr_msb 20                       ;  msbs: dst=0 src0=0 src1=1 src2=1
	v_add3_u32 v93, v93, v61 /*v317*/, v62 /*v318*/
	s_set_vgpr_msb 0x44                     ;  msbs: dst=1 src0=0 src1=1 src2=0
	v_mul_i32_i24_e32 v89 /*v345*/, v244, v81 /*v337*/
	v_mul_i32_i24_e32 v90 /*v346*/, v116, v113 /*v369*/
	s_set_vgpr_msb 64                       ;  msbs: dst=1 src0=0 src1=0 src2=0
	v_mul_i32_i24_e32 v59 /*v315*/, v101, v206
	v_mul_i32_i24_e32 v60 /*v316*/, v106, v204
	s_set_vgpr_msb 20                       ;  msbs: dst=0 src0=0 src1=1 src2=1
	v_add3_u32 v93, v93, v63 /*v319*/, v64 /*v320*/
	s_set_vgpr_msb 64                       ;  msbs: dst=1 src0=0 src1=0 src2=0
	v_mul_i32_i24_e32 v61 /*v317*/, v208, v120
	s_set_vgpr_msb 0x44                     ;  msbs: dst=1 src0=0 src1=1 src2=0
	v_mul_i32_i24_e32 v62 /*v318*/, v210, v68 /*v324*/
	v_mul_i32_i24_e32 v63 /*v319*/, v211, v76 /*v332*/
	s_set_vgpr_msb 64                       ;  msbs: dst=1 src0=0 src1=0 src2=0
	v_mul_i32_i24_e32 v64 /*v320*/, v212, v96
	s_set_vgpr_msb 20                       ;  msbs: dst=0 src0=0 src1=1 src2=1
	v_add3_u32 v93, v93, v66 /*v322*/, v67 /*v323*/
	s_set_vgpr_msb 0x44                     ;  msbs: dst=1 src0=0 src1=1 src2=0
	v_mul_i32_i24_e32 v66 /*v322*/, v213, v75 /*v331*/
	v_mul_i32_i24_e32 v67 /*v323*/, v214, v69 /*v325*/
	;; [unrolled: 1-line block ×3, first 2 shown]
	s_wait_dscnt 0x0
	v_bfe_i32 v181 /*v437*/, v3, 0, 8
	s_set_vgpr_msb 20                       ;  msbs: dst=0 src0=0 src1=1 src2=1
	v_add3_u32 v93, v93, v71 /*v327*/, v74 /*v330*/
	s_set_vgpr_msb 0x44                     ;  msbs: dst=1 src0=0 src1=1 src2=0
	v_mul_i32_i24_e32 v71 /*v327*/, v215, v82 /*v338*/
	s_set_vgpr_msb 64                       ;  msbs: dst=1 src0=0 src1=0 src2=0
	v_mul_i32_i24_e32 v74 /*v330*/, v216, v98
	s_set_vgpr_msb 0x45                     ;  msbs: dst=1 src0=1 src1=1 src2=0
	v_mul_i32_i24_e32 v129 /*v385*/, v111 /*v367*/, v70 /*v326*/
	v_mul_i32_i24_e32 v191 /*v447*/, v21 /*v277*/, v181 /*v437*/
	s_set_vgpr_msb 20                       ;  msbs: dst=0 src0=0 src1=1 src2=1
	v_add3_u32 v93, v93, v89 /*v345*/, v90 /*v346*/
	s_set_vgpr_msb 0x45                     ;  msbs: dst=1 src0=1 src1=1 src2=0
	v_mul_i32_i24_e32 v90 /*v346*/, v14 /*v270*/, v81 /*v337*/
	s_set_vgpr_msb 0x44                     ;  msbs: dst=1 src0=0 src1=1 src2=0
	v_mul_i32_i24_e32 v89 /*v345*/, v217, v81 /*v337*/
	v_mul_i32_i24_e32 v195 /*v451*/, v245, v181 /*v437*/
	v_mul_lo_u32 v127 /*v383*/, v93, v57 /*v313*/
	s_set_vgpr_msb 0                        ;  msbs: dst=0 src0=0 src1=0 src2=0
	v_mul_i32_i24_e32 v93, v99, v125
	s_delay_alu instid0(VALU_DEP_1) | instskip(SKIP_1) | instid1(VALU_DEP_1)
	v_mad_i32_i24 v93, v114, v123, v93
	s_set_vgpr_msb 20                       ;  msbs: dst=0 src0=0 src1=1 src2=1
	v_add3_u32 v93, v93, v59 /*v315*/, v60 /*v316*/
	s_set_vgpr_msb 64                       ;  msbs: dst=1 src0=0 src1=0 src2=0
	v_mul_i32_i24_e32 v59 /*v315*/, v205, v118
	v_mul_i32_i24_e32 v60 /*v316*/, v207, v95
	s_set_vgpr_msb 20                       ;  msbs: dst=0 src0=0 src1=1 src2=1
	s_delay_alu instid0(VALU_DEP_1)
	v_add3_u32 v93, v93, v59 /*v315*/, v60 /*v316*/
	s_set_vgpr_msb 64                       ;  msbs: dst=1 src0=0 src1=0 src2=0
	v_mul_i32_i24_e32 v59 /*v315*/, v101, v252
	v_mul_i32_i24_e32 v60 /*v316*/, v106, v248
	s_set_vgpr_msb 0                        ;  msbs: dst=0 src0=0 src1=0 src2=0
	v_mul_i32_i24_e32 v101, v101, v176
	v_mul_i32_i24_e32 v106, v106, v174
	s_set_vgpr_msb 20                       ;  msbs: dst=0 src0=0 src1=1 src2=1
	v_add3_u32 v93, v93, v61 /*v317*/, v62 /*v318*/
	s_set_vgpr_msb 64                       ;  msbs: dst=1 src0=0 src1=0 src2=0
	v_mul_i32_i24_e32 v61 /*v317*/, v254, v120
	s_set_vgpr_msb 0x45                     ;  msbs: dst=1 src0=1 src1=1 src2=0
	v_mul_i32_i24_e32 v62 /*v318*/, v0 /*v256*/, v68 /*v324*/
	s_set_vgpr_msb 20                       ;  msbs: dst=0 src0=0 src1=1 src2=1
	v_add3_u32 v93, v93, v63 /*v319*/, v64 /*v320*/
	s_set_vgpr_msb 0x45                     ;  msbs: dst=1 src0=1 src1=1 src2=0
	v_mul_i32_i24_e32 v63 /*v319*/, v1 /*v257*/, v76 /*v332*/
	s_set_vgpr_msb 0x41                     ;  msbs: dst=1 src0=1 src1=0 src2=0
	v_mul_i32_i24_e32 v64 /*v320*/, v3 /*v259*/, v96
	s_set_vgpr_msb 0                        ;  msbs: dst=0 src0=0 src1=0 src2=0
	v_mul_i32_i24_e32 v96, v181, v96
	s_set_vgpr_msb 20                       ;  msbs: dst=0 src0=0 src1=1 src2=1
	v_add3_u32 v93, v93, v66 /*v322*/, v67 /*v323*/
	s_set_vgpr_msb 0x45                     ;  msbs: dst=1 src0=1 src1=1 src2=0
	v_mul_i32_i24_e32 v66 /*v322*/, v5 /*v261*/, v75 /*v331*/
	v_mul_i32_i24_e32 v67 /*v323*/, v7 /*v263*/, v69 /*v325*/
	s_set_vgpr_msb 0x54                     ;  msbs: dst=1 src0=0 src1=1 src2=1
	v_add3_u32 v108 /*v364*/, v93, v71 /*v327*/, v74 /*v330*/
	s_set_vgpr_msb 0                        ;  msbs: dst=0 src0=0 src1=0 src2=0
	v_mul_i32_i24_e32 v93, v99, v243
	v_mul_i32_i24_e32 v99, v99, v173
	s_set_vgpr_msb 0x45                     ;  msbs: dst=1 src0=1 src1=1 src2=0
	v_mul_i32_i24_e32 v71 /*v327*/, v10 /*v266*/, v82 /*v338*/
	s_set_vgpr_msb 0x41                     ;  msbs: dst=1 src0=1 src1=0 src2=0
	v_mul_i32_i24_e32 v74 /*v330*/, v12 /*v268*/, v98
	s_set_vgpr_msb 0                        ;  msbs: dst=0 src0=0 src1=0 src2=0
	v_mul_i32_i24_e32 v98, v185, v98
	v_mad_i32_i24 v93, v114, v238, v93
	v_mad_i32_i24 v99, v114, v172, v99
	s_set_vgpr_msb 4                        ;  msbs: dst=0 src0=0 src1=1 src2=0
	v_mul_i32_i24_e32 v114, v179, v68 /*v324*/
	s_set_vgpr_msb 0x44                     ;  msbs: dst=1 src0=0 src1=1 src2=0
	v_mul_i32_i24_e32 v68 /*v324*/, v183, v69 /*v325*/
	v_mul_i32_i24_e32 v69 /*v325*/, v184, v82 /*v338*/
	s_set_vgpr_msb 20                       ;  msbs: dst=0 src0=0 src1=1 src2=1
	v_add3_u32 v93, v93, v59 /*v315*/, v60 /*v316*/
	s_set_vgpr_msb 64                       ;  msbs: dst=1 src0=0 src1=0 src2=0
	v_mul_i32_i24_e32 v59 /*v315*/, v250, v118
	v_mul_i32_i24_e32 v60 /*v316*/, v253, v95
	s_set_vgpr_msb 0                        ;  msbs: dst=0 src0=0 src1=0 src2=0
	v_add3_u32 v99, v99, v101, v106
	v_mul_i32_i24_e32 v101, v175, v118
	v_mul_i32_i24_e32 v95, v177, v95
	;; [unrolled: 1-line block ×3, first 2 shown]
	s_set_vgpr_msb 20                       ;  msbs: dst=0 src0=0 src1=1 src2=1
	v_add3_u32 v93, v93, v59 /*v315*/, v60 /*v316*/
	s_set_vgpr_msb 0x41                     ;  msbs: dst=1 src0=1 src1=0 src2=0
	ds_load_u16 v60 /*v316*/, v65 /*v321*/
	s_set_vgpr_msb 4                        ;  msbs: dst=0 src0=0 src1=1 src2=0
	v_mul_i32_i24_e32 v118, v180, v76 /*v332*/
	s_set_vgpr_msb 0                        ;  msbs: dst=0 src0=0 src1=0 src2=0
	v_add3_u32 v95, v99, v101, v95
	s_set_vgpr_msb 20                       ;  msbs: dst=0 src0=0 src1=1 src2=1
	v_mul_i32_i24_e32 v120, v182, v75 /*v331*/
	v_add3_u32 v93, v93, v61 /*v317*/, v62 /*v318*/
	s_set_vgpr_msb 0                        ;  msbs: dst=0 src0=0 src1=0 src2=0
	v_add3_u32 v95, v95, v106, v114
	s_set_vgpr_msb 20                       ;  msbs: dst=0 src0=0 src1=1 src2=1
	s_delay_alu instid0(VALU_DEP_2) | instskip(SKIP_1) | instid1(VALU_DEP_2)
	v_add3_u32 v93, v93, v63 /*v319*/, v64 /*v320*/
	s_set_vgpr_msb 0                        ;  msbs: dst=0 src0=0 src1=0 src2=0
	v_add3_u32 v95, v95, v118, v96
	s_set_vgpr_msb 20                       ;  msbs: dst=0 src0=0 src1=1 src2=1
	s_delay_alu instid0(VALU_DEP_2) | instskip(SKIP_1) | instid1(VALU_DEP_2)
	v_add3_u32 v93, v93, v66 /*v322*/, v67 /*v323*/
	s_set_vgpr_msb 16                       ;  msbs: dst=0 src0=0 src1=0 src2=1
	v_add3_u32 v95, v95, v120, v68 /*v324*/
	s_set_vgpr_msb 20                       ;  msbs: dst=0 src0=0 src1=1 src2=1
	s_delay_alu instid0(VALU_DEP_2)
	v_add3_u32 v93, v93, v71 /*v327*/, v74 /*v330*/
	s_wait_dscnt 0x0
	s_set_vgpr_msb 0x41                     ;  msbs: dst=1 src0=1 src1=0 src2=0
	v_bfe_u32 v61 /*v317*/, v60 /*v316*/, 4, 4
	s_set_vgpr_msb 0x44                     ;  msbs: dst=1 src0=0 src1=1 src2=0
	v_lshrrev_b16 v66 /*v322*/, 8, v60 /*v316*/
	v_and_b32_e32 v60 /*v316*/, 15, v60 /*v316*/
	v_add3_u32 v136 /*v392*/, v95, v69 /*v325*/, v98
	s_set_vgpr_msb 0                        ;  msbs: dst=0 src0=0 src1=0 src2=0
	v_or_b32_e32 v95, s17, v73
	s_set_vgpr_msb 0x44                     ;  msbs: dst=1 src0=0 src1=1 src2=0
	v_mul_lo_u32 v61 /*v317*/, 0x1010101, v61 /*v317*/
	v_and_b32_e32 v59 /*v315*/, 0xffff, v66 /*v322*/
	s_set_vgpr_msb 0                        ;  msbs: dst=0 src0=0 src1=0 src2=0
	v_dual_lshlrev_b32 v96, 2, v95 :: v_dual_lshrrev_b32 v95, 1, v95
	s_set_vgpr_msb 0x44                     ;  msbs: dst=1 src0=0 src1=1 src2=0
	s_delay_alu instid0(VALU_DEP_2)
	v_dual_lshrrev_b32 v59 /*v315*/, 4, v59 /*v315*/ :: v_dual_lshrrev_b32 v65 /*v321*/, 24, v61 /*v317*/
	s_set_vgpr_msb 0x41                     ;  msbs: dst=1 src0=1 src1=0 src2=0
	v_bfe_i32 v62 /*v318*/, v61 /*v317*/, 0, 8
	v_bfe_i32 v63 /*v319*/, v61 /*v317*/, 8, 8
	;; [unrolled: 1-line block ×3, first 2 shown]
	s_set_vgpr_msb 0x44                     ;  msbs: dst=1 src0=0 src1=1 src2=0
	v_mul_lo_u32 v61 /*v317*/, 0x1010101, v59 /*v315*/
	v_mul_i32_i24_e32 v74 /*v330*/, v110, v65 /*v321*/
	v_mul_i32_i24_e32 v93 /*v349*/, v124, v62 /*v318*/
	s_set_vgpr_msb 0x45                     ;  msbs: dst=1 src0=1 src1=1 src2=0
	v_mul_i32_i24_e32 v94 /*v350*/, v87 /*v343*/, v62 /*v318*/
	s_set_vgpr_msb 0x54                     ;  msbs: dst=1 src0=0 src1=1 src2=1
	v_mul_i32_i24_e32 v91 /*v347*/, v111, v64 /*v320*/
	v_mad_i32_i24 v93 /*v349*/, v122, v63 /*v319*/, v93 /*v349*/
	s_set_vgpr_msb 0x55                     ;  msbs: dst=1 src0=1 src1=1 src2=1
	v_mad_i32_i24 v94 /*v350*/, v86 /*v342*/, v63 /*v319*/, v94 /*v350*/
	v_bfe_i32 v67 /*v323*/, v61 /*v317*/, 0, 8
	s_delay_alu instid0(VALU_DEP_3)
	v_add3_u32 v74 /*v330*/, v93 /*v349*/, v91 /*v347*/, v74 /*v330*/
	v_and_b32_e32 v91 /*v347*/, 15, v66 /*v322*/
	v_and_b32_e32 v66 /*v322*/, 0xffff, v60 /*v316*/
	v_mul_i32_i24_e32 v93 /*v349*/, v85 /*v341*/, v64 /*v320*/
	v_bfe_i32 v59 /*v315*/, v61 /*v317*/, 8, 8
	v_mul_i32_i24_e32 v130 /*v386*/, v83 /*v339*/, v67 /*v323*/
	v_and_b32_e32 v60 /*v316*/, 0xffff, v91 /*v347*/
	v_mul_i32_i24_e32 v91 /*v347*/, v84 /*v340*/, v65 /*v321*/
	s_set_vgpr_msb 0x44                     ;  msbs: dst=1 src0=0 src1=1 src2=0
	v_mul_i32_i24_e32 v71 /*v327*/, v108, v67 /*v323*/
	s_set_vgpr_msb 0x55                     ;  msbs: dst=1 src0=1 src1=1 src2=1
	s_delay_alu instid0(VALU_DEP_2) | instskip(SKIP_4) | instid1(VALU_DEP_1)
	v_add3_u32 v131 /*v387*/, v94 /*v350*/, v93 /*v349*/, v91 /*v347*/
	v_mul_i32_i24_e32 v91 /*v347*/, v8 /*v264*/, v88 /*v344*/
	s_set_vgpr_msb 0x44                     ;  msbs: dst=1 src0=0 src1=1 src2=0
	v_mul_i32_i24_e32 v93 /*v349*/, v209, v113 /*v369*/
	s_set_vgpr_msb 20                       ;  msbs: dst=0 src0=0 src1=1 src2=1
	v_add3_u32 v93, v93, v90 /*v346*/, v93 /*v349*/
	s_set_vgpr_msb 0x55                     ;  msbs: dst=1 src0=1 src1=1 src2=1
	v_add3_u32 v90 /*v346*/, v92 /*v348*/, v103 /*v359*/, v91 /*v347*/
	v_mul_i32_i24_e32 v91 /*v347*/, v109 /*v365*/, v62 /*v318*/
	s_set_vgpr_msb 0x44                     ;  msbs: dst=1 src0=0 src1=1 src2=0
	v_mul_lo_u32 v133 /*v389*/, v93, v66 /*v322*/
	s_set_vgpr_msb 0x45                     ;  msbs: dst=1 src0=1 src1=1 src2=0
	v_mul_lo_u32 v132 /*v388*/, v90 /*v346*/, v60 /*v316*/
	s_set_vgpr_msb 5                        ;  msbs: dst=0 src0=1 src1=1 src2=0
	v_mul_i32_i24_e32 v93, v112 /*v368*/, v65 /*v321*/
	s_set_vgpr_msb 0x55                     ;  msbs: dst=1 src0=1 src1=1 src2=1
	v_mul_i32_i24_e32 v90 /*v346*/, v110 /*v366*/, v64 /*v320*/
	v_mad_i32_i24 v91 /*v347*/, v111 /*v367*/, v63 /*v319*/, v91 /*v347*/
	s_set_vgpr_msb 0x45                     ;  msbs: dst=1 src0=1 src1=1 src2=0
	s_delay_alu instid0(VALU_DEP_1)
	v_add3_u32 v134 /*v390*/, v91 /*v347*/, v90 /*v346*/, v93
	s_set_vgpr_msb 0                        ;  msbs: dst=0 src0=0 src1=0 src2=0
	ds_load_b32 v95, v95 offset:30368
	s_set_vgpr_msb 64                       ;  msbs: dst=1 src0=0 src1=0 src2=0
	ds_load_b128 v[90:93] /*v[346:349]*/, v96 offset:16896
	ds_load_b128 v[94:97] /*v[350:353]*/, v96 offset:16912
	s_set_vgpr_msb 0                        ;  msbs: dst=0 src0=0 src1=0 src2=0
	v_mov_b32_e32 v93, v90
	s_wait_dscnt 0x1
	s_set_vgpr_msb 0x41                     ;  msbs: dst=1 src0=1 src1=0 src2=0
	v_bfe_i32 v98 /*v354*/, v93 /*v349*/, 0, 8
	v_bfe_i32 v103 /*v359*/, v93 /*v349*/, 8, 8
	;; [unrolled: 1-line block ×3, first 2 shown]
	s_set_vgpr_msb 0x44                     ;  msbs: dst=1 src0=0 src1=1 src2=0
	v_ashrrev_i32_e32 v93 /*v349*/, 24, v93 /*v349*/
	s_wait_dscnt 0x0
	s_set_vgpr_msb 0x41                     ;  msbs: dst=1 src0=1 src1=0 src2=0
	v_bfe_i32 v114 /*v370*/, v94 /*v350*/, 0, 8
	v_bfe_i32 v115 /*v371*/, v94 /*v350*/, 8, 8
	v_bfe_i32 v116 /*v372*/, v94 /*v350*/, 16, 8
	s_set_vgpr_msb 0x44                     ;  msbs: dst=1 src0=0 src1=1 src2=0
	v_ashrrev_i32_e32 v94 /*v350*/, 24, v94 /*v350*/
	s_set_vgpr_msb 0x41                     ;  msbs: dst=1 src0=1 src1=0 src2=0
	v_bfe_i32 v117 /*v373*/, v95 /*v351*/, 0, 8
	v_bfe_i32 v118 /*v374*/, v95 /*v351*/, 8, 8
	v_bfe_i32 v119 /*v375*/, v95 /*v351*/, 16, 8
	s_set_vgpr_msb 0x44                     ;  msbs: dst=1 src0=0 src1=1 src2=0
	v_ashrrev_i32_e32 v95 /*v351*/, 24, v95 /*v351*/
	;; [unrolled: 6-line block ×4, first 2 shown]
	s_set_vgpr_msb 5                        ;  msbs: dst=0 src0=1 src1=1 src2=0
	v_add_nc_u32_e32 v96, v95 /*v351*/, v94 /*v350*/
	v_ashrrev_i32_e32 v114, 24, v90 /*v346*/
	s_set_vgpr_msb 0x44                     ;  msbs: dst=1 src0=0 src1=1 src2=0
	v_ashrrev_i32_e32 v81 /*v337*/, 24, v91 /*v347*/
	s_set_vgpr_msb 1                        ;  msbs: dst=0 src0=1 src1=0 src2=0
	v_bfe_i32 v98, v90 /*v346*/, 0, 8
	v_bfe_i32 v99, v90 /*v346*/, 8, 8
	s_set_vgpr_msb 0x54                     ;  msbs: dst=1 src0=0 src1=1 src2=1
	v_add3_u32 v68 /*v324*/, v96, v96 /*v352*/, v97 /*v353*/
	s_set_vgpr_msb 5                        ;  msbs: dst=0 src0=1 src1=1 src2=0
	v_add_nc_u32_e32 v96, v119 /*v375*/, v116 /*v372*/
	v_bfe_i32 v101, v90 /*v346*/, 16, 8
	v_bfe_i32 v118, v91 /*v347*/, 0, 8
	v_bfe_i32 v120, v91 /*v347*/, 8, 8
	s_set_vgpr_msb 0x41                     ;  msbs: dst=1 src0=1 src1=0 src2=0
	v_bfe_i32 v76 /*v332*/, v91 /*v347*/, 16, 8
	s_set_vgpr_msb 0x54                     ;  msbs: dst=1 src0=0 src1=1 src2=1
	v_add3_u32 v69 /*v325*/, v96, v122 /*v378*/, v126 /*v382*/
	s_set_vgpr_msb 5                        ;  msbs: dst=0 src0=1 src1=1 src2=0
	v_add_nc_u32_e32 v96, v117 /*v373*/, v114 /*v370*/
	s_set_vgpr_msb 0x41                     ;  msbs: dst=1 src0=1 src1=0 src2=0
	v_bfe_i32 v82 /*v338*/, v92 /*v348*/, 0, 8
	v_bfe_i32 v90 /*v346*/, v92 /*v348*/, 8, 8
	;; [unrolled: 1-line block ×3, first 2 shown]
	s_set_vgpr_msb 0x54                     ;  msbs: dst=1 src0=0 src1=1 src2=1
	v_ashrrev_i32_e32 v92 /*v348*/, 24, v92 /*v348*/
	v_add3_u32 v137 /*v393*/, v96, v120 /*v376*/, v123 /*v379*/
	s_set_vgpr_msb 5                        ;  msbs: dst=0 src0=1 src1=1 src2=0
	v_add_nc_u32_e32 v96, v118 /*v374*/, v115 /*v371*/
	s_set_vgpr_msb 0                        ;  msbs: dst=0 src0=0 src1=0 src2=0
	v_mul_i32_i24_e32 v106, v224, v101
	s_set_vgpr_msb 64                       ;  msbs: dst=1 src0=0 src1=0 src2=0
	v_mul_i32_i24_e32 v75 /*v331*/, v127, v114
	s_set_vgpr_msb 0x54                     ;  msbs: dst=1 src0=0 src1=1 src2=1
	v_mul_i32_i24_e32 v128 /*v384*/, v226, v76 /*v332*/
	v_mul_i32_i24_e32 v143 /*v399*/, v228, v81 /*v337*/
	v_add3_u32 v138 /*v394*/, v96, v121 /*v377*/, v124 /*v380*/
	s_set_vgpr_msb 1                        ;  msbs: dst=0 src0=1 src1=0 src2=0
	v_add_nc_u32_e32 v96, v81 /*v337*/, v114
	s_set_vgpr_msb 0x54                     ;  msbs: dst=1 src0=0 src1=1 src2=1
	v_mul_i32_i24_e32 v144 /*v400*/, v230, v82 /*v338*/
	v_mul_i32_i24_e32 v145 /*v401*/, v232, v90 /*v346*/
	;; [unrolled: 1-line block ×4, first 2 shown]
	v_add3_u32 v139 /*v395*/, v96, v92 /*v348*/, v93 /*v349*/
	s_set_vgpr_msb 1                        ;  msbs: dst=0 src0=1 src1=0 src2=0
	v_add_nc_u32_e32 v96, v76 /*v332*/, v101
	s_set_vgpr_msb 0x54                     ;  msbs: dst=1 src0=0 src1=1 src2=1
	v_mul_i32_i24_e32 v148 /*v404*/, v239, v98 /*v354*/
	v_mul_i32_i24_e32 v149 /*v405*/, v241, v103 /*v359*/
	;; [unrolled: 1-line block ×4, first 2 shown]
	v_add3_u32 v140 /*v396*/, v96, v91 /*v347*/, v104 /*v360*/
	s_set_vgpr_msb 0                        ;  msbs: dst=0 src0=0 src1=0 src2=0
	v_add_nc_u32_e32 v96, v120, v99
	s_set_vgpr_msb 0x54                     ;  msbs: dst=1 src0=0 src1=1 src2=1
	v_mul_i32_i24_e32 v152 /*v408*/, v246, v97 /*v353*/
	v_mul_i32_i24_e32 v153 /*v409*/, v109, v93 /*v349*/
	;; [unrolled: 1-line block ×4, first 2 shown]
	v_add3_u32 v141 /*v397*/, v96, v90 /*v346*/, v103 /*v359*/
	s_set_vgpr_msb 0                        ;  msbs: dst=0 src0=0 src1=0 src2=0
	v_add_nc_u32_e32 v96, v118, v98
	s_set_vgpr_msb 0x45                     ;  msbs: dst=1 src0=1 src1=1 src2=0
	v_mul_i32_i24_e32 v156 /*v412*/, v8 /*v264*/, v97 /*v353*/
	s_set_vgpr_msb 0x54                     ;  msbs: dst=1 src0=0 src1=1 src2=1
	v_mul_i32_i24_e32 v93 /*v349*/, v188, v93 /*v349*/
	v_add3_u32 v142 /*v398*/, v96, v82 /*v338*/, v98 /*v354*/
	s_set_vgpr_msb 0                        ;  msbs: dst=0 src0=0 src1=0 src2=0
	v_mul_i32_i24_e32 v96, v121, v98
	s_delay_alu instid0(VALU_DEP_1) | instskip(SKIP_1) | instid1(VALU_DEP_1)
	v_mad_i32_i24 v96, v119, v99, v96
	s_set_vgpr_msb 16                       ;  msbs: dst=0 src0=0 src1=0 src2=1
	v_add3_u32 v96, v96, v106, v75 /*v331*/
	v_mul_i32_i24_e32 v106, v222, v118
	s_set_vgpr_msb 64                       ;  msbs: dst=1 src0=0 src1=0 src2=0
	v_mul_i32_i24_e32 v75 /*v331*/, v225, v120
	s_set_vgpr_msb 16                       ;  msbs: dst=0 src0=0 src1=0 src2=1
	s_delay_alu instid0(VALU_DEP_1)
	v_add3_u32 v96, v96, v106, v75 /*v331*/
	s_set_vgpr_msb 4                        ;  msbs: dst=0 src0=0 src1=1 src2=0
	v_mul_i32_i24_e32 v106, v255, v114 /*v370*/
	s_set_vgpr_msb 0x45                     ;  msbs: dst=1 src0=1 src1=1 src2=0
	v_mul_i32_i24_e32 v75 /*v331*/, v2 /*v258*/, v116 /*v372*/
	s_set_vgpr_msb 20                       ;  msbs: dst=0 src0=0 src1=1 src2=1
	v_add3_u32 v96, v96, v128 /*v384*/, v143 /*v399*/
	s_set_vgpr_msb 0x45                     ;  msbs: dst=1 src0=1 src1=1 src2=0
	v_mul_i32_i24_e32 v128 /*v384*/, v4 /*v260*/, v94 /*v350*/
	s_set_vgpr_msb 4                        ;  msbs: dst=0 src0=0 src1=1 src2=0
	v_mad_i32_i24 v106, v251, v115 /*v371*/, v106
	s_set_vgpr_msb 0x45                     ;  msbs: dst=1 src0=1 src1=1 src2=0
	v_mul_i32_i24_e32 v143 /*v399*/, v11 /*v267*/, v119 /*v375*/
	s_set_vgpr_msb 20                       ;  msbs: dst=0 src0=0 src1=1 src2=1
	v_add3_u32 v96, v96, v144 /*v400*/, v145 /*v401*/
	s_set_vgpr_msb 0x45                     ;  msbs: dst=1 src0=1 src1=1 src2=0
	v_mul_i32_i24_e32 v144 /*v400*/, v13 /*v269*/, v95 /*v351*/
	s_set_vgpr_msb 20                       ;  msbs: dst=0 src0=0 src1=1 src2=1
	v_add3_u32 v106, v106, v75 /*v331*/, v128 /*v384*/
	s_set_vgpr_msb 0x45                     ;  msbs: dst=1 src0=1 src1=1 src2=0
	v_mul_i32_i24_e32 v75 /*v331*/, v6 /*v262*/, v117 /*v373*/
	v_mul_i32_i24_e32 v128 /*v384*/, v9 /*v265*/, v118 /*v374*/
	s_set_vgpr_msb 20                       ;  msbs: dst=0 src0=0 src1=1 src2=1
	v_add3_u32 v96, v96, v146 /*v402*/, v147 /*v403*/
	s_set_vgpr_msb 0x45                     ;  msbs: dst=1 src0=1 src1=1 src2=0
	v_mul_i32_i24_e32 v145 /*v401*/, v15 /*v271*/, v120 /*v376*/
	v_mul_i32_i24_e32 v146 /*v402*/, v16 /*v272*/, v121 /*v377*/
	v_mul_i32_i24_e32 v147 /*v403*/, v17 /*v273*/, v122 /*v378*/
	s_set_vgpr_msb 20                       ;  msbs: dst=0 src0=0 src1=1 src2=1
	v_add3_u32 v106, v106, v75 /*v331*/, v128 /*v384*/
	v_add3_u32 v96, v96, v148 /*v404*/, v149 /*v405*/
	s_set_vgpr_msb 0x45                     ;  msbs: dst=1 src0=1 src1=1 src2=0
	v_mul_i32_i24_e32 v148 /*v404*/, v19 /*v275*/, v96 /*v352*/
	v_mul_i32_i24_e32 v149 /*v405*/, v21 /*v277*/, v123 /*v379*/
	v_mul_i32_i24_e32 v75 /*v331*/, v137 /*v393*/, v58 /*v314*/
	s_set_vgpr_msb 20                       ;  msbs: dst=0 src0=0 src1=1 src2=1
	v_add3_u32 v106, v106, v143 /*v399*/, v144 /*v400*/
	;; [unrolled: 7-line block ×3, first 2 shown]
	v_mul_lo_u32 v96, v96, v57 /*v313*/
	s_set_vgpr_msb 0x45                     ;  msbs: dst=1 src0=1 src1=1 src2=0
	v_mul_i32_i24_e32 v145 /*v401*/, v142 /*v398*/, v72 /*v328*/
	v_mul_i32_i24_e32 v144 /*v400*/, v140 /*v396*/, v73 /*v329*/
	;; [unrolled: 1-line block ×3, first 2 shown]
	s_set_vgpr_msb 20                       ;  msbs: dst=0 src0=0 src1=1 src2=1
	v_add3_u32 v106, v106, v147 /*v403*/, v148 /*v404*/
	s_set_vgpr_msb 0x44                     ;  msbs: dst=1 src0=0 src1=1 src2=0
	v_mul_i32_i24_e32 v146 /*v402*/, v211, v82 /*v338*/
	s_set_vgpr_msb 0x55                     ;  msbs: dst=1 src0=1 src1=1 src2=1
	v_mad_i32_i24 v145 /*v401*/, v141 /*v397*/, v70 /*v326*/, v145 /*v401*/
	s_set_vgpr_msb 0x44                     ;  msbs: dst=1 src0=0 src1=1 src2=0
	v_mul_i32_i24_e32 v147 /*v403*/, v212, v90 /*v346*/
	v_mul_i32_i24_e32 v148 /*v404*/, v213, v91 /*v347*/
	s_set_vgpr_msb 20                       ;  msbs: dst=0 src0=0 src1=1 src2=1
	v_add3_u32 v106, v106, v149 /*v405*/, v150 /*v406*/
	s_set_vgpr_msb 0x44                     ;  msbs: dst=1 src0=0 src1=1 src2=0
	v_mul_i32_i24_e32 v149 /*v405*/, v214, v92 /*v348*/
	s_set_vgpr_msb 0x55                     ;  msbs: dst=1 src0=1 src1=1 src2=1
	v_add3_u32 v143 /*v399*/, v145 /*v401*/, v144 /*v400*/, v143 /*v399*/
	s_set_vgpr_msb 0x44                     ;  msbs: dst=1 src0=0 src1=1 src2=0
	v_mul_i32_i24_e32 v144 /*v400*/, v208, v76 /*v332*/
	v_mul_i32_i24_e32 v145 /*v401*/, v210, v81 /*v337*/
	s_set_vgpr_msb 20                       ;  msbs: dst=0 src0=0 src1=1 src2=1
	v_add3_u32 v106, v106, v151 /*v407*/, v152 /*v408*/
	s_set_vgpr_msb 0x44                     ;  msbs: dst=1 src0=0 src1=1 src2=0
	v_mul_i32_i24_e32 v150 /*v406*/, v215, v98 /*v354*/
	s_set_vgpr_msb 0x55                     ;  msbs: dst=1 src0=1 src1=1 src2=1
	v_add3_u32 v143 /*v399*/, v143 /*v399*/, v75 /*v331*/, v128 /*v384*/
	s_set_vgpr_msb 64                       ;  msbs: dst=1 src0=0 src1=0 src2=0
	v_mul_i32_i24_e32 v75 /*v331*/, v206, v101
	v_mul_i32_i24_e32 v128 /*v384*/, v204, v114
	s_set_vgpr_msb 4                        ;  msbs: dst=0 src0=0 src1=1 src2=0
	v_mad_u32 v96, v106, v54 /*v310*/, v96
	s_set_vgpr_msb 0x44                     ;  msbs: dst=1 src0=0 src1=1 src2=0
	v_mul_i32_i24_e32 v151 /*v407*/, v216, v103 /*v359*/
	v_mul_i32_i24_e32 v152 /*v408*/, v217, v104 /*v360*/
	s_set_vgpr_msb 0                        ;  msbs: dst=0 src0=0 src1=0 src2=0
	s_delay_alu instid0(VALU_DEP_3) | instskip(SKIP_1) | instid1(VALU_DEP_1)
	v_cvt_f32_i32_e32 v106, v96
	v_mul_i32_i24_e32 v96, v125, v98
	v_mad_i32_i24 v96, v123, v99, v96
	s_set_vgpr_msb 20                       ;  msbs: dst=0 src0=0 src1=1 src2=1
	s_delay_alu instid0(VALU_DEP_1) | instskip(SKIP_4) | instid1(VALU_DEP_1)
	v_add3_u32 v96, v96, v75 /*v331*/, v128 /*v384*/
	s_set_vgpr_msb 64                       ;  msbs: dst=1 src0=0 src1=0 src2=0
	v_mul_i32_i24_e32 v75 /*v331*/, v205, v118
	v_mul_i32_i24_e32 v128 /*v384*/, v207, v120
	s_set_vgpr_msb 20                       ;  msbs: dst=0 src0=0 src1=1 src2=1
	v_add3_u32 v96, v96, v75 /*v331*/, v128 /*v384*/
	s_set_vgpr_msb 0x44                     ;  msbs: dst=1 src0=0 src1=1 src2=0
	v_mul_i32_i24_e32 v75 /*v331*/, v221, v116 /*v372*/
	s_set_vgpr_msb 20                       ;  msbs: dst=0 src0=0 src1=1 src2=1
	s_delay_alu instid0(VALU_DEP_2)
	v_add3_u32 v96, v96, v144 /*v400*/, v145 /*v401*/
	s_set_vgpr_msb 0x44                     ;  msbs: dst=1 src0=0 src1=1 src2=0
	v_mul_i32_i24_e32 v144 /*v400*/, v223, v94 /*v350*/
	v_mul_i32_i24_e32 v145 /*v401*/, v231, v119 /*v375*/
	s_set_vgpr_msb 20                       ;  msbs: dst=0 src0=0 src1=1 src2=1
	v_add3_u32 v96, v96, v146 /*v402*/, v147 /*v403*/
	s_set_vgpr_msb 0x44                     ;  msbs: dst=1 src0=0 src1=1 src2=0
	v_mul_i32_i24_e32 v146 /*v402*/, v233, v95 /*v351*/
	v_mul_i32_i24_e32 v147 /*v403*/, v235, v120 /*v376*/
	s_set_vgpr_msb 20                       ;  msbs: dst=0 src0=0 src1=1 src2=1
	;; [unrolled: 5-line block ×3, first 2 shown]
	v_add3_u32 v96, v96, v150 /*v406*/, v151 /*v407*/
	s_set_vgpr_msb 0x54                     ;  msbs: dst=1 src0=0 src1=1 src2=1
	v_mul_i32_i24_e32 v150 /*v406*/, v242, v96 /*v352*/
	v_mul_i32_i24_e32 v151 /*v407*/, v245, v123 /*v379*/
	s_delay_alu instid0(VALU_DEP_3)
	v_add3_u32 v128 /*v384*/, v96, v152 /*v408*/, v153 /*v409*/
	s_set_vgpr_msb 4                        ;  msbs: dst=0 src0=0 src1=1 src2=0
	v_mul_i32_i24_e32 v96, v220, v114 /*v370*/
	s_set_vgpr_msb 0x44                     ;  msbs: dst=1 src0=0 src1=1 src2=0
	v_mul_i32_i24_e32 v152 /*v408*/, v247, v124 /*v380*/
	v_mul_i32_i24_e32 v153 /*v409*/, v249, v126 /*v382*/
	s_set_vgpr_msb 4                        ;  msbs: dst=0 src0=0 src1=1 src2=0
	v_mad_i32_i24 v96, v219, v115 /*v371*/, v96
	s_set_vgpr_msb 20                       ;  msbs: dst=0 src0=0 src1=1 src2=1
	s_delay_alu instid0(VALU_DEP_1) | instskip(SKIP_4) | instid1(VALU_DEP_1)
	v_add3_u32 v96, v96, v75 /*v331*/, v144 /*v400*/
	s_set_vgpr_msb 0x44                     ;  msbs: dst=1 src0=0 src1=1 src2=0
	v_mul_i32_i24_e32 v75 /*v331*/, v227, v117 /*v373*/
	v_mul_i32_i24_e32 v144 /*v400*/, v229, v118 /*v374*/
	s_set_vgpr_msb 20                       ;  msbs: dst=0 src0=0 src1=1 src2=1
	v_add3_u32 v96, v96, v75 /*v331*/, v144 /*v400*/
	s_set_vgpr_msb 64                       ;  msbs: dst=1 src0=0 src1=0 src2=0
	v_mul_i32_i24_e32 v75 /*v331*/, v252, v101
	s_set_vgpr_msb 0                        ;  msbs: dst=0 src0=0 src1=0 src2=0
	v_mul_i32_i24_e32 v101, v176, v101
	s_set_vgpr_msb 20                       ;  msbs: dst=0 src0=0 src1=1 src2=1
	v_add3_u32 v96, v96, v145 /*v401*/, v146 /*v402*/
	s_set_vgpr_msb 64                       ;  msbs: dst=1 src0=0 src1=0 src2=0
	v_mul_i32_i24_e32 v145 /*v401*/, v248, v114
	s_set_vgpr_msb 0x44                     ;  msbs: dst=1 src0=0 src1=1 src2=0
	v_mul_i32_i24_e32 v146 /*v402*/, v254, v76 /*v332*/
	s_set_vgpr_msb 0                        ;  msbs: dst=0 src0=0 src1=0 src2=0
	v_mul_i32_i24_e32 v114, v174, v114
	s_set_vgpr_msb 20                       ;  msbs: dst=0 src0=0 src1=1 src2=1
	v_add3_u32 v96, v96, v147 /*v403*/, v148 /*v404*/
	s_set_vgpr_msb 0x45                     ;  msbs: dst=1 src0=1 src1=1 src2=0
	v_mul_i32_i24_e32 v147 /*v403*/, v0 /*v256*/, v81 /*v337*/
	v_mul_i32_i24_e32 v148 /*v404*/, v1 /*v257*/, v82 /*v338*/
	s_set_vgpr_msb 20                       ;  msbs: dst=0 src0=0 src1=1 src2=1
	v_add3_u32 v96, v96, v149 /*v405*/, v150 /*v406*/
	s_set_vgpr_msb 0x45                     ;  msbs: dst=1 src0=1 src1=1 src2=0
	v_mul_i32_i24_e32 v149 /*v405*/, v3 /*v259*/, v90 /*v346*/
	v_mul_i32_i24_e32 v150 /*v406*/, v5 /*v261*/, v91 /*v347*/
	;; [unrolled: 5-line block ×3, first 2 shown]
	s_set_vgpr_msb 0x54                     ;  msbs: dst=1 src0=0 src1=1 src2=1
	v_add3_u32 v144 /*v400*/, v96, v153 /*v409*/, v154 /*v410*/
	s_set_vgpr_msb 0                        ;  msbs: dst=0 src0=0 src1=0 src2=0
	v_mul_i32_i24_e32 v96, v243, v98
	v_mul_i32_i24_e32 v98, v173, v98
	s_set_vgpr_msb 0x45                     ;  msbs: dst=1 src0=1 src1=1 src2=0
	v_mul_i32_i24_e32 v153 /*v409*/, v12 /*v268*/, v103 /*v359*/
	v_mul_i32_i24_e32 v154 /*v410*/, v14 /*v270*/, v104 /*v360*/
	s_set_vgpr_msb 0                        ;  msbs: dst=0 src0=0 src1=0 src2=0
	v_mad_i32_i24 v96, v238, v99, v96
	v_mad_i32_i24 v98, v172, v99, v98
	v_mul_i32_i24_e32 v99, v175, v118
	s_set_vgpr_msb 20                       ;  msbs: dst=0 src0=0 src1=1 src2=1
	s_delay_alu instid0(VALU_DEP_3)
	v_add3_u32 v96, v96, v75 /*v331*/, v145 /*v401*/
	s_set_vgpr_msb 64                       ;  msbs: dst=1 src0=0 src1=0 src2=0
	v_mul_i32_i24_e32 v75 /*v331*/, v250, v118
	v_mul_i32_i24_e32 v145 /*v401*/, v253, v120
	s_set_vgpr_msb 0                        ;  msbs: dst=0 src0=0 src1=0 src2=0
	v_add3_u32 v98, v98, v101, v114
	v_mul_i32_i24_e32 v101, v177, v120
	s_set_vgpr_msb 20                       ;  msbs: dst=0 src0=0 src1=1 src2=1
	v_mul_i32_i24_e32 v114, v178, v76 /*v332*/
	v_mul_i32_i24_e32 v118, v179, v81 /*v337*/
	v_add3_u32 v96, v96, v75 /*v331*/, v145 /*v401*/
	s_set_vgpr_msb 0x45                     ;  msbs: dst=1 src0=1 src1=1 src2=0
	v_mul_i32_i24_e32 v75 /*v331*/, v20 /*v276*/, v114 /*v370*/
	v_mul_i32_i24_e32 v145 /*v401*/, v23 /*v279*/, v116 /*v372*/
	s_set_vgpr_msb 0                        ;  msbs: dst=0 src0=0 src1=0 src2=0
	v_add3_u32 v98, v98, v99, v101
	s_set_vgpr_msb 20                       ;  msbs: dst=0 src0=0 src1=1 src2=1
	v_mul_i32_i24_e32 v120, v180, v82 /*v338*/
	v_add3_u32 v96, v96, v146 /*v402*/, v147 /*v403*/
	s_set_vgpr_msb 0x55                     ;  msbs: dst=1 src0=1 src1=1 src2=1
	v_mul_i32_i24_e32 v146 /*v402*/, v25 /*v281*/, v94 /*v350*/
	v_mad_i32_i24 v75 /*v331*/, v18 /*v274*/, v115 /*v371*/, v75 /*v331*/
	v_mul_i32_i24_e32 v147 /*v403*/, v28 /*v284*/, v119 /*v375*/
	s_set_vgpr_msb 0x44                     ;  msbs: dst=1 src0=0 src1=1 src2=0
	v_mul_i32_i24_e32 v76 /*v332*/, v181, v90 /*v346*/
	s_set_vgpr_msb 20                       ;  msbs: dst=0 src0=0 src1=1 src2=1
	v_add3_u32 v96, v96, v148 /*v404*/, v149 /*v405*/
	s_set_vgpr_msb 0x55                     ;  msbs: dst=1 src0=1 src1=1 src2=1
	v_mul_i32_i24_e32 v148 /*v404*/, v29 /*v285*/, v95 /*v351*/
	v_add3_u32 v75 /*v331*/, v75 /*v331*/, v145 /*v401*/, v146 /*v402*/
	v_mul_i32_i24_e32 v145 /*v401*/, v26 /*v282*/, v117 /*v373*/
	v_mul_i32_i24_e32 v146 /*v402*/, v27 /*v283*/, v118 /*v374*/
	s_set_vgpr_msb 20                       ;  msbs: dst=0 src0=0 src1=1 src2=1
	v_add3_u32 v96, v96, v150 /*v406*/, v151 /*v407*/
	s_set_vgpr_msb 0x55                     ;  msbs: dst=1 src0=1 src1=1 src2=1
	v_mul_i32_i24_e32 v149 /*v405*/, v30 /*v286*/, v120 /*v376*/
	v_mul_i32_i24_e32 v150 /*v406*/, v31 /*v287*/, v121 /*v377*/
	v_mul_i32_i24_e32 v151 /*v407*/, v32 /*v288*/, v122 /*v378*/
	v_add3_u32 v75 /*v331*/, v75 /*v331*/, v145 /*v401*/, v146 /*v402*/
	s_set_vgpr_msb 20                       ;  msbs: dst=0 src0=0 src1=1 src2=1
	v_add3_u32 v96, v96, v152 /*v408*/, v153 /*v409*/
	s_set_vgpr_msb 0x45                     ;  msbs: dst=1 src0=1 src1=1 src2=0
	v_mul_i32_i24_e32 v152 /*v408*/, v33 /*v289*/, v96 /*v352*/
	s_set_vgpr_msb 0                        ;  msbs: dst=0 src0=0 src1=0 src2=0
	v_add3_u32 v98, v98, v114, v118
	s_set_vgpr_msb 0x55                     ;  msbs: dst=1 src0=1 src1=1 src2=1
	v_mul_i32_i24_e32 v153 /*v409*/, v34 /*v290*/, v123 /*v379*/
	v_add3_u32 v75 /*v331*/, v75 /*v331*/, v147 /*v403*/, v148 /*v404*/
	s_set_vgpr_msb 20                       ;  msbs: dst=0 src0=0 src1=1 src2=1
	v_add3_u32 v96, v96, v154 /*v410*/, v155 /*v411*/
	s_set_vgpr_msb 0x45                     ;  msbs: dst=1 src0=1 src1=1 src2=0
	v_mul_i32_i24_e32 v154 /*v410*/, v35 /*v291*/, v124 /*v380*/
	s_set_vgpr_msb 0x44                     ;  msbs: dst=1 src0=0 src1=1 src2=0
	v_mul_i32_i24_e32 v81 /*v337*/, v182, v91 /*v347*/
	v_mul_i32_i24_e32 v82 /*v338*/, v183, v92 /*v348*/
	s_set_vgpr_msb 0x55                     ;  msbs: dst=1 src0=1 src1=1 src2=1
	v_add3_u32 v75 /*v331*/, v75 /*v331*/, v149 /*v405*/, v150 /*v406*/
	s_set_vgpr_msb 16                       ;  msbs: dst=0 src0=0 src1=0 src2=1
	v_add3_u32 v98, v98, v120, v76 /*v332*/
	s_set_vgpr_msb 4                        ;  msbs: dst=0 src0=0 src1=1 src2=0
	v_mul_lo_u32 v96, v96, v66 /*v322*/
	s_set_vgpr_msb 0x45                     ;  msbs: dst=1 src0=1 src1=1 src2=0
	v_mul_i32_i24_e32 v155 /*v411*/, v36 /*v292*/, v126 /*v382*/
	s_set_vgpr_msb 0x44                     ;  msbs: dst=1 src0=0 src1=1 src2=0
	v_mul_i32_i24_e32 v90 /*v346*/, v184, v98 /*v354*/
	s_set_vgpr_msb 0x55                     ;  msbs: dst=1 src0=1 src1=1 src2=1
	v_add3_u32 v75 /*v331*/, v75 /*v331*/, v151 /*v407*/, v152 /*v408*/
	s_set_vgpr_msb 0x44                     ;  msbs: dst=1 src0=0 src1=1 src2=0
	v_mul_i32_i24_e32 v91 /*v347*/, v185, v103 /*v359*/
	s_set_vgpr_msb 20                       ;  msbs: dst=0 src0=0 src1=1 src2=1
	v_add3_u32 v98, v98, v81 /*v337*/, v82 /*v338*/
	s_set_vgpr_msb 0x44                     ;  msbs: dst=1 src0=0 src1=1 src2=0
	v_mul_i32_i24_e32 v92 /*v348*/, v186, v104 /*v360*/
	s_set_vgpr_msb 4                        ;  msbs: dst=0 src0=0 src1=1 src2=0
	v_mul_i32_i24_e32 v99, v190, v116 /*v372*/
	s_set_vgpr_msb 0x55                     ;  msbs: dst=1 src0=1 src1=1 src2=1
	v_add3_u32 v75 /*v331*/, v75 /*v331*/, v153 /*v409*/, v154 /*v410*/
	s_set_vgpr_msb 20                       ;  msbs: dst=0 src0=0 src1=1 src2=1
	v_mul_i32_i24_e32 v101, v191, v94 /*v350*/
	v_add3_u32 v98, v98, v90 /*v346*/, v91 /*v347*/
	v_mul_i32_i24_e32 v114, v194, v119 /*v375*/
	v_mul_i32_i24_e32 v118, v195, v95 /*v351*/
	s_set_vgpr_msb 0x55                     ;  msbs: dst=1 src0=1 src1=1 src2=1
	v_add3_u32 v145 /*v401*/, v75 /*v331*/, v155 /*v411*/, v156 /*v412*/
	s_set_vgpr_msb 4                        ;  msbs: dst=0 src0=0 src1=1 src2=0
	v_mul_i32_i24_e32 v120, v196, v120 /*v376*/
	s_set_vgpr_msb 0x44                     ;  msbs: dst=1 src0=0 src1=1 src2=0
	v_mul_i32_i24_e32 v76 /*v332*/, v197, v121 /*v377*/
	s_set_vgpr_msb 0x45                     ;  msbs: dst=1 src0=1 src1=1 src2=0
	v_mul_i32_i24_e32 v149 /*v405*/, v142 /*v398*/, v62 /*v318*/
	s_set_vgpr_msb 0x44                     ;  msbs: dst=1 src0=0 src1=1 src2=0
	v_mul_i32_i24_e32 v81 /*v337*/, v198, v122 /*v378*/
	s_set_vgpr_msb 5                        ;  msbs: dst=0 src0=1 src1=1 src2=0
	v_mad_u32 v96, v145 /*v401*/, v60 /*v316*/, v96
	s_set_vgpr_msb 0x54                     ;  msbs: dst=1 src0=0 src1=1 src2=1
	v_add3_u32 v145 /*v401*/, v98, v92 /*v348*/, v93 /*v349*/
	s_set_vgpr_msb 4                        ;  msbs: dst=0 src0=0 src1=1 src2=0
	v_mul_i32_i24_e32 v98, v189, v114 /*v370*/
	s_set_vgpr_msb 0x44                     ;  msbs: dst=1 src0=0 src1=1 src2=0
	v_mul_i32_i24_e32 v82 /*v338*/, v199, v96 /*v352*/
	s_set_vgpr_msb 0x55                     ;  msbs: dst=1 src0=1 src1=1 src2=1
	v_mul_i32_i24_e32 v147 /*v403*/, v139 /*v395*/, v65 /*v321*/
	v_mul_i32_i24_e32 v148 /*v404*/, v140 /*v396*/, v64 /*v320*/
	v_mad_i32_i24 v149 /*v405*/, v141 /*v397*/, v63 /*v319*/, v149 /*v405*/
	s_set_vgpr_msb 4                        ;  msbs: dst=0 src0=0 src1=1 src2=0
	v_mad_i32_i24 v98, v187, v115 /*v371*/, v98
	s_set_vgpr_msb 0x44                     ;  msbs: dst=1 src0=0 src1=1 src2=0
	v_mul_i32_i24_e32 v90 /*v346*/, v200, v123 /*v379*/
	v_mul_i32_i24_e32 v91 /*v347*/, v201, v124 /*v380*/
	s_set_vgpr_msb 0x45                     ;  msbs: dst=1 src0=1 src1=1 src2=0
	v_mul_i32_i24_e32 v75 /*v331*/, v137 /*v393*/, v67 /*v323*/
	v_mul_i32_i24_e32 v146 /*v402*/, v138 /*v394*/, v59 /*v315*/
	s_set_vgpr_msb 0                        ;  msbs: dst=0 src0=0 src1=0 src2=0
	v_add3_u32 v98, v98, v99, v101
	s_set_vgpr_msb 4                        ;  msbs: dst=0 src0=0 src1=1 src2=0
	v_mul_i32_i24_e32 v99, v192, v117 /*v373*/
	v_mul_i32_i24_e32 v101, v193, v118 /*v374*/
	s_set_vgpr_msb 0x55                     ;  msbs: dst=1 src0=1 src1=1 src2=1
	v_add3_u32 v147 /*v403*/, v149 /*v405*/, v148 /*v404*/, v147 /*v403*/
	s_set_vgpr_msb 0x44                     ;  msbs: dst=1 src0=0 src1=1 src2=0
	v_mul_i32_i24_e32 v92 /*v348*/, v202, v126 /*v382*/
	v_mul_i32_i24_e32 v93 /*v349*/, v203, v97 /*v353*/
	s_set_vgpr_msb 0                        ;  msbs: dst=0 src0=0 src1=0 src2=0
	v_cvt_f32_i32_e32 v96, v96
	v_add3_u32 v98, v98, v99, v101
	s_set_vgpr_msb 0x55                     ;  msbs: dst=1 src0=1 src1=1 src2=1
	v_add3_u32 v75 /*v331*/, v147 /*v403*/, v75 /*v331*/, v146 /*v402*/
	s_set_vgpr_msb 0                        ;  msbs: dst=0 src0=0 src1=0 src2=0
	s_delay_alu instid0(VALU_DEP_2) | instskip(SKIP_1) | instid1(VALU_DEP_1)
	v_add3_u32 v98, v98, v114, v118
	s_set_vgpr_msb 16                       ;  msbs: dst=0 src0=0 src1=0 src2=1
	v_add3_u32 v98, v98, v120, v76 /*v332*/
	s_set_vgpr_msb 20                       ;  msbs: dst=0 src0=0 src1=1 src2=1
	s_delay_alu instid0(VALU_DEP_1) | instskip(NEXT) | instid1(VALU_DEP_1)
	v_add3_u32 v98, v98, v81 /*v337*/, v82 /*v338*/
	v_add3_u32 v98, v98, v90 /*v346*/, v91 /*v347*/
	s_set_vgpr_msb 0x54                     ;  msbs: dst=1 src0=0 src1=1 src2=1
	s_delay_alu instid0(VALU_DEP_1) | instskip(SKIP_2) | instid1(VALU_DEP_1)
	v_add3_u32 v146 /*v402*/, v98, v92 /*v348*/, v93 /*v349*/
	s_set_vgpr_msb 0                        ;  msbs: dst=0 src0=0 src1=0 src2=0
	v_or_b32_e32 v98, s17, v77
	v_dual_lshlrev_b32 v99, 2, v98 :: v_dual_lshrrev_b32 v98, 1, v98
	s_set_vgpr_msb 64                       ;  msbs: dst=1 src0=0 src1=0 src2=0
	ds_load_b32 v76 /*v332*/, v98 offset:30368
	ds_load_b128 v[90:93] /*v[346:349]*/, v99 offset:16896
	ds_load_b128 v[116:119] /*v[372:375]*/, v99 offset:16912
	s_set_vgpr_msb 4                        ;  msbs: dst=0 src0=0 src1=1 src2=0
	ds_load_u16 v102, v102
	s_wait_dscnt 0x2
	v_ashrrev_i32_e32 v114, 24, v90 /*v346*/
	s_set_vgpr_msb 0x44                     ;  msbs: dst=1 src0=0 src1=1 src2=0
	v_ashrrev_i32_e32 v82 /*v338*/, 24, v91 /*v347*/
	s_set_vgpr_msb 1                        ;  msbs: dst=0 src0=1 src1=0 src2=0
	v_bfe_i32 v98, v90 /*v346*/, 0, 8
	v_bfe_i32 v99, v90 /*v346*/, 8, 8
	;; [unrolled: 1-line block ×5, first 2 shown]
	s_set_vgpr_msb 0x41                     ;  msbs: dst=1 src0=1 src1=0 src2=0
	v_bfe_i32 v81 /*v337*/, v91 /*v347*/, 16, 8
	v_bfe_i32 v90 /*v346*/, v92 /*v348*/, 0, 8
	;; [unrolled: 1-line block ×4, first 2 shown]
	s_set_vgpr_msb 0x44                     ;  msbs: dst=1 src0=0 src1=1 src2=0
	v_ashrrev_i32_e32 v92 /*v348*/, 24, v92 /*v348*/
	s_set_vgpr_msb 0x41                     ;  msbs: dst=1 src0=1 src1=0 src2=0
	v_bfe_i32 v95 /*v351*/, v93 /*v349*/, 0, 8
	v_bfe_i32 v96 /*v352*/, v93 /*v349*/, 8, 8
	;; [unrolled: 1-line block ×3, first 2 shown]
	s_set_vgpr_msb 0x44                     ;  msbs: dst=1 src0=0 src1=1 src2=0
	v_ashrrev_i32_e32 v93 /*v349*/, 24, v93 /*v349*/
	s_set_vgpr_msb 0x41                     ;  msbs: dst=1 src0=1 src1=0 src2=0
	v_add_nc_u32_e32 v98 /*v354*/, v82 /*v338*/, v114
	s_set_vgpr_msb 64                       ;  msbs: dst=1 src0=0 src1=0 src2=0
	v_mul_i32_i24_e32 v103 /*v359*/, v224, v101
	v_mul_i32_i24_e32 v104 /*v360*/, v127, v114
	s_set_vgpr_msb 0x44                     ;  msbs: dst=1 src0=0 src1=1 src2=0
	v_mul_i32_i24_e32 v114 /*v370*/, v226, v81 /*v337*/
	v_mul_i32_i24_e32 v115 /*v371*/, v228, v82 /*v338*/
	s_set_vgpr_msb 0x55                     ;  msbs: dst=1 src0=1 src1=1 src2=1
	v_add3_u32 v147 /*v403*/, v98 /*v354*/, v92 /*v348*/, v93 /*v349*/
	s_set_vgpr_msb 0x41                     ;  msbs: dst=1 src0=1 src1=0 src2=0
	v_add_nc_u32_e32 v98 /*v354*/, v81 /*v337*/, v101
	s_set_vgpr_msb 0x44                     ;  msbs: dst=1 src0=0 src1=1 src2=0
	v_mul_i32_i24_e32 v123 /*v379*/, v230, v90 /*v346*/
	v_mul_i32_i24_e32 v124 /*v380*/, v232, v91 /*v347*/
	;; [unrolled: 1-line block ×4, first 2 shown]
	s_set_vgpr_msb 0x55                     ;  msbs: dst=1 src0=1 src1=1 src2=1
	v_add3_u32 v148 /*v404*/, v98 /*v354*/, v94 /*v350*/, v97 /*v353*/
	s_set_vgpr_msb 64                       ;  msbs: dst=1 src0=0 src1=0 src2=0
	v_add_nc_u32_e32 v98 /*v354*/, v120, v99
	s_set_vgpr_msb 0x44                     ;  msbs: dst=1 src0=0 src1=1 src2=0
	v_mul_i32_i24_e32 v152 /*v408*/, v239, v95 /*v351*/
	v_mul_i32_i24_e32 v153 /*v409*/, v241, v96 /*v352*/
	;; [unrolled: 1-line block ×4, first 2 shown]
	s_set_vgpr_msb 0x55                     ;  msbs: dst=1 src0=1 src1=1 src2=1
	v_add3_u32 v149 /*v405*/, v98 /*v354*/, v91 /*v347*/, v96 /*v352*/
	s_set_vgpr_msb 64                       ;  msbs: dst=1 src0=0 src1=0 src2=0
	v_add_nc_u32_e32 v98 /*v354*/, v118, v98
	s_wait_dscnt 0x1
	s_set_vgpr_msb 0x41                     ;  msbs: dst=1 src0=1 src1=0 src2=0
	v_bfe_i32 v120 /*v376*/, v116 /*v372*/, 0, 8
	v_bfe_i32 v121 /*v377*/, v116 /*v372*/, 8, 8
	;; [unrolled: 1-line block ×3, first 2 shown]
	s_set_vgpr_msb 0x55                     ;  msbs: dst=1 src0=1 src1=1 src2=1
	v_ashrrev_i32_e32 v116 /*v372*/, 24, v116 /*v372*/
	v_add3_u32 v150 /*v406*/, v98 /*v354*/, v90 /*v346*/, v95 /*v351*/
	s_set_vgpr_msb 64                       ;  msbs: dst=1 src0=0 src1=0 src2=0
	v_mul_i32_i24_e32 v98 /*v354*/, v121, v98
	s_set_vgpr_msb 0x44                     ;  msbs: dst=1 src0=0 src1=1 src2=0
	v_mul_i32_i24_e32 v156 /*v412*/, v216, v96 /*v352*/
	v_mul_i32_i24_e32 v157 /*v413*/, v217, v97 /*v353*/
	;; [unrolled: 1-line block ×4, first 2 shown]
	s_set_vgpr_msb 0x50                     ;  msbs: dst=1 src0=0 src1=0 src2=1
	v_mad_i32_i24 v98 /*v354*/, v119, v99, v98 /*v354*/
	s_set_vgpr_msb 0x44                     ;  msbs: dst=1 src0=0 src1=1 src2=0
	v_mul_i32_i24_e32 v93 /*v349*/, v188, v93 /*v349*/
	s_set_vgpr_msb 0x55                     ;  msbs: dst=1 src0=1 src1=1 src2=1
	v_mul_i32_i24_e32 v159 /*v415*/, v14 /*v270*/, v97 /*v353*/
	v_bfe_i32 v168 /*v424*/, v118 /*v374*/, 16, 8
	v_bfe_i32 v169 /*v425*/, v119 /*v375*/, 0, 8
	v_add3_u32 v98 /*v354*/, v98 /*v354*/, v103 /*v359*/, v104 /*v360*/
	s_set_vgpr_msb 64                       ;  msbs: dst=1 src0=0 src1=0 src2=0
	v_mul_i32_i24_e32 v103 /*v359*/, v222, v118
	v_mul_i32_i24_e32 v104 /*v360*/, v225, v120
	s_set_vgpr_msb 0x41                     ;  msbs: dst=1 src0=1 src1=0 src2=0
	v_bfe_i32 v170 /*v426*/, v119 /*v375*/, 8, 8
	v_bfe_i32 v171 /*v427*/, v119 /*v375*/, 16, 8
	s_set_vgpr_msb 0x55                     ;  msbs: dst=1 src0=1 src1=1 src2=1
	v_ashrrev_i32_e32 v119 /*v375*/, 24, v119 /*v375*/
	v_mul_i32_i24_e32 v175 /*v431*/, v21 /*v277*/, v169 /*v425*/
	v_add3_u32 v98 /*v354*/, v98 /*v354*/, v103 /*v359*/, v104 /*v360*/
	v_mul_i32_i24_e32 v103 /*v359*/, v2 /*v258*/, v122 /*v378*/
	v_mul_i32_i24_e32 v104 /*v360*/, v4 /*v260*/, v116 /*v372*/
	;; [unrolled: 1-line block ×4, first 2 shown]
	v_add3_u32 v98 /*v354*/, v98 /*v354*/, v114 /*v370*/, v115 /*v371*/
	s_set_vgpr_msb 0x44                     ;  msbs: dst=1 src0=0 src1=1 src2=0
	v_mul_i32_i24_e32 v114 /*v370*/, v208, v81 /*v337*/
	v_mul_i32_i24_e32 v115 /*v371*/, v210, v82 /*v338*/
	;; [unrolled: 1-line block ×3, first 2 shown]
	s_set_vgpr_msb 0x55                     ;  msbs: dst=1 src0=1 src1=1 src2=1
	v_add3_u32 v98 /*v354*/, v98 /*v354*/, v123 /*v379*/, v124 /*v380*/
	s_set_vgpr_msb 0x44                     ;  msbs: dst=1 src0=0 src1=1 src2=0
	v_mul_i32_i24_e32 v124 /*v380*/, v211, v90 /*v346*/
	s_set_vgpr_msb 0x55                     ;  msbs: dst=1 src0=1 src1=1 src2=1
	s_delay_alu instid0(VALU_DEP_2) | instskip(NEXT) | instid1(VALU_DEP_1)
	v_add3_u32 v98 /*v354*/, v98 /*v354*/, v126 /*v382*/, v151 /*v407*/
	v_add3_u32 v98 /*v354*/, v98 /*v354*/, v152 /*v408*/, v153 /*v409*/
	s_set_vgpr_msb 0x44                     ;  msbs: dst=1 src0=0 src1=1 src2=0
	v_mul_i32_i24_e32 v152 /*v408*/, v212, v91 /*v347*/
	v_mul_i32_i24_e32 v153 /*v409*/, v213, v94 /*v350*/
	s_set_vgpr_msb 0x55                     ;  msbs: dst=1 src0=1 src1=1 src2=1
	v_add3_u32 v98 /*v354*/, v98 /*v354*/, v154 /*v410*/, v155 /*v411*/
	s_set_vgpr_msb 0x44                     ;  msbs: dst=1 src0=0 src1=1 src2=0
	v_mul_i32_i24_e32 v154 /*v410*/, v214, v92 /*v348*/
	v_mul_i32_i24_e32 v155 /*v411*/, v215, v95 /*v351*/
	s_set_vgpr_msb 0x45                     ;  msbs: dst=1 src0=1 src1=1 src2=0
	v_mul_lo_u32 v123 /*v379*/, v98 /*v354*/, v57 /*v313*/
	s_set_vgpr_msb 0x54                     ;  msbs: dst=1 src0=0 src1=1 src2=1
	v_mul_i32_i24_e32 v98 /*v354*/, v255, v120 /*v376*/
	s_delay_alu instid0(VALU_DEP_1) | instskip(SKIP_1) | instid1(VALU_DEP_1)
	v_mad_i32_i24 v98 /*v354*/, v251, v121 /*v377*/, v98 /*v354*/
	s_set_vgpr_msb 0x55                     ;  msbs: dst=1 src0=1 src1=1 src2=1
	v_add3_u32 v126 /*v382*/, v98 /*v354*/, v103 /*v359*/, v104 /*v360*/
	v_mul_i32_i24_e32 v104 /*v360*/, v150 /*v406*/, v72 /*v328*/
	v_mul_i32_i24_e32 v98 /*v354*/, v147 /*v403*/, v56 /*v312*/
	;; [unrolled: 1-line block ×3, first 2 shown]
	s_delay_alu instid0(VALU_DEP_3) | instskip(NEXT) | instid1(VALU_DEP_1)
	v_mad_i32_i24 v104 /*v360*/, v149 /*v405*/, v70 /*v326*/, v104 /*v360*/
	v_add3_u32 v151 /*v407*/, v104 /*v360*/, v103 /*v359*/, v98 /*v354*/
	s_set_vgpr_msb 0x50                     ;  msbs: dst=1 src0=0 src1=0 src2=1
	v_mul_i32_i24_e32 v98 /*v354*/, v125, v98
	v_mul_i32_i24_e32 v103 /*v359*/, v206, v101
	;; [unrolled: 1-line block ×3, first 2 shown]
	s_delay_alu instid0(VALU_DEP_3) | instskip(SKIP_1) | instid1(VALU_DEP_1)
	v_mad_i32_i24 v98 /*v354*/, v123, v99, v98 /*v354*/
	s_set_vgpr_msb 0x55                     ;  msbs: dst=1 src0=1 src1=1 src2=1
	v_add3_u32 v98 /*v354*/, v98 /*v354*/, v103 /*v359*/, v104 /*v360*/
	s_set_vgpr_msb 64                       ;  msbs: dst=1 src0=0 src1=0 src2=0
	v_mul_i32_i24_e32 v103 /*v359*/, v205, v118
	v_mul_i32_i24_e32 v104 /*v360*/, v207, v120
	s_set_vgpr_msb 0x55                     ;  msbs: dst=1 src0=1 src1=1 src2=1
	s_delay_alu instid0(VALU_DEP_1)
	v_add3_u32 v98 /*v354*/, v98 /*v354*/, v103 /*v359*/, v104 /*v360*/
	s_set_vgpr_msb 0x44                     ;  msbs: dst=1 src0=0 src1=1 src2=0
	v_mul_i32_i24_e32 v103 /*v359*/, v221, v122 /*v378*/
	v_mul_i32_i24_e32 v104 /*v360*/, v223, v116 /*v372*/
	s_set_vgpr_msb 0x55                     ;  msbs: dst=1 src0=1 src1=1 src2=1
	v_add3_u32 v98 /*v354*/, v98 /*v354*/, v114 /*v370*/, v115 /*v371*/
	s_set_vgpr_msb 0x44                     ;  msbs: dst=1 src0=0 src1=1 src2=0
	v_mul_i32_i24_e32 v114 /*v370*/, v254, v81 /*v337*/
	s_set_vgpr_msb 0x55                     ;  msbs: dst=1 src0=1 src1=1 src2=1
	v_mul_i32_i24_e32 v115 /*v371*/, v0 /*v256*/, v82 /*v338*/
	v_add3_u32 v98 /*v354*/, v98 /*v354*/, v124 /*v380*/, v152 /*v408*/
	v_mul_i32_i24_e32 v124 /*v380*/, v1 /*v257*/, v90 /*v346*/
	s_delay_alu instid0(VALU_DEP_2) | instskip(SKIP_1) | instid1(VALU_DEP_2)
	v_add3_u32 v98 /*v354*/, v98 /*v354*/, v153 /*v409*/, v154 /*v410*/
	v_mul_i32_i24_e32 v154 /*v410*/, v3 /*v259*/, v91 /*v347*/
	v_add3_u32 v98 /*v354*/, v98 /*v354*/, v155 /*v411*/, v156 /*v412*/
	v_mul_i32_i24_e32 v155 /*v411*/, v5 /*v261*/, v94 /*v350*/
	v_mul_i32_i24_e32 v156 /*v412*/, v7 /*v263*/, v92 /*v348*/
	s_delay_alu instid0(VALU_DEP_3)
	v_add3_u32 v152 /*v408*/, v98 /*v354*/, v157 /*v413*/, v158 /*v414*/
	s_set_vgpr_msb 0x44                     ;  msbs: dst=1 src0=0 src1=1 src2=0
	v_mul_i32_i24_e32 v98 /*v354*/, v220, v120 /*v376*/
	s_set_vgpr_msb 0x45                     ;  msbs: dst=1 src0=1 src1=1 src2=0
	v_mul_i32_i24_e32 v157 /*v413*/, v10 /*v266*/, v95 /*v351*/
	v_mul_i32_i24_e32 v158 /*v414*/, v12 /*v268*/, v96 /*v352*/
	s_set_vgpr_msb 0x54                     ;  msbs: dst=1 src0=0 src1=1 src2=1
	v_mad_i32_i24 v98 /*v354*/, v219, v121 /*v377*/, v98 /*v354*/
	s_set_vgpr_msb 0x55                     ;  msbs: dst=1 src0=1 src1=1 src2=1
	s_delay_alu instid0(VALU_DEP_1)
	v_add3_u32 v153 /*v409*/, v98 /*v354*/, v103 /*v359*/, v104 /*v360*/
	s_set_vgpr_msb 64                       ;  msbs: dst=1 src0=0 src1=0 src2=0
	v_mul_i32_i24_e32 v98 /*v354*/, v243, v98
	s_set_vgpr_msb 0                        ;  msbs: dst=0 src0=0 src1=0 src2=0
	v_mul_i32_i24_e32 v98, v173, v98
	s_set_vgpr_msb 64                       ;  msbs: dst=1 src0=0 src1=0 src2=0
	v_mul_i32_i24_e32 v103 /*v359*/, v252, v101
	v_mul_i32_i24_e32 v104 /*v360*/, v248, v114
	s_set_vgpr_msb 0                        ;  msbs: dst=0 src0=0 src1=0 src2=0
	v_mul_i32_i24_e32 v101, v176, v101
	v_mul_i32_i24_e32 v114, v174, v114
	v_mad_i32_i24 v98, v172, v99, v98
	s_set_vgpr_msb 0x50                     ;  msbs: dst=1 src0=0 src1=0 src2=1
	v_mad_i32_i24 v98 /*v354*/, v238, v99, v98 /*v354*/
	s_set_vgpr_msb 0                        ;  msbs: dst=0 src0=0 src1=0 src2=0
	v_mul_i32_i24_e32 v99, v175, v118
	v_add3_u32 v98, v98, v101, v114
	v_mul_i32_i24_e32 v101, v177, v120
	s_set_vgpr_msb 0x55                     ;  msbs: dst=1 src0=1 src1=1 src2=1
	v_add3_u32 v98 /*v354*/, v98 /*v354*/, v103 /*v359*/, v104 /*v360*/
	s_set_vgpr_msb 64                       ;  msbs: dst=1 src0=0 src1=0 src2=0
	v_mul_i32_i24_e32 v103 /*v359*/, v250, v118
	s_set_vgpr_msb 4                        ;  msbs: dst=0 src0=0 src1=1 src2=0
	v_mul_i32_i24_e32 v114, v178, v81 /*v337*/
	v_mul_i32_i24_e32 v118, v179, v82 /*v338*/
	s_set_vgpr_msb 0                        ;  msbs: dst=0 src0=0 src1=0 src2=0
	v_add3_u32 v98, v98, v99, v101
	s_set_vgpr_msb 64                       ;  msbs: dst=1 src0=0 src1=0 src2=0
	v_mul_i32_i24_e32 v104 /*v360*/, v253, v120
	s_set_vgpr_msb 4                        ;  msbs: dst=0 src0=0 src1=1 src2=0
	v_mul_i32_i24_e32 v120, v180, v90 /*v346*/
	s_set_vgpr_msb 0x44                     ;  msbs: dst=1 src0=0 src1=1 src2=0
	v_mul_i32_i24_e32 v81 /*v337*/, v181, v91 /*v347*/
	v_mul_i32_i24_e32 v82 /*v338*/, v182, v94 /*v350*/
	s_set_vgpr_msb 0                        ;  msbs: dst=0 src0=0 src1=0 src2=0
	v_add3_u32 v98, v98, v114, v118
	s_set_vgpr_msb 0x55                     ;  msbs: dst=1 src0=1 src1=1 src2=1
	v_add3_u32 v98 /*v354*/, v98 /*v354*/, v103 /*v359*/, v104 /*v360*/
	s_set_vgpr_msb 0x44                     ;  msbs: dst=1 src0=0 src1=1 src2=0
	v_mul_i32_i24_e32 v90 /*v346*/, v183, v92 /*v348*/
	v_mul_i32_i24_e32 v91 /*v347*/, v184, v95 /*v351*/
	;; [unrolled: 1-line block ×3, first 2 shown]
	s_set_vgpr_msb 16                       ;  msbs: dst=0 src0=0 src1=0 src2=1
	v_add3_u32 v98, v98, v120, v81 /*v337*/
	s_set_vgpr_msb 0x55                     ;  msbs: dst=1 src0=1 src1=1 src2=1
	v_add3_u32 v98 /*v354*/, v98 /*v354*/, v114 /*v370*/, v115 /*v371*/
	s_set_vgpr_msb 0x44                     ;  msbs: dst=1 src0=0 src1=1 src2=0
	v_mul_i32_i24_e32 v94 /*v350*/, v186, v97 /*v353*/
	s_set_vgpr_msb 4                        ;  msbs: dst=0 src0=0 src1=1 src2=0
	v_mul_i32_i24_e32 v99, v190, v122 /*v378*/
	s_wait_dscnt 0x0
	s_set_vgpr_msb 64                       ;  msbs: dst=1 src0=0 src1=0 src2=0
	v_lshrrev_b16 v81 /*v337*/, 8, v102
	s_set_vgpr_msb 20                       ;  msbs: dst=0 src0=0 src1=1 src2=1
	v_add3_u32 v98, v98, v82 /*v338*/, v90 /*v346*/
	s_set_vgpr_msb 64                       ;  msbs: dst=1 src0=0 src1=0 src2=0
	v_bfe_u32 v90 /*v346*/, v102, 4, 4
	s_set_vgpr_msb 0x55                     ;  msbs: dst=1 src0=1 src1=1 src2=1
	v_add3_u32 v98 /*v354*/, v98 /*v354*/, v124 /*v380*/, v154 /*v410*/
	v_mul_i32_i24_e32 v103 /*v359*/, v23 /*v279*/, v122 /*v378*/
	v_and_b32_e32 v82 /*v338*/, 0xffff, v81 /*v337*/
	s_set_vgpr_msb 20                       ;  msbs: dst=0 src0=0 src1=1 src2=1
	v_add3_u32 v98, v98, v91 /*v347*/, v92 /*v348*/
	s_set_vgpr_msb 0x55                     ;  msbs: dst=1 src0=1 src1=1 src2=1
	v_mul_lo_u32 v90 /*v346*/, 0x1010101, v90 /*v346*/
	v_add3_u32 v98 /*v354*/, v98 /*v354*/, v155 /*v411*/, v156 /*v412*/
	v_dual_lshrrev_b32 v82 /*v338*/, 4, v82 /*v338*/ :: v_dual_bitop2_b32 v81 /*v337*/, 15, v81 /*v337*/ bitop3:0x40
	s_set_vgpr_msb 0                        ;  msbs: dst=0 src0=0 src1=0 src2=0
	v_and_b32_e32 v102, 15, v102
	s_set_vgpr_msb 0x55                     ;  msbs: dst=1 src0=1 src1=1 src2=1
	v_add3_u32 v98 /*v354*/, v98 /*v354*/, v157 /*v413*/, v158 /*v414*/
	s_set_vgpr_msb 0x54                     ;  msbs: dst=1 src0=0 src1=1 src2=1
	v_add3_u32 v157 /*v413*/, v98, v94 /*v350*/, v93 /*v349*/
	s_set_vgpr_msb 4                        ;  msbs: dst=0 src0=0 src1=1 src2=0
	v_mul_i32_i24_e32 v98, v189, v120 /*v376*/
	s_set_vgpr_msb 0x55                     ;  msbs: dst=1 src0=1 src1=1 src2=1
	v_mul_lo_u32 v161 /*v417*/, 0x1010101, v82 /*v338*/
	v_add3_u32 v98 /*v354*/, v98 /*v354*/, v159 /*v415*/, v160 /*v416*/
	v_lshrrev_b32_e32 v96 /*v352*/, 24, v90 /*v346*/
	s_set_vgpr_msb 4                        ;  msbs: dst=0 src0=0 src1=1 src2=0
	v_mul_i32_i24_e32 v101, v191, v116 /*v372*/
	v_mad_i32_i24 v98, v187, v121 /*v377*/, v98
	s_set_vgpr_msb 0x45                     ;  msbs: dst=1 src0=1 src1=1 src2=0
	v_mul_i32_i24_e32 v104 /*v360*/, v25 /*v281*/, v116 /*v372*/
	v_mul_lo_u32 v154 /*v410*/, v98 /*v354*/, v66 /*v322*/
	v_mul_i32_i24_e32 v98 /*v354*/, v20 /*v276*/, v120 /*v376*/
	v_bfe_i32 v93 /*v349*/, v90 /*v346*/, 0, 8
	s_set_vgpr_msb 0                        ;  msbs: dst=0 src0=0 src1=0 src2=0
	v_add3_u32 v118, v98, v99, v101
	v_or_b32_e32 v98, s17, v87
	v_cvt_f32_f16_e32 v99, v94
	s_set_vgpr_msb 0x55                     ;  msbs: dst=1 src0=1 src1=1 src2=1
	v_mad_i32_i24 v98 /*v354*/, v18 /*v274*/, v121 /*v377*/, v98 /*v354*/
	s_set_vgpr_msb 0                        ;  msbs: dst=0 src0=0 src1=0 src2=0
	v_lshrrev_b32_e32 v94, 16, v94
	s_set_vgpr_msb 0x41                     ;  msbs: dst=1 src0=1 src1=0 src2=0
	v_bfe_i32 v94 /*v350*/, v90 /*v346*/, 8, 8
	s_set_vgpr_msb 0                        ;  msbs: dst=0 src0=0 src1=0 src2=0
	v_lshlrev_b32_e32 v120, 2, v98
	s_set_vgpr_msb 64                       ;  msbs: dst=1 src0=0 src1=0 src2=0
	v_lshrrev_b32_e32 v158 /*v414*/, 1, v98
	s_set_vgpr_msb 0                        ;  msbs: dst=0 src0=0 src1=0 src2=0
	v_or_b32_e32 v98, s17, v89
	s_set_vgpr_msb 0x55                     ;  msbs: dst=1 src0=1 src1=1 src2=1
	v_add3_u32 v155 /*v411*/, v98 /*v354*/, v103 /*v359*/, v104 /*v360*/
	v_mul_i32_i24_e32 v104 /*v360*/, v150 /*v406*/, v62 /*v318*/
	v_bfe_i32 v95 /*v351*/, v90 /*v346*/, 16, 8
	s_set_vgpr_msb 0x44                     ;  msbs: dst=1 src0=0 src1=1 src2=0
	v_mul_i32_i24_e32 v92 /*v348*/, v124, v93 /*v349*/
	s_set_vgpr_msb 64                       ;  msbs: dst=1 src0=0 src1=0 src2=0
	v_dual_lshlrev_b32 v159 /*v415*/, 2, v98 :: v_dual_lshrrev_b32 v160 /*v416*/, 1, v98
	s_set_vgpr_msb 0                        ;  msbs: dst=0 src0=0 src1=0 src2=0
	v_or_b32_e32 v98, s17, v128
	s_set_vgpr_msb 0x55                     ;  msbs: dst=1 src0=1 src1=1 src2=1
	v_mul_i32_i24_e32 v98 /*v354*/, v147 /*v403*/, v65 /*v321*/
	v_mul_i32_i24_e32 v103 /*v359*/, v148 /*v404*/, v64 /*v320*/
	v_mad_i32_i24 v104 /*v360*/, v149 /*v405*/, v63 /*v319*/, v104 /*v360*/
	s_set_vgpr_msb 0                        ;  msbs: dst=0 src0=0 src1=0 src2=0
	v_cvt_f32_f16_e32 v101, v94
	s_set_vgpr_msb 0x54                     ;  msbs: dst=1 src0=0 src1=1 src2=1
	v_mul_i32_i24_e32 v82 /*v338*/, v110, v96 /*v352*/
	v_mul_i32_i24_e32 v91 /*v347*/, v111, v95 /*v351*/
	v_mad_i32_i24 v92 /*v348*/, v122, v94 /*v350*/, v92 /*v348*/
	s_set_vgpr_msb 0x55                     ;  msbs: dst=1 src0=1 src1=1 src2=1
	v_add3_u32 v156 /*v412*/, v104 /*v360*/, v103 /*v359*/, v98 /*v354*/
	s_set_vgpr_msb 0                        ;  msbs: dst=0 src0=0 src1=0 src2=0
	v_mov_b32_e32 v114, v101
	s_set_vgpr_msb 64                       ;  msbs: dst=1 src0=0 src1=0 src2=0
	v_and_b32_e32 v98 /*v354*/, 0xffff, v102
	s_set_vgpr_msb 5                        ;  msbs: dst=0 src0=1 src1=1 src2=0
	v_mul_i32_i24_e32 v102, v84 /*v340*/, v96 /*v352*/
	s_set_vgpr_msb 0x55                     ;  msbs: dst=1 src0=1 src1=1 src2=1
	v_add3_u32 v104 /*v360*/, v92 /*v348*/, v91 /*v347*/, v82 /*v338*/
	v_mul_i32_i24_e32 v82 /*v338*/, v87 /*v343*/, v93 /*v349*/
	v_and_b32_e32 v92 /*v348*/, 0xffff, v81 /*v337*/
	v_mul_i32_i24_e32 v81 /*v337*/, v85 /*v341*/, v95 /*v351*/
	v_bfe_i32 v97 /*v353*/, v161 /*v417*/, 0, 8
	v_bfe_i32 v90 /*v346*/, v161 /*v417*/, 8, 8
	v_mad_i32_i24 v82 /*v338*/, v86 /*v342*/, v94 /*v350*/, v82 /*v338*/
	v_mul_i32_i24_e32 v91 /*v347*/, v140 /*v396*/, v95 /*v351*/
	s_set_vgpr_msb 64                       ;  msbs: dst=1 src0=0 src1=0 src2=0
	v_dual_lshlrev_b32 v114 /*v370*/, 2, v98 :: v_dual_lshrrev_b32 v115 /*v371*/, 1, v98
	s_set_vgpr_msb 0                        ;  msbs: dst=0 src0=0 src1=0 src2=0
	v_cvt_f32_f16_e32 v98, v100
	s_set_vgpr_msb 0x45                     ;  msbs: dst=1 src0=1 src1=1 src2=0
	v_add3_u32 v163 /*v419*/, v82 /*v338*/, v81 /*v337*/, v102
	s_set_vgpr_msb 4                        ;  msbs: dst=0 src0=0 src1=1 src2=0
	v_mul_i32_i24_e32 v102, v218, v88 /*v344*/
	s_set_vgpr_msb 0x44                     ;  msbs: dst=1 src0=0 src1=1 src2=0
	v_mul_i32_i24_e32 v81 /*v337*/, v109, v113 /*v369*/
	s_set_vgpr_msb 0x45                     ;  msbs: dst=1 src0=1 src1=1 src2=0
	v_mul_i32_i24_e32 v82 /*v338*/, v109 /*v365*/, v93 /*v349*/
	s_set_vgpr_msb 0                        ;  msbs: dst=0 src0=0 src1=0 src2=0
	v_dual_lshrrev_b32 v100, 16, v100 :: v_dual_mov_b32 v94, v99
	s_set_vgpr_msb 5                        ;  msbs: dst=0 src0=1 src1=1 src2=0
	v_add3_u32 v102, v100 /*v356*/, v99 /*v355*/, v102
	s_set_vgpr_msb 0x55                     ;  msbs: dst=1 src0=1 src1=1 src2=1
	v_add3_u32 v81 /*v337*/, v108 /*v364*/, v89 /*v345*/, v81 /*v337*/
	v_mad_i32_i24 v82 /*v338*/, v111 /*v367*/, v94 /*v350*/, v82 /*v338*/
	v_mul_i32_i24_e32 v99 /*v355*/, v142 /*v398*/, v93 /*v349*/
	v_mul_i32_i24_e32 v89 /*v345*/, v139 /*v395*/, v96 /*v352*/
	s_set_vgpr_msb 0x44                     ;  msbs: dst=1 src0=0 src1=1 src2=0
	v_mul_lo_u32 v164 /*v420*/, v102, v92 /*v348*/
	s_set_vgpr_msb 0x45                     ;  msbs: dst=1 src0=1 src1=1 src2=0
	v_mul_lo_u32 v165 /*v421*/, v81 /*v337*/, v98 /*v354*/
	s_set_vgpr_msb 5                        ;  msbs: dst=0 src0=1 src1=1 src2=0
	v_mul_i32_i24_e32 v102, v112 /*v368*/, v96 /*v352*/
	s_set_vgpr_msb 0x55                     ;  msbs: dst=1 src0=1 src1=1 src2=1
	v_mul_i32_i24_e32 v81 /*v337*/, v110 /*v366*/, v95 /*v351*/
	v_mad_i32_i24 v99 /*v355*/, v141 /*v397*/, v94 /*v350*/, v99 /*v355*/
	v_ashrrev_i32_e32 v108 /*v364*/, 24, v117 /*v373*/
	v_bfe_i32 v100 /*v356*/, v117 /*v373*/, 16, 8
	v_mul_i32_i24_e32 v162 /*v418*/, v83 /*v339*/, v97 /*v353*/
	s_set_vgpr_msb 0x45                     ;  msbs: dst=1 src0=1 src1=1 src2=0
	v_add3_u32 v166 /*v422*/, v82 /*v338*/, v81 /*v337*/, v102
	s_set_vgpr_msb 5                        ;  msbs: dst=0 src0=1 src1=1 src2=0
	v_mul_lo_u32 v102, v128 /*v384*/, v98 /*v354*/
	s_set_vgpr_msb 0x55                     ;  msbs: dst=1 src0=1 src1=1 src2=1
	v_mul_i32_i24_e32 v81 /*v337*/, v137 /*v393*/, v97 /*v353*/
	v_mul_i32_i24_e32 v82 /*v338*/, v138 /*v394*/, v90 /*v346*/
	v_add3_u32 v89 /*v345*/, v99 /*v355*/, v91 /*v347*/, v89 /*v345*/
	v_bfe_i32 v99 /*v355*/, v117 /*v373*/, 8, 8
	v_mul_i32_i24_e32 v128 /*v384*/, v17 /*v273*/, v168 /*v424*/
	s_set_vgpr_msb 0                        ;  msbs: dst=0 src0=0 src1=0 src2=0
	v_cvt_f32_f16_e32 v100, v100
	s_set_vgpr_msb 0x44                     ;  msbs: dst=1 src0=0 src1=1 src2=0
	v_mul_i32_i24_e32 v103 /*v359*/, v108, v97 /*v353*/
	s_set_vgpr_msb 0x55                     ;  msbs: dst=1 src0=1 src1=1 src2=1
	v_add3_u32 v167 /*v423*/, v89 /*v345*/, v81 /*v337*/, v82 /*v338*/
	v_bfe_i32 v89 /*v345*/, v117 /*v373*/, 0, 8
	v_bfe_i32 v117 /*v373*/, v118 /*v374*/, 0, 8
	s_set_vgpr_msb 5                        ;  msbs: dst=0 src0=1 src1=1 src2=0
	v_mad_u32 v102, v144 /*v400*/, v92 /*v348*/, v102
	s_set_vgpr_msb 0x41                     ;  msbs: dst=1 src0=1 src1=0 src2=0
	v_bfe_i32 v144 /*v400*/, v118 /*v374*/, 8, 8
	s_set_vgpr_msb 0x45                     ;  msbs: dst=1 src0=1 src1=1 src2=0
	v_ashrrev_i32_e32 v118 /*v374*/, 24, v118 /*v374*/
	v_mul_i32_i24_e32 v91 /*v347*/, v9 /*v265*/, v99 /*v355*/
	s_delay_alu instid0(VALU_DEP_2)
	v_mul_i32_i24_e32 v174 /*v430*/, v19 /*v275*/, v118 /*v374*/
	s_set_vgpr_msb 64                       ;  msbs: dst=1 src0=0 src1=0 src2=0
	v_cvt_f32_i32_e32 v124 /*v380*/, v102
	s_set_vgpr_msb 5                        ;  msbs: dst=0 src0=1 src1=1 src2=0
	v_add_nc_u32_e32 v102, v108 /*v364*/, v116 /*v372*/
	s_set_vgpr_msb 0x45                     ;  msbs: dst=1 src0=1 src1=1 src2=0
	v_mul_i32_i24_e32 v116 /*v372*/, v11 /*v267*/, v100 /*v356*/
	s_set_vgpr_msb 0x54                     ;  msbs: dst=1 src0=0 src1=1 src2=1
	s_delay_alu instid0(VALU_DEP_2)
	v_add3_u32 v81 /*v337*/, v102, v118 /*v374*/, v119 /*v375*/
	s_set_vgpr_msb 5                        ;  msbs: dst=0 src0=1 src1=1 src2=0
	v_add_nc_u32_e32 v102, v100 /*v356*/, v122 /*v378*/
	s_set_vgpr_msb 0x45                     ;  msbs: dst=1 src0=1 src1=1 src2=0
	v_mul_i32_i24_e32 v122 /*v378*/, v16 /*v272*/, v144 /*v400*/
	s_set_vgpr_msb 0x54                     ;  msbs: dst=1 src0=0 src1=1 src2=1
	s_delay_alu instid0(VALU_DEP_2)
	v_add3_u32 v82 /*v338*/, v102, v168 /*v424*/, v171 /*v427*/
	;; [unrolled: 7-line block ×3, first 2 shown]
	s_set_vgpr_msb 5                        ;  msbs: dst=0 src0=1 src1=1 src2=0
	v_add_nc_u32_e32 v102, v99 /*v355*/, v121 /*v377*/
	s_set_vgpr_msb 0x45                     ;  msbs: dst=1 src0=1 src1=1 src2=0
	v_mul_i32_i24_e32 v121 /*v377*/, v15 /*v271*/, v117 /*v373*/
	s_set_vgpr_msb 0x54                     ;  msbs: dst=1 src0=0 src1=1 src2=1
	s_delay_alu instid0(VALU_DEP_2) | instskip(SKIP_3) | instid1(VALU_DEP_1)
	v_add3_u32 v173 /*v429*/, v102, v144 /*v400*/, v170 /*v426*/
	s_set_vgpr_msb 5                        ;  msbs: dst=0 src0=1 src1=1 src2=0
	v_mul_i32_i24_e32 v102, v6 /*v262*/, v89 /*v345*/
	s_set_vgpr_msb 17                       ;  msbs: dst=0 src0=1 src1=0 src2=1
	v_add3_u32 v102, v126 /*v382*/, v102, v91 /*v347*/
	s_set_vgpr_msb 0x45                     ;  msbs: dst=1 src0=1 src1=1 src2=0
	v_mul_i32_i24_e32 v91 /*v347*/, v172 /*v428*/, v58 /*v314*/
	s_set_vgpr_msb 20                       ;  msbs: dst=0 src0=0 src1=1 src2=1
	s_delay_alu instid0(VALU_DEP_2)
	v_add3_u32 v102, v102, v116 /*v372*/, v120 /*v376*/
	s_set_vgpr_msb 0x45                     ;  msbs: dst=1 src0=1 src1=1 src2=0
	v_mul_i32_i24_e32 v116 /*v372*/, v173 /*v429*/, v55 /*v311*/
	s_set_vgpr_msb 0x44                     ;  msbs: dst=1 src0=0 src1=1 src2=0
	v_mul_i32_i24_e32 v120 /*v376*/, v231, v100 /*v356*/
	s_set_vgpr_msb 20                       ;  msbs: dst=0 src0=0 src1=1 src2=1
	v_add3_u32 v102, v102, v121 /*v377*/, v122 /*v378*/
	s_set_vgpr_msb 0x55                     ;  msbs: dst=1 src0=1 src1=1 src2=1
	v_add3_u32 v151 /*v407*/, v151 /*v407*/, v91 /*v347*/, v116 /*v372*/
	s_set_vgpr_msb 0x44                     ;  msbs: dst=1 src0=0 src1=1 src2=0
	v_mul_i32_i24_e32 v91 /*v347*/, v227, v89 /*v345*/
	v_mul_i32_i24_e32 v116 /*v372*/, v229, v99 /*v355*/
	;; [unrolled: 1-line block ×3, first 2 shown]
	s_set_vgpr_msb 20                       ;  msbs: dst=0 src0=0 src1=1 src2=1
	v_add3_u32 v102, v102, v128 /*v384*/, v174 /*v430*/
	s_set_vgpr_msb 0x44                     ;  msbs: dst=1 src0=0 src1=1 src2=0
	v_mul_i32_i24_e32 v122 /*v378*/, v235, v117 /*v373*/
	v_mul_i32_i24_e32 v128 /*v384*/, v240, v168 /*v424*/
	s_set_vgpr_msb 0x55                     ;  msbs: dst=1 src0=1 src1=1 src2=1
	v_add3_u32 v91 /*v347*/, v153 /*v409*/, v91 /*v347*/, v116 /*v372*/
	s_set_vgpr_msb 0x44                     ;  msbs: dst=1 src0=0 src1=1 src2=0
	v_mul_i32_i24_e32 v174 /*v430*/, v245, v169 /*v425*/
	s_set_vgpr_msb 20                       ;  msbs: dst=0 src0=0 src1=1 src2=1
	v_add3_u32 v102, v102, v175 /*v431*/, v176 /*v432*/
	s_set_vgpr_msb 0x44                     ;  msbs: dst=1 src0=0 src1=1 src2=0
	v_mul_i32_i24_e32 v175 /*v431*/, v247, v170 /*v426*/
	v_mul_i32_i24_e32 v176 /*v432*/, v249, v171 /*v427*/
	s_set_vgpr_msb 0x55                     ;  msbs: dst=1 src0=1 src1=1 src2=1
	v_add3_u32 v91 /*v347*/, v91 /*v347*/, v120 /*v376*/, v121 /*v377*/
	v_mul_i32_i24_e32 v121 /*v377*/, v147 /*v403*/, v96 /*v352*/
	s_set_vgpr_msb 20                       ;  msbs: dst=0 src0=0 src1=1 src2=1
	v_add3_u32 v102, v102, v177 /*v433*/, v178 /*v434*/
	s_set_vgpr_msb 0x44                     ;  msbs: dst=1 src0=0 src1=1 src2=0
	v_mul_i32_i24_e32 v177 /*v433*/, v218, v119 /*v375*/
	s_set_vgpr_msb 0x45                     ;  msbs: dst=1 src0=1 src1=1 src2=0
	v_mul_i32_i24_e32 v116 /*v372*/, v172 /*v428*/, v97 /*v353*/
	v_mul_i32_i24_e32 v120 /*v376*/, v173 /*v429*/, v90 /*v346*/
	;; [unrolled: 1-line block ×3, first 2 shown]
	s_set_vgpr_msb 20                       ;  msbs: dst=0 src0=0 src1=1 src2=1
	v_mad_u32 v102, v102, v54 /*v310*/, v123 /*v379*/
	s_set_vgpr_msb 0x44                     ;  msbs: dst=1 src0=0 src1=1 src2=0
	v_mul_i32_i24_e32 v123 /*v379*/, v237, v144 /*v400*/
	s_set_vgpr_msb 0x55                     ;  msbs: dst=1 src0=1 src1=1 src2=1
	s_delay_alu instid0(VALU_DEP_1)
	v_add3_u32 v91 /*v347*/, v91 /*v347*/, v122 /*v378*/, v123 /*v379*/
	v_mul_i32_i24_e32 v123 /*v379*/, v150 /*v406*/, v93 /*v349*/
	v_mul_i32_i24_e32 v122 /*v378*/, v148 /*v404*/, v95 /*v351*/
	s_set_vgpr_msb 64                       ;  msbs: dst=1 src0=0 src1=0 src2=0
	v_cvt_f32_i32_e32 v126 /*v382*/, v102
	s_set_vgpr_msb 5                        ;  msbs: dst=0 src0=1 src1=1 src2=0
	v_mul_lo_u32 v102, v152 /*v408*/, v98 /*v354*/
	s_set_vgpr_msb 0x44                     ;  msbs: dst=1 src0=0 src1=1 src2=0
	v_mul_i32_i24_e32 v152 /*v408*/, v242, v118 /*v374*/
	s_set_vgpr_msb 0x55                     ;  msbs: dst=1 src0=1 src1=1 src2=1
	v_mad_i32_i24 v123 /*v379*/, v149 /*v405*/, v94 /*v350*/, v123 /*v379*/
	s_set_vgpr_msb 0x44                     ;  msbs: dst=1 src0=0 src1=1 src2=0
	v_mul_i32_i24_e32 v118 /*v374*/, v199, v118 /*v374*/
	s_set_vgpr_msb 0x55                     ;  msbs: dst=1 src0=1 src1=1 src2=1
	v_add3_u32 v91 /*v347*/, v91 /*v347*/, v128 /*v384*/, v152 /*v408*/
	v_add3_u32 v121 /*v377*/, v123 /*v379*/, v122 /*v378*/, v121 /*v377*/
	v_mul_i32_i24_e32 v122 /*v378*/, v31 /*v287*/, v144 /*v400*/
	v_mul_i32_i24_e32 v123 /*v379*/, v32 /*v288*/, v168 /*v424*/
	s_delay_alu instid0(VALU_DEP_4) | instskip(NEXT) | instid1(VALU_DEP_4)
	v_add3_u32 v91 /*v347*/, v91 /*v347*/, v174 /*v430*/, v175 /*v431*/
	v_add3_u32 v152 /*v408*/, v121 /*v377*/, v116 /*v372*/, v120 /*v376*/
	v_mul_i32_i24_e32 v116 /*v372*/, v28 /*v284*/, v100 /*v356*/
	v_mul_i32_i24_e32 v120 /*v376*/, v29 /*v285*/, v108 /*v364*/
	s_set_vgpr_msb 0x44                     ;  msbs: dst=1 src0=0 src1=1 src2=0
	v_mul_i32_i24_e32 v100 /*v356*/, v194, v100 /*v356*/
	s_set_vgpr_msb 0x55                     ;  msbs: dst=1 src0=1 src1=1 src2=1
	v_add3_u32 v91 /*v347*/, v91 /*v347*/, v176 /*v432*/, v177 /*v433*/
	s_set_vgpr_msb 0x44                     ;  msbs: dst=1 src0=0 src1=1 src2=0
	v_mul_i32_i24_e32 v108 /*v364*/, v195, v108 /*v364*/
	s_set_vgpr_msb 0x45                     ;  msbs: dst=1 src0=1 src1=1 src2=0
	v_mul_i32_i24_e32 v121 /*v377*/, v30 /*v286*/, v117 /*v373*/
	v_mul_i32_i24_e32 v177 /*v433*/, v8 /*v264*/, v119 /*v375*/
	s_set_vgpr_msb 0x44                     ;  msbs: dst=1 src0=0 src1=1 src2=0
	v_mul_i32_i24_e32 v119 /*v375*/, v203, v119 /*v375*/
	s_set_vgpr_msb 5                        ;  msbs: dst=0 src0=1 src1=1 src2=0
	v_mad_u32 v102, v91 /*v347*/, v92 /*v348*/, v102
	s_set_vgpr_msb 0x45                     ;  msbs: dst=1 src0=1 src1=1 src2=0
	v_mul_i32_i24_e32 v91 /*v347*/, v27 /*v283*/, v99 /*v355*/
	s_set_vgpr_msb 0x44                     ;  msbs: dst=1 src0=0 src1=1 src2=0
	v_mul_i32_i24_e32 v99 /*v355*/, v193, v99 /*v355*/
	s_set_vgpr_msb 0x45                     ;  msbs: dst=1 src0=1 src1=1 src2=0
	v_mul_i32_i24_e32 v174 /*v430*/, v34 /*v290*/, v169 /*v425*/
	v_mul_i32_i24_e32 v175 /*v431*/, v35 /*v291*/, v170 /*v426*/
	;; [unrolled: 1-line block ×3, first 2 shown]
	s_set_vgpr_msb 64                       ;  msbs: dst=1 src0=0 src1=0 src2=0
	v_cvt_f32_i32_e32 v128 /*v384*/, v102
	s_set_vgpr_msb 5                        ;  msbs: dst=0 src0=1 src1=1 src2=0
	v_mul_i32_i24_e32 v102, v26 /*v282*/, v89 /*v345*/
	s_set_vgpr_msb 0x44                     ;  msbs: dst=1 src0=0 src1=1 src2=0
	v_mul_i32_i24_e32 v89 /*v345*/, v192, v89 /*v345*/
	s_set_vgpr_msb 17                       ;  msbs: dst=0 src0=1 src1=0 src2=1
	s_delay_alu instid0(VALU_DEP_2)
	v_add3_u32 v102, v155 /*v411*/, v102, v91 /*v347*/
	s_set_vgpr_msb 0x45                     ;  msbs: dst=1 src0=1 src1=1 src2=0
	v_mul_i32_i24_e32 v91 /*v347*/, v172 /*v428*/, v67 /*v323*/
	s_set_vgpr_msb 20                       ;  msbs: dst=0 src0=0 src1=1 src2=1
	v_add3_u32 v118, v118, v89 /*v345*/, v99 /*v355*/
	v_add3_u32 v102, v102, v116 /*v372*/, v120 /*v376*/
	s_set_vgpr_msb 0x45                     ;  msbs: dst=1 src0=1 src1=1 src2=0
	v_mul_i32_i24_e32 v116 /*v372*/, v173 /*v429*/, v59 /*v315*/
	s_set_vgpr_msb 20                       ;  msbs: dst=0 src0=0 src1=1 src2=1
	v_add3_u32 v118, v118, v100 /*v356*/, v108 /*v364*/
	s_set_vgpr_msb 0x44                     ;  msbs: dst=1 src0=0 src1=1 src2=0
	v_mul_i32_i24_e32 v120 /*v376*/, v198, v168 /*v424*/
	s_set_vgpr_msb 20                       ;  msbs: dst=0 src0=0 src1=1 src2=1
	v_add3_u32 v102, v102, v121 /*v377*/, v122 /*v378*/
	s_set_vgpr_msb 0x55                     ;  msbs: dst=1 src0=1 src1=1 src2=1
	v_add3_u32 v91 /*v347*/, v156 /*v412*/, v91 /*v347*/, v116 /*v372*/
	s_set_vgpr_msb 0x44                     ;  msbs: dst=1 src0=0 src1=1 src2=0
	v_mul_i32_i24_e32 v116 /*v372*/, v196, v117 /*v373*/
	v_mul_i32_i24_e32 v117 /*v373*/, v197, v144 /*v400*/
	;; [unrolled: 1-line block ×4, first 2 shown]
	s_set_vgpr_msb 20                       ;  msbs: dst=0 src0=0 src1=1 src2=1
	v_add3_u32 v102, v102, v123 /*v379*/, v153 /*v409*/
	s_set_vgpr_msb 0x44                     ;  msbs: dst=1 src0=0 src1=1 src2=0
	v_mul_i32_i24_e32 v123 /*v379*/, v202, v171 /*v427*/
	s_set_vgpr_msb 20                       ;  msbs: dst=0 src0=0 src1=1 src2=1
	v_add3_u32 v118, v118, v116 /*v372*/, v117 /*v373*/
	v_add3_u32 v102, v102, v174 /*v430*/, v175 /*v431*/
	s_delay_alu instid0(VALU_DEP_2) | instskip(NEXT) | instid1(VALU_DEP_2)
	v_add3_u32 v118, v118, v120 /*v376*/, v118 /*v374*/
	v_add3_u32 v102, v102, v176 /*v432*/, v177 /*v433*/
	s_delay_alu instid0(VALU_DEP_2) | instskip(NEXT) | instid1(VALU_DEP_2)
	v_add3_u32 v118, v118, v121 /*v377*/, v122 /*v378*/
	v_mad_u32 v102, v102, v60 /*v316*/, v154 /*v410*/
	s_set_vgpr_msb 0x54                     ;  msbs: dst=1 src0=0 src1=1 src2=1
	s_delay_alu instid0(VALU_DEP_2)
	v_add3_u32 v144 /*v400*/, v118, v123 /*v379*/, v119 /*v375*/
	s_set_vgpr_msb 0x41                     ;  msbs: dst=1 src0=1 src1=0 src2=0
	ds_load_b32 v89 /*v345*/, v158 /*v414*/ offset:30368
	s_set_vgpr_msb 64                       ;  msbs: dst=1 src0=0 src1=0 src2=0
	ds_load_b128 v[116:119] /*v[372:375]*/, v120 offset:16896
	ds_load_b128 v[120:123] /*v[376:379]*/, v120 offset:16912
	s_set_vgpr_msb 0                        ;  msbs: dst=0 src0=0 src1=0 src2=0
	v_cvt_f32_i32_e32 v102, v102
	s_wait_dscnt 0x1
	s_set_vgpr_msb 1                        ;  msbs: dst=0 src0=1 src1=0 src2=0
	v_bfe_i32 v118, v116 /*v372*/, 0, 8
	v_bfe_i32 v120, v116 /*v372*/, 8, 8
	s_set_vgpr_msb 0x41                     ;  msbs: dst=1 src0=1 src1=0 src2=0
	v_bfe_i32 v99 /*v355*/, v116 /*v372*/, 16, 8
	s_set_vgpr_msb 0x44                     ;  msbs: dst=1 src0=0 src1=1 src2=0
	v_ashrrev_i32_e32 v100 /*v356*/, 24, v116 /*v372*/
	s_set_vgpr_msb 0x41                     ;  msbs: dst=1 src0=1 src1=0 src2=0
	v_bfe_i32 v108 /*v364*/, v117 /*v373*/, 0, 8
	s_set_vgpr_msb 64                       ;  msbs: dst=1 src0=0 src1=0 src2=0
	v_mul_i32_i24_e32 v169 /*v425*/, v121, v118
	s_set_vgpr_msb 0x41                     ;  msbs: dst=1 src0=1 src1=0 src2=0
	v_bfe_i32 v116 /*v372*/, v117 /*v373*/, 8, 8
	s_set_vgpr_msb 0x44                     ;  msbs: dst=1 src0=0 src1=1 src2=0
	v_mul_i32_i24_e32 v170 /*v426*/, v224, v99 /*v355*/
	v_mul_i32_i24_e32 v171 /*v427*/, v127, v100 /*v356*/
	s_set_vgpr_msb 0x41                     ;  msbs: dst=1 src0=1 src1=0 src2=0
	v_bfe_i32 v153 /*v409*/, v117 /*v373*/, 16, 8
	s_set_vgpr_msb 0x50                     ;  msbs: dst=1 src0=0 src1=0 src2=1
	v_mad_i32_i24 v169 /*v425*/, v119, v120, v169 /*v425*/
	s_set_vgpr_msb 0x44                     ;  msbs: dst=1 src0=0 src1=1 src2=0
	v_ashrrev_i32_e32 v117 /*v373*/, 24, v117 /*v373*/
	s_set_vgpr_msb 0x41                     ;  msbs: dst=1 src0=1 src1=0 src2=0
	v_add_nc_u32_e32 v168 /*v424*/, v108 /*v364*/, v118
	v_add_nc_u32_e32 v158 /*v414*/, v116 /*v372*/, v120
	s_set_vgpr_msb 0x55                     ;  msbs: dst=1 src0=1 src1=1 src2=1
	v_add_nc_u32_e32 v156 /*v412*/, v153 /*v409*/, v99 /*v355*/
	v_add3_u32 v169 /*v425*/, v169 /*v425*/, v170 /*v426*/, v171 /*v427*/
	s_set_vgpr_msb 0x44                     ;  msbs: dst=1 src0=0 src1=1 src2=0
	v_mul_i32_i24_e32 v170 /*v426*/, v222, v108 /*v364*/
	v_mul_i32_i24_e32 v171 /*v427*/, v225, v116 /*v372*/
	;; [unrolled: 1-line block ×5, first 2 shown]
	s_set_vgpr_msb 0x55                     ;  msbs: dst=1 src0=1 src1=1 src2=1
	v_add_nc_u32_e32 v155 /*v411*/, v117 /*v373*/, v100 /*v356*/
	v_add3_u32 v169 /*v425*/, v169 /*v425*/, v170 /*v426*/, v171 /*v427*/
	s_set_vgpr_msb 64                       ;  msbs: dst=1 src0=0 src1=0 src2=0
	v_mul_i32_i24_e32 v170 /*v426*/, v125, v118
	s_set_vgpr_msb 0x44                     ;  msbs: dst=1 src0=0 src1=1 src2=0
	v_mul_i32_i24_e32 v171 /*v427*/, v206, v99 /*v355*/
	s_set_vgpr_msb 0x55                     ;  msbs: dst=1 src0=1 src1=1 src2=1
	v_mul_i32_i24_e32 v179 /*v435*/, v0 /*v256*/, v117 /*v373*/
	v_bfe_i32 v154 /*v410*/, v118 /*v374*/, 0, 8
	v_add3_u32 v169 /*v425*/, v169 /*v425*/, v174 /*v430*/, v175 /*v431*/
	s_set_vgpr_msb 0x44                     ;  msbs: dst=1 src0=0 src1=1 src2=0
	v_mul_i32_i24_e32 v174 /*v430*/, v204, v100 /*v356*/
	s_set_vgpr_msb 0x50                     ;  msbs: dst=1 src0=0 src1=0 src2=1
	v_mad_i32_i24 v170 /*v426*/, v123, v120, v170 /*v426*/
	s_set_vgpr_msb 0x44                     ;  msbs: dst=1 src0=0 src1=1 src2=0
	v_mul_i32_i24_e32 v175 /*v431*/, v208, v153 /*v409*/
	v_mul_i32_i24_e32 v176 /*v432*/, v230, v154 /*v410*/
	;; [unrolled: 1-line block ×3, first 2 shown]
	s_set_vgpr_msb 0x55                     ;  msbs: dst=1 src0=1 src1=1 src2=1
	v_mul_i32_i24_e32 v180 /*v436*/, v1 /*v257*/, v154 /*v410*/
	v_add3_u32 v170 /*v426*/, v170 /*v426*/, v171 /*v427*/, v174 /*v430*/
	s_set_vgpr_msb 0x44                     ;  msbs: dst=1 src0=0 src1=1 src2=0
	v_mul_i32_i24_e32 v171 /*v427*/, v205, v108 /*v364*/
	v_mul_i32_i24_e32 v174 /*v430*/, v207, v116 /*v372*/
	s_set_vgpr_msb 0x55                     ;  msbs: dst=1 src0=1 src1=1 src2=1
	s_delay_alu instid0(VALU_DEP_1)
	v_add3_u32 v170 /*v426*/, v170 /*v426*/, v171 /*v427*/, v174 /*v430*/
	s_set_vgpr_msb 64                       ;  msbs: dst=1 src0=0 src1=0 src2=0
	v_mul_i32_i24_e32 v171 /*v427*/, v243, v118
	s_set_vgpr_msb 0                        ;  msbs: dst=0 src0=0 src1=0 src2=0
	v_mul_i32_i24_e32 v118, v173, v118
	s_set_vgpr_msb 0x44                     ;  msbs: dst=1 src0=0 src1=1 src2=0
	v_mul_i32_i24_e32 v174 /*v430*/, v252, v99 /*v355*/
	v_mul_i32_i24_e32 v99 /*v355*/, v176, v99 /*v355*/
	s_set_vgpr_msb 0x55                     ;  msbs: dst=1 src0=1 src1=1 src2=1
	v_add3_u32 v170 /*v426*/, v170 /*v426*/, v175 /*v431*/, v177 /*v433*/
	s_set_vgpr_msb 0x44                     ;  msbs: dst=1 src0=0 src1=1 src2=0
	v_mul_i32_i24_e32 v175 /*v431*/, v248, v100 /*v356*/
	v_mul_i32_i24_e32 v100 /*v356*/, v174, v100 /*v356*/
	s_set_vgpr_msb 0                        ;  msbs: dst=0 src0=0 src1=0 src2=0
	v_mad_i32_i24 v118, v172, v120, v118
	s_set_vgpr_msb 0x50                     ;  msbs: dst=1 src0=0 src1=0 src2=1
	v_mad_i32_i24 v171 /*v427*/, v238, v120, v171 /*v427*/
	s_set_vgpr_msb 4                        ;  msbs: dst=0 src0=0 src1=1 src2=0
	v_mul_i32_i24_e32 v120, v175, v108 /*v364*/
	s_set_vgpr_msb 0x44                     ;  msbs: dst=1 src0=0 src1=1 src2=0
	v_mul_i32_i24_e32 v177 /*v433*/, v254, v153 /*v409*/
	s_set_vgpr_msb 20                       ;  msbs: dst=0 src0=0 src1=1 src2=1
	v_add3_u32 v118, v118, v99 /*v355*/, v100 /*v356*/
	s_set_vgpr_msb 0x44                     ;  msbs: dst=1 src0=0 src1=1 src2=0
	v_mul_i32_i24_e32 v99 /*v355*/, v177, v116 /*v372*/
	s_set_vgpr_msb 0x55                     ;  msbs: dst=1 src0=1 src1=1 src2=1
	v_add3_u32 v171 /*v427*/, v171 /*v427*/, v174 /*v430*/, v175 /*v431*/
	s_set_vgpr_msb 0x44                     ;  msbs: dst=1 src0=0 src1=1 src2=0
	v_mul_i32_i24_e32 v174 /*v430*/, v250, v108 /*v364*/
	v_mul_i32_i24_e32 v175 /*v431*/, v253, v116 /*v372*/
	;; [unrolled: 1-line block ×4, first 2 shown]
	s_set_vgpr_msb 16                       ;  msbs: dst=0 src0=0 src1=0 src2=1
	v_add3_u32 v118, v118, v120, v99 /*v355*/
	s_set_vgpr_msb 0x55                     ;  msbs: dst=1 src0=1 src1=1 src2=1
	v_lshrrev_b32_e32 v99 /*v355*/, 24, v161 /*v417*/
	v_add3_u32 v171 /*v427*/, v171 /*v427*/, v174 /*v430*/, v175 /*v431*/
	v_lshrrev_b32_e32 v175 /*v431*/, 24, v107 /*v363*/
	s_set_vgpr_msb 0x54                     ;  msbs: dst=1 src0=0 src1=1 src2=1
	v_mul_i32_i24_e32 v153 /*v409*/, v180, v154 /*v410*/
	v_add3_u32 v174 /*v430*/, v118, v100 /*v356*/, v108 /*v364*/
	s_set_vgpr_msb 0x41                     ;  msbs: dst=1 src0=1 src1=0 src2=0
	v_bfe_i32 v100 /*v356*/, v161 /*v417*/, 16, 8
	v_bfe_i32 v161 /*v417*/, v107 /*v363*/, 16, 8
	s_set_vgpr_msb 5                        ;  msbs: dst=0 src0=1 src1=1 src2=0
	v_mul_i32_i24_e32 v118, v49 /*v305*/, v175 /*v431*/
	v_mul_i32_i24_e32 v120, v51 /*v307*/, v175 /*v431*/
	s_set_vgpr_msb 0x55                     ;  msbs: dst=1 src0=1 src1=1 src2=1
	v_add3_u32 v171 /*v427*/, v171 /*v427*/, v177 /*v433*/, v179 /*v435*/
	s_set_vgpr_msb 64                       ;  msbs: dst=1 src0=0 src1=0 src2=0
	v_bfe_i32 v177 /*v433*/, v2, 0, 8
	s_set_vgpr_msb 0x45                     ;  msbs: dst=1 src0=1 src1=1 src2=0
	v_mul_i32_i24_e32 v107 /*v363*/, v50 /*v306*/, v161 /*v417*/
	v_mul_i32_i24_e32 v108 /*v364*/, v52 /*v308*/, v161 /*v417*/
	s_set_vgpr_msb 64                       ;  msbs: dst=1 src0=0 src1=0 src2=0
	v_ashrrev_i32_e32 v179 /*v435*/, 24, v3
	s_set_vgpr_msb 0x45                     ;  msbs: dst=1 src0=1 src1=1 src2=0
	v_mul_i32_i24_e32 v187 /*v443*/, v15 /*v271*/, v177 /*v433*/
	s_set_vgpr_msb 4                        ;  msbs: dst=0 src0=0 src1=1 src2=0
	v_add3_u32 v117, v117, v107 /*v363*/, v118
	v_add3_u32 v115, v115, v108 /*v364*/, v120
	v_bfe_i32 v120, v1, 0, 8
	v_bfe_i32 v118, v1, 16, 8
	s_set_vgpr_msb 0x44                     ;  msbs: dst=1 src0=0 src1=1 src2=0
	v_mul_i32_i24_e32 v194 /*v450*/, v246, v179 /*v435*/
	v_cvt_f32_i32_e32 v117 /*v373*/, v117
	v_cvt_f32_i32_e32 v116 /*v372*/, v115
	s_set_vgpr_msb 0x41                     ;  msbs: dst=1 src0=1 src1=0 src2=0
	v_mul_i32_i24_e32 v185 /*v441*/, v11 /*v267*/, v118
	s_set_vgpr_msb 4                        ;  msbs: dst=0 src0=0 src1=1 src2=0
	s_delay_alu instid0(VALU_DEP_2) | instskip(SKIP_3) | instid1(VALU_DEP_2)
	v_pk_mul_f32 v[114:115], v[114:115], v[116:117] /*v[372:373]*/ op_sel_hi:[0,1]
	s_set_vgpr_msb 64                       ;  msbs: dst=1 src0=0 src1=0 src2=0
	v_ashrrev_i32_e32 v116 /*v372*/, 24, v1
	s_set_vgpr_msb 0                        ;  msbs: dst=0 src0=0 src1=0 src2=0
	v_pk_fma_f32 v[104:105], v[94:95], v[104:105], v[114:115] op_sel_hi:[0,1,1] neg_lo:[0,0,1] neg_hi:[0,0,1]
	v_lshrrev_b16 v94, 8, v1
	v_bfe_i32 v114, v0, 16, 8
	v_bfe_i32 v115, v0, 0, 8
	s_set_vgpr_msb 64                       ;  msbs: dst=1 src0=0 src1=0 src2=0
	v_ashrrev_i32_e32 v117 /*v373*/, 24, v2
	s_set_vgpr_msb 0                        ;  msbs: dst=0 src0=0 src1=0 src2=0
	v_pk_fma_f32 v[74:75], v[90:91], v[104:105], v[74:75]
	v_lshrrev_b16 v90, 8, v0
	v_lshrrev_b16 v104, 8, v2
	;; [unrolled: 1-line block ×3, first 2 shown]
	v_bfe_i32 v94, v94, 0, 8
	s_set_vgpr_msb 64                       ;  msbs: dst=1 src0=0 src1=0 src2=0
	v_add_nc_u32_e32 v108 /*v364*/, v120, v115
	s_set_vgpr_msb 0                        ;  msbs: dst=0 src0=0 src1=0 src2=0
	v_bfe_i32 v90, v90, 0, 8
	v_ashrrev_i32_e32 v117, 24, v0
	v_bfe_i32 v104, v104, 0, 8
	v_bfe_i32 v105, v105, 0, 8
	s_set_vgpr_msb 0x55                     ;  msbs: dst=1 src0=1 src1=1 src2=1
	v_add3_u32 v182 /*v438*/, v108 /*v364*/, v177 /*v433*/, v181 /*v437*/
	s_set_vgpr_msb 0                        ;  msbs: dst=0 src0=0 src1=0 src2=0
	v_add_nc_u32_e32 v0, v94, v90
	s_set_vgpr_msb 1                        ;  msbs: dst=0 src0=1 src1=0 src2=0
	v_add_nc_u32_e32 v1, v116 /*v372*/, v117
	s_set_vgpr_msb 0x41                     ;  msbs: dst=1 src0=1 src1=0 src2=0
	v_mul_i32_i24_e32 v184 /*v440*/, v4 /*v260*/, v117
	s_set_vgpr_msb 0x45                     ;  msbs: dst=1 src0=1 src1=1 src2=0
	v_mul_i32_i24_e32 v186 /*v442*/, v13 /*v269*/, v116 /*v372*/
	s_set_vgpr_msb 0                        ;  msbs: dst=0 src0=0 src1=0 src2=0
	v_bfe_i32 v2, v2, 16, 8
	s_set_vgpr_msb 64                       ;  msbs: dst=1 src0=0 src1=0 src2=0
	v_add3_u32 v183 /*v439*/, v0, v104, v105
	s_set_vgpr_msb 0                        ;  msbs: dst=0 src0=0 src1=0 src2=0
	v_mul_i32_i24_e32 v0, v255, v115
	s_set_vgpr_msb 0x54                     ;  msbs: dst=1 src0=0 src1=1 src2=1
	v_add3_u32 v108 /*v364*/, v1, v117 /*v373*/, v179 /*v435*/
	s_set_vgpr_msb 1                        ;  msbs: dst=0 src0=1 src1=0 src2=0
	v_mul_i32_i24_e32 v1, v2 /*v258*/, v114
	s_set_vgpr_msb 0x41                     ;  msbs: dst=1 src0=1 src1=0 src2=0
	v_mul_i32_i24_e32 v188 /*v444*/, v16 /*v272*/, v104
	v_mul_i32_i24_e32 v189 /*v445*/, v17 /*v273*/, v2
	s_set_vgpr_msb 0                        ;  msbs: dst=0 src0=0 src1=0 src2=0
	v_mad_i32_i24 v0, v251, v90, v0
	s_set_vgpr_msb 0x45                     ;  msbs: dst=1 src0=1 src1=1 src2=0
	v_mul_i32_i24_e32 v190 /*v446*/, v19 /*v275*/, v117 /*v373*/
	s_set_vgpr_msb 0                        ;  msbs: dst=0 src0=0 src1=0 src2=0
	v_bfe_i32 v3, v3, 16, 8
	s_set_vgpr_msb 0x41                     ;  msbs: dst=1 src0=1 src1=0 src2=0
	v_mul_i32_i24_e32 v192 /*v448*/, v22 /*v278*/, v105
	s_set_vgpr_msb 64                       ;  msbs: dst=1 src0=0 src1=0 src2=0
	v_mul_i32_i24_e32 v196 /*v452*/, v247, v105
	s_set_vgpr_msb 16                       ;  msbs: dst=0 src0=0 src1=0 src2=1
	v_add3_u32 v0, v0, v1, v184 /*v440*/
	s_set_vgpr_msb 1                        ;  msbs: dst=0 src0=1 src1=0 src2=0
	v_mul_i32_i24_e32 v1, v6 /*v262*/, v120
	s_set_vgpr_msb 0x41                     ;  msbs: dst=1 src0=1 src1=0 src2=0
	v_mul_i32_i24_e32 v184 /*v440*/, v9 /*v265*/, v94
	v_mul_i32_i24_e32 v193 /*v449*/, v24 /*v280*/, v3
	;; [unrolled: 1-line block ×4, first 2 shown]
	s_set_vgpr_msb 64                       ;  msbs: dst=1 src0=0 src1=0 src2=0
	v_add_nc_u32_e32 v107 /*v363*/, v118, v114
	s_set_vgpr_msb 16                       ;  msbs: dst=0 src0=0 src1=0 src2=1
	v_add3_u32 v0, v0, v1, v184 /*v440*/
	v_mul_i32_i24_e32 v1, v221, v114
	s_set_vgpr_msb 64                       ;  msbs: dst=1 src0=0 src1=0 src2=0
	v_mul_i32_i24_e32 v197 /*v453*/, v249, v3
	s_set_vgpr_msb 0                        ;  msbs: dst=0 src0=0 src1=0 src2=0
	v_mul_i32_i24_e32 v105, v201, v105
	s_set_vgpr_msb 0x41                     ;  msbs: dst=1 src0=1 src1=0 src2=0
	v_add3_u32 v107 /*v363*/, v107 /*v363*/, v2, v3
	s_set_vgpr_msb 20                       ;  msbs: dst=0 src0=0 src1=1 src2=1
	v_add3_u32 v0, v0, v185 /*v441*/, v186 /*v442*/
	s_set_vgpr_msb 0x45                     ;  msbs: dst=1 src0=1 src1=1 src2=0
	v_mul_i32_i24_e32 v185 /*v441*/, v108 /*v364*/, v175 /*v431*/
	v_mul_i32_i24_e32 v184 /*v440*/, v183 /*v439*/, v55 /*v311*/
	;; [unrolled: 1-line block ×3, first 2 shown]
	s_set_vgpr_msb 20                       ;  msbs: dst=0 src0=0 src1=1 src2=1
	v_add3_u32 v0, v0, v187 /*v443*/, v188 /*v444*/
	s_set_vgpr_msb 64                       ;  msbs: dst=1 src0=0 src1=0 src2=0
	v_mul_i32_i24_e32 v188 /*v444*/, v223, v117
	s_set_vgpr_msb 0x45                     ;  msbs: dst=1 src0=1 src1=1 src2=0
	v_mul_i32_i24_e32 v187 /*v443*/, v107 /*v363*/, v161 /*v417*/
	s_set_vgpr_msb 20                       ;  msbs: dst=0 src0=0 src1=1 src2=1
	v_add3_u32 v0, v0, v189 /*v445*/, v190 /*v446*/
	s_set_vgpr_msb 64                       ;  msbs: dst=1 src0=0 src1=0 src2=0
	v_mul_i32_i24_e32 v189 /*v445*/, v231, v118
	s_set_vgpr_msb 0x44                     ;  msbs: dst=1 src0=0 src1=1 src2=0
	v_mul_i32_i24_e32 v190 /*v446*/, v233, v116 /*v372*/
	s_set_vgpr_msb 20                       ;  msbs: dst=0 src0=0 src1=1 src2=1
	v_add3_u32 v0, v0, v191 /*v447*/, v192 /*v448*/
	s_set_vgpr_msb 0x44                     ;  msbs: dst=1 src0=0 src1=1 src2=0
	v_mul_i32_i24_e32 v191 /*v447*/, v235, v177 /*v433*/
	s_set_vgpr_msb 64                       ;  msbs: dst=1 src0=0 src1=0 src2=0
	v_mul_i32_i24_e32 v192 /*v448*/, v237, v104
	s_set_vgpr_msb 20                       ;  msbs: dst=0 src0=0 src1=1 src2=1
	v_add3_u32 v0, v0, v193 /*v449*/, v194 /*v450*/
	s_set_vgpr_msb 64                       ;  msbs: dst=1 src0=0 src1=0 src2=0
	v_mul_i32_i24_e32 v193 /*v449*/, v240, v2
	s_set_vgpr_msb 0x44                     ;  msbs: dst=1 src0=0 src1=1 src2=0
	v_mul_i32_i24_e32 v194 /*v450*/, v242, v117 /*v373*/
	s_set_vgpr_msb 20                       ;  msbs: dst=0 src0=0 src1=1 src2=1
	v_mad_u32 v0, v0, v54 /*v310*/, v127 /*v383*/
	s_set_vgpr_msb 64                       ;  msbs: dst=1 src0=0 src1=0 src2=0
	s_delay_alu instid0(VALU_DEP_1) | instskip(SKIP_2) | instid1(VALU_DEP_1)
	v_cvt_f32_i32_e32 v127 /*v383*/, v0
	s_set_vgpr_msb 0                        ;  msbs: dst=0 src0=0 src1=0 src2=0
	v_mul_i32_i24_e32 v0, v220, v115
	v_mad_i32_i24 v0, v219, v90, v0
	s_set_vgpr_msb 16                       ;  msbs: dst=0 src0=0 src1=0 src2=1
	s_delay_alu instid0(VALU_DEP_1) | instskip(SKIP_4) | instid1(VALU_DEP_1)
	v_add3_u32 v0, v0, v1, v188 /*v444*/
	v_mul_i32_i24_e32 v1, v227, v120
	s_set_vgpr_msb 64                       ;  msbs: dst=1 src0=0 src1=0 src2=0
	v_mul_i32_i24_e32 v188 /*v444*/, v229, v94
	s_set_vgpr_msb 16                       ;  msbs: dst=0 src0=0 src1=0 src2=1
	v_add3_u32 v0, v0, v1, v188 /*v444*/
	s_set_vgpr_msb 1                        ;  msbs: dst=0 src0=1 src1=0 src2=0
	v_mul_i32_i24_e32 v1, v23 /*v279*/, v114
	s_set_vgpr_msb 0                        ;  msbs: dst=0 src0=0 src1=0 src2=0
	v_mul_i32_i24_e32 v114, v190, v114
	s_set_vgpr_msb 20                       ;  msbs: dst=0 src0=0 src1=1 src2=1
	v_add3_u32 v0, v0, v189 /*v445*/, v190 /*v446*/
	s_set_vgpr_msb 0x41                     ;  msbs: dst=1 src0=1 src1=0 src2=0
	v_mul_i32_i24_e32 v189 /*v445*/, v25 /*v281*/, v117
	v_mul_i32_i24_e32 v190 /*v446*/, v28 /*v284*/, v118
	s_set_vgpr_msb 20                       ;  msbs: dst=0 src0=0 src1=1 src2=1
	v_add3_u32 v0, v0, v191 /*v447*/, v192 /*v448*/
	s_set_vgpr_msb 0x45                     ;  msbs: dst=1 src0=1 src1=1 src2=0
	v_mul_i32_i24_e32 v191 /*v447*/, v29 /*v285*/, v116 /*v372*/
	v_mul_i32_i24_e32 v192 /*v448*/, v30 /*v286*/, v177 /*v433*/
	s_set_vgpr_msb 20                       ;  msbs: dst=0 src0=0 src1=1 src2=1
	v_add3_u32 v0, v0, v193 /*v449*/, v194 /*v450*/
	s_set_vgpr_msb 0x41                     ;  msbs: dst=1 src0=1 src1=0 src2=0
	v_mul_i32_i24_e32 v193 /*v449*/, v31 /*v287*/, v104
	v_mul_i32_i24_e32 v194 /*v450*/, v32 /*v288*/, v2
	s_set_vgpr_msb 0                        ;  msbs: dst=0 src0=0 src1=0 src2=0
	v_mul_i32_i24_e32 v104, v197, v104
	v_mul_i32_i24_e32 v2, v198, v2
	s_set_vgpr_msb 0x54                     ;  msbs: dst=1 src0=0 src1=1 src2=1
	v_add3_u32 v188 /*v444*/, v0, v195 /*v451*/, v196 /*v452*/
	s_set_vgpr_msb 1                        ;  msbs: dst=0 src0=1 src1=0 src2=0
	v_mul_i32_i24_e32 v0, v20 /*v276*/, v115
	s_set_vgpr_msb 0x45                     ;  msbs: dst=1 src0=1 src1=1 src2=0
	v_mul_i32_i24_e32 v195 /*v451*/, v33 /*v289*/, v117 /*v373*/
	v_mul_i32_i24_e32 v196 /*v452*/, v34 /*v290*/, v181 /*v437*/
	s_set_vgpr_msb 1                        ;  msbs: dst=0 src0=1 src1=0 src2=0
	v_mad_i32_i24 v0, v18 /*v274*/, v90, v0
	s_set_vgpr_msb 16                       ;  msbs: dst=0 src0=0 src1=0 src2=1
	s_delay_alu instid0(VALU_DEP_1)
	v_add3_u32 v0, v0, v1, v189 /*v445*/
	s_set_vgpr_msb 1                        ;  msbs: dst=0 src0=1 src1=0 src2=0
	v_mul_i32_i24_e32 v1, v26 /*v282*/, v120
	s_set_vgpr_msb 0x41                     ;  msbs: dst=1 src0=1 src1=0 src2=0
	v_mul_i32_i24_e32 v189 /*v445*/, v27 /*v283*/, v94
	s_set_vgpr_msb 16                       ;  msbs: dst=0 src0=0 src1=0 src2=1
	v_mul_i32_i24_e32 v94, v193, v94
	s_delay_alu instid0(VALU_DEP_2)
	v_add3_u32 v0, v0, v1, v189 /*v445*/
	s_set_vgpr_msb 5                        ;  msbs: dst=0 src0=1 src1=1 src2=0
	v_mul_i32_i24_e32 v1, v8 /*v264*/, v179 /*v435*/
	s_set_vgpr_msb 0x44                     ;  msbs: dst=1 src0=0 src1=1 src2=0
	v_mul_i32_i24_e32 v189 /*v445*/, v209, v79 /*v335*/
	s_set_vgpr_msb 20                       ;  msbs: dst=0 src0=0 src1=1 src2=1
	v_add3_u32 v0, v0, v190 /*v446*/, v191 /*v447*/
	s_set_vgpr_msb 17                       ;  msbs: dst=0 src0=1 src1=0 src2=1
	s_delay_alu instid0(VALU_DEP_2)
	v_add3_u32 v113, v125 /*v381*/, v113, v189 /*v445*/
	s_set_vgpr_msb 0x45                     ;  msbs: dst=1 src0=1 src1=1 src2=0
	v_mul_i32_i24_e32 v125 /*v381*/, v183 /*v439*/, v59 /*v315*/
	v_mul_i32_i24_e32 v189 /*v445*/, v80 /*v336*/, v59 /*v315*/
	s_set_vgpr_msb 20                       ;  msbs: dst=0 src0=0 src1=1 src2=1
	v_add3_u32 v0, v0, v192 /*v448*/, v193 /*v449*/
	s_set_vgpr_msb 0x55                     ;  msbs: dst=1 src0=1 src1=1 src2=1
	s_delay_alu instid0(VALU_DEP_2) | instskip(SKIP_1) | instid1(VALU_DEP_2)
	v_add3_u32 v130 /*v386*/, v131 /*v387*/, v130 /*v386*/, v189 /*v445*/
	s_set_vgpr_msb 20                       ;  msbs: dst=0 src0=0 src1=1 src2=1
	v_add3_u32 v0, v0, v194 /*v450*/, v195 /*v451*/
	s_delay_alu instid0(VALU_DEP_1) | instskip(SKIP_1) | instid1(VALU_DEP_1)
	v_add3_u32 v0, v0, v196 /*v452*/, v198 /*v454*/
	s_set_vgpr_msb 4                        ;  msbs: dst=0 src0=0 src1=1 src2=0
	v_add3_u32 v0, v0, v199 /*v455*/, v1
	s_set_vgpr_msb 5                        ;  msbs: dst=0 src0=1 src1=1 src2=0
	v_mul_i32_i24_e32 v1, v182 /*v438*/, v67 /*v323*/
	s_set_vgpr_msb 20                       ;  msbs: dst=0 src0=0 src1=1 src2=1
	s_delay_alu instid0(VALU_DEP_2) | instskip(SKIP_1) | instid1(VALU_DEP_2)
	v_mad_u32 v0, v0, v60 /*v316*/, v133 /*v389*/
	s_set_vgpr_msb 0x51                     ;  msbs: dst=1 src0=1 src1=0 src2=1
	v_add3_u32 v131 /*v387*/, v134 /*v390*/, v1, v125 /*v381*/
	s_set_vgpr_msb 20                       ;  msbs: dst=0 src0=0 src1=1 src2=1
	v_mad_u32 v1, v113, v66 /*v322*/, v132 /*v388*/
	s_set_vgpr_msb 0                        ;  msbs: dst=0 src0=0 src1=0 src2=0
	v_mul_i32_i24_e32 v113, v189, v115
	v_mul_i32_i24_e32 v115, v191, v117
	s_set_vgpr_msb 4                        ;  msbs: dst=0 src0=0 src1=1 src2=0
	v_mul_i32_i24_e32 v117, v196, v177 /*v433*/
	s_set_vgpr_msb 0                        ;  msbs: dst=0 src0=0 src1=0 src2=0
	v_mad_i32_i24 v90, v187, v90, v113
	v_mul_i32_i24_e32 v113, v192, v120
	s_set_vgpr_msb 4                        ;  msbs: dst=0 src0=0 src1=1 src2=0
	v_mul_i32_i24_e32 v120, v200, v181 /*v437*/
	v_cvt_f32_i32_e32 v0, v0
	s_set_vgpr_msb 0                        ;  msbs: dst=0 src0=0 src1=0 src2=0
	v_add3_u32 v90, v90, v114, v115
	v_mul_i32_i24_e32 v114, v194, v118
	s_set_vgpr_msb 4                        ;  msbs: dst=0 src0=0 src1=1 src2=0
	v_mul_i32_i24_e32 v115, v195, v116 /*v372*/
	s_set_vgpr_msb 64                       ;  msbs: dst=1 src0=0 src1=0 src2=0
	v_mul_i32_i24_e32 v116 /*v372*/, v202, v3
	s_set_vgpr_msb 4                        ;  msbs: dst=0 src0=0 src1=1 src2=0
	v_mul_i32_i24_e32 v118, v199, v117 /*v373*/
	s_set_vgpr_msb 0                        ;  msbs: dst=0 src0=0 src1=0 src2=0
	v_add3_u32 v3, v90, v113, v94
	s_set_vgpr_msb 4                        ;  msbs: dst=0 src0=0 src1=1 src2=0
	v_mul_i32_i24_e32 v90, v109, v79 /*v335*/
	s_set_vgpr_msb 5                        ;  msbs: dst=0 src0=1 src1=1 src2=0
	v_mul_i32_i24_e32 v94, v182 /*v438*/, v97 /*v353*/
	v_mul_i32_i24_e32 v113, v107 /*v363*/, v100 /*v356*/
	s_set_vgpr_msb 0                        ;  msbs: dst=0 src0=0 src1=0 src2=0
	v_cvt_f32_i32_e32 v1, v1
	v_add3_u32 v3, v3, v114, v115
	v_add3_u32 v90, v112, v107, v90
	s_set_vgpr_msb 5                        ;  msbs: dst=0 src0=1 src1=1 src2=0
	v_mul_i32_i24_e32 v112, v52 /*v308*/, v100 /*v356*/
	s_set_vgpr_msb 0                        ;  msbs: dst=0 src0=0 src1=0 src2=0
	v_add3_u32 v3, v3, v117, v104
	s_set_vgpr_msb 20                       ;  msbs: dst=0 src0=0 src1=1 src2=1
	v_mad_u32 v90, v90, v98 /*v354*/, v164 /*v420*/
	s_set_vgpr_msb 5                        ;  msbs: dst=0 src0=1 src1=1 src2=0
	v_mul_i32_i24_e32 v104, v183 /*v439*/, v90 /*v346*/
	s_set_vgpr_msb 0                        ;  msbs: dst=0 src0=0 src1=0 src2=0
	v_add3_u32 v2, v3, v2, v118
	s_set_vgpr_msb 4                        ;  msbs: dst=0 src0=0 src1=1 src2=0
	v_mul_i32_i24_e32 v3, v218, v179 /*v435*/
	s_set_vgpr_msb 1                        ;  msbs: dst=0 src0=1 src1=0 src2=0
	v_add3_u32 v94, v166 /*v422*/, v94, v104
	s_set_vgpr_msb 64                       ;  msbs: dst=1 src0=0 src1=0 src2=0
	v_add3_u32 v117 /*v373*/, v2, v120, v105
	s_set_vgpr_msb 5                        ;  msbs: dst=0 src0=1 src1=1 src2=0
	v_add3_u32 v3, v188 /*v444*/, v197 /*v453*/, v3
	v_mul_i32_i24_e32 v105, v80 /*v336*/, v90 /*v346*/
	s_set_vgpr_msb 20                       ;  msbs: dst=0 src0=0 src1=1 src2=1
	v_mul_f32_e32 v2, v99, v127 /*v383*/
	s_delay_alu instid0(VALU_DEP_3)
	v_mad_u32 v3, v3, v92 /*v348*/, v165 /*v421*/
	s_set_vgpr_msb 5                        ;  msbs: dst=0 src0=1 src1=1 src2=0
	v_add3_u32 v107, v163 /*v419*/, v162 /*v418*/, v105
	s_set_vgpr_msb 0                        ;  msbs: dst=0 src0=0 src1=0 src2=0
	v_cvt_f32_i32_e32 v105, v90
	s_set_vgpr_msb 5                        ;  msbs: dst=0 src0=1 src1=1 src2=0
	v_mul_i32_i24_e32 v90, v108 /*v364*/, v99 /*v355*/
	s_set_vgpr_msb 0                        ;  msbs: dst=0 src0=0 src1=0 src2=0
	s_delay_alu instid0(VALU_DEP_1)
	v_add3_u32 v90, v94, v113, v90
	s_set_vgpr_msb 21                       ;  msbs: dst=0 src0=1 src1=1 src2=1
	v_mad_i32_i24 v94, v112 /*v368*/, v56 /*v312*/, v185 /*v441*/
	s_set_vgpr_msb 0                        ;  msbs: dst=0 src0=0 src1=0 src2=0
	v_cvt_f32_i32_e32 v104, v3
	s_set_vgpr_msb 5                        ;  msbs: dst=0 src0=1 src1=1 src2=0
	v_mul_i32_i24_e32 v3, v51 /*v307*/, v99 /*v355*/
	v_add3_u32 v94, v129 /*v385*/, v184 /*v440*/, v94
	s_set_vgpr_msb 0                        ;  msbs: dst=0 src0=0 src1=0 src2=0
	s_delay_alu instid0(VALU_DEP_2)
	v_add3_u32 v3, v107, v112, v3
	v_cvt_f32_i32_e32 v112, v90
	s_set_vgpr_msb 21                       ;  msbs: dst=0 src0=1 src1=1 src2=1
	v_mad_i32_i24 v90, v109 /*v365*/, v72 /*v328*/, v186 /*v442*/
	s_set_vgpr_msb 0                        ;  msbs: dst=0 src0=0 src1=0 src2=0
	v_cvt_f32_i32_e32 v113, v3
	s_set_vgpr_msb 21                       ;  msbs: dst=0 src0=1 src1=1 src2=1
	v_mad_i32_i24 v3, v110 /*v366*/, v73 /*v329*/, v187 /*v443*/
	s_set_vgpr_msb 0                        ;  msbs: dst=0 src0=0 src1=0 src2=0
	s_delay_alu instid0(VALU_DEP_2) | instskip(NEXT) | instid1(VALU_DEP_2)
	v_pk_mul_f32 v[112:113], v[100:101], v[112:113] op_sel_hi:[0,1]
	v_add3_u32 v3, v90, v3, v94
	s_set_vgpr_msb 5                        ;  msbs: dst=0 src0=1 src1=1 src2=0
	v_mul_i32_i24_e32 v90, v69 /*v325*/, v161 /*v417*/
	s_set_vgpr_msb 0                        ;  msbs: dst=0 src0=0 src1=0 src2=0
	v_mov_b32_e32 v94, v92
	v_pk_fma_f32 v[104:105], v[98:99], v[104:105], v[112:113] op_sel_hi:[0,1,1] neg_lo:[0,0,1] neg_hi:[0,0,1]
	v_cvt_f32_i32_e32 v3, v3
	v_dual_mov_b32 v112, v99 :: v_dual_mov_b32 v113, v101
	s_delay_alu instid0(VALU_DEP_3) | instskip(NEXT) | instid1(VALU_DEP_3)
	v_pk_fma_f32 v[78:79], v[92:93], v[104:105], v[78:79]
	v_mul_f32_e32 v114, v101, v3
	s_set_vgpr_msb 5                        ;  msbs: dst=0 src0=1 src1=1 src2=0
	v_mul_i32_i24_e32 v3, v68 /*v324*/, v175 /*v431*/
	s_set_vgpr_msb 1                        ;  msbs: dst=0 src0=1 src1=0 src2=0
	s_delay_alu instid0(VALU_DEP_1) | instskip(SKIP_2) | instid1(VALU_DEP_2)
	v_add3_u32 v3, v143 /*v399*/, v90, v3
	v_lshrrev_b32_e32 v90, 16, v126
	s_set_vgpr_msb 0                        ;  msbs: dst=0 src0=0 src1=0 src2=0
	v_cvt_f32_i32_e32 v107, v3
	s_delay_alu instid0(VALU_DEP_1)
	v_pk_mul_f32 v[104:105], v[112:113], v[106:107]
	s_set_vgpr_msb 1                        ;  msbs: dst=0 src0=1 src1=0 src2=0
	ds_load_u16 v106, v77 /*v333*/
	s_set_vgpr_msb 0                        ;  msbs: dst=0 src0=0 src1=0 src2=0
	v_dual_mov_b32 v3, v104 :: v_dual_mov_b32 v115, v105
	v_cvt_f32_f16_e32 v105, v90
	s_delay_alu instid0(VALU_DEP_2) | instskip(SKIP_1) | instid1(VALU_DEP_2)
	v_pk_add_f32 v[2:3], v[2:3], v[114:115] neg_lo:[0,1] neg_hi:[0,1]
	v_dual_mov_b32 v114, v98 :: v_dual_mov_b32 v115, v100
	v_pk_fma_f32 v[84:85], v[94:95], v[2:3], v[84:85]
	s_set_vgpr_msb 5                        ;  msbs: dst=0 src0=1 src1=1 src2=0
	v_mul_i32_i24_e32 v2, v68 /*v324*/, v99 /*v355*/
	v_mul_i32_i24_e32 v3, v69 /*v325*/, v100 /*v356*/
	v_lshrrev_b32_e32 v94, 16, v78 /*v334*/
	s_wait_dscnt 0x0
	s_set_vgpr_msb 0                        ;  msbs: dst=0 src0=0 src1=0 src2=0
	v_lshrrev_b16 v107, 8, v106
	s_set_vgpr_msb 64                       ;  msbs: dst=1 src0=0 src1=0 src2=0
	v_bfe_u32 v77 /*v333*/, v106, 4, 4
	s_set_vgpr_msb 1                        ;  msbs: dst=0 src0=1 src1=0 src2=0
	v_add3_u32 v2, v167 /*v423*/, v3, v2
	s_set_vgpr_msb 0                        ;  msbs: dst=0 src0=0 src1=0 src2=0
	v_cvt_f32_f16_e32 v104, v94
	v_dual_mov_b32 v94, v105 :: v_dual_bitop2_b32 v106, 15, v106 bitop3:0x40
	s_set_vgpr_msb 64                       ;  msbs: dst=1 src0=0 src1=0 src2=0
	v_cvt_f32_i32_e32 v125 /*v381*/, v2
	s_delay_alu instid0(VALU_DEP_2) | instskip(SKIP_1) | instid1(VALU_DEP_2)
	v_and_b32_e32 v134 /*v390*/, 0xffff, v106
	s_set_vgpr_msb 4                        ;  msbs: dst=0 src0=0 src1=1 src2=0
	v_pk_mul_f32 v[2:3], v[114:115], v[124:125] /*v[380:381]*/
	s_set_vgpr_msb 0                        ;  msbs: dst=0 src0=0 src1=0 src2=0
	s_delay_alu instid0(VALU_DEP_1) | instskip(SKIP_3) | instid1(VALU_DEP_2)
	v_sub_f32_e32 v2, v2, v3
	s_set_vgpr_msb 5                        ;  msbs: dst=0 src0=1 src1=1 src2=0
	v_mul_i32_i24_e32 v3, v82 /*v338*/, v161 /*v417*/
	s_set_vgpr_msb 0                        ;  msbs: dst=0 src0=0 src1=0 src2=0
	v_mul_f32_e32 v117, v95, v2
	s_set_vgpr_msb 5                        ;  msbs: dst=0 src0=1 src1=1 src2=0
	v_mul_i32_i24_e32 v2, v81 /*v337*/, v175 /*v431*/
	s_set_vgpr_msb 1                        ;  msbs: dst=0 src0=1 src1=0 src2=0
	s_delay_alu instid0(VALU_DEP_1) | instskip(SKIP_1) | instid1(VALU_DEP_1)
	v_add3_u32 v2, v151 /*v407*/, v3, v2
	s_set_vgpr_msb 64                       ;  msbs: dst=1 src0=0 src1=0 src2=0
	v_cvt_f32_i32_e32 v127 /*v383*/, v2
	s_set_vgpr_msb 4                        ;  msbs: dst=0 src0=0 src1=1 src2=0
	s_delay_alu instid0(VALU_DEP_1) | instskip(SKIP_1) | instid1(VALU_DEP_1)
	v_pk_mul_f32 v[2:3], v[112:113], v[126:127] /*v[382:383]*/
	s_set_vgpr_msb 0                        ;  msbs: dst=0 src0=0 src1=0 src2=0
	v_sub_f32_e32 v2, v2, v3
	s_set_vgpr_msb 5                        ;  msbs: dst=0 src0=1 src1=1 src2=0
	v_mul_i32_i24_e32 v3, v82 /*v338*/, v100 /*v356*/
	s_set_vgpr_msb 1                        ;  msbs: dst=0 src0=1 src1=0 src2=0
	s_delay_alu instid0(VALU_DEP_2) | instskip(SKIP_3) | instid1(VALU_DEP_1)
	v_mul_f32_e32 v120, v76 /*v332*/, v2
	s_set_vgpr_msb 5                        ;  msbs: dst=0 src0=1 src1=1 src2=0
	v_mul_i32_i24_e32 v2, v81 /*v337*/, v99 /*v355*/
	s_set_vgpr_msb 1                        ;  msbs: dst=0 src0=1 src1=0 src2=0
	v_add3_u32 v2, v152 /*v408*/, v3, v2
	s_set_vgpr_msb 64                       ;  msbs: dst=1 src0=0 src1=0 src2=0
	s_delay_alu instid0(VALU_DEP_1) | instskip(SKIP_1) | instid1(VALU_DEP_1)
	v_cvt_f32_i32_e32 v129 /*v385*/, v2
	s_set_vgpr_msb 4                        ;  msbs: dst=0 src0=0 src1=1 src2=0
	v_pk_mul_f32 v[2:3], v[114:115], v[128:129] /*v[384:385]*/
	s_set_vgpr_msb 0                        ;  msbs: dst=0 src0=0 src1=0 src2=0
	s_delay_alu instid0(VALU_DEP_1) | instskip(SKIP_3) | instid1(VALU_DEP_3)
	v_sub_f32_e32 v2, v2, v3
	v_cvt_f32_f16_e32 v3, v126
	v_and_b32_e32 v126, 0xffff, v107
	s_set_vgpr_msb 1                        ;  msbs: dst=0 src0=1 src1=0 src2=0
	v_dual_mul_f32 v118, v76 /*v332*/, v2 :: v_dual_bitop2_b32 v107, 15, v107 bitop3:0x40
	v_cvt_f32_f16_e64 v2, v78 /*v334*/
	s_delay_alu instid0(VALU_DEP_3)
	v_lshrrev_b32_e32 v126, 4, v126
	s_set_vgpr_msb 0x44                     ;  msbs: dst=1 src0=0 src1=1 src2=0
	v_mul_lo_u32 v78 /*v334*/, 0x1010101, v77 /*v333*/
	s_set_vgpr_msb 64                       ;  msbs: dst=1 src0=0 src1=0 src2=0
	v_and_b32_e32 v143 /*v399*/, 0xffff, v107
	s_set_vgpr_msb 0                        ;  msbs: dst=0 src0=0 src1=0 src2=0
	v_mov_b32_e32 v90, v3
	s_set_vgpr_msb 0x41                     ;  msbs: dst=1 src0=1 src1=0 src2=0
	v_mul_lo_u32 v127 /*v383*/, 0x1010101, v126
	s_delay_alu instid0(VALU_DEP_4)
	v_bfe_i32 v77 /*v333*/, v78 /*v334*/, 0, 8
	v_bfe_i32 v125 /*v381*/, v78 /*v334*/, 16, 8
	s_set_vgpr_msb 0x44                     ;  msbs: dst=1 src0=0 src1=1 src2=0
	v_lshrrev_b32_e32 v126 /*v382*/, 24, v78 /*v334*/
	s_set_vgpr_msb 0x41                     ;  msbs: dst=1 src0=1 src1=0 src2=0
	v_bfe_i32 v124 /*v380*/, v78 /*v334*/, 8, 8
	v_bfe_i32 v128 /*v384*/, v127 /*v383*/, 0, 8
	;; [unrolled: 1-line block ×3, first 2 shown]
	s_set_vgpr_msb 5                        ;  msbs: dst=0 src0=1 src1=1 src2=0
	v_mul_i32_i24_e32 v107, v84 /*v340*/, v126 /*v382*/
	s_set_vgpr_msb 0x41                     ;  msbs: dst=1 src0=1 src1=0 src2=0
	v_bfe_i32 v84 /*v340*/, v119 /*v375*/, 0, 8
	s_set_vgpr_msb 0x44                     ;  msbs: dst=1 src0=0 src1=1 src2=0
	v_mul_i32_i24_e32 v132 /*v388*/, v108, v128 /*v384*/
	s_set_vgpr_msb 4                        ;  msbs: dst=0 src0=0 src1=1 src2=0
	v_mul_i32_i24_e32 v108, v110, v126 /*v382*/
	v_mul_i32_i24_e32 v110, v111, v125 /*v381*/
	;; [unrolled: 1-line block ×3, first 2 shown]
	s_set_vgpr_msb 5                        ;  msbs: dst=0 src0=1 src1=1 src2=0
	v_mul_i32_i24_e32 v106, v83 /*v339*/, v128 /*v384*/
	s_set_vgpr_msb 0x45                     ;  msbs: dst=1 src0=1 src1=1 src2=0
	v_mul_i32_i24_e32 v83 /*v339*/, v109 /*v365*/, v77 /*v333*/
	v_mul_i32_i24_e32 v78 /*v334*/, v80 /*v336*/, v129 /*v385*/
	;; [unrolled: 1-line block ×3, first 2 shown]
	s_set_vgpr_msb 4                        ;  msbs: dst=0 src0=0 src1=1 src2=0
	v_mad_i32_i24 v111, v122, v124 /*v380*/, v111
	v_mul_i32_i24_e32 v122, v188, v79 /*v335*/
	s_set_vgpr_msb 0x55                     ;  msbs: dst=1 src0=1 src1=1 src2=1
	v_mul_i32_i24_e32 v79 /*v335*/, v112 /*v368*/, v126 /*v382*/
	v_mad_i32_i24 v83 /*v339*/, v111 /*v367*/, v124 /*v380*/, v83 /*v339*/
	s_set_vgpr_msb 5                        ;  msbs: dst=0 src0=1 src1=1 src2=0
	v_mul_i32_i24_e32 v124, v182 /*v438*/, v128 /*v384*/
	s_set_vgpr_msb 64                       ;  msbs: dst=1 src0=0 src1=0 src2=0
	v_add3_u32 v133 /*v389*/, v111, v110, v108
	s_set_vgpr_msb 5                        ;  msbs: dst=0 src0=1 src1=1 src2=0
	v_mul_i32_i24_e32 v110, v87 /*v343*/, v77 /*v333*/
	v_mul_i32_i24_e32 v108, v85 /*v341*/, v125 /*v381*/
	v_add3_u32 v122, v102 /*v358*/, v101 /*v357*/, v122
	s_set_vgpr_msb 4                        ;  msbs: dst=0 src0=0 src1=1 src2=0
	v_mul_i32_i24_e32 v111, v203, v179 /*v435*/
	s_set_vgpr_msb 5                        ;  msbs: dst=0 src0=1 src1=1 src2=0
	v_mul_i32_i24_e32 v126, v183 /*v439*/, v129 /*v385*/
	v_mad_i32_i24 v110, v86 /*v342*/, v124 /*v380*/, v110
	s_set_vgpr_msb 0x55                     ;  msbs: dst=1 src0=1 src1=1 src2=1
	v_add3_u32 v79 /*v335*/, v83 /*v339*/, v80 /*v336*/, v79 /*v335*/
	v_ashrrev_i32_e32 v109 /*v365*/, 24, v120 /*v376*/
	s_set_vgpr_msb 5                        ;  msbs: dst=0 src0=1 src1=1 src2=0
	v_add3_u32 v111, v117 /*v373*/, v116 /*v372*/, v111
	s_set_vgpr_msb 0x44                     ;  msbs: dst=1 src0=0 src1=1 src2=0
	v_dual_ashrrev_i32 v80 /*v336*/, 24, v118 /*v374*/ :: v_dual_ashrrev_i32 v87 /*v343*/, 24, v119 /*v375*/
	s_set_vgpr_msb 0                        ;  msbs: dst=0 src0=0 src1=0 src2=0
	v_add3_u32 v107, v110, v108, v107
	s_set_vgpr_msb 4                        ;  msbs: dst=0 src0=0 src1=1 src2=0
	v_mul_i32_i24_e32 v108, v203, v88 /*v344*/
	v_mul_i32_i24_e32 v110, v188, v113 /*v369*/
	s_set_vgpr_msb 0x41                     ;  msbs: dst=1 src0=1 src1=0 src2=0
	v_add3_u32 v83 /*v339*/, v79 /*v335*/, v124, v126
	s_set_vgpr_msb 5                        ;  msbs: dst=0 src0=1 src1=1 src2=0
	v_mul_i32_i24_e32 v124, v139 /*v395*/, v126 /*v382*/
	s_set_vgpr_msb 16                       ;  msbs: dst=0 src0=0 src1=0 src2=1
	v_add3_u32 v107, v107, v106, v78 /*v334*/
	s_set_vgpr_msb 5                        ;  msbs: dst=0 src0=1 src1=1 src2=0
	v_add3_u32 v108, v106 /*v362*/, v105 /*v361*/, v108
	v_add3_u32 v110, v136 /*v392*/, v135 /*v391*/, v110
	s_set_vgpr_msb 0x45                     ;  msbs: dst=1 src0=1 src1=1 src2=0
	v_mul_i32_i24_e32 v78 /*v334*/, v142 /*v398*/, v77 /*v333*/
	s_set_vgpr_msb 5                        ;  msbs: dst=0 src0=1 src1=1 src2=0
	v_mul_i32_i24_e32 v126, v140 /*v396*/, v125 /*v381*/
	s_set_vgpr_msb 0x44                     ;  msbs: dst=1 src0=0 src1=1 src2=0
	v_ashrrev_i32_e32 v113 /*v369*/, 24, v121 /*v377*/
	s_set_vgpr_msb 4                        ;  msbs: dst=0 src0=0 src1=1 src2=0
	v_mul_lo_u32 v108, v108, v143 /*v399*/
	v_mul_lo_u32 v110, v110, v134 /*v390*/
	s_set_vgpr_msb 0x55                     ;  msbs: dst=1 src0=1 src1=1 src2=1
	v_mad_i32_i24 v78 /*v334*/, v141 /*v397*/, v124 /*v380*/, v78 /*v334*/
	v_bfe_i32 v79 /*v335*/, v118 /*v374*/, 16, 8
	v_bfe_i32 v85 /*v341*/, v119 /*v375*/, 8, 8
	;; [unrolled: 1-line block ×4, first 2 shown]
	s_set_vgpr_msb 1                        ;  msbs: dst=0 src0=1 src1=0 src2=0
	v_add3_u32 v124, v78 /*v334*/, v126, v124
	s_set_vgpr_msb 5                        ;  msbs: dst=0 src0=1 src1=1 src2=0
	v_mul_i32_i24_e32 v126, v150 /*v406*/, v77 /*v333*/
	s_set_vgpr_msb 0x41                     ;  msbs: dst=1 src0=1 src1=0 src2=0
	v_bfe_i32 v102 /*v358*/, v120 /*v376*/, 8, 8
	v_bfe_i32 v105 /*v361*/, v120 /*v376*/, 16, 8
	s_set_vgpr_msb 4                        ;  msbs: dst=0 src0=0 src1=1 src2=0
	v_mad_u32 v108, v122, v134 /*v390*/, v108
	v_mad_u32 v106, v111, v143 /*v399*/, v110
	s_set_vgpr_msb 5                        ;  msbs: dst=0 src0=1 src1=1 src2=0
	v_mul_i32_i24_e32 v122, v138 /*v394*/, v129 /*v385*/
	v_mad_i32_i24 v126, v149 /*v405*/, v124 /*v380*/, v126
	s_set_vgpr_msb 0x41                     ;  msbs: dst=1 src0=1 src1=0 src2=0
	v_bfe_i32 v110 /*v366*/, v121 /*v377*/, 0, 8
	v_bfe_i32 v111 /*v367*/, v121 /*v377*/, 8, 8
	;; [unrolled: 1-line block ×5, first 2 shown]
	s_set_vgpr_msb 0x44                     ;  msbs: dst=1 src0=0 src1=1 src2=0
	v_ashrrev_i32_e32 v119 /*v375*/, 24, v122 /*v378*/
	s_set_vgpr_msb 0x41                     ;  msbs: dst=1 src0=1 src1=0 src2=0
	v_bfe_i32 v120 /*v376*/, v123 /*v379*/, 0, 8
	s_set_vgpr_msb 0                        ;  msbs: dst=0 src0=0 src1=0 src2=0
	v_cvt_f32_i32_e32 v111, v108
	s_set_vgpr_msb 5                        ;  msbs: dst=0 src0=1 src1=1 src2=0
	v_mul_i32_i24_e32 v108, v137 /*v393*/, v128 /*v384*/
	s_set_vgpr_msb 0                        ;  msbs: dst=0 src0=0 src1=0 src2=0
	v_cvt_f32_i32_e32 v110, v106
	s_set_vgpr_msb 5                        ;  msbs: dst=0 src0=1 src1=1 src2=0
	v_mul_lo_u32 v106, v145 /*v401*/, v134 /*v390*/
	s_set_vgpr_msb 0x41                     ;  msbs: dst=1 src0=1 src1=0 src2=0
	v_bfe_i32 v121 /*v377*/, v123 /*v379*/, 8, 8
	s_set_vgpr_msb 0x44                     ;  msbs: dst=1 src0=0 src1=1 src2=0
	v_mul_i32_i24_e32 v78 /*v334*/, v236, v80 /*v336*/
	s_set_vgpr_msb 64                       ;  msbs: dst=1 src0=0 src1=0 src2=0
	v_add3_u32 v101 /*v357*/, v124, v108, v122
	s_set_vgpr_msb 5                        ;  msbs: dst=0 src0=1 src1=1 src2=0
	v_mul_i32_i24_e32 v122, v147 /*v403*/, v126 /*v382*/
	v_mul_i32_i24_e32 v124, v148 /*v404*/, v125 /*v381*/
	s_set_vgpr_msb 0x44                     ;  msbs: dst=1 src0=0 src1=1 src2=0
	v_mul_i32_i24_e32 v145 /*v401*/, v241, v85 /*v341*/
	v_mul_i32_i24_e32 v147 /*v403*/, v116, v87 /*v343*/
	s_set_vgpr_msb 0x45                     ;  msbs: dst=1 src0=1 src1=1 src2=0
	v_mul_i32_i24_e32 v148 /*v404*/, v16 /*v272*/, v117 /*v373*/
	v_mul_i32_i24_e32 v151 /*v407*/, v21 /*v277*/, v120 /*v376*/
	s_set_vgpr_msb 0                        ;  msbs: dst=0 src0=0 src1=0 src2=0
	v_add3_u32 v122, v126, v124, v122
	s_set_vgpr_msb 5                        ;  msbs: dst=0 src0=1 src1=1 src2=0
	v_mul_i32_i24_e32 v124, v172 /*v428*/, v128 /*v384*/
	v_mul_i32_i24_e32 v126, v173 /*v429*/, v129 /*v385*/
	v_mad_u32 v106, v146 /*v402*/, v143 /*v399*/, v106
	s_set_vgpr_msb 0x44                     ;  msbs: dst=1 src0=0 src1=1 src2=0
	v_mul_i32_i24_e32 v146 /*v402*/, v244, v86 /*v342*/
	s_set_vgpr_msb 0x55                     ;  msbs: dst=1 src0=1 src1=1 src2=1
	v_mul_i32_i24_e32 v152 /*v408*/, v22 /*v278*/, v121 /*v377*/
	v_add3_u32 v139 /*v395*/, v155 /*v411*/, v80 /*v336*/, v87 /*v343*/
	s_set_vgpr_msb 64                       ;  msbs: dst=1 src0=0 src1=0 src2=0
	v_add3_u32 v106 /*v362*/, v122, v124, v126
	s_set_vgpr_msb 1                        ;  msbs: dst=0 src0=1 src1=0 src2=0
	v_bfe_i32 v124, v118 /*v374*/, 8, 8
	s_set_vgpr_msb 0x41                     ;  msbs: dst=1 src0=1 src1=0 src2=0
	v_bfe_i32 v118 /*v374*/, v122 /*v378*/, 16, 8
	v_bfe_i32 v122 /*v378*/, v123 /*v379*/, 16, 8
	s_set_vgpr_msb 0x44                     ;  msbs: dst=1 src0=0 src1=1 src2=0
	v_ashrrev_i32_e32 v123 /*v379*/, 24, v123 /*v379*/
	s_set_vgpr_msb 5                        ;  msbs: dst=0 src0=1 src1=1 src2=0
	v_add_nc_u32_e32 v122, v113 /*v369*/, v109 /*v365*/
	s_set_vgpr_msb 4                        ;  msbs: dst=0 src0=0 src1=1 src2=0
	v_mul_i32_i24_e32 v126, v234, v79 /*v335*/
	v_cvt_f32_i32_e32 v108, v106
	s_set_vgpr_msb 5                        ;  msbs: dst=0 src0=1 src1=1 src2=0
	v_mul_lo_u32 v106, v157 /*v413*/, v134 /*v390*/
	s_set_vgpr_msb 0x45                     ;  msbs: dst=1 src0=1 src1=1 src2=0
	v_mul_i32_i24_e32 v149 /*v405*/, v17 /*v273*/, v118 /*v374*/
	s_set_vgpr_msb 0x54                     ;  msbs: dst=1 src0=0 src1=1 src2=1
	v_add3_u32 v135 /*v391*/, v122, v119 /*v375*/, v123 /*v379*/
	s_set_vgpr_msb 5                        ;  msbs: dst=0 src0=1 src1=1 src2=0
	v_add_nc_u32_e32 v122, v112 /*v368*/, v105 /*v361*/
	s_set_vgpr_msb 0x55                     ;  msbs: dst=1 src0=1 src1=1 src2=1
	v_mul_i32_i24_e32 v150 /*v406*/, v19 /*v275*/, v119 /*v375*/
	v_add3_u32 v142 /*v398*/, v168 /*v424*/, v154 /*v410*/, v84 /*v340*/
	v_mul_i32_i24_e32 v154 /*v410*/, v24 /*v280*/, v122 /*v378*/
	s_set_vgpr_msb 0x54                     ;  msbs: dst=1 src0=0 src1=1 src2=1
	v_mul_i32_i24_e32 v155 /*v411*/, v246, v123 /*v379*/
	v_add3_u32 v136 /*v392*/, v122, v118 /*v374*/, v122 /*v378*/
	s_set_vgpr_msb 5                        ;  msbs: dst=0 src0=1 src1=1 src2=0
	v_add_nc_u32_e32 v122, v110 /*v366*/, v88 /*v344*/
	s_set_vgpr_msb 0x55                     ;  msbs: dst=1 src0=1 src1=1 src2=1
	v_add3_u32 v140 /*v396*/, v156 /*v412*/, v79 /*v335*/, v86 /*v342*/
	s_set_vgpr_msb 5                        ;  msbs: dst=0 src0=1 src1=1 src2=0
	v_mad_u32 v106, v144 /*v400*/, v143 /*v399*/, v106
	s_set_vgpr_msb 0x44                     ;  msbs: dst=1 src0=0 src1=1 src2=0
	v_mul_i32_i24_e32 v144 /*v400*/, v239, v84 /*v340*/
	s_set_vgpr_msb 0x51                     ;  msbs: dst=1 src0=1 src1=0 src2=1
	v_add3_u32 v141 /*v397*/, v158 /*v414*/, v124, v85 /*v341*/
	s_set_vgpr_msb 0x54                     ;  msbs: dst=1 src0=0 src1=1 src2=1
	v_add3_u32 v137 /*v393*/, v122, v116 /*v372*/, v120 /*v376*/
	s_set_vgpr_msb 5                        ;  msbs: dst=0 src0=1 src1=1 src2=0
	v_add_nc_u32_e32 v122, v111 /*v367*/, v102 /*v358*/
	s_set_vgpr_msb 0x44                     ;  msbs: dst=1 src0=0 src1=1 src2=0
	v_mul_i32_i24_e32 v156 /*v412*/, v249, v122 /*v378*/
	v_mul_i32_i24_e32 v157 /*v413*/, v218, v123 /*v379*/
	s_set_vgpr_msb 0x45                     ;  msbs: dst=1 src0=1 src1=1 src2=0
	v_mul_i32_i24_e32 v158 /*v414*/, v36 /*v292*/, v122 /*v378*/
	v_mul_i32_i24_e32 v162 /*v418*/, v8 /*v264*/, v123 /*v379*/
	s_set_vgpr_msb 0x54                     ;  msbs: dst=1 src0=0 src1=1 src2=1
	v_add3_u32 v138 /*v394*/, v122, v117 /*v373*/, v121 /*v377*/
	s_set_vgpr_msb 0                        ;  msbs: dst=0 src0=0 src1=0 src2=0
	v_mul_i32_i24_e32 v122, v232, v124
	v_cvt_f32_i32_e32 v106, v106
	s_set_vgpr_msb 5                        ;  msbs: dst=0 src0=1 src1=1 src2=0
	s_delay_alu instid0(VALU_DEP_2) | instskip(SKIP_1) | instid1(VALU_DEP_1)
	v_add3_u32 v122, v169 /*v425*/, v176 /*v432*/, v122
	s_set_vgpr_msb 16                       ;  msbs: dst=0 src0=0 src1=0 src2=1
	v_add3_u32 v122, v122, v126, v78 /*v334*/
	s_set_vgpr_msb 4                        ;  msbs: dst=0 src0=0 src1=1 src2=0
	v_mul_i32_i24_e32 v126, v255, v88 /*v344*/
	s_set_vgpr_msb 0x45                     ;  msbs: dst=1 src0=1 src1=1 src2=0
	v_mul_i32_i24_e32 v78 /*v334*/, v2 /*v258*/, v105 /*v361*/
	s_set_vgpr_msb 20                       ;  msbs: dst=0 src0=0 src1=1 src2=1
	v_add3_u32 v122, v122, v144 /*v400*/, v145 /*v401*/
	s_set_vgpr_msb 0x45                     ;  msbs: dst=1 src0=1 src1=1 src2=0
	v_mul_i32_i24_e32 v144 /*v400*/, v4 /*v260*/, v109 /*v365*/
	s_set_vgpr_msb 4                        ;  msbs: dst=0 src0=0 src1=1 src2=0
	v_mad_i32_i24 v126, v251, v102 /*v358*/, v126
	s_set_vgpr_msb 0x45                     ;  msbs: dst=1 src0=1 src1=1 src2=0
	v_mul_i32_i24_e32 v145 /*v401*/, v11 /*v267*/, v112 /*v368*/
	s_set_vgpr_msb 20                       ;  msbs: dst=0 src0=0 src1=1 src2=1
	v_add3_u32 v122, v122, v146 /*v402*/, v147 /*v403*/
	s_set_vgpr_msb 0x45                     ;  msbs: dst=1 src0=1 src1=1 src2=0
	v_mul_i32_i24_e32 v146 /*v402*/, v13 /*v269*/, v113 /*v369*/
	s_set_vgpr_msb 20                       ;  msbs: dst=0 src0=0 src1=1 src2=1
	v_add3_u32 v126, v126, v78 /*v334*/, v144 /*v400*/
	s_set_vgpr_msb 0x45                     ;  msbs: dst=1 src0=1 src1=1 src2=0
	v_mul_i32_i24_e32 v78 /*v334*/, v6 /*v262*/, v110 /*v366*/
	v_mul_i32_i24_e32 v144 /*v400*/, v9 /*v265*/, v111 /*v367*/
	;; [unrolled: 1-line block ×3, first 2 shown]
	s_set_vgpr_msb 20                       ;  msbs: dst=0 src0=0 src1=1 src2=1
	v_mul_lo_u32 v122, v122, v57 /*v313*/
	s_delay_alu instid0(VALU_DEP_3)
	v_add3_u32 v126, v126, v78 /*v334*/, v144 /*v400*/
	s_set_vgpr_msb 0x45                     ;  msbs: dst=1 src0=1 src1=1 src2=0
	v_mul_i32_i24_e32 v78 /*v334*/, v137 /*v393*/, v58 /*v314*/
	v_mul_i32_i24_e32 v144 /*v400*/, v138 /*v394*/, v55 /*v311*/
	s_set_vgpr_msb 20                       ;  msbs: dst=0 src0=0 src1=1 src2=1
	v_add3_u32 v126, v126, v145 /*v401*/, v146 /*v402*/
	s_set_vgpr_msb 0x45                     ;  msbs: dst=1 src0=1 src1=1 src2=0
	v_mul_i32_i24_e32 v145 /*v401*/, v139 /*v395*/, v56 /*v312*/
	v_mul_i32_i24_e32 v146 /*v402*/, v140 /*v396*/, v73 /*v329*/
	s_set_vgpr_msb 20                       ;  msbs: dst=0 src0=0 src1=1 src2=1
	v_add3_u32 v126, v126, v147 /*v403*/, v148 /*v404*/
	s_set_vgpr_msb 0x45                     ;  msbs: dst=1 src0=1 src1=1 src2=0
	v_mul_i32_i24_e32 v147 /*v403*/, v142 /*v398*/, v72 /*v328*/
	s_set_vgpr_msb 0x44                     ;  msbs: dst=1 src0=0 src1=1 src2=0
	v_mul_i32_i24_e32 v148 /*v404*/, v217, v86 /*v342*/
	s_set_vgpr_msb 20                       ;  msbs: dst=0 src0=0 src1=1 src2=1
	v_add3_u32 v126, v126, v149 /*v405*/, v150 /*v406*/
	s_set_vgpr_msb 0x55                     ;  msbs: dst=1 src0=1 src1=1 src2=1
	v_mad_i32_i24 v147 /*v403*/, v141 /*v397*/, v70 /*v326*/, v147 /*v403*/
	s_set_vgpr_msb 0x44                     ;  msbs: dst=1 src0=0 src1=1 src2=0
	v_mul_i32_i24_e32 v149 /*v405*/, v109, v87 /*v343*/
	v_mul_i32_i24_e32 v150 /*v406*/, v237, v117 /*v373*/
	s_set_vgpr_msb 20                       ;  msbs: dst=0 src0=0 src1=1 src2=1
	v_add3_u32 v126, v126, v151 /*v407*/, v152 /*v408*/
	s_set_vgpr_msb 0x55                     ;  msbs: dst=1 src0=1 src1=1 src2=1
	v_add3_u32 v145 /*v401*/, v147 /*v403*/, v146 /*v402*/, v145 /*v401*/
	s_set_vgpr_msb 0x44                     ;  msbs: dst=1 src0=0 src1=1 src2=0
	v_mul_i32_i24_e32 v146 /*v402*/, v215, v84 /*v340*/
	v_mul_i32_i24_e32 v147 /*v403*/, v216, v85 /*v341*/
	;; [unrolled: 1-line block ×3, first 2 shown]
	s_set_vgpr_msb 20                       ;  msbs: dst=0 src0=0 src1=1 src2=1
	v_add3_u32 v126, v126, v154 /*v410*/, v155 /*v411*/
	s_set_vgpr_msb 0x55                     ;  msbs: dst=1 src0=1 src1=1 src2=1
	v_add3_u32 v144 /*v400*/, v145 /*v401*/, v78 /*v334*/, v144 /*v400*/
	s_set_vgpr_msb 0x44                     ;  msbs: dst=1 src0=0 src1=1 src2=0
	v_mul_i32_i24_e32 v78 /*v334*/, v213, v79 /*v335*/
	v_mul_i32_i24_e32 v145 /*v401*/, v214, v80 /*v336*/
	;; [unrolled: 1-line block ×3, first 2 shown]
	s_set_vgpr_msb 4                        ;  msbs: dst=0 src0=0 src1=1 src2=0
	v_mad_u32 v122, v126, v54 /*v310*/, v122
	s_set_vgpr_msb 0x44                     ;  msbs: dst=1 src0=0 src1=1 src2=0
	v_mul_i32_i24_e32 v154 /*v410*/, v245, v120 /*v376*/
	v_mul_i32_i24_e32 v155 /*v411*/, v247, v121 /*v377*/
	s_set_vgpr_msb 0                        ;  msbs: dst=0 src0=0 src1=0 src2=0
	s_delay_alu instid0(VALU_DEP_3) | instskip(SKIP_2) | instid1(VALU_DEP_1)
	v_cvt_f32_i32_e32 v126, v122
	v_mul_i32_i24_e32 v122, v212, v124
	s_set_vgpr_msb 5                        ;  msbs: dst=0 src0=1 src1=1 src2=0
	v_add3_u32 v122, v170 /*v426*/, v178 /*v434*/, v122
	s_set_vgpr_msb 20                       ;  msbs: dst=0 src0=0 src1=1 src2=1
	s_delay_alu instid0(VALU_DEP_1)
	v_add3_u32 v122, v122, v78 /*v334*/, v145 /*v401*/
	s_set_vgpr_msb 0x44                     ;  msbs: dst=1 src0=0 src1=1 src2=0
	v_mul_i32_i24_e32 v78 /*v334*/, v220, v88 /*v344*/
	v_mul_i32_i24_e32 v145 /*v401*/, v221, v105 /*v361*/
	s_set_vgpr_msb 20                       ;  msbs: dst=0 src0=0 src1=1 src2=1
	v_add3_u32 v122, v122, v146 /*v402*/, v147 /*v403*/
	s_set_vgpr_msb 0x54                     ;  msbs: dst=1 src0=0 src1=1 src2=1
	v_mul_i32_i24_e32 v146 /*v402*/, v223, v109 /*v365*/
	v_mad_i32_i24 v78 /*v334*/, v219, v102 /*v358*/, v78 /*v334*/
	v_mul_i32_i24_e32 v147 /*v403*/, v231, v112 /*v368*/
	s_set_vgpr_msb 20                       ;  msbs: dst=0 src0=0 src1=1 src2=1
	v_add3_u32 v122, v122, v148 /*v404*/, v149 /*v405*/
	s_set_vgpr_msb 0x44                     ;  msbs: dst=1 src0=0 src1=1 src2=0
	v_mul_i32_i24_e32 v148 /*v404*/, v233, v113 /*v369*/
	s_set_vgpr_msb 0x55                     ;  msbs: dst=1 src0=1 src1=1 src2=1
	v_add3_u32 v78 /*v334*/, v78 /*v334*/, v145 /*v401*/, v146 /*v402*/
	s_set_vgpr_msb 0x44                     ;  msbs: dst=1 src0=0 src1=1 src2=0
	v_mul_i32_i24_e32 v145 /*v401*/, v227, v110 /*v366*/
	v_mul_i32_i24_e32 v146 /*v402*/, v229, v111 /*v367*/
	;; [unrolled: 1-line block ×3, first 2 shown]
	s_set_vgpr_msb 4                        ;  msbs: dst=0 src0=0 src1=1 src2=0
	v_mul_lo_u32 v122, v122, v98 /*v354*/
	s_set_vgpr_msb 0x55                     ;  msbs: dst=1 src0=1 src1=1 src2=1
	v_add3_u32 v78 /*v334*/, v78 /*v334*/, v145 /*v401*/, v146 /*v402*/
	v_mul_i32_i24_e32 v145 /*v401*/, v137 /*v393*/, v97 /*v353*/
	v_mul_i32_i24_e32 v146 /*v402*/, v138 /*v394*/, v90 /*v346*/
	s_delay_alu instid0(VALU_DEP_3) | instskip(SKIP_2) | instid1(VALU_DEP_3)
	v_add3_u32 v78 /*v334*/, v78 /*v334*/, v147 /*v403*/, v148 /*v404*/
	v_mul_i32_i24_e32 v147 /*v403*/, v139 /*v395*/, v96 /*v352*/
	v_mul_i32_i24_e32 v148 /*v404*/, v140 /*v396*/, v95 /*v351*/
	v_add3_u32 v78 /*v334*/, v78 /*v334*/, v149 /*v405*/, v150 /*v406*/
	v_mul_i32_i24_e32 v149 /*v405*/, v142 /*v398*/, v93 /*v349*/
	v_mul_i32_i24_e32 v150 /*v406*/, v14 /*v270*/, v86 /*v342*/
	s_set_vgpr_msb 0x44                     ;  msbs: dst=1 src0=0 src1=1 src2=0
	v_mul_i32_i24_e32 v86 /*v342*/, v186, v86 /*v342*/
	s_set_vgpr_msb 0x55                     ;  msbs: dst=1 src0=1 src1=1 src2=1
	v_add3_u32 v78 /*v334*/, v78 /*v334*/, v151 /*v407*/, v152 /*v408*/
	v_mad_i32_i24 v149 /*v405*/, v141 /*v397*/, v94 /*v350*/, v149 /*v405*/
	s_set_vgpr_msb 0x44                     ;  msbs: dst=1 src0=0 src1=1 src2=0
	v_mul_i32_i24_e32 v151 /*v407*/, v209, v87 /*v343*/
	v_mul_i32_i24_e32 v87 /*v343*/, v188, v87 /*v343*/
	s_set_vgpr_msb 0x55                     ;  msbs: dst=1 src0=1 src1=1 src2=1
	v_mul_i32_i24_e32 v152 /*v408*/, v31 /*v287*/, v117 /*v373*/
	v_add3_u32 v78 /*v334*/, v78 /*v334*/, v154 /*v410*/, v155 /*v411*/
	v_add3_u32 v147 /*v403*/, v149 /*v405*/, v148 /*v404*/, v147 /*v403*/
	v_mul_i32_i24_e32 v148 /*v404*/, v10 /*v266*/, v84 /*v340*/
	v_mul_i32_i24_e32 v149 /*v405*/, v12 /*v268*/, v85 /*v341*/
	s_set_vgpr_msb 0x44                     ;  msbs: dst=1 src0=0 src1=1 src2=0
	v_mul_i32_i24_e32 v84 /*v340*/, v184, v84 /*v340*/
	s_set_vgpr_msb 0x55                     ;  msbs: dst=1 src0=1 src1=1 src2=1
	v_add3_u32 v78 /*v334*/, v78 /*v334*/, v156 /*v412*/, v157 /*v413*/
	v_add3_u32 v145 /*v401*/, v147 /*v403*/, v145 /*v401*/, v146 /*v402*/
	v_mul_i32_i24_e32 v146 /*v402*/, v5 /*v261*/, v79 /*v335*/
	v_mul_i32_i24_e32 v147 /*v403*/, v7 /*v263*/, v80 /*v336*/
	s_set_vgpr_msb 0x44                     ;  msbs: dst=1 src0=0 src1=1 src2=0
	v_mul_i32_i24_e32 v79 /*v335*/, v182, v79 /*v335*/
	s_set_vgpr_msb 5                        ;  msbs: dst=0 src0=1 src1=1 src2=0
	v_mad_u32 v122, v78 /*v334*/, v92 /*v348*/, v122
	s_set_vgpr_msb 0x44                     ;  msbs: dst=1 src0=0 src1=1 src2=0
	v_mul_i32_i24_e32 v80 /*v336*/, v183, v80 /*v336*/
	v_mul_i32_i24_e32 v85 /*v341*/, v185, v85 /*v341*/
	s_set_vgpr_msb 0x45                     ;  msbs: dst=1 src0=1 src1=1 src2=0
	v_mul_i32_i24_e32 v154 /*v410*/, v32 /*v288*/, v118 /*v374*/
	v_mul_i32_i24_e32 v155 /*v411*/, v33 /*v289*/, v119 /*v375*/
	;; [unrolled: 1-line block ×4, first 2 shown]
	s_set_vgpr_msb 64                       ;  msbs: dst=1 src0=0 src1=0 src2=0
	v_cvt_f32_i32_e32 v78 /*v334*/, v122
	s_set_vgpr_msb 1                        ;  msbs: dst=0 src0=1 src1=0 src2=0
	v_mul_i32_i24_e32 v122, v3 /*v259*/, v124
	s_set_vgpr_msb 0                        ;  msbs: dst=0 src0=0 src1=0 src2=0
	v_mul_i32_i24_e32 v124, v181, v124
	s_set_vgpr_msb 5                        ;  msbs: dst=0 src0=1 src1=1 src2=0
	s_delay_alu instid0(VALU_DEP_2) | instskip(NEXT) | instid1(VALU_DEP_2)
	v_add3_u32 v122, v171 /*v427*/, v180 /*v436*/, v122
	v_add3_u32 v124, v174 /*v430*/, v153 /*v409*/, v124
	s_set_vgpr_msb 20                       ;  msbs: dst=0 src0=0 src1=1 src2=1
	s_delay_alu instid0(VALU_DEP_2) | instskip(NEXT) | instid1(VALU_DEP_2)
	v_add3_u32 v122, v122, v146 /*v402*/, v147 /*v403*/
	v_add3_u32 v124, v124, v79 /*v335*/, v80 /*v336*/
	s_set_vgpr_msb 0x44                     ;  msbs: dst=1 src0=0 src1=1 src2=0
	v_mul_i32_i24_e32 v79 /*v335*/, v189, v88 /*v344*/
	v_mul_i32_i24_e32 v80 /*v336*/, v190, v105 /*v361*/
	s_set_vgpr_msb 0x45                     ;  msbs: dst=1 src0=1 src1=1 src2=0
	v_mul_i32_i24_e32 v146 /*v402*/, v20 /*v276*/, v88 /*v344*/
	s_set_vgpr_msb 20                       ;  msbs: dst=0 src0=0 src1=1 src2=1
	v_add3_u32 v122, v122, v148 /*v404*/, v149 /*v405*/
	v_add3_u32 v124, v124, v84 /*v340*/, v85 /*v341*/
	s_set_vgpr_msb 0x54                     ;  msbs: dst=1 src0=0 src1=1 src2=1
	v_mul_i32_i24_e32 v84 /*v340*/, v191, v109 /*v365*/
	v_mad_i32_i24 v79 /*v335*/, v187, v102 /*v358*/, v79 /*v335*/
	v_mul_i32_i24_e32 v85 /*v341*/, v194, v112 /*v368*/
	s_set_vgpr_msb 0x45                     ;  msbs: dst=1 src0=1 src1=1 src2=0
	v_mul_i32_i24_e32 v147 /*v403*/, v23 /*v279*/, v105 /*v361*/
	s_set_vgpr_msb 20                       ;  msbs: dst=0 src0=0 src1=1 src2=1
	v_add3_u32 v124, v124, v86 /*v342*/, v87 /*v343*/
	s_set_vgpr_msb 0x44                     ;  msbs: dst=1 src0=0 src1=1 src2=0
	v_mul_i32_i24_e32 v86 /*v342*/, v195, v113 /*v369*/
	s_set_vgpr_msb 0x55                     ;  msbs: dst=1 src0=1 src1=1 src2=1
	v_add3_u32 v79 /*v335*/, v79 /*v335*/, v80 /*v336*/, v84 /*v340*/
	s_set_vgpr_msb 0x44                     ;  msbs: dst=1 src0=0 src1=1 src2=0
	v_mul_i32_i24_e32 v80 /*v336*/, v192, v110 /*v366*/
	v_mul_i32_i24_e32 v84 /*v340*/, v193, v111 /*v367*/
	s_set_vgpr_msb 0x55                     ;  msbs: dst=1 src0=1 src1=1 src2=1
	v_mul_i32_i24_e32 v148 /*v404*/, v25 /*v281*/, v109 /*v365*/
	v_mad_i32_i24 v146 /*v402*/, v18 /*v274*/, v102 /*v358*/, v146 /*v402*/
	s_set_vgpr_msb 0x44                     ;  msbs: dst=1 src0=0 src1=1 src2=0
	v_mul_i32_i24_e32 v87 /*v343*/, v196, v116 /*v372*/
	v_mul_i32_i24_e32 v88 /*v344*/, v197, v117 /*v373*/
	s_set_vgpr_msb 0x55                     ;  msbs: dst=1 src0=1 src1=1 src2=1
	v_add3_u32 v79 /*v335*/, v79 /*v335*/, v80 /*v336*/, v84 /*v340*/
	s_set_vgpr_msb 0x44                     ;  msbs: dst=1 src0=0 src1=1 src2=0
	v_mul_i32_i24_e32 v102 /*v358*/, v198, v118 /*v374*/
	s_set_vgpr_msb 0x55                     ;  msbs: dst=1 src0=1 src1=1 src2=1
	v_add3_u32 v146 /*v402*/, v146 /*v402*/, v147 /*v403*/, v148 /*v404*/
	v_mul_i32_i24_e32 v147 /*v403*/, v26 /*v282*/, v110 /*v366*/
	v_mul_i32_i24_e32 v148 /*v404*/, v27 /*v283*/, v111 /*v367*/
	v_add3_u32 v79 /*v335*/, v79 /*v335*/, v85 /*v341*/, v86 /*v342*/
	s_set_vgpr_msb 0x44                     ;  msbs: dst=1 src0=0 src1=1 src2=0
	v_mul_i32_i24_e32 v105 /*v361*/, v199, v119 /*v375*/
	s_set_vgpr_msb 20                       ;  msbs: dst=0 src0=0 src1=1 src2=1
	v_add3_u32 v122, v122, v150 /*v406*/, v151 /*v407*/
	s_set_vgpr_msb 0x55                     ;  msbs: dst=1 src0=1 src1=1 src2=1
	v_mul_i32_i24_e32 v149 /*v405*/, v28 /*v284*/, v112 /*v368*/
	v_mul_i32_i24_e32 v150 /*v406*/, v29 /*v285*/, v113 /*v369*/
	v_add3_u32 v79 /*v335*/, v79 /*v335*/, v87 /*v343*/, v88 /*v344*/
	v_mul_i32_i24_e32 v87 /*v343*/, v142 /*v398*/, v77 /*v333*/
	v_add3_u32 v146 /*v402*/, v146 /*v402*/, v147 /*v403*/, v148 /*v404*/
	s_set_vgpr_msb 0x44                     ;  msbs: dst=1 src0=0 src1=1 src2=0
	v_mul_i32_i24_e32 v109 /*v365*/, v200, v120 /*v376*/
	v_mul_i32_i24_e32 v110 /*v366*/, v201, v121 /*v377*/
	s_set_vgpr_msb 0x55                     ;  msbs: dst=1 src0=1 src1=1 src2=1
	v_add3_u32 v79 /*v335*/, v79 /*v335*/, v102 /*v358*/, v105 /*v361*/
	v_mul_i32_i24_e32 v85 /*v341*/, v139 /*v395*/, v126 /*v382*/
	v_mul_i32_i24_e32 v86 /*v342*/, v140 /*v396*/, v125 /*v381*/
	v_mad_i32_i24 v87 /*v343*/, v141 /*v397*/, v124 /*v380*/, v87 /*v343*/
	v_mul_i32_i24_e32 v151 /*v407*/, v30 /*v286*/, v116 /*v372*/
	v_add3_u32 v146 /*v402*/, v146 /*v402*/, v149 /*v405*/, v150 /*v406*/
	s_set_vgpr_msb 0x44                     ;  msbs: dst=1 src0=0 src1=1 src2=0
	v_mul_i32_i24_e32 v111 /*v367*/, v202, v122 /*v378*/
	v_mul_i32_i24_e32 v112 /*v368*/, v203, v123 /*v379*/
	s_set_vgpr_msb 0x55                     ;  msbs: dst=1 src0=1 src1=1 src2=1
	v_add3_u32 v79 /*v335*/, v79 /*v335*/, v109 /*v365*/, v110 /*v366*/
	v_mul_i32_i24_e32 v80 /*v336*/, v137 /*v393*/, v128 /*v384*/
	v_mul_i32_i24_e32 v84 /*v340*/, v138 /*v394*/, v129 /*v385*/
	v_add3_u32 v85 /*v341*/, v87 /*v343*/, v86 /*v342*/, v85 /*v341*/
	v_add3_u32 v146 /*v402*/, v146 /*v402*/, v151 /*v407*/, v152 /*v408*/
	;; [unrolled: 1-line block ×3, first 2 shown]
	v_mul_i32_i24_e32 v151 /*v407*/, v142 /*v398*/, v62 /*v318*/
	s_set_vgpr_msb 4                        ;  msbs: dst=0 src0=0 src1=1 src2=0
	v_mul_lo_u32 v122, v122, v66 /*v322*/
	s_set_vgpr_msb 0x55                     ;  msbs: dst=1 src0=1 src1=1 src2=1
	v_add3_u32 v109 /*v365*/, v85 /*v341*/, v80 /*v336*/, v84 /*v340*/
	ds_load_b32 v118 /*v374*/, v160 /*v416*/ offset:30368
	ds_load_b128 v[84:87] /*v[340:343]*/, v159 /*v415*/ offset:16896
	ds_load_b128 v[110:113] /*v[366:369]*/, v159 /*v415*/ offset:16912
	v_add3_u32 v146 /*v402*/, v146 /*v402*/, v154 /*v410*/, v155 /*v411*/
	v_mul_i32_i24_e32 v149 /*v405*/, v139 /*v395*/, v65 /*v321*/
	v_mul_i32_i24_e32 v150 /*v406*/, v140 /*v396*/, v64 /*v320*/
	v_mad_i32_i24 v151 /*v407*/, v141 /*v397*/, v63 /*v319*/, v151 /*v407*/
	v_mul_i32_i24_e32 v147 /*v403*/, v137 /*v393*/, v67 /*v323*/
	v_add3_u32 v146 /*v402*/, v146 /*v402*/, v156 /*v412*/, v157 /*v413*/
	v_mul_i32_i24_e32 v148 /*v404*/, v138 /*v394*/, v59 /*v315*/
	s_set_vgpr_msb 4                        ;  msbs: dst=0 src0=0 src1=1 src2=0
	v_mul_lo_u32 v124, v124, v134 /*v390*/
	s_set_vgpr_msb 0x55                     ;  msbs: dst=1 src0=1 src1=1 src2=1
	v_add3_u32 v149 /*v405*/, v151 /*v407*/, v150 /*v406*/, v149 /*v405*/
	v_add3_u32 v146 /*v402*/, v146 /*v402*/, v158 /*v414*/, v162 /*v418*/
	s_delay_alu instid0(VALU_DEP_2) | instskip(SKIP_1) | instid1(VALU_DEP_2)
	v_add3_u32 v147 /*v403*/, v149 /*v405*/, v147 /*v403*/, v148 /*v404*/
	s_set_vgpr_msb 5                        ;  msbs: dst=0 src0=1 src1=1 src2=0
	v_mad_u32 v122, v146 /*v402*/, v60 /*v316*/, v122
	v_mad_u32 v124, v79 /*v335*/, v143 /*v399*/, v124
	s_wait_dscnt 0x0
	s_set_vgpr_msb 0x41                     ;  msbs: dst=1 src0=1 src1=0 src2=0
	v_bfe_i32 v140 /*v396*/, v110 /*v366*/, 0, 8
	v_bfe_i32 v141 /*v397*/, v110 /*v366*/, 8, 8
	v_bfe_i32 v142 /*v398*/, v110 /*v366*/, 16, 8
	s_set_vgpr_msb 0x44                     ;  msbs: dst=1 src0=0 src1=1 src2=0
	v_ashrrev_i32_e32 v110 /*v366*/, 24, v110 /*v366*/
	s_set_vgpr_msb 0x41                     ;  msbs: dst=1 src0=1 src1=0 src2=0
	v_bfe_i32 v146 /*v402*/, v111 /*v367*/, 0, 8
	v_bfe_i32 v148 /*v404*/, v111 /*v367*/, 8, 8
	v_bfe_i32 v149 /*v405*/, v111 /*v367*/, 16, 8
	s_set_vgpr_msb 0x44                     ;  msbs: dst=1 src0=0 src1=1 src2=0
	v_ashrrev_i32_e32 v111 /*v367*/, 24, v111 /*v367*/
	;; [unrolled: 6-line block ×3, first 2 shown]
	s_set_vgpr_msb 0x55                     ;  msbs: dst=1 src0=1 src1=1 src2=1
	v_bfe_i32 v153 /*v409*/, v113 /*v369*/, 0, 8
	v_bfe_i32 v154 /*v410*/, v113 /*v369*/, 8, 8
	;; [unrolled: 1-line block ×3, first 2 shown]
	v_dual_ashrrev_i32 v113 /*v369*/, 24, v113 /*v369*/ :: v_dual_add_nc_u32 v80 /*v336*/, v111 /*v367*/, v110 /*v366*/
	v_bfe_i32 v79 /*v335*/, v84 /*v340*/, 0, 8
	v_bfe_i32 v88 /*v344*/, v84 /*v340*/, 8, 8
	v_bfe_i32 v105 /*v361*/, v84 /*v340*/, 16, 8
	v_ashrrev_i32_e32 v84 /*v340*/, 24, v84 /*v340*/
	v_add3_u32 v156 /*v412*/, v80 /*v336*/, v112 /*v368*/, v113 /*v369*/
	v_add_nc_u32_e32 v80 /*v336*/, v149 /*v405*/, v142 /*v398*/
	v_bfe_i32 v117 /*v373*/, v85 /*v341*/, 0, 8
	v_bfe_i32 v119 /*v375*/, v85 /*v341*/, 8, 8
	v_bfe_i32 v120 /*v376*/, v85 /*v341*/, 16, 8
	v_ashrrev_i32_e32 v85 /*v341*/, 24, v85 /*v341*/
	v_add3_u32 v157 /*v413*/, v80 /*v336*/, v152 /*v408*/, v155 /*v411*/
	v_add_nc_u32_e32 v80 /*v336*/, v146 /*v402*/, v140 /*v396*/
	;; [unrolled: 6-line block ×4, first 2 shown]
	s_set_vgpr_msb 0x44                     ;  msbs: dst=1 src0=0 src1=1 src2=0
	v_mul_i32_i24_e32 v102 /*v358*/, v224, v105 /*v361*/
	v_mul_i32_i24_e32 v116 /*v372*/, v127, v84 /*v340*/
	v_mul_i32_i24_e32 v165 /*v421*/, v226, v120 /*v376*/
	v_mul_i32_i24_e32 v166 /*v422*/, v228, v85 /*v341*/
	s_set_vgpr_msb 0x55                     ;  msbs: dst=1 src0=1 src1=1 src2=1
	v_add3_u32 v160 /*v416*/, v80 /*v336*/, v86 /*v342*/, v87 /*v343*/
	v_add_nc_u32_e32 v80 /*v336*/, v120 /*v376*/, v105 /*v361*/
	s_set_vgpr_msb 0x44                     ;  msbs: dst=1 src0=0 src1=1 src2=0
	v_mul_i32_i24_e32 v167 /*v423*/, v230, v121 /*v377*/
	v_mul_i32_i24_e32 v168 /*v424*/, v232, v122 /*v378*/
	v_mul_i32_i24_e32 v169 /*v425*/, v234, v123 /*v379*/
	v_mul_i32_i24_e32 v170 /*v426*/, v236, v86 /*v342*/
	s_set_vgpr_msb 0x55                     ;  msbs: dst=1 src0=1 src1=1 src2=1
	v_add3_u32 v162 /*v418*/, v80 /*v336*/, v123 /*v379*/, v139 /*v395*/
	v_add_nc_u32_e32 v80 /*v336*/, v119 /*v375*/, v88 /*v344*/
	s_set_vgpr_msb 0x44                     ;  msbs: dst=1 src0=0 src1=1 src2=0
	v_mul_i32_i24_e32 v171 /*v427*/, v239, v137 /*v393*/
	v_mul_i32_i24_e32 v172 /*v428*/, v241, v138 /*v394*/
	v_mul_i32_i24_e32 v173 /*v429*/, v244, v139 /*v395*/
	v_mul_i32_i24_e32 v174 /*v430*/, v116, v87 /*v343*/
	s_set_vgpr_msb 0x55                     ;  msbs: dst=1 src0=1 src1=1 src2=1
	v_add3_u32 v163 /*v419*/, v80 /*v336*/, v122 /*v378*/, v138 /*v394*/
	v_add_nc_u32_e32 v80 /*v336*/, v117 /*v373*/, v79 /*v335*/
	s_set_vgpr_msb 0x44                     ;  msbs: dst=1 src0=0 src1=1 src2=0
	v_mul_i32_i24_e32 v176 /*v432*/, v246, v113 /*v369*/
	v_mul_i32_i24_e32 v177 /*v433*/, v109, v87 /*v343*/
	;; [unrolled: 1-line block ×4, first 2 shown]
	s_set_vgpr_msb 0x55                     ;  msbs: dst=1 src0=1 src1=1 src2=1
	v_add3_u32 v164 /*v420*/, v80 /*v336*/, v121 /*v377*/, v137 /*v393*/
	s_set_vgpr_msb 0x44                     ;  msbs: dst=1 src0=0 src1=1 src2=0
	v_mul_i32_i24_e32 v80 /*v336*/, v121, v79 /*v335*/
	v_mul_i32_i24_e32 v87 /*v343*/, v188, v87 /*v343*/
	s_set_vgpr_msb 0x45                     ;  msbs: dst=1 src0=1 src1=1 src2=0
	v_mul_i32_i24_e32 v180 /*v436*/, v8 /*v264*/, v113 /*v369*/
	s_set_vgpr_msb 0x44                     ;  msbs: dst=1 src0=0 src1=1 src2=0
	v_mul_i32_i24_e32 v113 /*v369*/, v203, v113 /*v369*/
	s_set_vgpr_msb 0                        ;  msbs: dst=0 src0=0 src1=0 src2=0
	v_cvt_f32_i32_e32 v122, v122
	s_set_vgpr_msb 0x54                     ;  msbs: dst=1 src0=0 src1=1 src2=1
	v_mad_i32_i24 v80 /*v336*/, v119, v88 /*v344*/, v80 /*v336*/
	s_set_vgpr_msb 0                        ;  msbs: dst=0 src0=0 src1=0 src2=0
	v_cvt_f32_i32_e32 v124, v124
	s_set_vgpr_msb 0x55                     ;  msbs: dst=1 src0=1 src1=1 src2=1
	s_delay_alu instid0(VALU_DEP_2) | instskip(SKIP_4) | instid1(VALU_DEP_1)
	v_add3_u32 v80 /*v336*/, v80 /*v336*/, v102 /*v358*/, v116 /*v372*/
	s_set_vgpr_msb 0x44                     ;  msbs: dst=1 src0=0 src1=1 src2=0
	v_mul_i32_i24_e32 v102 /*v358*/, v222, v117 /*v373*/
	v_mul_i32_i24_e32 v116 /*v372*/, v225, v119 /*v375*/
	s_set_vgpr_msb 0x55                     ;  msbs: dst=1 src0=1 src1=1 src2=1
	v_add3_u32 v80 /*v336*/, v80 /*v336*/, v102 /*v358*/, v116 /*v372*/
	s_set_vgpr_msb 0x44                     ;  msbs: dst=1 src0=0 src1=1 src2=0
	v_mul_i32_i24_e32 v102 /*v358*/, v255, v140 /*v396*/
	s_set_vgpr_msb 0x55                     ;  msbs: dst=1 src0=1 src1=1 src2=1
	v_mul_i32_i24_e32 v116 /*v372*/, v2 /*v258*/, v142 /*v398*/
	v_add3_u32 v80 /*v336*/, v80 /*v336*/, v165 /*v421*/, v166 /*v422*/
	v_mul_i32_i24_e32 v165 /*v421*/, v4 /*v260*/, v110 /*v366*/
	s_set_vgpr_msb 0x54                     ;  msbs: dst=1 src0=0 src1=1 src2=1
	v_mad_i32_i24 v102 /*v358*/, v251, v141 /*v397*/, v102 /*v358*/
	s_set_vgpr_msb 0x55                     ;  msbs: dst=1 src0=1 src1=1 src2=1
	v_mul_i32_i24_e32 v166 /*v422*/, v11 /*v267*/, v149 /*v405*/
	v_add3_u32 v80 /*v336*/, v80 /*v336*/, v167 /*v423*/, v168 /*v424*/
	v_mul_i32_i24_e32 v167 /*v423*/, v13 /*v269*/, v111 /*v367*/
	v_add3_u32 v102 /*v358*/, v102 /*v358*/, v116 /*v372*/, v165 /*v421*/
	v_mul_i32_i24_e32 v116 /*v372*/, v6 /*v262*/, v146 /*v402*/
	v_mul_i32_i24_e32 v165 /*v421*/, v9 /*v265*/, v148 /*v404*/
	v_add3_u32 v80 /*v336*/, v80 /*v336*/, v169 /*v425*/, v170 /*v426*/
	v_mul_i32_i24_e32 v168 /*v424*/, v15 /*v271*/, v150 /*v406*/
	v_mul_i32_i24_e32 v169 /*v425*/, v16 /*v272*/, v151 /*v407*/
	v_mul_i32_i24_e32 v170 /*v426*/, v17 /*v273*/, v152 /*v408*/
	v_add3_u32 v102 /*v358*/, v102 /*v358*/, v116 /*v372*/, v165 /*v421*/
	v_add3_u32 v80 /*v336*/, v80 /*v336*/, v171 /*v427*/, v172 /*v428*/
	v_mul_i32_i24_e32 v171 /*v427*/, v19 /*v275*/, v112 /*v368*/
	v_mul_i32_i24_e32 v172 /*v428*/, v21 /*v277*/, v153 /*v409*/
	v_mul_i32_i24_e32 v116 /*v372*/, v158 /*v414*/, v58 /*v314*/
	v_add3_u32 v102 /*v358*/, v102 /*v358*/, v166 /*v422*/, v167 /*v423*/
	;; [unrolled: 5-line block ×3, first 2 shown]
	v_mul_lo_u32 v80 /*v336*/, v80 /*v336*/, v57 /*v313*/
	v_mul_i32_i24_e32 v168 /*v424*/, v164 /*v420*/, v72 /*v328*/
	v_mul_i32_i24_e32 v167 /*v423*/, v162 /*v418*/, v73 /*v329*/
	;; [unrolled: 1-line block ×3, first 2 shown]
	v_add3_u32 v102 /*v358*/, v102 /*v358*/, v170 /*v426*/, v171 /*v427*/
	s_set_vgpr_msb 0x44                     ;  msbs: dst=1 src0=0 src1=1 src2=0
	v_mul_i32_i24_e32 v169 /*v425*/, v211, v121 /*v377*/
	s_set_vgpr_msb 0x55                     ;  msbs: dst=1 src0=1 src1=1 src2=1
	v_mad_i32_i24 v168 /*v424*/, v163 /*v419*/, v70 /*v326*/, v168 /*v424*/
	s_set_vgpr_msb 0x44                     ;  msbs: dst=1 src0=0 src1=1 src2=0
	v_mul_i32_i24_e32 v170 /*v426*/, v212, v122 /*v378*/
	v_mul_i32_i24_e32 v171 /*v427*/, v213, v123 /*v379*/
	s_set_vgpr_msb 0x55                     ;  msbs: dst=1 src0=1 src1=1 src2=1
	v_add3_u32 v102 /*v358*/, v102 /*v358*/, v172 /*v428*/, v173 /*v429*/
	s_set_vgpr_msb 0x44                     ;  msbs: dst=1 src0=0 src1=1 src2=0
	v_mul_i32_i24_e32 v172 /*v428*/, v214, v86 /*v342*/
	s_set_vgpr_msb 0x55                     ;  msbs: dst=1 src0=1 src1=1 src2=1
	v_add3_u32 v166 /*v422*/, v168 /*v424*/, v167 /*v423*/, v166 /*v422*/
	s_set_vgpr_msb 0x44                     ;  msbs: dst=1 src0=0 src1=1 src2=0
	v_mul_i32_i24_e32 v167 /*v423*/, v208, v120 /*v376*/
	v_mul_i32_i24_e32 v168 /*v424*/, v210, v85 /*v341*/
	s_set_vgpr_msb 0x55                     ;  msbs: dst=1 src0=1 src1=1 src2=1
	v_add3_u32 v102 /*v358*/, v102 /*v358*/, v174 /*v430*/, v176 /*v432*/
	s_set_vgpr_msb 0x44                     ;  msbs: dst=1 src0=0 src1=1 src2=0
	v_mul_i32_i24_e32 v173 /*v429*/, v215, v137 /*v393*/
	s_set_vgpr_msb 0x55                     ;  msbs: dst=1 src0=1 src1=1 src2=1
	v_add3_u32 v165 /*v421*/, v166 /*v422*/, v116 /*v372*/, v165 /*v421*/
	s_set_vgpr_msb 0x44                     ;  msbs: dst=1 src0=0 src1=1 src2=0
	v_mul_i32_i24_e32 v116 /*v372*/, v206, v105 /*v361*/
	v_mul_i32_i24_e32 v166 /*v422*/, v204, v84 /*v340*/
	s_set_vgpr_msb 0x55                     ;  msbs: dst=1 src0=1 src1=1 src2=1
	v_mad_u32 v80 /*v336*/, v102 /*v358*/, v54 /*v310*/, v80 /*v336*/
	s_set_vgpr_msb 0x44                     ;  msbs: dst=1 src0=0 src1=1 src2=0
	v_mul_i32_i24_e32 v174 /*v430*/, v216, v138 /*v394*/
	v_mul_i32_i24_e32 v176 /*v432*/, v217, v139 /*v395*/
	s_set_vgpr_msb 0x41                     ;  msbs: dst=1 src0=1 src1=0 src2=0
	s_delay_alu instid0(VALU_DEP_3) | instskip(SKIP_2) | instid1(VALU_DEP_1)
	v_cvt_f32_i32_e32 v102 /*v358*/, v80 /*v336*/
	s_set_vgpr_msb 0x54                     ;  msbs: dst=1 src0=0 src1=1 src2=1
	v_mul_i32_i24_e32 v80 /*v336*/, v125, v79 /*v335*/
	v_mad_i32_i24 v80 /*v336*/, v123, v88 /*v344*/, v80 /*v336*/
	s_set_vgpr_msb 0x55                     ;  msbs: dst=1 src0=1 src1=1 src2=1
	s_delay_alu instid0(VALU_DEP_1) | instskip(SKIP_4) | instid1(VALU_DEP_1)
	v_add3_u32 v80 /*v336*/, v80 /*v336*/, v116 /*v372*/, v166 /*v422*/
	s_set_vgpr_msb 0x44                     ;  msbs: dst=1 src0=0 src1=1 src2=0
	v_mul_i32_i24_e32 v116 /*v372*/, v205, v117 /*v373*/
	v_mul_i32_i24_e32 v166 /*v422*/, v207, v119 /*v375*/
	s_set_vgpr_msb 0x55                     ;  msbs: dst=1 src0=1 src1=1 src2=1
	v_add3_u32 v80 /*v336*/, v80 /*v336*/, v116 /*v372*/, v166 /*v422*/
	s_set_vgpr_msb 0x44                     ;  msbs: dst=1 src0=0 src1=1 src2=0
	v_mul_i32_i24_e32 v116 /*v372*/, v220, v140 /*v396*/
	v_mul_i32_i24_e32 v166 /*v422*/, v221, v142 /*v398*/
	s_set_vgpr_msb 0x55                     ;  msbs: dst=1 src0=1 src1=1 src2=1
	v_add3_u32 v80 /*v336*/, v80 /*v336*/, v167 /*v423*/, v168 /*v424*/
	s_set_vgpr_msb 0x54                     ;  msbs: dst=1 src0=0 src1=1 src2=1
	v_mul_i32_i24_e32 v167 /*v423*/, v223, v110 /*v366*/
	v_mad_i32_i24 v116 /*v372*/, v219, v141 /*v397*/, v116 /*v372*/
	v_mul_i32_i24_e32 v168 /*v424*/, v231, v149 /*v405*/
	s_set_vgpr_msb 0x55                     ;  msbs: dst=1 src0=1 src1=1 src2=1
	v_add3_u32 v80 /*v336*/, v80 /*v336*/, v169 /*v425*/, v170 /*v426*/
	s_set_vgpr_msb 0x44                     ;  msbs: dst=1 src0=0 src1=1 src2=0
	v_mul_i32_i24_e32 v169 /*v425*/, v233, v111 /*v367*/
	s_set_vgpr_msb 0x55                     ;  msbs: dst=1 src0=1 src1=1 src2=1
	v_add3_u32 v116 /*v372*/, v116 /*v372*/, v166 /*v422*/, v167 /*v423*/
	s_set_vgpr_msb 0x44                     ;  msbs: dst=1 src0=0 src1=1 src2=0
	v_mul_i32_i24_e32 v166 /*v422*/, v227, v146 /*v402*/
	v_mul_i32_i24_e32 v167 /*v423*/, v229, v148 /*v404*/
	s_set_vgpr_msb 0x55                     ;  msbs: dst=1 src0=1 src1=1 src2=1
	v_add3_u32 v80 /*v336*/, v80 /*v336*/, v171 /*v427*/, v172 /*v428*/
	s_set_vgpr_msb 0x44                     ;  msbs: dst=1 src0=0 src1=1 src2=0
	v_mul_i32_i24_e32 v170 /*v426*/, v235, v150 /*v406*/
	v_mul_i32_i24_e32 v171 /*v427*/, v237, v151 /*v407*/
	;; [unrolled: 1-line block ×3, first 2 shown]
	s_set_vgpr_msb 0x55                     ;  msbs: dst=1 src0=1 src1=1 src2=1
	v_add3_u32 v116 /*v372*/, v116 /*v372*/, v166 /*v422*/, v167 /*v423*/
	v_add3_u32 v80 /*v336*/, v80 /*v336*/, v173 /*v429*/, v174 /*v430*/
	s_set_vgpr_msb 0x44                     ;  msbs: dst=1 src0=0 src1=1 src2=0
	v_mul_i32_i24_e32 v173 /*v429*/, v242, v112 /*v368*/
	v_mul_i32_i24_e32 v174 /*v430*/, v245, v153 /*v409*/
	s_set_vgpr_msb 0x55                     ;  msbs: dst=1 src0=1 src1=1 src2=1
	v_mul_i32_i24_e32 v166 /*v422*/, v158 /*v414*/, v97 /*v353*/
	v_add3_u32 v116 /*v372*/, v116 /*v372*/, v168 /*v424*/, v169 /*v425*/
	v_add3_u32 v80 /*v336*/, v80 /*v336*/, v176 /*v432*/, v177 /*v433*/
	s_set_vgpr_msb 0x44                     ;  msbs: dst=1 src0=0 src1=1 src2=0
	v_mul_i32_i24_e32 v176 /*v432*/, v247, v154 /*v410*/
	v_mul_i32_i24_e32 v177 /*v433*/, v249, v155 /*v411*/
	s_set_vgpr_msb 0x55                     ;  msbs: dst=1 src0=1 src1=1 src2=1
	v_mul_i32_i24_e32 v168 /*v424*/, v160 /*v416*/, v96 /*v352*/
	v_add3_u32 v116 /*v372*/, v116 /*v372*/, v170 /*v426*/, v171 /*v427*/
	v_mul_lo_u32 v80 /*v336*/, v80 /*v336*/, v98 /*v354*/
	v_mul_i32_i24_e32 v170 /*v426*/, v164 /*v420*/, v93 /*v349*/
	v_mul_i32_i24_e32 v169 /*v425*/, v162 /*v418*/, v95 /*v351*/
	v_mul_i32_i24_e32 v167 /*v423*/, v159 /*v415*/, v90 /*v346*/
	v_add3_u32 v116 /*v372*/, v116 /*v372*/, v172 /*v428*/, v173 /*v429*/
	v_mul_i32_i24_e32 v171 /*v427*/, v1 /*v257*/, v121 /*v377*/
	v_mad_i32_i24 v170 /*v426*/, v163 /*v419*/, v94 /*v350*/, v170 /*v426*/
	v_mul_i32_i24_e32 v172 /*v428*/, v3 /*v259*/, v122 /*v378*/
	v_mul_i32_i24_e32 v173 /*v429*/, v5 /*v261*/, v123 /*v379*/
	v_add3_u32 v116 /*v372*/, v116 /*v372*/, v174 /*v430*/, v176 /*v432*/
	v_mul_i32_i24_e32 v174 /*v430*/, v7 /*v263*/, v86 /*v342*/
	v_add3_u32 v168 /*v424*/, v170 /*v426*/, v169 /*v425*/, v168 /*v424*/
	v_mul_i32_i24_e32 v170 /*v426*/, v0 /*v256*/, v85 /*v341*/
	s_set_vgpr_msb 0x44                     ;  msbs: dst=1 src0=0 src1=1 src2=0
	v_mul_i32_i24_e32 v85 /*v341*/, v179, v85 /*v341*/
	s_set_vgpr_msb 0x55                     ;  msbs: dst=1 src0=1 src1=1 src2=1
	v_add3_u32 v116 /*v372*/, v116 /*v372*/, v177 /*v433*/, v178 /*v434*/
	s_set_vgpr_msb 0x44                     ;  msbs: dst=1 src0=0 src1=1 src2=0
	v_mul_i32_i24_e32 v169 /*v425*/, v254, v120 /*v376*/
	s_set_vgpr_msb 0x55                     ;  msbs: dst=1 src0=1 src1=1 src2=1
	v_add3_u32 v166 /*v422*/, v168 /*v424*/, v166 /*v422*/, v167 /*v423*/
	s_set_vgpr_msb 0x44                     ;  msbs: dst=1 src0=0 src1=1 src2=0
	v_mul_i32_i24_e32 v167 /*v423*/, v252, v105 /*v361*/
	v_mul_i32_i24_e32 v168 /*v424*/, v248, v84 /*v340*/
	s_set_vgpr_msb 0x55                     ;  msbs: dst=1 src0=1 src1=1 src2=1
	v_mad_u32 v80 /*v336*/, v116 /*v372*/, v92 /*v348*/, v80 /*v336*/
	s_set_vgpr_msb 0x44                     ;  msbs: dst=1 src0=0 src1=1 src2=0
	v_mul_i32_i24_e32 v105 /*v361*/, v176, v105 /*v361*/
	v_mul_i32_i24_e32 v84 /*v340*/, v174, v84 /*v340*/
	;; [unrolled: 1-line block ×3, first 2 shown]
	s_set_vgpr_msb 0x45                     ;  msbs: dst=1 src0=1 src1=1 src2=0
	v_mul_i32_i24_e32 v176 /*v432*/, v10 /*v266*/, v137 /*v393*/
	v_mul_i32_i24_e32 v177 /*v433*/, v12 /*v268*/, v138 /*v394*/
	;; [unrolled: 1-line block ×3, first 2 shown]
	v_cvt_f32_i32_e32 v116 /*v372*/, v80 /*v336*/
	s_set_vgpr_msb 0x54                     ;  msbs: dst=1 src0=0 src1=1 src2=1
	v_mul_i32_i24_e32 v80 /*v336*/, v243, v79 /*v335*/
	v_mul_i32_i24_e32 v79 /*v335*/, v173, v79 /*v335*/
	s_delay_alu instid0(VALU_DEP_2) | instskip(NEXT) | instid1(VALU_DEP_2)
	v_mad_i32_i24 v80 /*v336*/, v238, v88 /*v344*/, v80 /*v336*/
	v_mad_i32_i24 v79 /*v335*/, v172, v88 /*v344*/, v79 /*v335*/
	v_mul_i32_i24_e32 v88 /*v344*/, v177, v119 /*v375*/
	s_set_vgpr_msb 0x55                     ;  msbs: dst=1 src0=1 src1=1 src2=1
	s_delay_alu instid0(VALU_DEP_3) | instskip(NEXT) | instid1(VALU_DEP_3)
	v_add3_u32 v80 /*v336*/, v80 /*v336*/, v167 /*v423*/, v168 /*v424*/
	v_add3_u32 v79 /*v335*/, v79 /*v335*/, v105 /*v361*/, v84 /*v340*/
	s_set_vgpr_msb 0x44                     ;  msbs: dst=1 src0=0 src1=1 src2=0
	v_mul_i32_i24_e32 v84 /*v340*/, v175, v117 /*v373*/
	v_mul_i32_i24_e32 v105 /*v361*/, v178, v120 /*v376*/
	;; [unrolled: 1-line block ×5, first 2 shown]
	s_set_vgpr_msb 0x55                     ;  msbs: dst=1 src0=1 src1=1 src2=1
	v_add3_u32 v79 /*v335*/, v79 /*v335*/, v84 /*v340*/, v88 /*v344*/
	s_set_vgpr_msb 0x44                     ;  msbs: dst=1 src0=0 src1=1 src2=0
	v_mul_i32_i24_e32 v119 /*v375*/, v181, v122 /*v378*/
	v_mul_i32_i24_e32 v120 /*v376*/, v182, v123 /*v379*/
	;; [unrolled: 1-line block ×3, first 2 shown]
	s_set_vgpr_msb 0x55                     ;  msbs: dst=1 src0=1 src1=1 src2=1
	v_add3_u32 v80 /*v336*/, v80 /*v336*/, v167 /*v423*/, v168 /*v424*/
	v_add3_u32 v79 /*v335*/, v79 /*v335*/, v105 /*v361*/, v85 /*v341*/
	s_set_vgpr_msb 0x54                     ;  msbs: dst=1 src0=0 src1=1 src2=1
	v_mul_i32_i24_e32 v121 /*v377*/, v184, v137 /*v393*/
	v_mul_i32_i24_e32 v122 /*v378*/, v185, v138 /*v394*/
	;; [unrolled: 1-line block ×3, first 2 shown]
	v_mad_i32_i24 v84 /*v340*/, v187, v141 /*v397*/, v84 /*v340*/
	s_set_vgpr_msb 0x55                     ;  msbs: dst=1 src0=1 src1=1 src2=1
	v_add3_u32 v79 /*v335*/, v79 /*v335*/, v117 /*v373*/, v119 /*v375*/
	v_add3_u32 v80 /*v336*/, v80 /*v336*/, v169 /*v425*/, v170 /*v426*/
	s_set_vgpr_msb 0x44                     ;  msbs: dst=1 src0=0 src1=1 src2=0
	v_mul_i32_i24_e32 v123 /*v379*/, v186, v139 /*v395*/
	v_mul_i32_i24_e32 v88 /*v344*/, v195, v111 /*v367*/
	s_set_vgpr_msb 0x55                     ;  msbs: dst=1 src0=1 src1=1 src2=1
	v_mul_i32_i24_e32 v169 /*v425*/, v25 /*v281*/, v110 /*v366*/
	v_add3_u32 v79 /*v335*/, v79 /*v335*/, v120 /*v376*/, v86 /*v342*/
	s_set_vgpr_msb 0x44                     ;  msbs: dst=1 src0=0 src1=1 src2=0
	v_mul_i32_i24_e32 v86 /*v342*/, v191, v110 /*v366*/
	s_set_vgpr_msb 0x55                     ;  msbs: dst=1 src0=1 src1=1 src2=1
	v_add3_u32 v80 /*v336*/, v80 /*v336*/, v171 /*v427*/, v172 /*v428*/
	s_set_vgpr_msb 0x44                     ;  msbs: dst=1 src0=0 src1=1 src2=0
	v_mul_i32_i24_e32 v105 /*v361*/, v196, v150 /*v406*/
	v_mul_i32_i24_e32 v110 /*v366*/, v197, v151 /*v407*/
	s_set_vgpr_msb 0x55                     ;  msbs: dst=1 src0=1 src1=1 src2=1
	v_add3_u32 v79 /*v335*/, v79 /*v335*/, v121 /*v377*/, v122 /*v378*/
	v_add3_u32 v84 /*v340*/, v84 /*v340*/, v85 /*v341*/, v86 /*v342*/
	s_set_vgpr_msb 0x44                     ;  msbs: dst=1 src0=0 src1=1 src2=0
	v_mul_i32_i24_e32 v85 /*v341*/, v192, v146 /*v402*/
	v_mul_i32_i24_e32 v86 /*v342*/, v193, v148 /*v404*/
	s_set_vgpr_msb 0x55                     ;  msbs: dst=1 src0=1 src1=1 src2=1
	v_add3_u32 v80 /*v336*/, v80 /*v336*/, v173 /*v429*/, v174 /*v430*/
	v_add3_u32 v79 /*v335*/, v79 /*v335*/, v123 /*v379*/, v87 /*v343*/
	s_set_vgpr_msb 0x44                     ;  msbs: dst=1 src0=0 src1=1 src2=0
	v_mul_i32_i24_e32 v87 /*v343*/, v194, v149 /*v405*/
	s_set_vgpr_msb 0x55                     ;  msbs: dst=1 src0=1 src1=1 src2=1
	v_mul_i32_i24_e32 v171 /*v427*/, v29 /*v285*/, v111 /*v367*/
	v_add3_u32 v84 /*v340*/, v84 /*v340*/, v85 /*v341*/, v86 /*v342*/
	v_add3_u32 v80 /*v336*/, v80 /*v336*/, v176 /*v432*/, v177 /*v433*/
	v_mul_i32_i24_e32 v176 /*v432*/, v33 /*v289*/, v112 /*v368*/
	s_set_vgpr_msb 0x44                     ;  msbs: dst=1 src0=0 src1=1 src2=0
	v_mul_i32_i24_e32 v111 /*v367*/, v198, v152 /*v408*/
	v_mul_i32_i24_e32 v112 /*v368*/, v199, v112 /*v368*/
	s_set_vgpr_msb 0x55                     ;  msbs: dst=1 src0=1 src1=1 src2=1
	v_add3_u32 v84 /*v340*/, v84 /*v340*/, v87 /*v343*/, v88 /*v344*/
	s_set_vgpr_msb 0x44                     ;  msbs: dst=1 src0=0 src1=1 src2=0
	v_mul_i32_i24_e32 v117 /*v373*/, v200, v153 /*v409*/
	v_mul_i32_i24_e32 v119 /*v375*/, v201, v154 /*v410*/
	s_set_vgpr_msb 0x45                     ;  msbs: dst=1 src0=1 src1=1 src2=0
	v_mul_lo_u32 v79 /*v335*/, v79 /*v335*/, v134 /*v390*/
	s_set_vgpr_msb 0x44                     ;  msbs: dst=1 src0=0 src1=1 src2=0
	v_mul_i32_i24_e32 v120 /*v376*/, v202, v155 /*v411*/
	s_set_vgpr_msb 0x55                     ;  msbs: dst=1 src0=1 src1=1 src2=1
	v_add3_u32 v84 /*v340*/, v84 /*v340*/, v105 /*v361*/, v110 /*v366*/
	v_mul_i32_i24_e32 v105 /*v361*/, v164 /*v420*/, v77 /*v333*/
	v_mul_i32_i24_e32 v87 /*v343*/, v160 /*v416*/, v126 /*v382*/
	;; [unrolled: 1-line block ×4, first 2 shown]
	v_add3_u32 v84 /*v340*/, v84 /*v340*/, v111 /*v367*/, v112 /*v368*/
	v_mad_i32_i24 v105 /*v361*/, v163 /*v419*/, v124 /*v380*/, v105 /*v361*/
	v_mul_i32_i24_e32 v86 /*v342*/, v159 /*v415*/, v129 /*v385*/
	v_mul_i32_i24_e32 v167 /*v423*/, v20 /*v276*/, v140 /*v396*/
	;; [unrolled: 1-line block ×3, first 2 shown]
	v_add3_u32 v84 /*v340*/, v84 /*v340*/, v117 /*v373*/, v119 /*v375*/
	v_add3_u32 v87 /*v343*/, v105 /*v361*/, v88 /*v344*/, v87 /*v343*/
	v_mul_i32_i24_e32 v170 /*v426*/, v28 /*v284*/, v149 /*v405*/
	v_mad_i32_i24 v167 /*v423*/, v18 /*v274*/, v141 /*v397*/, v167 /*v423*/
	v_mul_i32_i24_e32 v172 /*v428*/, v30 /*v286*/, v150 /*v406*/
	v_add3_u32 v84 /*v340*/, v84 /*v340*/, v120 /*v376*/, v113 /*v369*/
	v_add3_u32 v119 /*v375*/, v87 /*v343*/, v85 /*v341*/, v86 /*v342*/
	v_mul_i32_i24_e32 v173 /*v429*/, v31 /*v287*/, v151 /*v407*/
	v_add3_u32 v167 /*v423*/, v167 /*v423*/, v168 /*v424*/, v169 /*v425*/
	v_mul_i32_i24_e32 v168 /*v424*/, v26 /*v282*/, v146 /*v402*/
	v_mad_u32 v79 /*v335*/, v84 /*v340*/, v143 /*v399*/, v79 /*v335*/
	ds_load_b32 v105 /*v361*/, v115 /*v371*/ offset:30368
	ds_load_b128 v[84:87] /*v[340:343]*/, v114 /*v370*/ offset:16896
	ds_load_b128 v[110:113] /*v[366:369]*/, v114 /*v370*/ offset:16912
	v_mul_i32_i24_e32 v169 /*v425*/, v27 /*v283*/, v148 /*v404*/
	v_mul_i32_i24_e32 v174 /*v430*/, v32 /*v288*/, v152 /*v408*/
	v_add3_u32 v80 /*v336*/, v80 /*v336*/, v178 /*v434*/, v179 /*v435*/
	v_mul_i32_i24_e32 v177 /*v433*/, v34 /*v290*/, v153 /*v409*/
	v_mul_i32_i24_e32 v178 /*v434*/, v35 /*v291*/, v154 /*v410*/
	v_add3_u32 v167 /*v423*/, v167 /*v423*/, v168 /*v424*/, v169 /*v425*/
	v_mul_i32_i24_e32 v179 /*v435*/, v36 /*v292*/, v155 /*v411*/
	v_mul_i32_i24_e32 v168 /*v424*/, v158 /*v414*/, v67 /*v323*/
	v_mul_i32_i24_e32 v169 /*v425*/, v159 /*v415*/, v59 /*v315*/
	v_cvt_f32_i32_e32 v88 /*v344*/, v79 /*v335*/
	v_add3_u32 v167 /*v423*/, v167 /*v423*/, v170 /*v426*/, v171 /*v427*/
	v_mul_i32_i24_e32 v170 /*v426*/, v160 /*v416*/, v65 /*v321*/
	v_mul_i32_i24_e32 v171 /*v427*/, v162 /*v418*/, v64 /*v320*/
	v_mul_lo_u32 v80 /*v336*/, v80 /*v336*/, v66 /*v322*/
	s_delay_alu instid0(VALU_DEP_4)
	v_add3_u32 v167 /*v423*/, v167 /*v423*/, v172 /*v428*/, v173 /*v429*/
	v_mul_i32_i24_e32 v172 /*v428*/, v164 /*v420*/, v62 /*v318*/
	s_wait_dscnt 0x1
	v_bfe_i32 v114 /*v370*/, v84 /*v340*/, 0, 8
	s_wait_dscnt 0x0
	v_bfe_i32 v146 /*v402*/, v110 /*v366*/, 0, 8
	v_bfe_i32 v148 /*v404*/, v110 /*v366*/, 8, 8
	v_bfe_i32 v149 /*v405*/, v110 /*v366*/, 16, 8
	v_ashrrev_i32_e32 v110 /*v366*/, 24, v110 /*v366*/
	v_bfe_i32 v150 /*v406*/, v111 /*v367*/, 0, 8
	v_bfe_i32 v151 /*v407*/, v111 /*v367*/, 8, 8
	v_bfe_i32 v152 /*v408*/, v111 /*v367*/, 16, 8
	v_ashrrev_i32_e32 v111 /*v367*/, 24, v111 /*v367*/
	;; [unrolled: 4-line block ×3, first 2 shown]
	v_bfe_i32 v158 /*v414*/, v113 /*v369*/, 0, 8
	v_bfe_i32 v159 /*v415*/, v113 /*v369*/, 8, 8
	;; [unrolled: 1-line block ×3, first 2 shown]
	v_dual_ashrrev_i32 v113 /*v369*/, 24, v113 /*v369*/ :: v_dual_add_nc_u32 v79 /*v335*/, v111 /*v367*/, v110 /*v366*/
	v_add3_u32 v167 /*v423*/, v167 /*v423*/, v174 /*v430*/, v176 /*v432*/
	v_mad_i32_i24 v172 /*v428*/, v163 /*v419*/, v63 /*v319*/, v172 /*v428*/
	v_bfe_i32 v115 /*v371*/, v84 /*v340*/, 8, 8
	v_bfe_i32 v120 /*v376*/, v84 /*v340*/, 16, 8
	v_add3_u32 v162 /*v418*/, v79 /*v335*/, v112 /*v368*/, v113 /*v369*/
	v_add_nc_u32_e32 v79 /*v335*/, v152 /*v408*/, v149 /*v405*/
	v_add3_u32 v167 /*v423*/, v167 /*v423*/, v177 /*v433*/, v178 /*v434*/
	v_ashrrev_i32_e32 v84 /*v340*/, 24, v84 /*v340*/
	s_set_vgpr_msb 4                        ;  msbs: dst=0 src0=0 src1=1 src2=0
	v_mul_i32_i24_e32 v121, v121, v114 /*v370*/
	s_set_vgpr_msb 0x55                     ;  msbs: dst=1 src0=1 src1=1 src2=1
	v_bfe_i32 v121 /*v377*/, v85 /*v341*/, 0, 8
	v_add3_u32 v163 /*v419*/, v79 /*v335*/, v155 /*v411*/, v160 /*v416*/
	v_add_nc_u32_e32 v79 /*v335*/, v150 /*v406*/, v146 /*v402*/
	v_add3_u32 v167 /*v423*/, v167 /*v423*/, v179 /*v435*/, v180 /*v436*/
	v_bfe_i32 v122 /*v378*/, v85 /*v341*/, 8, 8
	v_bfe_i32 v123 /*v379*/, v85 /*v341*/, 16, 8
	v_ashrrev_i32_e32 v85 /*v341*/, 24, v85 /*v341*/
	v_add3_u32 v164 /*v420*/, v79 /*v335*/, v153 /*v409*/, v158 /*v414*/
	v_add_nc_u32_e32 v79 /*v335*/, v151 /*v407*/, v148 /*v404*/
	s_set_vgpr_msb 4                        ;  msbs: dst=0 src0=0 src1=1 src2=0
	v_mul_i32_i24_e32 v224, v224, v120 /*v376*/
	v_mul_i32_i24_e32 v127, v127, v84 /*v340*/
	v_mad_i32_i24 v119, v119, v115 /*v371*/, v121
	s_set_vgpr_msb 0x55                     ;  msbs: dst=1 src0=1 src1=1 src2=1
	v_add3_u32 v170 /*v426*/, v172 /*v428*/, v171 /*v427*/, v170 /*v426*/
	v_mad_u32 v80 /*v336*/, v167 /*v423*/, v60 /*v316*/, v80 /*v336*/
	v_bfe_i32 v137 /*v393*/, v86 /*v342*/, 0, 8
	v_bfe_i32 v138 /*v394*/, v86 /*v342*/, 8, 8
	;; [unrolled: 1-line block ×3, first 2 shown]
	v_ashrrev_i32_e32 v86 /*v342*/, 24, v86 /*v342*/
	v_bfe_i32 v140 /*v396*/, v87 /*v343*/, 0, 8
	v_bfe_i32 v141 /*v397*/, v87 /*v343*/, 8, 8
	;; [unrolled: 1-line block ×3, first 2 shown]
	v_ashrrev_i32_e32 v87 /*v343*/, 24, v87 /*v343*/
	v_add3_u32 v167 /*v423*/, v79 /*v335*/, v154 /*v410*/, v159 /*v415*/
	v_add_nc_u32_e32 v79 /*v335*/, v85 /*v341*/, v84 /*v340*/
	s_set_vgpr_msb 0                        ;  msbs: dst=0 src0=0 src1=0 src2=0
	v_add3_u32 v119, v119, v224, v127
	s_set_vgpr_msb 4                        ;  msbs: dst=0 src0=0 src1=1 src2=0
	v_mul_i32_i24_e32 v121, v222, v121 /*v377*/
	v_mul_i32_i24_e32 v127, v225, v122 /*v378*/
	s_set_vgpr_msb 0x55                     ;  msbs: dst=1 src0=1 src1=1 src2=1
	v_add3_u32 v168 /*v424*/, v170 /*v426*/, v168 /*v424*/, v169 /*v425*/
	v_add3_u32 v169 /*v425*/, v79 /*v335*/, v86 /*v342*/, v87 /*v343*/
	v_add_nc_u32_e32 v79 /*v335*/, v123 /*v379*/, v120 /*v376*/
	s_set_vgpr_msb 4                        ;  msbs: dst=0 src0=0 src1=1 src2=0
	v_mul_i32_i24_e32 v222, v226, v123 /*v379*/
	v_mul_i32_i24_e32 v224, v228, v85 /*v341*/
	s_set_vgpr_msb 0                        ;  msbs: dst=0 src0=0 src1=0 src2=0
	v_add3_u32 v119, v119, v121, v127
	s_set_vgpr_msb 4                        ;  msbs: dst=0 src0=0 src1=1 src2=0
	v_mul_i32_i24_e32 v121, v255, v146 /*v402*/
	s_set_vgpr_msb 0x55                     ;  msbs: dst=1 src0=1 src1=1 src2=1
	v_add3_u32 v170 /*v426*/, v79 /*v335*/, v139 /*v395*/, v142 /*v398*/
	v_add_nc_u32_e32 v79 /*v335*/, v122 /*v378*/, v115 /*v371*/
	s_set_vgpr_msb 5                        ;  msbs: dst=0 src0=1 src1=1 src2=0
	v_mul_i32_i24_e32 v127, v2 /*v258*/, v149 /*v405*/
	s_set_vgpr_msb 0                        ;  msbs: dst=0 src0=0 src1=0 src2=0
	v_add3_u32 v119, v119, v222, v224
	s_set_vgpr_msb 5                        ;  msbs: dst=0 src0=1 src1=1 src2=0
	v_mul_i32_i24_e32 v222, v4 /*v260*/, v110 /*v366*/
	s_set_vgpr_msb 4                        ;  msbs: dst=0 src0=0 src1=1 src2=0
	v_mad_i32_i24 v121, v251, v148 /*v404*/, v121
	s_set_vgpr_msb 0x55                     ;  msbs: dst=1 src0=1 src1=1 src2=1
	v_add3_u32 v171 /*v427*/, v79 /*v335*/, v138 /*v394*/, v141 /*v397*/
	v_add_nc_u32_e32 v79 /*v335*/, v121 /*v377*/, v114 /*v370*/
	s_set_vgpr_msb 4                        ;  msbs: dst=0 src0=0 src1=1 src2=0
	v_mul_i32_i24_e32 v225, v230, v137 /*v393*/
	v_mul_i32_i24_e32 v226, v232, v138 /*v394*/
	s_set_vgpr_msb 0                        ;  msbs: dst=0 src0=0 src1=0 src2=0
	v_add3_u32 v121, v121, v127, v222
	s_set_vgpr_msb 5                        ;  msbs: dst=0 src0=1 src1=1 src2=0
	v_mul_i32_i24_e32 v127, v6 /*v262*/, v150 /*v406*/
	v_mul_i32_i24_e32 v222, v9 /*v265*/, v151 /*v407*/
	s_set_vgpr_msb 0x55                     ;  msbs: dst=1 src0=1 src1=1 src2=1
	v_add3_u32 v172 /*v428*/, v79 /*v335*/, v137 /*v393*/, v140 /*v396*/
	s_set_vgpr_msb 0                        ;  msbs: dst=0 src0=0 src1=0 src2=0
	v_add3_u32 v119, v119, v225, v226
	s_set_vgpr_msb 5                        ;  msbs: dst=0 src0=1 src1=1 src2=0
	v_mul_i32_i24_e32 v224, v11 /*v267*/, v152 /*v408*/
	v_mul_i32_i24_e32 v225, v13 /*v269*/, v111 /*v367*/
	s_set_vgpr_msb 0                        ;  msbs: dst=0 src0=0 src1=0 src2=0
	v_add3_u32 v121, v121, v127, v222
	s_set_vgpr_msb 4                        ;  msbs: dst=0 src0=0 src1=1 src2=0
	v_mul_i32_i24_e32 v228, v234, v139 /*v395*/
	v_mul_i32_i24_e32 v230, v236, v86 /*v342*/
	;; [unrolled: 1-line block ×4, first 2 shown]
	s_set_vgpr_msb 0                        ;  msbs: dst=0 src0=0 src1=0 src2=0
	v_add3_u32 v121, v121, v224, v225
	s_set_vgpr_msb 5                        ;  msbs: dst=0 src0=1 src1=1 src2=0
	v_mul_i32_i24_e32 v225, v172 /*v428*/, v72 /*v328*/
	s_set_vgpr_msb 0                        ;  msbs: dst=0 src0=0 src1=0 src2=0
	v_add3_u32 v119, v119, v228, v230
	s_set_vgpr_msb 5                        ;  msbs: dst=0 src0=1 src1=1 src2=0
	v_mul_i32_i24_e32 v222, v169 /*v425*/, v56 /*v312*/
	v_mul_i32_i24_e32 v224, v170 /*v426*/, v73 /*v329*/
	;; [unrolled: 1-line block ×3, first 2 shown]
	v_mad_i32_i24 v225, v171 /*v427*/, v70 /*v326*/, v225
	v_mul_i32_i24_e32 v228, v16 /*v272*/, v154 /*v410*/
	s_set_vgpr_msb 4                        ;  msbs: dst=0 src0=0 src1=1 src2=0
	v_mul_i32_i24_e32 v236, v244, v142 /*v398*/
	s_set_vgpr_msb 0                        ;  msbs: dst=0 src0=0 src1=0 src2=0
	v_add3_u32 v119, v119, v232, v234
	s_set_vgpr_msb 4                        ;  msbs: dst=0 src0=0 src1=1 src2=0
	v_mul_i32_i24_e32 v116, v116, v87 /*v343*/
	s_set_vgpr_msb 0                        ;  msbs: dst=0 src0=0 src1=0 src2=0
	v_add3_u32 v222, v225, v224, v222
	v_mul_i32_i24_e32 v224, v109, v97
	s_set_vgpr_msb 5                        ;  msbs: dst=0 src0=1 src1=1 src2=0
	v_mul_i32_i24_e32 v230, v17 /*v273*/, v155 /*v411*/
	v_mul_i32_i24_e32 v232, v19 /*v275*/, v112 /*v368*/
	s_set_vgpr_msb 0                        ;  msbs: dst=0 src0=0 src1=0 src2=0
	v_add3_u32 v121, v121, v226, v228
	v_add3_u32 v116, v119, v236, v116
	s_set_vgpr_msb 5                        ;  msbs: dst=0 src0=1 src1=1 src2=0
	v_add3_u32 v224, v41 /*v297*/, v39 /*v295*/, v224
	v_mul_i32_i24_e32 v234, v21 /*v277*/, v158 /*v414*/
	v_mul_i32_i24_e32 v239, v22 /*v278*/, v159 /*v415*/
	s_set_vgpr_msb 0                        ;  msbs: dst=0 src0=0 src1=0 src2=0
	v_add3_u32 v121, v121, v230, v232
	s_set_vgpr_msb 4                        ;  msbs: dst=0 src0=0 src1=1 src2=0
	v_mul_lo_u32 v116, v116, v57 /*v313*/
	v_mul_lo_u32 v119, v224, v98 /*v354*/
	s_set_vgpr_msb 5                        ;  msbs: dst=0 src0=1 src1=1 src2=0
	v_mul_i32_i24_e32 v241, v24 /*v280*/, v160 /*v416*/
	s_set_vgpr_msb 4                        ;  msbs: dst=0 src0=0 src1=1 src2=0
	v_mul_i32_i24_e32 v224, v218, v53 /*v309*/
	s_set_vgpr_msb 0                        ;  msbs: dst=0 src0=0 src1=0 src2=0
	v_add3_u32 v121, v121, v234, v239
	s_set_vgpr_msb 4                        ;  msbs: dst=0 src0=0 src1=1 src2=0
	v_mul_i32_i24_e32 v225, v246, v113 /*v369*/
	s_set_vgpr_msb 5                        ;  msbs: dst=0 src0=1 src1=1 src2=0
	v_mul_i32_i24_e32 v127, v164 /*v420*/, v58 /*v314*/
	v_mul_i32_i24_e32 v232, v167 /*v423*/, v55 /*v311*/
	s_set_vgpr_msb 4                        ;  msbs: dst=0 src0=0 src1=1 src2=0
	v_mul_i32_i24_e32 v234, v103, v90 /*v346*/
	s_set_vgpr_msb 5                        ;  msbs: dst=0 src0=1 src1=1 src2=0
	v_add3_u32 v224, v46 /*v302*/, v45 /*v301*/, v224
	s_set_vgpr_msb 0                        ;  msbs: dst=0 src0=0 src1=0 src2=0
	v_add3_u32 v121, v121, v241, v225
	s_set_vgpr_msb 5                        ;  msbs: dst=0 src0=1 src1=1 src2=0
	v_mul_i32_i24_e32 v225, v49 /*v305*/, v99 /*v355*/
	v_mul_i32_i24_e32 v226, v162 /*v418*/, v175 /*v431*/
	;; [unrolled: 1-line block ×4, first 2 shown]
	v_add3_u32 v234, v104 /*v360*/, v103 /*v359*/, v234
	s_set_vgpr_msb 0                        ;  msbs: dst=0 src0=0 src1=0 src2=0
	v_add3_u32 v127, v222, v127, v232
	s_set_vgpr_msb 4                        ;  msbs: dst=0 src0=0 src1=1 src2=0
	v_mad_u32 v119, v224, v92 /*v348*/, v119
	v_mad_u32 v116, v121, v54 /*v310*/, v116
	s_set_vgpr_msb 64                       ;  msbs: dst=1 src0=0 src1=0 src2=0
	v_mov_b32_e32 v104 /*v360*/, v91
	s_set_vgpr_msb 0                        ;  msbs: dst=0 src0=0 src1=0 src2=0
	v_add3_u32 v222, v234, v228, v225
	v_add3_u32 v127, v127, v230, v226
	s_set_vgpr_msb 5                        ;  msbs: dst=0 src0=1 src1=1 src2=0
	v_mul_i32_i24_e32 v91, v135 /*v391*/, v175 /*v431*/
	s_set_vgpr_msb 4                        ;  msbs: dst=0 src0=0 src1=1 src2=0
	v_mul_i32_i24_e32 v109, v109, v87 /*v343*/
	s_set_vgpr_msb 0x41                     ;  msbs: dst=1 src0=1 src1=0 src2=0
	v_cvt_f32_i32_e32 v80 /*v336*/, v80 /*v336*/
	s_set_vgpr_msb 64                       ;  msbs: dst=1 src0=0 src1=0 src2=0
	v_cvt_f32_i32_e32 v16 /*v272*/, v222
	v_cvt_f32_i32_e32 v17 /*v273*/, v127
	s_set_vgpr_msb 0                        ;  msbs: dst=0 src0=0 src1=0 src2=0
	v_cvt_f32_i32_e32 v224, v119
	v_cvt_f32_i32_e32 v225, v116
	s_set_vgpr_msb 0x44                     ;  msbs: dst=1 src0=0 src1=1 src2=0
	v_pk_mul_f32 v[16:17] /*v[272:273]*/, v[100:101], v[16:17] /*v[272:273]*/
	s_set_vgpr_msb 4                        ;  msbs: dst=0 src0=0 src1=1 src2=0
	v_mul_i32_i24_e32 v101, v204, v84 /*v340*/
	s_set_vgpr_msb 5                        ;  msbs: dst=0 src0=1 src1=1 src2=0
	v_mul_i32_i24_e32 v204, v36 /*v292*/, v160 /*v416*/
	s_set_vgpr_msb 16                       ;  msbs: dst=0 src0=0 src1=0 src2=1
	v_pk_fma_f32 v[224:225], v[98:99], v[224:225], v[16:17] /*v[272:273]*/ neg_lo:[0,0,1] neg_hi:[0,0,1]
	s_set_vgpr_msb 5                        ;  msbs: dst=0 src0=1 src1=1 src2=0
	v_mul_i32_i24_e32 v99, v136 /*v392*/, v161 /*v417*/
	s_set_vgpr_msb 1                        ;  msbs: dst=0 src0=1 src1=0 src2=0
	s_delay_alu instid0(VALU_DEP_2) | instskip(NEXT) | instid1(VALU_DEP_2)
	v_pk_fma_f32 v[36:37], v[104:105] /*v[360:361]*/, v[224:225], v[36:37]
	v_add3_u32 v91, v144 /*v400*/, v99, v91
	s_set_vgpr_msb 5                        ;  msbs: dst=0 src0=1 src1=1 src2=0
	v_mul_i32_i24_e32 v99, v136 /*v392*/, v100 /*v356*/
	s_set_vgpr_msb 0                        ;  msbs: dst=0 src0=0 src1=0 src2=0
	s_delay_alu instid0(VALU_DEP_2) | instskip(NEXT) | instid1(VALU_DEP_1)
	v_cvt_f32_i32_e32 v127, v91
	v_pk_mul_f32 v[126:127], v[112:113], v[126:127]
	s_delay_alu instid0(VALU_DEP_1)
	v_sub_f32_e32 v91, v126, v127
	s_set_vgpr_msb 5                        ;  msbs: dst=0 src0=1 src1=1 src2=0
	v_mul_i32_i24_e32 v126, v14 /*v270*/, v142 /*v398*/
	v_mul_i32_i24_e32 v127, v35 /*v291*/, v159 /*v415*/
	s_set_vgpr_msb 1                        ;  msbs: dst=0 src0=1 src1=0 src2=0
	v_mul_f32_e32 v121, v89 /*v345*/, v91
	s_set_vgpr_msb 5                        ;  msbs: dst=0 src0=1 src1=1 src2=0
	v_mul_i32_i24_e32 v91, v135 /*v391*/, v99 /*v355*/
	s_set_vgpr_msb 0                        ;  msbs: dst=0 src0=0 src1=0 src2=0
	s_delay_alu instid0(VALU_DEP_2) | instskip(SKIP_1) | instid1(VALU_DEP_2)
	v_pk_add_f32 v[62:63], v[62:63], v[120:121]
	s_set_vgpr_msb 1                        ;  msbs: dst=0 src0=1 src1=0 src2=0
	v_add3_u32 v91, v145 /*v401*/, v99, v91
	s_set_vgpr_msb 5                        ;  msbs: dst=0 src0=1 src1=1 src2=0
	v_mul_i32_i24_e32 v99, v157 /*v413*/, v161 /*v417*/
	s_set_vgpr_msb 64                       ;  msbs: dst=1 src0=0 src1=0 src2=0
	s_delay_alu instid0(VALU_DEP_2) | instskip(SKIP_1) | instid1(VALU_DEP_1)
	v_cvt_f32_i32_e32 v79 /*v335*/, v91
	s_set_vgpr_msb 4                        ;  msbs: dst=0 src0=0 src1=1 src2=0
	v_pk_mul_f32 v[120:121], v[114:115], v[78:79] /*v[334:335]*/
	s_set_vgpr_msb 0                        ;  msbs: dst=0 src0=0 src1=0 src2=0
	s_delay_alu instid0(VALU_DEP_1)
	v_sub_f32_e32 v91, v120, v121
	s_set_vgpr_msb 4                        ;  msbs: dst=0 src0=0 src1=1 src2=0
	v_mul_i32_i24_e32 v120, v216, v141 /*v397*/
	v_mul_i32_i24_e32 v121, v217, v142 /*v398*/
	s_set_vgpr_msb 1                        ;  msbs: dst=0 src0=1 src1=0 src2=0
	v_mul_f32_e32 v119, v89 /*v345*/, v91
	s_set_vgpr_msb 5                        ;  msbs: dst=0 src0=1 src1=1 src2=0
	v_mul_i32_i24_e32 v91, v156 /*v412*/, v175 /*v431*/
	s_set_vgpr_msb 0                        ;  msbs: dst=0 src0=0 src1=0 src2=0
	s_delay_alu instid0(VALU_DEP_2) | instskip(SKIP_1) | instid1(VALU_DEP_2)
	v_pk_add_f32 v[64:65], v[64:65], v[118:119]
	s_set_vgpr_msb 1                        ;  msbs: dst=0 src0=1 src1=0 src2=0
	v_add3_u32 v91, v165 /*v421*/, v99, v91
	s_set_vgpr_msb 5                        ;  msbs: dst=0 src0=1 src1=1 src2=0
	v_mul_i32_i24_e32 v99, v157 /*v413*/, v100 /*v356*/
	s_set_vgpr_msb 4                        ;  msbs: dst=0 src0=0 src1=1 src2=0
	v_mul_i32_i24_e32 v118, v214, v86 /*v342*/
	v_mul_i32_i24_e32 v119, v215, v140 /*v396*/
	s_set_vgpr_msb 64                       ;  msbs: dst=1 src0=0 src1=0 src2=0
	v_cvt_f32_i32_e32 v103 /*v359*/, v91
	s_set_vgpr_msb 4                        ;  msbs: dst=0 src0=0 src1=1 src2=0
	s_delay_alu instid0(VALU_DEP_1) | instskip(SKIP_1) | instid1(VALU_DEP_1)
	v_pk_mul_f32 v[112:113], v[112:113], v[102:103] /*v[358:359]*/
	s_set_vgpr_msb 0                        ;  msbs: dst=0 src0=0 src1=0 src2=0
	v_sub_f32_e32 v91, v112, v113
	s_set_vgpr_msb 1                        ;  msbs: dst=0 src0=1 src1=0 src2=0
	s_delay_alu instid0(VALU_DEP_1) | instskip(SKIP_3) | instid1(VALU_DEP_1)
	v_mul_f32_e32 v116, v118 /*v374*/, v91
	s_set_vgpr_msb 5                        ;  msbs: dst=0 src0=1 src1=1 src2=0
	v_mul_i32_i24_e32 v91, v156 /*v412*/, v99 /*v355*/
	s_set_vgpr_msb 1                        ;  msbs: dst=0 src0=1 src1=0 src2=0
	v_add3_u32 v91, v166 /*v422*/, v99, v91
	s_set_vgpr_msb 4                        ;  msbs: dst=0 src0=0 src1=1 src2=0
	v_mul_i32_i24_e32 v99, v206, v120 /*v376*/
	s_set_vgpr_msb 1                        ;  msbs: dst=0 src0=1 src1=0 src2=0
	v_bfe_i32 v206, v61 /*v317*/, 16, 8
	s_set_vgpr_msb 64                       ;  msbs: dst=1 src0=0 src1=0 src2=0
	v_cvt_f32_i32_e32 v117 /*v373*/, v91
	s_set_vgpr_msb 4                        ;  msbs: dst=0 src0=0 src1=1 src2=0
	s_delay_alu instid0(VALU_DEP_1) | instskip(SKIP_3) | instid1(VALU_DEP_3)
	v_pk_mul_f32 v[112:113], v[114:115], v[116:117] /*v[372:373]*/
	v_mul_i32_i24_e32 v114, v210, v85 /*v341*/
	v_mul_i32_i24_e32 v115, v211, v137 /*v393*/
	s_set_vgpr_msb 0                        ;  msbs: dst=0 src0=0 src1=0 src2=0
	v_sub_f32_e32 v91, v112, v113
	s_set_vgpr_msb 4                        ;  msbs: dst=0 src0=0 src1=1 src2=0
	v_mul_i32_i24_e32 v113, v208, v123 /*v379*/
	s_set_vgpr_msb 1                        ;  msbs: dst=0 src0=1 src1=0 src2=0
	s_delay_alu instid0(VALU_DEP_2)
	v_mul_f32_e32 v112, v118 /*v374*/, v91
	s_set_vgpr_msb 4                        ;  msbs: dst=0 src0=0 src1=1 src2=0
	v_mul_i32_i24_e32 v91, v125, v114 /*v370*/
	s_set_vgpr_msb 0                        ;  msbs: dst=0 src0=0 src1=0 src2=0
	v_pk_add_f32 v[54:55], v[54:55], v[116:117]
	s_set_vgpr_msb 4                        ;  msbs: dst=0 src0=0 src1=1 src2=0
	v_mul_i32_i24_e32 v116, v212, v138 /*v394*/
	v_mul_i32_i24_e32 v117, v213, v139 /*v395*/
	;; [unrolled: 1-line block ×3, first 2 shown]
	v_mad_i32_i24 v91, v123, v115 /*v371*/, v91
	v_mul_i32_i24_e32 v123, v247, v159 /*v415*/
	s_set_vgpr_msb 0                        ;  msbs: dst=0 src0=0 src1=0 src2=0
	s_delay_alu instid0(VALU_DEP_2)
	v_add3_u32 v91, v91, v99, v101
	s_set_vgpr_msb 4                        ;  msbs: dst=0 src0=0 src1=1 src2=0
	v_mul_i32_i24_e32 v99, v205, v121 /*v377*/
	v_mul_i32_i24_e32 v101, v207, v122 /*v378*/
	s_set_vgpr_msb 1                        ;  msbs: dst=0 src0=1 src1=0 src2=0
	v_bfe_i32 v205, v127 /*v383*/, 16, 8
	s_set_vgpr_msb 0                        ;  msbs: dst=0 src0=0 src1=0 src2=0
	s_delay_alu instid0(VALU_DEP_2)
	v_add3_u32 v91, v91, v99, v101
	s_set_vgpr_msb 4                        ;  msbs: dst=0 src0=0 src1=1 src2=0
	v_mul_i32_i24_e32 v99, v220, v146 /*v402*/
	v_mul_i32_i24_e32 v101, v221, v149 /*v405*/
	s_set_vgpr_msb 0                        ;  msbs: dst=0 src0=0 src1=0 src2=0
	v_add3_u32 v91, v91, v113, v114
	s_set_vgpr_msb 4                        ;  msbs: dst=0 src0=0 src1=1 src2=0
	v_mul_i32_i24_e32 v113, v223, v110 /*v366*/
	v_mad_i32_i24 v99, v219, v148 /*v404*/, v99
	v_mul_i32_i24_e32 v114, v231, v152 /*v408*/
	s_set_vgpr_msb 0                        ;  msbs: dst=0 src0=0 src1=0 src2=0
	v_add3_u32 v91, v91, v115, v116
	s_set_vgpr_msb 4                        ;  msbs: dst=0 src0=0 src1=1 src2=0
	v_mul_i32_i24_e32 v115, v233, v111 /*v367*/
	s_set_vgpr_msb 0                        ;  msbs: dst=0 src0=0 src1=0 src2=0
	v_add3_u32 v99, v99, v101, v113
	s_set_vgpr_msb 4                        ;  msbs: dst=0 src0=0 src1=1 src2=0
	v_mul_i32_i24_e32 v101, v227, v150 /*v406*/
	v_mul_i32_i24_e32 v113, v229, v151 /*v407*/
	s_set_vgpr_msb 0                        ;  msbs: dst=0 src0=0 src1=0 src2=0
	v_add3_u32 v91, v91, v117, v118
	s_set_vgpr_msb 4                        ;  msbs: dst=0 src0=0 src1=1 src2=0
	v_mul_i32_i24_e32 v116, v235, v153 /*v409*/
	v_mul_i32_i24_e32 v117, v237, v154 /*v410*/
	;; [unrolled: 1-line block ×3, first 2 shown]
	s_set_vgpr_msb 0                        ;  msbs: dst=0 src0=0 src1=0 src2=0
	v_add3_u32 v99, v99, v101, v113
	v_add3_u32 v91, v91, v119, v120
	s_set_vgpr_msb 5                        ;  msbs: dst=0 src0=1 src1=1 src2=0
	v_mul_i32_i24_e32 v113, v169 /*v425*/, v96 /*v352*/
	s_set_vgpr_msb 4                        ;  msbs: dst=0 src0=0 src1=1 src2=0
	v_mul_i32_i24_e32 v119, v242, v112 /*v368*/
	v_mul_i32_i24_e32 v120, v245, v158 /*v414*/
	s_set_vgpr_msb 0                        ;  msbs: dst=0 src0=0 src1=0 src2=0
	v_add3_u32 v99, v99, v114, v115
	s_set_vgpr_msb 5                        ;  msbs: dst=0 src0=1 src1=1 src2=0
	v_mul_i32_i24_e32 v115, v172 /*v428*/, v93 /*v349*/
	v_mul_i32_i24_e32 v114, v170 /*v426*/, v95 /*v351*/
	s_set_vgpr_msb 0                        ;  msbs: dst=0 src0=0 src1=0 src2=0
	v_add3_u32 v91, v91, v121, v109
	s_set_vgpr_msb 5                        ;  msbs: dst=0 src0=1 src1=1 src2=0
	v_mul_i32_i24_e32 v101, v164 /*v420*/, v97 /*v353*/
	s_set_vgpr_msb 0                        ;  msbs: dst=0 src0=0 src1=0 src2=0
	v_add3_u32 v99, v99, v116, v117
	s_set_vgpr_msb 5                        ;  msbs: dst=0 src0=1 src1=1 src2=0
	v_mad_i32_i24 v115, v171 /*v427*/, v94 /*v350*/, v115
	v_mul_i32_i24_e32 v116, v167 /*v423*/, v90 /*v346*/
	s_set_vgpr_msb 4                        ;  msbs: dst=0 src0=0 src1=1 src2=0
	v_mul_lo_u32 v91, v91, v98 /*v354*/
	s_set_vgpr_msb 5                        ;  msbs: dst=0 src0=1 src1=1 src2=0
	v_mul_i32_i24_e32 v117, v1 /*v257*/, v137 /*v393*/
	s_set_vgpr_msb 0                        ;  msbs: dst=0 src0=0 src1=0 src2=0
	v_add3_u32 v99, v99, v118, v119
	v_add3_u32 v113, v115, v114, v113
	v_mul_i32_i24_e32 v114, v209, v97
	s_set_vgpr_msb 4                        ;  msbs: dst=0 src0=0 src1=1 src2=0
	v_mul_i32_i24_e32 v115, v218, v113 /*v369*/
	s_set_vgpr_msb 5                        ;  msbs: dst=0 src0=1 src1=1 src2=0
	v_mul_i32_i24_e32 v118, v3 /*v259*/, v138 /*v394*/
	s_set_vgpr_msb 0                        ;  msbs: dst=0 src0=0 src1=0 src2=0
	v_add3_u32 v99, v99, v120, v123
	v_add3_u32 v101, v113, v101, v116
	s_set_vgpr_msb 5                        ;  msbs: dst=0 src0=1 src1=1 src2=0
	v_add3_u32 v114, v38 /*v294*/, v37 /*v293*/, v114
	s_set_vgpr_msb 4                        ;  msbs: dst=0 src0=0 src1=1 src2=0
	v_mul_i32_i24_e32 v113, v254, v123 /*v379*/
	s_set_vgpr_msb 5                        ;  msbs: dst=0 src0=1 src1=1 src2=0
	v_mul_i32_i24_e32 v116, v0 /*v256*/, v85 /*v341*/
	s_set_vgpr_msb 0                        ;  msbs: dst=0 src0=0 src1=0 src2=0
	v_add3_u32 v99, v99, v125, v115
	s_set_vgpr_msb 4                        ;  msbs: dst=0 src0=0 src1=1 src2=0
	v_mul_i32_i24_e32 v115, v103, v59 /*v315*/
	v_mul_lo_u32 v109, v114, v66 /*v322*/
	s_set_vgpr_msb 5                        ;  msbs: dst=0 src0=1 src1=1 src2=0
	v_mul_i32_i24_e32 v114, v8 /*v264*/, v53 /*v309*/
	v_mul_i32_i24_e32 v119, v5 /*v261*/, v139 /*v395*/
	s_set_vgpr_msb 4                        ;  msbs: dst=0 src0=0 src1=1 src2=0
	v_mad_u32 v91, v99, v92 /*v348*/, v91
	s_set_vgpr_msb 5                        ;  msbs: dst=0 src0=1 src1=1 src2=0
	v_add3_u32 v120, v74 /*v330*/, v71 /*v327*/, v115
	s_set_vgpr_msb 4                        ;  msbs: dst=0 src0=0 src1=1 src2=0
	v_mul_i32_i24_e32 v99, v252, v120 /*v376*/
	s_set_vgpr_msb 5                        ;  msbs: dst=0 src0=1 src1=1 src2=0
	v_add3_u32 v114, v44 /*v300*/, v43 /*v299*/, v114
	v_mul_i32_i24_e32 v121, v7 /*v263*/, v86 /*v342*/
	v_mul_i32_i24_e32 v123, v10 /*v266*/, v140 /*v396*/
	v_mul_i32_i24_e32 v125, v12 /*v268*/, v141 /*v397*/
	s_set_vgpr_msb 0                        ;  msbs: dst=0 src0=0 src1=0 src2=0
	v_mul_i32_i24_e32 v97, v188, v97
	s_set_vgpr_msb 4                        ;  msbs: dst=0 src0=0 src1=1 src2=0
	v_mad_u32 v109, v114, v60 /*v316*/, v109
	v_mul_i32_i24_e32 v103, v103, v129 /*v385*/
	v_cvt_f32_i32_e32 v115, v91
	v_mul_i32_i24_e32 v91, v243, v114 /*v370*/
	s_set_vgpr_msb 5                        ;  msbs: dst=0 src0=1 src1=1 src2=0
	v_add3_u32 v97, v42 /*v298*/, v40 /*v296*/, v97
	v_add3_u32 v103, v133 /*v389*/, v132 /*v388*/, v103
	s_set_vgpr_msb 4                        ;  msbs: dst=0 src0=0 src1=1 src2=0
	v_mad_i32_i24 v91, v238, v115 /*v371*/, v91
	s_delay_alu instid0(VALU_DEP_3) | instskip(SKIP_3) | instid1(VALU_DEP_1)
	v_mul_lo_u32 v97, v97, v134 /*v390*/
	v_cvt_f32_i32_e32 v114, v109
	v_mul_i32_i24_e32 v109, v248, v84 /*v340*/
	s_set_vgpr_msb 0                        ;  msbs: dst=0 src0=0 src1=0 src2=0
	v_add3_u32 v91, v91, v99, v109
	s_set_vgpr_msb 4                        ;  msbs: dst=0 src0=0 src1=1 src2=0
	v_mul_i32_i24_e32 v99, v250, v121 /*v377*/
	v_mul_i32_i24_e32 v109, v253, v122 /*v378*/
	s_set_vgpr_msb 0                        ;  msbs: dst=0 src0=0 src1=0 src2=0
	s_delay_alu instid0(VALU_DEP_1)
	v_add3_u32 v91, v91, v99, v109
	s_set_vgpr_msb 5                        ;  msbs: dst=0 src0=1 src1=1 src2=0
	v_mul_i32_i24_e32 v99, v20 /*v276*/, v146 /*v402*/
	v_mul_i32_i24_e32 v109, v23 /*v279*/, v149 /*v405*/
	s_set_vgpr_msb 0                        ;  msbs: dst=0 src0=0 src1=0 src2=0
	v_add3_u32 v91, v91, v113, v116
	s_set_vgpr_msb 5                        ;  msbs: dst=0 src0=1 src1=1 src2=0
	v_mul_i32_i24_e32 v113, v25 /*v281*/, v110 /*v366*/
	v_mad_i32_i24 v99, v18 /*v274*/, v148 /*v404*/, v99
	v_mul_i32_i24_e32 v116, v28 /*v284*/, v152 /*v408*/
	s_set_vgpr_msb 0                        ;  msbs: dst=0 src0=0 src1=0 src2=0
	v_add3_u32 v91, v91, v117, v118
	s_set_vgpr_msb 5                        ;  msbs: dst=0 src0=1 src1=1 src2=0
	v_mul_i32_i24_e32 v117, v29 /*v285*/, v111 /*v367*/
	s_set_vgpr_msb 0                        ;  msbs: dst=0 src0=0 src1=0 src2=0
	v_add3_u32 v99, v99, v109, v113
	s_set_vgpr_msb 5                        ;  msbs: dst=0 src0=1 src1=1 src2=0
	v_mul_i32_i24_e32 v109, v26 /*v282*/, v150 /*v406*/
	v_mul_i32_i24_e32 v113, v27 /*v283*/, v151 /*v407*/
	s_set_vgpr_msb 0                        ;  msbs: dst=0 src0=0 src1=0 src2=0
	v_add3_u32 v91, v91, v119, v121
	s_set_vgpr_msb 5                        ;  msbs: dst=0 src0=1 src1=1 src2=0
	v_mul_i32_i24_e32 v118, v30 /*v286*/, v153 /*v409*/
	v_mul_i32_i24_e32 v119, v31 /*v287*/, v154 /*v410*/
	;; [unrolled: 1-line block ×3, first 2 shown]
	s_set_vgpr_msb 0                        ;  msbs: dst=0 src0=0 src1=0 src2=0
	v_add3_u32 v99, v99, v109, v113
	s_set_vgpr_msb 5                        ;  msbs: dst=0 src0=1 src1=1 src2=0
	v_mul_i32_i24_e32 v113, v169 /*v425*/, v65 /*v321*/
	s_set_vgpr_msb 0                        ;  msbs: dst=0 src0=0 src1=0 src2=0
	v_add3_u32 v91, v91, v123, v125
	s_set_vgpr_msb 5                        ;  msbs: dst=0 src0=1 src1=1 src2=0
	v_mul_i32_i24_e32 v123, v33 /*v289*/, v112 /*v368*/
	v_mul_i32_i24_e32 v125, v34 /*v290*/, v158 /*v414*/
	s_set_vgpr_msb 0                        ;  msbs: dst=0 src0=0 src1=0 src2=0
	v_add3_u32 v99, v99, v116, v117
	s_set_vgpr_msb 5                        ;  msbs: dst=0 src0=1 src1=1 src2=0
	v_mul_i32_i24_e32 v117, v172 /*v428*/, v62 /*v318*/
	v_mul_i32_i24_e32 v116, v170 /*v426*/, v64 /*v320*/
	;; [unrolled: 1-line block ×3, first 2 shown]
	s_set_vgpr_msb 0                        ;  msbs: dst=0 src0=0 src1=0 src2=0
	v_add3_u32 v99, v99, v118, v119
	s_set_vgpr_msb 5                        ;  msbs: dst=0 src0=1 src1=1 src2=0
	v_mad_i32_i24 v117, v171 /*v427*/, v63 /*v319*/, v117
	s_set_vgpr_msb 1                        ;  msbs: dst=0 src0=1 src1=0 src2=0
	v_mul_i32_i24_e32 v119, v163 /*v419*/, v206
	s_set_vgpr_msb 0                        ;  msbs: dst=0 src0=0 src1=0 src2=0
	v_add3_u32 v99, v99, v121, v123
	v_add3_u32 v113, v117, v116, v113
	s_set_vgpr_msb 4                        ;  msbs: dst=0 src0=0 src1=1 src2=0
	v_mul_i32_i24_e32 v116, v209, v87 /*v343*/
	s_set_vgpr_msb 5                        ;  msbs: dst=0 src0=1 src1=1 src2=0
	v_mul_i32_i24_e32 v117, v8 /*v264*/, v113 /*v369*/
	v_lshrrev_b32_e32 v121, 24, v127 /*v383*/
	s_set_vgpr_msb 0                        ;  msbs: dst=0 src0=0 src1=0 src2=0
	v_add3_u32 v99, v99, v125, v127
	s_set_vgpr_msb 4                        ;  msbs: dst=0 src0=0 src1=1 src2=0
	v_lshrrev_b32_e32 v127, 24, v61 /*v317*/
	s_set_vgpr_msb 0                        ;  msbs: dst=0 src0=0 src1=0 src2=0
	v_add3_u32 v91, v91, v126, v116
	s_set_vgpr_msb 4                        ;  msbs: dst=0 src0=0 src1=1 src2=0
	v_mul_i32_i24_e32 v116, v203, v53 /*v309*/
	s_set_vgpr_msb 5                        ;  msbs: dst=0 src0=1 src1=1 src2=0
	v_mul_i32_i24_e32 v125, v167 /*v423*/, v59 /*v315*/
	s_set_vgpr_msb 0                        ;  msbs: dst=0 src0=0 src1=0 src2=0
	v_add3_u32 v99, v99, v204, v117
	s_set_vgpr_msb 1                        ;  msbs: dst=0 src0=1 src1=0 src2=0
	v_mul_i32_i24_e32 v117, v162 /*v418*/, v127
	s_set_vgpr_msb 4                        ;  msbs: dst=0 src0=0 src1=1 src2=0
	v_mul_lo_u32 v91, v91, v66 /*v322*/
	s_set_vgpr_msb 5                        ;  msbs: dst=0 src0=1 src1=1 src2=0
	v_add3_u32 v116, v48 /*v304*/, v47 /*v303*/, v116
	s_set_vgpr_msb 1                        ;  msbs: dst=0 src0=1 src1=0 src2=0
	v_mul_i32_i24_e32 v118, v49 /*v305*/, v121
	v_mul_i32_i24_e32 v123, v50 /*v306*/, v205
	s_set_vgpr_msb 0                        ;  msbs: dst=0 src0=0 src1=0 src2=0
	v_add3_u32 v109, v113, v109, v125
	s_set_vgpr_msb 4                        ;  msbs: dst=0 src0=0 src1=1 src2=0
	v_mad_u32 v97, v116, v143 /*v399*/, v97
	s_set_vgpr_msb 0                        ;  msbs: dst=0 src0=0 src1=0 src2=0
	v_add3_u32 v103, v103, v123, v118
	v_add3_u32 v109, v109, v119, v117
	s_set_vgpr_msb 4                        ;  msbs: dst=0 src0=0 src1=1 src2=0
	v_mad_u32 v91, v99, v60 /*v316*/, v91
	s_set_vgpr_msb 1                        ;  msbs: dst=0 src0=1 src1=0 src2=0
	v_mul_i32_i24_e32 v99, v52 /*v308*/, v205
	s_set_vgpr_msb 0                        ;  msbs: dst=0 src0=0 src1=0 src2=0
	v_cvt_f32_i32_e32 v118, v103
	v_cvt_f32_i32_e32 v119, v109
	s_set_vgpr_msb 1                        ;  msbs: dst=0 src0=1 src1=0 src2=0
	v_mul_i32_i24_e32 v103, v107 /*v363*/, v205
	s_set_vgpr_msb 0                        ;  msbs: dst=0 src0=0 src1=0 src2=0
	v_cvt_f32_i32_e32 v116, v97
	s_set_vgpr_msb 1                        ;  msbs: dst=0 src0=1 src1=0 src2=0
	v_mul_i32_i24_e32 v97, v108 /*v364*/, v121
	s_set_vgpr_msb 0                        ;  msbs: dst=0 src0=0 src1=0 src2=0
	v_pk_mul_f32 v[118:119], v[104:105], v[118:119]
	v_cvt_f32_i32_e32 v117, v91
	s_set_vgpr_msb 1                        ;  msbs: dst=0 src0=1 src1=0 src2=0
	v_mul_i32_i24_e32 v91, v51 /*v307*/, v121
	v_add3_u32 v97, v83 /*v339*/, v103, v97
	v_mul_i32_i24_e32 v103, v107 /*v363*/, v206
	s_set_vgpr_msb 0                        ;  msbs: dst=0 src0=0 src1=0 src2=0
	v_pk_fma_f32 v[116:117], v[2:3], v[116:117], v[118:119] neg_lo:[0,0,1] neg_hi:[0,0,1]
	v_add3_u32 v91, v107, v99, v91
	v_cvt_f32_i32_e32 v118, v97
	s_set_vgpr_msb 1                        ;  msbs: dst=0 src0=1 src1=0 src2=0
	v_mul_i32_i24_e32 v97, v108 /*v364*/, v127
	v_mul_i32_i24_e32 v99, v52 /*v308*/, v206
	v_pk_fma_f32 v[40:41], v[104:105] /*v[360:361]*/, v[116:117], v[40:41]
	s_set_vgpr_msb 0                        ;  msbs: dst=0 src0=0 src1=0 src2=0
	v_cvt_f32_i32_e32 v119, v91
	s_set_vgpr_msb 1                        ;  msbs: dst=0 src0=1 src1=0 src2=0
	v_mul_i32_i24_e32 v91, v51 /*v307*/, v127
	v_add3_u32 v97, v131 /*v387*/, v103, v97
	s_set_vgpr_msb 0                        ;  msbs: dst=0 src0=0 src1=0 src2=0
	v_pk_mul_f32 v[118:119], v[104:105], v[118:119] op_sel_hi:[0,1]
	s_set_vgpr_msb 1                        ;  msbs: dst=0 src0=1 src1=0 src2=0
	v_add3_u32 v91, v130 /*v386*/, v99, v91
	s_set_vgpr_msb 4                        ;  msbs: dst=0 src0=0 src1=1 src2=0
	v_mul_i32_i24_e32 v99, v185, v141 /*v397*/
	s_set_vgpr_msb 0                        ;  msbs: dst=0 src0=0 src1=0 src2=0
	v_pk_fma_f32 v[110:111], v[2:3], v[110:111], v[118:119] op_sel_hi:[0,1,1] neg_lo:[0,0,1] neg_hi:[0,0,1]
	v_cvt_f32_i32_e32 v119, v91
	v_cvt_f32_i32_e32 v118, v97
	s_delay_alu instid0(VALU_DEP_3) | instskip(NEXT) | instid1(VALU_DEP_2)
	v_pk_fma_f32 v[82:83], v[92:93], v[110:111], v[82:83]
	v_pk_mul_f32 v[118:119], v[94:95], v[118:119] op_sel_hi:[0,1]
	s_delay_alu instid0(VALU_DEP_1) | instskip(NEXT) | instid1(VALU_DEP_1)
	v_pk_fma_f32 v[0:1], v[90:91], v[0:1], v[118:119] op_sel_hi:[0,1,1] neg_lo:[0,0,1] neg_hi:[0,0,1]
	v_pk_fma_f32 v[80:81], v[92:93], v[0:1], v[80:81]
	s_set_vgpr_msb 1                        ;  msbs: dst=0 src0=1 src1=0 src2=0
	v_mul_i32_i24_e32 v0, v68 /*v324*/, v127
	v_mul_i32_i24_e32 v1, v69 /*v325*/, v206
	s_delay_alu instid0(VALU_DEP_1) | instskip(SKIP_2) | instid1(VALU_DEP_2)
	v_add3_u32 v0, v75 /*v331*/, v1, v0
	s_set_vgpr_msb 0                        ;  msbs: dst=0 src0=0 src1=0 src2=0
	v_mov_b32_e32 v1, v105
	v_cvt_f32_i32_e32 v97, v0
	v_mov_b32_e32 v0, v3
	s_delay_alu instid0(VALU_DEP_1) | instskip(NEXT) | instid1(VALU_DEP_1)
	v_pk_mul_f32 v[90:91], v[0:1], v[96:97]
	v_sub_f32_e32 v90, v90, v91
	s_set_vgpr_msb 1                        ;  msbs: dst=0 src0=1 src1=0 src2=0
	v_mul_i32_i24_e32 v91, v69 /*v325*/, v205
	s_set_vgpr_msb 0                        ;  msbs: dst=0 src0=0 src1=0 src2=0
	s_delay_alu instid0(VALU_DEP_2) | instskip(SKIP_2) | instid1(VALU_DEP_1)
	v_mul_f32_e32 v113, v95, v90
	s_set_vgpr_msb 1                        ;  msbs: dst=0 src0=1 src1=0 src2=0
	v_mul_i32_i24_e32 v90, v68 /*v324*/, v121
	v_add3_u32 v90, v101 /*v357*/, v91, v90
	s_set_vgpr_msb 0                        ;  msbs: dst=0 src0=0 src1=0 src2=0
	v_mov_b32_e32 v91, v104
	s_delay_alu instid0(VALU_DEP_2) | instskip(SKIP_2) | instid1(VALU_DEP_2)
	v_cvt_f32_i32_e32 v109, v90
	v_mov_b32_e32 v90, v2
	v_pk_add_f32 v[56:57], v[56:57], v[112:113]
	v_pk_mul_f32 v[92:93], v[90:91], v[108:109]
	s_delay_alu instid0(VALU_DEP_1) | instskip(SKIP_3) | instid1(VALU_DEP_2)
	v_sub_f32_e32 v2, v92, v93
	s_set_vgpr_msb 1                        ;  msbs: dst=0 src0=1 src1=0 src2=0
	v_mul_i32_i24_e32 v92, v82 /*v338*/, v206
	s_set_vgpr_msb 0                        ;  msbs: dst=0 src0=0 src1=0 src2=0
	v_mul_f32_e32 v93, v95, v2
	s_set_vgpr_msb 1                        ;  msbs: dst=0 src0=1 src1=0 src2=0
	v_mul_i32_i24_e32 v2, v81 /*v337*/, v127
	s_delay_alu instid0(VALU_DEP_1) | instskip(SKIP_2) | instid1(VALU_DEP_2)
	v_add3_u32 v2, v91 /*v347*/, v92, v2
	v_mul_i32_i24_e32 v92, v82 /*v338*/, v205
	s_set_vgpr_msb 0                        ;  msbs: dst=0 src0=0 src1=0 src2=0
	v_cvt_f32_i32_e32 v103, v2
	s_delay_alu instid0(VALU_DEP_1) | instskip(NEXT) | instid1(VALU_DEP_1)
	v_pk_mul_f32 v[94:95], v[0:1], v[102:103]
	v_sub_f32_e32 v2, v94, v95
	s_set_vgpr_msb 1                        ;  msbs: dst=0 src0=1 src1=0 src2=0
	s_delay_alu instid0(VALU_DEP_1) | instskip(SKIP_1) | instid1(VALU_DEP_1)
	v_mul_f32_e32 v94, v76 /*v332*/, v2
	v_mul_i32_i24_e32 v2, v81 /*v337*/, v121
	v_add3_u32 v2, v106 /*v362*/, v92, v2
	v_mul_i32_i24_e32 v92, v136 /*v392*/, v206
	s_set_vgpr_msb 0                        ;  msbs: dst=0 src0=0 src1=0 src2=0
	s_delay_alu instid0(VALU_DEP_2) | instskip(NEXT) | instid1(VALU_DEP_1)
	v_cvt_f32_i32_e32 v107, v2
	v_pk_mul_f32 v[96:97], v[90:91], v[106:107]
	s_delay_alu instid0(VALU_DEP_1) | instskip(SKIP_1) | instid1(VALU_DEP_1)
	v_sub_f32_e32 v2, v96, v97
	s_set_vgpr_msb 1                        ;  msbs: dst=0 src0=1 src1=0 src2=0
	v_mul_f32_e32 v96, v76 /*v332*/, v2
	v_mul_i32_i24_e32 v2, v135 /*v391*/, v127
	s_delay_alu instid0(VALU_DEP_1) | instskip(SKIP_2) | instid1(VALU_DEP_2)
	v_add3_u32 v2, v147 /*v403*/, v92, v2
	v_mul_i32_i24_e32 v92, v136 /*v392*/, v205
	s_set_vgpr_msb 0                        ;  msbs: dst=0 src0=0 src1=0 src2=0
	v_cvt_f32_i32_e32 v123, v2
	s_delay_alu instid0(VALU_DEP_1) | instskip(NEXT) | instid1(VALU_DEP_1)
	v_pk_mul_f32 v[102:103], v[0:1], v[122:123]
	v_sub_f32_e32 v2, v102, v103
	s_set_vgpr_msb 4                        ;  msbs: dst=0 src0=0 src1=1 src2=0
	v_mul_i32_i24_e32 v102, v203, v113 /*v369*/
	s_set_vgpr_msb 1                        ;  msbs: dst=0 src0=1 src1=0 src2=0
	s_delay_alu instid0(VALU_DEP_2) | instskip(SKIP_2) | instid1(VALU_DEP_2)
	v_mul_f32_e32 v95, v89 /*v345*/, v2
	v_mul_i32_i24_e32 v2, v135 /*v391*/, v121
	s_set_vgpr_msb 0                        ;  msbs: dst=0 src0=0 src1=0 src2=0
	v_pk_add_f32 v[66:67], v[66:67], v[94:95]
	s_set_vgpr_msb 1                        ;  msbs: dst=0 src0=1 src1=0 src2=0
	s_delay_alu instid0(VALU_DEP_2) | instskip(SKIP_2) | instid1(VALU_DEP_2)
	v_add3_u32 v2, v109 /*v365*/, v92, v2
	v_mul_i32_i24_e32 v92, v157 /*v413*/, v206
	s_set_vgpr_msb 0                        ;  msbs: dst=0 src0=0 src1=0 src2=0
	v_cvt_f32_i32_e32 v125, v2
	s_delay_alu instid0(VALU_DEP_1) | instskip(NEXT) | instid1(VALU_DEP_1)
	v_pk_mul_f32 v[94:95], v[90:91], v[124:125]
	v_dual_sub_f32 v2, v94, v95 :: v_dual_mov_b32 v95, v100
	s_set_vgpr_msb 4                        ;  msbs: dst=0 src0=0 src1=1 src2=0
	v_mul_i32_i24_e32 v100, v186, v142 /*v398*/
	s_set_vgpr_msb 1                        ;  msbs: dst=0 src0=1 src1=0 src2=0
	s_delay_alu instid0(VALU_DEP_2) | instskip(SKIP_2) | instid1(VALU_DEP_2)
	v_mul_f32_e32 v97, v89 /*v345*/, v2
	v_mul_i32_i24_e32 v2, v156 /*v412*/, v127
	s_set_vgpr_msb 0                        ;  msbs: dst=0 src0=0 src1=0 src2=0
	v_pk_add_f32 v[70:71], v[70:71], v[96:97]
	s_set_vgpr_msb 1                        ;  msbs: dst=0 src0=1 src1=0 src2=0
	s_delay_alu instid0(VALU_DEP_2)
	v_add3_u32 v2, v168 /*v424*/, v92, v2
	s_set_vgpr_msb 4                        ;  msbs: dst=0 src0=0 src1=1 src2=0
	v_mul_i32_i24_e32 v96, v182, v139 /*v395*/
	v_mul_i32_i24_e32 v97, v183, v86 /*v342*/
	s_set_vgpr_msb 64                       ;  msbs: dst=1 src0=0 src1=0 src2=0
	v_cvt_f32_i32_e32 v81 /*v337*/, v2
	s_set_vgpr_msb 4                        ;  msbs: dst=0 src0=0 src1=1 src2=0
	v_mul_i32_i24_e32 v2, v127, v49 /*v305*/
	s_delay_alu instid0(VALU_DEP_2) | instskip(SKIP_1) | instid1(VALU_DEP_1)
	v_pk_mul_f32 v[0:1], v[0:1], v[80:81] /*v[336:337]*/
	s_set_vgpr_msb 0                        ;  msbs: dst=0 src0=0 src1=0 src2=0
	v_sub_f32_e32 v0, v0, v1
	s_set_vgpr_msb 1                        ;  msbs: dst=0 src0=1 src1=0 src2=0
	v_mul_i32_i24_e32 v1, v157 /*v413*/, v205
	s_delay_alu instid0(VALU_DEP_2) | instskip(SKIP_1) | instid1(VALU_DEP_1)
	v_mul_f32_e32 v92, v118 /*v374*/, v0
	v_mul_i32_i24_e32 v0, v156 /*v412*/, v121
	v_add3_u32 v0, v119 /*v375*/, v1, v0
	s_set_vgpr_msb 64                       ;  msbs: dst=1 src0=0 src1=0 src2=0
	s_delay_alu instid0(VALU_DEP_1) | instskip(SKIP_1) | instid1(VALU_DEP_1)
	v_cvt_f32_i32_e32 v89 /*v345*/, v0
	s_set_vgpr_msb 4                        ;  msbs: dst=0 src0=0 src1=1 src2=0
	v_pk_mul_f32 v[0:1], v[90:91], v[88:89] /*v[344:345]*/
	s_set_vgpr_msb 0                        ;  msbs: dst=0 src0=0 src1=0 src2=0
	s_delay_alu instid0(VALU_DEP_1) | instskip(SKIP_3) | instid1(VALU_DEP_2)
	v_sub_f32_e32 v0, v0, v1
	s_set_vgpr_msb 5                        ;  msbs: dst=0 src0=1 src1=1 src2=0
	v_mul_i32_i24_e32 v1, v162 /*v418*/, v99 /*v355*/
	s_set_vgpr_msb 1                        ;  msbs: dst=0 src0=1 src1=0 src2=0
	v_mul_f32_e32 v0, v118 /*v374*/, v0
	s_set_vgpr_msb 0                        ;  msbs: dst=0 src0=0 src1=0 src2=0
	v_pk_add_f32 v[60:61], v[60:61], v[92:93]
	s_set_vgpr_msb 5                        ;  msbs: dst=0 src0=1 src1=1 src2=0
	v_mul_i32_i24_e32 v92, v163 /*v419*/, v100 /*v356*/
	s_set_vgpr_msb 4                        ;  msbs: dst=0 src0=0 src1=1 src2=0
	v_mul_i32_i24_e32 v93, v206, v50 /*v306*/
	s_set_vgpr_msb 0                        ;  msbs: dst=0 src0=0 src1=0 src2=0
	s_delay_alu instid0(VALU_DEP_2) | instskip(NEXT) | instid1(VALU_DEP_2)
	v_add3_u32 v1, v101, v92, v1
	v_add3_u32 v94, v120, v93, v2
	v_dual_mov_b32 v2, v3 :: v_dual_mov_b32 v3, v98
	s_set_vgpr_msb 4                        ;  msbs: dst=0 src0=0 src1=1 src2=0
	v_mul_i32_i24_e32 v98, v184, v140 /*v396*/
	v_cvt_f32_i32_e32 v93, v1
	v_cvt_f32_i32_e32 v92, v94
	v_mov_b32_e32 v94, v105
	v_mul_i32_i24_e32 v1, v173, v114 /*v370*/
	v_mul_i32_i24_e32 v101, v188, v87 /*v343*/
	s_set_vgpr_msb 0                        ;  msbs: dst=0 src0=0 src1=0 src2=0
	s_delay_alu instid0(VALU_DEP_3)
	v_pk_mul_f32 v[92:93], v[94:95], v[92:93]
	s_set_vgpr_msb 4                        ;  msbs: dst=0 src0=0 src1=1 src2=0
	v_mad_i32_i24 v1, v172, v115 /*v371*/, v1
	v_mul_i32_i24_e32 v94, v180, v137 /*v393*/
	v_mul_i32_i24_e32 v95, v181, v138 /*v394*/
	s_set_vgpr_msb 0                        ;  msbs: dst=0 src0=0 src1=0 src2=0
	v_pk_fma_f32 v[2:3], v[2:3], v[114:115], v[92:93] neg_lo:[0,0,1] neg_hi:[0,0,1]
	s_set_vgpr_msb 4                        ;  msbs: dst=0 src0=0 src1=1 src2=0
	v_mul_i32_i24_e32 v92, v178, v123 /*v379*/
	v_mul_i32_i24_e32 v93, v179, v85 /*v341*/
	s_set_vgpr_msb 1                        ;  msbs: dst=0 src0=1 src1=0 src2=0
	v_pk_fma_f32 v[38:39], v[104:105] /*v[360:361]*/, v[2:3], v[38:39]
	s_set_vgpr_msb 4                        ;  msbs: dst=0 src0=0 src1=1 src2=0
	v_mul_i32_i24_e32 v2, v176, v120 /*v376*/
	v_mul_i32_i24_e32 v3, v174, v84 /*v340*/
	s_set_vgpr_msb 0                        ;  msbs: dst=0 src0=0 src1=0 src2=0
	s_delay_alu instid0(VALU_DEP_1) | instskip(SKIP_4) | instid1(VALU_DEP_1)
	v_add3_u32 v1, v1, v2, v3
	s_set_vgpr_msb 4                        ;  msbs: dst=0 src0=0 src1=1 src2=0
	v_mul_i32_i24_e32 v2, v175, v121 /*v377*/
	v_mul_i32_i24_e32 v3, v177, v122 /*v378*/
	s_set_vgpr_msb 0                        ;  msbs: dst=0 src0=0 src1=0 src2=0
	v_add3_u32 v1, v1, v2, v3
	s_set_vgpr_msb 4                        ;  msbs: dst=0 src0=0 src1=1 src2=0
	v_mul_i32_i24_e32 v2, v189, v146 /*v402*/
	v_mul_i32_i24_e32 v3, v190, v149 /*v405*/
	s_set_vgpr_msb 0                        ;  msbs: dst=0 src0=0 src1=0 src2=0
	v_add3_u32 v1, v1, v92, v93
	s_set_vgpr_msb 4                        ;  msbs: dst=0 src0=0 src1=1 src2=0
	v_mul_i32_i24_e32 v92, v191, v110 /*v366*/
	v_mad_i32_i24 v2, v187, v148 /*v404*/, v2
	v_mul_i32_i24_e32 v93, v194, v152 /*v408*/
	s_set_vgpr_msb 0                        ;  msbs: dst=0 src0=0 src1=0 src2=0
	v_add3_u32 v1, v1, v94, v95
	s_set_vgpr_msb 4                        ;  msbs: dst=0 src0=0 src1=1 src2=0
	v_mul_i32_i24_e32 v94, v195, v111 /*v367*/
	s_set_vgpr_msb 0                        ;  msbs: dst=0 src0=0 src1=0 src2=0
	v_add3_u32 v2, v2, v3, v92
	s_set_vgpr_msb 4                        ;  msbs: dst=0 src0=0 src1=1 src2=0
	v_mul_i32_i24_e32 v3, v192, v150 /*v406*/
	v_mul_i32_i24_e32 v92, v193, v151 /*v407*/
	s_set_vgpr_msb 0                        ;  msbs: dst=0 src0=0 src1=0 src2=0
	v_add3_u32 v1, v1, v96, v97
	s_set_vgpr_msb 4                        ;  msbs: dst=0 src0=0 src1=1 src2=0
	v_mul_i32_i24_e32 v95, v196, v153 /*v409*/
	v_mul_i32_i24_e32 v96, v197, v154 /*v410*/
	v_mul_i32_i24_e32 v97, v198, v155 /*v411*/
	s_set_vgpr_msb 0                        ;  msbs: dst=0 src0=0 src1=0 src2=0
	v_add3_u32 v2, v2, v3, v92
	v_add3_u32 v1, v1, v98, v99
	s_set_vgpr_msb 4                        ;  msbs: dst=0 src0=0 src1=1 src2=0
	v_mul_i32_i24_e32 v98, v199, v112 /*v368*/
	v_mul_i32_i24_e32 v99, v200, v158 /*v414*/
	s_set_vgpr_msb 5                        ;  msbs: dst=0 src0=1 src1=1 src2=0
	v_mul_i32_i24_e32 v92, v164 /*v420*/, v128 /*v384*/
	s_set_vgpr_msb 0                        ;  msbs: dst=0 src0=0 src1=0 src2=0
	v_add3_u32 v2, v2, v93, v94
	v_add3_u32 v1, v1, v100, v101
	s_set_vgpr_msb 4                        ;  msbs: dst=0 src0=0 src1=1 src2=0
	v_mul_i32_i24_e32 v100, v201, v159 /*v415*/
	v_mul_i32_i24_e32 v101, v202, v160 /*v416*/
	s_set_vgpr_msb 5                        ;  msbs: dst=0 src0=1 src1=1 src2=0
	v_mul_i32_i24_e32 v94, v169 /*v425*/, v126 /*v382*/
	s_set_vgpr_msb 0                        ;  msbs: dst=0 src0=0 src1=0 src2=0
	v_add3_u32 v2, v2, v95, v96
	s_set_vgpr_msb 5                        ;  msbs: dst=0 src0=1 src1=1 src2=0
	v_mul_i32_i24_e32 v95, v170 /*v426*/, v125 /*v381*/
	v_mul_i32_i24_e32 v96, v171 /*v427*/, v124 /*v380*/
	s_set_vgpr_msb 4                        ;  msbs: dst=0 src0=0 src1=1 src2=0
	v_mul_lo_u32 v1, v1, v134 /*v390*/
	s_set_vgpr_msb 1                        ;  msbs: dst=0 src0=1 src1=0 src2=0
	v_mul_i32_i24_e32 v3, v163 /*v419*/, v205
	s_set_vgpr_msb 0                        ;  msbs: dst=0 src0=0 src1=0 src2=0
	v_add3_u32 v2, v2, v97, v98
	s_set_vgpr_msb 5                        ;  msbs: dst=0 src0=1 src1=1 src2=0
	v_mul_i32_i24_e32 v97, v172 /*v428*/, v77 /*v333*/
	v_mul_i32_i24_e32 v93, v167 /*v423*/, v129 /*v385*/
	s_set_vgpr_msb 0                        ;  msbs: dst=0 src0=0 src1=0 src2=0
	v_add3_u32 v2, v2, v99, v100
	s_delay_alu instid0(VALU_DEP_3) | instskip(NEXT) | instid1(VALU_DEP_2)
	v_add3_u32 v95, v96, v97, v95
	v_add3_u32 v2, v2, v101, v102
	s_delay_alu instid0(VALU_DEP_2) | instskip(SKIP_1) | instid1(VALU_DEP_2)
	v_add3_u32 v92, v95, v94, v92
	s_set_vgpr_msb 4                        ;  msbs: dst=0 src0=0 src1=1 src2=0
	v_mad_u32 v1, v2, v143 /*v399*/, v1
	s_set_vgpr_msb 0                        ;  msbs: dst=0 src0=0 src1=0 src2=0
	s_delay_alu instid0(VALU_DEP_2) | instskip(SKIP_1) | instid1(VALU_DEP_1)
	v_add3_u32 v3, v92, v93, v3
	s_set_vgpr_msb 1                        ;  msbs: dst=0 src0=1 src1=0 src2=0
	v_mad_i32_i24 v3, v162 /*v418*/, v121, v3
	s_set_vgpr_msb 0                        ;  msbs: dst=0 src0=0 src1=0 src2=0
	s_delay_alu instid0(VALU_DEP_1) | instskip(NEXT) | instid1(VALU_DEP_4)
	v_cvt_f32_i32_e32 v3, v3
	v_cvt_f32_i32_e32 v2, v1
	s_delay_alu instid0(VALU_DEP_1) | instskip(NEXT) | instid1(VALU_DEP_1)
	v_pk_mul_f32 v[2:3], v[90:91], v[2:3]
	v_sub_f32_e32 v1, v2, v3
	s_set_vgpr_msb 1                        ;  msbs: dst=0 src0=1 src1=0 src2=0
	s_delay_alu instid0(VALU_DEP_1) | instskip(SKIP_1) | instid1(VALU_DEP_1)
	v_mul_f32_e32 v1, v105 /*v361*/, v1
	s_set_vgpr_msb 0                        ;  msbs: dst=0 src0=0 src1=0 src2=0
	v_pk_add_f32 v[52:53], v[52:53], v[0:1]
	s_cbranch_scc1 .LBB147_12
; %bb.13:                               ;   in Loop: Header=BB147_8 Depth=2
	s_cmp_eq_u32 s12, 4
	s_barrier_signal -1
	s_barrier_wait -1
	s_cselect_b32 s13, -1, 0
	s_delay_alu instid0(SALU_CYCLE_1)
	s_and_b32 vcc_lo, exec_lo, s13
	s_cbranch_vccz .LBB147_8
	s_branch .LBB147_5
.LBB147_14:
	v_dual_mov_b32 v0, 0 :: v_dual_mov_b32 v24, 0
	v_dual_mov_b32 v1, 0 :: v_dual_mov_b32 v26, 0
	;; [unrolled: 1-line block ×12, first 2 shown]
	v_mov_b32_e32 v28, 0
	s_wait_xcnt 0x0
	s_mov_b32 s0, exec_lo
	v_cmpx_gt_u32_e64 s4, v13
	s_cbranch_execnz .LBB147_17
.LBB147_15:
	s_sendmsg sendmsg(MSG_DEALLOC_VGPRS)
	s_endpgm
.LBB147_16:
	v_cvt_pk_f16_f32 v29, v74, v75
	v_cvt_f16_f32_e32 v28, v84
	v_cvt_pk_f16_f32 v27, v78, v79
	v_cvt_pk_f16_f32 v26, v80, v81
	;; [unrolled: 1-line block ×3, first 2 shown]
	v_cvt_f16_f32_e32 v25, v85
	v_cvt_f16_f32_e32 v23, v55
	;; [unrolled: 1-line block ×16, first 2 shown]
	s_wait_xcnt 0x1
	v_cvt_pk_f16_f32 v3, v36, v37
	v_cvt_pk_f16_f32 v2, v38, v39
	s_wait_xcnt 0x0
	v_cvt_pk_f16_f32 v1, v40, v41
	v_cvt_f16_f32_e32 v0, v53
	v_dual_mov_b32 v4, v5 :: v_dual_mov_b32 v15, v9
	s_mov_b32 s0, exec_lo
	v_cmpx_gt_u32_e64 s4, v13
	s_cbranch_execz .LBB147_15
.LBB147_17:
	v_mul_lo_u32 v30, v13, s6
	v_add_nc_u32_e32 v5, s14, v15
	s_delay_alu instid0(VALU_DEP_1)
	v_cmp_gt_u32_e32 vcc_lo, s6, v5
	s_and_saveexec_b32 s0, vcc_lo
	s_cbranch_execz .LBB147_19
; %bb.18:
	s_delay_alu instid0(VALU_DEP_3)
	v_add_nc_u32_e32 v9, v5, v30
	s_wait_kmcnt 0x0
	global_store_d16_hi_b16 v9, v29, s[8:9] scale_offset
.LBB147_19:
	s_wait_xcnt 0x0
	s_or_b32 exec_lo, exec_lo, s0
	v_add_nc_u32_e32 v9, 32, v5
	s_delay_alu instid0(VALU_DEP_1)
	v_cmp_gt_u32_e64 s0, s6, v9
	s_and_saveexec_b32 s1, s0
	s_cbranch_execz .LBB147_21
; %bb.20:
	v_add_nc_u32_e32 v13, v9, v30
	s_wait_kmcnt 0x0
	global_store_b16 v13, v3, s[8:9] scale_offset
.LBB147_21:
	s_wait_xcnt 0x0
	s_or_b32 exec_lo, exec_lo, s1
	v_add_nc_u32_e32 v13, 64, v5
	s_delay_alu instid0(VALU_DEP_1)
	v_cmp_gt_u32_e64 s1, s6, v13
	s_and_saveexec_b32 s2, s1
	s_cbranch_execz .LBB147_23
; %bb.22:
	v_add_nc_u32_e32 v15, v13, v30
	s_wait_kmcnt 0x0
	global_store_b16 v15, v2, s[8:9] scale_offset
.LBB147_23:
	;; [unrolled: 12-line block ×3, first 2 shown]
	s_wait_xcnt 0x0
	s_or_b32 exec_lo, exec_lo, s3
	v_add3_u32 v30, v4, s7, 8
	s_delay_alu instid0(VALU_DEP_1)
	v_cmp_gt_u32_e64 s3, s4, v30
	s_and_b32 exec_lo, exec_lo, s3
	s_cbranch_execz .LBB147_15
; %bb.26:
	v_mul_lo_u32 v30, v30, s6
	s_and_saveexec_b32 s3, vcc_lo
	s_cbranch_execnz .LBB147_66
; %bb.27:
	s_or_b32 exec_lo, exec_lo, s3
	s_and_saveexec_b32 s3, s0
	s_cbranch_execnz .LBB147_67
.LBB147_28:
	s_or_b32 exec_lo, exec_lo, s3
	s_and_saveexec_b32 s3, s1
	s_cbranch_execnz .LBB147_68
.LBB147_29:
	s_or_b32 exec_lo, exec_lo, s3
	s_and_saveexec_b32 s3, s2
	s_cbranch_execz .LBB147_31
.LBB147_30:
	v_add_nc_u32_e32 v29, v30, v15
	s_wait_kmcnt 0x0
	global_store_d16_hi_b16 v29, v24, s[8:9] scale_offset
.LBB147_31:
	s_wait_xcnt 0x0
	s_or_b32 exec_lo, exec_lo, s3
	v_add3_u32 v29, v4, s7, 16
	s_delay_alu instid0(VALU_DEP_1)
	v_cmp_gt_u32_e64 s3, s4, v29
	s_and_b32 exec_lo, exec_lo, s3
	s_cbranch_execz .LBB147_15
; %bb.32:
	v_mul_lo_u32 v29, v29, s6
	s_and_saveexec_b32 s3, vcc_lo
	s_cbranch_execnz .LBB147_69
; %bb.33:
	s_or_b32 exec_lo, exec_lo, s3
	s_and_saveexec_b32 s3, s0
	s_cbranch_execnz .LBB147_70
.LBB147_34:
	s_or_b32 exec_lo, exec_lo, s3
	s_and_saveexec_b32 s3, s1
	s_cbranch_execnz .LBB147_71
.LBB147_35:
	s_or_b32 exec_lo, exec_lo, s3
	s_and_saveexec_b32 s3, s2
	s_cbranch_execz .LBB147_37
.LBB147_36:
	v_add_nc_u32_e32 v26, v29, v15
	s_wait_kmcnt 0x0
	global_store_b16 v26, v24, s[8:9] scale_offset
.LBB147_37:
	s_wait_xcnt 0x0
	s_or_b32 exec_lo, exec_lo, s3
	v_add3_u32 v24, v4, s7, 24
	s_delay_alu instid0(VALU_DEP_1)
	v_cmp_gt_u32_e64 s3, s4, v24
	s_and_b32 exec_lo, exec_lo, s3
	s_cbranch_execz .LBB147_15
; %bb.38:
	v_mul_lo_u32 v24, v24, s6
	s_and_saveexec_b32 s3, vcc_lo
	s_cbranch_execnz .LBB147_72
; %bb.39:
	s_or_b32 exec_lo, exec_lo, s3
	s_and_saveexec_b32 s3, s0
	s_cbranch_execnz .LBB147_73
.LBB147_40:
	s_or_b32 exec_lo, exec_lo, s3
	s_and_saveexec_b32 s3, s1
	s_cbranch_execnz .LBB147_74
.LBB147_41:
	s_or_b32 exec_lo, exec_lo, s3
	s_and_saveexec_b32 s3, s2
	s_cbranch_execz .LBB147_43
.LBB147_42:
	v_add_nc_u32_e32 v22, v24, v15
	s_wait_kmcnt 0x0
	global_store_b16 v22, v21, s[8:9] scale_offset
.LBB147_43:
	s_wait_xcnt 0x0
	s_or_b32 exec_lo, exec_lo, s3
	v_add3_u32 v21, v4, s7, 32
	s_delay_alu instid0(VALU_DEP_1)
	v_cmp_gt_u32_e64 s3, s4, v21
	s_and_b32 exec_lo, exec_lo, s3
	s_cbranch_execz .LBB147_15
; %bb.44:
	v_mul_lo_u32 v21, v21, s6
	s_and_saveexec_b32 s3, vcc_lo
	s_cbranch_execnz .LBB147_75
; %bb.45:
	s_or_b32 exec_lo, exec_lo, s3
	s_and_saveexec_b32 s3, s0
	s_cbranch_execnz .LBB147_76
.LBB147_46:
	s_or_b32 exec_lo, exec_lo, s3
	s_and_saveexec_b32 s3, s1
	s_cbranch_execnz .LBB147_77
.LBB147_47:
	s_or_b32 exec_lo, exec_lo, s3
	s_and_saveexec_b32 s3, s2
	s_cbranch_execz .LBB147_49
.LBB147_48:
	v_add_nc_u32_e32 v18, v21, v15
	s_wait_kmcnt 0x0
	global_store_b16 v18, v17, s[8:9] scale_offset
.LBB147_49:
	s_wait_xcnt 0x0
	s_or_b32 exec_lo, exec_lo, s3
	v_add3_u32 v17, v4, s7, 40
	s_delay_alu instid0(VALU_DEP_1)
	v_cmp_gt_u32_e64 s3, s4, v17
	s_and_b32 exec_lo, exec_lo, s3
	s_cbranch_execz .LBB147_15
; %bb.50:
	v_mul_lo_u32 v17, v17, s6
	s_and_saveexec_b32 s3, vcc_lo
	s_cbranch_execnz .LBB147_78
; %bb.51:
	s_or_b32 exec_lo, exec_lo, s3
	s_and_saveexec_b32 s3, s0
	s_cbranch_execnz .LBB147_79
.LBB147_52:
	s_or_b32 exec_lo, exec_lo, s3
	s_and_saveexec_b32 s3, s1
	s_cbranch_execnz .LBB147_80
.LBB147_53:
	s_or_b32 exec_lo, exec_lo, s3
	s_and_saveexec_b32 s3, s2
	s_cbranch_execz .LBB147_55
.LBB147_54:
	v_add_nc_u32_e32 v12, v17, v15
	s_wait_kmcnt 0x0
	global_store_b16 v12, v11, s[8:9] scale_offset
.LBB147_55:
	s_wait_xcnt 0x0
	s_or_b32 exec_lo, exec_lo, s3
	v_add3_u32 v11, v4, s7, 48
	s_delay_alu instid0(VALU_DEP_1)
	v_cmp_gt_u32_e64 s3, s4, v11
	s_and_b32 exec_lo, exec_lo, s3
	s_cbranch_execz .LBB147_15
; %bb.56:
	v_mul_lo_u32 v11, v11, s6
	s_and_saveexec_b32 s3, vcc_lo
	s_cbranch_execnz .LBB147_81
; %bb.57:
	s_or_b32 exec_lo, exec_lo, s3
	s_and_saveexec_b32 s3, s0
	s_cbranch_execnz .LBB147_82
.LBB147_58:
	s_or_b32 exec_lo, exec_lo, s3
	s_and_saveexec_b32 s3, s1
	s_cbranch_execnz .LBB147_83
.LBB147_59:
	s_or_b32 exec_lo, exec_lo, s3
	s_and_saveexec_b32 s3, s2
	s_cbranch_execz .LBB147_61
.LBB147_60:
	v_add_nc_u32_e32 v7, v11, v15
	s_wait_kmcnt 0x0
	global_store_b16 v7, v6, s[8:9] scale_offset
.LBB147_61:
	s_wait_xcnt 0x0
	s_or_b32 exec_lo, exec_lo, s3
	v_add3_u32 v4, v4, s7, 56
	s_delay_alu instid0(VALU_DEP_1)
	v_cmp_gt_u32_e64 s3, s4, v4
	s_and_b32 exec_lo, exec_lo, s3
	s_cbranch_execz .LBB147_15
; %bb.62:
	v_mul_lo_u32 v4, v4, s6
	s_and_saveexec_b32 s3, vcc_lo
	s_cbranch_execnz .LBB147_84
; %bb.63:
	s_or_b32 exec_lo, exec_lo, s3
	s_and_saveexec_b32 s3, s0
	s_cbranch_execnz .LBB147_85
.LBB147_64:
	s_or_b32 exec_lo, exec_lo, s3
	s_and_saveexec_b32 s0, s1
	s_cbranch_execnz .LBB147_86
.LBB147_65:
	s_or_b32 exec_lo, exec_lo, s0
	s_delay_alu instid0(SALU_CYCLE_1)
	s_and_b32 exec_lo, exec_lo, s2
	s_cbranch_execz .LBB147_15
	s_branch .LBB147_87
.LBB147_66:
	s_delay_alu instid0(VALU_DEP_1)
	v_add_nc_u32_e32 v31, v30, v5
	s_wait_kmcnt 0x0
	global_store_b16 v31, v29, s[8:9] scale_offset
	s_wait_xcnt 0x0
	s_or_b32 exec_lo, exec_lo, s3
	s_and_saveexec_b32 s3, s0
	s_cbranch_execz .LBB147_28
.LBB147_67:
	s_delay_alu instid0(VALU_DEP_1)
	v_add_nc_u32_e32 v29, v30, v9
	s_wait_kmcnt 0x0
	global_store_d16_hi_b16 v29, v27, s[8:9] scale_offset
	s_wait_xcnt 0x0
	s_or_b32 exec_lo, exec_lo, s3
	s_and_saveexec_b32 s3, s1
	s_cbranch_execz .LBB147_29
.LBB147_68:
	s_delay_alu instid0(VALU_DEP_1)
	v_add_nc_u32_e32 v29, v30, v13
	s_wait_kmcnt 0x0
	global_store_d16_hi_b16 v29, v26, s[8:9] scale_offset
	s_wait_xcnt 0x0
	s_or_b32 exec_lo, exec_lo, s3
	s_and_saveexec_b32 s3, s2
	s_cbranch_execnz .LBB147_30
	s_branch .LBB147_31
.LBB147_69:
	s_delay_alu instid0(VALU_DEP_1)
	v_add_nc_u32_e32 v30, v29, v5
	s_wait_kmcnt 0x0
	global_store_b16 v30, v28, s[8:9] scale_offset
	s_wait_xcnt 0x0
	s_or_b32 exec_lo, exec_lo, s3
	s_and_saveexec_b32 s3, s0
	s_cbranch_execz .LBB147_34
.LBB147_70:
	s_delay_alu instid0(VALU_DEP_1)
	v_add_nc_u32_e32 v28, v29, v9
	s_wait_kmcnt 0x0
	global_store_b16 v28, v27, s[8:9] scale_offset
	s_wait_xcnt 0x0
	s_or_b32 exec_lo, exec_lo, s3
	s_and_saveexec_b32 s3, s1
	s_cbranch_execz .LBB147_35
.LBB147_71:
	s_delay_alu instid0(VALU_DEP_1)
	v_add_nc_u32_e32 v27, v29, v13
	s_wait_kmcnt 0x0
	global_store_b16 v27, v26, s[8:9] scale_offset
	s_wait_xcnt 0x0
	s_or_b32 exec_lo, exec_lo, s3
	s_and_saveexec_b32 s3, s2
	s_cbranch_execnz .LBB147_36
	s_branch .LBB147_37
.LBB147_72:
	s_delay_alu instid0(VALU_DEP_1)
	v_add_nc_u32_e32 v26, v24, v5
	s_wait_kmcnt 0x0
	global_store_b16 v26, v25, s[8:9] scale_offset
	s_wait_xcnt 0x0
	s_or_b32 exec_lo, exec_lo, s3
	s_and_saveexec_b32 s3, s0
	s_cbranch_execz .LBB147_40
.LBB147_73:
	s_delay_alu instid0(VALU_DEP_1)
	v_add_nc_u32_e32 v25, v24, v9
	s_wait_kmcnt 0x0
	global_store_b16 v25, v23, s[8:9] scale_offset
	s_wait_xcnt 0x0
	s_or_b32 exec_lo, exec_lo, s3
	s_and_saveexec_b32 s3, s1
	s_cbranch_execz .LBB147_41
.LBB147_74:
	s_delay_alu instid0(VALU_DEP_1)
	v_add_nc_u32_e32 v23, v24, v13
	s_wait_kmcnt 0x0
	global_store_b16 v23, v22, s[8:9] scale_offset
	s_wait_xcnt 0x0
	s_or_b32 exec_lo, exec_lo, s3
	s_and_saveexec_b32 s3, s2
	s_cbranch_execnz .LBB147_42
	s_branch .LBB147_43
.LBB147_75:
	s_delay_alu instid0(VALU_DEP_1)
	v_add_nc_u32_e32 v22, v21, v5
	s_wait_kmcnt 0x0
	global_store_b16 v22, v20, s[8:9] scale_offset
	s_wait_xcnt 0x0
	s_or_b32 exec_lo, exec_lo, s3
	s_and_saveexec_b32 s3, s0
	s_cbranch_execz .LBB147_46
.LBB147_76:
	s_delay_alu instid0(VALU_DEP_1)
	v_add_nc_u32_e32 v20, v21, v9
	s_wait_kmcnt 0x0
	global_store_b16 v20, v19, s[8:9] scale_offset
	s_wait_xcnt 0x0
	s_or_b32 exec_lo, exec_lo, s3
	s_and_saveexec_b32 s3, s1
	s_cbranch_execz .LBB147_47
.LBB147_77:
	s_delay_alu instid0(VALU_DEP_1)
	v_add_nc_u32_e32 v19, v21, v13
	s_wait_kmcnt 0x0
	global_store_b16 v19, v18, s[8:9] scale_offset
	s_wait_xcnt 0x0
	s_or_b32 exec_lo, exec_lo, s3
	s_and_saveexec_b32 s3, s2
	s_cbranch_execnz .LBB147_48
	s_branch .LBB147_49
.LBB147_78:
	s_delay_alu instid0(VALU_DEP_1)
	v_add_nc_u32_e32 v18, v17, v5
	s_wait_kmcnt 0x0
	global_store_b16 v18, v16, s[8:9] scale_offset
	s_wait_xcnt 0x0
	s_or_b32 exec_lo, exec_lo, s3
	s_and_saveexec_b32 s3, s0
	s_cbranch_execz .LBB147_52
.LBB147_79:
	s_delay_alu instid0(VALU_DEP_1)
	v_add_nc_u32_e32 v16, v17, v9
	s_wait_kmcnt 0x0
	global_store_b16 v16, v14, s[8:9] scale_offset
	s_wait_xcnt 0x0
	s_or_b32 exec_lo, exec_lo, s3
	s_and_saveexec_b32 s3, s1
	s_cbranch_execz .LBB147_53
.LBB147_80:
	s_delay_alu instid0(VALU_DEP_1)
	v_add_nc_u32_e32 v14, v17, v13
	s_wait_kmcnt 0x0
	global_store_b16 v14, v12, s[8:9] scale_offset
	s_wait_xcnt 0x0
	s_or_b32 exec_lo, exec_lo, s3
	s_and_saveexec_b32 s3, s2
	s_cbranch_execnz .LBB147_54
	s_branch .LBB147_55
.LBB147_81:
	s_delay_alu instid0(VALU_DEP_1)
	v_add_nc_u32_e32 v12, v11, v5
	s_wait_kmcnt 0x0
	global_store_b16 v12, v10, s[8:9] scale_offset
	s_wait_xcnt 0x0
	s_or_b32 exec_lo, exec_lo, s3
	s_and_saveexec_b32 s3, s0
	s_cbranch_execz .LBB147_58
.LBB147_82:
	s_delay_alu instid0(VALU_DEP_1)
	v_add_nc_u32_e32 v10, v11, v9
	s_wait_kmcnt 0x0
	global_store_b16 v10, v8, s[8:9] scale_offset
	s_wait_xcnt 0x0
	s_or_b32 exec_lo, exec_lo, s3
	s_and_saveexec_b32 s3, s1
	s_cbranch_execz .LBB147_59
.LBB147_83:
	s_delay_alu instid0(VALU_DEP_1)
	v_add_nc_u32_e32 v8, v11, v13
	s_wait_kmcnt 0x0
	global_store_b16 v8, v7, s[8:9] scale_offset
	s_wait_xcnt 0x0
	s_or_b32 exec_lo, exec_lo, s3
	s_and_saveexec_b32 s3, s2
	s_cbranch_execnz .LBB147_60
	s_branch .LBB147_61
.LBB147_84:
	s_delay_alu instid0(VALU_DEP_1)
	v_add_nc_u32_e32 v5, v4, v5
	s_wait_kmcnt 0x0
	global_store_d16_hi_b16 v5, v3, s[8:9] scale_offset
	s_wait_xcnt 0x0
	s_or_b32 exec_lo, exec_lo, s3
	s_and_saveexec_b32 s3, s0
	s_cbranch_execz .LBB147_64
.LBB147_85:
	s_delay_alu instid0(VALU_DEP_1)
	v_add_nc_u32_e32 v3, v4, v9
	s_wait_kmcnt 0x0
	global_store_d16_hi_b16 v3, v2, s[8:9] scale_offset
	s_wait_xcnt 0x0
	s_or_b32 exec_lo, exec_lo, s3
	s_and_saveexec_b32 s0, s1
	s_cbranch_execz .LBB147_65
.LBB147_86:
	s_delay_alu instid0(VALU_DEP_1) | instskip(SKIP_4) | instid1(SALU_CYCLE_1)
	v_add_nc_u32_e32 v2, v4, v13
	s_wait_kmcnt 0x0
	global_store_d16_hi_b16 v2, v1, s[8:9] scale_offset
	s_wait_xcnt 0x0
	s_or_b32 exec_lo, exec_lo, s0
	s_and_b32 exec_lo, exec_lo, s2
	s_cbranch_execz .LBB147_15
.LBB147_87:
	v_add_nc_u32_e32 v1, v4, v15
	s_wait_kmcnt 0x0
	global_store_b16 v1, v0, s[8:9] scale_offset
	s_sendmsg sendmsg(MSG_DEALLOC_VGPRS)
	s_endpgm
	.section	.rodata,"a",@progbits
	.p2align	6, 0x0
	.amdhsa_kernel _ZL12mul_mat_q2_KIN3c104HalfELb0EEvPKvS3_PT_iiiii
		.amdhsa_group_segment_fixed_size 31392
		.amdhsa_private_segment_fixed_size 0
		.amdhsa_kernarg_size 44
		.amdhsa_user_sgpr_count 2
		.amdhsa_user_sgpr_dispatch_ptr 0
		.amdhsa_user_sgpr_queue_ptr 0
		.amdhsa_user_sgpr_kernarg_segment_ptr 1
		.amdhsa_user_sgpr_dispatch_id 0
		.amdhsa_user_sgpr_kernarg_preload_length 0
		.amdhsa_user_sgpr_kernarg_preload_offset 0
		.amdhsa_user_sgpr_private_segment_size 0
		.amdhsa_wavefront_size32 1
		.amdhsa_uses_dynamic_stack 0
		.amdhsa_enable_private_segment 0
		.amdhsa_system_sgpr_workgroup_id_x 1
		.amdhsa_system_sgpr_workgroup_id_y 1
		.amdhsa_system_sgpr_workgroup_id_z 0
		.amdhsa_system_sgpr_workgroup_info 0
		.amdhsa_system_vgpr_workitem_id 1
		.amdhsa_next_free_vgpr 456
		.amdhsa_next_free_sgpr 22
		.amdhsa_named_barrier_count 0
		.amdhsa_reserve_vcc 1
		.amdhsa_float_round_mode_32 0
		.amdhsa_float_round_mode_16_64 0
		.amdhsa_float_denorm_mode_32 3
		.amdhsa_float_denorm_mode_16_64 3
		.amdhsa_fp16_overflow 0
		.amdhsa_memory_ordered 1
		.amdhsa_forward_progress 1
		.amdhsa_inst_pref_size 255
		.amdhsa_round_robin_scheduling 0
		.amdhsa_exception_fp_ieee_invalid_op 0
		.amdhsa_exception_fp_denorm_src 0
		.amdhsa_exception_fp_ieee_div_zero 0
		.amdhsa_exception_fp_ieee_overflow 0
		.amdhsa_exception_fp_ieee_underflow 0
		.amdhsa_exception_fp_ieee_inexact 0
		.amdhsa_exception_int_div_zero 0
	.end_amdhsa_kernel
	.section	.text._ZL12mul_mat_q2_KIN3c104HalfELb0EEvPKvS3_PT_iiiii,"axG",@progbits,_ZL12mul_mat_q2_KIN3c104HalfELb0EEvPKvS3_PT_iiiii,comdat
.Lfunc_end147:
	.size	_ZL12mul_mat_q2_KIN3c104HalfELb0EEvPKvS3_PT_iiiii, .Lfunc_end147-_ZL12mul_mat_q2_KIN3c104HalfELb0EEvPKvS3_PT_iiiii
                                        ; -- End function
	.set _ZL12mul_mat_q2_KIN3c104HalfELb0EEvPKvS3_PT_iiiii.num_vgpr, 456
	.set _ZL12mul_mat_q2_KIN3c104HalfELb0EEvPKvS3_PT_iiiii.num_agpr, 0
	.set _ZL12mul_mat_q2_KIN3c104HalfELb0EEvPKvS3_PT_iiiii.numbered_sgpr, 22
	.set _ZL12mul_mat_q2_KIN3c104HalfELb0EEvPKvS3_PT_iiiii.num_named_barrier, 0
	.set _ZL12mul_mat_q2_KIN3c104HalfELb0EEvPKvS3_PT_iiiii.private_seg_size, 0
	.set _ZL12mul_mat_q2_KIN3c104HalfELb0EEvPKvS3_PT_iiiii.uses_vcc, 1
	.set _ZL12mul_mat_q2_KIN3c104HalfELb0EEvPKvS3_PT_iiiii.uses_flat_scratch, 0
	.set _ZL12mul_mat_q2_KIN3c104HalfELb0EEvPKvS3_PT_iiiii.has_dyn_sized_stack, 0
	.set _ZL12mul_mat_q2_KIN3c104HalfELb0EEvPKvS3_PT_iiiii.has_recursion, 0
	.set _ZL12mul_mat_q2_KIN3c104HalfELb0EEvPKvS3_PT_iiiii.has_indirect_call, 0
	.section	.AMDGPU.csdata,"",@progbits
; Kernel info:
; codeLenInByte = 51472
; TotalNumSgprs: 24
; NumVgprs: 456
; ScratchSize: 0
; MemoryBound: 0
; FloatMode: 240
; IeeeMode: 1
; LDSByteSize: 31392 bytes/workgroup (compile time only)
; SGPRBlocks: 0
; VGPRBlocks: 28
; NumSGPRsForWavesPerEU: 24
; NumVGPRsForWavesPerEU: 456
; NamedBarCnt: 0
; Occupancy: 2
; WaveLimiterHint : 0
; COMPUTE_PGM_RSRC2:SCRATCH_EN: 0
; COMPUTE_PGM_RSRC2:USER_SGPR: 2
; COMPUTE_PGM_RSRC2:TRAP_HANDLER: 0
; COMPUTE_PGM_RSRC2:TGID_X_EN: 1
; COMPUTE_PGM_RSRC2:TGID_Y_EN: 1
; COMPUTE_PGM_RSRC2:TGID_Z_EN: 0
; COMPUTE_PGM_RSRC2:TIDIG_COMP_CNT: 1
	.section	.text._ZL12mul_mat_q2_KIN3c104HalfELb1EEvPKvS3_PT_iiiii,"axG",@progbits,_ZL12mul_mat_q2_KIN3c104HalfELb1EEvPKvS3_PT_iiiii,comdat
	.globl	_ZL12mul_mat_q2_KIN3c104HalfELb1EEvPKvS3_PT_iiiii ; -- Begin function _ZL12mul_mat_q2_KIN3c104HalfELb1EEvPKvS3_PT_iiiii
	.p2align	8
	.type	_ZL12mul_mat_q2_KIN3c104HalfELb1EEvPKvS3_PT_iiiii,@function
_ZL12mul_mat_q2_KIN3c104HalfELb1EEvPKvS3_PT_iiiii: ; @_ZL12mul_mat_q2_KIN3c104HalfELb1EEvPKvS3_PT_iiiii
; %bb.0:
	s_clause 0x1
	s_load_b128 s[4:7], s[0:1], 0x18
	s_load_b32 s12, s[0:1], 0x28
	s_bfe_u32 s2, ttmp6, 0x4000c
	s_bfe_u32 s8, ttmp6, 0x40010
	s_add_co_i32 s2, s2, 1
	s_and_b32 s3, ttmp6, 15
	s_mul_i32 s2, ttmp9, s2
	s_add_co_i32 s8, s8, 1
	s_add_co_i32 s3, s3, s2
	s_mul_i32 s2, ttmp7, s8
	s_bfe_u32 s8, ttmp6, 0x40004
	s_getreg_b32 s9, hwreg(HW_REG_IB_STS2, 6, 4)
	s_add_co_i32 s8, s8, s2
	s_cmp_eq_u32 s9, 0
	v_bfe_u32 v7, v0, 10, 10
	s_cselect_b32 s8, ttmp7, s8
	v_and_b32_e32 v13, 0x3ff, v0
	s_cselect_b32 s2, ttmp9, s3
	s_lshl_b32 s13, s8, 6
	s_mov_b32 s3, 0
	s_wait_kmcnt 0x0
	s_cmp_gt_i32 s4, 0xff
	s_cbranch_scc1 .LBB148_2
; %bb.1:
	v_bfe_u32 v4, v0, 10, 10
	v_and_b32_e32 v14, 0x3ff, v0
	s_delay_alu instid0(VALU_DEP_2)
	v_add_nc_u32_e32 v15, s13, v4
	s_branch .LBB148_3
.LBB148_2:
	s_mov_b32 s3, -1
                                        ; implicit-def: $vgpr4
                                        ; implicit-def: $vgpr14
                                        ; implicit-def: $vgpr15
.LBB148_3:
	s_load_b64 s[8:9], s[0:1], 0x10
	s_lshl_b32 s14, s2, 7
	s_and_not1_b32 vcc_lo, exec_lo, s3
	s_mov_b32 s11, 0
	s_cbranch_vccnz .LBB148_14
; %bb.4:
	v_bfe_u32 v2, v0, 1, 9
	s_ashr_i32 s15, s7, 31
	s_not_b32 s16, s14
	s_lshr_b32 s17, s15, 27
	s_add_co_i32 s15, s5, s16
	v_lshl_add_u32 v2, v7, 4, v2
	v_dual_lshlrev_b32 v1, 2, v13 :: v_dual_add_nc_u32 v12, 8, v7
	v_add_nc_u32_e32 v20, 24, v7
	v_bfe_u32 v3, v0, 3, 7
	s_delay_alu instid0(VALU_DEP_4) | instskip(NEXT) | instid1(VALU_DEP_4)
	v_and_b32_e32 v2, 0x7f, v2
	v_and_b32_e32 v4, 60, v1
	s_add_co_i32 s16, s6, -1
	v_bfe_u32 v56, v0, 2, 8
	v_lshl_add_u32 v40, v7, 2, v3
	v_dual_add_nc_u32 v22, 32, v7 :: v_dual_min_i32 v52, s15, v2
	v_dual_add_nc_u32 v18, 16, v7 :: v_dual_min_i32 v16, s15, v12
	s_delay_alu instid0(VALU_DEP_3) | instskip(NEXT) | instid1(VALU_DEP_3)
	v_add_min_i32_e64 v55, v40, 32, s15
	v_dual_ashrrev_i32 v2, 31, v52 :: v_dual_add_nc_u32 v24, 40, v7
	v_min_i32_e32 v42, s15, v20
	v_dual_add_nc_u32 v15, s13, v7 :: v_dual_min_i32 v44, s15, v22
	s_delay_alu instid0(VALU_DEP_3) | instskip(SKIP_2) | instid1(VALU_DEP_4)
	v_dual_lshrrev_b32 v2, 28, v2 :: v_dual_min_i32 v46, s15, v24
	v_min_i32_e32 v54, s15, v40
	v_add_min_i32_e64 v58, v40, 64, s15
	v_dual_add_nc_u32 v26, 16, v15 :: v_dual_add_nc_u32 v30, 24, v15
	s_delay_alu instid0(VALU_DEP_4) | instskip(SKIP_2) | instid1(VALU_DEP_4)
	v_add_nc_u32_e32 v2, v52, v2
	v_cvt_f64_u32_e32 v[8:9], v15
	v_add_nc_u32_e32 v37, 48, v15
	v_cvt_f64_u32_e32 v[26:27], v26
	s_delay_alu instid0(VALU_DEP_4) | instskip(SKIP_3) | instid1(VALU_DEP_4)
	v_dual_add_nc_u32 v6, 8, v15 :: v_dual_ashrrev_i32 v29, 4, v2
	v_cvt_f64_i32_e32 v[2:3], s16
	v_cvt_f64_u32_e32 v[30:31], v30
	v_and_b32_e32 v88, 7, v0
	v_cvt_f64_u32_e32 v[10:11], v6
	v_dual_add_nc_u32 v6, 32, v15 :: v_dual_add_nc_u32 v34, 40, v15
	v_ashrrev_i32_e32 v36, 31, v54
	v_add_min_i32_e64 v59, 0x60, v40, s15
	v_ashrrev_i32_e32 v43, 31, v55
	s_delay_alu instid0(VALU_DEP_4)
	v_cvt_f64_u32_e32 v[32:33], v6
	v_add_nc_u32_e32 v6, 56, v15
	v_cvt_f64_u32_e32 v[34:35], v34
	v_lshrrev_b32_e32 v41, 30, v36
	v_cvt_f64_u32_e32 v[36:37], v37
	v_dual_ashrrev_i32 v40, 31, v58 :: v_dual_ashrrev_i32 v51, 31, v59
	v_cvt_f64_u32_e32 v[38:39], v6
	s_delay_alu instid0(VALU_DEP_4) | instskip(SKIP_2) | instid1(VALU_DEP_3)
	v_dual_add_nc_u32 v41, v54, v41 :: v_dual_bitop2_b32 v6, 1, v0 bitop3:0x40
	v_lshl_add_u32 v53, v7, 3, v56
	v_dual_lshlrev_b32 v45, 2, v29 :: v_dual_lshlrev_b32 v49, 2, v88
	v_dual_lshrrev_b32 v43, 30, v43 :: v_dual_lshlrev_b32 v47, 2, v6
	s_delay_alu instid0(VALU_DEP_4) | instskip(SKIP_1) | instid1(VALU_DEP_3)
	v_and_b32_e32 v41, -4, v41
	v_dual_add_nc_u32 v48, 48, v7 :: v_dual_min_i32 v28, s15, v18
	v_add_nc_u32_e32 v43, v55, v43
	s_delay_alu instid0(VALU_DEP_4) | instskip(NEXT) | instid1(VALU_DEP_4)
	v_add3_u32 v45, v45, v47, 0x7280
	v_add3_u32 v47, v41, v49, 0x6200
	v_lshrrev_b32_e32 v57, 30, v40
	v_dual_min_num_f64 v[8:9], v[8:9], v[2:3] :: v_dual_min_i32 v50, s15, v48
	v_min_num_f64_e32 v[30:31], v[30:31], v[2:3]
	s_ashr_i32 s10, s4, 31
	v_min_num_f64_e32 v[10:11], v[10:11], v[2:3]
	s_lshr_b32 s10, s10, 24
	v_add_nc_u32_e32 v60, 56, v7
	s_add_co_i32 s4, s4, s10
	s_add_co_i32 s10, s7, s17
	v_dual_mov_b32 v5, 0 :: v_dual_min_i32 v14, s15, v7
	v_dual_min_num_f64 v[40:41], v[32:33], v[2:3] :: v_dual_add_nc_u32 v33, v58, v57
	v_min_num_f64_e32 v[26:27], v[26:27], v[2:3]
	v_lshrrev_b32_e32 v32, 30, v51
	v_min_num_f64_e32 v[34:35], v[34:35], v[2:3]
	v_min_num_f64_e32 v[36:37], v[36:37], v[2:3]
	v_dual_min_num_f64 v[2:3], v[38:39], v[2:3] :: v_dual_bitop2_b32 v51, 63, v53 bitop3:0x40
	v_and_b32_e32 v38, -4, v43
	v_and_b32_e32 v33, -4, v33
	v_and_b32_e32 v43, 3, v0
	s_ashr_i32 s10, s10, 5
	v_dual_add_nc_u32 v32, v59, v32 :: v_dual_bitop2_b32 v39, s13, v51 bitop3:0x54
	s_delay_alu instid0(VALU_DEP_3) | instskip(NEXT) | instid1(VALU_DEP_3)
	v_add3_u32 v53, v33, v49, 0x6200
	v_lshlrev_b32_e32 v57, 2, v43
	v_add3_u32 v38, v38, v49, 0x6200
	s_delay_alu instid0(VALU_DEP_4)
	v_min_i32_e32 v39, s16, v39
	v_and_b32_e32 v32, -4, v32
	v_add_min_i32_e64 v66, 0x58, v7, s15
	v_lshl_or_b32 v62, v51, 4, v57
	v_add_min_i32_e64 v67, 0x60, v7, s15
	v_mad_u32 v33, v39, s10, v43
	v_lshlrev_b32_e32 v39, 3, v52
	v_cvt_i32_f64_e32 v63, v[8:9]
	v_cvt_i32_f64_e32 v10, v[10:11]
	v_dual_lshlrev_b32 v43, 5, v54 :: v_dual_lshlrev_b32 v8, 5, v55
	v_and_b32_e32 v9, 31, v0
	v_add3_u32 v32, v32, v49, 0x6200
	v_lshlrev_b32_e32 v51, 7, v18
	v_add_min_i32_e64 v68, 0x68, v7, s15
	v_add_min_i32_e64 v70, 0x70, v7, s15
	v_lshl_or_b32 v9, v9, 2, 0x4200
	v_cvt_i32_f64_e32 v11, v[26:27]
	v_cvt_i32_f64_e32 v27, v[30:31]
	;; [unrolled: 1-line block ×6, first 2 shown]
	v_dual_lshlrev_b32 v26, 5, v58 :: v_dual_lshlrev_b32 v30, 5, v59
	v_dual_lshlrev_b32 v35, 7, v12 :: v_dual_lshlrev_b32 v40, 7, v7
	v_dual_lshlrev_b32 v2, 7, v20 :: v_dual_add_nc_u32 v37, v45, v39
	v_dual_lshlrev_b32 v3, 7, v22 :: v_dual_add_nc_u32 v39, v47, v43
	s_delay_alu instid0(VALU_DEP_4) | instskip(SKIP_4) | instid1(VALU_DEP_2)
	v_dual_lshlrev_b32 v61, 7, v24 :: v_dual_add_nc_u32 v43, v53, v26
	v_dual_add_nc_u32 v41, v38, v8 :: v_dual_add_nc_u32 v45, v32, v30
	v_dual_lshlrev_b32 v8, 7, v48 :: v_dual_add_nc_u32 v49, v9, v35
	v_dual_lshlrev_b32 v26, 7, v60 :: v_dual_add_nc_u32 v51, v9, v51
	v_dual_add_nc_u32 v47, v9, v40 :: v_dual_add_nc_u32 v53, v9, v2
	v_dual_add_nc_u32 v65, v9, v8 :: v_dual_add_nc_u32 v69, v9, v26
	v_min_i32_e32 v26, s15, v60
	v_add_min_i32_e64 v30, v7, 64, s15
	v_add_min_i32_e64 v35, 0x48, v7, s15
	;; [unrolled: 1-line block ×4, first 2 shown]
	s_wait_xcnt 0x0
	s_load_b128 s[0:3], s[0:1], 0x0
	v_mad_u32 v17, 0x84, v14, v1
	v_mad_u32 v19, 0x84, v16, v1
	;; [unrolled: 1-line block ×6, first 2 shown]
	v_dual_add_nc_u32 v57, v9, v3 :: v_dual_add_nc_u32 v61, v9, v61
	v_dual_mov_b32 v9, v5 :: v_dual_bitop2_b32 v8, 12, v1 bitop3:0x40
	v_mad_u32 v89, 0x84, v50, v1
	v_mad_u32 v129, 0x84, v30, v1
	;; [unrolled: 1-line block ×9, first 2 shown]
	v_dual_lshlrev_b32 v146, 5, v12 :: v_dual_bitop2_b32 v2, 28, v1 bitop3:0x40
	v_mov_b32_e32 v3, v5
	v_mad_u32 v128, 0x84, v26, v1
	v_dual_add_nc_u32 v1, 32, v13 :: v_dual_lshlrev_b32 v149, 5, v22
	v_mul_lo_u32 v139, s10, v10
	v_dual_lshlrev_b32 v147, 5, v18 :: v_dual_lshlrev_b32 v148, 5, v20
	s_delay_alu instid0(VALU_DEP_3) | instskip(SKIP_4) | instid1(VALU_DEP_4)
	v_dual_lshlrev_b32 v150, 5, v24 :: v_dual_lshrrev_b32 v12, 2, v1
	v_dual_lshlrev_b32 v151, 5, v48 :: v_dual_add_nc_u32 v10, 64, v13
	v_dual_lshlrev_b32 v152, 5, v60 :: v_dual_lshrrev_b32 v18, 4, v1
	v_dual_lshlrev_b32 v153, 5, v1 :: v_dual_lshlrev_b32 v154, 3, v1
	v_add_nc_u32_e32 v1, 0x60, v13
	v_dual_lshrrev_b32 v20, 2, v10 :: v_dual_lshrrev_b32 v22, 4, v10
	s_ashr_i32 s7, s4, 8
	v_mul_lo_u32 v141, s10, v27
	s_delay_alu instid0(VALU_DEP_3)
	v_dual_lshrrev_b32 v24, 2, v1 :: v_dual_lshrrev_b32 v27, 4, v1
	v_mul_lo_u32 v138, s10, v63
	v_mul_lo_u32 v140, s10, v11
	;; [unrolled: 1-line block ×6, first 2 shown]
	v_dual_lshlrev_b32 v159, 2, v56 :: v_dual_lshlrev_b32 v161, 2, v18
	v_dual_lshlrev_b32 v160, 2, v12 :: v_dual_lshlrev_b32 v163, 2, v22
	;; [unrolled: 1-line block ×4, first 2 shown]
	v_mul_lo_u32 v14, v14, s7
	v_mul_lo_u32 v16, v16, s7
	;; [unrolled: 1-line block ×21, first 2 shown]
	v_bfe_u32 v12, v0, 4, 6
	v_cmp_lt_u32_e32 vcc_lo, 3, v88
	s_mul_i32 s4, s7, s14
	v_add_nc_u32_e32 v137, 0x76a0, v62
	v_dual_lshlrev_b32 v155, 5, v10 :: v_dual_lshlrev_b32 v156, 3, v10
	s_wait_kmcnt 0x0
	v_add_nc_u64_e32 v[10:11], s[2:3], v[2:3]
	v_mov_b64_e32 v[78:79], 0
	v_mov_b64_e32 v[26:27], 0
	;; [unrolled: 1-line block ×16, first 2 shown]
	s_ashr_i32 s5, s4, 31
	v_dual_lshlrev_b32 v157, 5, v1 :: v_dual_lshlrev_b32 v158, 3, v1
	v_mul_u32_u24_e32 v167, 0x84, v13
	v_dual_lshlrev_b32 v168, 5, v13 :: v_dual_lshlrev_b32 v169, 3, v13
	v_lshlrev_b32_e32 v170, 2, v12
	v_cndmask_b32_e64 v88, 0, 1, vcc_lo
	s_mul_u64 s[4:5], s[4:5], 0x54
	s_mov_b32 s10, s11
	s_add_nc_u64 s[0:1], s[0:1], s[4:5]
	s_branch .LBB148_6
.LBB148_5:                              ;   in Loop: Header=BB148_6 Depth=1
	s_add_co_i32 s10, s10, 2
	s_delay_alu instid0(SALU_CYCLE_1)
	s_cmp_ge_i32 s10, s7
	s_cbranch_scc1 .LBB148_16
.LBB148_6:                              ; =>This Loop Header: Depth=1
                                        ;     Child Loop BB148_8 Depth 2
                                        ;       Child Loop BB148_10 Depth 3
                                        ;       Child Loop BB148_12 Depth 3
	s_mul_u64 s[4:5], s[10:11], 0x54
	s_delay_alu instid0(SALU_CYCLE_1) | instskip(SKIP_2) | instid1(VALU_DEP_1)
	s_add_nc_u64 s[4:5], s[0:1], s[4:5]
	s_wait_xcnt 0x0
	v_mad_nc_u64_u32 v[0:1], 0x54, v12, s[4:5]
	v_mad_nc_i64_i32 v[2:3], 0x54, v14, v[0:1]
	s_delay_alu instid0(VALU_DEP_1)
	v_add_nc_u64_e32 v[2:3], v[2:3], v[4:5]
	global_load_b32 v2, v[2:3], off offset:16
	s_wait_loadcnt 0x0
	ds_store_b32 v17, v2
	s_wait_xcnt 0x0
	v_mad_nc_i64_i32 v[2:3], 0x54, v16, v[0:1]
	s_delay_alu instid0(VALU_DEP_1)
	v_add_nc_u64_e32 v[2:3], v[2:3], v[4:5]
	global_load_b32 v2, v[2:3], off offset:16
	s_wait_loadcnt 0x0
	ds_store_b32 v19, v2
	s_wait_xcnt 0x0
	;; [unrolled: 7-line block ×14, first 2 shown]
	v_mad_nc_i64_i32 v[2:3], 0x54, v48, v[0:1]
	v_mad_nc_i64_i32 v[0:1], 0x54, v50, v[0:1]
	s_delay_alu instid0(VALU_DEP_2) | instskip(NEXT) | instid1(VALU_DEP_2)
	v_add_nc_u64_e32 v[2:3], v[2:3], v[4:5]
	v_add_nc_u64_e32 v[0:1], v[0:1], v[4:5]
	s_clause 0x1
	global_load_b32 v2, v[2:3], off offset:16
	global_load_b32 v0, v[0:1], off offset:16
	s_wait_loadcnt 0x1
	ds_store_b32 v135, v2
	s_wait_loadcnt 0x0
	ds_store_b32 v136, v0
	s_wait_xcnt 0x0
	v_mad_nc_i64_i32 v[0:1], 0x54, v52, s[4:5]
	s_delay_alu instid0(VALU_DEP_1)
	v_mad_nc_u64_u32 v[0:1], 0x54, v6, v[0:1]
	global_load_b32 v0, v[0:1], off offset:80
	s_wait_loadcnt 0x0
	ds_store_b32 v37, v0
	s_wait_xcnt 0x0
	v_mad_nc_u64_u32 v[0:1], 0x54, v88, s[4:5]
	s_lshl_b32 s4, s10, 3
	s_mov_b32 s5, 0
	v_add_nc_u32_e32 v171, s4, v33
	s_delay_alu instid0(VALU_DEP_2) | instskip(NEXT) | instid1(VALU_DEP_1)
	v_add_nc_u64_e32 v[0:1], v[0:1], v[8:9]
	v_mad_nc_i64_i32 v[2:3], 0x54, v56, v[0:1]
	global_load_b32 v2, v[2:3], off
	s_wait_loadcnt 0x0
	ds_store_b32 v39, v2
	s_wait_xcnt 0x0
	v_mad_nc_i64_i32 v[2:3], 0x54, v60, v[0:1]
	global_load_b32 v2, v[2:3], off
	s_wait_loadcnt 0x0
	ds_store_b32 v41, v2
	s_wait_xcnt 0x0
	v_mad_nc_i64_i32 v[2:3], 0x54, v64, v[0:1]
	v_mad_nc_i64_i32 v[0:1], 0x54, v68, v[0:1]
	s_clause 0x1
	global_load_b32 v2, v[2:3], off
	global_load_b32 v0, v[0:1], off
	s_wait_loadcnt 0x1
	ds_store_b32 v43, v2
	s_wait_loadcnt 0x0
	ds_store_b32 v45, v0
	s_branch .LBB148_8
.LBB148_7:                              ;   in Loop: Header=BB148_8 Depth=2
                                        ; implicit-def: $sgpr5
	s_and_b32 vcc_lo, exec_lo, s15
	s_cbranch_vccnz .LBB148_5
.LBB148_8:                              ;   Parent Loop BB148_6 Depth=1
                                        ; =>  This Loop Header: Depth=2
                                        ;       Child Loop BB148_10 Depth 3
                                        ;       Child Loop BB148_12 Depth 3
	s_lshr_b32 s15, s5, 1
	s_delay_alu instid0(SALU_CYCLE_1) | instskip(NEXT) | instid1(SALU_CYCLE_1)
	s_or_b32 s15, s15, s10
	s_cmp_lt_i32 s15, s7
	s_mov_b32 s15, -1
	s_cbranch_scc0 .LBB148_7
; %bb.9:                                ;   in Loop: Header=BB148_8 Depth=2
	s_wait_xcnt 0x0
	v_lshl_add_u32 v0, s5, 5, v13
	s_or_b32 s16, s5, 1
	s_lshl_b32 s17, s5, 3
	s_lshl_b32 s15, s16, 3
	s_delay_alu instid0(VALU_DEP_1) | instskip(NEXT) | instid1(VALU_DEP_1)
	v_lshrrev_b32_e32 v0, 3, v0
	v_add_nc_u32_e32 v2, s4, v0
	s_delay_alu instid0(VALU_DEP_1) | instskip(NEXT) | instid1(VALU_DEP_1)
	v_add_nc_u32_e32 v0, v2, v138
	v_mad_nc_i64_i32 v[0:1], v0, 36, v[10:11]
	global_load_b32 v0, v[0:1], off offset:4
	s_wait_loadcnt 0x0
	ds_store_b32 v47, v0
	s_wait_xcnt 0x0
	v_add_nc_u32_e32 v0, v2, v139
	s_delay_alu instid0(VALU_DEP_1)
	v_mad_nc_i64_i32 v[0:1], v0, 36, v[10:11]
	global_load_b32 v0, v[0:1], off offset:4
	s_wait_loadcnt 0x0
	ds_store_b32 v49, v0
	s_wait_xcnt 0x0
	v_add_nc_u32_e32 v0, v2, v140
	s_delay_alu instid0(VALU_DEP_1)
	;; [unrolled: 7-line block ×7, first 2 shown]
	v_mad_nc_i64_i32 v[0:1], v0, 36, v[10:11]
	global_load_b32 v0, v[0:1], off offset:4
	s_wait_loadcnt 0x0
	ds_store_b32 v69, v0
	s_wait_xcnt 0x0
	v_lshl_add_u32 v0, s5, 2, v171
	s_delay_alu instid0(VALU_DEP_1)
	v_mad_nc_u64_u32 v[0:1], v0, 36, s[2:3]
	global_load_b32 v0, v[0:1], off
	s_wait_loadcnt 0x0
	s_wait_xcnt 0x0
	v_cvt_f32_f16_e32 v0, v0
	ds_store_b32 v137, v0
	s_wait_dscnt 0x0
	s_barrier_signal -1
	s_barrier_wait -1
.LBB148_10:                             ;   Parent Loop BB148_6 Depth=1
                                        ;     Parent Loop BB148_8 Depth=2
                                        ; =>    This Inner Loop Header: Depth=3
	s_lshl_b32 s18, s17, 2
	s_and_b32 s19, s17, 6
	s_and_b32 s18, s18, 24
	;; [unrolled: 1-line block ×3, first 2 shown]
	v_or_b32_e32 v0, s18, v166
	v_lshl_add_u32 v172, s20, 2, v167
	s_and_b32 s21, s17, 0x7ffffffe
	s_delay_alu instid0(SALU_CYCLE_1) | instskip(NEXT) | instid1(VALU_DEP_2)
	s_add_co_i32 s20, s21, 0x6200
	v_dual_lshlrev_b32 v1, 2, v0 :: v_dual_lshrrev_b32 v0, 1, v0
	s_lshr_b32 s21, s17, 2
	s_set_vgpr_msb 64                       ;  msbs: dst=1 src0=0 src1=0 src2=0
	v_add3_u32 v51 /*v307*/, s20, v159, v168
	s_and_b32 s21, s21, 0x3ffffffc
	s_set_vgpr_msb 0                        ;  msbs: dst=0 src0=0 src1=0 src2=0
	ds_load_b32 v91, v0 offset:30368
	ds_load_b128 v[92:95], v1 offset:16896
	ds_load_b128 v[0:3], v1 offset:16912
	s_addk_co_i32 s21, 0x7280
	s_set_vgpr_msb 64                       ;  msbs: dst=1 src0=0 src1=0 src2=0
	v_add3_u32 v65 /*v321*/, s20, v162, v155
	v_add3_u32 v77 /*v333*/, s20, v164, v157
	s_add_co_i32 s17, s17, 2
	s_delay_alu instid0(SALU_CYCLE_1)
	s_cmp_lt_u32 s17, s15
	s_wait_dscnt 0x1
	s_set_vgpr_msb 0                        ;  msbs: dst=0 src0=0 src1=0 src2=0
	v_bfe_i32 v113, v95, 0, 8
	v_bfe_i32 v114, v95, 8, 8
	;; [unrolled: 1-line block ×3, first 2 shown]
	s_wait_dscnt 0x0
	v_dual_ashrrev_i32 v97, 24, v95 :: v_dual_ashrrev_i32 v120, 24, v0
	v_bfe_i32 v95, v0, 0, 8
	v_bfe_i32 v193, v1, 0, 8
	v_bfe_i32 v117, v0, 8, 8
	v_bfe_i32 v118, v0, 16, 8
	v_bfe_i32 v194, v1, 8, 8
	v_bfe_i32 v197, v2, 0, 8
	v_bfe_i32 v201, v3, 0, 8
	v_add_nc_u32_e32 v0, v193, v95
	v_bfe_i32 v90, v92, 0, 8
	v_bfe_i32 v96, v92, 8, 8
	v_bfe_i32 v98, v92, 16, 8
	v_ashrrev_i32_e32 v92, 24, v92
	v_bfe_i32 v99, v93, 0, 8
	v_bfe_i32 v101, v93, 8, 8
	;; [unrolled: 1-line block ×3, first 2 shown]
	v_dual_ashrrev_i32 v93, 24, v93 :: v_dual_ashrrev_i32 v112, 24, v94
	v_bfe_i32 v198, v2, 8, 8
	v_bfe_i32 v202, v3, 8, 8
	v_add3_u32 v108, v0, v197, v201
	v_add_nc_u32_e32 v0, v194, v117
	v_bfe_i32 v107, v94, 16, 8
	v_bfe_i32 v106, v94, 8, 8
	v_bfe_i32 v105, v94, 0, 8
	v_bfe_i32 v195, v1, 16, 8
	v_add3_u32 v103, v0, v198, v202
	v_dual_add_nc_u32 v0, v93, v92 :: v_dual_ashrrev_i32 v196, 24, v1
	v_add3_u32 v94, s21, v170, v169
	s_set_vgpr_msb 64                       ;  msbs: dst=1 src0=0 src1=0 src2=0
	v_bfe_i32 v50 /*v306*/, v2, 16, 8
	s_set_vgpr_msb 0                        ;  msbs: dst=0 src0=0 src1=0 src2=0
	v_ashrrev_i32_e32 v2, 24, v2
	v_add3_u32 v110, v0, v112, v97
	v_add_nc_u32_e32 v0, v104, v98
	ds_load_b32 v94, v94
	s_set_vgpr_msb 64                       ;  msbs: dst=1 src0=0 src1=0 src2=0
	v_dual_add_nc_u32 v49 /*v305*/, v196, v120 :: v_dual_add_nc_u32 v60 /*v316*/, v195, v118
	v_bfe_i32 v59 /*v315*/, v3, 16, 8
	s_set_vgpr_msb 0                        ;  msbs: dst=0 src0=0 src1=0 src2=0
	v_add3_u32 v111, v0, v107, v115
	v_add_nc_u32_e32 v0, v101, v96
	s_delay_alu instid0(VALU_DEP_1) | instskip(SKIP_1) | instid1(VALU_DEP_1)
	v_add3_u32 v122, v0, v106, v114
	v_add_nc_u32_e32 v0, v99, v90
	v_add3_u32 v124, v0, v105, v113
	ds_load_2addr_b32 v[0:1], v172 offset1:1
	s_wait_dscnt 0x0
	v_dual_ashrrev_i32 v100, s19, v0 :: v_dual_ashrrev_i32 v102, s19, v1
	ds_load_2addr_b32 v[0:1], v172 offset0:2 offset1:3
	v_and_b32_e32 v222, 3, v102
	v_bfe_u32 v225, v102, 8, 2
	v_bfe_u32 v226, v102, 16, 2
	;; [unrolled: 1-line block ×3, first 2 shown]
	s_delay_alu instid0(VALU_DEP_4) | instskip(NEXT) | instid1(VALU_DEP_3)
	v_mul_i32_i24_e32 v175, v222, v99
	v_mul_i32_i24_e32 v176, v226, v104
	s_delay_alu instid0(VALU_DEP_3) | instskip(NEXT) | instid1(VALU_DEP_3)
	v_mul_i32_i24_e32 v102, v228, v93
	v_mad_i32_i24 v175, v225, v101, v175
	s_delay_alu instid0(VALU_DEP_1)
	v_add3_u32 v102, v175, v176, v102
	s_wait_dscnt 0x0
	v_dual_ashrrev_i32 v109, s19, v0 :: v_dual_ashrrev_i32 v116, s19, v1
	ds_load_2addr_b32 v[0:1], v172 offset0:4 offset1:5
	v_and_b32_e32 v121, 3, v100
	v_bfe_u32 v119, v100, 8, 2
	v_and_b32_e32 v230, 3, v109
	v_bfe_u32 v224, v100, 16, 2
	v_bfe_u32 v127, v100, 24, 2
	v_mul_i32_i24_e32 v173, v90, v121
	v_mul_i32_i24_e32 v126, v96, v119
	;; [unrolled: 1-line block ×4, first 2 shown]
	v_bfe_u32 v232, v109, 8, 2
	v_mul_i32_i24_e32 v100, v92, v127
	v_bfe_u32 v234, v109, 16, 2
	v_add3_u32 v102, v102, v177, v173
	v_bfe_u32 v236, v109, 24, 2
	v_mul_i32_i24_e32 v178, v232, v106
	v_and_b32_e32 v239, 3, v116
	v_mul_i32_i24_e32 v179, v234, v107
	v_add3_u32 v102, v102, v126, v174
	v_mul_i32_i24_e32 v109, v236, v112
	s_wait_dscnt 0x0
	v_dual_ashrrev_i32 v123, s19, v0 :: v_dual_ashrrev_i32 v125, s19, v1
	ds_load_2addr_b32 v[0:1], v172 offset0:6 offset1:7
	v_bfe_u32 v241, v116, 8, 2
	v_add3_u32 v100, v102, v100, v178
	v_mul_i32_i24_e32 v180, v239, v113
	s_set_vgpr_msb 64                       ;  msbs: dst=1 src0=0 src1=0 src2=0
	v_and_b32_e32 v6 /*v262*/, 3, v125
	v_bfe_u32 v9 /*v265*/, v125, 8, 2
	s_set_vgpr_msb 0                        ;  msbs: dst=0 src0=0 src1=0 src2=0
	v_mul_i32_i24_e32 v181, v241, v114
	v_add3_u32 v100, v100, v179, v109
	s_set_vgpr_msb 64                       ;  msbs: dst=1 src0=0 src1=0 src2=0
	v_bfe_u32 v11 /*v267*/, v125, 16, 2
	v_bfe_u32 v13 /*v269*/, v125, 24, 2
	s_set_vgpr_msb 0                        ;  msbs: dst=0 src0=0 src1=0 src2=0
	v_bfe_u32 v244, v116, 16, 2
	v_bfe_u32 v116, v116, 24, 2
	s_set_vgpr_msb 64                       ;  msbs: dst=1 src0=0 src1=0 src2=0
	v_add3_u32 v62 /*v318*/, v100, v180, v181
	s_set_vgpr_msb 1                        ;  msbs: dst=0 src0=1 src1=0 src2=0
	v_mul_i32_i24_e32 v125, v13 /*v269*/, v196
	s_set_vgpr_msb 64                       ;  msbs: dst=1 src0=0 src1=0 src2=0
	v_mul_i32_i24_e32 v61 /*v317*/, v244, v115
	s_wait_dscnt 0x0
	s_set_vgpr_msb 0                        ;  msbs: dst=0 src0=0 src1=0 src2=0
	v_dual_ashrrev_i32 v0, s19, v0 :: v_dual_bitop2_b32 v255, 3, v123 bitop3:0x40
	v_bfe_u32 v251, v123, 8, 2
	s_set_vgpr_msb 64                       ;  msbs: dst=1 src0=0 src1=0 src2=0
	v_bfe_u32 v2 /*v258*/, v123, 16, 2
	v_bfe_u32 v4 /*v260*/, v123, 24, 2
	s_set_vgpr_msb 0                        ;  msbs: dst=0 src0=0 src1=0 src2=0
	v_ashrrev_i32_e32 v1, s19, v1
	v_mul_i32_i24_e32 v100, v255, v95
	s_set_vgpr_msb 1                        ;  msbs: dst=0 src0=1 src1=0 src2=0
	v_mul_i32_i24_e32 v123, v11 /*v267*/, v195
	v_mul_i32_i24_e32 v102, v2 /*v258*/, v118
	;; [unrolled: 1-line block ×3, first 2 shown]
	s_set_vgpr_msb 64                       ;  msbs: dst=1 src0=0 src1=0 src2=0
	v_and_b32_e32 v15 /*v271*/, 3, v0
	s_set_vgpr_msb 0                        ;  msbs: dst=0 src0=0 src1=0 src2=0
	v_mad_i32_i24 v100, v251, v117, v100
	s_set_vgpr_msb 64                       ;  msbs: dst=1 src0=0 src1=0 src2=0
	v_bfe_u32 v16 /*v272*/, v0, 8, 2
	v_and_b32_e32 v21 /*v277*/, 3, v1
	v_bfe_u32 v22 /*v278*/, v1, 8, 2
	v_bfe_u32 v24 /*v280*/, v1, 16, 2
	s_set_vgpr_msb 0                        ;  msbs: dst=0 src0=0 src1=0 src2=0
	v_add3_u32 v100, v100, v102, v109
	s_set_vgpr_msb 1                        ;  msbs: dst=0 src0=1 src1=0 src2=0
	v_mul_i32_i24_e32 v102, v6 /*v262*/, v193
	v_mul_i32_i24_e32 v109, v9 /*v265*/, v194
	s_set_vgpr_msb 0                        ;  msbs: dst=0 src0=0 src1=0 src2=0
	v_bfe_u32 v246, v1, 24, 2
	s_set_vgpr_msb 1                        ;  msbs: dst=0 src0=1 src1=0 src2=0
	v_mul_i32_i24_e32 v126, v15 /*v271*/, v197
	v_mul_i32_i24_e32 v173, v16 /*v272*/, v198
	s_set_vgpr_msb 64                       ;  msbs: dst=1 src0=0 src1=0 src2=0
	v_bfe_u32 v17 /*v273*/, v0, 16, 2
	s_set_vgpr_msb 0                        ;  msbs: dst=0 src0=0 src1=0 src2=0
	v_add3_u32 v1, v100, v102, v109
	s_set_vgpr_msb 64                       ;  msbs: dst=1 src0=0 src1=0 src2=0
	v_bfe_u32 v19 /*v275*/, v0, 24, 2
	s_set_vgpr_msb 1                        ;  msbs: dst=0 src0=1 src1=0 src2=0
	v_mul_i32_i24_e32 v175, v21 /*v277*/, v201
	v_mul_i32_i24_e32 v176, v22 /*v278*/, v202
	s_set_vgpr_msb 5                        ;  msbs: dst=0 src0=1 src1=1 src2=0
	v_mul_i32_i24_e32 v174, v17 /*v273*/, v50 /*v306*/
	s_set_vgpr_msb 0                        ;  msbs: dst=0 src0=0 src1=0 src2=0
	v_add3_u32 v1, v1, v123, v125
	s_set_vgpr_msb 1                        ;  msbs: dst=0 src0=1 src1=0 src2=0
	v_mul_i32_i24_e32 v0, v19 /*v275*/, v2
	v_add3_u32 v100, s21, v161, v154
	s_set_vgpr_msb 0x45                     ;  msbs: dst=1 src0=1 src1=1 src2=0
	v_mul_i32_i24_e32 v63 /*v319*/, v24 /*v280*/, v59 /*v315*/
	s_set_vgpr_msb 0                        ;  msbs: dst=0 src0=0 src1=0 src2=0
	v_add3_u32 v102, s20, v160, v153
	v_add3_u32 v1, v1, v126, v173
	ds_load_b32 v100, v100
	v_add3_u32 v0, v1, v174, v0
	s_set_vgpr_msb 64                       ;  msbs: dst=1 src0=0 src1=0 src2=0
	s_delay_alu instid0(VALU_DEP_1)
	v_add3_u32 v64 /*v320*/, v0, v175, v176
	s_set_vgpr_msb 0                        ;  msbs: dst=0 src0=0 src1=0 src2=0
	v_add_nc_u32_e32 v0, 0x1080, v172
	ds_load_2addr_b32 v[0:1], v0 offset1:1
	s_wait_dscnt 0x0
	v_ashrrev_i32_e32 v109, s19, v0
	v_add_nc_u32_e32 v0, 0x1088, v172
	v_ashrrev_i32_e32 v126, s19, v1
	s_delay_alu instid0(VALU_DEP_3)
	v_and_b32_e32 v125, 3, v109
	ds_load_2addr_b32 v[0:1], v0 offset1:1
	v_bfe_u32 v207, v126, 8, 2
	v_bfe_u32 v208, v126, 16, 2
	;; [unrolled: 1-line block ×6, first 2 shown]
	v_mul_i32_i24_e32 v182, v208, v104
	v_mul_i32_i24_e32 v178, v90, v125
	;; [unrolled: 1-line block ×5, first 2 shown]
	v_and_b32_e32 v205, 3, v126
	v_mul_i32_i24_e32 v126, v210, v93
	s_delay_alu instid0(VALU_DEP_2) | instskip(SKIP_4) | instid1(VALU_DEP_3)
	v_mul_i32_i24_e32 v181, v205, v99
	s_wait_dscnt 0x0
	v_ashrrev_i32_e32 v173, s19, v0
	v_add_nc_u32_e32 v0, 0x1090, v172
	v_ashrrev_i32_e32 v174, s19, v1
	v_and_b32_e32 v211, 3, v173
	ds_load_2addr_b32 v[0:1], v0 offset1:1
	v_bfe_u32 v212, v173, 8, 2
	v_bfe_u32 v213, v173, 16, 2
	;; [unrolled: 1-line block ×3, first 2 shown]
	v_mul_i32_i24_e32 v183, v211, v105
	s_delay_alu instid0(VALU_DEP_4) | instskip(NEXT) | instid1(VALU_DEP_4)
	v_mul_i32_i24_e32 v184, v212, v106
	v_mul_i32_i24_e32 v185, v213, v107
	s_delay_alu instid0(VALU_DEP_4)
	v_mul_i32_i24_e32 v173, v214, v112
	s_wait_dscnt 0x0
	v_ashrrev_i32_e32 v175, s19, v0
	v_add_nc_u32_e32 v0, 0x1098, v172
	v_dual_ashrrev_i32 v176, s19, v1 :: v_dual_bitop2_b32 v215, 3, v174 bitop3:0x40
	v_bfe_u32 v216, v174, 8, 2
	v_bfe_u32 v217, v174, 16, 2
	ds_load_2addr_b32 v[0:1], v0 offset1:1
	v_bfe_u32 v109, v174, 24, 2
	v_mad_i32_i24 v174, v207, v101, v181
	v_mul_i32_i24_e32 v186, v215, v113
	v_mul_i32_i24_e32 v187, v216, v114
	v_and_b32_e32 v220, 3, v175
	v_bfe_u32 v219, v175, 8, 2
	v_add3_u32 v126, v174, v182, v126
	v_bfe_u32 v221, v175, 16, 2
	v_bfe_u32 v223, v175, 24, 2
	s_set_vgpr_msb 64                       ;  msbs: dst=1 src0=0 src1=0 src2=0
	v_mul_i32_i24_e32 v39 /*v295*/, v217, v115
	s_set_vgpr_msb 0                        ;  msbs: dst=0 src0=0 src1=0 src2=0
	v_add3_u32 v126, v126, v183, v178
	v_mul_i32_i24_e32 v174, v223, v120
	s_delay_alu instid0(VALU_DEP_2) | instskip(SKIP_2) | instid1(VALU_DEP_2)
	v_add3_u32 v126, v126, v177, v180
	s_wait_dscnt 0x0
	v_dual_ashrrev_i32 v1, s19, v1 :: v_dual_ashrrev_i32 v0, s19, v0
	v_add3_u32 v126, v126, v179, v184
	v_and_b32_e32 v227, 3, v176
	v_bfe_u32 v229, v176, 8, 2
	v_bfe_u32 v231, v176, 16, 2
	;; [unrolled: 1-line block ×3, first 2 shown]
	v_add3_u32 v126, v126, v185, v173
	v_mul_i32_i24_e32 v173, v221, v118
	v_and_b32_e32 v235, 3, v0
	v_mul_i32_i24_e32 v175, v231, v195
	v_mul_i32_i24_e32 v176, v233, v196
	s_set_vgpr_msb 64                       ;  msbs: dst=1 src0=0 src1=0 src2=0
	v_add3_u32 v41 /*v297*/, v126, v186, v187
	s_set_vgpr_msb 0                        ;  msbs: dst=0 src0=0 src1=0 src2=0
	v_mul_i32_i24_e32 v126, v220, v95
	v_bfe_u32 v237, v0, 8, 2
	v_and_b32_e32 v245, 3, v1
	v_bfe_u32 v247, v1, 8, 2
	v_bfe_u32 v249, v1, 16, 2
	v_mad_i32_i24 v126, v219, v117, v126
	v_bfe_u32 v218, v1, 24, 2
	v_mul_i32_i24_e32 v177, v235, v197
	v_mul_i32_i24_e32 v178, v237, v198
	v_bfe_u32 v240, v0, 16, 2
	v_add3_u32 v126, v126, v173, v174
	v_mul_i32_i24_e32 v173, v227, v193
	v_mul_i32_i24_e32 v174, v229, v194
	v_bfe_u32 v242, v0, 24, 2
	s_set_vgpr_msb 4                        ;  msbs: dst=0 src0=0 src1=1 src2=0
	v_mul_i32_i24_e32 v179, v240, v50 /*v306*/
	s_set_vgpr_msb 0                        ;  msbs: dst=0 src0=0 src1=0 src2=0
	v_mul_i32_i24_e32 v180, v245, v201
	v_mul_i32_i24_e32 v181, v247, v202
	v_add3_u32 v1, v126, v173, v174
	v_mul_i32_i24_e32 v0, v242, v2
	v_add3_u32 v126, s21, v163, v156
	s_set_vgpr_msb 0x44                     ;  msbs: dst=1 src0=0 src1=1 src2=0
	v_mul_i32_i24_e32 v45 /*v301*/, v249, v59 /*v315*/
	s_set_vgpr_msb 0                        ;  msbs: dst=0 src0=0 src1=0 src2=0
	v_add3_u32 v1, v1, v175, v176
	ds_load_b32 v126, v126
	v_add3_u32 v1, v1, v177, v178
	s_delay_alu instid0(VALU_DEP_1) | instskip(SKIP_1) | instid1(VALU_DEP_1)
	v_add3_u32 v0, v1, v179, v0
	s_set_vgpr_msb 64                       ;  msbs: dst=1 src0=0 src1=0 src2=0
	v_add3_u32 v46 /*v302*/, v0, v180, v181
	s_set_vgpr_msb 0                        ;  msbs: dst=0 src0=0 src1=0 src2=0
	v_add_nc_u32_e32 v0, 0x2100, v172
	ds_load_2addr_b32 v[0:1], v0 offset1:1
	s_wait_dscnt 0x0
	v_ashrrev_i32_e32 v173, s19, v0
	v_add_nc_u32_e32 v0, 0x2108, v172
	v_ashrrev_i32_e32 v174, s19, v1
	s_delay_alu instid0(VALU_DEP_3)
	v_and_b32_e32 v243, 3, v173
	ds_load_2addr_b32 v[0:1], v0 offset1:1
	v_bfe_u32 v253, v174, 8, 2
	v_bfe_u32 v254, v174, 16, 2
	s_set_vgpr_msb 64                       ;  msbs: dst=1 src0=0 src1=0 src2=0
	v_bfe_u32 v0 /*v256*/, v174, 24, 2
	s_set_vgpr_msb 0                        ;  msbs: dst=0 src0=0 src1=0 src2=0
	v_bfe_u32 v238, v173, 8, 2
	v_mul_i32_i24_e32 v180, v90, v243
	v_bfe_u32 v252, v173, 16, 2
	v_mul_i32_i24_e32 v183, v254, v104
	;; [unrolled: 2-line block ×3, first 2 shown]
	v_and_b32_e32 v250, 3, v174
	s_set_vgpr_msb 1                        ;  msbs: dst=0 src0=1 src1=0 src2=0
	v_mul_i32_i24_e32 v174, v0 /*v256*/, v93
	s_set_vgpr_msb 0                        ;  msbs: dst=0 src0=0 src1=0 src2=0
	v_mul_i32_i24_e32 v181, v98, v252
	v_mul_i32_i24_e32 v173, v92, v248
	;; [unrolled: 1-line block ×3, first 2 shown]
	s_wait_dscnt 0x0
	v_ashrrev_i32_e32 v175, s19, v0
	v_add_nc_u32_e32 v0, 0x2110, v172
	v_ashrrev_i32_e32 v176, s19, v1
	s_set_vgpr_msb 64                       ;  msbs: dst=1 src0=0 src1=0 src2=0
	s_delay_alu instid0(VALU_DEP_3)
	v_and_b32_e32 v1 /*v257*/, 3, v175
	s_set_vgpr_msb 0                        ;  msbs: dst=0 src0=0 src1=0 src2=0
	ds_load_2addr_b32 v[0:1], v0 offset1:1
	s_set_vgpr_msb 64                       ;  msbs: dst=1 src0=0 src1=0 src2=0
	v_and_b32_e32 v10 /*v266*/, 3, v176
	v_bfe_u32 v12 /*v268*/, v176, 8, 2
	v_bfe_u32 v14 /*v270*/, v176, 16, 2
	s_set_vgpr_msb 0                        ;  msbs: dst=0 src0=0 src1=0 src2=0
	v_bfe_u32 v209, v176, 24, 2
	s_set_vgpr_msb 1                        ;  msbs: dst=0 src0=1 src1=0 src2=0
	v_mul_i32_i24_e32 v184, v1 /*v257*/, v105
	s_set_vgpr_msb 64                       ;  msbs: dst=1 src0=0 src1=0 src2=0
	v_bfe_u32 v3 /*v259*/, v175, 8, 2
	v_bfe_u32 v5 /*v261*/, v175, 16, 2
	;; [unrolled: 1-line block ×3, first 2 shown]
	s_set_vgpr_msb 1                        ;  msbs: dst=0 src0=1 src1=0 src2=0
	v_mul_i32_i24_e32 v187, v10 /*v266*/, v113
	v_mul_i32_i24_e32 v188, v12 /*v268*/, v114
	;; [unrolled: 1-line block ×5, first 2 shown]
	s_set_vgpr_msb 0x41                     ;  msbs: dst=1 src0=1 src1=0 src2=0
	v_mul_i32_i24_e32 v37 /*v293*/, v14 /*v270*/, v115
	s_set_vgpr_msb 0                        ;  msbs: dst=0 src0=0 src1=0 src2=0
	v_mad_i32_i24 v176, v253, v101, v182
	s_wait_dscnt 0x0
	v_ashrrev_i32_e32 v177, s19, v0
	v_add_nc_u32_e32 v0, 0x2118, v172
	v_ashrrev_i32_e32 v178, s19, v1
	v_add3_u32 v174, v176, v183, v174
	s_set_vgpr_msb 64                       ;  msbs: dst=1 src0=0 src1=0 src2=0
	v_and_b32_e32 v20 /*v276*/, 3, v177
	s_set_vgpr_msb 0                        ;  msbs: dst=0 src0=0 src1=0 src2=0
	ds_load_2addr_b32 v[0:1], v0 offset1:1
	s_set_vgpr_msb 64                       ;  msbs: dst=1 src0=0 src1=0 src2=0
	v_bfe_u32 v18 /*v274*/, v177, 8, 2
	v_bfe_u32 v23 /*v279*/, v177, 16, 2
	;; [unrolled: 1-line block ×3, first 2 shown]
	v_and_b32_e32 v26 /*v282*/, 3, v178
	v_bfe_u32 v27 /*v283*/, v178, 8, 2
	v_bfe_u32 v28 /*v284*/, v178, 16, 2
	;; [unrolled: 1-line block ×3, first 2 shown]
	s_set_vgpr_msb 0                        ;  msbs: dst=0 src0=0 src1=0 src2=0
	v_add3_u32 v174, v174, v184, v180
	s_set_vgpr_msb 1                        ;  msbs: dst=0 src0=1 src1=0 src2=0
	v_mul_i32_i24_e32 v176, v28 /*v284*/, v195
	v_mul_i32_i24_e32 v177, v29 /*v285*/, v196
	s_set_vgpr_msb 0                        ;  msbs: dst=0 src0=0 src1=0 src2=0
	v_add3_u32 v174, v174, v179, v181
	s_delay_alu instid0(VALU_DEP_1)
	v_add3_u32 v173, v174, v173, v185
	s_set_vgpr_msb 1                        ;  msbs: dst=0 src0=1 src1=0 src2=0
	v_mul_i32_i24_e32 v174, v23 /*v279*/, v118
	s_wait_dscnt 0x0
	v_dual_ashrrev_i32 v1, s19, v1 :: v_dual_ashrrev_i32 v0, s19, v0
	s_set_vgpr_msb 0                        ;  msbs: dst=0 src0=0 src1=0 src2=0
	v_add3_u32 v173, v173, v186, v175
	s_set_vgpr_msb 1                        ;  msbs: dst=0 src0=1 src1=0 src2=0
	v_mul_i32_i24_e32 v175, v25 /*v281*/, v120
	s_set_vgpr_msb 64                       ;  msbs: dst=1 src0=0 src1=0 src2=0
	v_and_b32_e32 v34 /*v290*/, 3, v1
	v_and_b32_e32 v30 /*v286*/, 3, v0
	v_bfe_u32 v31 /*v287*/, v0, 8, 2
	v_bfe_u32 v35 /*v291*/, v1, 8, 2
	;; [unrolled: 1-line block ×4, first 2 shown]
	s_set_vgpr_msb 1                        ;  msbs: dst=0 src0=1 src1=0 src2=0
	v_mul_i32_i24_e32 v178, v30 /*v286*/, v197
	v_mul_i32_i24_e32 v179, v31 /*v287*/, v198
	s_set_vgpr_msb 64                       ;  msbs: dst=1 src0=0 src1=0 src2=0
	v_bfe_u32 v32 /*v288*/, v0, 16, 2
	v_bfe_u32 v33 /*v289*/, v0, 24, 2
	s_set_vgpr_msb 1                        ;  msbs: dst=0 src0=1 src1=0 src2=0
	v_mul_i32_i24_e32 v181, v34 /*v290*/, v201
	v_mul_i32_i24_e32 v182, v35 /*v291*/, v202
	s_set_vgpr_msb 0x45                     ;  msbs: dst=1 src0=1 src1=1 src2=0
	v_mul_i32_i24_e32 v43 /*v299*/, v36 /*v292*/, v59 /*v315*/
	s_set_vgpr_msb 5                        ;  msbs: dst=0 src0=1 src1=1 src2=0
	v_mul_i32_i24_e32 v180, v32 /*v288*/, v50 /*v306*/
	s_set_vgpr_msb 1                        ;  msbs: dst=0 src0=1 src1=0 src2=0
	v_mul_i32_i24_e32 v0, v33 /*v289*/, v2
	s_set_vgpr_msb 64                       ;  msbs: dst=1 src0=0 src1=0 src2=0
	v_add3_u32 v38 /*v294*/, v173, v187, v188
	s_set_vgpr_msb 1                        ;  msbs: dst=0 src0=1 src1=0 src2=0
	v_mul_i32_i24_e32 v173, v20 /*v276*/, v95
	s_delay_alu instid0(VALU_DEP_1) | instskip(SKIP_1) | instid1(VALU_DEP_1)
	v_mad_i32_i24 v173, v18 /*v274*/, v117, v173
	s_set_vgpr_msb 0                        ;  msbs: dst=0 src0=0 src1=0 src2=0
	v_add3_u32 v173, v173, v174, v175
	s_set_vgpr_msb 1                        ;  msbs: dst=0 src0=1 src1=0 src2=0
	v_mul_i32_i24_e32 v174, v26 /*v282*/, v193
	v_mul_i32_i24_e32 v175, v27 /*v283*/, v194
	s_set_vgpr_msb 0                        ;  msbs: dst=0 src0=0 src1=0 src2=0
	s_delay_alu instid0(VALU_DEP_1) | instskip(NEXT) | instid1(VALU_DEP_1)
	v_add3_u32 v1, v173, v174, v175
	v_add3_u32 v1, v1, v176, v177
	s_delay_alu instid0(VALU_DEP_1) | instskip(NEXT) | instid1(VALU_DEP_1)
	v_add3_u32 v1, v1, v178, v179
	v_add3_u32 v0, v1, v180, v0
	s_set_vgpr_msb 64                       ;  msbs: dst=1 src0=0 src1=0 src2=0
	s_delay_alu instid0(VALU_DEP_1)
	v_add3_u32 v44 /*v300*/, v0, v181, v182
	s_set_vgpr_msb 0                        ;  msbs: dst=0 src0=0 src1=0 src2=0
	v_add_nc_u32_e32 v0, 0x3180, v172
	ds_load_2addr_b32 v[0:1], v0 offset1:1
	s_wait_dscnt 0x0
	v_ashrrev_i32_e32 v175, s19, v0
	v_add_nc_u32_e32 v0, 0x3188, v172
	v_ashrrev_i32_e32 v179, s19, v1
	s_delay_alu instid0(VALU_DEP_3) | instskip(SKIP_4) | instid1(VALU_DEP_3)
	v_bfe_u32 v174, v175, 24, 2
	ds_load_2addr_b32 v[0:1], v0 offset1:1
	v_bfe_u32 v176, v175, 16, 2
	v_and_b32_e32 v173, 3, v175
	v_mul_i32_i24_e32 v92, v92, v174
	v_mul_i32_i24_e32 v98, v98, v176
	s_delay_alu instid0(VALU_DEP_3)
	v_mul_i32_i24_e32 v90, v90, v173
	s_wait_dscnt 0x0
	v_ashrrev_i32_e32 v183, s19, v0
	v_add_nc_u32_e32 v0, 0x3190, v172
	v_ashrrev_i32_e32 v187, s19, v1
	v_bfe_u32 v177, v179, 8, 2
	v_bfe_u32 v178, v179, 16, 2
	v_and_b32_e32 v180, 3, v183
	ds_load_2addr_b32 v[0:1], v0 offset1:1
	v_bfe_u32 v181, v183, 8, 2
	v_bfe_u32 v182, v183, 16, 2
	v_mul_i32_i24_e32 v104, v178, v104
	v_mul_i32_i24_e32 v105, v180, v105
	v_bfe_u32 v183, v183, 24, 2
	v_mul_i32_i24_e32 v106, v181, v106
	v_mul_i32_i24_e32 v107, v182, v107
	s_delay_alu instid0(VALU_DEP_3)
	v_mul_i32_i24_e32 v112, v183, v112
	s_wait_dscnt 0x0
	v_ashrrev_i32_e32 v191, s19, v0
	v_add_nc_u32_e32 v0, 0x3198, v172
	v_ashrrev_i32_e32 v199, s19, v1
	v_add3_u32 v172, s21, v165, v158
	v_and_b32_e32 v184, 3, v187
	v_bfe_u32 v185, v187, 8, 2
	ds_load_2addr_b32 v[0:1], v0 offset1:1
	v_and_b32_e32 v189, 3, v191
	s_set_vgpr_msb 64                       ;  msbs: dst=1 src0=0 src1=0 src2=0
	ds_load_b32 v78 /*v334*/, v172
	s_set_vgpr_msb 0                        ;  msbs: dst=0 src0=0 src1=0 src2=0
	v_bfe_u32 v172, v175, 8, 2
	v_and_b32_e32 v175, 3, v179
	v_bfe_u32 v179, v179, 24, 2
	v_mul_i32_i24_e32 v113, v184, v113
	v_mul_i32_i24_e32 v114, v185, v114
	;; [unrolled: 1-line block ×5, first 2 shown]
	v_bfe_u32 v186, v187, 16, 2
	v_bfe_u32 v188, v187, 24, 2
	;; [unrolled: 1-line block ×5, first 2 shown]
	s_set_vgpr_msb 64                       ;  msbs: dst=1 src0=0 src1=0 src2=0
	v_mul_i32_i24_e32 v40 /*v296*/, v186, v115
	s_set_vgpr_msb 0                        ;  msbs: dst=0 src0=0 src1=0 src2=0
	v_mad_i32_i24 v99, v177, v101, v99
	s_wait_dscnt 0x1
	v_dual_ashrrev_i32 v1, s19, v1 :: v_dual_ashrrev_i32 v0, s19, v0
	v_and_b32_e32 v192, 3, v199
	s_delay_alu instid0(VALU_DEP_3) | instskip(NEXT) | instid1(VALU_DEP_3)
	v_add3_u32 v93, v99, v104, v93
	v_and_b32_e32 v200, 3, v1
	v_bfe_u32 v203, v1, 24, 2
	s_delay_alu instid0(VALU_DEP_3) | instskip(SKIP_1) | instid1(VALU_DEP_4)
	v_add3_u32 v90, v93, v105, v90
	v_mul_i32_i24_e32 v93, v191, v120
	v_mul_i32_i24_e32 v104, v200, v201
	v_bfe_u32 v201, v1, 8, 2
	s_delay_alu instid0(VALU_DEP_4) | instskip(NEXT) | instid1(VALU_DEP_2)
	v_add3_u32 v90, v90, v96, v98
	v_mul_i32_i24_e32 v105, v201, v202
	v_bfe_u32 v202, v1, 16, 2
	s_delay_alu instid0(VALU_DEP_3) | instskip(SKIP_2) | instid1(VALU_DEP_3)
	v_add3_u32 v90, v90, v92, v106
	v_mul_i32_i24_e32 v92, v190, v118
	s_set_vgpr_msb 0x44                     ;  msbs: dst=1 src0=0 src1=1 src2=0
	v_mul_i32_i24_e32 v47 /*v303*/, v202, v59 /*v315*/
	s_set_vgpr_msb 0                        ;  msbs: dst=0 src0=0 src1=0 src2=0
	v_add3_u32 v90, v90, v107, v112
	s_set_vgpr_msb 64                       ;  msbs: dst=1 src0=0 src1=0 src2=0
	s_delay_alu instid0(VALU_DEP_1) | instskip(SKIP_2) | instid1(VALU_DEP_1)
	v_add3_u32 v42 /*v298*/, v90, v113, v114
	s_set_vgpr_msb 0                        ;  msbs: dst=0 src0=0 src1=0 src2=0
	v_mul_i32_i24_e32 v90, v189, v95
	v_mad_i32_i24 v90, v187, v117, v90
	s_delay_alu instid0(VALU_DEP_1) | instskip(SKIP_2) | instid1(VALU_DEP_1)
	v_add3_u32 v90, v90, v92, v93
	v_mul_i32_i24_e32 v92, v192, v193
	v_bfe_u32 v193, v199, 8, 2
	v_mul_i32_i24_e32 v93, v193, v194
	v_bfe_u32 v194, v199, 16, 2
	s_delay_alu instid0(VALU_DEP_2) | instskip(NEXT) | instid1(VALU_DEP_2)
	v_add3_u32 v1, v90, v92, v93
	v_mul_i32_i24_e32 v95, v194, v195
	v_bfe_u32 v195, v199, 24, 2
	v_bfe_u32 v199, v0, 24, 2
	s_delay_alu instid0(VALU_DEP_2) | instskip(SKIP_1) | instid1(VALU_DEP_2)
	v_mul_i32_i24_e32 v96, v195, v196
	v_and_b32_e32 v196, 3, v0
	v_add3_u32 v1, v1, v95, v96
	s_delay_alu instid0(VALU_DEP_2) | instskip(SKIP_1) | instid1(VALU_DEP_1)
	v_mul_i32_i24_e32 v98, v196, v197
	v_bfe_u32 v197, v0, 8, 2
	v_mul_i32_i24_e32 v99, v197, v198
	v_bfe_u32 v198, v0, 16, 2
	v_mul_i32_i24_e32 v0, v199, v2
	s_delay_alu instid0(VALU_DEP_3) | instskip(SKIP_1) | instid1(VALU_DEP_3)
	v_add3_u32 v1, v1, v98, v99
	s_set_vgpr_msb 4                        ;  msbs: dst=0 src0=0 src1=1 src2=0
	v_mul_i32_i24_e32 v101, v198, v50 /*v306*/
	s_set_vgpr_msb 0x55                     ;  msbs: dst=1 src0=1 src1=1 src2=1
	v_add3_u32 v50 /*v306*/, v60 /*v316*/, v50 /*v306*/, v59 /*v315*/
	s_set_vgpr_msb 0                        ;  msbs: dst=0 src0=0 src1=0 src2=0
	s_delay_alu instid0(VALU_DEP_2) | instskip(SKIP_1) | instid1(VALU_DEP_1)
	v_add3_u32 v0, v1, v101, v0
	s_set_vgpr_msb 64                       ;  msbs: dst=1 src0=0 src1=0 src2=0
	v_add3_u32 v48 /*v304*/, v0, v104, v105
	s_set_vgpr_msb 0                        ;  msbs: dst=0 src0=0 src1=0 src2=0
	v_or_b32_e32 v0, s18, v146
	s_delay_alu instid0(VALU_DEP_1)
	v_dual_lshlrev_b32 v1, 2, v0 :: v_dual_lshrrev_b32 v0, 1, v0
	ds_load_b32 v90, v0 offset:30368
	ds_load_b128 v[104:107], v1 offset:16896
	ds_load_b128 v[112:115], v1 offset:16912
	s_wait_dscnt 0x1
	v_bfe_i32 v120, v107, 0, 8
	s_set_vgpr_msb 64                       ;  msbs: dst=1 src0=0 src1=0 src2=0
	v_bfe_i32 v66 /*v322*/, v107, 8, 8
	v_bfe_i32 v67 /*v323*/, v107, 16, 8
	v_ashrrev_i32_e32 v79 /*v335*/, 24, v107
	s_wait_dscnt 0x0
	v_bfe_i32 v68 /*v324*/, v112, 0, 8
	v_bfe_i32 v72 /*v328*/, v113, 0, 8
	;; [unrolled: 1-line block ×6, first 2 shown]
	s_set_vgpr_msb 5                        ;  msbs: dst=0 src0=1 src1=1 src2=0
	v_add_nc_u32_e32 v107, v72 /*v328*/, v68 /*v324*/
	s_set_vgpr_msb 0                        ;  msbs: dst=0 src0=0 src1=0 src2=0
	v_dual_ashrrev_i32 v93, 24, v104 :: v_dual_ashrrev_i32 v99, 24, v105
	s_set_vgpr_msb 0x54                     ;  msbs: dst=1 src0=0 src1=1 src2=1
	v_bfe_i32 v81 /*v337*/, v114, 8, 8
	v_bfe_i32 v90 /*v346*/, v115, 8, 8
	v_add3_u32 v83 /*v339*/, v107, v76 /*v332*/, v89 /*v345*/
	s_set_vgpr_msb 5                        ;  msbs: dst=0 src0=1 src1=1 src2=0
	v_add_nc_u32_e32 v107, v73 /*v329*/, v69 /*v325*/
	s_set_vgpr_msb 0                        ;  msbs: dst=0 src0=0 src1=0 src2=0
	v_bfe_i32 v92, v104, 16, 8
	v_bfe_i32 v98, v105, 16, 8
	;; [unrolled: 1-line block ×5, first 2 shown]
	v_ashrrev_i32_e32 v106, 24, v106
	s_set_vgpr_msb 0x54                     ;  msbs: dst=1 src0=0 src1=1 src2=1
	v_add3_u32 v80 /*v336*/, v107, v81 /*v337*/, v90 /*v346*/
	s_set_vgpr_msb 0                        ;  msbs: dst=0 src0=0 src1=0 src2=0
	v_add_nc_u32_e32 v107, v99, v93
	v_bfe_i32 v1, v104, 8, 8
	v_bfe_i32 v96, v105, 8, 8
	;; [unrolled: 1-line block ×4, first 2 shown]
	s_set_vgpr_msb 0x50                     ;  msbs: dst=1 src0=0 src1=0 src2=1
	v_add3_u32 v84 /*v340*/, v107, v106, v79 /*v335*/
	s_set_vgpr_msb 0                        ;  msbs: dst=0 src0=0 src1=0 src2=0
	v_add_nc_u32_e32 v107, v98, v92
	s_set_vgpr_msb 0x50                     ;  msbs: dst=1 src0=0 src1=0 src2=1
	v_bfe_i32 v70 /*v326*/, v112, 16, 8
	v_ashrrev_i32_e32 v71 /*v327*/, 24, v112
	v_bfe_i32 v74 /*v330*/, v113, 16, 8
	v_ashrrev_i32_e32 v75 /*v331*/, 24, v113
	v_add3_u32 v85 /*v341*/, v107, v118, v67 /*v323*/
	s_set_vgpr_msb 0                        ;  msbs: dst=0 src0=0 src1=0 src2=0
	v_add_nc_u32_e32 v107, v96, v1
	v_mul_i32_i24_e32 v112, v224, v92
	v_mul_i32_i24_e32 v113, v127, v93
	s_set_vgpr_msb 0x50                     ;  msbs: dst=1 src0=0 src1=0 src2=1
	v_mul_i32_i24_e32 v52 /*v308*/, v226, v98
	v_mul_i32_i24_e32 v53 /*v309*/, v228, v99
	v_add3_u32 v86 /*v342*/, v107, v117, v66 /*v322*/
	s_set_vgpr_msb 0                        ;  msbs: dst=0 src0=0 src1=0 src2=0
	v_add_nc_u32_e32 v107, v95, v0
	s_set_vgpr_msb 64                       ;  msbs: dst=1 src0=0 src1=0 src2=0
	v_mul_i32_i24_e32 v54 /*v310*/, v230, v101
	v_mul_i32_i24_e32 v55 /*v311*/, v232, v117
	;; [unrolled: 1-line block ×4, first 2 shown]
	v_add3_u32 v87 /*v343*/, v107, v101, v120
	s_set_vgpr_msb 0                        ;  msbs: dst=0 src0=0 src1=0 src2=0
	v_mul_i32_i24_e32 v107, v121, v0
	s_set_vgpr_msb 64                       ;  msbs: dst=1 src0=0 src1=0 src2=0
	v_bfe_i32 v82 /*v338*/, v114, 16, 8
	s_set_vgpr_msb 0                        ;  msbs: dst=0 src0=0 src1=0 src2=0
	v_ashrrev_i32_e32 v114, 24, v114
	s_set_vgpr_msb 64                       ;  msbs: dst=1 src0=0 src1=0 src2=0
	v_mul_i32_i24_e32 v58 /*v314*/, v239, v120
	s_set_vgpr_msb 0x44                     ;  msbs: dst=1 src0=0 src1=1 src2=0
	v_mul_i32_i24_e32 v88 /*v344*/, v241, v66 /*v322*/
	s_set_vgpr_msb 0                        ;  msbs: dst=0 src0=0 src1=0 src2=0
	v_mad_i32_i24 v107, v119, v1, v107
	s_set_vgpr_msb 0x45                     ;  msbs: dst=1 src0=1 src1=1 src2=0
	v_mul_i32_i24_e32 v93 /*v349*/, v22 /*v278*/, v90 /*v346*/
	s_set_vgpr_msb 0x44                     ;  msbs: dst=1 src0=0 src1=1 src2=0
	v_mul_i32_i24_e32 v92 /*v348*/, v244, v67 /*v323*/
	v_bfe_i32 v91 /*v347*/, v115, 16, 8
	s_set_vgpr_msb 5                        ;  msbs: dst=0 src0=1 src1=1 src2=0
	v_dual_add_nc_u32 v104, v75 /*v331*/, v71 /*v327*/ :: v_dual_add_nc_u32 v105, v74 /*v330*/, v70 /*v326*/
	s_set_vgpr_msb 0                        ;  msbs: dst=0 src0=0 src1=0 src2=0
	v_add3_u32 v107, v107, v112, v113
	v_mul_i32_i24_e32 v112, v222, v95
	v_mul_i32_i24_e32 v113, v225, v96
	s_set_vgpr_msb 0x45                     ;  msbs: dst=1 src0=1 src1=1 src2=0
	v_mul_i32_i24_e32 v94 /*v350*/, v24 /*v280*/, v91 /*v347*/
	s_set_vgpr_msb 0x44                     ;  msbs: dst=1 src0=0 src1=1 src2=0
	v_mul_i32_i24_e32 v97 /*v353*/, v216, v66 /*v322*/
	v_mul_i32_i24_e32 v98 /*v354*/, v247, v90 /*v346*/
	s_set_vgpr_msb 0x45                     ;  msbs: dst=1 src0=1 src1=1 src2=0
	v_mul_i32_i24_e32 v101 /*v357*/, v12 /*v268*/, v66 /*v322*/
	s_set_vgpr_msb 0                        ;  msbs: dst=0 src0=0 src1=0 src2=0
	v_add3_u32 v107, v107, v112, v113
	s_set_vgpr_msb 4                        ;  msbs: dst=0 src0=0 src1=1 src2=0
	v_mul_i32_i24_e32 v112, v255, v68 /*v324*/
	s_set_vgpr_msb 5                        ;  msbs: dst=0 src0=1 src1=1 src2=0
	v_mul_i32_i24_e32 v113, v2 /*v258*/, v70 /*v326*/
	s_set_vgpr_msb 0x44                     ;  msbs: dst=1 src0=0 src1=1 src2=0
	v_mul_i32_i24_e32 v99 /*v355*/, v249, v91 /*v347*/
	s_set_vgpr_msb 0x45                     ;  msbs: dst=1 src0=1 src1=1 src2=0
	v_mul_i32_i24_e32 v103 /*v359*/, v36 /*v292*/, v91 /*v347*/
	s_set_vgpr_msb 20                       ;  msbs: dst=0 src0=0 src1=1 src2=1
	v_add3_u32 v107, v107, v52 /*v308*/, v53 /*v309*/
	s_set_vgpr_msb 0x45                     ;  msbs: dst=1 src0=1 src1=1 src2=0
	v_mul_i32_i24_e32 v52 /*v308*/, v4 /*v260*/, v71 /*v327*/
	s_set_vgpr_msb 4                        ;  msbs: dst=0 src0=0 src1=1 src2=0
	v_mad_i32_i24 v112, v251, v69 /*v325*/, v112
	s_set_vgpr_msb 0x45                     ;  msbs: dst=1 src0=1 src1=1 src2=0
	v_mul_i32_i24_e32 v53 /*v309*/, v11 /*v267*/, v74 /*v330*/
	s_set_vgpr_msb 0x44                     ;  msbs: dst=1 src0=0 src1=1 src2=0
	v_mul_i32_i24_e32 v105 /*v361*/, v202, v91 /*v347*/
	s_set_vgpr_msb 20                       ;  msbs: dst=0 src0=0 src1=1 src2=1
	v_add3_u32 v107, v107, v54 /*v310*/, v55 /*v311*/
	s_set_vgpr_msb 0x45                     ;  msbs: dst=1 src0=1 src1=1 src2=0
	v_mul_i32_i24_e32 v54 /*v310*/, v13 /*v269*/, v75 /*v331*/
	s_set_vgpr_msb 16                       ;  msbs: dst=0 src0=0 src1=0 src2=1
	v_add3_u32 v112, v112, v113, v52 /*v308*/
	s_set_vgpr_msb 5                        ;  msbs: dst=0 src0=1 src1=1 src2=0
	v_mul_i32_i24_e32 v113, v6 /*v262*/, v72 /*v328*/
	s_set_vgpr_msb 0x45                     ;  msbs: dst=1 src0=1 src1=1 src2=0
	v_mul_i32_i24_e32 v52 /*v308*/, v9 /*v265*/, v73 /*v329*/
	s_set_vgpr_msb 20                       ;  msbs: dst=0 src0=0 src1=1 src2=1
	v_add3_u32 v107, v107, v56 /*v312*/, v57 /*v313*/
	s_set_vgpr_msb 0x45                     ;  msbs: dst=1 src0=1 src1=1 src2=0
	v_mul_i32_i24_e32 v55 /*v311*/, v15 /*v271*/, v76 /*v332*/
	v_mul_i32_i24_e32 v56 /*v312*/, v16 /*v272*/, v81 /*v337*/
	;; [unrolled: 1-line block ×3, first 2 shown]
	s_set_vgpr_msb 16                       ;  msbs: dst=0 src0=0 src1=0 src2=1
	v_add3_u32 v112, v112, v113, v52 /*v308*/
	s_set_vgpr_msb 1                        ;  msbs: dst=0 src0=1 src1=0 src2=0
	ds_load_u16 v113, v51 /*v307*/
	s_set_vgpr_msb 20                       ;  msbs: dst=0 src0=0 src1=1 src2=1
	v_add3_u32 v107, v107, v58 /*v314*/, v88 /*v344*/
	s_set_vgpr_msb 0x41                     ;  msbs: dst=1 src0=1 src1=0 src2=0
	v_mul_i32_i24_e32 v58 /*v314*/, v19 /*v275*/, v114
	s_set_vgpr_msb 0x45                     ;  msbs: dst=1 src0=1 src1=1 src2=0
	v_mul_i32_i24_e32 v88 /*v344*/, v21 /*v277*/, v89 /*v345*/
	s_set_vgpr_msb 20                       ;  msbs: dst=0 src0=0 src1=1 src2=1
	v_add3_u32 v112, v112, v53 /*v309*/, v54 /*v310*/
	s_delay_alu instid0(VALU_DEP_1) | instskip(NEXT) | instid1(VALU_DEP_1)
	v_add3_u32 v112, v112, v55 /*v311*/, v56 /*v312*/
	v_add3_u32 v112, v112, v57 /*v313*/, v58 /*v314*/
	s_delay_alu instid0(VALU_DEP_1)
	v_add3_u32 v112, v112, v88 /*v344*/, v93 /*v349*/
	s_wait_dscnt 0x0
	s_set_vgpr_msb 64                       ;  msbs: dst=1 src0=0 src1=0 src2=0
	v_bfe_u32 v53 /*v309*/, v113, 4, 4
	v_lshrrev_b16 v51 /*v307*/, 8, v113
	s_set_vgpr_msb 0                        ;  msbs: dst=0 src0=0 src1=0 src2=0
	v_and_b32_e32 v113, 15, v113
	s_set_vgpr_msb 64                       ;  msbs: dst=1 src0=0 src1=0 src2=0
	v_ashrrev_i32_e32 v88 /*v344*/, 24, v115
	s_set_vgpr_msb 0x44                     ;  msbs: dst=1 src0=0 src1=1 src2=0
	v_mul_lo_u32 v93 /*v349*/, 0x1010101, v53 /*v309*/
	s_set_vgpr_msb 64                       ;  msbs: dst=1 src0=0 src1=0 src2=0
	v_ashrrev_i32_e32 v53 /*v309*/, 24, v3
	s_set_vgpr_msb 0x44                     ;  msbs: dst=1 src0=0 src1=1 src2=0
	v_and_b32_e32 v52 /*v308*/, 0xffff, v51 /*v307*/
	v_and_b32_e32 v51 /*v307*/, 15, v51 /*v307*/
	s_set_vgpr_msb 4                        ;  msbs: dst=0 src0=0 src1=1 src2=0
	v_mul_i32_i24_e32 v3, v116, v79 /*v335*/
	s_set_vgpr_msb 0x51                     ;  msbs: dst=1 src0=1 src1=0 src2=1
	v_and_b32_e32 v57 /*v313*/, 0xffff, v113
	v_add3_u32 v49 /*v305*/, v49 /*v305*/, v2, v53 /*v309*/
	s_set_vgpr_msb 4                        ;  msbs: dst=0 src0=0 src1=1 src2=0
	v_mul_i32_i24_e32 v2, v246, v53 /*v309*/
	s_set_vgpr_msb 0x44                     ;  msbs: dst=1 src0=0 src1=1 src2=0
	v_and_b32_e32 v54 /*v310*/, 0xffff, v51 /*v307*/
	v_lshrrev_b32_e32 v52 /*v308*/, 4, v52 /*v308*/
	s_set_vgpr_msb 4                        ;  msbs: dst=0 src0=0 src1=1 src2=0
	v_add3_u32 v3, v107, v92 /*v348*/, v3
	s_set_vgpr_msb 0x44                     ;  msbs: dst=1 src0=0 src1=1 src2=0
	v_lshrrev_b32_e32 v56 /*v312*/, 24, v93 /*v349*/
	s_set_vgpr_msb 5                        ;  msbs: dst=0 src0=1 src1=1 src2=0
	v_add3_u32 v2, v64 /*v320*/, v63 /*v319*/, v2
	s_set_vgpr_msb 0x50                     ;  msbs: dst=1 src0=0 src1=0 src2=1
	v_add3_u32 v51 /*v307*/, v104, v114, v88 /*v344*/
	s_set_vgpr_msb 0x54                     ;  msbs: dst=1 src0=0 src1=1 src2=1
	v_mul_lo_u32 v107 /*v363*/, 0x1010101, v52 /*v308*/
	v_add3_u32 v52 /*v308*/, v105, v82 /*v338*/, v91 /*v347*/
	s_set_vgpr_msb 0                        ;  msbs: dst=0 src0=0 src1=0 src2=0
	v_mul_i32_i24_e32 v105, v116, v97
	s_set_vgpr_msb 4                        ;  msbs: dst=0 src0=0 src1=1 src2=0
	v_mul_lo_u32 v2, v2, v54 /*v310*/
	v_mul_lo_u32 v3, v3, v57 /*v313*/
	v_mul_i32_i24_e32 v104, v246, v88 /*v344*/
	s_set_vgpr_msb 0                        ;  msbs: dst=0 src0=0 src1=0 src2=0
	v_mul_i32_i24_e32 v107, v204, v93
	s_set_vgpr_msb 5                        ;  msbs: dst=0 src0=1 src1=1 src2=0
	v_add3_u32 v105, v62 /*v318*/, v61 /*v317*/, v105
	s_set_vgpr_msb 0                        ;  msbs: dst=0 src0=0 src1=0 src2=0
	v_mul_i32_i24_e32 v113, v208, v98
	s_set_vgpr_msb 64                       ;  msbs: dst=1 src0=0 src1=0 src2=0
	v_mul_i32_i24_e32 v61 /*v317*/, v210, v99
	s_set_vgpr_msb 4                        ;  msbs: dst=0 src0=0 src1=1 src2=0
	v_add3_u32 v104, v112, v94 /*v350*/, v104
	s_set_vgpr_msb 0                        ;  msbs: dst=0 src0=0 src1=0 src2=0
	v_mul_i32_i24_e32 v112, v207, v96
	s_set_vgpr_msb 64                       ;  msbs: dst=1 src0=0 src1=0 src2=0
	v_mul_i32_i24_e32 v62 /*v318*/, v211, v101
	v_mul_i32_i24_e32 v63 /*v319*/, v212, v117
	s_set_vgpr_msb 4                        ;  msbs: dst=0 src0=0 src1=1 src2=0
	v_mad_u32 v2, v105, v57 /*v313*/, v2
	v_mad_u32 v3, v104, v54 /*v310*/, v3
	s_set_vgpr_msb 64                       ;  msbs: dst=1 src0=0 src1=0 src2=0
	v_mul_i32_i24_e32 v64 /*v320*/, v213, v118
	v_mul_i32_i24_e32 v92 /*v348*/, v214, v106
	;; [unrolled: 1-line block ×3, first 2 shown]
	s_set_vgpr_msb 0x44                     ;  msbs: dst=1 src0=0 src1=1 src2=0
	v_lshrrev_b16 v95 /*v351*/, 8, v93 /*v349*/
	s_set_vgpr_msb 0x41                     ;  msbs: dst=1 src0=1 src1=0 src2=0
	v_bfe_i32 v58 /*v314*/, v107 /*v363*/, 0, 8
	v_bfe_i32 v55 /*v311*/, v107 /*v363*/, 8, 8
	s_set_vgpr_msb 0                        ;  msbs: dst=0 src0=0 src1=0 src2=0
	v_cvt_f32_i32_e32 v105, v2
	v_mul_i32_i24_e32 v2, v125, v0
	v_cvt_f32_i32_e32 v104, v3
	v_mul_i32_i24_e32 v3, v206, v92
	s_set_vgpr_msb 0x44                     ;  msbs: dst=1 src0=0 src1=1 src2=0
	v_mul_i32_i24_e32 v96 /*v352*/, v108, v58 /*v314*/
	s_set_vgpr_msb 5                        ;  msbs: dst=0 src0=1 src1=1 src2=0
	v_mul_i32_i24_e32 v115, v83 /*v339*/, v58 /*v314*/
	s_set_vgpr_msb 0                        ;  msbs: dst=0 src0=0 src1=0 src2=0
	v_mad_i32_i24 v2, v123, v1, v2
	s_set_vgpr_msb 0x45                     ;  msbs: dst=1 src0=1 src1=1 src2=0
	v_mul_i32_i24_e32 v59 /*v315*/, v80 /*v336*/, v55 /*v311*/
	s_set_vgpr_msb 0x44                     ;  msbs: dst=1 src0=0 src1=1 src2=0
	v_mul_i32_i24_e32 v60 /*v316*/, v103, v55 /*v311*/
	s_set_vgpr_msb 0                        ;  msbs: dst=0 src0=0 src1=0 src2=0
	v_add3_u32 v2, v2, v3, v107
	v_mul_i32_i24_e32 v3, v205, v95
	s_set_vgpr_msb 4                        ;  msbs: dst=0 src0=0 src1=1 src2=0
	v_mul_i32_i24_e32 v107, v217, v67 /*v323*/
	s_set_vgpr_msb 0                        ;  msbs: dst=0 src0=0 src1=0 src2=0
	s_delay_alu instid0(VALU_DEP_2) | instskip(SKIP_3) | instid1(VALU_DEP_2)
	v_add3_u32 v2, v2, v3, v112
	s_set_vgpr_msb 4                        ;  msbs: dst=0 src0=0 src1=1 src2=0
	v_mul_i32_i24_e32 v3, v221, v70 /*v326*/
	s_set_vgpr_msb 16                       ;  msbs: dst=0 src0=0 src1=0 src2=1
	v_add3_u32 v2, v2, v113, v61 /*v317*/
	s_set_vgpr_msb 4                        ;  msbs: dst=0 src0=0 src1=1 src2=0
	v_mul_i32_i24_e32 v113, v223, v71 /*v327*/
	s_set_vgpr_msb 0x44                     ;  msbs: dst=1 src0=0 src1=1 src2=0
	v_mul_i32_i24_e32 v61 /*v317*/, v231, v74 /*v330*/
	s_set_vgpr_msb 20                       ;  msbs: dst=0 src0=0 src1=1 src2=1
	v_add3_u32 v2, v2, v62 /*v318*/, v63 /*v319*/
	s_set_vgpr_msb 0x44                     ;  msbs: dst=1 src0=0 src1=1 src2=0
	v_mul_i32_i24_e32 v62 /*v318*/, v233, v75 /*v331*/
	v_mul_i32_i24_e32 v63 /*v319*/, v235, v76 /*v332*/
	s_set_vgpr_msb 20                       ;  msbs: dst=0 src0=0 src1=1 src2=1
	v_add3_u32 v2, v2, v64 /*v320*/, v92 /*v348*/
	s_set_vgpr_msb 0x44                     ;  msbs: dst=1 src0=0 src1=1 src2=0
	v_mul_i32_i24_e32 v64 /*v320*/, v237, v81 /*v337*/
	v_mul_i32_i24_e32 v92 /*v348*/, v240, v82 /*v338*/
	s_set_vgpr_msb 20                       ;  msbs: dst=0 src0=0 src1=1 src2=1
	v_add3_u32 v112, v2, v94 /*v350*/, v97 /*v353*/
	v_mul_i32_i24_e32 v2, v220, v68 /*v324*/
	s_set_vgpr_msb 64                       ;  msbs: dst=1 src0=0 src1=0 src2=0
	v_mul_i32_i24_e32 v94 /*v350*/, v242, v114
	s_set_vgpr_msb 0x44                     ;  msbs: dst=1 src0=0 src1=1 src2=0
	v_mul_i32_i24_e32 v97 /*v353*/, v245, v89 /*v345*/
	s_set_vgpr_msb 4                        ;  msbs: dst=0 src0=0 src1=1 src2=0
	v_mad_i32_i24 v2, v219, v69 /*v325*/, v2
	s_set_vgpr_msb 0                        ;  msbs: dst=0 src0=0 src1=0 src2=0
	s_delay_alu instid0(VALU_DEP_1) | instskip(SKIP_4) | instid1(VALU_DEP_1)
	v_add3_u32 v2, v2, v3, v113
	s_set_vgpr_msb 4                        ;  msbs: dst=0 src0=0 src1=1 src2=0
	v_mul_i32_i24_e32 v3, v227, v72 /*v328*/
	v_mul_i32_i24_e32 v113, v229, v73 /*v329*/
	s_set_vgpr_msb 0                        ;  msbs: dst=0 src0=0 src1=0 src2=0
	v_add3_u32 v2, v2, v3, v113
	v_mul_i32_i24_e32 v3, v252, v92
	v_mul_i32_i24_e32 v113, v248, v93
	s_set_vgpr_msb 20                       ;  msbs: dst=0 src0=0 src1=1 src2=1
	s_delay_alu instid0(VALU_DEP_3)
	v_add3_u32 v2, v2, v61 /*v317*/, v62 /*v318*/
	s_set_vgpr_msb 64                       ;  msbs: dst=1 src0=0 src1=0 src2=0
	v_mul_i32_i24_e32 v61 /*v317*/, v253, v96
	v_mul_i32_i24_e32 v62 /*v318*/, v254, v98
	s_set_vgpr_msb 20                       ;  msbs: dst=0 src0=0 src1=1 src2=1
	v_add3_u32 v2, v2, v63 /*v319*/, v64 /*v320*/
	s_set_vgpr_msb 0x41                     ;  msbs: dst=1 src0=1 src1=0 src2=0
	v_mul_i32_i24_e32 v63 /*v319*/, v0 /*v256*/, v99
	v_mul_i32_i24_e32 v64 /*v320*/, v1 /*v257*/, v101
	s_set_vgpr_msb 20                       ;  msbs: dst=0 src0=0 src1=1 src2=1
	v_add3_u32 v2, v2, v92 /*v348*/, v94 /*v350*/
	s_set_vgpr_msb 0x41                     ;  msbs: dst=1 src0=1 src1=0 src2=0
	v_mul_i32_i24_e32 v92 /*v348*/, v3 /*v259*/, v117
	v_mul_i32_i24_e32 v94 /*v350*/, v5 /*v261*/, v118
	s_set_vgpr_msb 0x54                     ;  msbs: dst=1 src0=0 src1=1 src2=1
	v_add3_u32 v100 /*v356*/, v2, v97 /*v353*/, v98 /*v354*/
	s_set_vgpr_msb 0                        ;  msbs: dst=0 src0=0 src1=0 src2=0
	v_mul_i32_i24_e32 v2, v243, v0
	s_set_vgpr_msb 0x41                     ;  msbs: dst=1 src0=1 src1=0 src2=0
	v_mul_i32_i24_e32 v97 /*v353*/, v7 /*v263*/, v106
	v_mul_i32_i24_e32 v98 /*v354*/, v10 /*v266*/, v120
	s_set_vgpr_msb 0                        ;  msbs: dst=0 src0=0 src1=0 src2=0
	v_mul_i32_i24_e32 v0, v173, v0
	v_mad_i32_i24 v2, v238, v1, v2
	s_delay_alu instid0(VALU_DEP_2) | instskip(SKIP_1) | instid1(VALU_DEP_3)
	v_mad_i32_i24 v0, v172, v1, v0
	v_mul_i32_i24_e32 v1, v175, v95
	v_add3_u32 v2, v2, v3, v113
	v_mul_i32_i24_e32 v3, v250, v95
	v_mul_i32_i24_e32 v95, v181, v117
	s_set_vgpr_msb 5                        ;  msbs: dst=0 src0=1 src1=1 src2=0
	v_mul_i32_i24_e32 v113, v14 /*v270*/, v67 /*v323*/
	s_set_vgpr_msb 16                       ;  msbs: dst=0 src0=0 src1=0 src2=1
	v_add3_u32 v2, v2, v3, v61 /*v317*/
	s_set_vgpr_msb 5                        ;  msbs: dst=0 src0=1 src1=1 src2=0
	v_mul_i32_i24_e32 v3, v23 /*v279*/, v70 /*v326*/
	s_set_vgpr_msb 0x45                     ;  msbs: dst=1 src0=1 src1=1 src2=0
	v_mul_i32_i24_e32 v61 /*v317*/, v25 /*v281*/, v71 /*v327*/
	s_set_vgpr_msb 20                       ;  msbs: dst=0 src0=0 src1=1 src2=1
	v_add3_u32 v2, v2, v62 /*v318*/, v63 /*v319*/
	s_set_vgpr_msb 0x45                     ;  msbs: dst=1 src0=1 src1=1 src2=0
	v_mul_i32_i24_e32 v62 /*v318*/, v28 /*v284*/, v74 /*v330*/
	v_mul_i32_i24_e32 v63 /*v319*/, v29 /*v285*/, v75 /*v331*/
	s_set_vgpr_msb 20                       ;  msbs: dst=0 src0=0 src1=1 src2=1
	v_add3_u32 v2, v2, v64 /*v320*/, v92 /*v348*/
	s_set_vgpr_msb 0x45                     ;  msbs: dst=1 src0=1 src1=1 src2=0
	v_mul_i32_i24_e32 v64 /*v320*/, v30 /*v286*/, v76 /*v332*/
	;; [unrolled: 5-line block ×3, first 2 shown]
	s_set_vgpr_msb 0x41                     ;  msbs: dst=1 src0=1 src1=0 src2=0
	v_mul_i32_i24_e32 v97 /*v353*/, v33 /*v289*/, v114
	s_set_vgpr_msb 0x54                     ;  msbs: dst=1 src0=0 src1=1 src2=1
	v_add3_u32 v125 /*v381*/, v2, v98 /*v354*/, v101 /*v357*/
	s_set_vgpr_msb 5                        ;  msbs: dst=0 src0=1 src1=1 src2=0
	v_mul_i32_i24_e32 v2, v20 /*v276*/, v68 /*v324*/
	s_set_vgpr_msb 0x45                     ;  msbs: dst=1 src0=1 src1=1 src2=0
	v_mul_i32_i24_e32 v98 /*v354*/, v34 /*v290*/, v89 /*v345*/
	v_mul_i32_i24_e32 v101 /*v357*/, v35 /*v291*/, v90 /*v346*/
	s_set_vgpr_msb 5                        ;  msbs: dst=0 src0=1 src1=1 src2=0
	v_mad_i32_i24 v2, v18 /*v274*/, v69 /*v325*/, v2
	s_set_vgpr_msb 16                       ;  msbs: dst=0 src0=0 src1=0 src2=1
	s_delay_alu instid0(VALU_DEP_1)
	v_add3_u32 v2, v2, v3, v61 /*v317*/
	s_set_vgpr_msb 5                        ;  msbs: dst=0 src0=1 src1=1 src2=0
	v_mul_i32_i24_e32 v3, v26 /*v282*/, v72 /*v328*/
	s_set_vgpr_msb 0x45                     ;  msbs: dst=1 src0=1 src1=1 src2=0
	v_mul_i32_i24_e32 v61 /*v317*/, v27 /*v283*/, v73 /*v329*/
	s_set_vgpr_msb 16                       ;  msbs: dst=0 src0=0 src1=0 src2=1
	s_delay_alu instid0(VALU_DEP_1)
	v_add3_u32 v2, v2, v3, v61 /*v317*/
	v_mul_i32_i24_e32 v3, v174, v93
	v_mul_i32_i24_e32 v93, v180, v101
	s_set_vgpr_msb 20                       ;  msbs: dst=0 src0=0 src1=1 src2=1
	v_mul_i32_i24_e32 v101, v185, v66 /*v322*/
	v_add3_u32 v2, v2, v62 /*v318*/, v63 /*v319*/
	s_delay_alu instid0(VALU_DEP_1) | instskip(NEXT) | instid1(VALU_DEP_1)
	v_add3_u32 v2, v2, v64 /*v320*/, v92 /*v348*/
	v_add3_u32 v2, v2, v94 /*v350*/, v97 /*v353*/
	s_set_vgpr_msb 0x54                     ;  msbs: dst=1 src0=0 src1=1 src2=1
	s_delay_alu instid0(VALU_DEP_1)
	v_add3_u32 v92 /*v348*/, v2, v98 /*v354*/, v101 /*v357*/
	s_set_vgpr_msb 0                        ;  msbs: dst=0 src0=0 src1=0 src2=0
	v_mul_i32_i24_e32 v2, v176, v92
	v_mul_i32_i24_e32 v92, v179, v99
	;; [unrolled: 1-line block ×3, first 2 shown]
	s_set_vgpr_msb 0x44                     ;  msbs: dst=1 src0=0 src1=1 src2=0
	v_mul_i32_i24_e32 v101 /*v357*/, v186, v67 /*v323*/
	s_set_vgpr_msb 0                        ;  msbs: dst=0 src0=0 src1=0 src2=0
	v_add3_u32 v0, v0, v2, v3
	v_mul_i32_i24_e32 v2, v177, v96
	v_mul_i32_i24_e32 v3, v178, v98
	;; [unrolled: 1-line block ×4, first 2 shown]
	s_delay_alu instid0(VALU_DEP_4)
	v_add3_u32 v0, v0, v1, v2
	s_set_vgpr_msb 4                        ;  msbs: dst=0 src0=0 src1=1 src2=0
	v_mul_i32_i24_e32 v1, v190, v70 /*v326*/
	v_mul_i32_i24_e32 v2, v191, v71 /*v327*/
	s_set_vgpr_msb 0x41                     ;  msbs: dst=1 src0=1 src1=0 src2=0
	v_bfe_i32 v70 /*v326*/, v95 /*v351*/, 0, 8
	s_set_vgpr_msb 0                        ;  msbs: dst=0 src0=0 src1=0 src2=0
	v_add3_u32 v0, v0, v3, v92
	s_set_vgpr_msb 4                        ;  msbs: dst=0 src0=0 src1=1 src2=0
	v_mul_i32_i24_e32 v3, v194, v74 /*v330*/
	v_mul_i32_i24_e32 v92, v195, v75 /*v331*/
	s_set_vgpr_msb 0                        ;  msbs: dst=0 src0=0 src1=0 src2=0
	v_add3_u32 v0, v0, v93, v95
	s_set_vgpr_msb 4                        ;  msbs: dst=0 src0=0 src1=1 src2=0
	v_mul_i32_i24_e32 v93, v196, v76 /*v332*/
	v_mul_i32_i24_e32 v95, v197, v81 /*v337*/
	s_set_vgpr_msb 0                        ;  msbs: dst=0 src0=0 src1=0 src2=0
	v_add3_u32 v0, v0, v96, v98
	s_set_vgpr_msb 4                        ;  msbs: dst=0 src0=0 src1=1 src2=0
	v_mul_i32_i24_e32 v96, v198, v82 /*v338*/
	s_set_vgpr_msb 0                        ;  msbs: dst=0 src0=0 src1=0 src2=0
	v_mul_i32_i24_e32 v98, v199, v114
	s_set_vgpr_msb 64                       ;  msbs: dst=1 src0=0 src1=0 src2=0
	v_add3_u32 v102 /*v358*/, v0, v99, v101
	s_set_vgpr_msb 4                        ;  msbs: dst=0 src0=0 src1=1 src2=0
	v_mul_i32_i24_e32 v0, v189, v68 /*v324*/
	v_mul_i32_i24_e32 v99, v200, v89 /*v345*/
	;; [unrolled: 1-line block ×3, first 2 shown]
	s_delay_alu instid0(VALU_DEP_3) | instskip(SKIP_1) | instid1(VALU_DEP_1)
	v_mad_i32_i24 v0, v187, v69 /*v325*/, v0
	s_set_vgpr_msb 0                        ;  msbs: dst=0 src0=0 src1=0 src2=0
	v_add3_u32 v0, v0, v1, v2
	s_set_vgpr_msb 4                        ;  msbs: dst=0 src0=0 src1=1 src2=0
	v_mul_i32_i24_e32 v1, v192, v72 /*v328*/
	v_mul_i32_i24_e32 v2, v193, v73 /*v329*/
	s_set_vgpr_msb 0x41                     ;  msbs: dst=1 src0=1 src1=0 src2=0
	v_bfe_i32 v72 /*v328*/, v93 /*v349*/, 0, 8
	v_bfe_i32 v73 /*v329*/, v93 /*v349*/, 16, 8
	s_set_vgpr_msb 0                        ;  msbs: dst=0 src0=0 src1=0 src2=0
	v_add3_u32 v0, v0, v1, v2
	s_set_vgpr_msb 4                        ;  msbs: dst=0 src0=0 src1=1 src2=0
	s_delay_alu instid0(VALU_DEP_2) | instskip(SKIP_1) | instid1(VALU_DEP_2)
	v_mul_i32_i24_e32 v2, v111, v73 /*v329*/
	s_set_vgpr_msb 0                        ;  msbs: dst=0 src0=0 src1=0 src2=0
	v_add3_u32 v0, v0, v3, v92
	s_set_vgpr_msb 4                        ;  msbs: dst=0 src0=0 src1=1 src2=0
	v_mul_i32_i24_e32 v3, v124, v72 /*v328*/
	s_set_vgpr_msb 0                        ;  msbs: dst=0 src0=0 src1=0 src2=0
	s_delay_alu instid0(VALU_DEP_2) | instskip(SKIP_1) | instid1(VALU_DEP_2)
	v_add3_u32 v0, v0, v93, v95
	s_set_vgpr_msb 4                        ;  msbs: dst=0 src0=0 src1=1 src2=0
	v_mad_i32_i24 v3, v122, v70 /*v326*/, v3
	s_set_vgpr_msb 5                        ;  msbs: dst=0 src0=1 src1=1 src2=0
	v_mul_i32_i24_e32 v93, v87 /*v343*/, v72 /*v328*/
	s_set_vgpr_msb 0                        ;  msbs: dst=0 src0=0 src1=0 src2=0
	v_add3_u32 v0, v0, v96, v98
	s_set_vgpr_msb 5                        ;  msbs: dst=0 src0=1 src1=1 src2=0
	s_delay_alu instid0(VALU_DEP_2) | instskip(SKIP_1) | instid1(VALU_DEP_2)
	v_mad_i32_i24 v93, v86 /*v342*/, v70 /*v326*/, v93
	s_set_vgpr_msb 64                       ;  msbs: dst=1 src0=0 src1=0 src2=0
	v_add3_u32 v106 /*v362*/, v0, v99, v101
	s_set_vgpr_msb 0                        ;  msbs: dst=0 src0=0 src1=0 src2=0
	v_or_b32_e32 v0, s18, v147
	s_delay_alu instid0(VALU_DEP_1) | instskip(SKIP_4) | instid1(VALU_DEP_1)
	v_dual_lshlrev_b32 v1, 2, v0 :: v_dual_lshrrev_b32 v0, 1, v0
	ds_load_b32 v92, v0 offset:30368
	s_set_vgpr_msb 4                        ;  msbs: dst=0 src0=0 src1=1 src2=0
	v_mul_i32_i24_e32 v0, v110, v56 /*v312*/
	s_set_vgpr_msb 0                        ;  msbs: dst=0 src0=0 src1=0 src2=0
	v_add3_u32 v0, v3, v2, v0
	s_set_vgpr_msb 5                        ;  msbs: dst=0 src0=1 src1=1 src2=0
	v_mul_i32_i24_e32 v2, v84 /*v340*/, v56 /*v312*/
	v_mul_i32_i24_e32 v3, v85 /*v341*/, v73 /*v329*/
	s_set_vgpr_msb 20                       ;  msbs: dst=0 src0=0 src1=1 src2=1
	v_add3_u32 v117, v0, v96 /*v352*/, v60 /*v316*/
	s_set_vgpr_msb 0                        ;  msbs: dst=0 src0=0 src1=0 src2=0
	s_delay_alu instid0(VALU_DEP_2) | instskip(SKIP_1) | instid1(VALU_DEP_1)
	v_add3_u32 v2, v93, v3, v2
	s_set_vgpr_msb 16                       ;  msbs: dst=0 src0=0 src1=0 src2=1
	v_add3_u32 v115, v2, v115, v59 /*v315*/
	s_set_vgpr_msb 64                       ;  msbs: dst=1 src0=0 src1=0 src2=0
	ds_load_b128 v[60:63] /*v[316:319]*/, v1 offset:16896
	s_set_vgpr_msb 4                        ;  msbs: dst=0 src0=0 src1=1 src2=0
	ds_load_b128 v[0:3], v1 offset:16912
	s_wait_dscnt 0x1
	v_lshrrev_b16 v93, 8, v60 /*v316*/
	v_lshrrev_b16 v95, 8, v61 /*v317*/
	;; [unrolled: 1-line block ×4, first 2 shown]
	s_set_vgpr_msb 1                        ;  msbs: dst=0 src0=1 src1=0 src2=0
	v_bfe_i32 v99, v60 /*v316*/, 0, 8
	s_set_vgpr_msb 0                        ;  msbs: dst=0 src0=0 src1=0 src2=0
	v_bfe_i32 v114, v93, 0, 8
	v_bfe_i32 v95, v95, 0, 8
	s_set_vgpr_msb 1                        ;  msbs: dst=0 src0=1 src1=0 src2=0
	v_bfe_i32 v101, v60 /*v316*/, 16, 8
	s_set_vgpr_msb 4                        ;  msbs: dst=0 src0=0 src1=1 src2=0
	v_ashrrev_i32_e32 v106, 24, v60 /*v316*/
	s_set_vgpr_msb 1                        ;  msbs: dst=0 src0=1 src1=0 src2=0
	v_bfe_i32 v120, v61 /*v317*/, 16, 8
	s_set_vgpr_msb 0x44                     ;  msbs: dst=1 src0=0 src1=1 src2=0
	v_ashrrev_i32_e32 v68 /*v324*/, 24, v61 /*v317*/
	s_set_vgpr_msb 0                        ;  msbs: dst=0 src0=0 src1=0 src2=0
	v_bfe_i32 v96, v96, 0, 8
	v_bfe_i32 v98, v98, 0, 8
	v_add_nc_u32_e32 v93, v95, v114
	s_set_vgpr_msb 0x44                     ;  msbs: dst=1 src0=0 src1=1 src2=0
	v_dual_ashrrev_i32 v69 /*v325*/, 24, v62 /*v318*/ :: v_dual_ashrrev_i32 v113 /*v369*/, 24, v63 /*v319*/
	s_set_vgpr_msb 0x41                     ;  msbs: dst=1 src0=1 src1=0 src2=0
	v_bfe_i32 v75 /*v331*/, v62 /*v318*/, 16, 8
	v_bfe_i32 v81 /*v337*/, v63 /*v319*/, 16, 8
	v_add_nc_u32_e32 v59 /*v315*/, v68 /*v324*/, v106
	s_set_vgpr_msb 64                       ;  msbs: dst=1 src0=0 src1=0 src2=0
	v_add_nc_u32_e32 v60 /*v316*/, v120, v101
	v_add3_u32 v111 /*v367*/, v93, v96, v98
	s_set_vgpr_msb 0                        ;  msbs: dst=0 src0=0 src1=0 src2=0
	v_mul_i32_i24_e32 v93, v99, v121
	s_set_vgpr_msb 1                        ;  msbs: dst=0 src0=1 src1=0 src2=0
	v_bfe_i32 v118, v61 /*v317*/, 0, 8
	s_set_vgpr_msb 0x55                     ;  msbs: dst=1 src0=1 src1=1 src2=1
	v_add3_u32 v112 /*v368*/, v59 /*v315*/, v69 /*v325*/, v113 /*v369*/
	v_add3_u32 v110 /*v366*/, v60 /*v316*/, v75 /*v331*/, v81 /*v337*/
	s_set_vgpr_msb 64                       ;  msbs: dst=1 src0=0 src1=0 src2=0
	v_mul_i32_i24_e32 v59 /*v315*/, v101, v224
	v_mul_i32_i24_e32 v60 /*v316*/, v106, v127
	s_set_vgpr_msb 0                        ;  msbs: dst=0 src0=0 src1=0 src2=0
	v_mad_i32_i24 v93, v114, v119, v93
	s_set_vgpr_msb 0x41                     ;  msbs: dst=1 src0=1 src1=0 src2=0
	v_bfe_i32 v76 /*v332*/, v62 /*v318*/, 0, 8
	v_bfe_i32 v82 /*v338*/, v63 /*v319*/, 0, 8
	s_set_vgpr_msb 64                       ;  msbs: dst=1 src0=0 src1=0 src2=0
	v_add_nc_u32_e32 v61 /*v317*/, v118, v99
	s_set_vgpr_msb 0x44                     ;  msbs: dst=1 src0=0 src1=1 src2=0
	v_mul_i32_i24_e32 v62 /*v318*/, v228, v68 /*v324*/
	s_set_vgpr_msb 20                       ;  msbs: dst=0 src0=0 src1=1 src2=1
	v_add3_u32 v93, v93, v59 /*v315*/, v60 /*v316*/
	s_set_vgpr_msb 64                       ;  msbs: dst=1 src0=0 src1=0 src2=0
	v_mul_i32_i24_e32 v59 /*v315*/, v222, v118
	v_mul_i32_i24_e32 v60 /*v316*/, v225, v95
	s_set_vgpr_msb 0x55                     ;  msbs: dst=1 src0=1 src1=1 src2=1
	v_add3_u32 v109 /*v365*/, v61 /*v317*/, v76 /*v332*/, v82 /*v338*/
	s_set_vgpr_msb 64                       ;  msbs: dst=1 src0=0 src1=0 src2=0
	v_mul_i32_i24_e32 v61 /*v317*/, v226, v120
	s_set_vgpr_msb 0x44                     ;  msbs: dst=1 src0=0 src1=1 src2=0
	v_mul_i32_i24_e32 v63 /*v319*/, v230, v76 /*v332*/
	s_set_vgpr_msb 64                       ;  msbs: dst=1 src0=0 src1=0 src2=0
	v_mul_i32_i24_e32 v64 /*v320*/, v232, v96
	s_set_vgpr_msb 20                       ;  msbs: dst=0 src0=0 src1=1 src2=1
	v_add3_u32 v93, v93, v59 /*v315*/, v60 /*v316*/
	s_set_vgpr_msb 0x44                     ;  msbs: dst=1 src0=0 src1=1 src2=0
	v_mul_i32_i24_e32 v66 /*v322*/, v234, v75 /*v331*/
	v_mul_i32_i24_e32 v67 /*v323*/, v236, v69 /*v325*/
	;; [unrolled: 1-line block ×3, first 2 shown]
	s_set_vgpr_msb 64                       ;  msbs: dst=1 src0=0 src1=0 src2=0
	v_mul_i32_i24_e32 v74 /*v330*/, v241, v98
	s_set_vgpr_msb 20                       ;  msbs: dst=0 src0=0 src1=1 src2=1
	v_add3_u32 v93, v93, v61 /*v317*/, v62 /*v318*/
	s_set_vgpr_msb 0x44                     ;  msbs: dst=1 src0=0 src1=1 src2=0
	v_mul_i32_i24_e32 v89 /*v345*/, v244, v81 /*v337*/
	v_mul_i32_i24_e32 v90 /*v346*/, v116, v113 /*v369*/
	s_set_vgpr_msb 64                       ;  msbs: dst=1 src0=0 src1=0 src2=0
	v_mul_i32_i24_e32 v59 /*v315*/, v101, v206
	v_mul_i32_i24_e32 v60 /*v316*/, v106, v204
	s_set_vgpr_msb 20                       ;  msbs: dst=0 src0=0 src1=1 src2=1
	v_add3_u32 v93, v93, v63 /*v319*/, v64 /*v320*/
	s_set_vgpr_msb 64                       ;  msbs: dst=1 src0=0 src1=0 src2=0
	v_mul_i32_i24_e32 v61 /*v317*/, v208, v120
	s_set_vgpr_msb 0x44                     ;  msbs: dst=1 src0=0 src1=1 src2=0
	v_mul_i32_i24_e32 v62 /*v318*/, v210, v68 /*v324*/
	v_mul_i32_i24_e32 v63 /*v319*/, v211, v76 /*v332*/
	s_set_vgpr_msb 64                       ;  msbs: dst=1 src0=0 src1=0 src2=0
	v_mul_i32_i24_e32 v64 /*v320*/, v212, v96
	s_set_vgpr_msb 20                       ;  msbs: dst=0 src0=0 src1=1 src2=1
	v_add3_u32 v93, v93, v66 /*v322*/, v67 /*v323*/
	s_set_vgpr_msb 0x44                     ;  msbs: dst=1 src0=0 src1=1 src2=0
	v_mul_i32_i24_e32 v66 /*v322*/, v213, v75 /*v331*/
	v_mul_i32_i24_e32 v67 /*v323*/, v214, v69 /*v325*/
	;; [unrolled: 1-line block ×3, first 2 shown]
	s_wait_dscnt 0x0
	v_bfe_i32 v181 /*v437*/, v3, 0, 8
	s_set_vgpr_msb 20                       ;  msbs: dst=0 src0=0 src1=1 src2=1
	v_add3_u32 v93, v93, v71 /*v327*/, v74 /*v330*/
	s_set_vgpr_msb 0x44                     ;  msbs: dst=1 src0=0 src1=1 src2=0
	v_mul_i32_i24_e32 v71 /*v327*/, v215, v82 /*v338*/
	s_set_vgpr_msb 64                       ;  msbs: dst=1 src0=0 src1=0 src2=0
	v_mul_i32_i24_e32 v74 /*v330*/, v216, v98
	s_set_vgpr_msb 0x45                     ;  msbs: dst=1 src0=1 src1=1 src2=0
	v_mul_i32_i24_e32 v129 /*v385*/, v111 /*v367*/, v70 /*v326*/
	v_mul_i32_i24_e32 v191 /*v447*/, v21 /*v277*/, v181 /*v437*/
	s_set_vgpr_msb 20                       ;  msbs: dst=0 src0=0 src1=1 src2=1
	v_add3_u32 v93, v93, v89 /*v345*/, v90 /*v346*/
	s_set_vgpr_msb 0x45                     ;  msbs: dst=1 src0=1 src1=1 src2=0
	v_mul_i32_i24_e32 v90 /*v346*/, v14 /*v270*/, v81 /*v337*/
	s_set_vgpr_msb 0x44                     ;  msbs: dst=1 src0=0 src1=1 src2=0
	v_mul_i32_i24_e32 v89 /*v345*/, v217, v81 /*v337*/
	v_mul_i32_i24_e32 v195 /*v451*/, v245, v181 /*v437*/
	v_mul_lo_u32 v127 /*v383*/, v93, v57 /*v313*/
	s_set_vgpr_msb 0                        ;  msbs: dst=0 src0=0 src1=0 src2=0
	v_mul_i32_i24_e32 v93, v99, v125
	s_delay_alu instid0(VALU_DEP_1) | instskip(SKIP_1) | instid1(VALU_DEP_1)
	v_mad_i32_i24 v93, v114, v123, v93
	s_set_vgpr_msb 20                       ;  msbs: dst=0 src0=0 src1=1 src2=1
	v_add3_u32 v93, v93, v59 /*v315*/, v60 /*v316*/
	s_set_vgpr_msb 64                       ;  msbs: dst=1 src0=0 src1=0 src2=0
	v_mul_i32_i24_e32 v59 /*v315*/, v205, v118
	v_mul_i32_i24_e32 v60 /*v316*/, v207, v95
	s_set_vgpr_msb 20                       ;  msbs: dst=0 src0=0 src1=1 src2=1
	s_delay_alu instid0(VALU_DEP_1)
	v_add3_u32 v93, v93, v59 /*v315*/, v60 /*v316*/
	s_set_vgpr_msb 64                       ;  msbs: dst=1 src0=0 src1=0 src2=0
	v_mul_i32_i24_e32 v59 /*v315*/, v101, v252
	v_mul_i32_i24_e32 v60 /*v316*/, v106, v248
	s_set_vgpr_msb 0                        ;  msbs: dst=0 src0=0 src1=0 src2=0
	v_mul_i32_i24_e32 v101, v101, v176
	v_mul_i32_i24_e32 v106, v106, v174
	s_set_vgpr_msb 20                       ;  msbs: dst=0 src0=0 src1=1 src2=1
	v_add3_u32 v93, v93, v61 /*v317*/, v62 /*v318*/
	s_set_vgpr_msb 64                       ;  msbs: dst=1 src0=0 src1=0 src2=0
	v_mul_i32_i24_e32 v61 /*v317*/, v254, v120
	s_set_vgpr_msb 0x45                     ;  msbs: dst=1 src0=1 src1=1 src2=0
	v_mul_i32_i24_e32 v62 /*v318*/, v0 /*v256*/, v68 /*v324*/
	s_set_vgpr_msb 20                       ;  msbs: dst=0 src0=0 src1=1 src2=1
	v_add3_u32 v93, v93, v63 /*v319*/, v64 /*v320*/
	s_set_vgpr_msb 0x45                     ;  msbs: dst=1 src0=1 src1=1 src2=0
	v_mul_i32_i24_e32 v63 /*v319*/, v1 /*v257*/, v76 /*v332*/
	s_set_vgpr_msb 0x41                     ;  msbs: dst=1 src0=1 src1=0 src2=0
	v_mul_i32_i24_e32 v64 /*v320*/, v3 /*v259*/, v96
	s_set_vgpr_msb 0                        ;  msbs: dst=0 src0=0 src1=0 src2=0
	v_mul_i32_i24_e32 v96, v181, v96
	s_set_vgpr_msb 20                       ;  msbs: dst=0 src0=0 src1=1 src2=1
	v_add3_u32 v93, v93, v66 /*v322*/, v67 /*v323*/
	s_set_vgpr_msb 0x45                     ;  msbs: dst=1 src0=1 src1=1 src2=0
	v_mul_i32_i24_e32 v66 /*v322*/, v5 /*v261*/, v75 /*v331*/
	v_mul_i32_i24_e32 v67 /*v323*/, v7 /*v263*/, v69 /*v325*/
	s_set_vgpr_msb 0x54                     ;  msbs: dst=1 src0=0 src1=1 src2=1
	v_add3_u32 v108 /*v364*/, v93, v71 /*v327*/, v74 /*v330*/
	s_set_vgpr_msb 0                        ;  msbs: dst=0 src0=0 src1=0 src2=0
	v_mul_i32_i24_e32 v93, v99, v243
	v_mul_i32_i24_e32 v99, v99, v173
	s_set_vgpr_msb 0x45                     ;  msbs: dst=1 src0=1 src1=1 src2=0
	v_mul_i32_i24_e32 v71 /*v327*/, v10 /*v266*/, v82 /*v338*/
	s_set_vgpr_msb 0x41                     ;  msbs: dst=1 src0=1 src1=0 src2=0
	v_mul_i32_i24_e32 v74 /*v330*/, v12 /*v268*/, v98
	s_set_vgpr_msb 0                        ;  msbs: dst=0 src0=0 src1=0 src2=0
	v_mul_i32_i24_e32 v98, v185, v98
	v_mad_i32_i24 v93, v114, v238, v93
	v_mad_i32_i24 v99, v114, v172, v99
	s_set_vgpr_msb 4                        ;  msbs: dst=0 src0=0 src1=1 src2=0
	v_mul_i32_i24_e32 v114, v179, v68 /*v324*/
	s_set_vgpr_msb 0x44                     ;  msbs: dst=1 src0=0 src1=1 src2=0
	v_mul_i32_i24_e32 v68 /*v324*/, v183, v69 /*v325*/
	v_mul_i32_i24_e32 v69 /*v325*/, v184, v82 /*v338*/
	s_set_vgpr_msb 20                       ;  msbs: dst=0 src0=0 src1=1 src2=1
	v_add3_u32 v93, v93, v59 /*v315*/, v60 /*v316*/
	s_set_vgpr_msb 64                       ;  msbs: dst=1 src0=0 src1=0 src2=0
	v_mul_i32_i24_e32 v59 /*v315*/, v250, v118
	v_mul_i32_i24_e32 v60 /*v316*/, v253, v95
	s_set_vgpr_msb 0                        ;  msbs: dst=0 src0=0 src1=0 src2=0
	v_add3_u32 v99, v99, v101, v106
	v_mul_i32_i24_e32 v101, v175, v118
	v_mul_i32_i24_e32 v95, v177, v95
	;; [unrolled: 1-line block ×3, first 2 shown]
	s_set_vgpr_msb 20                       ;  msbs: dst=0 src0=0 src1=1 src2=1
	v_add3_u32 v93, v93, v59 /*v315*/, v60 /*v316*/
	s_set_vgpr_msb 0x41                     ;  msbs: dst=1 src0=1 src1=0 src2=0
	ds_load_u16 v60 /*v316*/, v65 /*v321*/
	s_set_vgpr_msb 4                        ;  msbs: dst=0 src0=0 src1=1 src2=0
	v_mul_i32_i24_e32 v118, v180, v76 /*v332*/
	s_set_vgpr_msb 0                        ;  msbs: dst=0 src0=0 src1=0 src2=0
	v_add3_u32 v95, v99, v101, v95
	s_set_vgpr_msb 20                       ;  msbs: dst=0 src0=0 src1=1 src2=1
	v_mul_i32_i24_e32 v120, v182, v75 /*v331*/
	v_add3_u32 v93, v93, v61 /*v317*/, v62 /*v318*/
	s_set_vgpr_msb 0                        ;  msbs: dst=0 src0=0 src1=0 src2=0
	v_add3_u32 v95, v95, v106, v114
	s_set_vgpr_msb 20                       ;  msbs: dst=0 src0=0 src1=1 src2=1
	s_delay_alu instid0(VALU_DEP_2) | instskip(SKIP_1) | instid1(VALU_DEP_2)
	v_add3_u32 v93, v93, v63 /*v319*/, v64 /*v320*/
	s_set_vgpr_msb 0                        ;  msbs: dst=0 src0=0 src1=0 src2=0
	v_add3_u32 v95, v95, v118, v96
	s_set_vgpr_msb 20                       ;  msbs: dst=0 src0=0 src1=1 src2=1
	s_delay_alu instid0(VALU_DEP_2) | instskip(SKIP_1) | instid1(VALU_DEP_2)
	v_add3_u32 v93, v93, v66 /*v322*/, v67 /*v323*/
	s_set_vgpr_msb 16                       ;  msbs: dst=0 src0=0 src1=0 src2=1
	v_add3_u32 v95, v95, v120, v68 /*v324*/
	s_set_vgpr_msb 20                       ;  msbs: dst=0 src0=0 src1=1 src2=1
	s_delay_alu instid0(VALU_DEP_2)
	v_add3_u32 v93, v93, v71 /*v327*/, v74 /*v330*/
	s_wait_dscnt 0x0
	s_set_vgpr_msb 0x41                     ;  msbs: dst=1 src0=1 src1=0 src2=0
	v_bfe_u32 v61 /*v317*/, v60 /*v316*/, 4, 4
	s_set_vgpr_msb 0x44                     ;  msbs: dst=1 src0=0 src1=1 src2=0
	v_lshrrev_b16 v66 /*v322*/, 8, v60 /*v316*/
	v_and_b32_e32 v60 /*v316*/, 15, v60 /*v316*/
	v_add3_u32 v136 /*v392*/, v95, v69 /*v325*/, v98
	s_set_vgpr_msb 0                        ;  msbs: dst=0 src0=0 src1=0 src2=0
	v_or_b32_e32 v95, s18, v148
	s_set_vgpr_msb 0x44                     ;  msbs: dst=1 src0=0 src1=1 src2=0
	v_mul_lo_u32 v61 /*v317*/, 0x1010101, v61 /*v317*/
	v_and_b32_e32 v59 /*v315*/, 0xffff, v66 /*v322*/
	s_set_vgpr_msb 0                        ;  msbs: dst=0 src0=0 src1=0 src2=0
	v_dual_lshlrev_b32 v96, 2, v95 :: v_dual_lshrrev_b32 v95, 1, v95
	s_set_vgpr_msb 0x44                     ;  msbs: dst=1 src0=0 src1=1 src2=0
	s_delay_alu instid0(VALU_DEP_2)
	v_dual_lshrrev_b32 v59 /*v315*/, 4, v59 /*v315*/ :: v_dual_lshrrev_b32 v65 /*v321*/, 24, v61 /*v317*/
	s_set_vgpr_msb 0x41                     ;  msbs: dst=1 src0=1 src1=0 src2=0
	v_bfe_i32 v62 /*v318*/, v61 /*v317*/, 0, 8
	v_bfe_i32 v63 /*v319*/, v61 /*v317*/, 8, 8
	v_bfe_i32 v64 /*v320*/, v61 /*v317*/, 16, 8
	s_set_vgpr_msb 0x44                     ;  msbs: dst=1 src0=0 src1=1 src2=0
	v_mul_lo_u32 v61 /*v317*/, 0x1010101, v59 /*v315*/
	v_mul_i32_i24_e32 v74 /*v330*/, v110, v65 /*v321*/
	v_mul_i32_i24_e32 v93 /*v349*/, v124, v62 /*v318*/
	s_set_vgpr_msb 0x45                     ;  msbs: dst=1 src0=1 src1=1 src2=0
	v_mul_i32_i24_e32 v94 /*v350*/, v87 /*v343*/, v62 /*v318*/
	s_set_vgpr_msb 0x54                     ;  msbs: dst=1 src0=0 src1=1 src2=1
	v_mul_i32_i24_e32 v91 /*v347*/, v111, v64 /*v320*/
	v_mad_i32_i24 v93 /*v349*/, v122, v63 /*v319*/, v93 /*v349*/
	s_set_vgpr_msb 0x55                     ;  msbs: dst=1 src0=1 src1=1 src2=1
	v_mad_i32_i24 v94 /*v350*/, v86 /*v342*/, v63 /*v319*/, v94 /*v350*/
	v_bfe_i32 v67 /*v323*/, v61 /*v317*/, 0, 8
	s_delay_alu instid0(VALU_DEP_3)
	v_add3_u32 v74 /*v330*/, v93 /*v349*/, v91 /*v347*/, v74 /*v330*/
	v_and_b32_e32 v91 /*v347*/, 15, v66 /*v322*/
	v_and_b32_e32 v66 /*v322*/, 0xffff, v60 /*v316*/
	v_mul_i32_i24_e32 v93 /*v349*/, v85 /*v341*/, v64 /*v320*/
	v_bfe_i32 v59 /*v315*/, v61 /*v317*/, 8, 8
	v_mul_i32_i24_e32 v130 /*v386*/, v83 /*v339*/, v67 /*v323*/
	v_and_b32_e32 v60 /*v316*/, 0xffff, v91 /*v347*/
	v_mul_i32_i24_e32 v91 /*v347*/, v84 /*v340*/, v65 /*v321*/
	s_set_vgpr_msb 0x44                     ;  msbs: dst=1 src0=0 src1=1 src2=0
	v_mul_i32_i24_e32 v71 /*v327*/, v108, v67 /*v323*/
	s_set_vgpr_msb 0x55                     ;  msbs: dst=1 src0=1 src1=1 src2=1
	s_delay_alu instid0(VALU_DEP_2) | instskip(SKIP_4) | instid1(VALU_DEP_1)
	v_add3_u32 v131 /*v387*/, v94 /*v350*/, v93 /*v349*/, v91 /*v347*/
	v_mul_i32_i24_e32 v91 /*v347*/, v8 /*v264*/, v88 /*v344*/
	s_set_vgpr_msb 0x44                     ;  msbs: dst=1 src0=0 src1=1 src2=0
	v_mul_i32_i24_e32 v93 /*v349*/, v209, v113 /*v369*/
	s_set_vgpr_msb 20                       ;  msbs: dst=0 src0=0 src1=1 src2=1
	v_add3_u32 v93, v93, v90 /*v346*/, v93 /*v349*/
	s_set_vgpr_msb 0x55                     ;  msbs: dst=1 src0=1 src1=1 src2=1
	v_add3_u32 v90 /*v346*/, v92 /*v348*/, v103 /*v359*/, v91 /*v347*/
	v_mul_i32_i24_e32 v91 /*v347*/, v109 /*v365*/, v62 /*v318*/
	s_set_vgpr_msb 0x44                     ;  msbs: dst=1 src0=0 src1=1 src2=0
	v_mul_lo_u32 v133 /*v389*/, v93, v66 /*v322*/
	s_set_vgpr_msb 0x45                     ;  msbs: dst=1 src0=1 src1=1 src2=0
	v_mul_lo_u32 v132 /*v388*/, v90 /*v346*/, v60 /*v316*/
	s_set_vgpr_msb 5                        ;  msbs: dst=0 src0=1 src1=1 src2=0
	v_mul_i32_i24_e32 v93, v112 /*v368*/, v65 /*v321*/
	s_set_vgpr_msb 0x55                     ;  msbs: dst=1 src0=1 src1=1 src2=1
	v_mul_i32_i24_e32 v90 /*v346*/, v110 /*v366*/, v64 /*v320*/
	v_mad_i32_i24 v91 /*v347*/, v111 /*v367*/, v63 /*v319*/, v91 /*v347*/
	s_set_vgpr_msb 0x45                     ;  msbs: dst=1 src0=1 src1=1 src2=0
	s_delay_alu instid0(VALU_DEP_1)
	v_add3_u32 v134 /*v390*/, v91 /*v347*/, v90 /*v346*/, v93
	s_set_vgpr_msb 0                        ;  msbs: dst=0 src0=0 src1=0 src2=0
	ds_load_b32 v95, v95 offset:30368
	s_set_vgpr_msb 64                       ;  msbs: dst=1 src0=0 src1=0 src2=0
	ds_load_b128 v[90:93] /*v[346:349]*/, v96 offset:16896
	ds_load_b128 v[94:97] /*v[350:353]*/, v96 offset:16912
	s_set_vgpr_msb 0                        ;  msbs: dst=0 src0=0 src1=0 src2=0
	v_mov_b32_e32 v93, v90
	s_wait_dscnt 0x1
	s_set_vgpr_msb 0x41                     ;  msbs: dst=1 src0=1 src1=0 src2=0
	v_bfe_i32 v98 /*v354*/, v93 /*v349*/, 0, 8
	v_bfe_i32 v103 /*v359*/, v93 /*v349*/, 8, 8
	v_bfe_i32 v104 /*v360*/, v93 /*v349*/, 16, 8
	s_set_vgpr_msb 0x44                     ;  msbs: dst=1 src0=0 src1=1 src2=0
	v_ashrrev_i32_e32 v93 /*v349*/, 24, v93 /*v349*/
	s_wait_dscnt 0x0
	s_set_vgpr_msb 0x41                     ;  msbs: dst=1 src0=1 src1=0 src2=0
	v_bfe_i32 v114 /*v370*/, v94 /*v350*/, 0, 8
	v_bfe_i32 v115 /*v371*/, v94 /*v350*/, 8, 8
	v_bfe_i32 v116 /*v372*/, v94 /*v350*/, 16, 8
	s_set_vgpr_msb 0x44                     ;  msbs: dst=1 src0=0 src1=1 src2=0
	v_ashrrev_i32_e32 v94 /*v350*/, 24, v94 /*v350*/
	s_set_vgpr_msb 0x41                     ;  msbs: dst=1 src0=1 src1=0 src2=0
	v_bfe_i32 v117 /*v373*/, v95 /*v351*/, 0, 8
	v_bfe_i32 v118 /*v374*/, v95 /*v351*/, 8, 8
	v_bfe_i32 v119 /*v375*/, v95 /*v351*/, 16, 8
	s_set_vgpr_msb 0x44                     ;  msbs: dst=1 src0=0 src1=1 src2=0
	v_ashrrev_i32_e32 v95 /*v351*/, 24, v95 /*v351*/
	;; [unrolled: 6-line block ×4, first 2 shown]
	s_set_vgpr_msb 5                        ;  msbs: dst=0 src0=1 src1=1 src2=0
	v_add_nc_u32_e32 v96, v95 /*v351*/, v94 /*v350*/
	v_ashrrev_i32_e32 v114, 24, v90 /*v346*/
	s_set_vgpr_msb 0x44                     ;  msbs: dst=1 src0=0 src1=1 src2=0
	v_ashrrev_i32_e32 v81 /*v337*/, 24, v91 /*v347*/
	s_set_vgpr_msb 1                        ;  msbs: dst=0 src0=1 src1=0 src2=0
	v_bfe_i32 v98, v90 /*v346*/, 0, 8
	v_bfe_i32 v99, v90 /*v346*/, 8, 8
	s_set_vgpr_msb 0x54                     ;  msbs: dst=1 src0=0 src1=1 src2=1
	v_add3_u32 v68 /*v324*/, v96, v96 /*v352*/, v97 /*v353*/
	s_set_vgpr_msb 5                        ;  msbs: dst=0 src0=1 src1=1 src2=0
	v_add_nc_u32_e32 v96, v119 /*v375*/, v116 /*v372*/
	v_bfe_i32 v101, v90 /*v346*/, 16, 8
	v_bfe_i32 v118, v91 /*v347*/, 0, 8
	v_bfe_i32 v120, v91 /*v347*/, 8, 8
	s_set_vgpr_msb 0x41                     ;  msbs: dst=1 src0=1 src1=0 src2=0
	v_bfe_i32 v76 /*v332*/, v91 /*v347*/, 16, 8
	s_set_vgpr_msb 0x54                     ;  msbs: dst=1 src0=0 src1=1 src2=1
	v_add3_u32 v69 /*v325*/, v96, v122 /*v378*/, v126 /*v382*/
	s_set_vgpr_msb 5                        ;  msbs: dst=0 src0=1 src1=1 src2=0
	v_add_nc_u32_e32 v96, v117 /*v373*/, v114 /*v370*/
	s_set_vgpr_msb 0x41                     ;  msbs: dst=1 src0=1 src1=0 src2=0
	v_bfe_i32 v82 /*v338*/, v92 /*v348*/, 0, 8
	v_bfe_i32 v90 /*v346*/, v92 /*v348*/, 8, 8
	v_bfe_i32 v91 /*v347*/, v92 /*v348*/, 16, 8
	s_set_vgpr_msb 0x54                     ;  msbs: dst=1 src0=0 src1=1 src2=1
	v_ashrrev_i32_e32 v92 /*v348*/, 24, v92 /*v348*/
	v_add3_u32 v137 /*v393*/, v96, v120 /*v376*/, v123 /*v379*/
	s_set_vgpr_msb 5                        ;  msbs: dst=0 src0=1 src1=1 src2=0
	v_add_nc_u32_e32 v96, v118 /*v374*/, v115 /*v371*/
	s_set_vgpr_msb 0                        ;  msbs: dst=0 src0=0 src1=0 src2=0
	v_mul_i32_i24_e32 v106, v224, v101
	s_set_vgpr_msb 64                       ;  msbs: dst=1 src0=0 src1=0 src2=0
	v_mul_i32_i24_e32 v75 /*v331*/, v127, v114
	s_set_vgpr_msb 0x54                     ;  msbs: dst=1 src0=0 src1=1 src2=1
	v_mul_i32_i24_e32 v128 /*v384*/, v226, v76 /*v332*/
	v_mul_i32_i24_e32 v143 /*v399*/, v228, v81 /*v337*/
	v_add3_u32 v138 /*v394*/, v96, v121 /*v377*/, v124 /*v380*/
	s_set_vgpr_msb 1                        ;  msbs: dst=0 src0=1 src1=0 src2=0
	v_add_nc_u32_e32 v96, v81 /*v337*/, v114
	s_set_vgpr_msb 0x54                     ;  msbs: dst=1 src0=0 src1=1 src2=1
	v_mul_i32_i24_e32 v144 /*v400*/, v230, v82 /*v338*/
	v_mul_i32_i24_e32 v145 /*v401*/, v232, v90 /*v346*/
	;; [unrolled: 1-line block ×4, first 2 shown]
	v_add3_u32 v139 /*v395*/, v96, v92 /*v348*/, v93 /*v349*/
	s_set_vgpr_msb 1                        ;  msbs: dst=0 src0=1 src1=0 src2=0
	v_add_nc_u32_e32 v96, v76 /*v332*/, v101
	s_set_vgpr_msb 0x54                     ;  msbs: dst=1 src0=0 src1=1 src2=1
	v_mul_i32_i24_e32 v148 /*v404*/, v239, v98 /*v354*/
	v_mul_i32_i24_e32 v149 /*v405*/, v241, v103 /*v359*/
	;; [unrolled: 1-line block ×4, first 2 shown]
	v_add3_u32 v140 /*v396*/, v96, v91 /*v347*/, v104 /*v360*/
	s_set_vgpr_msb 0                        ;  msbs: dst=0 src0=0 src1=0 src2=0
	v_add_nc_u32_e32 v96, v120, v99
	s_set_vgpr_msb 0x54                     ;  msbs: dst=1 src0=0 src1=1 src2=1
	v_mul_i32_i24_e32 v152 /*v408*/, v246, v97 /*v353*/
	v_mul_i32_i24_e32 v153 /*v409*/, v109, v93 /*v349*/
	;; [unrolled: 1-line block ×4, first 2 shown]
	v_add3_u32 v141 /*v397*/, v96, v90 /*v346*/, v103 /*v359*/
	s_set_vgpr_msb 0                        ;  msbs: dst=0 src0=0 src1=0 src2=0
	v_add_nc_u32_e32 v96, v118, v98
	s_set_vgpr_msb 0x45                     ;  msbs: dst=1 src0=1 src1=1 src2=0
	v_mul_i32_i24_e32 v156 /*v412*/, v8 /*v264*/, v97 /*v353*/
	s_set_vgpr_msb 0x54                     ;  msbs: dst=1 src0=0 src1=1 src2=1
	v_mul_i32_i24_e32 v93 /*v349*/, v188, v93 /*v349*/
	v_add3_u32 v142 /*v398*/, v96, v82 /*v338*/, v98 /*v354*/
	s_set_vgpr_msb 0                        ;  msbs: dst=0 src0=0 src1=0 src2=0
	v_mul_i32_i24_e32 v96, v121, v98
	s_delay_alu instid0(VALU_DEP_1) | instskip(SKIP_1) | instid1(VALU_DEP_1)
	v_mad_i32_i24 v96, v119, v99, v96
	s_set_vgpr_msb 16                       ;  msbs: dst=0 src0=0 src1=0 src2=1
	v_add3_u32 v96, v96, v106, v75 /*v331*/
	v_mul_i32_i24_e32 v106, v222, v118
	s_set_vgpr_msb 64                       ;  msbs: dst=1 src0=0 src1=0 src2=0
	v_mul_i32_i24_e32 v75 /*v331*/, v225, v120
	s_set_vgpr_msb 16                       ;  msbs: dst=0 src0=0 src1=0 src2=1
	s_delay_alu instid0(VALU_DEP_1)
	v_add3_u32 v96, v96, v106, v75 /*v331*/
	s_set_vgpr_msb 4                        ;  msbs: dst=0 src0=0 src1=1 src2=0
	v_mul_i32_i24_e32 v106, v255, v114 /*v370*/
	s_set_vgpr_msb 0x45                     ;  msbs: dst=1 src0=1 src1=1 src2=0
	v_mul_i32_i24_e32 v75 /*v331*/, v2 /*v258*/, v116 /*v372*/
	s_set_vgpr_msb 20                       ;  msbs: dst=0 src0=0 src1=1 src2=1
	v_add3_u32 v96, v96, v128 /*v384*/, v143 /*v399*/
	s_set_vgpr_msb 0x45                     ;  msbs: dst=1 src0=1 src1=1 src2=0
	v_mul_i32_i24_e32 v128 /*v384*/, v4 /*v260*/, v94 /*v350*/
	s_set_vgpr_msb 4                        ;  msbs: dst=0 src0=0 src1=1 src2=0
	v_mad_i32_i24 v106, v251, v115 /*v371*/, v106
	s_set_vgpr_msb 0x45                     ;  msbs: dst=1 src0=1 src1=1 src2=0
	v_mul_i32_i24_e32 v143 /*v399*/, v11 /*v267*/, v119 /*v375*/
	s_set_vgpr_msb 20                       ;  msbs: dst=0 src0=0 src1=1 src2=1
	v_add3_u32 v96, v96, v144 /*v400*/, v145 /*v401*/
	s_set_vgpr_msb 0x45                     ;  msbs: dst=1 src0=1 src1=1 src2=0
	v_mul_i32_i24_e32 v144 /*v400*/, v13 /*v269*/, v95 /*v351*/
	s_set_vgpr_msb 20                       ;  msbs: dst=0 src0=0 src1=1 src2=1
	v_add3_u32 v106, v106, v75 /*v331*/, v128 /*v384*/
	s_set_vgpr_msb 0x45                     ;  msbs: dst=1 src0=1 src1=1 src2=0
	v_mul_i32_i24_e32 v75 /*v331*/, v6 /*v262*/, v117 /*v373*/
	v_mul_i32_i24_e32 v128 /*v384*/, v9 /*v265*/, v118 /*v374*/
	s_set_vgpr_msb 20                       ;  msbs: dst=0 src0=0 src1=1 src2=1
	v_add3_u32 v96, v96, v146 /*v402*/, v147 /*v403*/
	s_set_vgpr_msb 0x45                     ;  msbs: dst=1 src0=1 src1=1 src2=0
	v_mul_i32_i24_e32 v145 /*v401*/, v15 /*v271*/, v120 /*v376*/
	v_mul_i32_i24_e32 v146 /*v402*/, v16 /*v272*/, v121 /*v377*/
	v_mul_i32_i24_e32 v147 /*v403*/, v17 /*v273*/, v122 /*v378*/
	s_set_vgpr_msb 20                       ;  msbs: dst=0 src0=0 src1=1 src2=1
	v_add3_u32 v106, v106, v75 /*v331*/, v128 /*v384*/
	v_add3_u32 v96, v96, v148 /*v404*/, v149 /*v405*/
	s_set_vgpr_msb 0x45                     ;  msbs: dst=1 src0=1 src1=1 src2=0
	v_mul_i32_i24_e32 v148 /*v404*/, v19 /*v275*/, v96 /*v352*/
	v_mul_i32_i24_e32 v149 /*v405*/, v21 /*v277*/, v123 /*v379*/
	v_mul_i32_i24_e32 v75 /*v331*/, v137 /*v393*/, v58 /*v314*/
	s_set_vgpr_msb 20                       ;  msbs: dst=0 src0=0 src1=1 src2=1
	v_add3_u32 v106, v106, v143 /*v399*/, v144 /*v400*/
	;; [unrolled: 7-line block ×3, first 2 shown]
	v_mul_lo_u32 v96, v96, v57 /*v313*/
	s_set_vgpr_msb 0x45                     ;  msbs: dst=1 src0=1 src1=1 src2=0
	v_mul_i32_i24_e32 v145 /*v401*/, v142 /*v398*/, v72 /*v328*/
	v_mul_i32_i24_e32 v144 /*v400*/, v140 /*v396*/, v73 /*v329*/
	;; [unrolled: 1-line block ×3, first 2 shown]
	s_set_vgpr_msb 20                       ;  msbs: dst=0 src0=0 src1=1 src2=1
	v_add3_u32 v106, v106, v147 /*v403*/, v148 /*v404*/
	s_set_vgpr_msb 0x44                     ;  msbs: dst=1 src0=0 src1=1 src2=0
	v_mul_i32_i24_e32 v146 /*v402*/, v211, v82 /*v338*/
	s_set_vgpr_msb 0x55                     ;  msbs: dst=1 src0=1 src1=1 src2=1
	v_mad_i32_i24 v145 /*v401*/, v141 /*v397*/, v70 /*v326*/, v145 /*v401*/
	s_set_vgpr_msb 0x44                     ;  msbs: dst=1 src0=0 src1=1 src2=0
	v_mul_i32_i24_e32 v147 /*v403*/, v212, v90 /*v346*/
	v_mul_i32_i24_e32 v148 /*v404*/, v213, v91 /*v347*/
	s_set_vgpr_msb 20                       ;  msbs: dst=0 src0=0 src1=1 src2=1
	v_add3_u32 v106, v106, v149 /*v405*/, v150 /*v406*/
	s_set_vgpr_msb 0x44                     ;  msbs: dst=1 src0=0 src1=1 src2=0
	v_mul_i32_i24_e32 v149 /*v405*/, v214, v92 /*v348*/
	s_set_vgpr_msb 0x55                     ;  msbs: dst=1 src0=1 src1=1 src2=1
	v_add3_u32 v143 /*v399*/, v145 /*v401*/, v144 /*v400*/, v143 /*v399*/
	s_set_vgpr_msb 0x44                     ;  msbs: dst=1 src0=0 src1=1 src2=0
	v_mul_i32_i24_e32 v144 /*v400*/, v208, v76 /*v332*/
	v_mul_i32_i24_e32 v145 /*v401*/, v210, v81 /*v337*/
	s_set_vgpr_msb 20                       ;  msbs: dst=0 src0=0 src1=1 src2=1
	v_add3_u32 v106, v106, v151 /*v407*/, v152 /*v408*/
	s_set_vgpr_msb 0x44                     ;  msbs: dst=1 src0=0 src1=1 src2=0
	v_mul_i32_i24_e32 v150 /*v406*/, v215, v98 /*v354*/
	s_set_vgpr_msb 0x55                     ;  msbs: dst=1 src0=1 src1=1 src2=1
	v_add3_u32 v143 /*v399*/, v143 /*v399*/, v75 /*v331*/, v128 /*v384*/
	s_set_vgpr_msb 64                       ;  msbs: dst=1 src0=0 src1=0 src2=0
	v_mul_i32_i24_e32 v75 /*v331*/, v206, v101
	v_mul_i32_i24_e32 v128 /*v384*/, v204, v114
	s_set_vgpr_msb 4                        ;  msbs: dst=0 src0=0 src1=1 src2=0
	v_mad_u32 v96, v106, v54 /*v310*/, v96
	s_set_vgpr_msb 0x44                     ;  msbs: dst=1 src0=0 src1=1 src2=0
	v_mul_i32_i24_e32 v151 /*v407*/, v216, v103 /*v359*/
	v_mul_i32_i24_e32 v152 /*v408*/, v217, v104 /*v360*/
	s_set_vgpr_msb 0                        ;  msbs: dst=0 src0=0 src1=0 src2=0
	s_delay_alu instid0(VALU_DEP_3) | instskip(SKIP_1) | instid1(VALU_DEP_1)
	v_cvt_f32_i32_e32 v106, v96
	v_mul_i32_i24_e32 v96, v125, v98
	v_mad_i32_i24 v96, v123, v99, v96
	s_set_vgpr_msb 20                       ;  msbs: dst=0 src0=0 src1=1 src2=1
	s_delay_alu instid0(VALU_DEP_1) | instskip(SKIP_4) | instid1(VALU_DEP_1)
	v_add3_u32 v96, v96, v75 /*v331*/, v128 /*v384*/
	s_set_vgpr_msb 64                       ;  msbs: dst=1 src0=0 src1=0 src2=0
	v_mul_i32_i24_e32 v75 /*v331*/, v205, v118
	v_mul_i32_i24_e32 v128 /*v384*/, v207, v120
	s_set_vgpr_msb 20                       ;  msbs: dst=0 src0=0 src1=1 src2=1
	v_add3_u32 v96, v96, v75 /*v331*/, v128 /*v384*/
	s_set_vgpr_msb 0x44                     ;  msbs: dst=1 src0=0 src1=1 src2=0
	v_mul_i32_i24_e32 v75 /*v331*/, v221, v116 /*v372*/
	s_set_vgpr_msb 20                       ;  msbs: dst=0 src0=0 src1=1 src2=1
	s_delay_alu instid0(VALU_DEP_2)
	v_add3_u32 v96, v96, v144 /*v400*/, v145 /*v401*/
	s_set_vgpr_msb 0x44                     ;  msbs: dst=1 src0=0 src1=1 src2=0
	v_mul_i32_i24_e32 v144 /*v400*/, v223, v94 /*v350*/
	v_mul_i32_i24_e32 v145 /*v401*/, v231, v119 /*v375*/
	s_set_vgpr_msb 20                       ;  msbs: dst=0 src0=0 src1=1 src2=1
	v_add3_u32 v96, v96, v146 /*v402*/, v147 /*v403*/
	s_set_vgpr_msb 0x44                     ;  msbs: dst=1 src0=0 src1=1 src2=0
	v_mul_i32_i24_e32 v146 /*v402*/, v233, v95 /*v351*/
	v_mul_i32_i24_e32 v147 /*v403*/, v235, v120 /*v376*/
	s_set_vgpr_msb 20                       ;  msbs: dst=0 src0=0 src1=1 src2=1
	;; [unrolled: 5-line block ×3, first 2 shown]
	v_add3_u32 v96, v96, v150 /*v406*/, v151 /*v407*/
	s_set_vgpr_msb 0x54                     ;  msbs: dst=1 src0=0 src1=1 src2=1
	v_mul_i32_i24_e32 v150 /*v406*/, v242, v96 /*v352*/
	v_mul_i32_i24_e32 v151 /*v407*/, v245, v123 /*v379*/
	s_delay_alu instid0(VALU_DEP_3)
	v_add3_u32 v128 /*v384*/, v96, v152 /*v408*/, v153 /*v409*/
	s_set_vgpr_msb 4                        ;  msbs: dst=0 src0=0 src1=1 src2=0
	v_mul_i32_i24_e32 v96, v220, v114 /*v370*/
	s_set_vgpr_msb 0x44                     ;  msbs: dst=1 src0=0 src1=1 src2=0
	v_mul_i32_i24_e32 v152 /*v408*/, v247, v124 /*v380*/
	v_mul_i32_i24_e32 v153 /*v409*/, v249, v126 /*v382*/
	s_set_vgpr_msb 4                        ;  msbs: dst=0 src0=0 src1=1 src2=0
	v_mad_i32_i24 v96, v219, v115 /*v371*/, v96
	s_set_vgpr_msb 20                       ;  msbs: dst=0 src0=0 src1=1 src2=1
	s_delay_alu instid0(VALU_DEP_1) | instskip(SKIP_4) | instid1(VALU_DEP_1)
	v_add3_u32 v96, v96, v75 /*v331*/, v144 /*v400*/
	s_set_vgpr_msb 0x44                     ;  msbs: dst=1 src0=0 src1=1 src2=0
	v_mul_i32_i24_e32 v75 /*v331*/, v227, v117 /*v373*/
	v_mul_i32_i24_e32 v144 /*v400*/, v229, v118 /*v374*/
	s_set_vgpr_msb 20                       ;  msbs: dst=0 src0=0 src1=1 src2=1
	v_add3_u32 v96, v96, v75 /*v331*/, v144 /*v400*/
	s_set_vgpr_msb 64                       ;  msbs: dst=1 src0=0 src1=0 src2=0
	v_mul_i32_i24_e32 v75 /*v331*/, v252, v101
	s_set_vgpr_msb 0                        ;  msbs: dst=0 src0=0 src1=0 src2=0
	v_mul_i32_i24_e32 v101, v176, v101
	s_set_vgpr_msb 20                       ;  msbs: dst=0 src0=0 src1=1 src2=1
	v_add3_u32 v96, v96, v145 /*v401*/, v146 /*v402*/
	s_set_vgpr_msb 64                       ;  msbs: dst=1 src0=0 src1=0 src2=0
	v_mul_i32_i24_e32 v145 /*v401*/, v248, v114
	s_set_vgpr_msb 0x44                     ;  msbs: dst=1 src0=0 src1=1 src2=0
	v_mul_i32_i24_e32 v146 /*v402*/, v254, v76 /*v332*/
	s_set_vgpr_msb 0                        ;  msbs: dst=0 src0=0 src1=0 src2=0
	v_mul_i32_i24_e32 v114, v174, v114
	s_set_vgpr_msb 20                       ;  msbs: dst=0 src0=0 src1=1 src2=1
	v_add3_u32 v96, v96, v147 /*v403*/, v148 /*v404*/
	s_set_vgpr_msb 0x45                     ;  msbs: dst=1 src0=1 src1=1 src2=0
	v_mul_i32_i24_e32 v147 /*v403*/, v0 /*v256*/, v81 /*v337*/
	v_mul_i32_i24_e32 v148 /*v404*/, v1 /*v257*/, v82 /*v338*/
	s_set_vgpr_msb 20                       ;  msbs: dst=0 src0=0 src1=1 src2=1
	v_add3_u32 v96, v96, v149 /*v405*/, v150 /*v406*/
	s_set_vgpr_msb 0x45                     ;  msbs: dst=1 src0=1 src1=1 src2=0
	v_mul_i32_i24_e32 v149 /*v405*/, v3 /*v259*/, v90 /*v346*/
	v_mul_i32_i24_e32 v150 /*v406*/, v5 /*v261*/, v91 /*v347*/
	;; [unrolled: 5-line block ×3, first 2 shown]
	s_set_vgpr_msb 0x54                     ;  msbs: dst=1 src0=0 src1=1 src2=1
	v_add3_u32 v144 /*v400*/, v96, v153 /*v409*/, v154 /*v410*/
	s_set_vgpr_msb 0                        ;  msbs: dst=0 src0=0 src1=0 src2=0
	v_mul_i32_i24_e32 v96, v243, v98
	v_mul_i32_i24_e32 v98, v173, v98
	s_set_vgpr_msb 0x45                     ;  msbs: dst=1 src0=1 src1=1 src2=0
	v_mul_i32_i24_e32 v153 /*v409*/, v12 /*v268*/, v103 /*v359*/
	v_mul_i32_i24_e32 v154 /*v410*/, v14 /*v270*/, v104 /*v360*/
	s_set_vgpr_msb 0                        ;  msbs: dst=0 src0=0 src1=0 src2=0
	v_mad_i32_i24 v96, v238, v99, v96
	v_mad_i32_i24 v98, v172, v99, v98
	v_mul_i32_i24_e32 v99, v175, v118
	s_set_vgpr_msb 20                       ;  msbs: dst=0 src0=0 src1=1 src2=1
	s_delay_alu instid0(VALU_DEP_3)
	v_add3_u32 v96, v96, v75 /*v331*/, v145 /*v401*/
	s_set_vgpr_msb 64                       ;  msbs: dst=1 src0=0 src1=0 src2=0
	v_mul_i32_i24_e32 v75 /*v331*/, v250, v118
	v_mul_i32_i24_e32 v145 /*v401*/, v253, v120
	s_set_vgpr_msb 0                        ;  msbs: dst=0 src0=0 src1=0 src2=0
	v_add3_u32 v98, v98, v101, v114
	v_mul_i32_i24_e32 v101, v177, v120
	s_set_vgpr_msb 20                       ;  msbs: dst=0 src0=0 src1=1 src2=1
	v_mul_i32_i24_e32 v114, v178, v76 /*v332*/
	v_mul_i32_i24_e32 v118, v179, v81 /*v337*/
	v_add3_u32 v96, v96, v75 /*v331*/, v145 /*v401*/
	s_set_vgpr_msb 0x45                     ;  msbs: dst=1 src0=1 src1=1 src2=0
	v_mul_i32_i24_e32 v75 /*v331*/, v20 /*v276*/, v114 /*v370*/
	v_mul_i32_i24_e32 v145 /*v401*/, v23 /*v279*/, v116 /*v372*/
	s_set_vgpr_msb 0                        ;  msbs: dst=0 src0=0 src1=0 src2=0
	v_add3_u32 v98, v98, v99, v101
	s_set_vgpr_msb 20                       ;  msbs: dst=0 src0=0 src1=1 src2=1
	v_mul_i32_i24_e32 v120, v180, v82 /*v338*/
	v_add3_u32 v96, v96, v146 /*v402*/, v147 /*v403*/
	s_set_vgpr_msb 0x55                     ;  msbs: dst=1 src0=1 src1=1 src2=1
	v_mul_i32_i24_e32 v146 /*v402*/, v25 /*v281*/, v94 /*v350*/
	v_mad_i32_i24 v75 /*v331*/, v18 /*v274*/, v115 /*v371*/, v75 /*v331*/
	v_mul_i32_i24_e32 v147 /*v403*/, v28 /*v284*/, v119 /*v375*/
	s_set_vgpr_msb 0x44                     ;  msbs: dst=1 src0=0 src1=1 src2=0
	v_mul_i32_i24_e32 v76 /*v332*/, v181, v90 /*v346*/
	s_set_vgpr_msb 20                       ;  msbs: dst=0 src0=0 src1=1 src2=1
	v_add3_u32 v96, v96, v148 /*v404*/, v149 /*v405*/
	s_set_vgpr_msb 0x55                     ;  msbs: dst=1 src0=1 src1=1 src2=1
	v_mul_i32_i24_e32 v148 /*v404*/, v29 /*v285*/, v95 /*v351*/
	v_add3_u32 v75 /*v331*/, v75 /*v331*/, v145 /*v401*/, v146 /*v402*/
	v_mul_i32_i24_e32 v145 /*v401*/, v26 /*v282*/, v117 /*v373*/
	v_mul_i32_i24_e32 v146 /*v402*/, v27 /*v283*/, v118 /*v374*/
	s_set_vgpr_msb 20                       ;  msbs: dst=0 src0=0 src1=1 src2=1
	v_add3_u32 v96, v96, v150 /*v406*/, v151 /*v407*/
	s_set_vgpr_msb 0x55                     ;  msbs: dst=1 src0=1 src1=1 src2=1
	v_mul_i32_i24_e32 v149 /*v405*/, v30 /*v286*/, v120 /*v376*/
	v_mul_i32_i24_e32 v150 /*v406*/, v31 /*v287*/, v121 /*v377*/
	;; [unrolled: 1-line block ×3, first 2 shown]
	v_add3_u32 v75 /*v331*/, v75 /*v331*/, v145 /*v401*/, v146 /*v402*/
	s_set_vgpr_msb 20                       ;  msbs: dst=0 src0=0 src1=1 src2=1
	v_add3_u32 v96, v96, v152 /*v408*/, v153 /*v409*/
	s_set_vgpr_msb 0x45                     ;  msbs: dst=1 src0=1 src1=1 src2=0
	v_mul_i32_i24_e32 v152 /*v408*/, v33 /*v289*/, v96 /*v352*/
	s_set_vgpr_msb 0                        ;  msbs: dst=0 src0=0 src1=0 src2=0
	v_add3_u32 v98, v98, v114, v118
	s_set_vgpr_msb 0x55                     ;  msbs: dst=1 src0=1 src1=1 src2=1
	v_mul_i32_i24_e32 v153 /*v409*/, v34 /*v290*/, v123 /*v379*/
	v_add3_u32 v75 /*v331*/, v75 /*v331*/, v147 /*v403*/, v148 /*v404*/
	s_set_vgpr_msb 20                       ;  msbs: dst=0 src0=0 src1=1 src2=1
	v_add3_u32 v96, v96, v154 /*v410*/, v155 /*v411*/
	s_set_vgpr_msb 0x45                     ;  msbs: dst=1 src0=1 src1=1 src2=0
	v_mul_i32_i24_e32 v154 /*v410*/, v35 /*v291*/, v124 /*v380*/
	s_set_vgpr_msb 0x44                     ;  msbs: dst=1 src0=0 src1=1 src2=0
	v_mul_i32_i24_e32 v81 /*v337*/, v182, v91 /*v347*/
	v_mul_i32_i24_e32 v82 /*v338*/, v183, v92 /*v348*/
	s_set_vgpr_msb 0x55                     ;  msbs: dst=1 src0=1 src1=1 src2=1
	v_add3_u32 v75 /*v331*/, v75 /*v331*/, v149 /*v405*/, v150 /*v406*/
	s_set_vgpr_msb 16                       ;  msbs: dst=0 src0=0 src1=0 src2=1
	v_add3_u32 v98, v98, v120, v76 /*v332*/
	s_set_vgpr_msb 4                        ;  msbs: dst=0 src0=0 src1=1 src2=0
	v_mul_lo_u32 v96, v96, v66 /*v322*/
	s_set_vgpr_msb 0x45                     ;  msbs: dst=1 src0=1 src1=1 src2=0
	v_mul_i32_i24_e32 v155 /*v411*/, v36 /*v292*/, v126 /*v382*/
	s_set_vgpr_msb 0x44                     ;  msbs: dst=1 src0=0 src1=1 src2=0
	v_mul_i32_i24_e32 v90 /*v346*/, v184, v98 /*v354*/
	s_set_vgpr_msb 0x55                     ;  msbs: dst=1 src0=1 src1=1 src2=1
	v_add3_u32 v75 /*v331*/, v75 /*v331*/, v151 /*v407*/, v152 /*v408*/
	s_set_vgpr_msb 0x44                     ;  msbs: dst=1 src0=0 src1=1 src2=0
	v_mul_i32_i24_e32 v91 /*v347*/, v185, v103 /*v359*/
	s_set_vgpr_msb 20                       ;  msbs: dst=0 src0=0 src1=1 src2=1
	v_add3_u32 v98, v98, v81 /*v337*/, v82 /*v338*/
	s_set_vgpr_msb 0x44                     ;  msbs: dst=1 src0=0 src1=1 src2=0
	v_mul_i32_i24_e32 v92 /*v348*/, v186, v104 /*v360*/
	s_set_vgpr_msb 4                        ;  msbs: dst=0 src0=0 src1=1 src2=0
	v_mul_i32_i24_e32 v99, v190, v116 /*v372*/
	s_set_vgpr_msb 0x55                     ;  msbs: dst=1 src0=1 src1=1 src2=1
	v_add3_u32 v75 /*v331*/, v75 /*v331*/, v153 /*v409*/, v154 /*v410*/
	s_set_vgpr_msb 20                       ;  msbs: dst=0 src0=0 src1=1 src2=1
	v_mul_i32_i24_e32 v101, v191, v94 /*v350*/
	v_add3_u32 v98, v98, v90 /*v346*/, v91 /*v347*/
	v_mul_i32_i24_e32 v114, v194, v119 /*v375*/
	v_mul_i32_i24_e32 v118, v195, v95 /*v351*/
	s_set_vgpr_msb 0x55                     ;  msbs: dst=1 src0=1 src1=1 src2=1
	v_add3_u32 v145 /*v401*/, v75 /*v331*/, v155 /*v411*/, v156 /*v412*/
	s_set_vgpr_msb 4                        ;  msbs: dst=0 src0=0 src1=1 src2=0
	v_mul_i32_i24_e32 v120, v196, v120 /*v376*/
	s_set_vgpr_msb 0x44                     ;  msbs: dst=1 src0=0 src1=1 src2=0
	v_mul_i32_i24_e32 v76 /*v332*/, v197, v121 /*v377*/
	s_set_vgpr_msb 0x45                     ;  msbs: dst=1 src0=1 src1=1 src2=0
	v_mul_i32_i24_e32 v149 /*v405*/, v142 /*v398*/, v62 /*v318*/
	s_set_vgpr_msb 0x44                     ;  msbs: dst=1 src0=0 src1=1 src2=0
	v_mul_i32_i24_e32 v81 /*v337*/, v198, v122 /*v378*/
	s_set_vgpr_msb 5                        ;  msbs: dst=0 src0=1 src1=1 src2=0
	v_mad_u32 v96, v145 /*v401*/, v60 /*v316*/, v96
	s_set_vgpr_msb 0x54                     ;  msbs: dst=1 src0=0 src1=1 src2=1
	v_add3_u32 v145 /*v401*/, v98, v92 /*v348*/, v93 /*v349*/
	s_set_vgpr_msb 4                        ;  msbs: dst=0 src0=0 src1=1 src2=0
	v_mul_i32_i24_e32 v98, v189, v114 /*v370*/
	s_set_vgpr_msb 0x44                     ;  msbs: dst=1 src0=0 src1=1 src2=0
	v_mul_i32_i24_e32 v82 /*v338*/, v199, v96 /*v352*/
	s_set_vgpr_msb 0x55                     ;  msbs: dst=1 src0=1 src1=1 src2=1
	v_mul_i32_i24_e32 v147 /*v403*/, v139 /*v395*/, v65 /*v321*/
	v_mul_i32_i24_e32 v148 /*v404*/, v140 /*v396*/, v64 /*v320*/
	v_mad_i32_i24 v149 /*v405*/, v141 /*v397*/, v63 /*v319*/, v149 /*v405*/
	s_set_vgpr_msb 4                        ;  msbs: dst=0 src0=0 src1=1 src2=0
	v_mad_i32_i24 v98, v187, v115 /*v371*/, v98
	s_set_vgpr_msb 0x44                     ;  msbs: dst=1 src0=0 src1=1 src2=0
	v_mul_i32_i24_e32 v90 /*v346*/, v200, v123 /*v379*/
	v_mul_i32_i24_e32 v91 /*v347*/, v201, v124 /*v380*/
	s_set_vgpr_msb 0x45                     ;  msbs: dst=1 src0=1 src1=1 src2=0
	v_mul_i32_i24_e32 v75 /*v331*/, v137 /*v393*/, v67 /*v323*/
	v_mul_i32_i24_e32 v146 /*v402*/, v138 /*v394*/, v59 /*v315*/
	s_set_vgpr_msb 0                        ;  msbs: dst=0 src0=0 src1=0 src2=0
	v_add3_u32 v98, v98, v99, v101
	s_set_vgpr_msb 4                        ;  msbs: dst=0 src0=0 src1=1 src2=0
	v_mul_i32_i24_e32 v99, v192, v117 /*v373*/
	v_mul_i32_i24_e32 v101, v193, v118 /*v374*/
	s_set_vgpr_msb 0x55                     ;  msbs: dst=1 src0=1 src1=1 src2=1
	v_add3_u32 v147 /*v403*/, v149 /*v405*/, v148 /*v404*/, v147 /*v403*/
	s_set_vgpr_msb 0x44                     ;  msbs: dst=1 src0=0 src1=1 src2=0
	v_mul_i32_i24_e32 v92 /*v348*/, v202, v126 /*v382*/
	v_mul_i32_i24_e32 v93 /*v349*/, v203, v97 /*v353*/
	s_set_vgpr_msb 0                        ;  msbs: dst=0 src0=0 src1=0 src2=0
	v_cvt_f32_i32_e32 v96, v96
	v_add3_u32 v98, v98, v99, v101
	s_set_vgpr_msb 0x55                     ;  msbs: dst=1 src0=1 src1=1 src2=1
	v_add3_u32 v75 /*v331*/, v147 /*v403*/, v75 /*v331*/, v146 /*v402*/
	s_set_vgpr_msb 0                        ;  msbs: dst=0 src0=0 src1=0 src2=0
	s_delay_alu instid0(VALU_DEP_2) | instskip(SKIP_1) | instid1(VALU_DEP_1)
	v_add3_u32 v98, v98, v114, v118
	s_set_vgpr_msb 16                       ;  msbs: dst=0 src0=0 src1=0 src2=1
	v_add3_u32 v98, v98, v120, v76 /*v332*/
	s_set_vgpr_msb 20                       ;  msbs: dst=0 src0=0 src1=1 src2=1
	s_delay_alu instid0(VALU_DEP_1) | instskip(NEXT) | instid1(VALU_DEP_1)
	v_add3_u32 v98, v98, v81 /*v337*/, v82 /*v338*/
	v_add3_u32 v98, v98, v90 /*v346*/, v91 /*v347*/
	s_set_vgpr_msb 0x54                     ;  msbs: dst=1 src0=0 src1=1 src2=1
	s_delay_alu instid0(VALU_DEP_1) | instskip(SKIP_2) | instid1(VALU_DEP_1)
	v_add3_u32 v146 /*v402*/, v98, v92 /*v348*/, v93 /*v349*/
	s_set_vgpr_msb 0                        ;  msbs: dst=0 src0=0 src1=0 src2=0
	v_or_b32_e32 v98, s18, v149
	v_dual_lshlrev_b32 v99, 2, v98 :: v_dual_lshrrev_b32 v98, 1, v98
	s_set_vgpr_msb 64                       ;  msbs: dst=1 src0=0 src1=0 src2=0
	ds_load_b32 v76 /*v332*/, v98 offset:30368
	ds_load_b128 v[90:93] /*v[346:349]*/, v99 offset:16896
	ds_load_b128 v[116:119] /*v[372:375]*/, v99 offset:16912
	s_set_vgpr_msb 4                        ;  msbs: dst=0 src0=0 src1=1 src2=0
	ds_load_u16 v102, v102
	s_wait_dscnt 0x2
	v_ashrrev_i32_e32 v114, 24, v90 /*v346*/
	s_set_vgpr_msb 0x44                     ;  msbs: dst=1 src0=0 src1=1 src2=0
	v_ashrrev_i32_e32 v82 /*v338*/, 24, v91 /*v347*/
	s_set_vgpr_msb 1                        ;  msbs: dst=0 src0=1 src1=0 src2=0
	v_bfe_i32 v98, v90 /*v346*/, 0, 8
	v_bfe_i32 v99, v90 /*v346*/, 8, 8
	;; [unrolled: 1-line block ×5, first 2 shown]
	s_set_vgpr_msb 0x41                     ;  msbs: dst=1 src0=1 src1=0 src2=0
	v_bfe_i32 v81 /*v337*/, v91 /*v347*/, 16, 8
	v_bfe_i32 v90 /*v346*/, v92 /*v348*/, 0, 8
	;; [unrolled: 1-line block ×4, first 2 shown]
	s_set_vgpr_msb 0x44                     ;  msbs: dst=1 src0=0 src1=1 src2=0
	v_ashrrev_i32_e32 v92 /*v348*/, 24, v92 /*v348*/
	s_set_vgpr_msb 0x41                     ;  msbs: dst=1 src0=1 src1=0 src2=0
	v_bfe_i32 v95 /*v351*/, v93 /*v349*/, 0, 8
	v_bfe_i32 v96 /*v352*/, v93 /*v349*/, 8, 8
	;; [unrolled: 1-line block ×3, first 2 shown]
	s_set_vgpr_msb 0x44                     ;  msbs: dst=1 src0=0 src1=1 src2=0
	v_ashrrev_i32_e32 v93 /*v349*/, 24, v93 /*v349*/
	s_set_vgpr_msb 0x41                     ;  msbs: dst=1 src0=1 src1=0 src2=0
	v_add_nc_u32_e32 v98 /*v354*/, v82 /*v338*/, v114
	s_set_vgpr_msb 64                       ;  msbs: dst=1 src0=0 src1=0 src2=0
	v_mul_i32_i24_e32 v103 /*v359*/, v224, v101
	v_mul_i32_i24_e32 v104 /*v360*/, v127, v114
	s_set_vgpr_msb 0x44                     ;  msbs: dst=1 src0=0 src1=1 src2=0
	v_mul_i32_i24_e32 v114 /*v370*/, v226, v81 /*v337*/
	v_mul_i32_i24_e32 v115 /*v371*/, v228, v82 /*v338*/
	s_set_vgpr_msb 0x55                     ;  msbs: dst=1 src0=1 src1=1 src2=1
	v_add3_u32 v147 /*v403*/, v98 /*v354*/, v92 /*v348*/, v93 /*v349*/
	s_set_vgpr_msb 0x41                     ;  msbs: dst=1 src0=1 src1=0 src2=0
	v_add_nc_u32_e32 v98 /*v354*/, v81 /*v337*/, v101
	s_set_vgpr_msb 0x44                     ;  msbs: dst=1 src0=0 src1=1 src2=0
	v_mul_i32_i24_e32 v123 /*v379*/, v230, v90 /*v346*/
	v_mul_i32_i24_e32 v124 /*v380*/, v232, v91 /*v347*/
	;; [unrolled: 1-line block ×4, first 2 shown]
	s_set_vgpr_msb 0x55                     ;  msbs: dst=1 src0=1 src1=1 src2=1
	v_add3_u32 v148 /*v404*/, v98 /*v354*/, v94 /*v350*/, v97 /*v353*/
	s_set_vgpr_msb 64                       ;  msbs: dst=1 src0=0 src1=0 src2=0
	v_add_nc_u32_e32 v98 /*v354*/, v120, v99
	s_set_vgpr_msb 0x44                     ;  msbs: dst=1 src0=0 src1=1 src2=0
	v_mul_i32_i24_e32 v152 /*v408*/, v239, v95 /*v351*/
	v_mul_i32_i24_e32 v153 /*v409*/, v241, v96 /*v352*/
	;; [unrolled: 1-line block ×4, first 2 shown]
	s_set_vgpr_msb 0x55                     ;  msbs: dst=1 src0=1 src1=1 src2=1
	v_add3_u32 v149 /*v405*/, v98 /*v354*/, v91 /*v347*/, v96 /*v352*/
	s_set_vgpr_msb 64                       ;  msbs: dst=1 src0=0 src1=0 src2=0
	v_add_nc_u32_e32 v98 /*v354*/, v118, v98
	s_wait_dscnt 0x1
	s_set_vgpr_msb 0x41                     ;  msbs: dst=1 src0=1 src1=0 src2=0
	v_bfe_i32 v120 /*v376*/, v116 /*v372*/, 0, 8
	v_bfe_i32 v121 /*v377*/, v116 /*v372*/, 8, 8
	;; [unrolled: 1-line block ×3, first 2 shown]
	s_set_vgpr_msb 0x55                     ;  msbs: dst=1 src0=1 src1=1 src2=1
	v_ashrrev_i32_e32 v116 /*v372*/, 24, v116 /*v372*/
	v_add3_u32 v150 /*v406*/, v98 /*v354*/, v90 /*v346*/, v95 /*v351*/
	s_set_vgpr_msb 64                       ;  msbs: dst=1 src0=0 src1=0 src2=0
	v_mul_i32_i24_e32 v98 /*v354*/, v121, v98
	s_set_vgpr_msb 0x44                     ;  msbs: dst=1 src0=0 src1=1 src2=0
	v_mul_i32_i24_e32 v156 /*v412*/, v216, v96 /*v352*/
	v_mul_i32_i24_e32 v157 /*v413*/, v217, v97 /*v353*/
	;; [unrolled: 1-line block ×3, first 2 shown]
	s_set_vgpr_msb 0x45                     ;  msbs: dst=1 src0=1 src1=1 src2=0
	v_mul_i32_i24_e32 v159 /*v415*/, v14 /*v270*/, v97 /*v353*/
	s_set_vgpr_msb 0x50                     ;  msbs: dst=1 src0=0 src1=0 src2=1
	v_mad_i32_i24 v98 /*v354*/, v119, v99, v98 /*v354*/
	s_set_vgpr_msb 0x44                     ;  msbs: dst=1 src0=0 src1=1 src2=0
	v_mul_i32_i24_e32 v160 /*v416*/, v209, v93 /*v349*/
	v_mul_i32_i24_e32 v93 /*v349*/, v188, v93 /*v349*/
	s_set_vgpr_msb 0x55                     ;  msbs: dst=1 src0=1 src1=1 src2=1
	v_bfe_i32 v168 /*v424*/, v118 /*v374*/, 16, 8
	v_bfe_i32 v169 /*v425*/, v119 /*v375*/, 0, 8
	v_add3_u32 v98 /*v354*/, v98 /*v354*/, v103 /*v359*/, v104 /*v360*/
	s_set_vgpr_msb 64                       ;  msbs: dst=1 src0=0 src1=0 src2=0
	v_mul_i32_i24_e32 v103 /*v359*/, v222, v118
	v_mul_i32_i24_e32 v104 /*v360*/, v225, v120
	s_set_vgpr_msb 0x41                     ;  msbs: dst=1 src0=1 src1=0 src2=0
	v_bfe_i32 v170 /*v426*/, v119 /*v375*/, 8, 8
	v_bfe_i32 v171 /*v427*/, v119 /*v375*/, 16, 8
	s_set_vgpr_msb 0x55                     ;  msbs: dst=1 src0=1 src1=1 src2=1
	v_ashrrev_i32_e32 v119 /*v375*/, 24, v119 /*v375*/
	v_mul_i32_i24_e32 v175 /*v431*/, v21 /*v277*/, v169 /*v425*/
	v_add3_u32 v98 /*v354*/, v98 /*v354*/, v103 /*v359*/, v104 /*v360*/
	v_mul_i32_i24_e32 v103 /*v359*/, v2 /*v258*/, v122 /*v378*/
	v_mul_i32_i24_e32 v104 /*v360*/, v4 /*v260*/, v116 /*v372*/
	;; [unrolled: 1-line block ×4, first 2 shown]
	v_add3_u32 v98 /*v354*/, v98 /*v354*/, v114 /*v370*/, v115 /*v371*/
	s_set_vgpr_msb 0x44                     ;  msbs: dst=1 src0=0 src1=1 src2=0
	v_mul_i32_i24_e32 v114 /*v370*/, v208, v81 /*v337*/
	v_mul_i32_i24_e32 v115 /*v371*/, v210, v82 /*v338*/
	;; [unrolled: 1-line block ×3, first 2 shown]
	s_set_vgpr_msb 0x55                     ;  msbs: dst=1 src0=1 src1=1 src2=1
	v_add3_u32 v98 /*v354*/, v98 /*v354*/, v123 /*v379*/, v124 /*v380*/
	s_set_vgpr_msb 0x44                     ;  msbs: dst=1 src0=0 src1=1 src2=0
	v_mul_i32_i24_e32 v124 /*v380*/, v211, v90 /*v346*/
	s_set_vgpr_msb 0x55                     ;  msbs: dst=1 src0=1 src1=1 src2=1
	s_delay_alu instid0(VALU_DEP_2) | instskip(NEXT) | instid1(VALU_DEP_1)
	v_add3_u32 v98 /*v354*/, v98 /*v354*/, v126 /*v382*/, v151 /*v407*/
	v_add3_u32 v98 /*v354*/, v98 /*v354*/, v152 /*v408*/, v153 /*v409*/
	s_set_vgpr_msb 0x44                     ;  msbs: dst=1 src0=0 src1=1 src2=0
	v_mul_i32_i24_e32 v152 /*v408*/, v212, v91 /*v347*/
	v_mul_i32_i24_e32 v153 /*v409*/, v213, v94 /*v350*/
	s_set_vgpr_msb 0x55                     ;  msbs: dst=1 src0=1 src1=1 src2=1
	v_add3_u32 v98 /*v354*/, v98 /*v354*/, v154 /*v410*/, v155 /*v411*/
	s_set_vgpr_msb 0x44                     ;  msbs: dst=1 src0=0 src1=1 src2=0
	v_mul_i32_i24_e32 v154 /*v410*/, v214, v92 /*v348*/
	v_mul_i32_i24_e32 v155 /*v411*/, v215, v95 /*v351*/
	s_set_vgpr_msb 0x45                     ;  msbs: dst=1 src0=1 src1=1 src2=0
	v_mul_lo_u32 v123 /*v379*/, v98 /*v354*/, v57 /*v313*/
	s_set_vgpr_msb 0x54                     ;  msbs: dst=1 src0=0 src1=1 src2=1
	v_mul_i32_i24_e32 v98 /*v354*/, v255, v120 /*v376*/
	s_delay_alu instid0(VALU_DEP_1) | instskip(SKIP_1) | instid1(VALU_DEP_1)
	v_mad_i32_i24 v98 /*v354*/, v251, v121 /*v377*/, v98 /*v354*/
	s_set_vgpr_msb 0x55                     ;  msbs: dst=1 src0=1 src1=1 src2=1
	v_add3_u32 v126 /*v382*/, v98 /*v354*/, v103 /*v359*/, v104 /*v360*/
	v_mul_i32_i24_e32 v104 /*v360*/, v150 /*v406*/, v72 /*v328*/
	v_mul_i32_i24_e32 v98 /*v354*/, v147 /*v403*/, v56 /*v312*/
	;; [unrolled: 1-line block ×3, first 2 shown]
	s_delay_alu instid0(VALU_DEP_3) | instskip(NEXT) | instid1(VALU_DEP_1)
	v_mad_i32_i24 v104 /*v360*/, v149 /*v405*/, v70 /*v326*/, v104 /*v360*/
	v_add3_u32 v151 /*v407*/, v104 /*v360*/, v103 /*v359*/, v98 /*v354*/
	s_set_vgpr_msb 0x50                     ;  msbs: dst=1 src0=0 src1=0 src2=1
	v_mul_i32_i24_e32 v98 /*v354*/, v125, v98
	v_mul_i32_i24_e32 v103 /*v359*/, v206, v101
	v_mul_i32_i24_e32 v104 /*v360*/, v204, v114
	s_delay_alu instid0(VALU_DEP_3) | instskip(SKIP_1) | instid1(VALU_DEP_1)
	v_mad_i32_i24 v98 /*v354*/, v123, v99, v98 /*v354*/
	s_set_vgpr_msb 0x55                     ;  msbs: dst=1 src0=1 src1=1 src2=1
	v_add3_u32 v98 /*v354*/, v98 /*v354*/, v103 /*v359*/, v104 /*v360*/
	s_set_vgpr_msb 64                       ;  msbs: dst=1 src0=0 src1=0 src2=0
	v_mul_i32_i24_e32 v103 /*v359*/, v205, v118
	v_mul_i32_i24_e32 v104 /*v360*/, v207, v120
	s_set_vgpr_msb 0x55                     ;  msbs: dst=1 src0=1 src1=1 src2=1
	s_delay_alu instid0(VALU_DEP_1)
	v_add3_u32 v98 /*v354*/, v98 /*v354*/, v103 /*v359*/, v104 /*v360*/
	s_set_vgpr_msb 0x44                     ;  msbs: dst=1 src0=0 src1=1 src2=0
	v_mul_i32_i24_e32 v103 /*v359*/, v221, v122 /*v378*/
	v_mul_i32_i24_e32 v104 /*v360*/, v223, v116 /*v372*/
	s_set_vgpr_msb 0x55                     ;  msbs: dst=1 src0=1 src1=1 src2=1
	v_add3_u32 v98 /*v354*/, v98 /*v354*/, v114 /*v370*/, v115 /*v371*/
	s_set_vgpr_msb 0x44                     ;  msbs: dst=1 src0=0 src1=1 src2=0
	v_mul_i32_i24_e32 v114 /*v370*/, v254, v81 /*v337*/
	s_set_vgpr_msb 0x55                     ;  msbs: dst=1 src0=1 src1=1 src2=1
	v_mul_i32_i24_e32 v115 /*v371*/, v0 /*v256*/, v82 /*v338*/
	v_add3_u32 v98 /*v354*/, v98 /*v354*/, v124 /*v380*/, v152 /*v408*/
	v_mul_i32_i24_e32 v124 /*v380*/, v1 /*v257*/, v90 /*v346*/
	s_delay_alu instid0(VALU_DEP_2) | instskip(SKIP_1) | instid1(VALU_DEP_2)
	v_add3_u32 v98 /*v354*/, v98 /*v354*/, v153 /*v409*/, v154 /*v410*/
	v_mul_i32_i24_e32 v154 /*v410*/, v3 /*v259*/, v91 /*v347*/
	v_add3_u32 v98 /*v354*/, v98 /*v354*/, v155 /*v411*/, v156 /*v412*/
	v_mul_i32_i24_e32 v155 /*v411*/, v5 /*v261*/, v94 /*v350*/
	v_mul_i32_i24_e32 v156 /*v412*/, v7 /*v263*/, v92 /*v348*/
	s_delay_alu instid0(VALU_DEP_3)
	v_add3_u32 v152 /*v408*/, v98 /*v354*/, v157 /*v413*/, v158 /*v414*/
	s_set_vgpr_msb 0x44                     ;  msbs: dst=1 src0=0 src1=1 src2=0
	v_mul_i32_i24_e32 v98 /*v354*/, v220, v120 /*v376*/
	s_set_vgpr_msb 0x45                     ;  msbs: dst=1 src0=1 src1=1 src2=0
	v_mul_i32_i24_e32 v157 /*v413*/, v10 /*v266*/, v95 /*v351*/
	v_mul_i32_i24_e32 v158 /*v414*/, v12 /*v268*/, v96 /*v352*/
	s_set_vgpr_msb 0x54                     ;  msbs: dst=1 src0=0 src1=1 src2=1
	v_mad_i32_i24 v98 /*v354*/, v219, v121 /*v377*/, v98 /*v354*/
	s_set_vgpr_msb 0x55                     ;  msbs: dst=1 src0=1 src1=1 src2=1
	s_delay_alu instid0(VALU_DEP_1)
	v_add3_u32 v153 /*v409*/, v98 /*v354*/, v103 /*v359*/, v104 /*v360*/
	s_set_vgpr_msb 64                       ;  msbs: dst=1 src0=0 src1=0 src2=0
	v_mul_i32_i24_e32 v98 /*v354*/, v243, v98
	s_set_vgpr_msb 0                        ;  msbs: dst=0 src0=0 src1=0 src2=0
	v_mul_i32_i24_e32 v98, v173, v98
	s_set_vgpr_msb 64                       ;  msbs: dst=1 src0=0 src1=0 src2=0
	v_mul_i32_i24_e32 v103 /*v359*/, v252, v101
	v_mul_i32_i24_e32 v104 /*v360*/, v248, v114
	s_set_vgpr_msb 0                        ;  msbs: dst=0 src0=0 src1=0 src2=0
	v_mul_i32_i24_e32 v101, v176, v101
	v_mul_i32_i24_e32 v114, v174, v114
	v_mad_i32_i24 v98, v172, v99, v98
	s_set_vgpr_msb 0x50                     ;  msbs: dst=1 src0=0 src1=0 src2=1
	v_mad_i32_i24 v98 /*v354*/, v238, v99, v98 /*v354*/
	s_set_vgpr_msb 0                        ;  msbs: dst=0 src0=0 src1=0 src2=0
	v_mul_i32_i24_e32 v99, v175, v118
	v_add3_u32 v98, v98, v101, v114
	v_mul_i32_i24_e32 v101, v177, v120
	s_set_vgpr_msb 0x55                     ;  msbs: dst=1 src0=1 src1=1 src2=1
	v_add3_u32 v98 /*v354*/, v98 /*v354*/, v103 /*v359*/, v104 /*v360*/
	s_set_vgpr_msb 64                       ;  msbs: dst=1 src0=0 src1=0 src2=0
	v_mul_i32_i24_e32 v103 /*v359*/, v250, v118
	v_mul_i32_i24_e32 v104 /*v360*/, v253, v120
	s_set_vgpr_msb 4                        ;  msbs: dst=0 src0=0 src1=1 src2=0
	v_mul_i32_i24_e32 v114, v178, v81 /*v337*/
	v_mul_i32_i24_e32 v118, v179, v82 /*v338*/
	s_set_vgpr_msb 0                        ;  msbs: dst=0 src0=0 src1=0 src2=0
	v_add3_u32 v98, v98, v99, v101
	s_set_vgpr_msb 4                        ;  msbs: dst=0 src0=0 src1=1 src2=0
	v_mul_i32_i24_e32 v120, v180, v90 /*v346*/
	s_set_vgpr_msb 0x55                     ;  msbs: dst=1 src0=1 src1=1 src2=1
	v_add3_u32 v98 /*v354*/, v98 /*v354*/, v103 /*v359*/, v104 /*v360*/
	s_set_vgpr_msb 0x44                     ;  msbs: dst=1 src0=0 src1=1 src2=0
	v_mul_i32_i24_e32 v81 /*v337*/, v181, v91 /*v347*/
	v_mul_i32_i24_e32 v82 /*v338*/, v182, v94 /*v350*/
	s_set_vgpr_msb 0                        ;  msbs: dst=0 src0=0 src1=0 src2=0
	v_add3_u32 v98, v98, v114, v118
	s_set_vgpr_msb 0x44                     ;  msbs: dst=1 src0=0 src1=1 src2=0
	v_mul_i32_i24_e32 v90 /*v346*/, v183, v92 /*v348*/
	s_set_vgpr_msb 0x55                     ;  msbs: dst=1 src0=1 src1=1 src2=1
	v_add3_u32 v98 /*v354*/, v98 /*v354*/, v114 /*v370*/, v115 /*v371*/
	s_set_vgpr_msb 0x44                     ;  msbs: dst=1 src0=0 src1=1 src2=0
	v_mul_i32_i24_e32 v91 /*v347*/, v184, v95 /*v351*/
	v_mul_i32_i24_e32 v92 /*v348*/, v185, v96 /*v352*/
	s_set_vgpr_msb 16                       ;  msbs: dst=0 src0=0 src1=0 src2=1
	v_add3_u32 v98, v98, v120, v81 /*v337*/
	s_set_vgpr_msb 0x44                     ;  msbs: dst=1 src0=0 src1=1 src2=0
	v_mul_i32_i24_e32 v94 /*v350*/, v186, v97 /*v353*/
	s_set_vgpr_msb 0x55                     ;  msbs: dst=1 src0=1 src1=1 src2=1
	v_add3_u32 v98 /*v354*/, v98 /*v354*/, v124 /*v380*/, v154 /*v410*/
	s_set_vgpr_msb 4                        ;  msbs: dst=0 src0=0 src1=1 src2=0
	v_mul_i32_i24_e32 v99, v190, v122 /*v378*/
	s_wait_dscnt 0x0
	s_set_vgpr_msb 64                       ;  msbs: dst=1 src0=0 src1=0 src2=0
	v_lshrrev_b16 v81 /*v337*/, 8, v102
	s_set_vgpr_msb 20                       ;  msbs: dst=0 src0=0 src1=1 src2=1
	v_add3_u32 v98, v98, v82 /*v338*/, v90 /*v346*/
	s_set_vgpr_msb 64                       ;  msbs: dst=1 src0=0 src1=0 src2=0
	v_bfe_u32 v90 /*v346*/, v102, 4, 4
	s_set_vgpr_msb 0x55                     ;  msbs: dst=1 src0=1 src1=1 src2=1
	v_add3_u32 v98 /*v354*/, v98 /*v354*/, v155 /*v411*/, v156 /*v412*/
	v_mul_i32_i24_e32 v103 /*v359*/, v23 /*v279*/, v122 /*v378*/
	v_and_b32_e32 v82 /*v338*/, 0xffff, v81 /*v337*/
	s_set_vgpr_msb 20                       ;  msbs: dst=0 src0=0 src1=1 src2=1
	v_add3_u32 v98, v98, v91 /*v347*/, v92 /*v348*/
	s_set_vgpr_msb 0x55                     ;  msbs: dst=1 src0=1 src1=1 src2=1
	v_mul_lo_u32 v90 /*v346*/, 0x1010101, v90 /*v346*/
	v_add3_u32 v98 /*v354*/, v98 /*v354*/, v157 /*v413*/, v158 /*v414*/
	v_dual_lshrrev_b32 v82 /*v338*/, 4, v82 /*v338*/ :: v_dual_bitop2_b32 v81 /*v337*/, 15, v81 /*v337*/ bitop3:0x40
	s_set_vgpr_msb 0x54                     ;  msbs: dst=1 src0=0 src1=1 src2=1
	v_add3_u32 v157 /*v413*/, v98, v94 /*v350*/, v93 /*v349*/
	s_set_vgpr_msb 4                        ;  msbs: dst=0 src0=0 src1=1 src2=0
	v_mul_i32_i24_e32 v98, v189, v120 /*v376*/
	s_set_vgpr_msb 0x55                     ;  msbs: dst=1 src0=1 src1=1 src2=1
	v_add3_u32 v98 /*v354*/, v98 /*v354*/, v159 /*v415*/, v160 /*v416*/
	s_set_vgpr_msb 0                        ;  msbs: dst=0 src0=0 src1=0 src2=0
	v_and_b32_e32 v102, 15, v102
	s_set_vgpr_msb 0x44                     ;  msbs: dst=1 src0=0 src1=1 src2=0
	v_mul_lo_u32 v161 /*v417*/, 0x1010101, v82 /*v338*/
	s_set_vgpr_msb 4                        ;  msbs: dst=0 src0=0 src1=1 src2=0
	v_mad_i32_i24 v98, v187, v121 /*v377*/, v98
	s_set_vgpr_msb 0x45                     ;  msbs: dst=1 src0=1 src1=1 src2=0
	v_mul_lo_u32 v154 /*v410*/, v98 /*v354*/, v66 /*v322*/
	v_mul_i32_i24_e32 v98 /*v354*/, v20 /*v276*/, v120 /*v376*/
	v_lshrrev_b32_e32 v96 /*v352*/, 24, v90 /*v346*/
	s_set_vgpr_msb 4                        ;  msbs: dst=0 src0=0 src1=1 src2=0
	v_mul_i32_i24_e32 v101, v191, v116 /*v372*/
	s_set_vgpr_msb 0x55                     ;  msbs: dst=1 src0=1 src1=1 src2=1
	v_mul_i32_i24_e32 v104 /*v360*/, v25 /*v281*/, v116 /*v372*/
	v_bfe_i32 v93 /*v349*/, v90 /*v346*/, 0, 8
	v_mad_i32_i24 v98 /*v354*/, v18 /*v274*/, v121 /*v377*/, v98 /*v354*/
	v_bfe_i32 v94 /*v350*/, v90 /*v346*/, 8, 8
	s_set_vgpr_msb 0                        ;  msbs: dst=0 src0=0 src1=0 src2=0
	v_add3_u32 v118, v98, v99, v101
	v_or_b32_e32 v98, s18, v150
	v_cvt_f32_f16_e32 v99, v94
	s_set_vgpr_msb 0x55                     ;  msbs: dst=1 src0=1 src1=1 src2=1
	v_add3_u32 v155 /*v411*/, v98 /*v354*/, v103 /*v359*/, v104 /*v360*/
	v_mul_i32_i24_e32 v104 /*v360*/, v150 /*v406*/, v62 /*v318*/
	s_set_vgpr_msb 0                        ;  msbs: dst=0 src0=0 src1=0 src2=0
	v_lshrrev_b32_e32 v94, 16, v94
	v_lshlrev_b32_e32 v120, 2, v98
	s_set_vgpr_msb 64                       ;  msbs: dst=1 src0=0 src1=0 src2=0
	v_lshrrev_b32_e32 v158 /*v414*/, 1, v98
	s_set_vgpr_msb 0                        ;  msbs: dst=0 src0=0 src1=0 src2=0
	v_or_b32_e32 v98, s18, v151
	s_set_vgpr_msb 0x41                     ;  msbs: dst=1 src0=1 src1=0 src2=0
	v_bfe_i32 v95 /*v351*/, v90 /*v346*/, 16, 8
	s_set_vgpr_msb 0x44                     ;  msbs: dst=1 src0=0 src1=1 src2=0
	v_mul_i32_i24_e32 v92 /*v348*/, v124, v93 /*v349*/
	s_set_vgpr_msb 0x55                     ;  msbs: dst=1 src0=1 src1=1 src2=1
	v_mul_i32_i24_e32 v98 /*v354*/, v147 /*v403*/, v65 /*v321*/
	v_mul_i32_i24_e32 v103 /*v359*/, v148 /*v404*/, v64 /*v320*/
	v_mad_i32_i24 v104 /*v360*/, v149 /*v405*/, v63 /*v319*/, v104 /*v360*/
	s_set_vgpr_msb 0                        ;  msbs: dst=0 src0=0 src1=0 src2=0
	v_cvt_f32_f16_e32 v101, v94
	s_set_vgpr_msb 0x54                     ;  msbs: dst=1 src0=0 src1=1 src2=1
	v_mul_i32_i24_e32 v82 /*v338*/, v110, v96 /*v352*/
	v_mul_i32_i24_e32 v91 /*v347*/, v111, v95 /*v351*/
	v_mad_i32_i24 v92 /*v348*/, v122, v94 /*v350*/, v92 /*v348*/
	s_set_vgpr_msb 0x55                     ;  msbs: dst=1 src0=1 src1=1 src2=1
	v_add3_u32 v156 /*v412*/, v104 /*v360*/, v103 /*v359*/, v98 /*v354*/
	s_set_vgpr_msb 0                        ;  msbs: dst=0 src0=0 src1=0 src2=0
	v_mov_b32_e32 v114, v101
	s_set_vgpr_msb 64                       ;  msbs: dst=1 src0=0 src1=0 src2=0
	v_and_b32_e32 v98 /*v354*/, 0xffff, v102
	s_set_vgpr_msb 5                        ;  msbs: dst=0 src0=1 src1=1 src2=0
	v_mul_i32_i24_e32 v102, v84 /*v340*/, v96 /*v352*/
	s_set_vgpr_msb 0x55                     ;  msbs: dst=1 src0=1 src1=1 src2=1
	v_add3_u32 v104 /*v360*/, v92 /*v348*/, v91 /*v347*/, v82 /*v338*/
	v_mul_i32_i24_e32 v82 /*v338*/, v87 /*v343*/, v93 /*v349*/
	v_and_b32_e32 v92 /*v348*/, 0xffff, v81 /*v337*/
	v_mul_i32_i24_e32 v81 /*v337*/, v85 /*v341*/, v95 /*v351*/
	v_bfe_i32 v97 /*v353*/, v161 /*v417*/, 0, 8
	v_bfe_i32 v90 /*v346*/, v161 /*v417*/, 8, 8
	v_mad_i32_i24 v82 /*v338*/, v86 /*v342*/, v94 /*v350*/, v82 /*v338*/
	v_mul_i32_i24_e32 v91 /*v347*/, v140 /*v396*/, v95 /*v351*/
	s_set_vgpr_msb 64                       ;  msbs: dst=1 src0=0 src1=0 src2=0
	v_dual_lshlrev_b32 v159 /*v415*/, 2, v98 :: v_dual_lshrrev_b32 v160 /*v416*/, 1, v98
	s_set_vgpr_msb 0                        ;  msbs: dst=0 src0=0 src1=0 src2=0
	v_dual_mov_b32 v94, v99 :: v_dual_bitop2_b32 v98, s18, v152 bitop3:0x54
	s_set_vgpr_msb 0x45                     ;  msbs: dst=1 src0=1 src1=1 src2=0
	v_add3_u32 v163 /*v419*/, v82 /*v338*/, v81 /*v337*/, v102
	s_set_vgpr_msb 4                        ;  msbs: dst=0 src0=0 src1=1 src2=0
	v_mul_i32_i24_e32 v102, v218, v88 /*v344*/
	s_set_vgpr_msb 0x44                     ;  msbs: dst=1 src0=0 src1=1 src2=0
	v_mul_i32_i24_e32 v81 /*v337*/, v109, v113 /*v369*/
	s_set_vgpr_msb 0x45                     ;  msbs: dst=1 src0=1 src1=1 src2=0
	v_mul_i32_i24_e32 v82 /*v338*/, v109 /*v365*/, v93 /*v349*/
	v_mul_i32_i24_e32 v162 /*v418*/, v83 /*v339*/, v97 /*v353*/
	s_set_vgpr_msb 64                       ;  msbs: dst=1 src0=0 src1=0 src2=0
	v_dual_lshlrev_b32 v114 /*v370*/, 2, v98 :: v_dual_lshrrev_b32 v115 /*v371*/, 1, v98
	s_set_vgpr_msb 0x55                     ;  msbs: dst=1 src0=1 src1=1 src2=1
	v_add3_u32 v81 /*v337*/, v108 /*v364*/, v89 /*v345*/, v81 /*v337*/
	s_set_vgpr_msb 5                        ;  msbs: dst=0 src0=1 src1=1 src2=0
	v_add3_u32 v102, v100 /*v356*/, v99 /*v355*/, v102
	s_set_vgpr_msb 0x55                     ;  msbs: dst=1 src0=1 src1=1 src2=1
	v_mad_i32_i24 v82 /*v338*/, v111 /*v367*/, v94 /*v350*/, v82 /*v338*/
	v_mul_i32_i24_e32 v99 /*v355*/, v142 /*v398*/, v93 /*v349*/
	v_mul_i32_i24_e32 v89 /*v345*/, v139 /*v395*/, v96 /*v352*/
	v_mul_lo_u32 v165 /*v421*/, v81 /*v337*/, v98 /*v354*/
	s_set_vgpr_msb 0x44                     ;  msbs: dst=1 src0=0 src1=1 src2=0
	v_mul_lo_u32 v164 /*v420*/, v102, v92 /*v348*/
	s_set_vgpr_msb 5                        ;  msbs: dst=0 src0=1 src1=1 src2=0
	v_mul_i32_i24_e32 v102, v112 /*v368*/, v96 /*v352*/
	s_set_vgpr_msb 0x55                     ;  msbs: dst=1 src0=1 src1=1 src2=1
	v_mul_i32_i24_e32 v81 /*v337*/, v110 /*v366*/, v95 /*v351*/
	v_mad_i32_i24 v99 /*v355*/, v141 /*v397*/, v94 /*v350*/, v99 /*v355*/
	v_ashrrev_i32_e32 v108 /*v364*/, 24, v117 /*v373*/
	v_bfe_i32 v100 /*v356*/, v117 /*v373*/, 16, 8
	s_set_vgpr_msb 0                        ;  msbs: dst=0 src0=0 src1=0 src2=0
	v_cvt_f32_f16_e32 v98, v100
	s_set_vgpr_msb 0x45                     ;  msbs: dst=1 src0=1 src1=1 src2=0
	v_add3_u32 v166 /*v422*/, v82 /*v338*/, v81 /*v337*/, v102
	s_set_vgpr_msb 5                        ;  msbs: dst=0 src0=1 src1=1 src2=0
	v_mul_lo_u32 v102, v128 /*v384*/, v98 /*v354*/
	s_set_vgpr_msb 0x55                     ;  msbs: dst=1 src0=1 src1=1 src2=1
	v_mul_i32_i24_e32 v81 /*v337*/, v137 /*v393*/, v97 /*v353*/
	v_mul_i32_i24_e32 v82 /*v338*/, v138 /*v394*/, v90 /*v346*/
	v_add3_u32 v89 /*v345*/, v99 /*v355*/, v91 /*v347*/, v89 /*v345*/
	v_bfe_i32 v99 /*v355*/, v117 /*v373*/, 8, 8
	v_mul_i32_i24_e32 v128 /*v384*/, v17 /*v273*/, v168 /*v424*/
	s_set_vgpr_msb 0                        ;  msbs: dst=0 src0=0 src1=0 src2=0
	v_lshrrev_b32_e32 v100, 16, v100
	s_set_vgpr_msb 0x44                     ;  msbs: dst=1 src0=0 src1=1 src2=0
	v_mul_i32_i24_e32 v103 /*v359*/, v108, v97 /*v353*/
	s_set_vgpr_msb 0x55                     ;  msbs: dst=1 src0=1 src1=1 src2=1
	v_add3_u32 v167 /*v423*/, v89 /*v345*/, v81 /*v337*/, v82 /*v338*/
	v_bfe_i32 v89 /*v345*/, v117 /*v373*/, 0, 8
	v_bfe_i32 v117 /*v373*/, v118 /*v374*/, 0, 8
	s_set_vgpr_msb 5                        ;  msbs: dst=0 src0=1 src1=1 src2=0
	v_mad_u32 v102, v144 /*v400*/, v92 /*v348*/, v102
	s_set_vgpr_msb 0x41                     ;  msbs: dst=1 src0=1 src1=0 src2=0
	v_bfe_i32 v144 /*v400*/, v118 /*v374*/, 8, 8
	s_set_vgpr_msb 0x45                     ;  msbs: dst=1 src0=1 src1=1 src2=0
	v_ashrrev_i32_e32 v118 /*v374*/, 24, v118 /*v374*/
	v_mul_i32_i24_e32 v91 /*v347*/, v9 /*v265*/, v99 /*v355*/
	s_set_vgpr_msb 0                        ;  msbs: dst=0 src0=0 src1=0 src2=0
	v_cvt_f32_f16_e32 v100, v100
	s_set_vgpr_msb 0x45                     ;  msbs: dst=1 src0=1 src1=1 src2=0
	v_mul_i32_i24_e32 v174 /*v430*/, v19 /*v275*/, v118 /*v374*/
	s_set_vgpr_msb 64                       ;  msbs: dst=1 src0=0 src1=0 src2=0
	v_cvt_f32_i32_e32 v124 /*v380*/, v102
	s_set_vgpr_msb 5                        ;  msbs: dst=0 src0=1 src1=1 src2=0
	v_add_nc_u32_e32 v102, v108 /*v364*/, v116 /*v372*/
	s_set_vgpr_msb 0x45                     ;  msbs: dst=1 src0=1 src1=1 src2=0
	v_mul_i32_i24_e32 v116 /*v372*/, v11 /*v267*/, v100 /*v356*/
	s_set_vgpr_msb 0x54                     ;  msbs: dst=1 src0=0 src1=1 src2=1
	s_delay_alu instid0(VALU_DEP_2)
	v_add3_u32 v81 /*v337*/, v102, v118 /*v374*/, v119 /*v375*/
	s_set_vgpr_msb 5                        ;  msbs: dst=0 src0=1 src1=1 src2=0
	v_add_nc_u32_e32 v102, v100 /*v356*/, v122 /*v378*/
	s_set_vgpr_msb 0x45                     ;  msbs: dst=1 src0=1 src1=1 src2=0
	v_mul_i32_i24_e32 v122 /*v378*/, v16 /*v272*/, v144 /*v400*/
	s_set_vgpr_msb 0x54                     ;  msbs: dst=1 src0=0 src1=1 src2=1
	s_delay_alu instid0(VALU_DEP_2)
	v_add3_u32 v82 /*v338*/, v102, v168 /*v424*/, v171 /*v427*/
	;; [unrolled: 7-line block ×3, first 2 shown]
	s_set_vgpr_msb 5                        ;  msbs: dst=0 src0=1 src1=1 src2=0
	v_add_nc_u32_e32 v102, v99 /*v355*/, v121 /*v377*/
	s_set_vgpr_msb 0x45                     ;  msbs: dst=1 src0=1 src1=1 src2=0
	v_mul_i32_i24_e32 v121 /*v377*/, v15 /*v271*/, v117 /*v373*/
	s_set_vgpr_msb 0x54                     ;  msbs: dst=1 src0=0 src1=1 src2=1
	s_delay_alu instid0(VALU_DEP_2) | instskip(SKIP_3) | instid1(VALU_DEP_1)
	v_add3_u32 v173 /*v429*/, v102, v144 /*v400*/, v170 /*v426*/
	s_set_vgpr_msb 5                        ;  msbs: dst=0 src0=1 src1=1 src2=0
	v_mul_i32_i24_e32 v102, v6 /*v262*/, v89 /*v345*/
	s_set_vgpr_msb 17                       ;  msbs: dst=0 src0=1 src1=0 src2=1
	v_add3_u32 v102, v126 /*v382*/, v102, v91 /*v347*/
	s_set_vgpr_msb 0x45                     ;  msbs: dst=1 src0=1 src1=1 src2=0
	v_mul_i32_i24_e32 v91 /*v347*/, v172 /*v428*/, v58 /*v314*/
	s_set_vgpr_msb 20                       ;  msbs: dst=0 src0=0 src1=1 src2=1
	s_delay_alu instid0(VALU_DEP_2)
	v_add3_u32 v102, v102, v116 /*v372*/, v120 /*v376*/
	s_set_vgpr_msb 0x45                     ;  msbs: dst=1 src0=1 src1=1 src2=0
	v_mul_i32_i24_e32 v116 /*v372*/, v173 /*v429*/, v55 /*v311*/
	s_set_vgpr_msb 0x44                     ;  msbs: dst=1 src0=0 src1=1 src2=0
	v_mul_i32_i24_e32 v120 /*v376*/, v231, v100 /*v356*/
	s_set_vgpr_msb 20                       ;  msbs: dst=0 src0=0 src1=1 src2=1
	v_add3_u32 v102, v102, v121 /*v377*/, v122 /*v378*/
	s_set_vgpr_msb 0x55                     ;  msbs: dst=1 src0=1 src1=1 src2=1
	v_add3_u32 v151 /*v407*/, v151 /*v407*/, v91 /*v347*/, v116 /*v372*/
	s_set_vgpr_msb 0x44                     ;  msbs: dst=1 src0=0 src1=1 src2=0
	v_mul_i32_i24_e32 v91 /*v347*/, v227, v89 /*v345*/
	v_mul_i32_i24_e32 v116 /*v372*/, v229, v99 /*v355*/
	v_mul_i32_i24_e32 v121 /*v377*/, v233, v108 /*v364*/
	s_set_vgpr_msb 20                       ;  msbs: dst=0 src0=0 src1=1 src2=1
	v_add3_u32 v102, v102, v128 /*v384*/, v174 /*v430*/
	s_set_vgpr_msb 0x44                     ;  msbs: dst=1 src0=0 src1=1 src2=0
	v_mul_i32_i24_e32 v122 /*v378*/, v235, v117 /*v373*/
	v_mul_i32_i24_e32 v128 /*v384*/, v240, v168 /*v424*/
	s_set_vgpr_msb 0x55                     ;  msbs: dst=1 src0=1 src1=1 src2=1
	v_add3_u32 v91 /*v347*/, v153 /*v409*/, v91 /*v347*/, v116 /*v372*/
	s_set_vgpr_msb 0x44                     ;  msbs: dst=1 src0=0 src1=1 src2=0
	v_mul_i32_i24_e32 v174 /*v430*/, v245, v169 /*v425*/
	s_set_vgpr_msb 20                       ;  msbs: dst=0 src0=0 src1=1 src2=1
	v_add3_u32 v102, v102, v175 /*v431*/, v176 /*v432*/
	s_set_vgpr_msb 0x44                     ;  msbs: dst=1 src0=0 src1=1 src2=0
	v_mul_i32_i24_e32 v175 /*v431*/, v247, v170 /*v426*/
	v_mul_i32_i24_e32 v176 /*v432*/, v249, v171 /*v427*/
	s_set_vgpr_msb 0x55                     ;  msbs: dst=1 src0=1 src1=1 src2=1
	v_add3_u32 v91 /*v347*/, v91 /*v347*/, v120 /*v376*/, v121 /*v377*/
	v_mul_i32_i24_e32 v121 /*v377*/, v147 /*v403*/, v96 /*v352*/
	s_set_vgpr_msb 20                       ;  msbs: dst=0 src0=0 src1=1 src2=1
	v_add3_u32 v102, v102, v177 /*v433*/, v178 /*v434*/
	s_set_vgpr_msb 0x44                     ;  msbs: dst=1 src0=0 src1=1 src2=0
	v_mul_i32_i24_e32 v177 /*v433*/, v218, v119 /*v375*/
	s_set_vgpr_msb 0x45                     ;  msbs: dst=1 src0=1 src1=1 src2=0
	v_mul_i32_i24_e32 v116 /*v372*/, v172 /*v428*/, v97 /*v353*/
	v_mul_i32_i24_e32 v120 /*v376*/, v173 /*v429*/, v90 /*v346*/
	;; [unrolled: 1-line block ×3, first 2 shown]
	s_set_vgpr_msb 20                       ;  msbs: dst=0 src0=0 src1=1 src2=1
	v_mad_u32 v102, v102, v54 /*v310*/, v123 /*v379*/
	s_set_vgpr_msb 0x44                     ;  msbs: dst=1 src0=0 src1=1 src2=0
	v_mul_i32_i24_e32 v123 /*v379*/, v237, v144 /*v400*/
	s_set_vgpr_msb 0x55                     ;  msbs: dst=1 src0=1 src1=1 src2=1
	s_delay_alu instid0(VALU_DEP_1)
	v_add3_u32 v91 /*v347*/, v91 /*v347*/, v122 /*v378*/, v123 /*v379*/
	v_mul_i32_i24_e32 v123 /*v379*/, v150 /*v406*/, v93 /*v349*/
	v_mul_i32_i24_e32 v122 /*v378*/, v148 /*v404*/, v95 /*v351*/
	s_set_vgpr_msb 64                       ;  msbs: dst=1 src0=0 src1=0 src2=0
	v_cvt_f32_i32_e32 v126 /*v382*/, v102
	s_set_vgpr_msb 5                        ;  msbs: dst=0 src0=1 src1=1 src2=0
	v_mul_lo_u32 v102, v152 /*v408*/, v98 /*v354*/
	s_set_vgpr_msb 0x44                     ;  msbs: dst=1 src0=0 src1=1 src2=0
	v_mul_i32_i24_e32 v152 /*v408*/, v242, v118 /*v374*/
	s_set_vgpr_msb 0x55                     ;  msbs: dst=1 src0=1 src1=1 src2=1
	v_mad_i32_i24 v123 /*v379*/, v149 /*v405*/, v94 /*v350*/, v123 /*v379*/
	s_set_vgpr_msb 0x44                     ;  msbs: dst=1 src0=0 src1=1 src2=0
	v_mul_i32_i24_e32 v118 /*v374*/, v199, v118 /*v374*/
	s_set_vgpr_msb 0x55                     ;  msbs: dst=1 src0=1 src1=1 src2=1
	v_add3_u32 v91 /*v347*/, v91 /*v347*/, v128 /*v384*/, v152 /*v408*/
	v_add3_u32 v121 /*v377*/, v123 /*v379*/, v122 /*v378*/, v121 /*v377*/
	v_mul_i32_i24_e32 v122 /*v378*/, v31 /*v287*/, v144 /*v400*/
	v_mul_i32_i24_e32 v123 /*v379*/, v32 /*v288*/, v168 /*v424*/
	s_delay_alu instid0(VALU_DEP_4) | instskip(NEXT) | instid1(VALU_DEP_4)
	v_add3_u32 v91 /*v347*/, v91 /*v347*/, v174 /*v430*/, v175 /*v431*/
	v_add3_u32 v152 /*v408*/, v121 /*v377*/, v116 /*v372*/, v120 /*v376*/
	v_mul_i32_i24_e32 v116 /*v372*/, v28 /*v284*/, v100 /*v356*/
	v_mul_i32_i24_e32 v120 /*v376*/, v29 /*v285*/, v108 /*v364*/
	s_set_vgpr_msb 0x44                     ;  msbs: dst=1 src0=0 src1=1 src2=0
	v_mul_i32_i24_e32 v100 /*v356*/, v194, v100 /*v356*/
	s_set_vgpr_msb 0x55                     ;  msbs: dst=1 src0=1 src1=1 src2=1
	v_add3_u32 v91 /*v347*/, v91 /*v347*/, v176 /*v432*/, v177 /*v433*/
	s_set_vgpr_msb 0x44                     ;  msbs: dst=1 src0=0 src1=1 src2=0
	v_mul_i32_i24_e32 v108 /*v364*/, v195, v108 /*v364*/
	s_set_vgpr_msb 0x45                     ;  msbs: dst=1 src0=1 src1=1 src2=0
	v_mul_i32_i24_e32 v121 /*v377*/, v30 /*v286*/, v117 /*v373*/
	v_mul_i32_i24_e32 v177 /*v433*/, v8 /*v264*/, v119 /*v375*/
	s_set_vgpr_msb 0x44                     ;  msbs: dst=1 src0=0 src1=1 src2=0
	v_mul_i32_i24_e32 v119 /*v375*/, v203, v119 /*v375*/
	s_set_vgpr_msb 5                        ;  msbs: dst=0 src0=1 src1=1 src2=0
	v_mad_u32 v102, v91 /*v347*/, v92 /*v348*/, v102
	s_set_vgpr_msb 0x45                     ;  msbs: dst=1 src0=1 src1=1 src2=0
	v_mul_i32_i24_e32 v91 /*v347*/, v27 /*v283*/, v99 /*v355*/
	s_set_vgpr_msb 0x44                     ;  msbs: dst=1 src0=0 src1=1 src2=0
	v_mul_i32_i24_e32 v99 /*v355*/, v193, v99 /*v355*/
	s_set_vgpr_msb 0x45                     ;  msbs: dst=1 src0=1 src1=1 src2=0
	v_mul_i32_i24_e32 v174 /*v430*/, v34 /*v290*/, v169 /*v425*/
	v_mul_i32_i24_e32 v175 /*v431*/, v35 /*v291*/, v170 /*v426*/
	;; [unrolled: 1-line block ×3, first 2 shown]
	s_set_vgpr_msb 64                       ;  msbs: dst=1 src0=0 src1=0 src2=0
	v_cvt_f32_i32_e32 v128 /*v384*/, v102
	s_set_vgpr_msb 5                        ;  msbs: dst=0 src0=1 src1=1 src2=0
	v_mul_i32_i24_e32 v102, v26 /*v282*/, v89 /*v345*/
	s_set_vgpr_msb 0x44                     ;  msbs: dst=1 src0=0 src1=1 src2=0
	v_mul_i32_i24_e32 v89 /*v345*/, v192, v89 /*v345*/
	s_set_vgpr_msb 17                       ;  msbs: dst=0 src0=1 src1=0 src2=1
	s_delay_alu instid0(VALU_DEP_2)
	v_add3_u32 v102, v155 /*v411*/, v102, v91 /*v347*/
	s_set_vgpr_msb 0x45                     ;  msbs: dst=1 src0=1 src1=1 src2=0
	v_mul_i32_i24_e32 v91 /*v347*/, v172 /*v428*/, v67 /*v323*/
	s_set_vgpr_msb 20                       ;  msbs: dst=0 src0=0 src1=1 src2=1
	v_add3_u32 v118, v118, v89 /*v345*/, v99 /*v355*/
	v_add3_u32 v102, v102, v116 /*v372*/, v120 /*v376*/
	s_set_vgpr_msb 0x45                     ;  msbs: dst=1 src0=1 src1=1 src2=0
	v_mul_i32_i24_e32 v116 /*v372*/, v173 /*v429*/, v59 /*v315*/
	s_set_vgpr_msb 20                       ;  msbs: dst=0 src0=0 src1=1 src2=1
	v_add3_u32 v118, v118, v100 /*v356*/, v108 /*v364*/
	s_set_vgpr_msb 0x44                     ;  msbs: dst=1 src0=0 src1=1 src2=0
	v_mul_i32_i24_e32 v120 /*v376*/, v198, v168 /*v424*/
	s_set_vgpr_msb 20                       ;  msbs: dst=0 src0=0 src1=1 src2=1
	v_add3_u32 v102, v102, v121 /*v377*/, v122 /*v378*/
	s_set_vgpr_msb 0x55                     ;  msbs: dst=1 src0=1 src1=1 src2=1
	v_add3_u32 v91 /*v347*/, v156 /*v412*/, v91 /*v347*/, v116 /*v372*/
	s_set_vgpr_msb 0x44                     ;  msbs: dst=1 src0=0 src1=1 src2=0
	v_mul_i32_i24_e32 v116 /*v372*/, v196, v117 /*v373*/
	v_mul_i32_i24_e32 v117 /*v373*/, v197, v144 /*v400*/
	;; [unrolled: 1-line block ×4, first 2 shown]
	s_set_vgpr_msb 20                       ;  msbs: dst=0 src0=0 src1=1 src2=1
	v_add3_u32 v102, v102, v123 /*v379*/, v153 /*v409*/
	s_set_vgpr_msb 0x44                     ;  msbs: dst=1 src0=0 src1=1 src2=0
	v_mul_i32_i24_e32 v123 /*v379*/, v202, v171 /*v427*/
	s_set_vgpr_msb 20                       ;  msbs: dst=0 src0=0 src1=1 src2=1
	v_add3_u32 v118, v118, v116 /*v372*/, v117 /*v373*/
	v_add3_u32 v102, v102, v174 /*v430*/, v175 /*v431*/
	s_delay_alu instid0(VALU_DEP_2) | instskip(NEXT) | instid1(VALU_DEP_2)
	v_add3_u32 v118, v118, v120 /*v376*/, v118 /*v374*/
	v_add3_u32 v102, v102, v176 /*v432*/, v177 /*v433*/
	s_delay_alu instid0(VALU_DEP_2) | instskip(NEXT) | instid1(VALU_DEP_2)
	v_add3_u32 v118, v118, v121 /*v377*/, v122 /*v378*/
	v_mad_u32 v102, v102, v60 /*v316*/, v154 /*v410*/
	s_set_vgpr_msb 0x54                     ;  msbs: dst=1 src0=0 src1=1 src2=1
	s_delay_alu instid0(VALU_DEP_2)
	v_add3_u32 v144 /*v400*/, v118, v123 /*v379*/, v119 /*v375*/
	s_set_vgpr_msb 0x41                     ;  msbs: dst=1 src0=1 src1=0 src2=0
	ds_load_b32 v89 /*v345*/, v158 /*v414*/ offset:30368
	s_set_vgpr_msb 64                       ;  msbs: dst=1 src0=0 src1=0 src2=0
	ds_load_b128 v[116:119] /*v[372:375]*/, v120 offset:16896
	ds_load_b128 v[120:123] /*v[376:379]*/, v120 offset:16912
	s_set_vgpr_msb 0                        ;  msbs: dst=0 src0=0 src1=0 src2=0
	v_cvt_f32_i32_e32 v102, v102
	s_wait_dscnt 0x1
	s_set_vgpr_msb 1                        ;  msbs: dst=0 src0=1 src1=0 src2=0
	v_bfe_i32 v118, v116 /*v372*/, 0, 8
	v_bfe_i32 v120, v116 /*v372*/, 8, 8
	s_set_vgpr_msb 0x41                     ;  msbs: dst=1 src0=1 src1=0 src2=0
	v_bfe_i32 v99 /*v355*/, v116 /*v372*/, 16, 8
	s_set_vgpr_msb 0x44                     ;  msbs: dst=1 src0=0 src1=1 src2=0
	v_ashrrev_i32_e32 v100 /*v356*/, 24, v116 /*v372*/
	s_set_vgpr_msb 0x41                     ;  msbs: dst=1 src0=1 src1=0 src2=0
	v_bfe_i32 v108 /*v364*/, v117 /*v373*/, 0, 8
	s_set_vgpr_msb 64                       ;  msbs: dst=1 src0=0 src1=0 src2=0
	v_mul_i32_i24_e32 v169 /*v425*/, v121, v118
	s_set_vgpr_msb 0x41                     ;  msbs: dst=1 src0=1 src1=0 src2=0
	v_bfe_i32 v116 /*v372*/, v117 /*v373*/, 8, 8
	s_set_vgpr_msb 0x44                     ;  msbs: dst=1 src0=0 src1=1 src2=0
	v_mul_i32_i24_e32 v170 /*v426*/, v224, v99 /*v355*/
	v_mul_i32_i24_e32 v171 /*v427*/, v127, v100 /*v356*/
	s_set_vgpr_msb 0x41                     ;  msbs: dst=1 src0=1 src1=0 src2=0
	v_bfe_i32 v153 /*v409*/, v117 /*v373*/, 16, 8
	s_set_vgpr_msb 0x50                     ;  msbs: dst=1 src0=0 src1=0 src2=1
	v_mad_i32_i24 v169 /*v425*/, v119, v120, v169 /*v425*/
	s_set_vgpr_msb 0x44                     ;  msbs: dst=1 src0=0 src1=1 src2=0
	v_ashrrev_i32_e32 v117 /*v373*/, 24, v117 /*v373*/
	s_set_vgpr_msb 0x41                     ;  msbs: dst=1 src0=1 src1=0 src2=0
	v_add_nc_u32_e32 v168 /*v424*/, v108 /*v364*/, v118
	v_add_nc_u32_e32 v158 /*v414*/, v116 /*v372*/, v120
	s_set_vgpr_msb 0x55                     ;  msbs: dst=1 src0=1 src1=1 src2=1
	v_add_nc_u32_e32 v156 /*v412*/, v153 /*v409*/, v99 /*v355*/
	v_add3_u32 v169 /*v425*/, v169 /*v425*/, v170 /*v426*/, v171 /*v427*/
	s_set_vgpr_msb 0x44                     ;  msbs: dst=1 src0=0 src1=1 src2=0
	v_mul_i32_i24_e32 v170 /*v426*/, v222, v108 /*v364*/
	v_mul_i32_i24_e32 v171 /*v427*/, v225, v116 /*v372*/
	;; [unrolled: 1-line block ×5, first 2 shown]
	s_set_vgpr_msb 0x55                     ;  msbs: dst=1 src0=1 src1=1 src2=1
	v_add_nc_u32_e32 v155 /*v411*/, v117 /*v373*/, v100 /*v356*/
	v_add3_u32 v169 /*v425*/, v169 /*v425*/, v170 /*v426*/, v171 /*v427*/
	s_set_vgpr_msb 64                       ;  msbs: dst=1 src0=0 src1=0 src2=0
	v_mul_i32_i24_e32 v170 /*v426*/, v125, v118
	s_set_vgpr_msb 0x44                     ;  msbs: dst=1 src0=0 src1=1 src2=0
	v_mul_i32_i24_e32 v171 /*v427*/, v206, v99 /*v355*/
	s_set_vgpr_msb 0x55                     ;  msbs: dst=1 src0=1 src1=1 src2=1
	v_mul_i32_i24_e32 v179 /*v435*/, v0 /*v256*/, v117 /*v373*/
	v_bfe_i32 v154 /*v410*/, v118 /*v374*/, 0, 8
	v_add3_u32 v169 /*v425*/, v169 /*v425*/, v174 /*v430*/, v175 /*v431*/
	s_set_vgpr_msb 0x44                     ;  msbs: dst=1 src0=0 src1=1 src2=0
	v_mul_i32_i24_e32 v174 /*v430*/, v204, v100 /*v356*/
	s_set_vgpr_msb 0x50                     ;  msbs: dst=1 src0=0 src1=0 src2=1
	v_mad_i32_i24 v170 /*v426*/, v123, v120, v170 /*v426*/
	s_set_vgpr_msb 0x44                     ;  msbs: dst=1 src0=0 src1=1 src2=0
	v_mul_i32_i24_e32 v175 /*v431*/, v208, v153 /*v409*/
	v_mul_i32_i24_e32 v176 /*v432*/, v230, v154 /*v410*/
	;; [unrolled: 1-line block ×3, first 2 shown]
	s_set_vgpr_msb 0x55                     ;  msbs: dst=1 src0=1 src1=1 src2=1
	v_mul_i32_i24_e32 v180 /*v436*/, v1 /*v257*/, v154 /*v410*/
	v_add3_u32 v170 /*v426*/, v170 /*v426*/, v171 /*v427*/, v174 /*v430*/
	s_set_vgpr_msb 0x44                     ;  msbs: dst=1 src0=0 src1=1 src2=0
	v_mul_i32_i24_e32 v171 /*v427*/, v205, v108 /*v364*/
	v_mul_i32_i24_e32 v174 /*v430*/, v207, v116 /*v372*/
	s_set_vgpr_msb 0x55                     ;  msbs: dst=1 src0=1 src1=1 src2=1
	s_delay_alu instid0(VALU_DEP_1)
	v_add3_u32 v170 /*v426*/, v170 /*v426*/, v171 /*v427*/, v174 /*v430*/
	s_set_vgpr_msb 64                       ;  msbs: dst=1 src0=0 src1=0 src2=0
	v_mul_i32_i24_e32 v171 /*v427*/, v243, v118
	s_set_vgpr_msb 0                        ;  msbs: dst=0 src0=0 src1=0 src2=0
	v_mul_i32_i24_e32 v118, v173, v118
	s_set_vgpr_msb 0x44                     ;  msbs: dst=1 src0=0 src1=1 src2=0
	v_mul_i32_i24_e32 v174 /*v430*/, v252, v99 /*v355*/
	v_mul_i32_i24_e32 v99 /*v355*/, v176, v99 /*v355*/
	s_set_vgpr_msb 0x55                     ;  msbs: dst=1 src0=1 src1=1 src2=1
	v_add3_u32 v170 /*v426*/, v170 /*v426*/, v175 /*v431*/, v177 /*v433*/
	s_set_vgpr_msb 0x44                     ;  msbs: dst=1 src0=0 src1=1 src2=0
	v_mul_i32_i24_e32 v175 /*v431*/, v248, v100 /*v356*/
	v_mul_i32_i24_e32 v100 /*v356*/, v174, v100 /*v356*/
	s_set_vgpr_msb 0                        ;  msbs: dst=0 src0=0 src1=0 src2=0
	v_mad_i32_i24 v118, v172, v120, v118
	s_set_vgpr_msb 0x50                     ;  msbs: dst=1 src0=0 src1=0 src2=1
	v_mad_i32_i24 v171 /*v427*/, v238, v120, v171 /*v427*/
	s_set_vgpr_msb 4                        ;  msbs: dst=0 src0=0 src1=1 src2=0
	v_mul_i32_i24_e32 v120, v175, v108 /*v364*/
	s_set_vgpr_msb 0x44                     ;  msbs: dst=1 src0=0 src1=1 src2=0
	v_mul_i32_i24_e32 v177 /*v433*/, v254, v153 /*v409*/
	s_set_vgpr_msb 20                       ;  msbs: dst=0 src0=0 src1=1 src2=1
	v_add3_u32 v118, v118, v99 /*v355*/, v100 /*v356*/
	s_set_vgpr_msb 0x44                     ;  msbs: dst=1 src0=0 src1=1 src2=0
	v_mul_i32_i24_e32 v99 /*v355*/, v177, v116 /*v372*/
	s_set_vgpr_msb 0x55                     ;  msbs: dst=1 src0=1 src1=1 src2=1
	v_add3_u32 v171 /*v427*/, v171 /*v427*/, v174 /*v430*/, v175 /*v431*/
	s_set_vgpr_msb 0x44                     ;  msbs: dst=1 src0=0 src1=1 src2=0
	v_mul_i32_i24_e32 v174 /*v430*/, v250, v108 /*v364*/
	v_mul_i32_i24_e32 v175 /*v431*/, v253, v116 /*v372*/
	;; [unrolled: 1-line block ×4, first 2 shown]
	s_set_vgpr_msb 16                       ;  msbs: dst=0 src0=0 src1=0 src2=1
	v_add3_u32 v118, v118, v120, v99 /*v355*/
	s_set_vgpr_msb 0x55                     ;  msbs: dst=1 src0=1 src1=1 src2=1
	v_lshrrev_b32_e32 v99 /*v355*/, 24, v161 /*v417*/
	v_add3_u32 v171 /*v427*/, v171 /*v427*/, v174 /*v430*/, v175 /*v431*/
	v_lshrrev_b32_e32 v175 /*v431*/, 24, v107 /*v363*/
	s_set_vgpr_msb 0x54                     ;  msbs: dst=1 src0=0 src1=1 src2=1
	v_mul_i32_i24_e32 v153 /*v409*/, v180, v154 /*v410*/
	v_add3_u32 v174 /*v430*/, v118, v100 /*v356*/, v108 /*v364*/
	s_set_vgpr_msb 0x41                     ;  msbs: dst=1 src0=1 src1=0 src2=0
	v_bfe_i32 v100 /*v356*/, v161 /*v417*/, 16, 8
	v_bfe_i32 v161 /*v417*/, v107 /*v363*/, 16, 8
	s_set_vgpr_msb 5                        ;  msbs: dst=0 src0=1 src1=1 src2=0
	v_mul_i32_i24_e32 v118, v49 /*v305*/, v175 /*v431*/
	v_mul_i32_i24_e32 v120, v51 /*v307*/, v175 /*v431*/
	s_set_vgpr_msb 0x55                     ;  msbs: dst=1 src0=1 src1=1 src2=1
	v_add3_u32 v171 /*v427*/, v171 /*v427*/, v177 /*v433*/, v179 /*v435*/
	s_set_vgpr_msb 64                       ;  msbs: dst=1 src0=0 src1=0 src2=0
	v_bfe_i32 v177 /*v433*/, v2, 0, 8
	s_set_vgpr_msb 0x45                     ;  msbs: dst=1 src0=1 src1=1 src2=0
	v_mul_i32_i24_e32 v107 /*v363*/, v50 /*v306*/, v161 /*v417*/
	v_mul_i32_i24_e32 v108 /*v364*/, v52 /*v308*/, v161 /*v417*/
	s_set_vgpr_msb 64                       ;  msbs: dst=1 src0=0 src1=0 src2=0
	v_ashrrev_i32_e32 v179 /*v435*/, 24, v3
	s_set_vgpr_msb 0x45                     ;  msbs: dst=1 src0=1 src1=1 src2=0
	v_mul_i32_i24_e32 v187 /*v443*/, v15 /*v271*/, v177 /*v433*/
	s_set_vgpr_msb 4                        ;  msbs: dst=0 src0=0 src1=1 src2=0
	v_add3_u32 v117, v117, v107 /*v363*/, v118
	v_add3_u32 v115, v115, v108 /*v364*/, v120
	v_bfe_i32 v120, v1, 0, 8
	v_bfe_i32 v118, v1, 16, 8
	s_set_vgpr_msb 0x44                     ;  msbs: dst=1 src0=0 src1=1 src2=0
	v_mul_i32_i24_e32 v194 /*v450*/, v246, v179 /*v435*/
	v_cvt_f32_i32_e32 v117 /*v373*/, v117
	v_cvt_f32_i32_e32 v116 /*v372*/, v115
	s_set_vgpr_msb 0x41                     ;  msbs: dst=1 src0=1 src1=0 src2=0
	v_mul_i32_i24_e32 v185 /*v441*/, v11 /*v267*/, v118
	s_set_vgpr_msb 4                        ;  msbs: dst=0 src0=0 src1=1 src2=0
	s_delay_alu instid0(VALU_DEP_2) | instskip(SKIP_3) | instid1(VALU_DEP_2)
	v_pk_mul_f32 v[114:115], v[114:115], v[116:117] /*v[372:373]*/ op_sel_hi:[0,1]
	s_set_vgpr_msb 64                       ;  msbs: dst=1 src0=0 src1=0 src2=0
	v_ashrrev_i32_e32 v116 /*v372*/, 24, v1
	s_set_vgpr_msb 0                        ;  msbs: dst=0 src0=0 src1=0 src2=0
	v_pk_fma_f32 v[104:105], v[94:95], v[104:105], v[114:115] op_sel_hi:[0,1,1] neg_lo:[0,0,1] neg_hi:[0,0,1]
	v_lshrrev_b16 v94, 8, v1
	v_bfe_i32 v114, v0, 16, 8
	v_bfe_i32 v115, v0, 0, 8
	s_set_vgpr_msb 64                       ;  msbs: dst=1 src0=0 src1=0 src2=0
	v_ashrrev_i32_e32 v117 /*v373*/, 24, v2
	s_set_vgpr_msb 0                        ;  msbs: dst=0 src0=0 src1=0 src2=0
	v_pk_fma_f32 v[78:79], v[90:91], v[104:105], v[78:79]
	v_lshrrev_b16 v90, 8, v0
	v_lshrrev_b16 v104, 8, v2
	;; [unrolled: 1-line block ×3, first 2 shown]
	v_bfe_i32 v94, v94, 0, 8
	s_set_vgpr_msb 64                       ;  msbs: dst=1 src0=0 src1=0 src2=0
	v_add_nc_u32_e32 v108 /*v364*/, v120, v115
	s_set_vgpr_msb 0                        ;  msbs: dst=0 src0=0 src1=0 src2=0
	v_bfe_i32 v90, v90, 0, 8
	v_ashrrev_i32_e32 v117, 24, v0
	v_bfe_i32 v104, v104, 0, 8
	v_bfe_i32 v105, v105, 0, 8
	s_set_vgpr_msb 0x55                     ;  msbs: dst=1 src0=1 src1=1 src2=1
	v_add3_u32 v182 /*v438*/, v108 /*v364*/, v177 /*v433*/, v181 /*v437*/
	s_set_vgpr_msb 0                        ;  msbs: dst=0 src0=0 src1=0 src2=0
	v_add_nc_u32_e32 v0, v94, v90
	s_set_vgpr_msb 1                        ;  msbs: dst=0 src0=1 src1=0 src2=0
	v_add_nc_u32_e32 v1, v116 /*v372*/, v117
	s_set_vgpr_msb 0x41                     ;  msbs: dst=1 src0=1 src1=0 src2=0
	v_mul_i32_i24_e32 v184 /*v440*/, v4 /*v260*/, v117
	s_set_vgpr_msb 0x45                     ;  msbs: dst=1 src0=1 src1=1 src2=0
	v_mul_i32_i24_e32 v186 /*v442*/, v13 /*v269*/, v116 /*v372*/
	s_set_vgpr_msb 0                        ;  msbs: dst=0 src0=0 src1=0 src2=0
	v_bfe_i32 v2, v2, 16, 8
	s_set_vgpr_msb 64                       ;  msbs: dst=1 src0=0 src1=0 src2=0
	v_add3_u32 v183 /*v439*/, v0, v104, v105
	s_set_vgpr_msb 0                        ;  msbs: dst=0 src0=0 src1=0 src2=0
	v_mul_i32_i24_e32 v0, v255, v115
	s_set_vgpr_msb 0x54                     ;  msbs: dst=1 src0=0 src1=1 src2=1
	v_add3_u32 v108 /*v364*/, v1, v117 /*v373*/, v179 /*v435*/
	s_set_vgpr_msb 1                        ;  msbs: dst=0 src0=1 src1=0 src2=0
	v_mul_i32_i24_e32 v1, v2 /*v258*/, v114
	s_set_vgpr_msb 0x41                     ;  msbs: dst=1 src0=1 src1=0 src2=0
	v_mul_i32_i24_e32 v188 /*v444*/, v16 /*v272*/, v104
	v_mul_i32_i24_e32 v189 /*v445*/, v17 /*v273*/, v2
	s_set_vgpr_msb 0                        ;  msbs: dst=0 src0=0 src1=0 src2=0
	v_mad_i32_i24 v0, v251, v90, v0
	s_set_vgpr_msb 0x45                     ;  msbs: dst=1 src0=1 src1=1 src2=0
	v_mul_i32_i24_e32 v190 /*v446*/, v19 /*v275*/, v117 /*v373*/
	s_set_vgpr_msb 0                        ;  msbs: dst=0 src0=0 src1=0 src2=0
	v_bfe_i32 v3, v3, 16, 8
	s_set_vgpr_msb 0x41                     ;  msbs: dst=1 src0=1 src1=0 src2=0
	v_mul_i32_i24_e32 v192 /*v448*/, v22 /*v278*/, v105
	s_set_vgpr_msb 64                       ;  msbs: dst=1 src0=0 src1=0 src2=0
	v_mul_i32_i24_e32 v196 /*v452*/, v247, v105
	s_set_vgpr_msb 16                       ;  msbs: dst=0 src0=0 src1=0 src2=1
	v_add3_u32 v0, v0, v1, v184 /*v440*/
	s_set_vgpr_msb 1                        ;  msbs: dst=0 src0=1 src1=0 src2=0
	v_mul_i32_i24_e32 v1, v6 /*v262*/, v120
	s_set_vgpr_msb 0x41                     ;  msbs: dst=1 src0=1 src1=0 src2=0
	v_mul_i32_i24_e32 v184 /*v440*/, v9 /*v265*/, v94
	v_mul_i32_i24_e32 v193 /*v449*/, v24 /*v280*/, v3
	;; [unrolled: 1-line block ×4, first 2 shown]
	s_set_vgpr_msb 64                       ;  msbs: dst=1 src0=0 src1=0 src2=0
	v_add_nc_u32_e32 v107 /*v363*/, v118, v114
	s_set_vgpr_msb 16                       ;  msbs: dst=0 src0=0 src1=0 src2=1
	v_add3_u32 v0, v0, v1, v184 /*v440*/
	v_mul_i32_i24_e32 v1, v221, v114
	s_set_vgpr_msb 64                       ;  msbs: dst=1 src0=0 src1=0 src2=0
	v_mul_i32_i24_e32 v197 /*v453*/, v249, v3
	s_set_vgpr_msb 0                        ;  msbs: dst=0 src0=0 src1=0 src2=0
	v_mul_i32_i24_e32 v105, v201, v105
	s_set_vgpr_msb 0x41                     ;  msbs: dst=1 src0=1 src1=0 src2=0
	v_add3_u32 v107 /*v363*/, v107 /*v363*/, v2, v3
	s_set_vgpr_msb 20                       ;  msbs: dst=0 src0=0 src1=1 src2=1
	v_add3_u32 v0, v0, v185 /*v441*/, v186 /*v442*/
	s_set_vgpr_msb 0x45                     ;  msbs: dst=1 src0=1 src1=1 src2=0
	v_mul_i32_i24_e32 v185 /*v441*/, v108 /*v364*/, v175 /*v431*/
	v_mul_i32_i24_e32 v184 /*v440*/, v183 /*v439*/, v55 /*v311*/
	;; [unrolled: 1-line block ×3, first 2 shown]
	s_set_vgpr_msb 20                       ;  msbs: dst=0 src0=0 src1=1 src2=1
	v_add3_u32 v0, v0, v187 /*v443*/, v188 /*v444*/
	s_set_vgpr_msb 64                       ;  msbs: dst=1 src0=0 src1=0 src2=0
	v_mul_i32_i24_e32 v188 /*v444*/, v223, v117
	s_set_vgpr_msb 0x45                     ;  msbs: dst=1 src0=1 src1=1 src2=0
	v_mul_i32_i24_e32 v187 /*v443*/, v107 /*v363*/, v161 /*v417*/
	s_set_vgpr_msb 20                       ;  msbs: dst=0 src0=0 src1=1 src2=1
	v_add3_u32 v0, v0, v189 /*v445*/, v190 /*v446*/
	s_set_vgpr_msb 64                       ;  msbs: dst=1 src0=0 src1=0 src2=0
	v_mul_i32_i24_e32 v189 /*v445*/, v231, v118
	s_set_vgpr_msb 0x44                     ;  msbs: dst=1 src0=0 src1=1 src2=0
	v_mul_i32_i24_e32 v190 /*v446*/, v233, v116 /*v372*/
	s_set_vgpr_msb 20                       ;  msbs: dst=0 src0=0 src1=1 src2=1
	v_add3_u32 v0, v0, v191 /*v447*/, v192 /*v448*/
	s_set_vgpr_msb 0x44                     ;  msbs: dst=1 src0=0 src1=1 src2=0
	v_mul_i32_i24_e32 v191 /*v447*/, v235, v177 /*v433*/
	s_set_vgpr_msb 64                       ;  msbs: dst=1 src0=0 src1=0 src2=0
	v_mul_i32_i24_e32 v192 /*v448*/, v237, v104
	s_set_vgpr_msb 20                       ;  msbs: dst=0 src0=0 src1=1 src2=1
	v_add3_u32 v0, v0, v193 /*v449*/, v194 /*v450*/
	s_set_vgpr_msb 64                       ;  msbs: dst=1 src0=0 src1=0 src2=0
	v_mul_i32_i24_e32 v193 /*v449*/, v240, v2
	s_set_vgpr_msb 0x44                     ;  msbs: dst=1 src0=0 src1=1 src2=0
	v_mul_i32_i24_e32 v194 /*v450*/, v242, v117 /*v373*/
	s_set_vgpr_msb 20                       ;  msbs: dst=0 src0=0 src1=1 src2=1
	v_mad_u32 v0, v0, v54 /*v310*/, v127 /*v383*/
	s_set_vgpr_msb 64                       ;  msbs: dst=1 src0=0 src1=0 src2=0
	s_delay_alu instid0(VALU_DEP_1) | instskip(SKIP_2) | instid1(VALU_DEP_1)
	v_cvt_f32_i32_e32 v127 /*v383*/, v0
	s_set_vgpr_msb 0                        ;  msbs: dst=0 src0=0 src1=0 src2=0
	v_mul_i32_i24_e32 v0, v220, v115
	v_mad_i32_i24 v0, v219, v90, v0
	s_set_vgpr_msb 16                       ;  msbs: dst=0 src0=0 src1=0 src2=1
	s_delay_alu instid0(VALU_DEP_1) | instskip(SKIP_4) | instid1(VALU_DEP_1)
	v_add3_u32 v0, v0, v1, v188 /*v444*/
	v_mul_i32_i24_e32 v1, v227, v120
	s_set_vgpr_msb 64                       ;  msbs: dst=1 src0=0 src1=0 src2=0
	v_mul_i32_i24_e32 v188 /*v444*/, v229, v94
	s_set_vgpr_msb 16                       ;  msbs: dst=0 src0=0 src1=0 src2=1
	v_add3_u32 v0, v0, v1, v188 /*v444*/
	s_set_vgpr_msb 1                        ;  msbs: dst=0 src0=1 src1=0 src2=0
	v_mul_i32_i24_e32 v1, v23 /*v279*/, v114
	s_set_vgpr_msb 0                        ;  msbs: dst=0 src0=0 src1=0 src2=0
	v_mul_i32_i24_e32 v114, v190, v114
	s_set_vgpr_msb 20                       ;  msbs: dst=0 src0=0 src1=1 src2=1
	v_add3_u32 v0, v0, v189 /*v445*/, v190 /*v446*/
	s_set_vgpr_msb 0x41                     ;  msbs: dst=1 src0=1 src1=0 src2=0
	v_mul_i32_i24_e32 v189 /*v445*/, v25 /*v281*/, v117
	v_mul_i32_i24_e32 v190 /*v446*/, v28 /*v284*/, v118
	s_set_vgpr_msb 20                       ;  msbs: dst=0 src0=0 src1=1 src2=1
	v_add3_u32 v0, v0, v191 /*v447*/, v192 /*v448*/
	s_set_vgpr_msb 0x45                     ;  msbs: dst=1 src0=1 src1=1 src2=0
	v_mul_i32_i24_e32 v191 /*v447*/, v29 /*v285*/, v116 /*v372*/
	v_mul_i32_i24_e32 v192 /*v448*/, v30 /*v286*/, v177 /*v433*/
	s_set_vgpr_msb 20                       ;  msbs: dst=0 src0=0 src1=1 src2=1
	v_add3_u32 v0, v0, v193 /*v449*/, v194 /*v450*/
	s_set_vgpr_msb 0x41                     ;  msbs: dst=1 src0=1 src1=0 src2=0
	v_mul_i32_i24_e32 v193 /*v449*/, v31 /*v287*/, v104
	v_mul_i32_i24_e32 v194 /*v450*/, v32 /*v288*/, v2
	s_set_vgpr_msb 0                        ;  msbs: dst=0 src0=0 src1=0 src2=0
	v_mul_i32_i24_e32 v104, v197, v104
	v_mul_i32_i24_e32 v2, v198, v2
	s_set_vgpr_msb 0x54                     ;  msbs: dst=1 src0=0 src1=1 src2=1
	v_add3_u32 v188 /*v444*/, v0, v195 /*v451*/, v196 /*v452*/
	s_set_vgpr_msb 1                        ;  msbs: dst=0 src0=1 src1=0 src2=0
	v_mul_i32_i24_e32 v0, v20 /*v276*/, v115
	s_set_vgpr_msb 0x45                     ;  msbs: dst=1 src0=1 src1=1 src2=0
	v_mul_i32_i24_e32 v195 /*v451*/, v33 /*v289*/, v117 /*v373*/
	v_mul_i32_i24_e32 v196 /*v452*/, v34 /*v290*/, v181 /*v437*/
	s_set_vgpr_msb 1                        ;  msbs: dst=0 src0=1 src1=0 src2=0
	v_mad_i32_i24 v0, v18 /*v274*/, v90, v0
	s_set_vgpr_msb 16                       ;  msbs: dst=0 src0=0 src1=0 src2=1
	s_delay_alu instid0(VALU_DEP_1)
	v_add3_u32 v0, v0, v1, v189 /*v445*/
	s_set_vgpr_msb 1                        ;  msbs: dst=0 src0=1 src1=0 src2=0
	v_mul_i32_i24_e32 v1, v26 /*v282*/, v120
	s_set_vgpr_msb 0x41                     ;  msbs: dst=1 src0=1 src1=0 src2=0
	v_mul_i32_i24_e32 v189 /*v445*/, v27 /*v283*/, v94
	s_set_vgpr_msb 16                       ;  msbs: dst=0 src0=0 src1=0 src2=1
	v_mul_i32_i24_e32 v94, v193, v94
	s_delay_alu instid0(VALU_DEP_2)
	v_add3_u32 v0, v0, v1, v189 /*v445*/
	s_set_vgpr_msb 5                        ;  msbs: dst=0 src0=1 src1=1 src2=0
	v_mul_i32_i24_e32 v1, v8 /*v264*/, v179 /*v435*/
	s_set_vgpr_msb 0x44                     ;  msbs: dst=1 src0=0 src1=1 src2=0
	v_mul_i32_i24_e32 v189 /*v445*/, v209, v79 /*v335*/
	s_set_vgpr_msb 20                       ;  msbs: dst=0 src0=0 src1=1 src2=1
	v_add3_u32 v0, v0, v190 /*v446*/, v191 /*v447*/
	s_set_vgpr_msb 17                       ;  msbs: dst=0 src0=1 src1=0 src2=1
	s_delay_alu instid0(VALU_DEP_2)
	v_add3_u32 v113, v125 /*v381*/, v113, v189 /*v445*/
	s_set_vgpr_msb 0x45                     ;  msbs: dst=1 src0=1 src1=1 src2=0
	v_mul_i32_i24_e32 v125 /*v381*/, v183 /*v439*/, v59 /*v315*/
	v_mul_i32_i24_e32 v189 /*v445*/, v80 /*v336*/, v59 /*v315*/
	s_set_vgpr_msb 20                       ;  msbs: dst=0 src0=0 src1=1 src2=1
	v_add3_u32 v0, v0, v192 /*v448*/, v193 /*v449*/
	s_set_vgpr_msb 0x55                     ;  msbs: dst=1 src0=1 src1=1 src2=1
	s_delay_alu instid0(VALU_DEP_2) | instskip(SKIP_1) | instid1(VALU_DEP_2)
	v_add3_u32 v130 /*v386*/, v131 /*v387*/, v130 /*v386*/, v189 /*v445*/
	s_set_vgpr_msb 20                       ;  msbs: dst=0 src0=0 src1=1 src2=1
	v_add3_u32 v0, v0, v194 /*v450*/, v195 /*v451*/
	s_delay_alu instid0(VALU_DEP_1) | instskip(SKIP_1) | instid1(VALU_DEP_1)
	v_add3_u32 v0, v0, v196 /*v452*/, v198 /*v454*/
	s_set_vgpr_msb 4                        ;  msbs: dst=0 src0=0 src1=1 src2=0
	v_add3_u32 v0, v0, v199 /*v455*/, v1
	s_set_vgpr_msb 5                        ;  msbs: dst=0 src0=1 src1=1 src2=0
	v_mul_i32_i24_e32 v1, v182 /*v438*/, v67 /*v323*/
	s_set_vgpr_msb 20                       ;  msbs: dst=0 src0=0 src1=1 src2=1
	s_delay_alu instid0(VALU_DEP_2) | instskip(SKIP_1) | instid1(VALU_DEP_2)
	v_mad_u32 v0, v0, v60 /*v316*/, v133 /*v389*/
	s_set_vgpr_msb 0x51                     ;  msbs: dst=1 src0=1 src1=0 src2=1
	v_add3_u32 v131 /*v387*/, v134 /*v390*/, v1, v125 /*v381*/
	s_set_vgpr_msb 20                       ;  msbs: dst=0 src0=0 src1=1 src2=1
	v_mad_u32 v1, v113, v66 /*v322*/, v132 /*v388*/
	s_set_vgpr_msb 0                        ;  msbs: dst=0 src0=0 src1=0 src2=0
	v_mul_i32_i24_e32 v113, v189, v115
	v_mul_i32_i24_e32 v115, v191, v117
	s_set_vgpr_msb 4                        ;  msbs: dst=0 src0=0 src1=1 src2=0
	v_mul_i32_i24_e32 v117, v196, v177 /*v433*/
	s_set_vgpr_msb 0                        ;  msbs: dst=0 src0=0 src1=0 src2=0
	v_mad_i32_i24 v90, v187, v90, v113
	v_mul_i32_i24_e32 v113, v192, v120
	s_set_vgpr_msb 4                        ;  msbs: dst=0 src0=0 src1=1 src2=0
	v_mul_i32_i24_e32 v120, v200, v181 /*v437*/
	v_cvt_f32_i32_e32 v0, v0
	s_set_vgpr_msb 0                        ;  msbs: dst=0 src0=0 src1=0 src2=0
	v_add3_u32 v90, v90, v114, v115
	v_mul_i32_i24_e32 v114, v194, v118
	s_set_vgpr_msb 4                        ;  msbs: dst=0 src0=0 src1=1 src2=0
	v_mul_i32_i24_e32 v115, v195, v116 /*v372*/
	s_set_vgpr_msb 64                       ;  msbs: dst=1 src0=0 src1=0 src2=0
	v_mul_i32_i24_e32 v116 /*v372*/, v202, v3
	s_set_vgpr_msb 4                        ;  msbs: dst=0 src0=0 src1=1 src2=0
	v_mul_i32_i24_e32 v118, v199, v117 /*v373*/
	s_set_vgpr_msb 0                        ;  msbs: dst=0 src0=0 src1=0 src2=0
	v_add3_u32 v3, v90, v113, v94
	s_set_vgpr_msb 4                        ;  msbs: dst=0 src0=0 src1=1 src2=0
	v_mul_i32_i24_e32 v90, v109, v79 /*v335*/
	s_set_vgpr_msb 5                        ;  msbs: dst=0 src0=1 src1=1 src2=0
	v_mul_i32_i24_e32 v94, v182 /*v438*/, v97 /*v353*/
	v_mul_i32_i24_e32 v113, v107 /*v363*/, v100 /*v356*/
	s_set_vgpr_msb 0                        ;  msbs: dst=0 src0=0 src1=0 src2=0
	v_cvt_f32_i32_e32 v1, v1
	v_add3_u32 v3, v3, v114, v115
	v_add3_u32 v90, v112, v107, v90
	s_set_vgpr_msb 5                        ;  msbs: dst=0 src0=1 src1=1 src2=0
	v_mul_i32_i24_e32 v112, v52 /*v308*/, v100 /*v356*/
	s_set_vgpr_msb 0                        ;  msbs: dst=0 src0=0 src1=0 src2=0
	v_add3_u32 v3, v3, v117, v104
	s_set_vgpr_msb 20                       ;  msbs: dst=0 src0=0 src1=1 src2=1
	v_mad_u32 v90, v90, v98 /*v354*/, v164 /*v420*/
	s_set_vgpr_msb 5                        ;  msbs: dst=0 src0=1 src1=1 src2=0
	v_mul_i32_i24_e32 v104, v183 /*v439*/, v90 /*v346*/
	s_set_vgpr_msb 0                        ;  msbs: dst=0 src0=0 src1=0 src2=0
	v_add3_u32 v2, v3, v2, v118
	s_set_vgpr_msb 4                        ;  msbs: dst=0 src0=0 src1=1 src2=0
	v_mul_i32_i24_e32 v3, v218, v179 /*v435*/
	s_set_vgpr_msb 1                        ;  msbs: dst=0 src0=1 src1=0 src2=0
	v_add3_u32 v94, v166 /*v422*/, v94, v104
	s_set_vgpr_msb 64                       ;  msbs: dst=1 src0=0 src1=0 src2=0
	v_add3_u32 v117 /*v373*/, v2, v120, v105
	s_set_vgpr_msb 5                        ;  msbs: dst=0 src0=1 src1=1 src2=0
	v_add3_u32 v3, v188 /*v444*/, v197 /*v453*/, v3
	v_mul_i32_i24_e32 v105, v80 /*v336*/, v90 /*v346*/
	s_set_vgpr_msb 20                       ;  msbs: dst=0 src0=0 src1=1 src2=1
	v_mul_f32_e32 v2, v99, v127 /*v383*/
	s_delay_alu instid0(VALU_DEP_3)
	v_mad_u32 v3, v3, v92 /*v348*/, v165 /*v421*/
	s_set_vgpr_msb 5                        ;  msbs: dst=0 src0=1 src1=1 src2=0
	v_add3_u32 v107, v163 /*v419*/, v162 /*v418*/, v105
	s_set_vgpr_msb 0                        ;  msbs: dst=0 src0=0 src1=0 src2=0
	v_cvt_f32_i32_e32 v105, v90
	s_set_vgpr_msb 5                        ;  msbs: dst=0 src0=1 src1=1 src2=0
	v_mul_i32_i24_e32 v90, v108 /*v364*/, v99 /*v355*/
	s_set_vgpr_msb 0                        ;  msbs: dst=0 src0=0 src1=0 src2=0
	s_delay_alu instid0(VALU_DEP_1)
	v_add3_u32 v90, v94, v113, v90
	s_set_vgpr_msb 21                       ;  msbs: dst=0 src0=1 src1=1 src2=1
	v_mad_i32_i24 v94, v112 /*v368*/, v56 /*v312*/, v185 /*v441*/
	s_set_vgpr_msb 0                        ;  msbs: dst=0 src0=0 src1=0 src2=0
	v_cvt_f32_i32_e32 v104, v3
	s_set_vgpr_msb 5                        ;  msbs: dst=0 src0=1 src1=1 src2=0
	v_mul_i32_i24_e32 v3, v51 /*v307*/, v99 /*v355*/
	v_add3_u32 v94, v129 /*v385*/, v184 /*v440*/, v94
	s_set_vgpr_msb 0                        ;  msbs: dst=0 src0=0 src1=0 src2=0
	s_delay_alu instid0(VALU_DEP_2)
	v_add3_u32 v3, v107, v112, v3
	v_cvt_f32_i32_e32 v112, v90
	s_set_vgpr_msb 21                       ;  msbs: dst=0 src0=1 src1=1 src2=1
	v_mad_i32_i24 v90, v109 /*v365*/, v72 /*v328*/, v186 /*v442*/
	s_set_vgpr_msb 0                        ;  msbs: dst=0 src0=0 src1=0 src2=0
	v_cvt_f32_i32_e32 v113, v3
	s_set_vgpr_msb 21                       ;  msbs: dst=0 src0=1 src1=1 src2=1
	v_mad_i32_i24 v3, v110 /*v366*/, v73 /*v329*/, v187 /*v443*/
	s_set_vgpr_msb 0                        ;  msbs: dst=0 src0=0 src1=0 src2=0
	s_delay_alu instid0(VALU_DEP_2) | instskip(NEXT) | instid1(VALU_DEP_2)
	v_pk_mul_f32 v[112:113], v[100:101], v[112:113] op_sel_hi:[0,1]
	v_add3_u32 v3, v90, v3, v94
	s_set_vgpr_msb 5                        ;  msbs: dst=0 src0=1 src1=1 src2=0
	v_mul_i32_i24_e32 v90, v69 /*v325*/, v161 /*v417*/
	s_set_vgpr_msb 0                        ;  msbs: dst=0 src0=0 src1=0 src2=0
	v_mov_b32_e32 v94, v92
	v_pk_fma_f32 v[104:105], v[98:99], v[104:105], v[112:113] op_sel_hi:[0,1,1] neg_lo:[0,0,1] neg_hi:[0,0,1]
	v_cvt_f32_i32_e32 v3, v3
	v_dual_mov_b32 v112, v99 :: v_dual_mov_b32 v113, v101
	s_delay_alu instid0(VALU_DEP_3) | instskip(NEXT) | instid1(VALU_DEP_3)
	v_pk_fma_f32 v[80:81], v[92:93], v[104:105], v[80:81]
	v_mul_f32_e32 v114, v101, v3
	s_set_vgpr_msb 5                        ;  msbs: dst=0 src0=1 src1=1 src2=0
	v_mul_i32_i24_e32 v3, v68 /*v324*/, v175 /*v431*/
	s_set_vgpr_msb 1                        ;  msbs: dst=0 src0=1 src1=0 src2=0
	s_delay_alu instid0(VALU_DEP_1) | instskip(SKIP_2) | instid1(VALU_DEP_2)
	v_add3_u32 v3, v143 /*v399*/, v90, v3
	v_lshrrev_b32_e32 v90, 16, v126
	s_set_vgpr_msb 0                        ;  msbs: dst=0 src0=0 src1=0 src2=0
	v_cvt_f32_i32_e32 v107, v3
	s_delay_alu instid0(VALU_DEP_1)
	v_pk_mul_f32 v[104:105], v[112:113], v[106:107]
	s_set_vgpr_msb 1                        ;  msbs: dst=0 src0=1 src1=0 src2=0
	ds_load_u16 v106, v77 /*v333*/
	s_set_vgpr_msb 0                        ;  msbs: dst=0 src0=0 src1=0 src2=0
	v_dual_mov_b32 v3, v104 :: v_dual_mov_b32 v115, v105
	v_cvt_f32_f16_e32 v105, v90
	s_delay_alu instid0(VALU_DEP_2) | instskip(SKIP_1) | instid1(VALU_DEP_2)
	v_pk_add_f32 v[2:3], v[2:3], v[114:115] neg_lo:[0,1] neg_hi:[0,1]
	v_dual_mov_b32 v114, v98 :: v_dual_mov_b32 v115, v100
	v_pk_fma_f32 v[86:87], v[94:95], v[2:3], v[86:87]
	s_set_vgpr_msb 5                        ;  msbs: dst=0 src0=1 src1=1 src2=0
	v_mul_i32_i24_e32 v2, v68 /*v324*/, v99 /*v355*/
	v_mul_i32_i24_e32 v3, v69 /*v325*/, v100 /*v356*/
	v_lshrrev_b32_e32 v94, 16, v78 /*v334*/
	s_wait_dscnt 0x0
	s_set_vgpr_msb 0                        ;  msbs: dst=0 src0=0 src1=0 src2=0
	v_lshrrev_b16 v107, 8, v106
	s_set_vgpr_msb 64                       ;  msbs: dst=1 src0=0 src1=0 src2=0
	v_bfe_u32 v77 /*v333*/, v106, 4, 4
	s_set_vgpr_msb 1                        ;  msbs: dst=0 src0=1 src1=0 src2=0
	v_add3_u32 v2, v167 /*v423*/, v3, v2
	s_set_vgpr_msb 0                        ;  msbs: dst=0 src0=0 src1=0 src2=0
	v_cvt_f32_f16_e32 v104, v94
	v_dual_mov_b32 v94, v105 :: v_dual_bitop2_b32 v106, 15, v106 bitop3:0x40
	s_set_vgpr_msb 64                       ;  msbs: dst=1 src0=0 src1=0 src2=0
	v_cvt_f32_i32_e32 v125 /*v381*/, v2
	s_delay_alu instid0(VALU_DEP_2) | instskip(SKIP_1) | instid1(VALU_DEP_2)
	v_and_b32_e32 v134 /*v390*/, 0xffff, v106
	s_set_vgpr_msb 4                        ;  msbs: dst=0 src0=0 src1=1 src2=0
	v_pk_mul_f32 v[2:3], v[114:115], v[124:125] /*v[380:381]*/
	s_set_vgpr_msb 0                        ;  msbs: dst=0 src0=0 src1=0 src2=0
	s_delay_alu instid0(VALU_DEP_1) | instskip(SKIP_3) | instid1(VALU_DEP_2)
	v_sub_f32_e32 v2, v2, v3
	s_set_vgpr_msb 5                        ;  msbs: dst=0 src0=1 src1=1 src2=0
	v_mul_i32_i24_e32 v3, v82 /*v338*/, v161 /*v417*/
	s_set_vgpr_msb 0                        ;  msbs: dst=0 src0=0 src1=0 src2=0
	v_mul_f32_e32 v117, v95, v2
	s_set_vgpr_msb 5                        ;  msbs: dst=0 src0=1 src1=1 src2=0
	v_mul_i32_i24_e32 v2, v81 /*v337*/, v175 /*v431*/
	s_set_vgpr_msb 1                        ;  msbs: dst=0 src0=1 src1=0 src2=0
	s_delay_alu instid0(VALU_DEP_1) | instskip(SKIP_1) | instid1(VALU_DEP_1)
	v_add3_u32 v2, v151 /*v407*/, v3, v2
	s_set_vgpr_msb 64                       ;  msbs: dst=1 src0=0 src1=0 src2=0
	v_cvt_f32_i32_e32 v127 /*v383*/, v2
	s_set_vgpr_msb 4                        ;  msbs: dst=0 src0=0 src1=1 src2=0
	s_delay_alu instid0(VALU_DEP_1) | instskip(SKIP_1) | instid1(VALU_DEP_1)
	v_pk_mul_f32 v[2:3], v[112:113], v[126:127] /*v[382:383]*/
	s_set_vgpr_msb 0                        ;  msbs: dst=0 src0=0 src1=0 src2=0
	v_sub_f32_e32 v2, v2, v3
	s_set_vgpr_msb 5                        ;  msbs: dst=0 src0=1 src1=1 src2=0
	v_mul_i32_i24_e32 v3, v82 /*v338*/, v100 /*v356*/
	s_set_vgpr_msb 1                        ;  msbs: dst=0 src0=1 src1=0 src2=0
	s_delay_alu instid0(VALU_DEP_2) | instskip(SKIP_3) | instid1(VALU_DEP_1)
	v_mul_f32_e32 v120, v76 /*v332*/, v2
	s_set_vgpr_msb 5                        ;  msbs: dst=0 src0=1 src1=1 src2=0
	v_mul_i32_i24_e32 v2, v81 /*v337*/, v99 /*v355*/
	s_set_vgpr_msb 1                        ;  msbs: dst=0 src0=1 src1=0 src2=0
	v_add3_u32 v2, v152 /*v408*/, v3, v2
	s_set_vgpr_msb 64                       ;  msbs: dst=1 src0=0 src1=0 src2=0
	s_delay_alu instid0(VALU_DEP_1) | instskip(SKIP_1) | instid1(VALU_DEP_1)
	v_cvt_f32_i32_e32 v129 /*v385*/, v2
	s_set_vgpr_msb 4                        ;  msbs: dst=0 src0=0 src1=1 src2=0
	v_pk_mul_f32 v[2:3], v[114:115], v[128:129] /*v[384:385]*/
	s_set_vgpr_msb 0                        ;  msbs: dst=0 src0=0 src1=0 src2=0
	s_delay_alu instid0(VALU_DEP_1) | instskip(SKIP_3) | instid1(VALU_DEP_3)
	v_sub_f32_e32 v2, v2, v3
	v_cvt_f32_f16_e32 v3, v126
	v_and_b32_e32 v126, 0xffff, v107
	s_set_vgpr_msb 1                        ;  msbs: dst=0 src0=1 src1=0 src2=0
	v_dual_mul_f32 v118, v76 /*v332*/, v2 :: v_dual_bitop2_b32 v107, 15, v107 bitop3:0x40
	v_cvt_f32_f16_e64 v2, v78 /*v334*/
	s_delay_alu instid0(VALU_DEP_3)
	v_lshrrev_b32_e32 v126, 4, v126
	s_set_vgpr_msb 0x44                     ;  msbs: dst=1 src0=0 src1=1 src2=0
	v_mul_lo_u32 v78 /*v334*/, 0x1010101, v77 /*v333*/
	s_set_vgpr_msb 64                       ;  msbs: dst=1 src0=0 src1=0 src2=0
	v_and_b32_e32 v143 /*v399*/, 0xffff, v107
	s_set_vgpr_msb 0                        ;  msbs: dst=0 src0=0 src1=0 src2=0
	v_mov_b32_e32 v90, v3
	s_set_vgpr_msb 0x41                     ;  msbs: dst=1 src0=1 src1=0 src2=0
	v_mul_lo_u32 v127 /*v383*/, 0x1010101, v126
	s_delay_alu instid0(VALU_DEP_4)
	v_bfe_i32 v77 /*v333*/, v78 /*v334*/, 0, 8
	v_bfe_i32 v125 /*v381*/, v78 /*v334*/, 16, 8
	s_set_vgpr_msb 0x44                     ;  msbs: dst=1 src0=0 src1=1 src2=0
	v_lshrrev_b32_e32 v126 /*v382*/, 24, v78 /*v334*/
	s_set_vgpr_msb 0x41                     ;  msbs: dst=1 src0=1 src1=0 src2=0
	v_bfe_i32 v124 /*v380*/, v78 /*v334*/, 8, 8
	v_bfe_i32 v128 /*v384*/, v127 /*v383*/, 0, 8
	;; [unrolled: 1-line block ×3, first 2 shown]
	s_set_vgpr_msb 5                        ;  msbs: dst=0 src0=1 src1=1 src2=0
	v_mul_i32_i24_e32 v107, v84 /*v340*/, v126 /*v382*/
	s_set_vgpr_msb 0x41                     ;  msbs: dst=1 src0=1 src1=0 src2=0
	v_bfe_i32 v84 /*v340*/, v119 /*v375*/, 0, 8
	s_set_vgpr_msb 0x44                     ;  msbs: dst=1 src0=0 src1=1 src2=0
	v_mul_i32_i24_e32 v132 /*v388*/, v108, v128 /*v384*/
	s_set_vgpr_msb 4                        ;  msbs: dst=0 src0=0 src1=1 src2=0
	v_mul_i32_i24_e32 v108, v110, v126 /*v382*/
	v_mul_i32_i24_e32 v110, v111, v125 /*v381*/
	;; [unrolled: 1-line block ×3, first 2 shown]
	s_set_vgpr_msb 5                        ;  msbs: dst=0 src0=1 src1=1 src2=0
	v_mul_i32_i24_e32 v106, v83 /*v339*/, v128 /*v384*/
	s_set_vgpr_msb 0x45                     ;  msbs: dst=1 src0=1 src1=1 src2=0
	v_mul_i32_i24_e32 v83 /*v339*/, v109 /*v365*/, v77 /*v333*/
	v_mul_i32_i24_e32 v78 /*v334*/, v80 /*v336*/, v129 /*v385*/
	;; [unrolled: 1-line block ×3, first 2 shown]
	s_set_vgpr_msb 4                        ;  msbs: dst=0 src0=0 src1=1 src2=0
	v_mad_i32_i24 v111, v122, v124 /*v380*/, v111
	v_mul_i32_i24_e32 v122, v188, v79 /*v335*/
	s_set_vgpr_msb 0x55                     ;  msbs: dst=1 src0=1 src1=1 src2=1
	v_mul_i32_i24_e32 v79 /*v335*/, v112 /*v368*/, v126 /*v382*/
	v_mad_i32_i24 v83 /*v339*/, v111 /*v367*/, v124 /*v380*/, v83 /*v339*/
	s_set_vgpr_msb 5                        ;  msbs: dst=0 src0=1 src1=1 src2=0
	v_mul_i32_i24_e32 v124, v182 /*v438*/, v128 /*v384*/
	s_set_vgpr_msb 64                       ;  msbs: dst=1 src0=0 src1=0 src2=0
	v_add3_u32 v133 /*v389*/, v111, v110, v108
	s_set_vgpr_msb 5                        ;  msbs: dst=0 src0=1 src1=1 src2=0
	v_mul_i32_i24_e32 v110, v87 /*v343*/, v77 /*v333*/
	v_mul_i32_i24_e32 v108, v85 /*v341*/, v125 /*v381*/
	v_add3_u32 v122, v102 /*v358*/, v101 /*v357*/, v122
	s_set_vgpr_msb 4                        ;  msbs: dst=0 src0=0 src1=1 src2=0
	v_mul_i32_i24_e32 v111, v203, v179 /*v435*/
	s_set_vgpr_msb 5                        ;  msbs: dst=0 src0=1 src1=1 src2=0
	v_mul_i32_i24_e32 v126, v183 /*v439*/, v129 /*v385*/
	v_mad_i32_i24 v110, v86 /*v342*/, v124 /*v380*/, v110
	s_set_vgpr_msb 0x55                     ;  msbs: dst=1 src0=1 src1=1 src2=1
	v_add3_u32 v79 /*v335*/, v83 /*v339*/, v80 /*v336*/, v79 /*v335*/
	v_ashrrev_i32_e32 v109 /*v365*/, 24, v120 /*v376*/
	s_set_vgpr_msb 5                        ;  msbs: dst=0 src0=1 src1=1 src2=0
	v_add3_u32 v111, v117 /*v373*/, v116 /*v372*/, v111
	s_set_vgpr_msb 0x44                     ;  msbs: dst=1 src0=0 src1=1 src2=0
	v_dual_ashrrev_i32 v80 /*v336*/, 24, v118 /*v374*/ :: v_dual_ashrrev_i32 v87 /*v343*/, 24, v119 /*v375*/
	s_set_vgpr_msb 0                        ;  msbs: dst=0 src0=0 src1=0 src2=0
	v_add3_u32 v107, v110, v108, v107
	s_set_vgpr_msb 4                        ;  msbs: dst=0 src0=0 src1=1 src2=0
	v_mul_i32_i24_e32 v108, v203, v88 /*v344*/
	v_mul_i32_i24_e32 v110, v188, v113 /*v369*/
	s_set_vgpr_msb 0x41                     ;  msbs: dst=1 src0=1 src1=0 src2=0
	v_add3_u32 v83 /*v339*/, v79 /*v335*/, v124, v126
	s_set_vgpr_msb 5                        ;  msbs: dst=0 src0=1 src1=1 src2=0
	v_mul_i32_i24_e32 v124, v139 /*v395*/, v126 /*v382*/
	s_set_vgpr_msb 16                       ;  msbs: dst=0 src0=0 src1=0 src2=1
	v_add3_u32 v107, v107, v106, v78 /*v334*/
	s_set_vgpr_msb 5                        ;  msbs: dst=0 src0=1 src1=1 src2=0
	v_add3_u32 v108, v106 /*v362*/, v105 /*v361*/, v108
	v_add3_u32 v110, v136 /*v392*/, v135 /*v391*/, v110
	s_set_vgpr_msb 0x45                     ;  msbs: dst=1 src0=1 src1=1 src2=0
	v_mul_i32_i24_e32 v78 /*v334*/, v142 /*v398*/, v77 /*v333*/
	s_set_vgpr_msb 5                        ;  msbs: dst=0 src0=1 src1=1 src2=0
	v_mul_i32_i24_e32 v126, v140 /*v396*/, v125 /*v381*/
	s_set_vgpr_msb 0x44                     ;  msbs: dst=1 src0=0 src1=1 src2=0
	v_ashrrev_i32_e32 v113 /*v369*/, 24, v121 /*v377*/
	s_set_vgpr_msb 4                        ;  msbs: dst=0 src0=0 src1=1 src2=0
	v_mul_lo_u32 v108, v108, v143 /*v399*/
	v_mul_lo_u32 v110, v110, v134 /*v390*/
	s_set_vgpr_msb 0x55                     ;  msbs: dst=1 src0=1 src1=1 src2=1
	v_mad_i32_i24 v78 /*v334*/, v141 /*v397*/, v124 /*v380*/, v78 /*v334*/
	v_bfe_i32 v79 /*v335*/, v118 /*v374*/, 16, 8
	v_bfe_i32 v85 /*v341*/, v119 /*v375*/, 8, 8
	;; [unrolled: 1-line block ×4, first 2 shown]
	s_set_vgpr_msb 1                        ;  msbs: dst=0 src0=1 src1=0 src2=0
	v_add3_u32 v124, v78 /*v334*/, v126, v124
	s_set_vgpr_msb 5                        ;  msbs: dst=0 src0=1 src1=1 src2=0
	v_mul_i32_i24_e32 v126, v150 /*v406*/, v77 /*v333*/
	s_set_vgpr_msb 0x41                     ;  msbs: dst=1 src0=1 src1=0 src2=0
	v_bfe_i32 v102 /*v358*/, v120 /*v376*/, 8, 8
	v_bfe_i32 v105 /*v361*/, v120 /*v376*/, 16, 8
	s_set_vgpr_msb 4                        ;  msbs: dst=0 src0=0 src1=1 src2=0
	v_mad_u32 v108, v122, v134 /*v390*/, v108
	v_mad_u32 v106, v111, v143 /*v399*/, v110
	s_set_vgpr_msb 5                        ;  msbs: dst=0 src0=1 src1=1 src2=0
	v_mul_i32_i24_e32 v122, v138 /*v394*/, v129 /*v385*/
	v_mad_i32_i24 v126, v149 /*v405*/, v124 /*v380*/, v126
	s_set_vgpr_msb 0x41                     ;  msbs: dst=1 src0=1 src1=0 src2=0
	v_bfe_i32 v110 /*v366*/, v121 /*v377*/, 0, 8
	v_bfe_i32 v111 /*v367*/, v121 /*v377*/, 8, 8
	v_bfe_i32 v112 /*v368*/, v121 /*v377*/, 16, 8
	v_bfe_i32 v116 /*v372*/, v122 /*v378*/, 0, 8
	v_bfe_i32 v117 /*v373*/, v122 /*v378*/, 8, 8
	s_set_vgpr_msb 0x44                     ;  msbs: dst=1 src0=0 src1=1 src2=0
	v_ashrrev_i32_e32 v119 /*v375*/, 24, v122 /*v378*/
	s_set_vgpr_msb 0x41                     ;  msbs: dst=1 src0=1 src1=0 src2=0
	v_bfe_i32 v120 /*v376*/, v123 /*v379*/, 0, 8
	s_set_vgpr_msb 0                        ;  msbs: dst=0 src0=0 src1=0 src2=0
	v_cvt_f32_i32_e32 v111, v108
	s_set_vgpr_msb 5                        ;  msbs: dst=0 src0=1 src1=1 src2=0
	v_mul_i32_i24_e32 v108, v137 /*v393*/, v128 /*v384*/
	s_set_vgpr_msb 0                        ;  msbs: dst=0 src0=0 src1=0 src2=0
	v_cvt_f32_i32_e32 v110, v106
	s_set_vgpr_msb 5                        ;  msbs: dst=0 src0=1 src1=1 src2=0
	v_mul_lo_u32 v106, v145 /*v401*/, v134 /*v390*/
	s_set_vgpr_msb 0x41                     ;  msbs: dst=1 src0=1 src1=0 src2=0
	v_bfe_i32 v121 /*v377*/, v123 /*v379*/, 8, 8
	s_set_vgpr_msb 0x44                     ;  msbs: dst=1 src0=0 src1=1 src2=0
	v_mul_i32_i24_e32 v78 /*v334*/, v236, v80 /*v336*/
	s_set_vgpr_msb 64                       ;  msbs: dst=1 src0=0 src1=0 src2=0
	v_add3_u32 v101 /*v357*/, v124, v108, v122
	s_set_vgpr_msb 5                        ;  msbs: dst=0 src0=1 src1=1 src2=0
	v_mul_i32_i24_e32 v122, v147 /*v403*/, v126 /*v382*/
	v_mul_i32_i24_e32 v124, v148 /*v404*/, v125 /*v381*/
	s_set_vgpr_msb 0x44                     ;  msbs: dst=1 src0=0 src1=1 src2=0
	v_mul_i32_i24_e32 v145 /*v401*/, v241, v85 /*v341*/
	v_mul_i32_i24_e32 v147 /*v403*/, v116, v87 /*v343*/
	s_set_vgpr_msb 0x45                     ;  msbs: dst=1 src0=1 src1=1 src2=0
	v_mul_i32_i24_e32 v148 /*v404*/, v16 /*v272*/, v117 /*v373*/
	v_mul_i32_i24_e32 v151 /*v407*/, v21 /*v277*/, v120 /*v376*/
	s_set_vgpr_msb 0                        ;  msbs: dst=0 src0=0 src1=0 src2=0
	v_add3_u32 v122, v126, v124, v122
	s_set_vgpr_msb 5                        ;  msbs: dst=0 src0=1 src1=1 src2=0
	v_mul_i32_i24_e32 v124, v172 /*v428*/, v128 /*v384*/
	v_mul_i32_i24_e32 v126, v173 /*v429*/, v129 /*v385*/
	v_mad_u32 v106, v146 /*v402*/, v143 /*v399*/, v106
	s_set_vgpr_msb 0x44                     ;  msbs: dst=1 src0=0 src1=1 src2=0
	v_mul_i32_i24_e32 v146 /*v402*/, v244, v86 /*v342*/
	s_set_vgpr_msb 0x55                     ;  msbs: dst=1 src0=1 src1=1 src2=1
	v_mul_i32_i24_e32 v152 /*v408*/, v22 /*v278*/, v121 /*v377*/
	v_add3_u32 v139 /*v395*/, v155 /*v411*/, v80 /*v336*/, v87 /*v343*/
	s_set_vgpr_msb 64                       ;  msbs: dst=1 src0=0 src1=0 src2=0
	v_add3_u32 v106 /*v362*/, v122, v124, v126
	s_set_vgpr_msb 1                        ;  msbs: dst=0 src0=1 src1=0 src2=0
	v_bfe_i32 v124, v118 /*v374*/, 8, 8
	s_set_vgpr_msb 0x41                     ;  msbs: dst=1 src0=1 src1=0 src2=0
	v_bfe_i32 v118 /*v374*/, v122 /*v378*/, 16, 8
	v_bfe_i32 v122 /*v378*/, v123 /*v379*/, 16, 8
	s_set_vgpr_msb 0x44                     ;  msbs: dst=1 src0=0 src1=1 src2=0
	v_ashrrev_i32_e32 v123 /*v379*/, 24, v123 /*v379*/
	s_set_vgpr_msb 5                        ;  msbs: dst=0 src0=1 src1=1 src2=0
	v_add_nc_u32_e32 v122, v113 /*v369*/, v109 /*v365*/
	s_set_vgpr_msb 4                        ;  msbs: dst=0 src0=0 src1=1 src2=0
	v_mul_i32_i24_e32 v126, v234, v79 /*v335*/
	v_cvt_f32_i32_e32 v108, v106
	s_set_vgpr_msb 5                        ;  msbs: dst=0 src0=1 src1=1 src2=0
	v_mul_lo_u32 v106, v157 /*v413*/, v134 /*v390*/
	s_set_vgpr_msb 0x45                     ;  msbs: dst=1 src0=1 src1=1 src2=0
	v_mul_i32_i24_e32 v149 /*v405*/, v17 /*v273*/, v118 /*v374*/
	s_set_vgpr_msb 0x54                     ;  msbs: dst=1 src0=0 src1=1 src2=1
	v_add3_u32 v135 /*v391*/, v122, v119 /*v375*/, v123 /*v379*/
	s_set_vgpr_msb 5                        ;  msbs: dst=0 src0=1 src1=1 src2=0
	v_add_nc_u32_e32 v122, v112 /*v368*/, v105 /*v361*/
	s_set_vgpr_msb 0x55                     ;  msbs: dst=1 src0=1 src1=1 src2=1
	v_mul_i32_i24_e32 v150 /*v406*/, v19 /*v275*/, v119 /*v375*/
	v_add3_u32 v142 /*v398*/, v168 /*v424*/, v154 /*v410*/, v84 /*v340*/
	v_mul_i32_i24_e32 v154 /*v410*/, v24 /*v280*/, v122 /*v378*/
	s_set_vgpr_msb 0x54                     ;  msbs: dst=1 src0=0 src1=1 src2=1
	v_mul_i32_i24_e32 v155 /*v411*/, v246, v123 /*v379*/
	v_add3_u32 v136 /*v392*/, v122, v118 /*v374*/, v122 /*v378*/
	s_set_vgpr_msb 5                        ;  msbs: dst=0 src0=1 src1=1 src2=0
	v_add_nc_u32_e32 v122, v110 /*v366*/, v88 /*v344*/
	s_set_vgpr_msb 0x55                     ;  msbs: dst=1 src0=1 src1=1 src2=1
	v_add3_u32 v140 /*v396*/, v156 /*v412*/, v79 /*v335*/, v86 /*v342*/
	s_set_vgpr_msb 5                        ;  msbs: dst=0 src0=1 src1=1 src2=0
	v_mad_u32 v106, v144 /*v400*/, v143 /*v399*/, v106
	s_set_vgpr_msb 0x44                     ;  msbs: dst=1 src0=0 src1=1 src2=0
	v_mul_i32_i24_e32 v144 /*v400*/, v239, v84 /*v340*/
	s_set_vgpr_msb 0x51                     ;  msbs: dst=1 src0=1 src1=0 src2=1
	v_add3_u32 v141 /*v397*/, v158 /*v414*/, v124, v85 /*v341*/
	s_set_vgpr_msb 0x54                     ;  msbs: dst=1 src0=0 src1=1 src2=1
	v_add3_u32 v137 /*v393*/, v122, v116 /*v372*/, v120 /*v376*/
	s_set_vgpr_msb 5                        ;  msbs: dst=0 src0=1 src1=1 src2=0
	v_add_nc_u32_e32 v122, v111 /*v367*/, v102 /*v358*/
	s_set_vgpr_msb 0x44                     ;  msbs: dst=1 src0=0 src1=1 src2=0
	v_mul_i32_i24_e32 v156 /*v412*/, v249, v122 /*v378*/
	v_mul_i32_i24_e32 v157 /*v413*/, v218, v123 /*v379*/
	s_set_vgpr_msb 0x45                     ;  msbs: dst=1 src0=1 src1=1 src2=0
	v_mul_i32_i24_e32 v158 /*v414*/, v36 /*v292*/, v122 /*v378*/
	v_mul_i32_i24_e32 v162 /*v418*/, v8 /*v264*/, v123 /*v379*/
	s_set_vgpr_msb 0x54                     ;  msbs: dst=1 src0=0 src1=1 src2=1
	v_add3_u32 v138 /*v394*/, v122, v117 /*v373*/, v121 /*v377*/
	s_set_vgpr_msb 0                        ;  msbs: dst=0 src0=0 src1=0 src2=0
	v_mul_i32_i24_e32 v122, v232, v124
	v_cvt_f32_i32_e32 v106, v106
	s_set_vgpr_msb 5                        ;  msbs: dst=0 src0=1 src1=1 src2=0
	s_delay_alu instid0(VALU_DEP_2) | instskip(SKIP_1) | instid1(VALU_DEP_1)
	v_add3_u32 v122, v169 /*v425*/, v176 /*v432*/, v122
	s_set_vgpr_msb 16                       ;  msbs: dst=0 src0=0 src1=0 src2=1
	v_add3_u32 v122, v122, v126, v78 /*v334*/
	s_set_vgpr_msb 4                        ;  msbs: dst=0 src0=0 src1=1 src2=0
	v_mul_i32_i24_e32 v126, v255, v88 /*v344*/
	s_set_vgpr_msb 0x45                     ;  msbs: dst=1 src0=1 src1=1 src2=0
	v_mul_i32_i24_e32 v78 /*v334*/, v2 /*v258*/, v105 /*v361*/
	s_set_vgpr_msb 20                       ;  msbs: dst=0 src0=0 src1=1 src2=1
	v_add3_u32 v122, v122, v144 /*v400*/, v145 /*v401*/
	s_set_vgpr_msb 0x45                     ;  msbs: dst=1 src0=1 src1=1 src2=0
	v_mul_i32_i24_e32 v144 /*v400*/, v4 /*v260*/, v109 /*v365*/
	s_set_vgpr_msb 4                        ;  msbs: dst=0 src0=0 src1=1 src2=0
	v_mad_i32_i24 v126, v251, v102 /*v358*/, v126
	s_set_vgpr_msb 0x45                     ;  msbs: dst=1 src0=1 src1=1 src2=0
	v_mul_i32_i24_e32 v145 /*v401*/, v11 /*v267*/, v112 /*v368*/
	s_set_vgpr_msb 20                       ;  msbs: dst=0 src0=0 src1=1 src2=1
	v_add3_u32 v122, v122, v146 /*v402*/, v147 /*v403*/
	s_set_vgpr_msb 0x45                     ;  msbs: dst=1 src0=1 src1=1 src2=0
	v_mul_i32_i24_e32 v146 /*v402*/, v13 /*v269*/, v113 /*v369*/
	s_set_vgpr_msb 20                       ;  msbs: dst=0 src0=0 src1=1 src2=1
	v_add3_u32 v126, v126, v78 /*v334*/, v144 /*v400*/
	s_set_vgpr_msb 0x45                     ;  msbs: dst=1 src0=1 src1=1 src2=0
	v_mul_i32_i24_e32 v78 /*v334*/, v6 /*v262*/, v110 /*v366*/
	v_mul_i32_i24_e32 v144 /*v400*/, v9 /*v265*/, v111 /*v367*/
	;; [unrolled: 1-line block ×3, first 2 shown]
	s_set_vgpr_msb 20                       ;  msbs: dst=0 src0=0 src1=1 src2=1
	v_mul_lo_u32 v122, v122, v57 /*v313*/
	s_delay_alu instid0(VALU_DEP_3)
	v_add3_u32 v126, v126, v78 /*v334*/, v144 /*v400*/
	s_set_vgpr_msb 0x45                     ;  msbs: dst=1 src0=1 src1=1 src2=0
	v_mul_i32_i24_e32 v78 /*v334*/, v137 /*v393*/, v58 /*v314*/
	v_mul_i32_i24_e32 v144 /*v400*/, v138 /*v394*/, v55 /*v311*/
	s_set_vgpr_msb 20                       ;  msbs: dst=0 src0=0 src1=1 src2=1
	v_add3_u32 v126, v126, v145 /*v401*/, v146 /*v402*/
	s_set_vgpr_msb 0x45                     ;  msbs: dst=1 src0=1 src1=1 src2=0
	v_mul_i32_i24_e32 v145 /*v401*/, v139 /*v395*/, v56 /*v312*/
	v_mul_i32_i24_e32 v146 /*v402*/, v140 /*v396*/, v73 /*v329*/
	s_set_vgpr_msb 20                       ;  msbs: dst=0 src0=0 src1=1 src2=1
	v_add3_u32 v126, v126, v147 /*v403*/, v148 /*v404*/
	s_set_vgpr_msb 0x45                     ;  msbs: dst=1 src0=1 src1=1 src2=0
	v_mul_i32_i24_e32 v147 /*v403*/, v142 /*v398*/, v72 /*v328*/
	s_set_vgpr_msb 0x44                     ;  msbs: dst=1 src0=0 src1=1 src2=0
	v_mul_i32_i24_e32 v148 /*v404*/, v217, v86 /*v342*/
	s_set_vgpr_msb 20                       ;  msbs: dst=0 src0=0 src1=1 src2=1
	v_add3_u32 v126, v126, v149 /*v405*/, v150 /*v406*/
	s_set_vgpr_msb 0x55                     ;  msbs: dst=1 src0=1 src1=1 src2=1
	v_mad_i32_i24 v147 /*v403*/, v141 /*v397*/, v70 /*v326*/, v147 /*v403*/
	s_set_vgpr_msb 0x44                     ;  msbs: dst=1 src0=0 src1=1 src2=0
	v_mul_i32_i24_e32 v149 /*v405*/, v109, v87 /*v343*/
	v_mul_i32_i24_e32 v150 /*v406*/, v237, v117 /*v373*/
	s_set_vgpr_msb 20                       ;  msbs: dst=0 src0=0 src1=1 src2=1
	v_add3_u32 v126, v126, v151 /*v407*/, v152 /*v408*/
	s_set_vgpr_msb 0x55                     ;  msbs: dst=1 src0=1 src1=1 src2=1
	v_add3_u32 v145 /*v401*/, v147 /*v403*/, v146 /*v402*/, v145 /*v401*/
	s_set_vgpr_msb 0x44                     ;  msbs: dst=1 src0=0 src1=1 src2=0
	v_mul_i32_i24_e32 v146 /*v402*/, v215, v84 /*v340*/
	v_mul_i32_i24_e32 v147 /*v403*/, v216, v85 /*v341*/
	;; [unrolled: 1-line block ×3, first 2 shown]
	s_set_vgpr_msb 20                       ;  msbs: dst=0 src0=0 src1=1 src2=1
	v_add3_u32 v126, v126, v154 /*v410*/, v155 /*v411*/
	s_set_vgpr_msb 0x55                     ;  msbs: dst=1 src0=1 src1=1 src2=1
	v_add3_u32 v144 /*v400*/, v145 /*v401*/, v78 /*v334*/, v144 /*v400*/
	s_set_vgpr_msb 0x44                     ;  msbs: dst=1 src0=0 src1=1 src2=0
	v_mul_i32_i24_e32 v78 /*v334*/, v213, v79 /*v335*/
	v_mul_i32_i24_e32 v145 /*v401*/, v214, v80 /*v336*/
	v_mul_i32_i24_e32 v152 /*v408*/, v242, v119 /*v375*/
	s_set_vgpr_msb 4                        ;  msbs: dst=0 src0=0 src1=1 src2=0
	v_mad_u32 v122, v126, v54 /*v310*/, v122
	s_set_vgpr_msb 0x44                     ;  msbs: dst=1 src0=0 src1=1 src2=0
	v_mul_i32_i24_e32 v154 /*v410*/, v245, v120 /*v376*/
	v_mul_i32_i24_e32 v155 /*v411*/, v247, v121 /*v377*/
	s_set_vgpr_msb 0                        ;  msbs: dst=0 src0=0 src1=0 src2=0
	s_delay_alu instid0(VALU_DEP_3) | instskip(SKIP_2) | instid1(VALU_DEP_1)
	v_cvt_f32_i32_e32 v126, v122
	v_mul_i32_i24_e32 v122, v212, v124
	s_set_vgpr_msb 5                        ;  msbs: dst=0 src0=1 src1=1 src2=0
	v_add3_u32 v122, v170 /*v426*/, v178 /*v434*/, v122
	s_set_vgpr_msb 20                       ;  msbs: dst=0 src0=0 src1=1 src2=1
	s_delay_alu instid0(VALU_DEP_1)
	v_add3_u32 v122, v122, v78 /*v334*/, v145 /*v401*/
	s_set_vgpr_msb 0x44                     ;  msbs: dst=1 src0=0 src1=1 src2=0
	v_mul_i32_i24_e32 v78 /*v334*/, v220, v88 /*v344*/
	v_mul_i32_i24_e32 v145 /*v401*/, v221, v105 /*v361*/
	s_set_vgpr_msb 20                       ;  msbs: dst=0 src0=0 src1=1 src2=1
	v_add3_u32 v122, v122, v146 /*v402*/, v147 /*v403*/
	s_set_vgpr_msb 0x54                     ;  msbs: dst=1 src0=0 src1=1 src2=1
	v_mul_i32_i24_e32 v146 /*v402*/, v223, v109 /*v365*/
	v_mad_i32_i24 v78 /*v334*/, v219, v102 /*v358*/, v78 /*v334*/
	v_mul_i32_i24_e32 v147 /*v403*/, v231, v112 /*v368*/
	s_set_vgpr_msb 20                       ;  msbs: dst=0 src0=0 src1=1 src2=1
	v_add3_u32 v122, v122, v148 /*v404*/, v149 /*v405*/
	s_set_vgpr_msb 0x44                     ;  msbs: dst=1 src0=0 src1=1 src2=0
	v_mul_i32_i24_e32 v148 /*v404*/, v233, v113 /*v369*/
	s_set_vgpr_msb 0x55                     ;  msbs: dst=1 src0=1 src1=1 src2=1
	v_add3_u32 v78 /*v334*/, v78 /*v334*/, v145 /*v401*/, v146 /*v402*/
	s_set_vgpr_msb 0x44                     ;  msbs: dst=1 src0=0 src1=1 src2=0
	v_mul_i32_i24_e32 v145 /*v401*/, v227, v110 /*v366*/
	v_mul_i32_i24_e32 v146 /*v402*/, v229, v111 /*v367*/
	;; [unrolled: 1-line block ×3, first 2 shown]
	s_set_vgpr_msb 4                        ;  msbs: dst=0 src0=0 src1=1 src2=0
	v_mul_lo_u32 v122, v122, v98 /*v354*/
	s_set_vgpr_msb 0x55                     ;  msbs: dst=1 src0=1 src1=1 src2=1
	v_add3_u32 v78 /*v334*/, v78 /*v334*/, v145 /*v401*/, v146 /*v402*/
	v_mul_i32_i24_e32 v145 /*v401*/, v137 /*v393*/, v97 /*v353*/
	v_mul_i32_i24_e32 v146 /*v402*/, v138 /*v394*/, v90 /*v346*/
	s_delay_alu instid0(VALU_DEP_3) | instskip(SKIP_2) | instid1(VALU_DEP_3)
	v_add3_u32 v78 /*v334*/, v78 /*v334*/, v147 /*v403*/, v148 /*v404*/
	v_mul_i32_i24_e32 v147 /*v403*/, v139 /*v395*/, v96 /*v352*/
	v_mul_i32_i24_e32 v148 /*v404*/, v140 /*v396*/, v95 /*v351*/
	v_add3_u32 v78 /*v334*/, v78 /*v334*/, v149 /*v405*/, v150 /*v406*/
	v_mul_i32_i24_e32 v149 /*v405*/, v142 /*v398*/, v93 /*v349*/
	v_mul_i32_i24_e32 v150 /*v406*/, v14 /*v270*/, v86 /*v342*/
	s_set_vgpr_msb 0x44                     ;  msbs: dst=1 src0=0 src1=1 src2=0
	v_mul_i32_i24_e32 v86 /*v342*/, v186, v86 /*v342*/
	s_set_vgpr_msb 0x55                     ;  msbs: dst=1 src0=1 src1=1 src2=1
	v_add3_u32 v78 /*v334*/, v78 /*v334*/, v151 /*v407*/, v152 /*v408*/
	v_mad_i32_i24 v149 /*v405*/, v141 /*v397*/, v94 /*v350*/, v149 /*v405*/
	s_set_vgpr_msb 0x44                     ;  msbs: dst=1 src0=0 src1=1 src2=0
	v_mul_i32_i24_e32 v151 /*v407*/, v209, v87 /*v343*/
	v_mul_i32_i24_e32 v87 /*v343*/, v188, v87 /*v343*/
	s_set_vgpr_msb 0x55                     ;  msbs: dst=1 src0=1 src1=1 src2=1
	v_mul_i32_i24_e32 v152 /*v408*/, v31 /*v287*/, v117 /*v373*/
	v_add3_u32 v78 /*v334*/, v78 /*v334*/, v154 /*v410*/, v155 /*v411*/
	v_add3_u32 v147 /*v403*/, v149 /*v405*/, v148 /*v404*/, v147 /*v403*/
	v_mul_i32_i24_e32 v148 /*v404*/, v10 /*v266*/, v84 /*v340*/
	v_mul_i32_i24_e32 v149 /*v405*/, v12 /*v268*/, v85 /*v341*/
	s_set_vgpr_msb 0x44                     ;  msbs: dst=1 src0=0 src1=1 src2=0
	v_mul_i32_i24_e32 v84 /*v340*/, v184, v84 /*v340*/
	s_set_vgpr_msb 0x55                     ;  msbs: dst=1 src0=1 src1=1 src2=1
	v_add3_u32 v78 /*v334*/, v78 /*v334*/, v156 /*v412*/, v157 /*v413*/
	v_add3_u32 v145 /*v401*/, v147 /*v403*/, v145 /*v401*/, v146 /*v402*/
	v_mul_i32_i24_e32 v146 /*v402*/, v5 /*v261*/, v79 /*v335*/
	v_mul_i32_i24_e32 v147 /*v403*/, v7 /*v263*/, v80 /*v336*/
	s_set_vgpr_msb 0x44                     ;  msbs: dst=1 src0=0 src1=1 src2=0
	v_mul_i32_i24_e32 v79 /*v335*/, v182, v79 /*v335*/
	s_set_vgpr_msb 5                        ;  msbs: dst=0 src0=1 src1=1 src2=0
	v_mad_u32 v122, v78 /*v334*/, v92 /*v348*/, v122
	s_set_vgpr_msb 0x44                     ;  msbs: dst=1 src0=0 src1=1 src2=0
	v_mul_i32_i24_e32 v80 /*v336*/, v183, v80 /*v336*/
	v_mul_i32_i24_e32 v85 /*v341*/, v185, v85 /*v341*/
	s_set_vgpr_msb 0x45                     ;  msbs: dst=1 src0=1 src1=1 src2=0
	v_mul_i32_i24_e32 v154 /*v410*/, v32 /*v288*/, v118 /*v374*/
	v_mul_i32_i24_e32 v155 /*v411*/, v33 /*v289*/, v119 /*v375*/
	;; [unrolled: 1-line block ×4, first 2 shown]
	s_set_vgpr_msb 64                       ;  msbs: dst=1 src0=0 src1=0 src2=0
	v_cvt_f32_i32_e32 v78 /*v334*/, v122
	s_set_vgpr_msb 1                        ;  msbs: dst=0 src0=1 src1=0 src2=0
	v_mul_i32_i24_e32 v122, v3 /*v259*/, v124
	s_set_vgpr_msb 0                        ;  msbs: dst=0 src0=0 src1=0 src2=0
	v_mul_i32_i24_e32 v124, v181, v124
	s_set_vgpr_msb 5                        ;  msbs: dst=0 src0=1 src1=1 src2=0
	s_delay_alu instid0(VALU_DEP_2) | instskip(NEXT) | instid1(VALU_DEP_2)
	v_add3_u32 v122, v171 /*v427*/, v180 /*v436*/, v122
	v_add3_u32 v124, v174 /*v430*/, v153 /*v409*/, v124
	s_set_vgpr_msb 20                       ;  msbs: dst=0 src0=0 src1=1 src2=1
	s_delay_alu instid0(VALU_DEP_2) | instskip(NEXT) | instid1(VALU_DEP_2)
	v_add3_u32 v122, v122, v146 /*v402*/, v147 /*v403*/
	v_add3_u32 v124, v124, v79 /*v335*/, v80 /*v336*/
	s_set_vgpr_msb 0x44                     ;  msbs: dst=1 src0=0 src1=1 src2=0
	v_mul_i32_i24_e32 v79 /*v335*/, v189, v88 /*v344*/
	v_mul_i32_i24_e32 v80 /*v336*/, v190, v105 /*v361*/
	s_set_vgpr_msb 0x45                     ;  msbs: dst=1 src0=1 src1=1 src2=0
	v_mul_i32_i24_e32 v146 /*v402*/, v20 /*v276*/, v88 /*v344*/
	s_set_vgpr_msb 20                       ;  msbs: dst=0 src0=0 src1=1 src2=1
	v_add3_u32 v122, v122, v148 /*v404*/, v149 /*v405*/
	v_add3_u32 v124, v124, v84 /*v340*/, v85 /*v341*/
	s_set_vgpr_msb 0x54                     ;  msbs: dst=1 src0=0 src1=1 src2=1
	v_mul_i32_i24_e32 v84 /*v340*/, v191, v109 /*v365*/
	v_mad_i32_i24 v79 /*v335*/, v187, v102 /*v358*/, v79 /*v335*/
	v_mul_i32_i24_e32 v85 /*v341*/, v194, v112 /*v368*/
	s_set_vgpr_msb 0x45                     ;  msbs: dst=1 src0=1 src1=1 src2=0
	v_mul_i32_i24_e32 v147 /*v403*/, v23 /*v279*/, v105 /*v361*/
	s_set_vgpr_msb 20                       ;  msbs: dst=0 src0=0 src1=1 src2=1
	v_add3_u32 v124, v124, v86 /*v342*/, v87 /*v343*/
	s_set_vgpr_msb 0x44                     ;  msbs: dst=1 src0=0 src1=1 src2=0
	v_mul_i32_i24_e32 v86 /*v342*/, v195, v113 /*v369*/
	s_set_vgpr_msb 0x55                     ;  msbs: dst=1 src0=1 src1=1 src2=1
	v_add3_u32 v79 /*v335*/, v79 /*v335*/, v80 /*v336*/, v84 /*v340*/
	s_set_vgpr_msb 0x44                     ;  msbs: dst=1 src0=0 src1=1 src2=0
	v_mul_i32_i24_e32 v80 /*v336*/, v192, v110 /*v366*/
	v_mul_i32_i24_e32 v84 /*v340*/, v193, v111 /*v367*/
	s_set_vgpr_msb 0x55                     ;  msbs: dst=1 src0=1 src1=1 src2=1
	v_mul_i32_i24_e32 v148 /*v404*/, v25 /*v281*/, v109 /*v365*/
	v_mad_i32_i24 v146 /*v402*/, v18 /*v274*/, v102 /*v358*/, v146 /*v402*/
	s_set_vgpr_msb 0x44                     ;  msbs: dst=1 src0=0 src1=1 src2=0
	v_mul_i32_i24_e32 v87 /*v343*/, v196, v116 /*v372*/
	v_mul_i32_i24_e32 v88 /*v344*/, v197, v117 /*v373*/
	s_set_vgpr_msb 0x55                     ;  msbs: dst=1 src0=1 src1=1 src2=1
	v_add3_u32 v79 /*v335*/, v79 /*v335*/, v80 /*v336*/, v84 /*v340*/
	s_set_vgpr_msb 0x44                     ;  msbs: dst=1 src0=0 src1=1 src2=0
	v_mul_i32_i24_e32 v102 /*v358*/, v198, v118 /*v374*/
	s_set_vgpr_msb 0x55                     ;  msbs: dst=1 src0=1 src1=1 src2=1
	v_add3_u32 v146 /*v402*/, v146 /*v402*/, v147 /*v403*/, v148 /*v404*/
	v_mul_i32_i24_e32 v147 /*v403*/, v26 /*v282*/, v110 /*v366*/
	v_mul_i32_i24_e32 v148 /*v404*/, v27 /*v283*/, v111 /*v367*/
	v_add3_u32 v79 /*v335*/, v79 /*v335*/, v85 /*v341*/, v86 /*v342*/
	s_set_vgpr_msb 0x44                     ;  msbs: dst=1 src0=0 src1=1 src2=0
	v_mul_i32_i24_e32 v105 /*v361*/, v199, v119 /*v375*/
	s_set_vgpr_msb 20                       ;  msbs: dst=0 src0=0 src1=1 src2=1
	v_add3_u32 v122, v122, v150 /*v406*/, v151 /*v407*/
	s_set_vgpr_msb 0x55                     ;  msbs: dst=1 src0=1 src1=1 src2=1
	v_mul_i32_i24_e32 v149 /*v405*/, v28 /*v284*/, v112 /*v368*/
	v_mul_i32_i24_e32 v150 /*v406*/, v29 /*v285*/, v113 /*v369*/
	v_add3_u32 v79 /*v335*/, v79 /*v335*/, v87 /*v343*/, v88 /*v344*/
	v_mul_i32_i24_e32 v87 /*v343*/, v142 /*v398*/, v77 /*v333*/
	v_add3_u32 v146 /*v402*/, v146 /*v402*/, v147 /*v403*/, v148 /*v404*/
	s_set_vgpr_msb 0x44                     ;  msbs: dst=1 src0=0 src1=1 src2=0
	v_mul_i32_i24_e32 v109 /*v365*/, v200, v120 /*v376*/
	v_mul_i32_i24_e32 v110 /*v366*/, v201, v121 /*v377*/
	s_set_vgpr_msb 0x55                     ;  msbs: dst=1 src0=1 src1=1 src2=1
	v_add3_u32 v79 /*v335*/, v79 /*v335*/, v102 /*v358*/, v105 /*v361*/
	v_mul_i32_i24_e32 v85 /*v341*/, v139 /*v395*/, v126 /*v382*/
	v_mul_i32_i24_e32 v86 /*v342*/, v140 /*v396*/, v125 /*v381*/
	v_mad_i32_i24 v87 /*v343*/, v141 /*v397*/, v124 /*v380*/, v87 /*v343*/
	v_mul_i32_i24_e32 v151 /*v407*/, v30 /*v286*/, v116 /*v372*/
	v_add3_u32 v146 /*v402*/, v146 /*v402*/, v149 /*v405*/, v150 /*v406*/
	s_set_vgpr_msb 0x44                     ;  msbs: dst=1 src0=0 src1=1 src2=0
	v_mul_i32_i24_e32 v111 /*v367*/, v202, v122 /*v378*/
	v_mul_i32_i24_e32 v112 /*v368*/, v203, v123 /*v379*/
	s_set_vgpr_msb 0x55                     ;  msbs: dst=1 src0=1 src1=1 src2=1
	v_add3_u32 v79 /*v335*/, v79 /*v335*/, v109 /*v365*/, v110 /*v366*/
	v_mul_i32_i24_e32 v80 /*v336*/, v137 /*v393*/, v128 /*v384*/
	v_mul_i32_i24_e32 v84 /*v340*/, v138 /*v394*/, v129 /*v385*/
	v_add3_u32 v85 /*v341*/, v87 /*v343*/, v86 /*v342*/, v85 /*v341*/
	v_add3_u32 v146 /*v402*/, v146 /*v402*/, v151 /*v407*/, v152 /*v408*/
	;; [unrolled: 1-line block ×3, first 2 shown]
	v_mul_i32_i24_e32 v151 /*v407*/, v142 /*v398*/, v62 /*v318*/
	s_set_vgpr_msb 4                        ;  msbs: dst=0 src0=0 src1=1 src2=0
	v_mul_lo_u32 v122, v122, v66 /*v322*/
	s_set_vgpr_msb 0x55                     ;  msbs: dst=1 src0=1 src1=1 src2=1
	v_add3_u32 v109 /*v365*/, v85 /*v341*/, v80 /*v336*/, v84 /*v340*/
	ds_load_b32 v118 /*v374*/, v160 /*v416*/ offset:30368
	ds_load_b128 v[84:87] /*v[340:343]*/, v159 /*v415*/ offset:16896
	ds_load_b128 v[110:113] /*v[366:369]*/, v159 /*v415*/ offset:16912
	v_add3_u32 v146 /*v402*/, v146 /*v402*/, v154 /*v410*/, v155 /*v411*/
	v_mul_i32_i24_e32 v149 /*v405*/, v139 /*v395*/, v65 /*v321*/
	v_mul_i32_i24_e32 v150 /*v406*/, v140 /*v396*/, v64 /*v320*/
	v_mad_i32_i24 v151 /*v407*/, v141 /*v397*/, v63 /*v319*/, v151 /*v407*/
	v_mul_i32_i24_e32 v147 /*v403*/, v137 /*v393*/, v67 /*v323*/
	v_add3_u32 v146 /*v402*/, v146 /*v402*/, v156 /*v412*/, v157 /*v413*/
	v_mul_i32_i24_e32 v148 /*v404*/, v138 /*v394*/, v59 /*v315*/
	s_set_vgpr_msb 4                        ;  msbs: dst=0 src0=0 src1=1 src2=0
	v_mul_lo_u32 v124, v124, v134 /*v390*/
	s_set_vgpr_msb 0x55                     ;  msbs: dst=1 src0=1 src1=1 src2=1
	v_add3_u32 v149 /*v405*/, v151 /*v407*/, v150 /*v406*/, v149 /*v405*/
	v_add3_u32 v146 /*v402*/, v146 /*v402*/, v158 /*v414*/, v162 /*v418*/
	s_delay_alu instid0(VALU_DEP_2) | instskip(SKIP_1) | instid1(VALU_DEP_2)
	v_add3_u32 v147 /*v403*/, v149 /*v405*/, v147 /*v403*/, v148 /*v404*/
	s_set_vgpr_msb 5                        ;  msbs: dst=0 src0=1 src1=1 src2=0
	v_mad_u32 v122, v146 /*v402*/, v60 /*v316*/, v122
	v_mad_u32 v124, v79 /*v335*/, v143 /*v399*/, v124
	s_wait_dscnt 0x0
	s_set_vgpr_msb 0x41                     ;  msbs: dst=1 src0=1 src1=0 src2=0
	v_bfe_i32 v140 /*v396*/, v110 /*v366*/, 0, 8
	v_bfe_i32 v141 /*v397*/, v110 /*v366*/, 8, 8
	v_bfe_i32 v142 /*v398*/, v110 /*v366*/, 16, 8
	s_set_vgpr_msb 0x44                     ;  msbs: dst=1 src0=0 src1=1 src2=0
	v_ashrrev_i32_e32 v110 /*v366*/, 24, v110 /*v366*/
	s_set_vgpr_msb 0x41                     ;  msbs: dst=1 src0=1 src1=0 src2=0
	v_bfe_i32 v146 /*v402*/, v111 /*v367*/, 0, 8
	v_bfe_i32 v148 /*v404*/, v111 /*v367*/, 8, 8
	v_bfe_i32 v149 /*v405*/, v111 /*v367*/, 16, 8
	s_set_vgpr_msb 0x44                     ;  msbs: dst=1 src0=0 src1=1 src2=0
	v_ashrrev_i32_e32 v111 /*v367*/, 24, v111 /*v367*/
	;; [unrolled: 6-line block ×3, first 2 shown]
	s_set_vgpr_msb 0x55                     ;  msbs: dst=1 src0=1 src1=1 src2=1
	v_bfe_i32 v153 /*v409*/, v113 /*v369*/, 0, 8
	v_bfe_i32 v154 /*v410*/, v113 /*v369*/, 8, 8
	;; [unrolled: 1-line block ×3, first 2 shown]
	v_dual_ashrrev_i32 v113 /*v369*/, 24, v113 /*v369*/ :: v_dual_add_nc_u32 v80 /*v336*/, v111 /*v367*/, v110 /*v366*/
	v_bfe_i32 v79 /*v335*/, v84 /*v340*/, 0, 8
	v_bfe_i32 v88 /*v344*/, v84 /*v340*/, 8, 8
	v_bfe_i32 v105 /*v361*/, v84 /*v340*/, 16, 8
	v_ashrrev_i32_e32 v84 /*v340*/, 24, v84 /*v340*/
	v_add3_u32 v156 /*v412*/, v80 /*v336*/, v112 /*v368*/, v113 /*v369*/
	v_add_nc_u32_e32 v80 /*v336*/, v149 /*v405*/, v142 /*v398*/
	v_bfe_i32 v117 /*v373*/, v85 /*v341*/, 0, 8
	v_bfe_i32 v119 /*v375*/, v85 /*v341*/, 8, 8
	v_bfe_i32 v120 /*v376*/, v85 /*v341*/, 16, 8
	v_ashrrev_i32_e32 v85 /*v341*/, 24, v85 /*v341*/
	v_add3_u32 v157 /*v413*/, v80 /*v336*/, v152 /*v408*/, v155 /*v411*/
	v_add_nc_u32_e32 v80 /*v336*/, v146 /*v402*/, v140 /*v396*/
	;; [unrolled: 6-line block ×4, first 2 shown]
	s_set_vgpr_msb 0x44                     ;  msbs: dst=1 src0=0 src1=1 src2=0
	v_mul_i32_i24_e32 v102 /*v358*/, v224, v105 /*v361*/
	v_mul_i32_i24_e32 v116 /*v372*/, v127, v84 /*v340*/
	v_mul_i32_i24_e32 v165 /*v421*/, v226, v120 /*v376*/
	v_mul_i32_i24_e32 v166 /*v422*/, v228, v85 /*v341*/
	s_set_vgpr_msb 0x55                     ;  msbs: dst=1 src0=1 src1=1 src2=1
	v_add3_u32 v160 /*v416*/, v80 /*v336*/, v86 /*v342*/, v87 /*v343*/
	v_add_nc_u32_e32 v80 /*v336*/, v120 /*v376*/, v105 /*v361*/
	s_set_vgpr_msb 0x44                     ;  msbs: dst=1 src0=0 src1=1 src2=0
	v_mul_i32_i24_e32 v167 /*v423*/, v230, v121 /*v377*/
	v_mul_i32_i24_e32 v168 /*v424*/, v232, v122 /*v378*/
	v_mul_i32_i24_e32 v169 /*v425*/, v234, v123 /*v379*/
	v_mul_i32_i24_e32 v170 /*v426*/, v236, v86 /*v342*/
	s_set_vgpr_msb 0x55                     ;  msbs: dst=1 src0=1 src1=1 src2=1
	v_add3_u32 v162 /*v418*/, v80 /*v336*/, v123 /*v379*/, v139 /*v395*/
	v_add_nc_u32_e32 v80 /*v336*/, v119 /*v375*/, v88 /*v344*/
	;; [unrolled: 8-line block ×3, first 2 shown]
	s_set_vgpr_msb 0x44                     ;  msbs: dst=1 src0=0 src1=1 src2=0
	v_mul_i32_i24_e32 v176 /*v432*/, v246, v113 /*v369*/
	v_mul_i32_i24_e32 v177 /*v433*/, v109, v87 /*v343*/
	;; [unrolled: 1-line block ×4, first 2 shown]
	s_set_vgpr_msb 0x55                     ;  msbs: dst=1 src0=1 src1=1 src2=1
	v_add3_u32 v164 /*v420*/, v80 /*v336*/, v121 /*v377*/, v137 /*v393*/
	s_set_vgpr_msb 0x44                     ;  msbs: dst=1 src0=0 src1=1 src2=0
	v_mul_i32_i24_e32 v80 /*v336*/, v121, v79 /*v335*/
	v_mul_i32_i24_e32 v87 /*v343*/, v188, v87 /*v343*/
	s_set_vgpr_msb 0x45                     ;  msbs: dst=1 src0=1 src1=1 src2=0
	v_mul_i32_i24_e32 v180 /*v436*/, v8 /*v264*/, v113 /*v369*/
	s_set_vgpr_msb 0x44                     ;  msbs: dst=1 src0=0 src1=1 src2=0
	v_mul_i32_i24_e32 v113 /*v369*/, v203, v113 /*v369*/
	s_set_vgpr_msb 0                        ;  msbs: dst=0 src0=0 src1=0 src2=0
	v_cvt_f32_i32_e32 v122, v122
	s_set_vgpr_msb 0x54                     ;  msbs: dst=1 src0=0 src1=1 src2=1
	v_mad_i32_i24 v80 /*v336*/, v119, v88 /*v344*/, v80 /*v336*/
	s_set_vgpr_msb 0                        ;  msbs: dst=0 src0=0 src1=0 src2=0
	v_cvt_f32_i32_e32 v124, v124
	s_set_vgpr_msb 0x55                     ;  msbs: dst=1 src0=1 src1=1 src2=1
	s_delay_alu instid0(VALU_DEP_2) | instskip(SKIP_4) | instid1(VALU_DEP_1)
	v_add3_u32 v80 /*v336*/, v80 /*v336*/, v102 /*v358*/, v116 /*v372*/
	s_set_vgpr_msb 0x44                     ;  msbs: dst=1 src0=0 src1=1 src2=0
	v_mul_i32_i24_e32 v102 /*v358*/, v222, v117 /*v373*/
	v_mul_i32_i24_e32 v116 /*v372*/, v225, v119 /*v375*/
	s_set_vgpr_msb 0x55                     ;  msbs: dst=1 src0=1 src1=1 src2=1
	v_add3_u32 v80 /*v336*/, v80 /*v336*/, v102 /*v358*/, v116 /*v372*/
	s_set_vgpr_msb 0x44                     ;  msbs: dst=1 src0=0 src1=1 src2=0
	v_mul_i32_i24_e32 v102 /*v358*/, v255, v140 /*v396*/
	s_set_vgpr_msb 0x55                     ;  msbs: dst=1 src0=1 src1=1 src2=1
	v_mul_i32_i24_e32 v116 /*v372*/, v2 /*v258*/, v142 /*v398*/
	v_add3_u32 v80 /*v336*/, v80 /*v336*/, v165 /*v421*/, v166 /*v422*/
	v_mul_i32_i24_e32 v165 /*v421*/, v4 /*v260*/, v110 /*v366*/
	s_set_vgpr_msb 0x54                     ;  msbs: dst=1 src0=0 src1=1 src2=1
	v_mad_i32_i24 v102 /*v358*/, v251, v141 /*v397*/, v102 /*v358*/
	s_set_vgpr_msb 0x55                     ;  msbs: dst=1 src0=1 src1=1 src2=1
	v_mul_i32_i24_e32 v166 /*v422*/, v11 /*v267*/, v149 /*v405*/
	v_add3_u32 v80 /*v336*/, v80 /*v336*/, v167 /*v423*/, v168 /*v424*/
	v_mul_i32_i24_e32 v167 /*v423*/, v13 /*v269*/, v111 /*v367*/
	v_add3_u32 v102 /*v358*/, v102 /*v358*/, v116 /*v372*/, v165 /*v421*/
	v_mul_i32_i24_e32 v116 /*v372*/, v6 /*v262*/, v146 /*v402*/
	v_mul_i32_i24_e32 v165 /*v421*/, v9 /*v265*/, v148 /*v404*/
	v_add3_u32 v80 /*v336*/, v80 /*v336*/, v169 /*v425*/, v170 /*v426*/
	v_mul_i32_i24_e32 v168 /*v424*/, v15 /*v271*/, v150 /*v406*/
	v_mul_i32_i24_e32 v169 /*v425*/, v16 /*v272*/, v151 /*v407*/
	v_mul_i32_i24_e32 v170 /*v426*/, v17 /*v273*/, v152 /*v408*/
	v_add3_u32 v102 /*v358*/, v102 /*v358*/, v116 /*v372*/, v165 /*v421*/
	v_add3_u32 v80 /*v336*/, v80 /*v336*/, v171 /*v427*/, v172 /*v428*/
	v_mul_i32_i24_e32 v171 /*v427*/, v19 /*v275*/, v112 /*v368*/
	v_mul_i32_i24_e32 v172 /*v428*/, v21 /*v277*/, v153 /*v409*/
	v_mul_i32_i24_e32 v116 /*v372*/, v158 /*v414*/, v58 /*v314*/
	v_add3_u32 v102 /*v358*/, v102 /*v358*/, v166 /*v422*/, v167 /*v423*/
	;; [unrolled: 5-line block ×3, first 2 shown]
	v_mul_lo_u32 v80 /*v336*/, v80 /*v336*/, v57 /*v313*/
	v_mul_i32_i24_e32 v168 /*v424*/, v164 /*v420*/, v72 /*v328*/
	v_mul_i32_i24_e32 v167 /*v423*/, v162 /*v418*/, v73 /*v329*/
	;; [unrolled: 1-line block ×3, first 2 shown]
	v_add3_u32 v102 /*v358*/, v102 /*v358*/, v170 /*v426*/, v171 /*v427*/
	s_set_vgpr_msb 0x44                     ;  msbs: dst=1 src0=0 src1=1 src2=0
	v_mul_i32_i24_e32 v169 /*v425*/, v211, v121 /*v377*/
	s_set_vgpr_msb 0x55                     ;  msbs: dst=1 src0=1 src1=1 src2=1
	v_mad_i32_i24 v168 /*v424*/, v163 /*v419*/, v70 /*v326*/, v168 /*v424*/
	s_set_vgpr_msb 0x44                     ;  msbs: dst=1 src0=0 src1=1 src2=0
	v_mul_i32_i24_e32 v170 /*v426*/, v212, v122 /*v378*/
	v_mul_i32_i24_e32 v171 /*v427*/, v213, v123 /*v379*/
	s_set_vgpr_msb 0x55                     ;  msbs: dst=1 src0=1 src1=1 src2=1
	v_add3_u32 v102 /*v358*/, v102 /*v358*/, v172 /*v428*/, v173 /*v429*/
	s_set_vgpr_msb 0x44                     ;  msbs: dst=1 src0=0 src1=1 src2=0
	v_mul_i32_i24_e32 v172 /*v428*/, v214, v86 /*v342*/
	s_set_vgpr_msb 0x55                     ;  msbs: dst=1 src0=1 src1=1 src2=1
	v_add3_u32 v166 /*v422*/, v168 /*v424*/, v167 /*v423*/, v166 /*v422*/
	s_set_vgpr_msb 0x44                     ;  msbs: dst=1 src0=0 src1=1 src2=0
	v_mul_i32_i24_e32 v167 /*v423*/, v208, v120 /*v376*/
	v_mul_i32_i24_e32 v168 /*v424*/, v210, v85 /*v341*/
	s_set_vgpr_msb 0x55                     ;  msbs: dst=1 src0=1 src1=1 src2=1
	v_add3_u32 v102 /*v358*/, v102 /*v358*/, v174 /*v430*/, v176 /*v432*/
	s_set_vgpr_msb 0x44                     ;  msbs: dst=1 src0=0 src1=1 src2=0
	v_mul_i32_i24_e32 v173 /*v429*/, v215, v137 /*v393*/
	s_set_vgpr_msb 0x55                     ;  msbs: dst=1 src0=1 src1=1 src2=1
	v_add3_u32 v165 /*v421*/, v166 /*v422*/, v116 /*v372*/, v165 /*v421*/
	s_set_vgpr_msb 0x44                     ;  msbs: dst=1 src0=0 src1=1 src2=0
	v_mul_i32_i24_e32 v116 /*v372*/, v206, v105 /*v361*/
	v_mul_i32_i24_e32 v166 /*v422*/, v204, v84 /*v340*/
	s_set_vgpr_msb 0x55                     ;  msbs: dst=1 src0=1 src1=1 src2=1
	v_mad_u32 v80 /*v336*/, v102 /*v358*/, v54 /*v310*/, v80 /*v336*/
	s_set_vgpr_msb 0x44                     ;  msbs: dst=1 src0=0 src1=1 src2=0
	v_mul_i32_i24_e32 v174 /*v430*/, v216, v138 /*v394*/
	v_mul_i32_i24_e32 v176 /*v432*/, v217, v139 /*v395*/
	s_set_vgpr_msb 0x41                     ;  msbs: dst=1 src0=1 src1=0 src2=0
	s_delay_alu instid0(VALU_DEP_3) | instskip(SKIP_2) | instid1(VALU_DEP_1)
	v_cvt_f32_i32_e32 v102 /*v358*/, v80 /*v336*/
	s_set_vgpr_msb 0x54                     ;  msbs: dst=1 src0=0 src1=1 src2=1
	v_mul_i32_i24_e32 v80 /*v336*/, v125, v79 /*v335*/
	v_mad_i32_i24 v80 /*v336*/, v123, v88 /*v344*/, v80 /*v336*/
	s_set_vgpr_msb 0x55                     ;  msbs: dst=1 src0=1 src1=1 src2=1
	s_delay_alu instid0(VALU_DEP_1) | instskip(SKIP_4) | instid1(VALU_DEP_1)
	v_add3_u32 v80 /*v336*/, v80 /*v336*/, v116 /*v372*/, v166 /*v422*/
	s_set_vgpr_msb 0x44                     ;  msbs: dst=1 src0=0 src1=1 src2=0
	v_mul_i32_i24_e32 v116 /*v372*/, v205, v117 /*v373*/
	v_mul_i32_i24_e32 v166 /*v422*/, v207, v119 /*v375*/
	s_set_vgpr_msb 0x55                     ;  msbs: dst=1 src0=1 src1=1 src2=1
	v_add3_u32 v80 /*v336*/, v80 /*v336*/, v116 /*v372*/, v166 /*v422*/
	s_set_vgpr_msb 0x44                     ;  msbs: dst=1 src0=0 src1=1 src2=0
	v_mul_i32_i24_e32 v116 /*v372*/, v220, v140 /*v396*/
	v_mul_i32_i24_e32 v166 /*v422*/, v221, v142 /*v398*/
	s_set_vgpr_msb 0x55                     ;  msbs: dst=1 src0=1 src1=1 src2=1
	v_add3_u32 v80 /*v336*/, v80 /*v336*/, v167 /*v423*/, v168 /*v424*/
	s_set_vgpr_msb 0x54                     ;  msbs: dst=1 src0=0 src1=1 src2=1
	v_mul_i32_i24_e32 v167 /*v423*/, v223, v110 /*v366*/
	v_mad_i32_i24 v116 /*v372*/, v219, v141 /*v397*/, v116 /*v372*/
	v_mul_i32_i24_e32 v168 /*v424*/, v231, v149 /*v405*/
	s_set_vgpr_msb 0x55                     ;  msbs: dst=1 src0=1 src1=1 src2=1
	v_add3_u32 v80 /*v336*/, v80 /*v336*/, v169 /*v425*/, v170 /*v426*/
	s_set_vgpr_msb 0x44                     ;  msbs: dst=1 src0=0 src1=1 src2=0
	v_mul_i32_i24_e32 v169 /*v425*/, v233, v111 /*v367*/
	s_set_vgpr_msb 0x55                     ;  msbs: dst=1 src0=1 src1=1 src2=1
	v_add3_u32 v116 /*v372*/, v116 /*v372*/, v166 /*v422*/, v167 /*v423*/
	s_set_vgpr_msb 0x44                     ;  msbs: dst=1 src0=0 src1=1 src2=0
	v_mul_i32_i24_e32 v166 /*v422*/, v227, v146 /*v402*/
	v_mul_i32_i24_e32 v167 /*v423*/, v229, v148 /*v404*/
	s_set_vgpr_msb 0x55                     ;  msbs: dst=1 src0=1 src1=1 src2=1
	v_add3_u32 v80 /*v336*/, v80 /*v336*/, v171 /*v427*/, v172 /*v428*/
	s_set_vgpr_msb 0x44                     ;  msbs: dst=1 src0=0 src1=1 src2=0
	v_mul_i32_i24_e32 v170 /*v426*/, v235, v150 /*v406*/
	v_mul_i32_i24_e32 v171 /*v427*/, v237, v151 /*v407*/
	;; [unrolled: 1-line block ×3, first 2 shown]
	s_set_vgpr_msb 0x55                     ;  msbs: dst=1 src0=1 src1=1 src2=1
	v_add3_u32 v116 /*v372*/, v116 /*v372*/, v166 /*v422*/, v167 /*v423*/
	v_add3_u32 v80 /*v336*/, v80 /*v336*/, v173 /*v429*/, v174 /*v430*/
	s_set_vgpr_msb 0x44                     ;  msbs: dst=1 src0=0 src1=1 src2=0
	v_mul_i32_i24_e32 v173 /*v429*/, v242, v112 /*v368*/
	v_mul_i32_i24_e32 v174 /*v430*/, v245, v153 /*v409*/
	s_set_vgpr_msb 0x55                     ;  msbs: dst=1 src0=1 src1=1 src2=1
	v_mul_i32_i24_e32 v166 /*v422*/, v158 /*v414*/, v97 /*v353*/
	v_add3_u32 v116 /*v372*/, v116 /*v372*/, v168 /*v424*/, v169 /*v425*/
	v_add3_u32 v80 /*v336*/, v80 /*v336*/, v176 /*v432*/, v177 /*v433*/
	s_set_vgpr_msb 0x44                     ;  msbs: dst=1 src0=0 src1=1 src2=0
	v_mul_i32_i24_e32 v176 /*v432*/, v247, v154 /*v410*/
	v_mul_i32_i24_e32 v177 /*v433*/, v249, v155 /*v411*/
	s_set_vgpr_msb 0x55                     ;  msbs: dst=1 src0=1 src1=1 src2=1
	v_mul_i32_i24_e32 v168 /*v424*/, v160 /*v416*/, v96 /*v352*/
	v_add3_u32 v116 /*v372*/, v116 /*v372*/, v170 /*v426*/, v171 /*v427*/
	v_mul_lo_u32 v80 /*v336*/, v80 /*v336*/, v98 /*v354*/
	v_mul_i32_i24_e32 v170 /*v426*/, v164 /*v420*/, v93 /*v349*/
	v_mul_i32_i24_e32 v169 /*v425*/, v162 /*v418*/, v95 /*v351*/
	;; [unrolled: 1-line block ×3, first 2 shown]
	v_add3_u32 v116 /*v372*/, v116 /*v372*/, v172 /*v428*/, v173 /*v429*/
	v_mul_i32_i24_e32 v171 /*v427*/, v1 /*v257*/, v121 /*v377*/
	v_mad_i32_i24 v170 /*v426*/, v163 /*v419*/, v94 /*v350*/, v170 /*v426*/
	v_mul_i32_i24_e32 v172 /*v428*/, v3 /*v259*/, v122 /*v378*/
	v_mul_i32_i24_e32 v173 /*v429*/, v5 /*v261*/, v123 /*v379*/
	v_add3_u32 v116 /*v372*/, v116 /*v372*/, v174 /*v430*/, v176 /*v432*/
	v_mul_i32_i24_e32 v174 /*v430*/, v7 /*v263*/, v86 /*v342*/
	v_add3_u32 v168 /*v424*/, v170 /*v426*/, v169 /*v425*/, v168 /*v424*/
	v_mul_i32_i24_e32 v170 /*v426*/, v0 /*v256*/, v85 /*v341*/
	s_set_vgpr_msb 0x44                     ;  msbs: dst=1 src0=0 src1=1 src2=0
	v_mul_i32_i24_e32 v85 /*v341*/, v179, v85 /*v341*/
	s_set_vgpr_msb 0x55                     ;  msbs: dst=1 src0=1 src1=1 src2=1
	v_add3_u32 v116 /*v372*/, v116 /*v372*/, v177 /*v433*/, v178 /*v434*/
	s_set_vgpr_msb 0x44                     ;  msbs: dst=1 src0=0 src1=1 src2=0
	v_mul_i32_i24_e32 v169 /*v425*/, v254, v120 /*v376*/
	s_set_vgpr_msb 0x55                     ;  msbs: dst=1 src0=1 src1=1 src2=1
	v_add3_u32 v166 /*v422*/, v168 /*v424*/, v166 /*v422*/, v167 /*v423*/
	s_set_vgpr_msb 0x44                     ;  msbs: dst=1 src0=0 src1=1 src2=0
	v_mul_i32_i24_e32 v167 /*v423*/, v252, v105 /*v361*/
	v_mul_i32_i24_e32 v168 /*v424*/, v248, v84 /*v340*/
	s_set_vgpr_msb 0x55                     ;  msbs: dst=1 src0=1 src1=1 src2=1
	v_mad_u32 v80 /*v336*/, v116 /*v372*/, v92 /*v348*/, v80 /*v336*/
	s_set_vgpr_msb 0x44                     ;  msbs: dst=1 src0=0 src1=1 src2=0
	v_mul_i32_i24_e32 v105 /*v361*/, v176, v105 /*v361*/
	v_mul_i32_i24_e32 v84 /*v340*/, v174, v84 /*v340*/
	;; [unrolled: 1-line block ×3, first 2 shown]
	s_set_vgpr_msb 0x45                     ;  msbs: dst=1 src0=1 src1=1 src2=0
	v_mul_i32_i24_e32 v176 /*v432*/, v10 /*v266*/, v137 /*v393*/
	v_mul_i32_i24_e32 v177 /*v433*/, v12 /*v268*/, v138 /*v394*/
	;; [unrolled: 1-line block ×3, first 2 shown]
	v_cvt_f32_i32_e32 v116 /*v372*/, v80 /*v336*/
	s_set_vgpr_msb 0x54                     ;  msbs: dst=1 src0=0 src1=1 src2=1
	v_mul_i32_i24_e32 v80 /*v336*/, v243, v79 /*v335*/
	v_mul_i32_i24_e32 v79 /*v335*/, v173, v79 /*v335*/
	s_delay_alu instid0(VALU_DEP_2) | instskip(NEXT) | instid1(VALU_DEP_2)
	v_mad_i32_i24 v80 /*v336*/, v238, v88 /*v344*/, v80 /*v336*/
	v_mad_i32_i24 v79 /*v335*/, v172, v88 /*v344*/, v79 /*v335*/
	v_mul_i32_i24_e32 v88 /*v344*/, v177, v119 /*v375*/
	s_set_vgpr_msb 0x55                     ;  msbs: dst=1 src0=1 src1=1 src2=1
	s_delay_alu instid0(VALU_DEP_3) | instskip(NEXT) | instid1(VALU_DEP_3)
	v_add3_u32 v80 /*v336*/, v80 /*v336*/, v167 /*v423*/, v168 /*v424*/
	v_add3_u32 v79 /*v335*/, v79 /*v335*/, v105 /*v361*/, v84 /*v340*/
	s_set_vgpr_msb 0x44                     ;  msbs: dst=1 src0=0 src1=1 src2=0
	v_mul_i32_i24_e32 v84 /*v340*/, v175, v117 /*v373*/
	v_mul_i32_i24_e32 v105 /*v361*/, v178, v120 /*v376*/
	;; [unrolled: 1-line block ×5, first 2 shown]
	s_set_vgpr_msb 0x55                     ;  msbs: dst=1 src0=1 src1=1 src2=1
	v_add3_u32 v79 /*v335*/, v79 /*v335*/, v84 /*v340*/, v88 /*v344*/
	s_set_vgpr_msb 0x44                     ;  msbs: dst=1 src0=0 src1=1 src2=0
	v_mul_i32_i24_e32 v119 /*v375*/, v181, v122 /*v378*/
	v_mul_i32_i24_e32 v120 /*v376*/, v182, v123 /*v379*/
	;; [unrolled: 1-line block ×3, first 2 shown]
	s_set_vgpr_msb 0x55                     ;  msbs: dst=1 src0=1 src1=1 src2=1
	v_add3_u32 v80 /*v336*/, v80 /*v336*/, v167 /*v423*/, v168 /*v424*/
	v_add3_u32 v79 /*v335*/, v79 /*v335*/, v105 /*v361*/, v85 /*v341*/
	s_set_vgpr_msb 0x54                     ;  msbs: dst=1 src0=0 src1=1 src2=1
	v_mul_i32_i24_e32 v121 /*v377*/, v184, v137 /*v393*/
	v_mul_i32_i24_e32 v122 /*v378*/, v185, v138 /*v394*/
	;; [unrolled: 1-line block ×3, first 2 shown]
	v_mad_i32_i24 v84 /*v340*/, v187, v141 /*v397*/, v84 /*v340*/
	s_set_vgpr_msb 0x55                     ;  msbs: dst=1 src0=1 src1=1 src2=1
	v_add3_u32 v79 /*v335*/, v79 /*v335*/, v117 /*v373*/, v119 /*v375*/
	v_add3_u32 v80 /*v336*/, v80 /*v336*/, v169 /*v425*/, v170 /*v426*/
	s_set_vgpr_msb 0x44                     ;  msbs: dst=1 src0=0 src1=1 src2=0
	v_mul_i32_i24_e32 v123 /*v379*/, v186, v139 /*v395*/
	v_mul_i32_i24_e32 v88 /*v344*/, v195, v111 /*v367*/
	s_set_vgpr_msb 0x55                     ;  msbs: dst=1 src0=1 src1=1 src2=1
	v_mul_i32_i24_e32 v169 /*v425*/, v25 /*v281*/, v110 /*v366*/
	v_add3_u32 v79 /*v335*/, v79 /*v335*/, v120 /*v376*/, v86 /*v342*/
	s_set_vgpr_msb 0x44                     ;  msbs: dst=1 src0=0 src1=1 src2=0
	v_mul_i32_i24_e32 v86 /*v342*/, v191, v110 /*v366*/
	s_set_vgpr_msb 0x55                     ;  msbs: dst=1 src0=1 src1=1 src2=1
	v_add3_u32 v80 /*v336*/, v80 /*v336*/, v171 /*v427*/, v172 /*v428*/
	s_set_vgpr_msb 0x44                     ;  msbs: dst=1 src0=0 src1=1 src2=0
	v_mul_i32_i24_e32 v105 /*v361*/, v196, v150 /*v406*/
	v_mul_i32_i24_e32 v110 /*v366*/, v197, v151 /*v407*/
	s_set_vgpr_msb 0x55                     ;  msbs: dst=1 src0=1 src1=1 src2=1
	v_add3_u32 v79 /*v335*/, v79 /*v335*/, v121 /*v377*/, v122 /*v378*/
	v_add3_u32 v84 /*v340*/, v84 /*v340*/, v85 /*v341*/, v86 /*v342*/
	s_set_vgpr_msb 0x44                     ;  msbs: dst=1 src0=0 src1=1 src2=0
	v_mul_i32_i24_e32 v85 /*v341*/, v192, v146 /*v402*/
	v_mul_i32_i24_e32 v86 /*v342*/, v193, v148 /*v404*/
	s_set_vgpr_msb 0x55                     ;  msbs: dst=1 src0=1 src1=1 src2=1
	v_add3_u32 v80 /*v336*/, v80 /*v336*/, v173 /*v429*/, v174 /*v430*/
	v_add3_u32 v79 /*v335*/, v79 /*v335*/, v123 /*v379*/, v87 /*v343*/
	s_set_vgpr_msb 0x44                     ;  msbs: dst=1 src0=0 src1=1 src2=0
	v_mul_i32_i24_e32 v87 /*v343*/, v194, v149 /*v405*/
	s_set_vgpr_msb 0x55                     ;  msbs: dst=1 src0=1 src1=1 src2=1
	v_mul_i32_i24_e32 v171 /*v427*/, v29 /*v285*/, v111 /*v367*/
	v_add3_u32 v84 /*v340*/, v84 /*v340*/, v85 /*v341*/, v86 /*v342*/
	v_add3_u32 v80 /*v336*/, v80 /*v336*/, v176 /*v432*/, v177 /*v433*/
	v_mul_i32_i24_e32 v176 /*v432*/, v33 /*v289*/, v112 /*v368*/
	s_set_vgpr_msb 0x44                     ;  msbs: dst=1 src0=0 src1=1 src2=0
	v_mul_i32_i24_e32 v111 /*v367*/, v198, v152 /*v408*/
	v_mul_i32_i24_e32 v112 /*v368*/, v199, v112 /*v368*/
	s_set_vgpr_msb 0x55                     ;  msbs: dst=1 src0=1 src1=1 src2=1
	v_add3_u32 v84 /*v340*/, v84 /*v340*/, v87 /*v343*/, v88 /*v344*/
	s_set_vgpr_msb 0x44                     ;  msbs: dst=1 src0=0 src1=1 src2=0
	v_mul_i32_i24_e32 v117 /*v373*/, v200, v153 /*v409*/
	v_mul_i32_i24_e32 v119 /*v375*/, v201, v154 /*v410*/
	s_set_vgpr_msb 0x45                     ;  msbs: dst=1 src0=1 src1=1 src2=0
	v_mul_lo_u32 v79 /*v335*/, v79 /*v335*/, v134 /*v390*/
	s_set_vgpr_msb 0x44                     ;  msbs: dst=1 src0=0 src1=1 src2=0
	v_mul_i32_i24_e32 v120 /*v376*/, v202, v155 /*v411*/
	s_set_vgpr_msb 0x55                     ;  msbs: dst=1 src0=1 src1=1 src2=1
	v_add3_u32 v84 /*v340*/, v84 /*v340*/, v105 /*v361*/, v110 /*v366*/
	v_mul_i32_i24_e32 v105 /*v361*/, v164 /*v420*/, v77 /*v333*/
	v_mul_i32_i24_e32 v87 /*v343*/, v160 /*v416*/, v126 /*v382*/
	;; [unrolled: 1-line block ×4, first 2 shown]
	v_add3_u32 v84 /*v340*/, v84 /*v340*/, v111 /*v367*/, v112 /*v368*/
	v_mad_i32_i24 v105 /*v361*/, v163 /*v419*/, v124 /*v380*/, v105 /*v361*/
	v_mul_i32_i24_e32 v86 /*v342*/, v159 /*v415*/, v129 /*v385*/
	v_mul_i32_i24_e32 v167 /*v423*/, v20 /*v276*/, v140 /*v396*/
	;; [unrolled: 1-line block ×3, first 2 shown]
	v_add3_u32 v84 /*v340*/, v84 /*v340*/, v117 /*v373*/, v119 /*v375*/
	v_add3_u32 v87 /*v343*/, v105 /*v361*/, v88 /*v344*/, v87 /*v343*/
	v_mul_i32_i24_e32 v170 /*v426*/, v28 /*v284*/, v149 /*v405*/
	v_mad_i32_i24 v167 /*v423*/, v18 /*v274*/, v141 /*v397*/, v167 /*v423*/
	v_mul_i32_i24_e32 v172 /*v428*/, v30 /*v286*/, v150 /*v406*/
	v_add3_u32 v84 /*v340*/, v84 /*v340*/, v120 /*v376*/, v113 /*v369*/
	v_add3_u32 v119 /*v375*/, v87 /*v343*/, v85 /*v341*/, v86 /*v342*/
	v_mul_i32_i24_e32 v173 /*v429*/, v31 /*v287*/, v151 /*v407*/
	v_add3_u32 v167 /*v423*/, v167 /*v423*/, v168 /*v424*/, v169 /*v425*/
	v_mul_i32_i24_e32 v168 /*v424*/, v26 /*v282*/, v146 /*v402*/
	v_mad_u32 v79 /*v335*/, v84 /*v340*/, v143 /*v399*/, v79 /*v335*/
	ds_load_b32 v105 /*v361*/, v115 /*v371*/ offset:30368
	ds_load_b128 v[84:87] /*v[340:343]*/, v114 /*v370*/ offset:16896
	ds_load_b128 v[110:113] /*v[366:369]*/, v114 /*v370*/ offset:16912
	v_mul_i32_i24_e32 v169 /*v425*/, v27 /*v283*/, v148 /*v404*/
	v_mul_i32_i24_e32 v174 /*v430*/, v32 /*v288*/, v152 /*v408*/
	v_add3_u32 v80 /*v336*/, v80 /*v336*/, v178 /*v434*/, v179 /*v435*/
	v_mul_i32_i24_e32 v177 /*v433*/, v34 /*v290*/, v153 /*v409*/
	v_mul_i32_i24_e32 v178 /*v434*/, v35 /*v291*/, v154 /*v410*/
	v_add3_u32 v167 /*v423*/, v167 /*v423*/, v168 /*v424*/, v169 /*v425*/
	v_mul_i32_i24_e32 v179 /*v435*/, v36 /*v292*/, v155 /*v411*/
	v_mul_i32_i24_e32 v168 /*v424*/, v158 /*v414*/, v67 /*v323*/
	v_mul_i32_i24_e32 v169 /*v425*/, v159 /*v415*/, v59 /*v315*/
	v_cvt_f32_i32_e32 v88 /*v344*/, v79 /*v335*/
	v_add3_u32 v167 /*v423*/, v167 /*v423*/, v170 /*v426*/, v171 /*v427*/
	v_mul_i32_i24_e32 v170 /*v426*/, v160 /*v416*/, v65 /*v321*/
	v_mul_i32_i24_e32 v171 /*v427*/, v162 /*v418*/, v64 /*v320*/
	v_mul_lo_u32 v80 /*v336*/, v80 /*v336*/, v66 /*v322*/
	s_delay_alu instid0(VALU_DEP_4)
	v_add3_u32 v167 /*v423*/, v167 /*v423*/, v172 /*v428*/, v173 /*v429*/
	v_mul_i32_i24_e32 v172 /*v428*/, v164 /*v420*/, v62 /*v318*/
	s_wait_dscnt 0x1
	v_bfe_i32 v114 /*v370*/, v84 /*v340*/, 0, 8
	s_wait_dscnt 0x0
	v_bfe_i32 v146 /*v402*/, v110 /*v366*/, 0, 8
	v_bfe_i32 v148 /*v404*/, v110 /*v366*/, 8, 8
	v_bfe_i32 v149 /*v405*/, v110 /*v366*/, 16, 8
	v_ashrrev_i32_e32 v110 /*v366*/, 24, v110 /*v366*/
	v_bfe_i32 v150 /*v406*/, v111 /*v367*/, 0, 8
	v_bfe_i32 v151 /*v407*/, v111 /*v367*/, 8, 8
	v_bfe_i32 v152 /*v408*/, v111 /*v367*/, 16, 8
	v_ashrrev_i32_e32 v111 /*v367*/, 24, v111 /*v367*/
	;; [unrolled: 4-line block ×3, first 2 shown]
	v_bfe_i32 v158 /*v414*/, v113 /*v369*/, 0, 8
	v_bfe_i32 v159 /*v415*/, v113 /*v369*/, 8, 8
	;; [unrolled: 1-line block ×3, first 2 shown]
	v_dual_ashrrev_i32 v113 /*v369*/, 24, v113 /*v369*/ :: v_dual_add_nc_u32 v79 /*v335*/, v111 /*v367*/, v110 /*v366*/
	v_add3_u32 v167 /*v423*/, v167 /*v423*/, v174 /*v430*/, v176 /*v432*/
	v_mad_i32_i24 v172 /*v428*/, v163 /*v419*/, v63 /*v319*/, v172 /*v428*/
	v_bfe_i32 v115 /*v371*/, v84 /*v340*/, 8, 8
	v_bfe_i32 v120 /*v376*/, v84 /*v340*/, 16, 8
	v_add3_u32 v162 /*v418*/, v79 /*v335*/, v112 /*v368*/, v113 /*v369*/
	v_add_nc_u32_e32 v79 /*v335*/, v152 /*v408*/, v149 /*v405*/
	v_add3_u32 v167 /*v423*/, v167 /*v423*/, v177 /*v433*/, v178 /*v434*/
	v_ashrrev_i32_e32 v84 /*v340*/, 24, v84 /*v340*/
	s_set_vgpr_msb 4                        ;  msbs: dst=0 src0=0 src1=1 src2=0
	v_mul_i32_i24_e32 v121, v121, v114 /*v370*/
	s_set_vgpr_msb 0x55                     ;  msbs: dst=1 src0=1 src1=1 src2=1
	v_bfe_i32 v121 /*v377*/, v85 /*v341*/, 0, 8
	v_add3_u32 v163 /*v419*/, v79 /*v335*/, v155 /*v411*/, v160 /*v416*/
	v_add_nc_u32_e32 v79 /*v335*/, v150 /*v406*/, v146 /*v402*/
	v_add3_u32 v167 /*v423*/, v167 /*v423*/, v179 /*v435*/, v180 /*v436*/
	v_bfe_i32 v122 /*v378*/, v85 /*v341*/, 8, 8
	v_bfe_i32 v123 /*v379*/, v85 /*v341*/, 16, 8
	v_ashrrev_i32_e32 v85 /*v341*/, 24, v85 /*v341*/
	v_add3_u32 v164 /*v420*/, v79 /*v335*/, v153 /*v409*/, v158 /*v414*/
	v_add_nc_u32_e32 v79 /*v335*/, v151 /*v407*/, v148 /*v404*/
	s_set_vgpr_msb 4                        ;  msbs: dst=0 src0=0 src1=1 src2=0
	v_mul_i32_i24_e32 v224, v224, v120 /*v376*/
	v_mul_i32_i24_e32 v127, v127, v84 /*v340*/
	v_mad_i32_i24 v119, v119, v115 /*v371*/, v121
	s_set_vgpr_msb 0x55                     ;  msbs: dst=1 src0=1 src1=1 src2=1
	v_add3_u32 v170 /*v426*/, v172 /*v428*/, v171 /*v427*/, v170 /*v426*/
	v_mad_u32 v80 /*v336*/, v167 /*v423*/, v60 /*v316*/, v80 /*v336*/
	v_bfe_i32 v137 /*v393*/, v86 /*v342*/, 0, 8
	v_bfe_i32 v138 /*v394*/, v86 /*v342*/, 8, 8
	;; [unrolled: 1-line block ×3, first 2 shown]
	v_ashrrev_i32_e32 v86 /*v342*/, 24, v86 /*v342*/
	v_bfe_i32 v140 /*v396*/, v87 /*v343*/, 0, 8
	v_bfe_i32 v141 /*v397*/, v87 /*v343*/, 8, 8
	;; [unrolled: 1-line block ×3, first 2 shown]
	v_ashrrev_i32_e32 v87 /*v343*/, 24, v87 /*v343*/
	v_add3_u32 v167 /*v423*/, v79 /*v335*/, v154 /*v410*/, v159 /*v415*/
	v_add_nc_u32_e32 v79 /*v335*/, v85 /*v341*/, v84 /*v340*/
	s_set_vgpr_msb 0                        ;  msbs: dst=0 src0=0 src1=0 src2=0
	v_add3_u32 v119, v119, v224, v127
	s_set_vgpr_msb 4                        ;  msbs: dst=0 src0=0 src1=1 src2=0
	v_mul_i32_i24_e32 v121, v222, v121 /*v377*/
	v_mul_i32_i24_e32 v127, v225, v122 /*v378*/
	s_set_vgpr_msb 0x55                     ;  msbs: dst=1 src0=1 src1=1 src2=1
	v_add3_u32 v168 /*v424*/, v170 /*v426*/, v168 /*v424*/, v169 /*v425*/
	v_add3_u32 v169 /*v425*/, v79 /*v335*/, v86 /*v342*/, v87 /*v343*/
	v_add_nc_u32_e32 v79 /*v335*/, v123 /*v379*/, v120 /*v376*/
	s_set_vgpr_msb 4                        ;  msbs: dst=0 src0=0 src1=1 src2=0
	v_mul_i32_i24_e32 v222, v226, v123 /*v379*/
	v_mul_i32_i24_e32 v224, v228, v85 /*v341*/
	s_set_vgpr_msb 0                        ;  msbs: dst=0 src0=0 src1=0 src2=0
	v_add3_u32 v119, v119, v121, v127
	s_set_vgpr_msb 4                        ;  msbs: dst=0 src0=0 src1=1 src2=0
	v_mul_i32_i24_e32 v121, v255, v146 /*v402*/
	s_set_vgpr_msb 0x55                     ;  msbs: dst=1 src0=1 src1=1 src2=1
	v_add3_u32 v170 /*v426*/, v79 /*v335*/, v139 /*v395*/, v142 /*v398*/
	v_add_nc_u32_e32 v79 /*v335*/, v122 /*v378*/, v115 /*v371*/
	s_set_vgpr_msb 5                        ;  msbs: dst=0 src0=1 src1=1 src2=0
	v_mul_i32_i24_e32 v127, v2 /*v258*/, v149 /*v405*/
	s_set_vgpr_msb 0                        ;  msbs: dst=0 src0=0 src1=0 src2=0
	v_add3_u32 v119, v119, v222, v224
	s_set_vgpr_msb 5                        ;  msbs: dst=0 src0=1 src1=1 src2=0
	v_mul_i32_i24_e32 v222, v4 /*v260*/, v110 /*v366*/
	s_set_vgpr_msb 4                        ;  msbs: dst=0 src0=0 src1=1 src2=0
	v_mad_i32_i24 v121, v251, v148 /*v404*/, v121
	s_set_vgpr_msb 0x55                     ;  msbs: dst=1 src0=1 src1=1 src2=1
	v_add3_u32 v171 /*v427*/, v79 /*v335*/, v138 /*v394*/, v141 /*v397*/
	v_add_nc_u32_e32 v79 /*v335*/, v121 /*v377*/, v114 /*v370*/
	s_set_vgpr_msb 4                        ;  msbs: dst=0 src0=0 src1=1 src2=0
	v_mul_i32_i24_e32 v225, v230, v137 /*v393*/
	v_mul_i32_i24_e32 v226, v232, v138 /*v394*/
	s_set_vgpr_msb 0                        ;  msbs: dst=0 src0=0 src1=0 src2=0
	v_add3_u32 v121, v121, v127, v222
	s_set_vgpr_msb 5                        ;  msbs: dst=0 src0=1 src1=1 src2=0
	v_mul_i32_i24_e32 v127, v6 /*v262*/, v150 /*v406*/
	v_mul_i32_i24_e32 v222, v9 /*v265*/, v151 /*v407*/
	s_set_vgpr_msb 0x55                     ;  msbs: dst=1 src0=1 src1=1 src2=1
	v_add3_u32 v172 /*v428*/, v79 /*v335*/, v137 /*v393*/, v140 /*v396*/
	s_set_vgpr_msb 0                        ;  msbs: dst=0 src0=0 src1=0 src2=0
	v_add3_u32 v119, v119, v225, v226
	s_set_vgpr_msb 5                        ;  msbs: dst=0 src0=1 src1=1 src2=0
	v_mul_i32_i24_e32 v224, v11 /*v267*/, v152 /*v408*/
	v_mul_i32_i24_e32 v225, v13 /*v269*/, v111 /*v367*/
	s_set_vgpr_msb 0                        ;  msbs: dst=0 src0=0 src1=0 src2=0
	v_add3_u32 v121, v121, v127, v222
	s_set_vgpr_msb 4                        ;  msbs: dst=0 src0=0 src1=1 src2=0
	v_mul_i32_i24_e32 v228, v234, v139 /*v395*/
	v_mul_i32_i24_e32 v230, v236, v86 /*v342*/
	;; [unrolled: 1-line block ×4, first 2 shown]
	s_set_vgpr_msb 0                        ;  msbs: dst=0 src0=0 src1=0 src2=0
	v_add3_u32 v121, v121, v224, v225
	s_set_vgpr_msb 5                        ;  msbs: dst=0 src0=1 src1=1 src2=0
	v_mul_i32_i24_e32 v225, v172 /*v428*/, v72 /*v328*/
	s_set_vgpr_msb 0                        ;  msbs: dst=0 src0=0 src1=0 src2=0
	v_add3_u32 v119, v119, v228, v230
	s_set_vgpr_msb 5                        ;  msbs: dst=0 src0=1 src1=1 src2=0
	v_mul_i32_i24_e32 v222, v169 /*v425*/, v56 /*v312*/
	v_mul_i32_i24_e32 v224, v170 /*v426*/, v73 /*v329*/
	;; [unrolled: 1-line block ×3, first 2 shown]
	v_mad_i32_i24 v225, v171 /*v427*/, v70 /*v326*/, v225
	v_mul_i32_i24_e32 v228, v16 /*v272*/, v154 /*v410*/
	s_set_vgpr_msb 4                        ;  msbs: dst=0 src0=0 src1=1 src2=0
	v_mul_i32_i24_e32 v236, v244, v142 /*v398*/
	s_set_vgpr_msb 0                        ;  msbs: dst=0 src0=0 src1=0 src2=0
	v_add3_u32 v119, v119, v232, v234
	s_set_vgpr_msb 4                        ;  msbs: dst=0 src0=0 src1=1 src2=0
	v_mul_i32_i24_e32 v116, v116, v87 /*v343*/
	s_set_vgpr_msb 0                        ;  msbs: dst=0 src0=0 src1=0 src2=0
	v_add3_u32 v222, v225, v224, v222
	v_mul_i32_i24_e32 v224, v109, v97
	s_set_vgpr_msb 5                        ;  msbs: dst=0 src0=1 src1=1 src2=0
	v_mul_i32_i24_e32 v230, v17 /*v273*/, v155 /*v411*/
	v_mul_i32_i24_e32 v232, v19 /*v275*/, v112 /*v368*/
	s_set_vgpr_msb 0                        ;  msbs: dst=0 src0=0 src1=0 src2=0
	v_add3_u32 v121, v121, v226, v228
	v_add3_u32 v116, v119, v236, v116
	s_set_vgpr_msb 5                        ;  msbs: dst=0 src0=1 src1=1 src2=0
	v_add3_u32 v224, v41 /*v297*/, v39 /*v295*/, v224
	v_mul_i32_i24_e32 v234, v21 /*v277*/, v158 /*v414*/
	v_mul_i32_i24_e32 v239, v22 /*v278*/, v159 /*v415*/
	s_set_vgpr_msb 0                        ;  msbs: dst=0 src0=0 src1=0 src2=0
	v_add3_u32 v121, v121, v230, v232
	s_set_vgpr_msb 4                        ;  msbs: dst=0 src0=0 src1=1 src2=0
	v_mul_lo_u32 v116, v116, v57 /*v313*/
	v_mul_lo_u32 v119, v224, v98 /*v354*/
	s_set_vgpr_msb 5                        ;  msbs: dst=0 src0=1 src1=1 src2=0
	v_mul_i32_i24_e32 v241, v24 /*v280*/, v160 /*v416*/
	s_set_vgpr_msb 4                        ;  msbs: dst=0 src0=0 src1=1 src2=0
	v_mul_i32_i24_e32 v224, v218, v53 /*v309*/
	s_set_vgpr_msb 0                        ;  msbs: dst=0 src0=0 src1=0 src2=0
	v_add3_u32 v121, v121, v234, v239
	s_set_vgpr_msb 4                        ;  msbs: dst=0 src0=0 src1=1 src2=0
	v_mul_i32_i24_e32 v225, v246, v113 /*v369*/
	s_set_vgpr_msb 5                        ;  msbs: dst=0 src0=1 src1=1 src2=0
	v_mul_i32_i24_e32 v127, v164 /*v420*/, v58 /*v314*/
	v_mul_i32_i24_e32 v232, v167 /*v423*/, v55 /*v311*/
	s_set_vgpr_msb 4                        ;  msbs: dst=0 src0=0 src1=1 src2=0
	v_mul_i32_i24_e32 v234, v103, v90 /*v346*/
	s_set_vgpr_msb 5                        ;  msbs: dst=0 src0=1 src1=1 src2=0
	v_add3_u32 v224, v46 /*v302*/, v45 /*v301*/, v224
	s_set_vgpr_msb 0                        ;  msbs: dst=0 src0=0 src1=0 src2=0
	v_add3_u32 v121, v121, v241, v225
	s_set_vgpr_msb 5                        ;  msbs: dst=0 src0=1 src1=1 src2=0
	v_mul_i32_i24_e32 v225, v49 /*v305*/, v99 /*v355*/
	v_mul_i32_i24_e32 v226, v162 /*v418*/, v175 /*v431*/
	;; [unrolled: 1-line block ×4, first 2 shown]
	v_add3_u32 v234, v104 /*v360*/, v103 /*v359*/, v234
	s_set_vgpr_msb 0                        ;  msbs: dst=0 src0=0 src1=0 src2=0
	v_add3_u32 v127, v222, v127, v232
	s_set_vgpr_msb 4                        ;  msbs: dst=0 src0=0 src1=1 src2=0
	v_mad_u32 v119, v224, v92 /*v348*/, v119
	v_mad_u32 v116, v121, v54 /*v310*/, v116
	s_set_vgpr_msb 64                       ;  msbs: dst=1 src0=0 src1=0 src2=0
	v_mov_b32_e32 v104 /*v360*/, v91
	s_set_vgpr_msb 0                        ;  msbs: dst=0 src0=0 src1=0 src2=0
	v_add3_u32 v222, v234, v228, v225
	v_add3_u32 v127, v127, v230, v226
	s_set_vgpr_msb 5                        ;  msbs: dst=0 src0=1 src1=1 src2=0
	v_mul_i32_i24_e32 v91, v135 /*v391*/, v175 /*v431*/
	s_set_vgpr_msb 4                        ;  msbs: dst=0 src0=0 src1=1 src2=0
	v_mul_i32_i24_e32 v109, v109, v87 /*v343*/
	s_set_vgpr_msb 0x41                     ;  msbs: dst=1 src0=1 src1=0 src2=0
	v_cvt_f32_i32_e32 v80 /*v336*/, v80 /*v336*/
	s_set_vgpr_msb 64                       ;  msbs: dst=1 src0=0 src1=0 src2=0
	v_cvt_f32_i32_e32 v16 /*v272*/, v222
	v_cvt_f32_i32_e32 v17 /*v273*/, v127
	s_set_vgpr_msb 0                        ;  msbs: dst=0 src0=0 src1=0 src2=0
	v_cvt_f32_i32_e32 v224, v119
	v_cvt_f32_i32_e32 v225, v116
	s_set_vgpr_msb 0x44                     ;  msbs: dst=1 src0=0 src1=1 src2=0
	v_pk_mul_f32 v[16:17] /*v[272:273]*/, v[100:101], v[16:17] /*v[272:273]*/
	s_set_vgpr_msb 4                        ;  msbs: dst=0 src0=0 src1=1 src2=0
	v_mul_i32_i24_e32 v101, v204, v84 /*v340*/
	s_set_vgpr_msb 5                        ;  msbs: dst=0 src0=1 src1=1 src2=0
	v_mul_i32_i24_e32 v204, v36 /*v292*/, v160 /*v416*/
	s_set_vgpr_msb 16                       ;  msbs: dst=0 src0=0 src1=0 src2=1
	v_pk_fma_f32 v[224:225], v[98:99], v[224:225], v[16:17] /*v[272:273]*/ neg_lo:[0,0,1] neg_hi:[0,0,1]
	s_set_vgpr_msb 5                        ;  msbs: dst=0 src0=1 src1=1 src2=0
	v_mul_i32_i24_e32 v99, v136 /*v392*/, v161 /*v417*/
	s_set_vgpr_msb 1                        ;  msbs: dst=0 src0=1 src1=0 src2=0
	s_delay_alu instid0(VALU_DEP_2) | instskip(NEXT) | instid1(VALU_DEP_2)
	v_pk_fma_f32 v[26:27], v[104:105] /*v[360:361]*/, v[224:225], v[26:27]
	v_add3_u32 v91, v144 /*v400*/, v99, v91
	s_set_vgpr_msb 5                        ;  msbs: dst=0 src0=1 src1=1 src2=0
	v_mul_i32_i24_e32 v99, v136 /*v392*/, v100 /*v356*/
	s_set_vgpr_msb 0                        ;  msbs: dst=0 src0=0 src1=0 src2=0
	s_delay_alu instid0(VALU_DEP_2) | instskip(NEXT) | instid1(VALU_DEP_1)
	v_cvt_f32_i32_e32 v127, v91
	v_pk_mul_f32 v[126:127], v[112:113], v[126:127]
	s_delay_alu instid0(VALU_DEP_1)
	v_sub_f32_e32 v91, v126, v127
	s_set_vgpr_msb 5                        ;  msbs: dst=0 src0=1 src1=1 src2=0
	v_mul_i32_i24_e32 v126, v14 /*v270*/, v142 /*v398*/
	v_mul_i32_i24_e32 v127, v35 /*v291*/, v159 /*v415*/
	s_set_vgpr_msb 1                        ;  msbs: dst=0 src0=1 src1=0 src2=0
	v_mul_f32_e32 v121, v89 /*v345*/, v91
	s_set_vgpr_msb 5                        ;  msbs: dst=0 src0=1 src1=1 src2=0
	v_mul_i32_i24_e32 v91, v135 /*v391*/, v99 /*v355*/
	s_set_vgpr_msb 0                        ;  msbs: dst=0 src0=0 src1=0 src2=0
	s_delay_alu instid0(VALU_DEP_2) | instskip(SKIP_1) | instid1(VALU_DEP_2)
	v_pk_add_f32 v[70:71], v[70:71], v[120:121]
	s_set_vgpr_msb 1                        ;  msbs: dst=0 src0=1 src1=0 src2=0
	v_add3_u32 v91, v145 /*v401*/, v99, v91
	s_set_vgpr_msb 5                        ;  msbs: dst=0 src0=1 src1=1 src2=0
	v_mul_i32_i24_e32 v99, v157 /*v413*/, v161 /*v417*/
	s_set_vgpr_msb 64                       ;  msbs: dst=1 src0=0 src1=0 src2=0
	s_delay_alu instid0(VALU_DEP_2) | instskip(SKIP_1) | instid1(VALU_DEP_1)
	v_cvt_f32_i32_e32 v79 /*v335*/, v91
	s_set_vgpr_msb 4                        ;  msbs: dst=0 src0=0 src1=1 src2=0
	v_pk_mul_f32 v[120:121], v[114:115], v[78:79] /*v[334:335]*/
	s_set_vgpr_msb 0                        ;  msbs: dst=0 src0=0 src1=0 src2=0
	s_delay_alu instid0(VALU_DEP_1)
	v_sub_f32_e32 v91, v120, v121
	s_set_vgpr_msb 4                        ;  msbs: dst=0 src0=0 src1=1 src2=0
	v_mul_i32_i24_e32 v120, v216, v141 /*v397*/
	v_mul_i32_i24_e32 v121, v217, v142 /*v398*/
	s_set_vgpr_msb 1                        ;  msbs: dst=0 src0=1 src1=0 src2=0
	v_mul_f32_e32 v119, v89 /*v345*/, v91
	s_set_vgpr_msb 5                        ;  msbs: dst=0 src0=1 src1=1 src2=0
	v_mul_i32_i24_e32 v91, v156 /*v412*/, v175 /*v431*/
	s_set_vgpr_msb 0                        ;  msbs: dst=0 src0=0 src1=0 src2=0
	s_delay_alu instid0(VALU_DEP_2) | instskip(SKIP_1) | instid1(VALU_DEP_2)
	v_pk_add_f32 v[72:73], v[72:73], v[118:119]
	s_set_vgpr_msb 1                        ;  msbs: dst=0 src0=1 src1=0 src2=0
	v_add3_u32 v91, v165 /*v421*/, v99, v91
	s_set_vgpr_msb 5                        ;  msbs: dst=0 src0=1 src1=1 src2=0
	v_mul_i32_i24_e32 v99, v157 /*v413*/, v100 /*v356*/
	s_set_vgpr_msb 4                        ;  msbs: dst=0 src0=0 src1=1 src2=0
	v_mul_i32_i24_e32 v118, v214, v86 /*v342*/
	v_mul_i32_i24_e32 v119, v215, v140 /*v396*/
	s_set_vgpr_msb 64                       ;  msbs: dst=1 src0=0 src1=0 src2=0
	v_cvt_f32_i32_e32 v103 /*v359*/, v91
	s_set_vgpr_msb 4                        ;  msbs: dst=0 src0=0 src1=1 src2=0
	s_delay_alu instid0(VALU_DEP_1) | instskip(SKIP_1) | instid1(VALU_DEP_1)
	v_pk_mul_f32 v[112:113], v[112:113], v[102:103] /*v[358:359]*/
	s_set_vgpr_msb 0                        ;  msbs: dst=0 src0=0 src1=0 src2=0
	v_sub_f32_e32 v91, v112, v113
	s_set_vgpr_msb 1                        ;  msbs: dst=0 src0=1 src1=0 src2=0
	s_delay_alu instid0(VALU_DEP_1) | instskip(SKIP_3) | instid1(VALU_DEP_1)
	v_mul_f32_e32 v116, v118 /*v374*/, v91
	s_set_vgpr_msb 5                        ;  msbs: dst=0 src0=1 src1=1 src2=0
	v_mul_i32_i24_e32 v91, v156 /*v412*/, v99 /*v355*/
	s_set_vgpr_msb 1                        ;  msbs: dst=0 src0=1 src1=0 src2=0
	v_add3_u32 v91, v166 /*v422*/, v99, v91
	s_set_vgpr_msb 4                        ;  msbs: dst=0 src0=0 src1=1 src2=0
	v_mul_i32_i24_e32 v99, v206, v120 /*v376*/
	s_set_vgpr_msb 1                        ;  msbs: dst=0 src0=1 src1=0 src2=0
	v_bfe_i32 v206, v61 /*v317*/, 16, 8
	s_set_vgpr_msb 64                       ;  msbs: dst=1 src0=0 src1=0 src2=0
	v_cvt_f32_i32_e32 v117 /*v373*/, v91
	s_set_vgpr_msb 4                        ;  msbs: dst=0 src0=0 src1=1 src2=0
	s_delay_alu instid0(VALU_DEP_1) | instskip(SKIP_3) | instid1(VALU_DEP_3)
	v_pk_mul_f32 v[112:113], v[114:115], v[116:117] /*v[372:373]*/
	v_mul_i32_i24_e32 v114, v210, v85 /*v341*/
	v_mul_i32_i24_e32 v115, v211, v137 /*v393*/
	s_set_vgpr_msb 0                        ;  msbs: dst=0 src0=0 src1=0 src2=0
	v_sub_f32_e32 v91, v112, v113
	s_set_vgpr_msb 4                        ;  msbs: dst=0 src0=0 src1=1 src2=0
	v_mul_i32_i24_e32 v113, v208, v123 /*v379*/
	s_set_vgpr_msb 1                        ;  msbs: dst=0 src0=1 src1=0 src2=0
	s_delay_alu instid0(VALU_DEP_2)
	v_mul_f32_e32 v112, v118 /*v374*/, v91
	s_set_vgpr_msb 4                        ;  msbs: dst=0 src0=0 src1=1 src2=0
	v_mul_i32_i24_e32 v91, v125, v114 /*v370*/
	s_set_vgpr_msb 0                        ;  msbs: dst=0 src0=0 src1=0 src2=0
	v_pk_add_f32 v[58:59], v[58:59], v[116:117]
	s_set_vgpr_msb 4                        ;  msbs: dst=0 src0=0 src1=1 src2=0
	v_mul_i32_i24_e32 v116, v212, v138 /*v394*/
	v_mul_i32_i24_e32 v117, v213, v139 /*v395*/
	;; [unrolled: 1-line block ×3, first 2 shown]
	v_mad_i32_i24 v91, v123, v115 /*v371*/, v91
	v_mul_i32_i24_e32 v123, v247, v159 /*v415*/
	s_set_vgpr_msb 0                        ;  msbs: dst=0 src0=0 src1=0 src2=0
	s_delay_alu instid0(VALU_DEP_2)
	v_add3_u32 v91, v91, v99, v101
	s_set_vgpr_msb 4                        ;  msbs: dst=0 src0=0 src1=1 src2=0
	v_mul_i32_i24_e32 v99, v205, v121 /*v377*/
	v_mul_i32_i24_e32 v101, v207, v122 /*v378*/
	s_set_vgpr_msb 1                        ;  msbs: dst=0 src0=1 src1=0 src2=0
	v_bfe_i32 v205, v127 /*v383*/, 16, 8
	s_set_vgpr_msb 0                        ;  msbs: dst=0 src0=0 src1=0 src2=0
	s_delay_alu instid0(VALU_DEP_2)
	v_add3_u32 v91, v91, v99, v101
	s_set_vgpr_msb 4                        ;  msbs: dst=0 src0=0 src1=1 src2=0
	v_mul_i32_i24_e32 v99, v220, v146 /*v402*/
	v_mul_i32_i24_e32 v101, v221, v149 /*v405*/
	s_set_vgpr_msb 0                        ;  msbs: dst=0 src0=0 src1=0 src2=0
	v_add3_u32 v91, v91, v113, v114
	s_set_vgpr_msb 4                        ;  msbs: dst=0 src0=0 src1=1 src2=0
	v_mul_i32_i24_e32 v113, v223, v110 /*v366*/
	v_mad_i32_i24 v99, v219, v148 /*v404*/, v99
	v_mul_i32_i24_e32 v114, v231, v152 /*v408*/
	s_set_vgpr_msb 0                        ;  msbs: dst=0 src0=0 src1=0 src2=0
	v_add3_u32 v91, v91, v115, v116
	s_set_vgpr_msb 4                        ;  msbs: dst=0 src0=0 src1=1 src2=0
	v_mul_i32_i24_e32 v115, v233, v111 /*v367*/
	s_set_vgpr_msb 0                        ;  msbs: dst=0 src0=0 src1=0 src2=0
	v_add3_u32 v99, v99, v101, v113
	s_set_vgpr_msb 4                        ;  msbs: dst=0 src0=0 src1=1 src2=0
	v_mul_i32_i24_e32 v101, v227, v150 /*v406*/
	v_mul_i32_i24_e32 v113, v229, v151 /*v407*/
	s_set_vgpr_msb 0                        ;  msbs: dst=0 src0=0 src1=0 src2=0
	v_add3_u32 v91, v91, v117, v118
	s_set_vgpr_msb 4                        ;  msbs: dst=0 src0=0 src1=1 src2=0
	v_mul_i32_i24_e32 v116, v235, v153 /*v409*/
	v_mul_i32_i24_e32 v117, v237, v154 /*v410*/
	;; [unrolled: 1-line block ×3, first 2 shown]
	s_set_vgpr_msb 0                        ;  msbs: dst=0 src0=0 src1=0 src2=0
	v_add3_u32 v99, v99, v101, v113
	v_add3_u32 v91, v91, v119, v120
	s_set_vgpr_msb 5                        ;  msbs: dst=0 src0=1 src1=1 src2=0
	v_mul_i32_i24_e32 v113, v169 /*v425*/, v96 /*v352*/
	s_set_vgpr_msb 4                        ;  msbs: dst=0 src0=0 src1=1 src2=0
	v_mul_i32_i24_e32 v119, v242, v112 /*v368*/
	v_mul_i32_i24_e32 v120, v245, v158 /*v414*/
	s_set_vgpr_msb 0                        ;  msbs: dst=0 src0=0 src1=0 src2=0
	v_add3_u32 v99, v99, v114, v115
	s_set_vgpr_msb 5                        ;  msbs: dst=0 src0=1 src1=1 src2=0
	v_mul_i32_i24_e32 v115, v172 /*v428*/, v93 /*v349*/
	v_mul_i32_i24_e32 v114, v170 /*v426*/, v95 /*v351*/
	s_set_vgpr_msb 0                        ;  msbs: dst=0 src0=0 src1=0 src2=0
	v_add3_u32 v91, v91, v121, v109
	s_set_vgpr_msb 5                        ;  msbs: dst=0 src0=1 src1=1 src2=0
	v_mul_i32_i24_e32 v101, v164 /*v420*/, v97 /*v353*/
	s_set_vgpr_msb 0                        ;  msbs: dst=0 src0=0 src1=0 src2=0
	v_add3_u32 v99, v99, v116, v117
	s_set_vgpr_msb 5                        ;  msbs: dst=0 src0=1 src1=1 src2=0
	v_mad_i32_i24 v115, v171 /*v427*/, v94 /*v350*/, v115
	v_mul_i32_i24_e32 v116, v167 /*v423*/, v90 /*v346*/
	s_set_vgpr_msb 4                        ;  msbs: dst=0 src0=0 src1=1 src2=0
	v_mul_lo_u32 v91, v91, v98 /*v354*/
	s_set_vgpr_msb 5                        ;  msbs: dst=0 src0=1 src1=1 src2=0
	v_mul_i32_i24_e32 v117, v1 /*v257*/, v137 /*v393*/
	s_set_vgpr_msb 0                        ;  msbs: dst=0 src0=0 src1=0 src2=0
	v_add3_u32 v99, v99, v118, v119
	v_add3_u32 v113, v115, v114, v113
	v_mul_i32_i24_e32 v114, v209, v97
	s_set_vgpr_msb 4                        ;  msbs: dst=0 src0=0 src1=1 src2=0
	v_mul_i32_i24_e32 v115, v218, v113 /*v369*/
	s_set_vgpr_msb 5                        ;  msbs: dst=0 src0=1 src1=1 src2=0
	v_mul_i32_i24_e32 v118, v3 /*v259*/, v138 /*v394*/
	s_set_vgpr_msb 0                        ;  msbs: dst=0 src0=0 src1=0 src2=0
	v_add3_u32 v99, v99, v120, v123
	v_add3_u32 v101, v113, v101, v116
	s_set_vgpr_msb 5                        ;  msbs: dst=0 src0=1 src1=1 src2=0
	v_add3_u32 v114, v38 /*v294*/, v37 /*v293*/, v114
	s_set_vgpr_msb 4                        ;  msbs: dst=0 src0=0 src1=1 src2=0
	v_mul_i32_i24_e32 v113, v254, v123 /*v379*/
	s_set_vgpr_msb 5                        ;  msbs: dst=0 src0=1 src1=1 src2=0
	v_mul_i32_i24_e32 v116, v0 /*v256*/, v85 /*v341*/
	s_set_vgpr_msb 0                        ;  msbs: dst=0 src0=0 src1=0 src2=0
	v_add3_u32 v99, v99, v125, v115
	s_set_vgpr_msb 4                        ;  msbs: dst=0 src0=0 src1=1 src2=0
	v_mul_i32_i24_e32 v115, v103, v59 /*v315*/
	v_mul_lo_u32 v109, v114, v66 /*v322*/
	s_set_vgpr_msb 5                        ;  msbs: dst=0 src0=1 src1=1 src2=0
	v_mul_i32_i24_e32 v114, v8 /*v264*/, v53 /*v309*/
	v_mul_i32_i24_e32 v119, v5 /*v261*/, v139 /*v395*/
	s_set_vgpr_msb 4                        ;  msbs: dst=0 src0=0 src1=1 src2=0
	v_mad_u32 v91, v99, v92 /*v348*/, v91
	s_set_vgpr_msb 5                        ;  msbs: dst=0 src0=1 src1=1 src2=0
	v_add3_u32 v120, v74 /*v330*/, v71 /*v327*/, v115
	s_set_vgpr_msb 4                        ;  msbs: dst=0 src0=0 src1=1 src2=0
	v_mul_i32_i24_e32 v99, v252, v120 /*v376*/
	s_set_vgpr_msb 5                        ;  msbs: dst=0 src0=1 src1=1 src2=0
	v_add3_u32 v114, v44 /*v300*/, v43 /*v299*/, v114
	v_mul_i32_i24_e32 v121, v7 /*v263*/, v86 /*v342*/
	v_mul_i32_i24_e32 v123, v10 /*v266*/, v140 /*v396*/
	;; [unrolled: 1-line block ×3, first 2 shown]
	s_set_vgpr_msb 0                        ;  msbs: dst=0 src0=0 src1=0 src2=0
	v_mul_i32_i24_e32 v97, v188, v97
	s_set_vgpr_msb 4                        ;  msbs: dst=0 src0=0 src1=1 src2=0
	v_mad_u32 v109, v114, v60 /*v316*/, v109
	v_mul_i32_i24_e32 v103, v103, v129 /*v385*/
	v_cvt_f32_i32_e32 v115, v91
	v_mul_i32_i24_e32 v91, v243, v114 /*v370*/
	s_set_vgpr_msb 5                        ;  msbs: dst=0 src0=1 src1=1 src2=0
	v_add3_u32 v97, v42 /*v298*/, v40 /*v296*/, v97
	v_add3_u32 v103, v133 /*v389*/, v132 /*v388*/, v103
	s_set_vgpr_msb 4                        ;  msbs: dst=0 src0=0 src1=1 src2=0
	v_mad_i32_i24 v91, v238, v115 /*v371*/, v91
	s_delay_alu instid0(VALU_DEP_3) | instskip(SKIP_3) | instid1(VALU_DEP_1)
	v_mul_lo_u32 v97, v97, v134 /*v390*/
	v_cvt_f32_i32_e32 v114, v109
	v_mul_i32_i24_e32 v109, v248, v84 /*v340*/
	s_set_vgpr_msb 0                        ;  msbs: dst=0 src0=0 src1=0 src2=0
	v_add3_u32 v91, v91, v99, v109
	s_set_vgpr_msb 4                        ;  msbs: dst=0 src0=0 src1=1 src2=0
	v_mul_i32_i24_e32 v99, v250, v121 /*v377*/
	v_mul_i32_i24_e32 v109, v253, v122 /*v378*/
	s_set_vgpr_msb 0                        ;  msbs: dst=0 src0=0 src1=0 src2=0
	s_delay_alu instid0(VALU_DEP_1)
	v_add3_u32 v91, v91, v99, v109
	s_set_vgpr_msb 5                        ;  msbs: dst=0 src0=1 src1=1 src2=0
	v_mul_i32_i24_e32 v99, v20 /*v276*/, v146 /*v402*/
	v_mul_i32_i24_e32 v109, v23 /*v279*/, v149 /*v405*/
	s_set_vgpr_msb 0                        ;  msbs: dst=0 src0=0 src1=0 src2=0
	v_add3_u32 v91, v91, v113, v116
	s_set_vgpr_msb 5                        ;  msbs: dst=0 src0=1 src1=1 src2=0
	v_mul_i32_i24_e32 v113, v25 /*v281*/, v110 /*v366*/
	v_mad_i32_i24 v99, v18 /*v274*/, v148 /*v404*/, v99
	v_mul_i32_i24_e32 v116, v28 /*v284*/, v152 /*v408*/
	s_set_vgpr_msb 0                        ;  msbs: dst=0 src0=0 src1=0 src2=0
	v_add3_u32 v91, v91, v117, v118
	s_set_vgpr_msb 5                        ;  msbs: dst=0 src0=1 src1=1 src2=0
	v_mul_i32_i24_e32 v117, v29 /*v285*/, v111 /*v367*/
	s_set_vgpr_msb 0                        ;  msbs: dst=0 src0=0 src1=0 src2=0
	v_add3_u32 v99, v99, v109, v113
	s_set_vgpr_msb 5                        ;  msbs: dst=0 src0=1 src1=1 src2=0
	v_mul_i32_i24_e32 v109, v26 /*v282*/, v150 /*v406*/
	v_mul_i32_i24_e32 v113, v27 /*v283*/, v151 /*v407*/
	s_set_vgpr_msb 0                        ;  msbs: dst=0 src0=0 src1=0 src2=0
	v_add3_u32 v91, v91, v119, v121
	s_set_vgpr_msb 5                        ;  msbs: dst=0 src0=1 src1=1 src2=0
	v_mul_i32_i24_e32 v118, v30 /*v286*/, v153 /*v409*/
	v_mul_i32_i24_e32 v119, v31 /*v287*/, v154 /*v410*/
	v_mul_i32_i24_e32 v121, v32 /*v288*/, v155 /*v411*/
	s_set_vgpr_msb 0                        ;  msbs: dst=0 src0=0 src1=0 src2=0
	v_add3_u32 v99, v99, v109, v113
	s_set_vgpr_msb 5                        ;  msbs: dst=0 src0=1 src1=1 src2=0
	v_mul_i32_i24_e32 v113, v169 /*v425*/, v65 /*v321*/
	s_set_vgpr_msb 0                        ;  msbs: dst=0 src0=0 src1=0 src2=0
	v_add3_u32 v91, v91, v123, v125
	s_set_vgpr_msb 5                        ;  msbs: dst=0 src0=1 src1=1 src2=0
	v_mul_i32_i24_e32 v123, v33 /*v289*/, v112 /*v368*/
	v_mul_i32_i24_e32 v125, v34 /*v290*/, v158 /*v414*/
	s_set_vgpr_msb 0                        ;  msbs: dst=0 src0=0 src1=0 src2=0
	v_add3_u32 v99, v99, v116, v117
	s_set_vgpr_msb 5                        ;  msbs: dst=0 src0=1 src1=1 src2=0
	v_mul_i32_i24_e32 v117, v172 /*v428*/, v62 /*v318*/
	v_mul_i32_i24_e32 v116, v170 /*v426*/, v64 /*v320*/
	;; [unrolled: 1-line block ×3, first 2 shown]
	s_set_vgpr_msb 0                        ;  msbs: dst=0 src0=0 src1=0 src2=0
	v_add3_u32 v99, v99, v118, v119
	s_set_vgpr_msb 5                        ;  msbs: dst=0 src0=1 src1=1 src2=0
	v_mad_i32_i24 v117, v171 /*v427*/, v63 /*v319*/, v117
	s_set_vgpr_msb 1                        ;  msbs: dst=0 src0=1 src1=0 src2=0
	v_mul_i32_i24_e32 v119, v163 /*v419*/, v206
	s_set_vgpr_msb 0                        ;  msbs: dst=0 src0=0 src1=0 src2=0
	v_add3_u32 v99, v99, v121, v123
	v_add3_u32 v113, v117, v116, v113
	s_set_vgpr_msb 4                        ;  msbs: dst=0 src0=0 src1=1 src2=0
	v_mul_i32_i24_e32 v116, v209, v87 /*v343*/
	s_set_vgpr_msb 5                        ;  msbs: dst=0 src0=1 src1=1 src2=0
	v_mul_i32_i24_e32 v117, v8 /*v264*/, v113 /*v369*/
	v_lshrrev_b32_e32 v121, 24, v127 /*v383*/
	s_set_vgpr_msb 0                        ;  msbs: dst=0 src0=0 src1=0 src2=0
	v_add3_u32 v99, v99, v125, v127
	s_set_vgpr_msb 4                        ;  msbs: dst=0 src0=0 src1=1 src2=0
	v_lshrrev_b32_e32 v127, 24, v61 /*v317*/
	s_set_vgpr_msb 0                        ;  msbs: dst=0 src0=0 src1=0 src2=0
	v_add3_u32 v91, v91, v126, v116
	s_set_vgpr_msb 4                        ;  msbs: dst=0 src0=0 src1=1 src2=0
	v_mul_i32_i24_e32 v116, v203, v53 /*v309*/
	s_set_vgpr_msb 5                        ;  msbs: dst=0 src0=1 src1=1 src2=0
	v_mul_i32_i24_e32 v125, v167 /*v423*/, v59 /*v315*/
	s_set_vgpr_msb 0                        ;  msbs: dst=0 src0=0 src1=0 src2=0
	v_add3_u32 v99, v99, v204, v117
	s_set_vgpr_msb 1                        ;  msbs: dst=0 src0=1 src1=0 src2=0
	v_mul_i32_i24_e32 v117, v162 /*v418*/, v127
	s_set_vgpr_msb 4                        ;  msbs: dst=0 src0=0 src1=1 src2=0
	v_mul_lo_u32 v91, v91, v66 /*v322*/
	s_set_vgpr_msb 5                        ;  msbs: dst=0 src0=1 src1=1 src2=0
	v_add3_u32 v116, v48 /*v304*/, v47 /*v303*/, v116
	s_set_vgpr_msb 1                        ;  msbs: dst=0 src0=1 src1=0 src2=0
	v_mul_i32_i24_e32 v118, v49 /*v305*/, v121
	v_mul_i32_i24_e32 v123, v50 /*v306*/, v205
	s_set_vgpr_msb 0                        ;  msbs: dst=0 src0=0 src1=0 src2=0
	v_add3_u32 v109, v113, v109, v125
	s_set_vgpr_msb 4                        ;  msbs: dst=0 src0=0 src1=1 src2=0
	v_mad_u32 v97, v116, v143 /*v399*/, v97
	s_set_vgpr_msb 0                        ;  msbs: dst=0 src0=0 src1=0 src2=0
	v_add3_u32 v103, v103, v123, v118
	v_add3_u32 v109, v109, v119, v117
	s_set_vgpr_msb 4                        ;  msbs: dst=0 src0=0 src1=1 src2=0
	v_mad_u32 v91, v99, v60 /*v316*/, v91
	s_set_vgpr_msb 1                        ;  msbs: dst=0 src0=1 src1=0 src2=0
	v_mul_i32_i24_e32 v99, v52 /*v308*/, v205
	s_set_vgpr_msb 0                        ;  msbs: dst=0 src0=0 src1=0 src2=0
	v_cvt_f32_i32_e32 v118, v103
	v_cvt_f32_i32_e32 v119, v109
	s_set_vgpr_msb 1                        ;  msbs: dst=0 src0=1 src1=0 src2=0
	v_mul_i32_i24_e32 v103, v107 /*v363*/, v205
	s_set_vgpr_msb 0                        ;  msbs: dst=0 src0=0 src1=0 src2=0
	v_cvt_f32_i32_e32 v116, v97
	s_set_vgpr_msb 1                        ;  msbs: dst=0 src0=1 src1=0 src2=0
	v_mul_i32_i24_e32 v97, v108 /*v364*/, v121
	s_set_vgpr_msb 0                        ;  msbs: dst=0 src0=0 src1=0 src2=0
	v_pk_mul_f32 v[118:119], v[104:105], v[118:119]
	v_cvt_f32_i32_e32 v117, v91
	s_set_vgpr_msb 1                        ;  msbs: dst=0 src0=1 src1=0 src2=0
	v_mul_i32_i24_e32 v91, v51 /*v307*/, v121
	v_add3_u32 v97, v83 /*v339*/, v103, v97
	v_mul_i32_i24_e32 v103, v107 /*v363*/, v206
	s_set_vgpr_msb 0                        ;  msbs: dst=0 src0=0 src1=0 src2=0
	v_pk_fma_f32 v[116:117], v[2:3], v[116:117], v[118:119] neg_lo:[0,0,1] neg_hi:[0,0,1]
	v_add3_u32 v91, v107, v99, v91
	v_cvt_f32_i32_e32 v118, v97
	s_set_vgpr_msb 1                        ;  msbs: dst=0 src0=1 src1=0 src2=0
	v_mul_i32_i24_e32 v97, v108 /*v364*/, v127
	v_mul_i32_i24_e32 v99, v52 /*v308*/, v206
	v_pk_fma_f32 v[34:35], v[104:105] /*v[360:361]*/, v[116:117], v[34:35]
	s_set_vgpr_msb 0                        ;  msbs: dst=0 src0=0 src1=0 src2=0
	v_cvt_f32_i32_e32 v119, v91
	s_set_vgpr_msb 1                        ;  msbs: dst=0 src0=1 src1=0 src2=0
	v_mul_i32_i24_e32 v91, v51 /*v307*/, v127
	v_add3_u32 v97, v131 /*v387*/, v103, v97
	s_set_vgpr_msb 0                        ;  msbs: dst=0 src0=0 src1=0 src2=0
	v_pk_mul_f32 v[118:119], v[104:105], v[118:119] op_sel_hi:[0,1]
	s_set_vgpr_msb 1                        ;  msbs: dst=0 src0=1 src1=0 src2=0
	v_add3_u32 v91, v130 /*v386*/, v99, v91
	s_set_vgpr_msb 4                        ;  msbs: dst=0 src0=0 src1=1 src2=0
	v_mul_i32_i24_e32 v99, v185, v141 /*v397*/
	s_set_vgpr_msb 0                        ;  msbs: dst=0 src0=0 src1=0 src2=0
	v_pk_fma_f32 v[110:111], v[2:3], v[110:111], v[118:119] op_sel_hi:[0,1,1] neg_lo:[0,0,1] neg_hi:[0,0,1]
	v_cvt_f32_i32_e32 v119, v91
	v_cvt_f32_i32_e32 v118, v97
	s_delay_alu instid0(VALU_DEP_3) | instskip(NEXT) | instid1(VALU_DEP_2)
	v_pk_fma_f32 v[84:85], v[92:93], v[110:111], v[84:85]
	v_pk_mul_f32 v[118:119], v[94:95], v[118:119] op_sel_hi:[0,1]
	s_delay_alu instid0(VALU_DEP_1) | instskip(NEXT) | instid1(VALU_DEP_1)
	v_pk_fma_f32 v[0:1], v[90:91], v[0:1], v[118:119] op_sel_hi:[0,1,1] neg_lo:[0,0,1] neg_hi:[0,0,1]
	v_pk_fma_f32 v[82:83], v[92:93], v[0:1], v[82:83]
	s_set_vgpr_msb 1                        ;  msbs: dst=0 src0=1 src1=0 src2=0
	v_mul_i32_i24_e32 v0, v68 /*v324*/, v127
	v_mul_i32_i24_e32 v1, v69 /*v325*/, v206
	s_delay_alu instid0(VALU_DEP_1) | instskip(SKIP_2) | instid1(VALU_DEP_2)
	v_add3_u32 v0, v75 /*v331*/, v1, v0
	s_set_vgpr_msb 0                        ;  msbs: dst=0 src0=0 src1=0 src2=0
	v_mov_b32_e32 v1, v105
	v_cvt_f32_i32_e32 v97, v0
	v_mov_b32_e32 v0, v3
	s_delay_alu instid0(VALU_DEP_1) | instskip(NEXT) | instid1(VALU_DEP_1)
	v_pk_mul_f32 v[90:91], v[0:1], v[96:97]
	v_sub_f32_e32 v90, v90, v91
	s_set_vgpr_msb 1                        ;  msbs: dst=0 src0=1 src1=0 src2=0
	v_mul_i32_i24_e32 v91, v69 /*v325*/, v205
	s_set_vgpr_msb 0                        ;  msbs: dst=0 src0=0 src1=0 src2=0
	s_delay_alu instid0(VALU_DEP_2) | instskip(SKIP_2) | instid1(VALU_DEP_1)
	v_mul_f32_e32 v113, v95, v90
	s_set_vgpr_msb 1                        ;  msbs: dst=0 src0=1 src1=0 src2=0
	v_mul_i32_i24_e32 v90, v68 /*v324*/, v121
	v_add3_u32 v90, v101 /*v357*/, v91, v90
	s_set_vgpr_msb 0                        ;  msbs: dst=0 src0=0 src1=0 src2=0
	v_mov_b32_e32 v91, v104
	s_delay_alu instid0(VALU_DEP_2) | instskip(SKIP_2) | instid1(VALU_DEP_2)
	v_cvt_f32_i32_e32 v109, v90
	v_mov_b32_e32 v90, v2
	v_pk_add_f32 v[62:63], v[62:63], v[112:113]
	v_pk_mul_f32 v[92:93], v[90:91], v[108:109]
	s_delay_alu instid0(VALU_DEP_1) | instskip(SKIP_3) | instid1(VALU_DEP_2)
	v_sub_f32_e32 v2, v92, v93
	s_set_vgpr_msb 1                        ;  msbs: dst=0 src0=1 src1=0 src2=0
	v_mul_i32_i24_e32 v92, v82 /*v338*/, v206
	s_set_vgpr_msb 0                        ;  msbs: dst=0 src0=0 src1=0 src2=0
	v_mul_f32_e32 v93, v95, v2
	s_set_vgpr_msb 1                        ;  msbs: dst=0 src0=1 src1=0 src2=0
	v_mul_i32_i24_e32 v2, v81 /*v337*/, v127
	s_delay_alu instid0(VALU_DEP_1) | instskip(SKIP_2) | instid1(VALU_DEP_2)
	v_add3_u32 v2, v91 /*v347*/, v92, v2
	v_mul_i32_i24_e32 v92, v82 /*v338*/, v205
	s_set_vgpr_msb 0                        ;  msbs: dst=0 src0=0 src1=0 src2=0
	v_cvt_f32_i32_e32 v103, v2
	s_delay_alu instid0(VALU_DEP_1) | instskip(NEXT) | instid1(VALU_DEP_1)
	v_pk_mul_f32 v[94:95], v[0:1], v[102:103]
	v_sub_f32_e32 v2, v94, v95
	s_set_vgpr_msb 1                        ;  msbs: dst=0 src0=1 src1=0 src2=0
	s_delay_alu instid0(VALU_DEP_1) | instskip(SKIP_1) | instid1(VALU_DEP_1)
	v_mul_f32_e32 v94, v76 /*v332*/, v2
	v_mul_i32_i24_e32 v2, v81 /*v337*/, v121
	v_add3_u32 v2, v106 /*v362*/, v92, v2
	v_mul_i32_i24_e32 v92, v136 /*v392*/, v206
	s_set_vgpr_msb 0                        ;  msbs: dst=0 src0=0 src1=0 src2=0
	s_delay_alu instid0(VALU_DEP_2) | instskip(NEXT) | instid1(VALU_DEP_1)
	v_cvt_f32_i32_e32 v107, v2
	v_pk_mul_f32 v[96:97], v[90:91], v[106:107]
	s_delay_alu instid0(VALU_DEP_1) | instskip(SKIP_1) | instid1(VALU_DEP_1)
	v_sub_f32_e32 v2, v96, v97
	s_set_vgpr_msb 1                        ;  msbs: dst=0 src0=1 src1=0 src2=0
	v_mul_f32_e32 v96, v76 /*v332*/, v2
	v_mul_i32_i24_e32 v2, v135 /*v391*/, v127
	s_delay_alu instid0(VALU_DEP_1) | instskip(SKIP_2) | instid1(VALU_DEP_2)
	v_add3_u32 v2, v147 /*v403*/, v92, v2
	v_mul_i32_i24_e32 v92, v136 /*v392*/, v205
	s_set_vgpr_msb 0                        ;  msbs: dst=0 src0=0 src1=0 src2=0
	v_cvt_f32_i32_e32 v123, v2
	s_delay_alu instid0(VALU_DEP_1) | instskip(NEXT) | instid1(VALU_DEP_1)
	v_pk_mul_f32 v[102:103], v[0:1], v[122:123]
	v_sub_f32_e32 v2, v102, v103
	s_set_vgpr_msb 4                        ;  msbs: dst=0 src0=0 src1=1 src2=0
	v_mul_i32_i24_e32 v102, v203, v113 /*v369*/
	s_set_vgpr_msb 1                        ;  msbs: dst=0 src0=1 src1=0 src2=0
	s_delay_alu instid0(VALU_DEP_2) | instskip(SKIP_2) | instid1(VALU_DEP_2)
	v_mul_f32_e32 v95, v89 /*v345*/, v2
	v_mul_i32_i24_e32 v2, v135 /*v391*/, v121
	s_set_vgpr_msb 0                        ;  msbs: dst=0 src0=0 src1=0 src2=0
	v_pk_add_f32 v[74:75], v[74:75], v[94:95]
	s_set_vgpr_msb 1                        ;  msbs: dst=0 src0=1 src1=0 src2=0
	s_delay_alu instid0(VALU_DEP_2) | instskip(SKIP_2) | instid1(VALU_DEP_2)
	v_add3_u32 v2, v109 /*v365*/, v92, v2
	v_mul_i32_i24_e32 v92, v157 /*v413*/, v206
	s_set_vgpr_msb 0                        ;  msbs: dst=0 src0=0 src1=0 src2=0
	v_cvt_f32_i32_e32 v125, v2
	s_delay_alu instid0(VALU_DEP_1) | instskip(NEXT) | instid1(VALU_DEP_1)
	v_pk_mul_f32 v[94:95], v[90:91], v[124:125]
	v_dual_sub_f32 v2, v94, v95 :: v_dual_mov_b32 v95, v100
	s_set_vgpr_msb 4                        ;  msbs: dst=0 src0=0 src1=1 src2=0
	v_mul_i32_i24_e32 v100, v186, v142 /*v398*/
	s_set_vgpr_msb 1                        ;  msbs: dst=0 src0=1 src1=0 src2=0
	s_delay_alu instid0(VALU_DEP_2) | instskip(SKIP_2) | instid1(VALU_DEP_2)
	v_mul_f32_e32 v97, v89 /*v345*/, v2
	v_mul_i32_i24_e32 v2, v156 /*v412*/, v127
	s_set_vgpr_msb 0                        ;  msbs: dst=0 src0=0 src1=0 src2=0
	v_pk_add_f32 v[76:77], v[76:77], v[96:97]
	s_set_vgpr_msb 1                        ;  msbs: dst=0 src0=1 src1=0 src2=0
	s_delay_alu instid0(VALU_DEP_2)
	v_add3_u32 v2, v168 /*v424*/, v92, v2
	s_set_vgpr_msb 4                        ;  msbs: dst=0 src0=0 src1=1 src2=0
	v_mul_i32_i24_e32 v96, v182, v139 /*v395*/
	v_mul_i32_i24_e32 v97, v183, v86 /*v342*/
	s_set_vgpr_msb 64                       ;  msbs: dst=1 src0=0 src1=0 src2=0
	v_cvt_f32_i32_e32 v81 /*v337*/, v2
	s_set_vgpr_msb 4                        ;  msbs: dst=0 src0=0 src1=1 src2=0
	v_mul_i32_i24_e32 v2, v127, v49 /*v305*/
	s_delay_alu instid0(VALU_DEP_2) | instskip(SKIP_1) | instid1(VALU_DEP_1)
	v_pk_mul_f32 v[0:1], v[0:1], v[80:81] /*v[336:337]*/
	s_set_vgpr_msb 0                        ;  msbs: dst=0 src0=0 src1=0 src2=0
	v_sub_f32_e32 v0, v0, v1
	s_set_vgpr_msb 1                        ;  msbs: dst=0 src0=1 src1=0 src2=0
	v_mul_i32_i24_e32 v1, v157 /*v413*/, v205
	s_delay_alu instid0(VALU_DEP_2) | instskip(SKIP_1) | instid1(VALU_DEP_1)
	v_mul_f32_e32 v92, v118 /*v374*/, v0
	v_mul_i32_i24_e32 v0, v156 /*v412*/, v121
	v_add3_u32 v0, v119 /*v375*/, v1, v0
	s_set_vgpr_msb 64                       ;  msbs: dst=1 src0=0 src1=0 src2=0
	s_delay_alu instid0(VALU_DEP_1) | instskip(SKIP_1) | instid1(VALU_DEP_1)
	v_cvt_f32_i32_e32 v89 /*v345*/, v0
	s_set_vgpr_msb 4                        ;  msbs: dst=0 src0=0 src1=1 src2=0
	v_pk_mul_f32 v[0:1], v[90:91], v[88:89] /*v[344:345]*/
	s_set_vgpr_msb 0                        ;  msbs: dst=0 src0=0 src1=0 src2=0
	s_delay_alu instid0(VALU_DEP_1) | instskip(SKIP_3) | instid1(VALU_DEP_2)
	v_sub_f32_e32 v0, v0, v1
	s_set_vgpr_msb 5                        ;  msbs: dst=0 src0=1 src1=1 src2=0
	v_mul_i32_i24_e32 v1, v162 /*v418*/, v99 /*v355*/
	s_set_vgpr_msb 1                        ;  msbs: dst=0 src0=1 src1=0 src2=0
	v_mul_f32_e32 v0, v118 /*v374*/, v0
	s_set_vgpr_msb 0                        ;  msbs: dst=0 src0=0 src1=0 src2=0
	v_pk_add_f32 v[66:67], v[66:67], v[92:93]
	s_set_vgpr_msb 5                        ;  msbs: dst=0 src0=1 src1=1 src2=0
	v_mul_i32_i24_e32 v92, v163 /*v419*/, v100 /*v356*/
	s_set_vgpr_msb 4                        ;  msbs: dst=0 src0=0 src1=1 src2=0
	v_mul_i32_i24_e32 v93, v206, v50 /*v306*/
	s_set_vgpr_msb 0                        ;  msbs: dst=0 src0=0 src1=0 src2=0
	s_delay_alu instid0(VALU_DEP_2) | instskip(NEXT) | instid1(VALU_DEP_2)
	v_add3_u32 v1, v101, v92, v1
	v_add3_u32 v94, v120, v93, v2
	v_dual_mov_b32 v2, v3 :: v_dual_mov_b32 v3, v98
	s_set_vgpr_msb 4                        ;  msbs: dst=0 src0=0 src1=1 src2=0
	v_mul_i32_i24_e32 v98, v184, v140 /*v396*/
	v_cvt_f32_i32_e32 v93, v1
	v_cvt_f32_i32_e32 v92, v94
	v_mov_b32_e32 v94, v105
	v_mul_i32_i24_e32 v1, v173, v114 /*v370*/
	v_mul_i32_i24_e32 v101, v188, v87 /*v343*/
	s_set_vgpr_msb 0                        ;  msbs: dst=0 src0=0 src1=0 src2=0
	s_delay_alu instid0(VALU_DEP_3)
	v_pk_mul_f32 v[92:93], v[94:95], v[92:93]
	s_set_vgpr_msb 4                        ;  msbs: dst=0 src0=0 src1=1 src2=0
	v_mad_i32_i24 v1, v172, v115 /*v371*/, v1
	v_mul_i32_i24_e32 v94, v180, v137 /*v393*/
	v_mul_i32_i24_e32 v95, v181, v138 /*v394*/
	s_set_vgpr_msb 0                        ;  msbs: dst=0 src0=0 src1=0 src2=0
	v_pk_fma_f32 v[2:3], v[2:3], v[114:115], v[92:93] neg_lo:[0,0,1] neg_hi:[0,0,1]
	s_set_vgpr_msb 4                        ;  msbs: dst=0 src0=0 src1=1 src2=0
	v_mul_i32_i24_e32 v92, v178, v123 /*v379*/
	v_mul_i32_i24_e32 v93, v179, v85 /*v341*/
	s_set_vgpr_msb 1                        ;  msbs: dst=0 src0=1 src1=0 src2=0
	v_pk_fma_f32 v[30:31], v[104:105] /*v[360:361]*/, v[2:3], v[30:31]
	s_set_vgpr_msb 4                        ;  msbs: dst=0 src0=0 src1=1 src2=0
	v_mul_i32_i24_e32 v2, v176, v120 /*v376*/
	v_mul_i32_i24_e32 v3, v174, v84 /*v340*/
	s_set_vgpr_msb 0                        ;  msbs: dst=0 src0=0 src1=0 src2=0
	s_delay_alu instid0(VALU_DEP_1) | instskip(SKIP_4) | instid1(VALU_DEP_1)
	v_add3_u32 v1, v1, v2, v3
	s_set_vgpr_msb 4                        ;  msbs: dst=0 src0=0 src1=1 src2=0
	v_mul_i32_i24_e32 v2, v175, v121 /*v377*/
	v_mul_i32_i24_e32 v3, v177, v122 /*v378*/
	s_set_vgpr_msb 0                        ;  msbs: dst=0 src0=0 src1=0 src2=0
	v_add3_u32 v1, v1, v2, v3
	s_set_vgpr_msb 4                        ;  msbs: dst=0 src0=0 src1=1 src2=0
	v_mul_i32_i24_e32 v2, v189, v146 /*v402*/
	v_mul_i32_i24_e32 v3, v190, v149 /*v405*/
	s_set_vgpr_msb 0                        ;  msbs: dst=0 src0=0 src1=0 src2=0
	v_add3_u32 v1, v1, v92, v93
	s_set_vgpr_msb 4                        ;  msbs: dst=0 src0=0 src1=1 src2=0
	v_mul_i32_i24_e32 v92, v191, v110 /*v366*/
	v_mad_i32_i24 v2, v187, v148 /*v404*/, v2
	v_mul_i32_i24_e32 v93, v194, v152 /*v408*/
	s_set_vgpr_msb 0                        ;  msbs: dst=0 src0=0 src1=0 src2=0
	v_add3_u32 v1, v1, v94, v95
	s_set_vgpr_msb 4                        ;  msbs: dst=0 src0=0 src1=1 src2=0
	v_mul_i32_i24_e32 v94, v195, v111 /*v367*/
	s_set_vgpr_msb 0                        ;  msbs: dst=0 src0=0 src1=0 src2=0
	v_add3_u32 v2, v2, v3, v92
	s_set_vgpr_msb 4                        ;  msbs: dst=0 src0=0 src1=1 src2=0
	v_mul_i32_i24_e32 v3, v192, v150 /*v406*/
	v_mul_i32_i24_e32 v92, v193, v151 /*v407*/
	s_set_vgpr_msb 0                        ;  msbs: dst=0 src0=0 src1=0 src2=0
	v_add3_u32 v1, v1, v96, v97
	s_set_vgpr_msb 4                        ;  msbs: dst=0 src0=0 src1=1 src2=0
	v_mul_i32_i24_e32 v95, v196, v153 /*v409*/
	v_mul_i32_i24_e32 v96, v197, v154 /*v410*/
	;; [unrolled: 1-line block ×3, first 2 shown]
	s_set_vgpr_msb 0                        ;  msbs: dst=0 src0=0 src1=0 src2=0
	v_add3_u32 v2, v2, v3, v92
	v_add3_u32 v1, v1, v98, v99
	s_set_vgpr_msb 4                        ;  msbs: dst=0 src0=0 src1=1 src2=0
	v_mul_i32_i24_e32 v98, v199, v112 /*v368*/
	v_mul_i32_i24_e32 v99, v200, v158 /*v414*/
	s_set_vgpr_msb 5                        ;  msbs: dst=0 src0=1 src1=1 src2=0
	v_mul_i32_i24_e32 v92, v164 /*v420*/, v128 /*v384*/
	s_set_vgpr_msb 0                        ;  msbs: dst=0 src0=0 src1=0 src2=0
	v_add3_u32 v2, v2, v93, v94
	v_add3_u32 v1, v1, v100, v101
	s_set_vgpr_msb 4                        ;  msbs: dst=0 src0=0 src1=1 src2=0
	v_mul_i32_i24_e32 v100, v201, v159 /*v415*/
	v_mul_i32_i24_e32 v101, v202, v160 /*v416*/
	s_set_vgpr_msb 5                        ;  msbs: dst=0 src0=1 src1=1 src2=0
	v_mul_i32_i24_e32 v94, v169 /*v425*/, v126 /*v382*/
	s_set_vgpr_msb 0                        ;  msbs: dst=0 src0=0 src1=0 src2=0
	v_add3_u32 v2, v2, v95, v96
	s_set_vgpr_msb 5                        ;  msbs: dst=0 src0=1 src1=1 src2=0
	v_mul_i32_i24_e32 v95, v170 /*v426*/, v125 /*v381*/
	v_mul_i32_i24_e32 v96, v171 /*v427*/, v124 /*v380*/
	s_set_vgpr_msb 4                        ;  msbs: dst=0 src0=0 src1=1 src2=0
	v_mul_lo_u32 v1, v1, v134 /*v390*/
	s_set_vgpr_msb 1                        ;  msbs: dst=0 src0=1 src1=0 src2=0
	v_mul_i32_i24_e32 v3, v163 /*v419*/, v205
	s_set_vgpr_msb 0                        ;  msbs: dst=0 src0=0 src1=0 src2=0
	v_add3_u32 v2, v2, v97, v98
	s_set_vgpr_msb 5                        ;  msbs: dst=0 src0=1 src1=1 src2=0
	v_mul_i32_i24_e32 v97, v172 /*v428*/, v77 /*v333*/
	v_mul_i32_i24_e32 v93, v167 /*v423*/, v129 /*v385*/
	s_set_vgpr_msb 0                        ;  msbs: dst=0 src0=0 src1=0 src2=0
	v_add3_u32 v2, v2, v99, v100
	s_delay_alu instid0(VALU_DEP_3) | instskip(NEXT) | instid1(VALU_DEP_2)
	v_add3_u32 v95, v96, v97, v95
	v_add3_u32 v2, v2, v101, v102
	s_delay_alu instid0(VALU_DEP_2) | instskip(SKIP_1) | instid1(VALU_DEP_2)
	v_add3_u32 v92, v95, v94, v92
	s_set_vgpr_msb 4                        ;  msbs: dst=0 src0=0 src1=1 src2=0
	v_mad_u32 v1, v2, v143 /*v399*/, v1
	s_set_vgpr_msb 0                        ;  msbs: dst=0 src0=0 src1=0 src2=0
	s_delay_alu instid0(VALU_DEP_2) | instskip(SKIP_1) | instid1(VALU_DEP_1)
	v_add3_u32 v3, v92, v93, v3
	s_set_vgpr_msb 1                        ;  msbs: dst=0 src0=1 src1=0 src2=0
	v_mad_i32_i24 v3, v162 /*v418*/, v121, v3
	s_set_vgpr_msb 0                        ;  msbs: dst=0 src0=0 src1=0 src2=0
	s_delay_alu instid0(VALU_DEP_1) | instskip(NEXT) | instid1(VALU_DEP_4)
	v_cvt_f32_i32_e32 v3, v3
	v_cvt_f32_i32_e32 v2, v1
	s_delay_alu instid0(VALU_DEP_1) | instskip(NEXT) | instid1(VALU_DEP_1)
	v_pk_mul_f32 v[2:3], v[90:91], v[2:3]
	v_sub_f32_e32 v1, v2, v3
	s_set_vgpr_msb 1                        ;  msbs: dst=0 src0=1 src1=0 src2=0
	s_delay_alu instid0(VALU_DEP_1) | instskip(SKIP_1) | instid1(VALU_DEP_1)
	v_mul_f32_e32 v1, v105 /*v361*/, v1
	s_set_vgpr_msb 0                        ;  msbs: dst=0 src0=0 src1=0 src2=0
	v_pk_add_f32 v[54:55], v[54:55], v[0:1]
	s_cbranch_scc1 .LBB148_10
; %bb.11:                               ;   in Loop: Header=BB148_8 Depth=2
	v_lshl_add_u32 v0, s16, 5, v13
	v_lshl_add_u32 v1, s16, 2, v171
	s_barrier_signal -1
	s_barrier_wait -1
	s_delay_alu instid0(VALU_DEP_2) | instskip(SKIP_1) | instid1(SALU_CYCLE_1)
	v_lshrrev_b32_e32 v0, 3, v0
	s_add_co_i32 s5, s5, 2
	s_lshl_b32 s16, s5, 3
	s_delay_alu instid0(VALU_DEP_1) | instskip(SKIP_1) | instid1(VALU_DEP_2)
	v_add_nc_u32_e32 v2, s4, v0
	v_mad_nc_u64_u32 v[0:1], v1, 36, s[2:3]
	v_dual_add_nc_u32 v3, v2, v145 :: v_dual_add_nc_u32 v98, v2, v142
	v_dual_add_nc_u32 v90, v2, v138 :: v_dual_add_nc_u32 v92, v2, v139
	;; [unrolled: 1-line block ×4, first 2 shown]
	s_delay_alu instid0(VALU_DEP_4) | instskip(NEXT) | instid1(VALU_DEP_4)
	v_mad_nc_i64_i32 v[2:3], v3, 36, v[10:11]
	v_mad_nc_i64_i32 v[90:91], v90, 36, v[10:11]
	;; [unrolled: 1-line block ×8, first 2 shown]
	s_clause 0x8
	global_load_b32 v104, v[0:1], off
	global_load_b32 v105, v[2:3], off offset:4
	global_load_b32 v106, v[90:91], off offset:4
	global_load_b32 v107, v[92:93], off offset:4
	global_load_b32 v108, v[94:95], off offset:4
	global_load_b32 v109, v[96:97], off offset:4
	global_load_b32 v110, v[98:99], off offset:4
	global_load_b32 v111, v[100:101], off offset:4
	global_load_b32 v112, v[102:103], off offset:4
	s_wait_loadcnt 0x8
	s_wait_xcnt 0x8
	v_cvt_f32_f16_e32 v0, v104
	s_wait_loadcnt 0x7
	ds_store_b32 v69, v105
	s_wait_loadcnt 0x6
	ds_store_b32 v47, v106
	;; [unrolled: 2-line block ×8, first 2 shown]
	ds_store_b32 v137, v0
	s_wait_dscnt 0x0
	s_barrier_signal -1
	s_barrier_wait -1
.LBB148_12:                             ;   Parent Loop BB148_6 Depth=1
                                        ;     Parent Loop BB148_8 Depth=2
                                        ; =>    This Inner Loop Header: Depth=3
	s_lshl_b32 s17, s15, 2
	s_and_b32 s18, s15, 6
	s_and_b32 s17, s17, 24
	;; [unrolled: 1-line block ×3, first 2 shown]
	v_or_b32_e32 v0, s17, v166
	v_lshl_add_u32 v172, s19, 2, v167
	s_and_b32 s20, s15, 0x7ffffffe
	s_delay_alu instid0(SALU_CYCLE_1) | instskip(NEXT) | instid1(VALU_DEP_2)
	s_add_co_i32 s19, s20, 0x6200
	v_dual_lshlrev_b32 v1, 2, v0 :: v_dual_lshrrev_b32 v0, 1, v0
	s_lshr_b32 s20, s15, 2
	s_set_vgpr_msb 64                       ;  msbs: dst=1 src0=0 src1=0 src2=0
	v_add3_u32 v51 /*v307*/, s19, v159, v168
	s_and_b32 s20, s20, 0x3ffffffc
	s_set_vgpr_msb 0                        ;  msbs: dst=0 src0=0 src1=0 src2=0
	ds_load_b32 v91, v0 offset:30368
	ds_load_b128 v[92:95], v1 offset:16896
	ds_load_b128 v[0:3], v1 offset:16912
	s_addk_co_i32 s20, 0x7280
	s_set_vgpr_msb 64                       ;  msbs: dst=1 src0=0 src1=0 src2=0
	v_add3_u32 v65 /*v321*/, s19, v162, v155
	v_add3_u32 v77 /*v333*/, s19, v164, v157
	s_add_co_i32 s15, s15, 2
	s_delay_alu instid0(SALU_CYCLE_1)
	s_cmp_lt_u32 s15, s16
	s_wait_dscnt 0x1
	s_set_vgpr_msb 0                        ;  msbs: dst=0 src0=0 src1=0 src2=0
	v_bfe_i32 v113, v95, 0, 8
	v_bfe_i32 v114, v95, 8, 8
	v_bfe_i32 v115, v95, 16, 8
	s_wait_dscnt 0x0
	v_dual_ashrrev_i32 v97, 24, v95 :: v_dual_ashrrev_i32 v120, 24, v0
	v_bfe_i32 v95, v0, 0, 8
	v_bfe_i32 v193, v1, 0, 8
	;; [unrolled: 1-line block ×7, first 2 shown]
	v_add_nc_u32_e32 v0, v193, v95
	v_bfe_i32 v90, v92, 0, 8
	v_bfe_i32 v96, v92, 8, 8
	;; [unrolled: 1-line block ×3, first 2 shown]
	v_ashrrev_i32_e32 v92, 24, v92
	v_bfe_i32 v99, v93, 0, 8
	v_bfe_i32 v101, v93, 8, 8
	;; [unrolled: 1-line block ×3, first 2 shown]
	v_dual_ashrrev_i32 v93, 24, v93 :: v_dual_ashrrev_i32 v112, 24, v94
	v_bfe_i32 v198, v2, 8, 8
	v_bfe_i32 v202, v3, 8, 8
	v_add3_u32 v108, v0, v197, v201
	v_add_nc_u32_e32 v0, v194, v117
	v_bfe_i32 v107, v94, 16, 8
	v_bfe_i32 v106, v94, 8, 8
	;; [unrolled: 1-line block ×4, first 2 shown]
	v_add3_u32 v103, v0, v198, v202
	v_dual_add_nc_u32 v0, v93, v92 :: v_dual_ashrrev_i32 v196, 24, v1
	v_add3_u32 v94, s20, v170, v169
	s_set_vgpr_msb 64                       ;  msbs: dst=1 src0=0 src1=0 src2=0
	v_bfe_i32 v50 /*v306*/, v2, 16, 8
	s_set_vgpr_msb 0                        ;  msbs: dst=0 src0=0 src1=0 src2=0
	v_ashrrev_i32_e32 v2, 24, v2
	v_add3_u32 v110, v0, v112, v97
	v_add_nc_u32_e32 v0, v104, v98
	ds_load_b32 v94, v94
	s_set_vgpr_msb 64                       ;  msbs: dst=1 src0=0 src1=0 src2=0
	v_dual_add_nc_u32 v49 /*v305*/, v196, v120 :: v_dual_add_nc_u32 v60 /*v316*/, v195, v118
	v_bfe_i32 v59 /*v315*/, v3, 16, 8
	s_set_vgpr_msb 0                        ;  msbs: dst=0 src0=0 src1=0 src2=0
	v_add3_u32 v111, v0, v107, v115
	v_add_nc_u32_e32 v0, v101, v96
	s_delay_alu instid0(VALU_DEP_1) | instskip(SKIP_1) | instid1(VALU_DEP_1)
	v_add3_u32 v122, v0, v106, v114
	v_add_nc_u32_e32 v0, v99, v90
	v_add3_u32 v124, v0, v105, v113
	ds_load_2addr_b32 v[0:1], v172 offset1:1
	s_wait_dscnt 0x0
	v_dual_ashrrev_i32 v100, s18, v0 :: v_dual_ashrrev_i32 v102, s18, v1
	ds_load_2addr_b32 v[0:1], v172 offset0:2 offset1:3
	v_and_b32_e32 v222, 3, v102
	v_bfe_u32 v225, v102, 8, 2
	v_bfe_u32 v226, v102, 16, 2
	;; [unrolled: 1-line block ×3, first 2 shown]
	s_delay_alu instid0(VALU_DEP_4) | instskip(NEXT) | instid1(VALU_DEP_3)
	v_mul_i32_i24_e32 v175, v222, v99
	v_mul_i32_i24_e32 v176, v226, v104
	s_delay_alu instid0(VALU_DEP_3) | instskip(NEXT) | instid1(VALU_DEP_3)
	v_mul_i32_i24_e32 v102, v228, v93
	v_mad_i32_i24 v175, v225, v101, v175
	s_delay_alu instid0(VALU_DEP_1)
	v_add3_u32 v102, v175, v176, v102
	s_wait_dscnt 0x0
	v_dual_ashrrev_i32 v109, s18, v0 :: v_dual_ashrrev_i32 v116, s18, v1
	ds_load_2addr_b32 v[0:1], v172 offset0:4 offset1:5
	v_and_b32_e32 v121, 3, v100
	v_bfe_u32 v119, v100, 8, 2
	v_and_b32_e32 v230, 3, v109
	v_bfe_u32 v224, v100, 16, 2
	v_bfe_u32 v127, v100, 24, 2
	v_mul_i32_i24_e32 v173, v90, v121
	v_mul_i32_i24_e32 v126, v96, v119
	;; [unrolled: 1-line block ×4, first 2 shown]
	v_bfe_u32 v232, v109, 8, 2
	v_mul_i32_i24_e32 v100, v92, v127
	v_bfe_u32 v234, v109, 16, 2
	v_add3_u32 v102, v102, v177, v173
	v_bfe_u32 v236, v109, 24, 2
	v_mul_i32_i24_e32 v178, v232, v106
	v_and_b32_e32 v239, 3, v116
	v_mul_i32_i24_e32 v179, v234, v107
	v_add3_u32 v102, v102, v126, v174
	v_mul_i32_i24_e32 v109, v236, v112
	s_wait_dscnt 0x0
	v_dual_ashrrev_i32 v123, s18, v0 :: v_dual_ashrrev_i32 v125, s18, v1
	ds_load_2addr_b32 v[0:1], v172 offset0:6 offset1:7
	v_bfe_u32 v241, v116, 8, 2
	v_add3_u32 v100, v102, v100, v178
	v_mul_i32_i24_e32 v180, v239, v113
	s_set_vgpr_msb 64                       ;  msbs: dst=1 src0=0 src1=0 src2=0
	v_and_b32_e32 v6 /*v262*/, 3, v125
	v_bfe_u32 v9 /*v265*/, v125, 8, 2
	s_set_vgpr_msb 0                        ;  msbs: dst=0 src0=0 src1=0 src2=0
	v_mul_i32_i24_e32 v181, v241, v114
	v_add3_u32 v100, v100, v179, v109
	s_set_vgpr_msb 64                       ;  msbs: dst=1 src0=0 src1=0 src2=0
	v_bfe_u32 v11 /*v267*/, v125, 16, 2
	v_bfe_u32 v13 /*v269*/, v125, 24, 2
	s_set_vgpr_msb 0                        ;  msbs: dst=0 src0=0 src1=0 src2=0
	v_bfe_u32 v244, v116, 16, 2
	v_bfe_u32 v116, v116, 24, 2
	s_set_vgpr_msb 64                       ;  msbs: dst=1 src0=0 src1=0 src2=0
	v_add3_u32 v62 /*v318*/, v100, v180, v181
	s_set_vgpr_msb 1                        ;  msbs: dst=0 src0=1 src1=0 src2=0
	v_mul_i32_i24_e32 v125, v13 /*v269*/, v196
	s_set_vgpr_msb 64                       ;  msbs: dst=1 src0=0 src1=0 src2=0
	v_mul_i32_i24_e32 v61 /*v317*/, v244, v115
	s_wait_dscnt 0x0
	s_set_vgpr_msb 0                        ;  msbs: dst=0 src0=0 src1=0 src2=0
	v_dual_ashrrev_i32 v0, s18, v0 :: v_dual_bitop2_b32 v255, 3, v123 bitop3:0x40
	v_bfe_u32 v251, v123, 8, 2
	s_set_vgpr_msb 64                       ;  msbs: dst=1 src0=0 src1=0 src2=0
	v_bfe_u32 v2 /*v258*/, v123, 16, 2
	v_bfe_u32 v4 /*v260*/, v123, 24, 2
	s_set_vgpr_msb 0                        ;  msbs: dst=0 src0=0 src1=0 src2=0
	v_ashrrev_i32_e32 v1, s18, v1
	v_mul_i32_i24_e32 v100, v255, v95
	s_set_vgpr_msb 1                        ;  msbs: dst=0 src0=1 src1=0 src2=0
	v_mul_i32_i24_e32 v123, v11 /*v267*/, v195
	v_mul_i32_i24_e32 v102, v2 /*v258*/, v118
	;; [unrolled: 1-line block ×3, first 2 shown]
	s_set_vgpr_msb 64                       ;  msbs: dst=1 src0=0 src1=0 src2=0
	v_and_b32_e32 v15 /*v271*/, 3, v0
	s_set_vgpr_msb 0                        ;  msbs: dst=0 src0=0 src1=0 src2=0
	v_mad_i32_i24 v100, v251, v117, v100
	s_set_vgpr_msb 64                       ;  msbs: dst=1 src0=0 src1=0 src2=0
	v_bfe_u32 v16 /*v272*/, v0, 8, 2
	v_and_b32_e32 v21 /*v277*/, 3, v1
	v_bfe_u32 v22 /*v278*/, v1, 8, 2
	v_bfe_u32 v24 /*v280*/, v1, 16, 2
	s_set_vgpr_msb 0                        ;  msbs: dst=0 src0=0 src1=0 src2=0
	v_add3_u32 v100, v100, v102, v109
	s_set_vgpr_msb 1                        ;  msbs: dst=0 src0=1 src1=0 src2=0
	v_mul_i32_i24_e32 v102, v6 /*v262*/, v193
	v_mul_i32_i24_e32 v109, v9 /*v265*/, v194
	s_set_vgpr_msb 0                        ;  msbs: dst=0 src0=0 src1=0 src2=0
	v_bfe_u32 v246, v1, 24, 2
	s_set_vgpr_msb 1                        ;  msbs: dst=0 src0=1 src1=0 src2=0
	v_mul_i32_i24_e32 v126, v15 /*v271*/, v197
	v_mul_i32_i24_e32 v173, v16 /*v272*/, v198
	s_set_vgpr_msb 64                       ;  msbs: dst=1 src0=0 src1=0 src2=0
	v_bfe_u32 v17 /*v273*/, v0, 16, 2
	s_set_vgpr_msb 0                        ;  msbs: dst=0 src0=0 src1=0 src2=0
	v_add3_u32 v1, v100, v102, v109
	s_set_vgpr_msb 64                       ;  msbs: dst=1 src0=0 src1=0 src2=0
	v_bfe_u32 v19 /*v275*/, v0, 24, 2
	s_set_vgpr_msb 1                        ;  msbs: dst=0 src0=1 src1=0 src2=0
	v_mul_i32_i24_e32 v175, v21 /*v277*/, v201
	v_mul_i32_i24_e32 v176, v22 /*v278*/, v202
	s_set_vgpr_msb 5                        ;  msbs: dst=0 src0=1 src1=1 src2=0
	v_mul_i32_i24_e32 v174, v17 /*v273*/, v50 /*v306*/
	s_set_vgpr_msb 0                        ;  msbs: dst=0 src0=0 src1=0 src2=0
	v_add3_u32 v1, v1, v123, v125
	s_set_vgpr_msb 1                        ;  msbs: dst=0 src0=1 src1=0 src2=0
	v_mul_i32_i24_e32 v0, v19 /*v275*/, v2
	v_add3_u32 v100, s20, v161, v154
	s_set_vgpr_msb 0x45                     ;  msbs: dst=1 src0=1 src1=1 src2=0
	v_mul_i32_i24_e32 v63 /*v319*/, v24 /*v280*/, v59 /*v315*/
	s_set_vgpr_msb 0                        ;  msbs: dst=0 src0=0 src1=0 src2=0
	v_add3_u32 v102, s19, v160, v153
	v_add3_u32 v1, v1, v126, v173
	ds_load_b32 v100, v100
	v_add3_u32 v0, v1, v174, v0
	s_set_vgpr_msb 64                       ;  msbs: dst=1 src0=0 src1=0 src2=0
	s_delay_alu instid0(VALU_DEP_1)
	v_add3_u32 v64 /*v320*/, v0, v175, v176
	s_set_vgpr_msb 0                        ;  msbs: dst=0 src0=0 src1=0 src2=0
	v_add_nc_u32_e32 v0, 0x1080, v172
	ds_load_2addr_b32 v[0:1], v0 offset1:1
	s_wait_dscnt 0x0
	v_ashrrev_i32_e32 v109, s18, v0
	v_add_nc_u32_e32 v0, 0x1088, v172
	v_ashrrev_i32_e32 v126, s18, v1
	s_delay_alu instid0(VALU_DEP_3)
	v_and_b32_e32 v125, 3, v109
	ds_load_2addr_b32 v[0:1], v0 offset1:1
	v_bfe_u32 v207, v126, 8, 2
	v_bfe_u32 v208, v126, 16, 2
	;; [unrolled: 1-line block ×6, first 2 shown]
	v_mul_i32_i24_e32 v182, v208, v104
	v_mul_i32_i24_e32 v178, v90, v125
	v_mul_i32_i24_e32 v177, v96, v123
	v_mul_i32_i24_e32 v179, v92, v204
	v_mul_i32_i24_e32 v180, v98, v206
	v_and_b32_e32 v205, 3, v126
	v_mul_i32_i24_e32 v126, v210, v93
	s_delay_alu instid0(VALU_DEP_2) | instskip(SKIP_4) | instid1(VALU_DEP_3)
	v_mul_i32_i24_e32 v181, v205, v99
	s_wait_dscnt 0x0
	v_ashrrev_i32_e32 v173, s18, v0
	v_add_nc_u32_e32 v0, 0x1090, v172
	v_ashrrev_i32_e32 v174, s18, v1
	v_and_b32_e32 v211, 3, v173
	ds_load_2addr_b32 v[0:1], v0 offset1:1
	v_bfe_u32 v212, v173, 8, 2
	v_bfe_u32 v213, v173, 16, 2
	;; [unrolled: 1-line block ×3, first 2 shown]
	v_mul_i32_i24_e32 v183, v211, v105
	s_delay_alu instid0(VALU_DEP_4) | instskip(NEXT) | instid1(VALU_DEP_4)
	v_mul_i32_i24_e32 v184, v212, v106
	v_mul_i32_i24_e32 v185, v213, v107
	s_delay_alu instid0(VALU_DEP_4)
	v_mul_i32_i24_e32 v173, v214, v112
	s_wait_dscnt 0x0
	v_ashrrev_i32_e32 v175, s18, v0
	v_add_nc_u32_e32 v0, 0x1098, v172
	v_dual_ashrrev_i32 v176, s18, v1 :: v_dual_bitop2_b32 v215, 3, v174 bitop3:0x40
	v_bfe_u32 v216, v174, 8, 2
	v_bfe_u32 v217, v174, 16, 2
	ds_load_2addr_b32 v[0:1], v0 offset1:1
	v_bfe_u32 v109, v174, 24, 2
	v_mad_i32_i24 v174, v207, v101, v181
	v_mul_i32_i24_e32 v186, v215, v113
	v_mul_i32_i24_e32 v187, v216, v114
	v_and_b32_e32 v220, 3, v175
	v_bfe_u32 v219, v175, 8, 2
	v_add3_u32 v126, v174, v182, v126
	v_bfe_u32 v221, v175, 16, 2
	v_bfe_u32 v223, v175, 24, 2
	s_set_vgpr_msb 64                       ;  msbs: dst=1 src0=0 src1=0 src2=0
	v_mul_i32_i24_e32 v39 /*v295*/, v217, v115
	s_set_vgpr_msb 0                        ;  msbs: dst=0 src0=0 src1=0 src2=0
	v_add3_u32 v126, v126, v183, v178
	v_mul_i32_i24_e32 v174, v223, v120
	s_delay_alu instid0(VALU_DEP_2) | instskip(SKIP_2) | instid1(VALU_DEP_2)
	v_add3_u32 v126, v126, v177, v180
	s_wait_dscnt 0x0
	v_dual_ashrrev_i32 v1, s18, v1 :: v_dual_ashrrev_i32 v0, s18, v0
	v_add3_u32 v126, v126, v179, v184
	v_and_b32_e32 v227, 3, v176
	v_bfe_u32 v229, v176, 8, 2
	v_bfe_u32 v231, v176, 16, 2
	;; [unrolled: 1-line block ×3, first 2 shown]
	v_add3_u32 v126, v126, v185, v173
	v_mul_i32_i24_e32 v173, v221, v118
	v_and_b32_e32 v235, 3, v0
	v_mul_i32_i24_e32 v175, v231, v195
	v_mul_i32_i24_e32 v176, v233, v196
	s_set_vgpr_msb 64                       ;  msbs: dst=1 src0=0 src1=0 src2=0
	v_add3_u32 v41 /*v297*/, v126, v186, v187
	s_set_vgpr_msb 0                        ;  msbs: dst=0 src0=0 src1=0 src2=0
	v_mul_i32_i24_e32 v126, v220, v95
	v_bfe_u32 v237, v0, 8, 2
	v_and_b32_e32 v245, 3, v1
	v_bfe_u32 v247, v1, 8, 2
	v_bfe_u32 v249, v1, 16, 2
	v_mad_i32_i24 v126, v219, v117, v126
	v_bfe_u32 v218, v1, 24, 2
	v_mul_i32_i24_e32 v177, v235, v197
	v_mul_i32_i24_e32 v178, v237, v198
	v_bfe_u32 v240, v0, 16, 2
	v_add3_u32 v126, v126, v173, v174
	v_mul_i32_i24_e32 v173, v227, v193
	v_mul_i32_i24_e32 v174, v229, v194
	v_bfe_u32 v242, v0, 24, 2
	s_set_vgpr_msb 4                        ;  msbs: dst=0 src0=0 src1=1 src2=0
	v_mul_i32_i24_e32 v179, v240, v50 /*v306*/
	s_set_vgpr_msb 0                        ;  msbs: dst=0 src0=0 src1=0 src2=0
	v_mul_i32_i24_e32 v180, v245, v201
	v_mul_i32_i24_e32 v181, v247, v202
	v_add3_u32 v1, v126, v173, v174
	v_mul_i32_i24_e32 v0, v242, v2
	v_add3_u32 v126, s20, v163, v156
	s_set_vgpr_msb 0x44                     ;  msbs: dst=1 src0=0 src1=1 src2=0
	v_mul_i32_i24_e32 v45 /*v301*/, v249, v59 /*v315*/
	s_set_vgpr_msb 0                        ;  msbs: dst=0 src0=0 src1=0 src2=0
	v_add3_u32 v1, v1, v175, v176
	ds_load_b32 v126, v126
	v_add3_u32 v1, v1, v177, v178
	s_delay_alu instid0(VALU_DEP_1) | instskip(SKIP_1) | instid1(VALU_DEP_1)
	v_add3_u32 v0, v1, v179, v0
	s_set_vgpr_msb 64                       ;  msbs: dst=1 src0=0 src1=0 src2=0
	v_add3_u32 v46 /*v302*/, v0, v180, v181
	s_set_vgpr_msb 0                        ;  msbs: dst=0 src0=0 src1=0 src2=0
	v_add_nc_u32_e32 v0, 0x2100, v172
	ds_load_2addr_b32 v[0:1], v0 offset1:1
	s_wait_dscnt 0x0
	v_ashrrev_i32_e32 v173, s18, v0
	v_add_nc_u32_e32 v0, 0x2108, v172
	v_ashrrev_i32_e32 v174, s18, v1
	s_delay_alu instid0(VALU_DEP_3)
	v_and_b32_e32 v243, 3, v173
	ds_load_2addr_b32 v[0:1], v0 offset1:1
	v_bfe_u32 v253, v174, 8, 2
	v_bfe_u32 v254, v174, 16, 2
	s_set_vgpr_msb 64                       ;  msbs: dst=1 src0=0 src1=0 src2=0
	v_bfe_u32 v0 /*v256*/, v174, 24, 2
	s_set_vgpr_msb 0                        ;  msbs: dst=0 src0=0 src1=0 src2=0
	v_bfe_u32 v238, v173, 8, 2
	v_mul_i32_i24_e32 v180, v90, v243
	v_bfe_u32 v252, v173, 16, 2
	v_mul_i32_i24_e32 v183, v254, v104
	;; [unrolled: 2-line block ×3, first 2 shown]
	v_and_b32_e32 v250, 3, v174
	s_set_vgpr_msb 1                        ;  msbs: dst=0 src0=1 src1=0 src2=0
	v_mul_i32_i24_e32 v174, v0 /*v256*/, v93
	s_set_vgpr_msb 0                        ;  msbs: dst=0 src0=0 src1=0 src2=0
	v_mul_i32_i24_e32 v181, v98, v252
	v_mul_i32_i24_e32 v173, v92, v248
	v_mul_i32_i24_e32 v182, v250, v99
	s_wait_dscnt 0x0
	v_ashrrev_i32_e32 v175, s18, v0
	v_add_nc_u32_e32 v0, 0x2110, v172
	v_ashrrev_i32_e32 v176, s18, v1
	s_set_vgpr_msb 64                       ;  msbs: dst=1 src0=0 src1=0 src2=0
	s_delay_alu instid0(VALU_DEP_3)
	v_and_b32_e32 v1 /*v257*/, 3, v175
	s_set_vgpr_msb 0                        ;  msbs: dst=0 src0=0 src1=0 src2=0
	ds_load_2addr_b32 v[0:1], v0 offset1:1
	s_set_vgpr_msb 64                       ;  msbs: dst=1 src0=0 src1=0 src2=0
	v_and_b32_e32 v10 /*v266*/, 3, v176
	v_bfe_u32 v12 /*v268*/, v176, 8, 2
	v_bfe_u32 v14 /*v270*/, v176, 16, 2
	s_set_vgpr_msb 0                        ;  msbs: dst=0 src0=0 src1=0 src2=0
	v_bfe_u32 v209, v176, 24, 2
	s_set_vgpr_msb 1                        ;  msbs: dst=0 src0=1 src1=0 src2=0
	v_mul_i32_i24_e32 v184, v1 /*v257*/, v105
	s_set_vgpr_msb 64                       ;  msbs: dst=1 src0=0 src1=0 src2=0
	v_bfe_u32 v3 /*v259*/, v175, 8, 2
	v_bfe_u32 v5 /*v261*/, v175, 16, 2
	;; [unrolled: 1-line block ×3, first 2 shown]
	s_set_vgpr_msb 1                        ;  msbs: dst=0 src0=1 src1=0 src2=0
	v_mul_i32_i24_e32 v187, v10 /*v266*/, v113
	v_mul_i32_i24_e32 v188, v12 /*v268*/, v114
	;; [unrolled: 1-line block ×5, first 2 shown]
	s_set_vgpr_msb 0x41                     ;  msbs: dst=1 src0=1 src1=0 src2=0
	v_mul_i32_i24_e32 v37 /*v293*/, v14 /*v270*/, v115
	s_set_vgpr_msb 0                        ;  msbs: dst=0 src0=0 src1=0 src2=0
	v_mad_i32_i24 v176, v253, v101, v182
	s_wait_dscnt 0x0
	v_ashrrev_i32_e32 v177, s18, v0
	v_add_nc_u32_e32 v0, 0x2118, v172
	v_ashrrev_i32_e32 v178, s18, v1
	v_add3_u32 v174, v176, v183, v174
	s_set_vgpr_msb 64                       ;  msbs: dst=1 src0=0 src1=0 src2=0
	v_and_b32_e32 v20 /*v276*/, 3, v177
	s_set_vgpr_msb 0                        ;  msbs: dst=0 src0=0 src1=0 src2=0
	ds_load_2addr_b32 v[0:1], v0 offset1:1
	s_set_vgpr_msb 64                       ;  msbs: dst=1 src0=0 src1=0 src2=0
	v_bfe_u32 v18 /*v274*/, v177, 8, 2
	v_bfe_u32 v23 /*v279*/, v177, 16, 2
	;; [unrolled: 1-line block ×3, first 2 shown]
	v_and_b32_e32 v26 /*v282*/, 3, v178
	v_bfe_u32 v27 /*v283*/, v178, 8, 2
	v_bfe_u32 v28 /*v284*/, v178, 16, 2
	;; [unrolled: 1-line block ×3, first 2 shown]
	s_set_vgpr_msb 0                        ;  msbs: dst=0 src0=0 src1=0 src2=0
	v_add3_u32 v174, v174, v184, v180
	s_set_vgpr_msb 1                        ;  msbs: dst=0 src0=1 src1=0 src2=0
	v_mul_i32_i24_e32 v176, v28 /*v284*/, v195
	v_mul_i32_i24_e32 v177, v29 /*v285*/, v196
	s_set_vgpr_msb 0                        ;  msbs: dst=0 src0=0 src1=0 src2=0
	v_add3_u32 v174, v174, v179, v181
	s_delay_alu instid0(VALU_DEP_1)
	v_add3_u32 v173, v174, v173, v185
	s_set_vgpr_msb 1                        ;  msbs: dst=0 src0=1 src1=0 src2=0
	v_mul_i32_i24_e32 v174, v23 /*v279*/, v118
	s_wait_dscnt 0x0
	v_dual_ashrrev_i32 v1, s18, v1 :: v_dual_ashrrev_i32 v0, s18, v0
	s_set_vgpr_msb 0                        ;  msbs: dst=0 src0=0 src1=0 src2=0
	v_add3_u32 v173, v173, v186, v175
	s_set_vgpr_msb 1                        ;  msbs: dst=0 src0=1 src1=0 src2=0
	v_mul_i32_i24_e32 v175, v25 /*v281*/, v120
	s_set_vgpr_msb 64                       ;  msbs: dst=1 src0=0 src1=0 src2=0
	v_and_b32_e32 v34 /*v290*/, 3, v1
	v_and_b32_e32 v30 /*v286*/, 3, v0
	v_bfe_u32 v31 /*v287*/, v0, 8, 2
	v_bfe_u32 v35 /*v291*/, v1, 8, 2
	;; [unrolled: 1-line block ×4, first 2 shown]
	s_set_vgpr_msb 1                        ;  msbs: dst=0 src0=1 src1=0 src2=0
	v_mul_i32_i24_e32 v178, v30 /*v286*/, v197
	v_mul_i32_i24_e32 v179, v31 /*v287*/, v198
	s_set_vgpr_msb 64                       ;  msbs: dst=1 src0=0 src1=0 src2=0
	v_bfe_u32 v32 /*v288*/, v0, 16, 2
	v_bfe_u32 v33 /*v289*/, v0, 24, 2
	s_set_vgpr_msb 1                        ;  msbs: dst=0 src0=1 src1=0 src2=0
	v_mul_i32_i24_e32 v181, v34 /*v290*/, v201
	v_mul_i32_i24_e32 v182, v35 /*v291*/, v202
	s_set_vgpr_msb 0x45                     ;  msbs: dst=1 src0=1 src1=1 src2=0
	v_mul_i32_i24_e32 v43 /*v299*/, v36 /*v292*/, v59 /*v315*/
	s_set_vgpr_msb 5                        ;  msbs: dst=0 src0=1 src1=1 src2=0
	v_mul_i32_i24_e32 v180, v32 /*v288*/, v50 /*v306*/
	s_set_vgpr_msb 1                        ;  msbs: dst=0 src0=1 src1=0 src2=0
	v_mul_i32_i24_e32 v0, v33 /*v289*/, v2
	s_set_vgpr_msb 64                       ;  msbs: dst=1 src0=0 src1=0 src2=0
	v_add3_u32 v38 /*v294*/, v173, v187, v188
	s_set_vgpr_msb 1                        ;  msbs: dst=0 src0=1 src1=0 src2=0
	v_mul_i32_i24_e32 v173, v20 /*v276*/, v95
	s_delay_alu instid0(VALU_DEP_1) | instskip(SKIP_1) | instid1(VALU_DEP_1)
	v_mad_i32_i24 v173, v18 /*v274*/, v117, v173
	s_set_vgpr_msb 0                        ;  msbs: dst=0 src0=0 src1=0 src2=0
	v_add3_u32 v173, v173, v174, v175
	s_set_vgpr_msb 1                        ;  msbs: dst=0 src0=1 src1=0 src2=0
	v_mul_i32_i24_e32 v174, v26 /*v282*/, v193
	v_mul_i32_i24_e32 v175, v27 /*v283*/, v194
	s_set_vgpr_msb 0                        ;  msbs: dst=0 src0=0 src1=0 src2=0
	s_delay_alu instid0(VALU_DEP_1) | instskip(NEXT) | instid1(VALU_DEP_1)
	v_add3_u32 v1, v173, v174, v175
	v_add3_u32 v1, v1, v176, v177
	s_delay_alu instid0(VALU_DEP_1) | instskip(NEXT) | instid1(VALU_DEP_1)
	v_add3_u32 v1, v1, v178, v179
	v_add3_u32 v0, v1, v180, v0
	s_set_vgpr_msb 64                       ;  msbs: dst=1 src0=0 src1=0 src2=0
	s_delay_alu instid0(VALU_DEP_1)
	v_add3_u32 v44 /*v300*/, v0, v181, v182
	s_set_vgpr_msb 0                        ;  msbs: dst=0 src0=0 src1=0 src2=0
	v_add_nc_u32_e32 v0, 0x3180, v172
	ds_load_2addr_b32 v[0:1], v0 offset1:1
	s_wait_dscnt 0x0
	v_ashrrev_i32_e32 v175, s18, v0
	v_add_nc_u32_e32 v0, 0x3188, v172
	v_ashrrev_i32_e32 v179, s18, v1
	s_delay_alu instid0(VALU_DEP_3) | instskip(SKIP_4) | instid1(VALU_DEP_3)
	v_bfe_u32 v174, v175, 24, 2
	ds_load_2addr_b32 v[0:1], v0 offset1:1
	v_bfe_u32 v176, v175, 16, 2
	v_and_b32_e32 v173, 3, v175
	v_mul_i32_i24_e32 v92, v92, v174
	v_mul_i32_i24_e32 v98, v98, v176
	s_delay_alu instid0(VALU_DEP_3)
	v_mul_i32_i24_e32 v90, v90, v173
	s_wait_dscnt 0x0
	v_ashrrev_i32_e32 v183, s18, v0
	v_add_nc_u32_e32 v0, 0x3190, v172
	v_ashrrev_i32_e32 v187, s18, v1
	v_bfe_u32 v177, v179, 8, 2
	v_bfe_u32 v178, v179, 16, 2
	v_and_b32_e32 v180, 3, v183
	ds_load_2addr_b32 v[0:1], v0 offset1:1
	v_bfe_u32 v181, v183, 8, 2
	v_bfe_u32 v182, v183, 16, 2
	v_mul_i32_i24_e32 v104, v178, v104
	v_mul_i32_i24_e32 v105, v180, v105
	v_bfe_u32 v183, v183, 24, 2
	v_mul_i32_i24_e32 v106, v181, v106
	v_mul_i32_i24_e32 v107, v182, v107
	s_delay_alu instid0(VALU_DEP_3)
	v_mul_i32_i24_e32 v112, v183, v112
	s_wait_dscnt 0x0
	v_ashrrev_i32_e32 v191, s18, v0
	v_add_nc_u32_e32 v0, 0x3198, v172
	v_ashrrev_i32_e32 v199, s18, v1
	v_add3_u32 v172, s20, v165, v158
	v_and_b32_e32 v184, 3, v187
	v_bfe_u32 v185, v187, 8, 2
	ds_load_2addr_b32 v[0:1], v0 offset1:1
	v_and_b32_e32 v189, 3, v191
	s_set_vgpr_msb 64                       ;  msbs: dst=1 src0=0 src1=0 src2=0
	ds_load_b32 v78 /*v334*/, v172
	s_set_vgpr_msb 0                        ;  msbs: dst=0 src0=0 src1=0 src2=0
	v_bfe_u32 v172, v175, 8, 2
	v_and_b32_e32 v175, 3, v179
	v_bfe_u32 v179, v179, 24, 2
	v_mul_i32_i24_e32 v113, v184, v113
	v_mul_i32_i24_e32 v114, v185, v114
	;; [unrolled: 1-line block ×5, first 2 shown]
	v_bfe_u32 v186, v187, 16, 2
	v_bfe_u32 v188, v187, 24, 2
	;; [unrolled: 1-line block ×5, first 2 shown]
	s_set_vgpr_msb 64                       ;  msbs: dst=1 src0=0 src1=0 src2=0
	v_mul_i32_i24_e32 v40 /*v296*/, v186, v115
	s_set_vgpr_msb 0                        ;  msbs: dst=0 src0=0 src1=0 src2=0
	v_mad_i32_i24 v99, v177, v101, v99
	s_wait_dscnt 0x1
	v_dual_ashrrev_i32 v1, s18, v1 :: v_dual_ashrrev_i32 v0, s18, v0
	v_and_b32_e32 v192, 3, v199
	s_delay_alu instid0(VALU_DEP_3) | instskip(NEXT) | instid1(VALU_DEP_3)
	v_add3_u32 v93, v99, v104, v93
	v_and_b32_e32 v200, 3, v1
	v_bfe_u32 v203, v1, 24, 2
	s_delay_alu instid0(VALU_DEP_3) | instskip(SKIP_1) | instid1(VALU_DEP_4)
	v_add3_u32 v90, v93, v105, v90
	v_mul_i32_i24_e32 v93, v191, v120
	v_mul_i32_i24_e32 v104, v200, v201
	v_bfe_u32 v201, v1, 8, 2
	s_delay_alu instid0(VALU_DEP_4) | instskip(NEXT) | instid1(VALU_DEP_2)
	v_add3_u32 v90, v90, v96, v98
	v_mul_i32_i24_e32 v105, v201, v202
	v_bfe_u32 v202, v1, 16, 2
	s_delay_alu instid0(VALU_DEP_3) | instskip(SKIP_2) | instid1(VALU_DEP_3)
	v_add3_u32 v90, v90, v92, v106
	v_mul_i32_i24_e32 v92, v190, v118
	s_set_vgpr_msb 0x44                     ;  msbs: dst=1 src0=0 src1=1 src2=0
	v_mul_i32_i24_e32 v47 /*v303*/, v202, v59 /*v315*/
	s_set_vgpr_msb 0                        ;  msbs: dst=0 src0=0 src1=0 src2=0
	v_add3_u32 v90, v90, v107, v112
	s_set_vgpr_msb 64                       ;  msbs: dst=1 src0=0 src1=0 src2=0
	s_delay_alu instid0(VALU_DEP_1) | instskip(SKIP_2) | instid1(VALU_DEP_1)
	v_add3_u32 v42 /*v298*/, v90, v113, v114
	s_set_vgpr_msb 0                        ;  msbs: dst=0 src0=0 src1=0 src2=0
	v_mul_i32_i24_e32 v90, v189, v95
	v_mad_i32_i24 v90, v187, v117, v90
	s_delay_alu instid0(VALU_DEP_1) | instskip(SKIP_2) | instid1(VALU_DEP_1)
	v_add3_u32 v90, v90, v92, v93
	v_mul_i32_i24_e32 v92, v192, v193
	v_bfe_u32 v193, v199, 8, 2
	v_mul_i32_i24_e32 v93, v193, v194
	v_bfe_u32 v194, v199, 16, 2
	s_delay_alu instid0(VALU_DEP_2) | instskip(NEXT) | instid1(VALU_DEP_2)
	v_add3_u32 v1, v90, v92, v93
	v_mul_i32_i24_e32 v95, v194, v195
	v_bfe_u32 v195, v199, 24, 2
	v_bfe_u32 v199, v0, 24, 2
	s_delay_alu instid0(VALU_DEP_2) | instskip(SKIP_1) | instid1(VALU_DEP_2)
	v_mul_i32_i24_e32 v96, v195, v196
	v_and_b32_e32 v196, 3, v0
	v_add3_u32 v1, v1, v95, v96
	s_delay_alu instid0(VALU_DEP_2) | instskip(SKIP_1) | instid1(VALU_DEP_1)
	v_mul_i32_i24_e32 v98, v196, v197
	v_bfe_u32 v197, v0, 8, 2
	v_mul_i32_i24_e32 v99, v197, v198
	v_bfe_u32 v198, v0, 16, 2
	v_mul_i32_i24_e32 v0, v199, v2
	s_delay_alu instid0(VALU_DEP_3) | instskip(SKIP_1) | instid1(VALU_DEP_3)
	v_add3_u32 v1, v1, v98, v99
	s_set_vgpr_msb 4                        ;  msbs: dst=0 src0=0 src1=1 src2=0
	v_mul_i32_i24_e32 v101, v198, v50 /*v306*/
	s_set_vgpr_msb 0x55                     ;  msbs: dst=1 src0=1 src1=1 src2=1
	v_add3_u32 v50 /*v306*/, v60 /*v316*/, v50 /*v306*/, v59 /*v315*/
	s_set_vgpr_msb 0                        ;  msbs: dst=0 src0=0 src1=0 src2=0
	s_delay_alu instid0(VALU_DEP_2) | instskip(SKIP_1) | instid1(VALU_DEP_1)
	v_add3_u32 v0, v1, v101, v0
	s_set_vgpr_msb 64                       ;  msbs: dst=1 src0=0 src1=0 src2=0
	v_add3_u32 v48 /*v304*/, v0, v104, v105
	s_set_vgpr_msb 0                        ;  msbs: dst=0 src0=0 src1=0 src2=0
	v_or_b32_e32 v0, s17, v146
	s_delay_alu instid0(VALU_DEP_1)
	v_dual_lshlrev_b32 v1, 2, v0 :: v_dual_lshrrev_b32 v0, 1, v0
	ds_load_b32 v90, v0 offset:30368
	ds_load_b128 v[104:107], v1 offset:16896
	ds_load_b128 v[112:115], v1 offset:16912
	s_wait_dscnt 0x1
	v_bfe_i32 v120, v107, 0, 8
	s_set_vgpr_msb 64                       ;  msbs: dst=1 src0=0 src1=0 src2=0
	v_bfe_i32 v66 /*v322*/, v107, 8, 8
	v_bfe_i32 v67 /*v323*/, v107, 16, 8
	v_ashrrev_i32_e32 v79 /*v335*/, 24, v107
	s_wait_dscnt 0x0
	v_bfe_i32 v68 /*v324*/, v112, 0, 8
	v_bfe_i32 v72 /*v328*/, v113, 0, 8
	v_bfe_i32 v69 /*v325*/, v112, 8, 8
	v_bfe_i32 v73 /*v329*/, v113, 8, 8
	v_bfe_i32 v76 /*v332*/, v114, 0, 8
	v_bfe_i32 v89 /*v345*/, v115, 0, 8
	s_set_vgpr_msb 5                        ;  msbs: dst=0 src0=1 src1=1 src2=0
	v_add_nc_u32_e32 v107, v72 /*v328*/, v68 /*v324*/
	s_set_vgpr_msb 0                        ;  msbs: dst=0 src0=0 src1=0 src2=0
	v_dual_ashrrev_i32 v93, 24, v104 :: v_dual_ashrrev_i32 v99, 24, v105
	s_set_vgpr_msb 0x54                     ;  msbs: dst=1 src0=0 src1=1 src2=1
	v_bfe_i32 v81 /*v337*/, v114, 8, 8
	v_bfe_i32 v90 /*v346*/, v115, 8, 8
	v_add3_u32 v83 /*v339*/, v107, v76 /*v332*/, v89 /*v345*/
	s_set_vgpr_msb 5                        ;  msbs: dst=0 src0=1 src1=1 src2=0
	v_add_nc_u32_e32 v107, v73 /*v329*/, v69 /*v325*/
	s_set_vgpr_msb 0                        ;  msbs: dst=0 src0=0 src1=0 src2=0
	v_bfe_i32 v92, v104, 16, 8
	v_bfe_i32 v98, v105, 16, 8
	v_bfe_i32 v101, v106, 0, 8
	v_bfe_i32 v117, v106, 8, 8
	v_bfe_i32 v118, v106, 16, 8
	v_ashrrev_i32_e32 v106, 24, v106
	s_set_vgpr_msb 0x54                     ;  msbs: dst=1 src0=0 src1=1 src2=1
	v_add3_u32 v80 /*v336*/, v107, v81 /*v337*/, v90 /*v346*/
	s_set_vgpr_msb 0                        ;  msbs: dst=0 src0=0 src1=0 src2=0
	v_add_nc_u32_e32 v107, v99, v93
	v_bfe_i32 v1, v104, 8, 8
	v_bfe_i32 v96, v105, 8, 8
	;; [unrolled: 1-line block ×4, first 2 shown]
	s_set_vgpr_msb 0x50                     ;  msbs: dst=1 src0=0 src1=0 src2=1
	v_add3_u32 v84 /*v340*/, v107, v106, v79 /*v335*/
	s_set_vgpr_msb 0                        ;  msbs: dst=0 src0=0 src1=0 src2=0
	v_add_nc_u32_e32 v107, v98, v92
	s_set_vgpr_msb 0x50                     ;  msbs: dst=1 src0=0 src1=0 src2=1
	v_bfe_i32 v70 /*v326*/, v112, 16, 8
	v_ashrrev_i32_e32 v71 /*v327*/, 24, v112
	v_bfe_i32 v74 /*v330*/, v113, 16, 8
	v_ashrrev_i32_e32 v75 /*v331*/, 24, v113
	v_add3_u32 v85 /*v341*/, v107, v118, v67 /*v323*/
	s_set_vgpr_msb 0                        ;  msbs: dst=0 src0=0 src1=0 src2=0
	v_add_nc_u32_e32 v107, v96, v1
	v_mul_i32_i24_e32 v112, v224, v92
	v_mul_i32_i24_e32 v113, v127, v93
	s_set_vgpr_msb 0x50                     ;  msbs: dst=1 src0=0 src1=0 src2=1
	v_mul_i32_i24_e32 v52 /*v308*/, v226, v98
	v_mul_i32_i24_e32 v53 /*v309*/, v228, v99
	v_add3_u32 v86 /*v342*/, v107, v117, v66 /*v322*/
	s_set_vgpr_msb 0                        ;  msbs: dst=0 src0=0 src1=0 src2=0
	v_add_nc_u32_e32 v107, v95, v0
	s_set_vgpr_msb 64                       ;  msbs: dst=1 src0=0 src1=0 src2=0
	v_mul_i32_i24_e32 v54 /*v310*/, v230, v101
	v_mul_i32_i24_e32 v55 /*v311*/, v232, v117
	;; [unrolled: 1-line block ×4, first 2 shown]
	v_add3_u32 v87 /*v343*/, v107, v101, v120
	s_set_vgpr_msb 0                        ;  msbs: dst=0 src0=0 src1=0 src2=0
	v_mul_i32_i24_e32 v107, v121, v0
	s_set_vgpr_msb 64                       ;  msbs: dst=1 src0=0 src1=0 src2=0
	v_bfe_i32 v82 /*v338*/, v114, 16, 8
	s_set_vgpr_msb 0                        ;  msbs: dst=0 src0=0 src1=0 src2=0
	v_ashrrev_i32_e32 v114, 24, v114
	s_set_vgpr_msb 64                       ;  msbs: dst=1 src0=0 src1=0 src2=0
	v_mul_i32_i24_e32 v58 /*v314*/, v239, v120
	s_set_vgpr_msb 0x44                     ;  msbs: dst=1 src0=0 src1=1 src2=0
	v_mul_i32_i24_e32 v88 /*v344*/, v241, v66 /*v322*/
	s_set_vgpr_msb 0                        ;  msbs: dst=0 src0=0 src1=0 src2=0
	v_mad_i32_i24 v107, v119, v1, v107
	s_set_vgpr_msb 0x45                     ;  msbs: dst=1 src0=1 src1=1 src2=0
	v_mul_i32_i24_e32 v93 /*v349*/, v22 /*v278*/, v90 /*v346*/
	s_set_vgpr_msb 0x44                     ;  msbs: dst=1 src0=0 src1=1 src2=0
	v_mul_i32_i24_e32 v92 /*v348*/, v244, v67 /*v323*/
	v_bfe_i32 v91 /*v347*/, v115, 16, 8
	s_set_vgpr_msb 5                        ;  msbs: dst=0 src0=1 src1=1 src2=0
	v_dual_add_nc_u32 v104, v75 /*v331*/, v71 /*v327*/ :: v_dual_add_nc_u32 v105, v74 /*v330*/, v70 /*v326*/
	s_set_vgpr_msb 0                        ;  msbs: dst=0 src0=0 src1=0 src2=0
	v_add3_u32 v107, v107, v112, v113
	v_mul_i32_i24_e32 v112, v222, v95
	v_mul_i32_i24_e32 v113, v225, v96
	s_set_vgpr_msb 0x45                     ;  msbs: dst=1 src0=1 src1=1 src2=0
	v_mul_i32_i24_e32 v94 /*v350*/, v24 /*v280*/, v91 /*v347*/
	s_set_vgpr_msb 0x44                     ;  msbs: dst=1 src0=0 src1=1 src2=0
	v_mul_i32_i24_e32 v97 /*v353*/, v216, v66 /*v322*/
	v_mul_i32_i24_e32 v98 /*v354*/, v247, v90 /*v346*/
	s_set_vgpr_msb 0x45                     ;  msbs: dst=1 src0=1 src1=1 src2=0
	v_mul_i32_i24_e32 v101 /*v357*/, v12 /*v268*/, v66 /*v322*/
	s_set_vgpr_msb 0                        ;  msbs: dst=0 src0=0 src1=0 src2=0
	v_add3_u32 v107, v107, v112, v113
	s_set_vgpr_msb 4                        ;  msbs: dst=0 src0=0 src1=1 src2=0
	v_mul_i32_i24_e32 v112, v255, v68 /*v324*/
	s_set_vgpr_msb 5                        ;  msbs: dst=0 src0=1 src1=1 src2=0
	v_mul_i32_i24_e32 v113, v2 /*v258*/, v70 /*v326*/
	s_set_vgpr_msb 0x44                     ;  msbs: dst=1 src0=0 src1=1 src2=0
	v_mul_i32_i24_e32 v99 /*v355*/, v249, v91 /*v347*/
	s_set_vgpr_msb 0x45                     ;  msbs: dst=1 src0=1 src1=1 src2=0
	v_mul_i32_i24_e32 v103 /*v359*/, v36 /*v292*/, v91 /*v347*/
	s_set_vgpr_msb 20                       ;  msbs: dst=0 src0=0 src1=1 src2=1
	v_add3_u32 v107, v107, v52 /*v308*/, v53 /*v309*/
	s_set_vgpr_msb 0x45                     ;  msbs: dst=1 src0=1 src1=1 src2=0
	v_mul_i32_i24_e32 v52 /*v308*/, v4 /*v260*/, v71 /*v327*/
	s_set_vgpr_msb 4                        ;  msbs: dst=0 src0=0 src1=1 src2=0
	v_mad_i32_i24 v112, v251, v69 /*v325*/, v112
	s_set_vgpr_msb 0x45                     ;  msbs: dst=1 src0=1 src1=1 src2=0
	v_mul_i32_i24_e32 v53 /*v309*/, v11 /*v267*/, v74 /*v330*/
	s_set_vgpr_msb 0x44                     ;  msbs: dst=1 src0=0 src1=1 src2=0
	v_mul_i32_i24_e32 v105 /*v361*/, v202, v91 /*v347*/
	s_set_vgpr_msb 20                       ;  msbs: dst=0 src0=0 src1=1 src2=1
	v_add3_u32 v107, v107, v54 /*v310*/, v55 /*v311*/
	s_set_vgpr_msb 0x45                     ;  msbs: dst=1 src0=1 src1=1 src2=0
	v_mul_i32_i24_e32 v54 /*v310*/, v13 /*v269*/, v75 /*v331*/
	s_set_vgpr_msb 16                       ;  msbs: dst=0 src0=0 src1=0 src2=1
	v_add3_u32 v112, v112, v113, v52 /*v308*/
	s_set_vgpr_msb 5                        ;  msbs: dst=0 src0=1 src1=1 src2=0
	v_mul_i32_i24_e32 v113, v6 /*v262*/, v72 /*v328*/
	s_set_vgpr_msb 0x45                     ;  msbs: dst=1 src0=1 src1=1 src2=0
	v_mul_i32_i24_e32 v52 /*v308*/, v9 /*v265*/, v73 /*v329*/
	s_set_vgpr_msb 20                       ;  msbs: dst=0 src0=0 src1=1 src2=1
	v_add3_u32 v107, v107, v56 /*v312*/, v57 /*v313*/
	s_set_vgpr_msb 0x45                     ;  msbs: dst=1 src0=1 src1=1 src2=0
	v_mul_i32_i24_e32 v55 /*v311*/, v15 /*v271*/, v76 /*v332*/
	v_mul_i32_i24_e32 v56 /*v312*/, v16 /*v272*/, v81 /*v337*/
	v_mul_i32_i24_e32 v57 /*v313*/, v17 /*v273*/, v82 /*v338*/
	s_set_vgpr_msb 16                       ;  msbs: dst=0 src0=0 src1=0 src2=1
	v_add3_u32 v112, v112, v113, v52 /*v308*/
	s_set_vgpr_msb 1                        ;  msbs: dst=0 src0=1 src1=0 src2=0
	ds_load_u16 v113, v51 /*v307*/
	s_set_vgpr_msb 20                       ;  msbs: dst=0 src0=0 src1=1 src2=1
	v_add3_u32 v107, v107, v58 /*v314*/, v88 /*v344*/
	s_set_vgpr_msb 0x41                     ;  msbs: dst=1 src0=1 src1=0 src2=0
	v_mul_i32_i24_e32 v58 /*v314*/, v19 /*v275*/, v114
	s_set_vgpr_msb 0x45                     ;  msbs: dst=1 src0=1 src1=1 src2=0
	v_mul_i32_i24_e32 v88 /*v344*/, v21 /*v277*/, v89 /*v345*/
	s_set_vgpr_msb 20                       ;  msbs: dst=0 src0=0 src1=1 src2=1
	v_add3_u32 v112, v112, v53 /*v309*/, v54 /*v310*/
	s_delay_alu instid0(VALU_DEP_1) | instskip(NEXT) | instid1(VALU_DEP_1)
	v_add3_u32 v112, v112, v55 /*v311*/, v56 /*v312*/
	v_add3_u32 v112, v112, v57 /*v313*/, v58 /*v314*/
	s_delay_alu instid0(VALU_DEP_1)
	v_add3_u32 v112, v112, v88 /*v344*/, v93 /*v349*/
	s_wait_dscnt 0x0
	s_set_vgpr_msb 64                       ;  msbs: dst=1 src0=0 src1=0 src2=0
	v_bfe_u32 v53 /*v309*/, v113, 4, 4
	v_lshrrev_b16 v51 /*v307*/, 8, v113
	s_set_vgpr_msb 0                        ;  msbs: dst=0 src0=0 src1=0 src2=0
	v_and_b32_e32 v113, 15, v113
	s_set_vgpr_msb 64                       ;  msbs: dst=1 src0=0 src1=0 src2=0
	v_ashrrev_i32_e32 v88 /*v344*/, 24, v115
	s_set_vgpr_msb 0x44                     ;  msbs: dst=1 src0=0 src1=1 src2=0
	v_mul_lo_u32 v93 /*v349*/, 0x1010101, v53 /*v309*/
	s_set_vgpr_msb 64                       ;  msbs: dst=1 src0=0 src1=0 src2=0
	v_ashrrev_i32_e32 v53 /*v309*/, 24, v3
	s_set_vgpr_msb 0x44                     ;  msbs: dst=1 src0=0 src1=1 src2=0
	v_and_b32_e32 v52 /*v308*/, 0xffff, v51 /*v307*/
	v_and_b32_e32 v51 /*v307*/, 15, v51 /*v307*/
	s_set_vgpr_msb 4                        ;  msbs: dst=0 src0=0 src1=1 src2=0
	v_mul_i32_i24_e32 v3, v116, v79 /*v335*/
	s_set_vgpr_msb 0x51                     ;  msbs: dst=1 src0=1 src1=0 src2=1
	v_and_b32_e32 v57 /*v313*/, 0xffff, v113
	v_add3_u32 v49 /*v305*/, v49 /*v305*/, v2, v53 /*v309*/
	s_set_vgpr_msb 4                        ;  msbs: dst=0 src0=0 src1=1 src2=0
	v_mul_i32_i24_e32 v2, v246, v53 /*v309*/
	s_set_vgpr_msb 0x44                     ;  msbs: dst=1 src0=0 src1=1 src2=0
	v_and_b32_e32 v54 /*v310*/, 0xffff, v51 /*v307*/
	v_lshrrev_b32_e32 v52 /*v308*/, 4, v52 /*v308*/
	s_set_vgpr_msb 4                        ;  msbs: dst=0 src0=0 src1=1 src2=0
	v_add3_u32 v3, v107, v92 /*v348*/, v3
	s_set_vgpr_msb 0x44                     ;  msbs: dst=1 src0=0 src1=1 src2=0
	v_lshrrev_b32_e32 v56 /*v312*/, 24, v93 /*v349*/
	s_set_vgpr_msb 5                        ;  msbs: dst=0 src0=1 src1=1 src2=0
	v_add3_u32 v2, v64 /*v320*/, v63 /*v319*/, v2
	s_set_vgpr_msb 0x50                     ;  msbs: dst=1 src0=0 src1=0 src2=1
	v_add3_u32 v51 /*v307*/, v104, v114, v88 /*v344*/
	s_set_vgpr_msb 0x54                     ;  msbs: dst=1 src0=0 src1=1 src2=1
	v_mul_lo_u32 v107 /*v363*/, 0x1010101, v52 /*v308*/
	v_add3_u32 v52 /*v308*/, v105, v82 /*v338*/, v91 /*v347*/
	s_set_vgpr_msb 0                        ;  msbs: dst=0 src0=0 src1=0 src2=0
	v_mul_i32_i24_e32 v105, v116, v97
	s_set_vgpr_msb 4                        ;  msbs: dst=0 src0=0 src1=1 src2=0
	v_mul_lo_u32 v2, v2, v54 /*v310*/
	v_mul_lo_u32 v3, v3, v57 /*v313*/
	v_mul_i32_i24_e32 v104, v246, v88 /*v344*/
	s_set_vgpr_msb 0                        ;  msbs: dst=0 src0=0 src1=0 src2=0
	v_mul_i32_i24_e32 v107, v204, v93
	s_set_vgpr_msb 5                        ;  msbs: dst=0 src0=1 src1=1 src2=0
	v_add3_u32 v105, v62 /*v318*/, v61 /*v317*/, v105
	s_set_vgpr_msb 0                        ;  msbs: dst=0 src0=0 src1=0 src2=0
	v_mul_i32_i24_e32 v113, v208, v98
	s_set_vgpr_msb 64                       ;  msbs: dst=1 src0=0 src1=0 src2=0
	v_mul_i32_i24_e32 v61 /*v317*/, v210, v99
	s_set_vgpr_msb 4                        ;  msbs: dst=0 src0=0 src1=1 src2=0
	v_add3_u32 v104, v112, v94 /*v350*/, v104
	s_set_vgpr_msb 0                        ;  msbs: dst=0 src0=0 src1=0 src2=0
	v_mul_i32_i24_e32 v112, v207, v96
	s_set_vgpr_msb 64                       ;  msbs: dst=1 src0=0 src1=0 src2=0
	v_mul_i32_i24_e32 v62 /*v318*/, v211, v101
	v_mul_i32_i24_e32 v63 /*v319*/, v212, v117
	s_set_vgpr_msb 4                        ;  msbs: dst=0 src0=0 src1=1 src2=0
	v_mad_u32 v2, v105, v57 /*v313*/, v2
	v_mad_u32 v3, v104, v54 /*v310*/, v3
	s_set_vgpr_msb 64                       ;  msbs: dst=1 src0=0 src1=0 src2=0
	v_mul_i32_i24_e32 v64 /*v320*/, v213, v118
	v_mul_i32_i24_e32 v92 /*v348*/, v214, v106
	;; [unrolled: 1-line block ×3, first 2 shown]
	s_set_vgpr_msb 0x44                     ;  msbs: dst=1 src0=0 src1=1 src2=0
	v_lshrrev_b16 v95 /*v351*/, 8, v93 /*v349*/
	s_set_vgpr_msb 0x41                     ;  msbs: dst=1 src0=1 src1=0 src2=0
	v_bfe_i32 v58 /*v314*/, v107 /*v363*/, 0, 8
	v_bfe_i32 v55 /*v311*/, v107 /*v363*/, 8, 8
	s_set_vgpr_msb 0                        ;  msbs: dst=0 src0=0 src1=0 src2=0
	v_cvt_f32_i32_e32 v105, v2
	v_mul_i32_i24_e32 v2, v125, v0
	v_cvt_f32_i32_e32 v104, v3
	v_mul_i32_i24_e32 v3, v206, v92
	s_set_vgpr_msb 0x44                     ;  msbs: dst=1 src0=0 src1=1 src2=0
	v_mul_i32_i24_e32 v96 /*v352*/, v108, v58 /*v314*/
	s_set_vgpr_msb 5                        ;  msbs: dst=0 src0=1 src1=1 src2=0
	v_mul_i32_i24_e32 v115, v83 /*v339*/, v58 /*v314*/
	s_set_vgpr_msb 0                        ;  msbs: dst=0 src0=0 src1=0 src2=0
	v_mad_i32_i24 v2, v123, v1, v2
	s_set_vgpr_msb 0x45                     ;  msbs: dst=1 src0=1 src1=1 src2=0
	v_mul_i32_i24_e32 v59 /*v315*/, v80 /*v336*/, v55 /*v311*/
	s_set_vgpr_msb 0x44                     ;  msbs: dst=1 src0=0 src1=1 src2=0
	v_mul_i32_i24_e32 v60 /*v316*/, v103, v55 /*v311*/
	s_set_vgpr_msb 0                        ;  msbs: dst=0 src0=0 src1=0 src2=0
	v_add3_u32 v2, v2, v3, v107
	v_mul_i32_i24_e32 v3, v205, v95
	s_set_vgpr_msb 4                        ;  msbs: dst=0 src0=0 src1=1 src2=0
	v_mul_i32_i24_e32 v107, v217, v67 /*v323*/
	s_set_vgpr_msb 0                        ;  msbs: dst=0 src0=0 src1=0 src2=0
	s_delay_alu instid0(VALU_DEP_2) | instskip(SKIP_3) | instid1(VALU_DEP_2)
	v_add3_u32 v2, v2, v3, v112
	s_set_vgpr_msb 4                        ;  msbs: dst=0 src0=0 src1=1 src2=0
	v_mul_i32_i24_e32 v3, v221, v70 /*v326*/
	s_set_vgpr_msb 16                       ;  msbs: dst=0 src0=0 src1=0 src2=1
	v_add3_u32 v2, v2, v113, v61 /*v317*/
	s_set_vgpr_msb 4                        ;  msbs: dst=0 src0=0 src1=1 src2=0
	v_mul_i32_i24_e32 v113, v223, v71 /*v327*/
	s_set_vgpr_msb 0x44                     ;  msbs: dst=1 src0=0 src1=1 src2=0
	v_mul_i32_i24_e32 v61 /*v317*/, v231, v74 /*v330*/
	s_set_vgpr_msb 20                       ;  msbs: dst=0 src0=0 src1=1 src2=1
	v_add3_u32 v2, v2, v62 /*v318*/, v63 /*v319*/
	s_set_vgpr_msb 0x44                     ;  msbs: dst=1 src0=0 src1=1 src2=0
	v_mul_i32_i24_e32 v62 /*v318*/, v233, v75 /*v331*/
	v_mul_i32_i24_e32 v63 /*v319*/, v235, v76 /*v332*/
	s_set_vgpr_msb 20                       ;  msbs: dst=0 src0=0 src1=1 src2=1
	v_add3_u32 v2, v2, v64 /*v320*/, v92 /*v348*/
	s_set_vgpr_msb 0x44                     ;  msbs: dst=1 src0=0 src1=1 src2=0
	v_mul_i32_i24_e32 v64 /*v320*/, v237, v81 /*v337*/
	v_mul_i32_i24_e32 v92 /*v348*/, v240, v82 /*v338*/
	s_set_vgpr_msb 20                       ;  msbs: dst=0 src0=0 src1=1 src2=1
	v_add3_u32 v112, v2, v94 /*v350*/, v97 /*v353*/
	v_mul_i32_i24_e32 v2, v220, v68 /*v324*/
	s_set_vgpr_msb 64                       ;  msbs: dst=1 src0=0 src1=0 src2=0
	v_mul_i32_i24_e32 v94 /*v350*/, v242, v114
	s_set_vgpr_msb 0x44                     ;  msbs: dst=1 src0=0 src1=1 src2=0
	v_mul_i32_i24_e32 v97 /*v353*/, v245, v89 /*v345*/
	s_set_vgpr_msb 4                        ;  msbs: dst=0 src0=0 src1=1 src2=0
	v_mad_i32_i24 v2, v219, v69 /*v325*/, v2
	s_set_vgpr_msb 0                        ;  msbs: dst=0 src0=0 src1=0 src2=0
	s_delay_alu instid0(VALU_DEP_1) | instskip(SKIP_4) | instid1(VALU_DEP_1)
	v_add3_u32 v2, v2, v3, v113
	s_set_vgpr_msb 4                        ;  msbs: dst=0 src0=0 src1=1 src2=0
	v_mul_i32_i24_e32 v3, v227, v72 /*v328*/
	v_mul_i32_i24_e32 v113, v229, v73 /*v329*/
	s_set_vgpr_msb 0                        ;  msbs: dst=0 src0=0 src1=0 src2=0
	v_add3_u32 v2, v2, v3, v113
	v_mul_i32_i24_e32 v3, v252, v92
	v_mul_i32_i24_e32 v113, v248, v93
	s_set_vgpr_msb 20                       ;  msbs: dst=0 src0=0 src1=1 src2=1
	s_delay_alu instid0(VALU_DEP_3)
	v_add3_u32 v2, v2, v61 /*v317*/, v62 /*v318*/
	s_set_vgpr_msb 64                       ;  msbs: dst=1 src0=0 src1=0 src2=0
	v_mul_i32_i24_e32 v61 /*v317*/, v253, v96
	v_mul_i32_i24_e32 v62 /*v318*/, v254, v98
	s_set_vgpr_msb 20                       ;  msbs: dst=0 src0=0 src1=1 src2=1
	v_add3_u32 v2, v2, v63 /*v319*/, v64 /*v320*/
	s_set_vgpr_msb 0x41                     ;  msbs: dst=1 src0=1 src1=0 src2=0
	v_mul_i32_i24_e32 v63 /*v319*/, v0 /*v256*/, v99
	v_mul_i32_i24_e32 v64 /*v320*/, v1 /*v257*/, v101
	s_set_vgpr_msb 20                       ;  msbs: dst=0 src0=0 src1=1 src2=1
	v_add3_u32 v2, v2, v92 /*v348*/, v94 /*v350*/
	s_set_vgpr_msb 0x41                     ;  msbs: dst=1 src0=1 src1=0 src2=0
	v_mul_i32_i24_e32 v92 /*v348*/, v3 /*v259*/, v117
	v_mul_i32_i24_e32 v94 /*v350*/, v5 /*v261*/, v118
	s_set_vgpr_msb 0x54                     ;  msbs: dst=1 src0=0 src1=1 src2=1
	v_add3_u32 v100 /*v356*/, v2, v97 /*v353*/, v98 /*v354*/
	s_set_vgpr_msb 0                        ;  msbs: dst=0 src0=0 src1=0 src2=0
	v_mul_i32_i24_e32 v2, v243, v0
	s_set_vgpr_msb 0x41                     ;  msbs: dst=1 src0=1 src1=0 src2=0
	v_mul_i32_i24_e32 v97 /*v353*/, v7 /*v263*/, v106
	v_mul_i32_i24_e32 v98 /*v354*/, v10 /*v266*/, v120
	s_set_vgpr_msb 0                        ;  msbs: dst=0 src0=0 src1=0 src2=0
	v_mul_i32_i24_e32 v0, v173, v0
	v_mad_i32_i24 v2, v238, v1, v2
	s_delay_alu instid0(VALU_DEP_2) | instskip(SKIP_1) | instid1(VALU_DEP_3)
	v_mad_i32_i24 v0, v172, v1, v0
	v_mul_i32_i24_e32 v1, v175, v95
	v_add3_u32 v2, v2, v3, v113
	v_mul_i32_i24_e32 v3, v250, v95
	v_mul_i32_i24_e32 v95, v181, v117
	s_set_vgpr_msb 5                        ;  msbs: dst=0 src0=1 src1=1 src2=0
	v_mul_i32_i24_e32 v113, v14 /*v270*/, v67 /*v323*/
	s_set_vgpr_msb 16                       ;  msbs: dst=0 src0=0 src1=0 src2=1
	v_add3_u32 v2, v2, v3, v61 /*v317*/
	s_set_vgpr_msb 5                        ;  msbs: dst=0 src0=1 src1=1 src2=0
	v_mul_i32_i24_e32 v3, v23 /*v279*/, v70 /*v326*/
	s_set_vgpr_msb 0x45                     ;  msbs: dst=1 src0=1 src1=1 src2=0
	v_mul_i32_i24_e32 v61 /*v317*/, v25 /*v281*/, v71 /*v327*/
	s_set_vgpr_msb 20                       ;  msbs: dst=0 src0=0 src1=1 src2=1
	v_add3_u32 v2, v2, v62 /*v318*/, v63 /*v319*/
	s_set_vgpr_msb 0x45                     ;  msbs: dst=1 src0=1 src1=1 src2=0
	v_mul_i32_i24_e32 v62 /*v318*/, v28 /*v284*/, v74 /*v330*/
	v_mul_i32_i24_e32 v63 /*v319*/, v29 /*v285*/, v75 /*v331*/
	s_set_vgpr_msb 20                       ;  msbs: dst=0 src0=0 src1=1 src2=1
	v_add3_u32 v2, v2, v64 /*v320*/, v92 /*v348*/
	s_set_vgpr_msb 0x45                     ;  msbs: dst=1 src0=1 src1=1 src2=0
	v_mul_i32_i24_e32 v64 /*v320*/, v30 /*v286*/, v76 /*v332*/
	;; [unrolled: 5-line block ×3, first 2 shown]
	s_set_vgpr_msb 0x41                     ;  msbs: dst=1 src0=1 src1=0 src2=0
	v_mul_i32_i24_e32 v97 /*v353*/, v33 /*v289*/, v114
	s_set_vgpr_msb 0x54                     ;  msbs: dst=1 src0=0 src1=1 src2=1
	v_add3_u32 v125 /*v381*/, v2, v98 /*v354*/, v101 /*v357*/
	s_set_vgpr_msb 5                        ;  msbs: dst=0 src0=1 src1=1 src2=0
	v_mul_i32_i24_e32 v2, v20 /*v276*/, v68 /*v324*/
	s_set_vgpr_msb 0x45                     ;  msbs: dst=1 src0=1 src1=1 src2=0
	v_mul_i32_i24_e32 v98 /*v354*/, v34 /*v290*/, v89 /*v345*/
	v_mul_i32_i24_e32 v101 /*v357*/, v35 /*v291*/, v90 /*v346*/
	s_set_vgpr_msb 5                        ;  msbs: dst=0 src0=1 src1=1 src2=0
	v_mad_i32_i24 v2, v18 /*v274*/, v69 /*v325*/, v2
	s_set_vgpr_msb 16                       ;  msbs: dst=0 src0=0 src1=0 src2=1
	s_delay_alu instid0(VALU_DEP_1)
	v_add3_u32 v2, v2, v3, v61 /*v317*/
	s_set_vgpr_msb 5                        ;  msbs: dst=0 src0=1 src1=1 src2=0
	v_mul_i32_i24_e32 v3, v26 /*v282*/, v72 /*v328*/
	s_set_vgpr_msb 0x45                     ;  msbs: dst=1 src0=1 src1=1 src2=0
	v_mul_i32_i24_e32 v61 /*v317*/, v27 /*v283*/, v73 /*v329*/
	s_set_vgpr_msb 16                       ;  msbs: dst=0 src0=0 src1=0 src2=1
	s_delay_alu instid0(VALU_DEP_1)
	v_add3_u32 v2, v2, v3, v61 /*v317*/
	v_mul_i32_i24_e32 v3, v174, v93
	v_mul_i32_i24_e32 v93, v180, v101
	s_set_vgpr_msb 20                       ;  msbs: dst=0 src0=0 src1=1 src2=1
	v_mul_i32_i24_e32 v101, v185, v66 /*v322*/
	v_add3_u32 v2, v2, v62 /*v318*/, v63 /*v319*/
	s_delay_alu instid0(VALU_DEP_1) | instskip(NEXT) | instid1(VALU_DEP_1)
	v_add3_u32 v2, v2, v64 /*v320*/, v92 /*v348*/
	v_add3_u32 v2, v2, v94 /*v350*/, v97 /*v353*/
	s_set_vgpr_msb 0x54                     ;  msbs: dst=1 src0=0 src1=1 src2=1
	s_delay_alu instid0(VALU_DEP_1)
	v_add3_u32 v92 /*v348*/, v2, v98 /*v354*/, v101 /*v357*/
	s_set_vgpr_msb 0                        ;  msbs: dst=0 src0=0 src1=0 src2=0
	v_mul_i32_i24_e32 v2, v176, v92
	v_mul_i32_i24_e32 v92, v179, v99
	;; [unrolled: 1-line block ×3, first 2 shown]
	s_set_vgpr_msb 0x44                     ;  msbs: dst=1 src0=0 src1=1 src2=0
	v_mul_i32_i24_e32 v101 /*v357*/, v186, v67 /*v323*/
	s_set_vgpr_msb 0                        ;  msbs: dst=0 src0=0 src1=0 src2=0
	v_add3_u32 v0, v0, v2, v3
	v_mul_i32_i24_e32 v2, v177, v96
	v_mul_i32_i24_e32 v3, v178, v98
	;; [unrolled: 1-line block ×4, first 2 shown]
	s_delay_alu instid0(VALU_DEP_4)
	v_add3_u32 v0, v0, v1, v2
	s_set_vgpr_msb 4                        ;  msbs: dst=0 src0=0 src1=1 src2=0
	v_mul_i32_i24_e32 v1, v190, v70 /*v326*/
	v_mul_i32_i24_e32 v2, v191, v71 /*v327*/
	s_set_vgpr_msb 0x41                     ;  msbs: dst=1 src0=1 src1=0 src2=0
	v_bfe_i32 v70 /*v326*/, v95 /*v351*/, 0, 8
	s_set_vgpr_msb 0                        ;  msbs: dst=0 src0=0 src1=0 src2=0
	v_add3_u32 v0, v0, v3, v92
	s_set_vgpr_msb 4                        ;  msbs: dst=0 src0=0 src1=1 src2=0
	v_mul_i32_i24_e32 v3, v194, v74 /*v330*/
	v_mul_i32_i24_e32 v92, v195, v75 /*v331*/
	s_set_vgpr_msb 0                        ;  msbs: dst=0 src0=0 src1=0 src2=0
	v_add3_u32 v0, v0, v93, v95
	s_set_vgpr_msb 4                        ;  msbs: dst=0 src0=0 src1=1 src2=0
	v_mul_i32_i24_e32 v93, v196, v76 /*v332*/
	v_mul_i32_i24_e32 v95, v197, v81 /*v337*/
	s_set_vgpr_msb 0                        ;  msbs: dst=0 src0=0 src1=0 src2=0
	v_add3_u32 v0, v0, v96, v98
	s_set_vgpr_msb 4                        ;  msbs: dst=0 src0=0 src1=1 src2=0
	v_mul_i32_i24_e32 v96, v198, v82 /*v338*/
	s_set_vgpr_msb 0                        ;  msbs: dst=0 src0=0 src1=0 src2=0
	v_mul_i32_i24_e32 v98, v199, v114
	s_set_vgpr_msb 64                       ;  msbs: dst=1 src0=0 src1=0 src2=0
	v_add3_u32 v102 /*v358*/, v0, v99, v101
	s_set_vgpr_msb 4                        ;  msbs: dst=0 src0=0 src1=1 src2=0
	v_mul_i32_i24_e32 v0, v189, v68 /*v324*/
	v_mul_i32_i24_e32 v99, v200, v89 /*v345*/
	;; [unrolled: 1-line block ×3, first 2 shown]
	s_delay_alu instid0(VALU_DEP_3) | instskip(SKIP_1) | instid1(VALU_DEP_1)
	v_mad_i32_i24 v0, v187, v69 /*v325*/, v0
	s_set_vgpr_msb 0                        ;  msbs: dst=0 src0=0 src1=0 src2=0
	v_add3_u32 v0, v0, v1, v2
	s_set_vgpr_msb 4                        ;  msbs: dst=0 src0=0 src1=1 src2=0
	v_mul_i32_i24_e32 v1, v192, v72 /*v328*/
	v_mul_i32_i24_e32 v2, v193, v73 /*v329*/
	s_set_vgpr_msb 0x41                     ;  msbs: dst=1 src0=1 src1=0 src2=0
	v_bfe_i32 v72 /*v328*/, v93 /*v349*/, 0, 8
	v_bfe_i32 v73 /*v329*/, v93 /*v349*/, 16, 8
	s_set_vgpr_msb 0                        ;  msbs: dst=0 src0=0 src1=0 src2=0
	v_add3_u32 v0, v0, v1, v2
	s_set_vgpr_msb 4                        ;  msbs: dst=0 src0=0 src1=1 src2=0
	s_delay_alu instid0(VALU_DEP_2) | instskip(SKIP_1) | instid1(VALU_DEP_2)
	v_mul_i32_i24_e32 v2, v111, v73 /*v329*/
	s_set_vgpr_msb 0                        ;  msbs: dst=0 src0=0 src1=0 src2=0
	v_add3_u32 v0, v0, v3, v92
	s_set_vgpr_msb 4                        ;  msbs: dst=0 src0=0 src1=1 src2=0
	v_mul_i32_i24_e32 v3, v124, v72 /*v328*/
	s_set_vgpr_msb 0                        ;  msbs: dst=0 src0=0 src1=0 src2=0
	s_delay_alu instid0(VALU_DEP_2) | instskip(SKIP_1) | instid1(VALU_DEP_2)
	v_add3_u32 v0, v0, v93, v95
	s_set_vgpr_msb 4                        ;  msbs: dst=0 src0=0 src1=1 src2=0
	v_mad_i32_i24 v3, v122, v70 /*v326*/, v3
	s_set_vgpr_msb 5                        ;  msbs: dst=0 src0=1 src1=1 src2=0
	v_mul_i32_i24_e32 v93, v87 /*v343*/, v72 /*v328*/
	s_set_vgpr_msb 0                        ;  msbs: dst=0 src0=0 src1=0 src2=0
	v_add3_u32 v0, v0, v96, v98
	s_set_vgpr_msb 5                        ;  msbs: dst=0 src0=1 src1=1 src2=0
	s_delay_alu instid0(VALU_DEP_2) | instskip(SKIP_1) | instid1(VALU_DEP_2)
	v_mad_i32_i24 v93, v86 /*v342*/, v70 /*v326*/, v93
	s_set_vgpr_msb 64                       ;  msbs: dst=1 src0=0 src1=0 src2=0
	v_add3_u32 v106 /*v362*/, v0, v99, v101
	s_set_vgpr_msb 0                        ;  msbs: dst=0 src0=0 src1=0 src2=0
	v_or_b32_e32 v0, s17, v147
	s_delay_alu instid0(VALU_DEP_1) | instskip(SKIP_4) | instid1(VALU_DEP_1)
	v_dual_lshlrev_b32 v1, 2, v0 :: v_dual_lshrrev_b32 v0, 1, v0
	ds_load_b32 v92, v0 offset:30368
	s_set_vgpr_msb 4                        ;  msbs: dst=0 src0=0 src1=1 src2=0
	v_mul_i32_i24_e32 v0, v110, v56 /*v312*/
	s_set_vgpr_msb 0                        ;  msbs: dst=0 src0=0 src1=0 src2=0
	v_add3_u32 v0, v3, v2, v0
	s_set_vgpr_msb 5                        ;  msbs: dst=0 src0=1 src1=1 src2=0
	v_mul_i32_i24_e32 v2, v84 /*v340*/, v56 /*v312*/
	v_mul_i32_i24_e32 v3, v85 /*v341*/, v73 /*v329*/
	s_set_vgpr_msb 20                       ;  msbs: dst=0 src0=0 src1=1 src2=1
	v_add3_u32 v117, v0, v96 /*v352*/, v60 /*v316*/
	s_set_vgpr_msb 0                        ;  msbs: dst=0 src0=0 src1=0 src2=0
	s_delay_alu instid0(VALU_DEP_2) | instskip(SKIP_1) | instid1(VALU_DEP_1)
	v_add3_u32 v2, v93, v3, v2
	s_set_vgpr_msb 16                       ;  msbs: dst=0 src0=0 src1=0 src2=1
	v_add3_u32 v115, v2, v115, v59 /*v315*/
	s_set_vgpr_msb 64                       ;  msbs: dst=1 src0=0 src1=0 src2=0
	ds_load_b128 v[60:63] /*v[316:319]*/, v1 offset:16896
	s_set_vgpr_msb 4                        ;  msbs: dst=0 src0=0 src1=1 src2=0
	ds_load_b128 v[0:3], v1 offset:16912
	s_wait_dscnt 0x1
	v_lshrrev_b16 v93, 8, v60 /*v316*/
	v_lshrrev_b16 v95, 8, v61 /*v317*/
	;; [unrolled: 1-line block ×4, first 2 shown]
	s_set_vgpr_msb 1                        ;  msbs: dst=0 src0=1 src1=0 src2=0
	v_bfe_i32 v99, v60 /*v316*/, 0, 8
	s_set_vgpr_msb 0                        ;  msbs: dst=0 src0=0 src1=0 src2=0
	v_bfe_i32 v114, v93, 0, 8
	v_bfe_i32 v95, v95, 0, 8
	s_set_vgpr_msb 1                        ;  msbs: dst=0 src0=1 src1=0 src2=0
	v_bfe_i32 v101, v60 /*v316*/, 16, 8
	s_set_vgpr_msb 4                        ;  msbs: dst=0 src0=0 src1=1 src2=0
	v_ashrrev_i32_e32 v106, 24, v60 /*v316*/
	s_set_vgpr_msb 1                        ;  msbs: dst=0 src0=1 src1=0 src2=0
	v_bfe_i32 v120, v61 /*v317*/, 16, 8
	s_set_vgpr_msb 0x44                     ;  msbs: dst=1 src0=0 src1=1 src2=0
	v_ashrrev_i32_e32 v68 /*v324*/, 24, v61 /*v317*/
	s_set_vgpr_msb 0                        ;  msbs: dst=0 src0=0 src1=0 src2=0
	v_bfe_i32 v96, v96, 0, 8
	v_bfe_i32 v98, v98, 0, 8
	v_add_nc_u32_e32 v93, v95, v114
	s_set_vgpr_msb 0x44                     ;  msbs: dst=1 src0=0 src1=1 src2=0
	v_dual_ashrrev_i32 v69 /*v325*/, 24, v62 /*v318*/ :: v_dual_ashrrev_i32 v113 /*v369*/, 24, v63 /*v319*/
	s_set_vgpr_msb 0x41                     ;  msbs: dst=1 src0=1 src1=0 src2=0
	v_bfe_i32 v75 /*v331*/, v62 /*v318*/, 16, 8
	v_bfe_i32 v81 /*v337*/, v63 /*v319*/, 16, 8
	v_add_nc_u32_e32 v59 /*v315*/, v68 /*v324*/, v106
	s_set_vgpr_msb 64                       ;  msbs: dst=1 src0=0 src1=0 src2=0
	v_add_nc_u32_e32 v60 /*v316*/, v120, v101
	v_add3_u32 v111 /*v367*/, v93, v96, v98
	s_set_vgpr_msb 0                        ;  msbs: dst=0 src0=0 src1=0 src2=0
	v_mul_i32_i24_e32 v93, v99, v121
	s_set_vgpr_msb 1                        ;  msbs: dst=0 src0=1 src1=0 src2=0
	v_bfe_i32 v118, v61 /*v317*/, 0, 8
	s_set_vgpr_msb 0x55                     ;  msbs: dst=1 src0=1 src1=1 src2=1
	v_add3_u32 v112 /*v368*/, v59 /*v315*/, v69 /*v325*/, v113 /*v369*/
	v_add3_u32 v110 /*v366*/, v60 /*v316*/, v75 /*v331*/, v81 /*v337*/
	s_set_vgpr_msb 64                       ;  msbs: dst=1 src0=0 src1=0 src2=0
	v_mul_i32_i24_e32 v59 /*v315*/, v101, v224
	v_mul_i32_i24_e32 v60 /*v316*/, v106, v127
	s_set_vgpr_msb 0                        ;  msbs: dst=0 src0=0 src1=0 src2=0
	v_mad_i32_i24 v93, v114, v119, v93
	s_set_vgpr_msb 0x41                     ;  msbs: dst=1 src0=1 src1=0 src2=0
	v_bfe_i32 v76 /*v332*/, v62 /*v318*/, 0, 8
	v_bfe_i32 v82 /*v338*/, v63 /*v319*/, 0, 8
	s_set_vgpr_msb 64                       ;  msbs: dst=1 src0=0 src1=0 src2=0
	v_add_nc_u32_e32 v61 /*v317*/, v118, v99
	s_set_vgpr_msb 0x44                     ;  msbs: dst=1 src0=0 src1=1 src2=0
	v_mul_i32_i24_e32 v62 /*v318*/, v228, v68 /*v324*/
	s_set_vgpr_msb 20                       ;  msbs: dst=0 src0=0 src1=1 src2=1
	v_add3_u32 v93, v93, v59 /*v315*/, v60 /*v316*/
	s_set_vgpr_msb 64                       ;  msbs: dst=1 src0=0 src1=0 src2=0
	v_mul_i32_i24_e32 v59 /*v315*/, v222, v118
	v_mul_i32_i24_e32 v60 /*v316*/, v225, v95
	s_set_vgpr_msb 0x55                     ;  msbs: dst=1 src0=1 src1=1 src2=1
	v_add3_u32 v109 /*v365*/, v61 /*v317*/, v76 /*v332*/, v82 /*v338*/
	s_set_vgpr_msb 64                       ;  msbs: dst=1 src0=0 src1=0 src2=0
	v_mul_i32_i24_e32 v61 /*v317*/, v226, v120
	s_set_vgpr_msb 0x44                     ;  msbs: dst=1 src0=0 src1=1 src2=0
	v_mul_i32_i24_e32 v63 /*v319*/, v230, v76 /*v332*/
	s_set_vgpr_msb 64                       ;  msbs: dst=1 src0=0 src1=0 src2=0
	v_mul_i32_i24_e32 v64 /*v320*/, v232, v96
	s_set_vgpr_msb 20                       ;  msbs: dst=0 src0=0 src1=1 src2=1
	v_add3_u32 v93, v93, v59 /*v315*/, v60 /*v316*/
	s_set_vgpr_msb 0x44                     ;  msbs: dst=1 src0=0 src1=1 src2=0
	v_mul_i32_i24_e32 v66 /*v322*/, v234, v75 /*v331*/
	v_mul_i32_i24_e32 v67 /*v323*/, v236, v69 /*v325*/
	;; [unrolled: 1-line block ×3, first 2 shown]
	s_set_vgpr_msb 64                       ;  msbs: dst=1 src0=0 src1=0 src2=0
	v_mul_i32_i24_e32 v74 /*v330*/, v241, v98
	s_set_vgpr_msb 20                       ;  msbs: dst=0 src0=0 src1=1 src2=1
	v_add3_u32 v93, v93, v61 /*v317*/, v62 /*v318*/
	s_set_vgpr_msb 0x44                     ;  msbs: dst=1 src0=0 src1=1 src2=0
	v_mul_i32_i24_e32 v89 /*v345*/, v244, v81 /*v337*/
	v_mul_i32_i24_e32 v90 /*v346*/, v116, v113 /*v369*/
	s_set_vgpr_msb 64                       ;  msbs: dst=1 src0=0 src1=0 src2=0
	v_mul_i32_i24_e32 v59 /*v315*/, v101, v206
	v_mul_i32_i24_e32 v60 /*v316*/, v106, v204
	s_set_vgpr_msb 20                       ;  msbs: dst=0 src0=0 src1=1 src2=1
	v_add3_u32 v93, v93, v63 /*v319*/, v64 /*v320*/
	s_set_vgpr_msb 64                       ;  msbs: dst=1 src0=0 src1=0 src2=0
	v_mul_i32_i24_e32 v61 /*v317*/, v208, v120
	s_set_vgpr_msb 0x44                     ;  msbs: dst=1 src0=0 src1=1 src2=0
	v_mul_i32_i24_e32 v62 /*v318*/, v210, v68 /*v324*/
	v_mul_i32_i24_e32 v63 /*v319*/, v211, v76 /*v332*/
	s_set_vgpr_msb 64                       ;  msbs: dst=1 src0=0 src1=0 src2=0
	v_mul_i32_i24_e32 v64 /*v320*/, v212, v96
	s_set_vgpr_msb 20                       ;  msbs: dst=0 src0=0 src1=1 src2=1
	v_add3_u32 v93, v93, v66 /*v322*/, v67 /*v323*/
	s_set_vgpr_msb 0x44                     ;  msbs: dst=1 src0=0 src1=1 src2=0
	v_mul_i32_i24_e32 v66 /*v322*/, v213, v75 /*v331*/
	v_mul_i32_i24_e32 v67 /*v323*/, v214, v69 /*v325*/
	;; [unrolled: 1-line block ×3, first 2 shown]
	s_wait_dscnt 0x0
	v_bfe_i32 v181 /*v437*/, v3, 0, 8
	s_set_vgpr_msb 20                       ;  msbs: dst=0 src0=0 src1=1 src2=1
	v_add3_u32 v93, v93, v71 /*v327*/, v74 /*v330*/
	s_set_vgpr_msb 0x44                     ;  msbs: dst=1 src0=0 src1=1 src2=0
	v_mul_i32_i24_e32 v71 /*v327*/, v215, v82 /*v338*/
	s_set_vgpr_msb 64                       ;  msbs: dst=1 src0=0 src1=0 src2=0
	v_mul_i32_i24_e32 v74 /*v330*/, v216, v98
	s_set_vgpr_msb 0x45                     ;  msbs: dst=1 src0=1 src1=1 src2=0
	v_mul_i32_i24_e32 v129 /*v385*/, v111 /*v367*/, v70 /*v326*/
	v_mul_i32_i24_e32 v191 /*v447*/, v21 /*v277*/, v181 /*v437*/
	s_set_vgpr_msb 20                       ;  msbs: dst=0 src0=0 src1=1 src2=1
	v_add3_u32 v93, v93, v89 /*v345*/, v90 /*v346*/
	s_set_vgpr_msb 0x45                     ;  msbs: dst=1 src0=1 src1=1 src2=0
	v_mul_i32_i24_e32 v90 /*v346*/, v14 /*v270*/, v81 /*v337*/
	s_set_vgpr_msb 0x44                     ;  msbs: dst=1 src0=0 src1=1 src2=0
	v_mul_i32_i24_e32 v89 /*v345*/, v217, v81 /*v337*/
	v_mul_i32_i24_e32 v195 /*v451*/, v245, v181 /*v437*/
	v_mul_lo_u32 v127 /*v383*/, v93, v57 /*v313*/
	s_set_vgpr_msb 0                        ;  msbs: dst=0 src0=0 src1=0 src2=0
	v_mul_i32_i24_e32 v93, v99, v125
	s_delay_alu instid0(VALU_DEP_1) | instskip(SKIP_1) | instid1(VALU_DEP_1)
	v_mad_i32_i24 v93, v114, v123, v93
	s_set_vgpr_msb 20                       ;  msbs: dst=0 src0=0 src1=1 src2=1
	v_add3_u32 v93, v93, v59 /*v315*/, v60 /*v316*/
	s_set_vgpr_msb 64                       ;  msbs: dst=1 src0=0 src1=0 src2=0
	v_mul_i32_i24_e32 v59 /*v315*/, v205, v118
	v_mul_i32_i24_e32 v60 /*v316*/, v207, v95
	s_set_vgpr_msb 20                       ;  msbs: dst=0 src0=0 src1=1 src2=1
	s_delay_alu instid0(VALU_DEP_1)
	v_add3_u32 v93, v93, v59 /*v315*/, v60 /*v316*/
	s_set_vgpr_msb 64                       ;  msbs: dst=1 src0=0 src1=0 src2=0
	v_mul_i32_i24_e32 v59 /*v315*/, v101, v252
	v_mul_i32_i24_e32 v60 /*v316*/, v106, v248
	s_set_vgpr_msb 0                        ;  msbs: dst=0 src0=0 src1=0 src2=0
	v_mul_i32_i24_e32 v101, v101, v176
	v_mul_i32_i24_e32 v106, v106, v174
	s_set_vgpr_msb 20                       ;  msbs: dst=0 src0=0 src1=1 src2=1
	v_add3_u32 v93, v93, v61 /*v317*/, v62 /*v318*/
	s_set_vgpr_msb 64                       ;  msbs: dst=1 src0=0 src1=0 src2=0
	v_mul_i32_i24_e32 v61 /*v317*/, v254, v120
	s_set_vgpr_msb 0x45                     ;  msbs: dst=1 src0=1 src1=1 src2=0
	v_mul_i32_i24_e32 v62 /*v318*/, v0 /*v256*/, v68 /*v324*/
	s_set_vgpr_msb 20                       ;  msbs: dst=0 src0=0 src1=1 src2=1
	v_add3_u32 v93, v93, v63 /*v319*/, v64 /*v320*/
	s_set_vgpr_msb 0x45                     ;  msbs: dst=1 src0=1 src1=1 src2=0
	v_mul_i32_i24_e32 v63 /*v319*/, v1 /*v257*/, v76 /*v332*/
	s_set_vgpr_msb 0x41                     ;  msbs: dst=1 src0=1 src1=0 src2=0
	v_mul_i32_i24_e32 v64 /*v320*/, v3 /*v259*/, v96
	s_set_vgpr_msb 0                        ;  msbs: dst=0 src0=0 src1=0 src2=0
	v_mul_i32_i24_e32 v96, v181, v96
	s_set_vgpr_msb 20                       ;  msbs: dst=0 src0=0 src1=1 src2=1
	v_add3_u32 v93, v93, v66 /*v322*/, v67 /*v323*/
	s_set_vgpr_msb 0x45                     ;  msbs: dst=1 src0=1 src1=1 src2=0
	v_mul_i32_i24_e32 v66 /*v322*/, v5 /*v261*/, v75 /*v331*/
	v_mul_i32_i24_e32 v67 /*v323*/, v7 /*v263*/, v69 /*v325*/
	s_set_vgpr_msb 0x54                     ;  msbs: dst=1 src0=0 src1=1 src2=1
	v_add3_u32 v108 /*v364*/, v93, v71 /*v327*/, v74 /*v330*/
	s_set_vgpr_msb 0                        ;  msbs: dst=0 src0=0 src1=0 src2=0
	v_mul_i32_i24_e32 v93, v99, v243
	v_mul_i32_i24_e32 v99, v99, v173
	s_set_vgpr_msb 0x45                     ;  msbs: dst=1 src0=1 src1=1 src2=0
	v_mul_i32_i24_e32 v71 /*v327*/, v10 /*v266*/, v82 /*v338*/
	s_set_vgpr_msb 0x41                     ;  msbs: dst=1 src0=1 src1=0 src2=0
	v_mul_i32_i24_e32 v74 /*v330*/, v12 /*v268*/, v98
	s_set_vgpr_msb 0                        ;  msbs: dst=0 src0=0 src1=0 src2=0
	v_mul_i32_i24_e32 v98, v185, v98
	v_mad_i32_i24 v93, v114, v238, v93
	v_mad_i32_i24 v99, v114, v172, v99
	s_set_vgpr_msb 4                        ;  msbs: dst=0 src0=0 src1=1 src2=0
	v_mul_i32_i24_e32 v114, v179, v68 /*v324*/
	s_set_vgpr_msb 0x44                     ;  msbs: dst=1 src0=0 src1=1 src2=0
	v_mul_i32_i24_e32 v68 /*v324*/, v183, v69 /*v325*/
	v_mul_i32_i24_e32 v69 /*v325*/, v184, v82 /*v338*/
	s_set_vgpr_msb 20                       ;  msbs: dst=0 src0=0 src1=1 src2=1
	v_add3_u32 v93, v93, v59 /*v315*/, v60 /*v316*/
	s_set_vgpr_msb 64                       ;  msbs: dst=1 src0=0 src1=0 src2=0
	v_mul_i32_i24_e32 v59 /*v315*/, v250, v118
	v_mul_i32_i24_e32 v60 /*v316*/, v253, v95
	s_set_vgpr_msb 0                        ;  msbs: dst=0 src0=0 src1=0 src2=0
	v_add3_u32 v99, v99, v101, v106
	v_mul_i32_i24_e32 v101, v175, v118
	v_mul_i32_i24_e32 v95, v177, v95
	;; [unrolled: 1-line block ×3, first 2 shown]
	s_set_vgpr_msb 20                       ;  msbs: dst=0 src0=0 src1=1 src2=1
	v_add3_u32 v93, v93, v59 /*v315*/, v60 /*v316*/
	s_set_vgpr_msb 0x41                     ;  msbs: dst=1 src0=1 src1=0 src2=0
	ds_load_u16 v60 /*v316*/, v65 /*v321*/
	s_set_vgpr_msb 4                        ;  msbs: dst=0 src0=0 src1=1 src2=0
	v_mul_i32_i24_e32 v118, v180, v76 /*v332*/
	s_set_vgpr_msb 0                        ;  msbs: dst=0 src0=0 src1=0 src2=0
	v_add3_u32 v95, v99, v101, v95
	s_set_vgpr_msb 20                       ;  msbs: dst=0 src0=0 src1=1 src2=1
	v_mul_i32_i24_e32 v120, v182, v75 /*v331*/
	v_add3_u32 v93, v93, v61 /*v317*/, v62 /*v318*/
	s_set_vgpr_msb 0                        ;  msbs: dst=0 src0=0 src1=0 src2=0
	v_add3_u32 v95, v95, v106, v114
	s_set_vgpr_msb 20                       ;  msbs: dst=0 src0=0 src1=1 src2=1
	s_delay_alu instid0(VALU_DEP_2) | instskip(SKIP_1) | instid1(VALU_DEP_2)
	v_add3_u32 v93, v93, v63 /*v319*/, v64 /*v320*/
	s_set_vgpr_msb 0                        ;  msbs: dst=0 src0=0 src1=0 src2=0
	v_add3_u32 v95, v95, v118, v96
	s_set_vgpr_msb 20                       ;  msbs: dst=0 src0=0 src1=1 src2=1
	s_delay_alu instid0(VALU_DEP_2) | instskip(SKIP_1) | instid1(VALU_DEP_2)
	v_add3_u32 v93, v93, v66 /*v322*/, v67 /*v323*/
	s_set_vgpr_msb 16                       ;  msbs: dst=0 src0=0 src1=0 src2=1
	v_add3_u32 v95, v95, v120, v68 /*v324*/
	s_set_vgpr_msb 20                       ;  msbs: dst=0 src0=0 src1=1 src2=1
	s_delay_alu instid0(VALU_DEP_2)
	v_add3_u32 v93, v93, v71 /*v327*/, v74 /*v330*/
	s_wait_dscnt 0x0
	s_set_vgpr_msb 0x41                     ;  msbs: dst=1 src0=1 src1=0 src2=0
	v_bfe_u32 v61 /*v317*/, v60 /*v316*/, 4, 4
	s_set_vgpr_msb 0x44                     ;  msbs: dst=1 src0=0 src1=1 src2=0
	v_lshrrev_b16 v66 /*v322*/, 8, v60 /*v316*/
	v_and_b32_e32 v60 /*v316*/, 15, v60 /*v316*/
	v_add3_u32 v136 /*v392*/, v95, v69 /*v325*/, v98
	s_set_vgpr_msb 0                        ;  msbs: dst=0 src0=0 src1=0 src2=0
	v_or_b32_e32 v95, s17, v148
	s_set_vgpr_msb 0x44                     ;  msbs: dst=1 src0=0 src1=1 src2=0
	v_mul_lo_u32 v61 /*v317*/, 0x1010101, v61 /*v317*/
	v_and_b32_e32 v59 /*v315*/, 0xffff, v66 /*v322*/
	s_set_vgpr_msb 0                        ;  msbs: dst=0 src0=0 src1=0 src2=0
	v_dual_lshlrev_b32 v96, 2, v95 :: v_dual_lshrrev_b32 v95, 1, v95
	s_set_vgpr_msb 0x44                     ;  msbs: dst=1 src0=0 src1=1 src2=0
	s_delay_alu instid0(VALU_DEP_2)
	v_dual_lshrrev_b32 v59 /*v315*/, 4, v59 /*v315*/ :: v_dual_lshrrev_b32 v65 /*v321*/, 24, v61 /*v317*/
	s_set_vgpr_msb 0x41                     ;  msbs: dst=1 src0=1 src1=0 src2=0
	v_bfe_i32 v62 /*v318*/, v61 /*v317*/, 0, 8
	v_bfe_i32 v63 /*v319*/, v61 /*v317*/, 8, 8
	;; [unrolled: 1-line block ×3, first 2 shown]
	s_set_vgpr_msb 0x44                     ;  msbs: dst=1 src0=0 src1=1 src2=0
	v_mul_lo_u32 v61 /*v317*/, 0x1010101, v59 /*v315*/
	v_mul_i32_i24_e32 v74 /*v330*/, v110, v65 /*v321*/
	v_mul_i32_i24_e32 v93 /*v349*/, v124, v62 /*v318*/
	s_set_vgpr_msb 0x45                     ;  msbs: dst=1 src0=1 src1=1 src2=0
	v_mul_i32_i24_e32 v94 /*v350*/, v87 /*v343*/, v62 /*v318*/
	s_set_vgpr_msb 0x54                     ;  msbs: dst=1 src0=0 src1=1 src2=1
	v_mul_i32_i24_e32 v91 /*v347*/, v111, v64 /*v320*/
	v_mad_i32_i24 v93 /*v349*/, v122, v63 /*v319*/, v93 /*v349*/
	s_set_vgpr_msb 0x55                     ;  msbs: dst=1 src0=1 src1=1 src2=1
	v_mad_i32_i24 v94 /*v350*/, v86 /*v342*/, v63 /*v319*/, v94 /*v350*/
	v_bfe_i32 v67 /*v323*/, v61 /*v317*/, 0, 8
	s_delay_alu instid0(VALU_DEP_3)
	v_add3_u32 v74 /*v330*/, v93 /*v349*/, v91 /*v347*/, v74 /*v330*/
	v_and_b32_e32 v91 /*v347*/, 15, v66 /*v322*/
	v_and_b32_e32 v66 /*v322*/, 0xffff, v60 /*v316*/
	v_mul_i32_i24_e32 v93 /*v349*/, v85 /*v341*/, v64 /*v320*/
	v_bfe_i32 v59 /*v315*/, v61 /*v317*/, 8, 8
	v_mul_i32_i24_e32 v130 /*v386*/, v83 /*v339*/, v67 /*v323*/
	v_and_b32_e32 v60 /*v316*/, 0xffff, v91 /*v347*/
	v_mul_i32_i24_e32 v91 /*v347*/, v84 /*v340*/, v65 /*v321*/
	s_set_vgpr_msb 0x44                     ;  msbs: dst=1 src0=0 src1=1 src2=0
	v_mul_i32_i24_e32 v71 /*v327*/, v108, v67 /*v323*/
	s_set_vgpr_msb 0x55                     ;  msbs: dst=1 src0=1 src1=1 src2=1
	s_delay_alu instid0(VALU_DEP_2) | instskip(SKIP_4) | instid1(VALU_DEP_1)
	v_add3_u32 v131 /*v387*/, v94 /*v350*/, v93 /*v349*/, v91 /*v347*/
	v_mul_i32_i24_e32 v91 /*v347*/, v8 /*v264*/, v88 /*v344*/
	s_set_vgpr_msb 0x44                     ;  msbs: dst=1 src0=0 src1=1 src2=0
	v_mul_i32_i24_e32 v93 /*v349*/, v209, v113 /*v369*/
	s_set_vgpr_msb 20                       ;  msbs: dst=0 src0=0 src1=1 src2=1
	v_add3_u32 v93, v93, v90 /*v346*/, v93 /*v349*/
	s_set_vgpr_msb 0x55                     ;  msbs: dst=1 src0=1 src1=1 src2=1
	v_add3_u32 v90 /*v346*/, v92 /*v348*/, v103 /*v359*/, v91 /*v347*/
	v_mul_i32_i24_e32 v91 /*v347*/, v109 /*v365*/, v62 /*v318*/
	s_set_vgpr_msb 0x44                     ;  msbs: dst=1 src0=0 src1=1 src2=0
	v_mul_lo_u32 v133 /*v389*/, v93, v66 /*v322*/
	s_set_vgpr_msb 0x45                     ;  msbs: dst=1 src0=1 src1=1 src2=0
	v_mul_lo_u32 v132 /*v388*/, v90 /*v346*/, v60 /*v316*/
	s_set_vgpr_msb 5                        ;  msbs: dst=0 src0=1 src1=1 src2=0
	v_mul_i32_i24_e32 v93, v112 /*v368*/, v65 /*v321*/
	s_set_vgpr_msb 0x55                     ;  msbs: dst=1 src0=1 src1=1 src2=1
	v_mul_i32_i24_e32 v90 /*v346*/, v110 /*v366*/, v64 /*v320*/
	v_mad_i32_i24 v91 /*v347*/, v111 /*v367*/, v63 /*v319*/, v91 /*v347*/
	s_set_vgpr_msb 0x45                     ;  msbs: dst=1 src0=1 src1=1 src2=0
	s_delay_alu instid0(VALU_DEP_1)
	v_add3_u32 v134 /*v390*/, v91 /*v347*/, v90 /*v346*/, v93
	s_set_vgpr_msb 0                        ;  msbs: dst=0 src0=0 src1=0 src2=0
	ds_load_b32 v95, v95 offset:30368
	s_set_vgpr_msb 64                       ;  msbs: dst=1 src0=0 src1=0 src2=0
	ds_load_b128 v[90:93] /*v[346:349]*/, v96 offset:16896
	ds_load_b128 v[94:97] /*v[350:353]*/, v96 offset:16912
	s_set_vgpr_msb 0                        ;  msbs: dst=0 src0=0 src1=0 src2=0
	v_mov_b32_e32 v93, v90
	s_wait_dscnt 0x1
	s_set_vgpr_msb 0x41                     ;  msbs: dst=1 src0=1 src1=0 src2=0
	v_bfe_i32 v98 /*v354*/, v93 /*v349*/, 0, 8
	v_bfe_i32 v103 /*v359*/, v93 /*v349*/, 8, 8
	;; [unrolled: 1-line block ×3, first 2 shown]
	s_set_vgpr_msb 0x44                     ;  msbs: dst=1 src0=0 src1=1 src2=0
	v_ashrrev_i32_e32 v93 /*v349*/, 24, v93 /*v349*/
	s_wait_dscnt 0x0
	s_set_vgpr_msb 0x41                     ;  msbs: dst=1 src0=1 src1=0 src2=0
	v_bfe_i32 v114 /*v370*/, v94 /*v350*/, 0, 8
	v_bfe_i32 v115 /*v371*/, v94 /*v350*/, 8, 8
	v_bfe_i32 v116 /*v372*/, v94 /*v350*/, 16, 8
	s_set_vgpr_msb 0x44                     ;  msbs: dst=1 src0=0 src1=1 src2=0
	v_ashrrev_i32_e32 v94 /*v350*/, 24, v94 /*v350*/
	s_set_vgpr_msb 0x41                     ;  msbs: dst=1 src0=1 src1=0 src2=0
	v_bfe_i32 v117 /*v373*/, v95 /*v351*/, 0, 8
	v_bfe_i32 v118 /*v374*/, v95 /*v351*/, 8, 8
	v_bfe_i32 v119 /*v375*/, v95 /*v351*/, 16, 8
	s_set_vgpr_msb 0x44                     ;  msbs: dst=1 src0=0 src1=1 src2=0
	v_ashrrev_i32_e32 v95 /*v351*/, 24, v95 /*v351*/
	s_set_vgpr_msb 0x41                     ;  msbs: dst=1 src0=1 src1=0 src2=0
	v_bfe_i32 v120 /*v376*/, v96 /*v352*/, 0, 8
	v_bfe_i32 v121 /*v377*/, v96 /*v352*/, 8, 8
	v_bfe_i32 v122 /*v378*/, v96 /*v352*/, 16, 8
	s_set_vgpr_msb 0x44                     ;  msbs: dst=1 src0=0 src1=1 src2=0
	v_ashrrev_i32_e32 v96 /*v352*/, 24, v96 /*v352*/
	s_set_vgpr_msb 0x41                     ;  msbs: dst=1 src0=1 src1=0 src2=0
	v_bfe_i32 v123 /*v379*/, v97 /*v353*/, 0, 8
	v_bfe_i32 v124 /*v380*/, v97 /*v353*/, 8, 8
	v_bfe_i32 v126 /*v382*/, v97 /*v353*/, 16, 8
	s_set_vgpr_msb 0x44                     ;  msbs: dst=1 src0=0 src1=1 src2=0
	v_ashrrev_i32_e32 v97 /*v353*/, 24, v97 /*v353*/
	s_set_vgpr_msb 5                        ;  msbs: dst=0 src0=1 src1=1 src2=0
	v_add_nc_u32_e32 v96, v95 /*v351*/, v94 /*v350*/
	v_ashrrev_i32_e32 v114, 24, v90 /*v346*/
	s_set_vgpr_msb 0x44                     ;  msbs: dst=1 src0=0 src1=1 src2=0
	v_ashrrev_i32_e32 v81 /*v337*/, 24, v91 /*v347*/
	s_set_vgpr_msb 1                        ;  msbs: dst=0 src0=1 src1=0 src2=0
	v_bfe_i32 v98, v90 /*v346*/, 0, 8
	v_bfe_i32 v99, v90 /*v346*/, 8, 8
	s_set_vgpr_msb 0x54                     ;  msbs: dst=1 src0=0 src1=1 src2=1
	v_add3_u32 v68 /*v324*/, v96, v96 /*v352*/, v97 /*v353*/
	s_set_vgpr_msb 5                        ;  msbs: dst=0 src0=1 src1=1 src2=0
	v_add_nc_u32_e32 v96, v119 /*v375*/, v116 /*v372*/
	v_bfe_i32 v101, v90 /*v346*/, 16, 8
	v_bfe_i32 v118, v91 /*v347*/, 0, 8
	;; [unrolled: 1-line block ×3, first 2 shown]
	s_set_vgpr_msb 0x41                     ;  msbs: dst=1 src0=1 src1=0 src2=0
	v_bfe_i32 v76 /*v332*/, v91 /*v347*/, 16, 8
	s_set_vgpr_msb 0x54                     ;  msbs: dst=1 src0=0 src1=1 src2=1
	v_add3_u32 v69 /*v325*/, v96, v122 /*v378*/, v126 /*v382*/
	s_set_vgpr_msb 5                        ;  msbs: dst=0 src0=1 src1=1 src2=0
	v_add_nc_u32_e32 v96, v117 /*v373*/, v114 /*v370*/
	s_set_vgpr_msb 0x41                     ;  msbs: dst=1 src0=1 src1=0 src2=0
	v_bfe_i32 v82 /*v338*/, v92 /*v348*/, 0, 8
	v_bfe_i32 v90 /*v346*/, v92 /*v348*/, 8, 8
	;; [unrolled: 1-line block ×3, first 2 shown]
	s_set_vgpr_msb 0x54                     ;  msbs: dst=1 src0=0 src1=1 src2=1
	v_ashrrev_i32_e32 v92 /*v348*/, 24, v92 /*v348*/
	v_add3_u32 v137 /*v393*/, v96, v120 /*v376*/, v123 /*v379*/
	s_set_vgpr_msb 5                        ;  msbs: dst=0 src0=1 src1=1 src2=0
	v_add_nc_u32_e32 v96, v118 /*v374*/, v115 /*v371*/
	s_set_vgpr_msb 0                        ;  msbs: dst=0 src0=0 src1=0 src2=0
	v_mul_i32_i24_e32 v106, v224, v101
	s_set_vgpr_msb 64                       ;  msbs: dst=1 src0=0 src1=0 src2=0
	v_mul_i32_i24_e32 v75 /*v331*/, v127, v114
	s_set_vgpr_msb 0x54                     ;  msbs: dst=1 src0=0 src1=1 src2=1
	v_mul_i32_i24_e32 v128 /*v384*/, v226, v76 /*v332*/
	v_mul_i32_i24_e32 v143 /*v399*/, v228, v81 /*v337*/
	v_add3_u32 v138 /*v394*/, v96, v121 /*v377*/, v124 /*v380*/
	s_set_vgpr_msb 1                        ;  msbs: dst=0 src0=1 src1=0 src2=0
	v_add_nc_u32_e32 v96, v81 /*v337*/, v114
	s_set_vgpr_msb 0x54                     ;  msbs: dst=1 src0=0 src1=1 src2=1
	v_mul_i32_i24_e32 v144 /*v400*/, v230, v82 /*v338*/
	v_mul_i32_i24_e32 v145 /*v401*/, v232, v90 /*v346*/
	;; [unrolled: 1-line block ×4, first 2 shown]
	v_add3_u32 v139 /*v395*/, v96, v92 /*v348*/, v93 /*v349*/
	s_set_vgpr_msb 1                        ;  msbs: dst=0 src0=1 src1=0 src2=0
	v_add_nc_u32_e32 v96, v76 /*v332*/, v101
	s_set_vgpr_msb 0x54                     ;  msbs: dst=1 src0=0 src1=1 src2=1
	v_mul_i32_i24_e32 v148 /*v404*/, v239, v98 /*v354*/
	v_mul_i32_i24_e32 v149 /*v405*/, v241, v103 /*v359*/
	;; [unrolled: 1-line block ×4, first 2 shown]
	v_add3_u32 v140 /*v396*/, v96, v91 /*v347*/, v104 /*v360*/
	s_set_vgpr_msb 0                        ;  msbs: dst=0 src0=0 src1=0 src2=0
	v_add_nc_u32_e32 v96, v120, v99
	s_set_vgpr_msb 0x54                     ;  msbs: dst=1 src0=0 src1=1 src2=1
	v_mul_i32_i24_e32 v152 /*v408*/, v246, v97 /*v353*/
	v_mul_i32_i24_e32 v153 /*v409*/, v109, v93 /*v349*/
	;; [unrolled: 1-line block ×4, first 2 shown]
	v_add3_u32 v141 /*v397*/, v96, v90 /*v346*/, v103 /*v359*/
	s_set_vgpr_msb 0                        ;  msbs: dst=0 src0=0 src1=0 src2=0
	v_add_nc_u32_e32 v96, v118, v98
	s_set_vgpr_msb 0x45                     ;  msbs: dst=1 src0=1 src1=1 src2=0
	v_mul_i32_i24_e32 v156 /*v412*/, v8 /*v264*/, v97 /*v353*/
	s_set_vgpr_msb 0x54                     ;  msbs: dst=1 src0=0 src1=1 src2=1
	v_mul_i32_i24_e32 v93 /*v349*/, v188, v93 /*v349*/
	v_add3_u32 v142 /*v398*/, v96, v82 /*v338*/, v98 /*v354*/
	s_set_vgpr_msb 0                        ;  msbs: dst=0 src0=0 src1=0 src2=0
	v_mul_i32_i24_e32 v96, v121, v98
	s_delay_alu instid0(VALU_DEP_1) | instskip(SKIP_1) | instid1(VALU_DEP_1)
	v_mad_i32_i24 v96, v119, v99, v96
	s_set_vgpr_msb 16                       ;  msbs: dst=0 src0=0 src1=0 src2=1
	v_add3_u32 v96, v96, v106, v75 /*v331*/
	v_mul_i32_i24_e32 v106, v222, v118
	s_set_vgpr_msb 64                       ;  msbs: dst=1 src0=0 src1=0 src2=0
	v_mul_i32_i24_e32 v75 /*v331*/, v225, v120
	s_set_vgpr_msb 16                       ;  msbs: dst=0 src0=0 src1=0 src2=1
	s_delay_alu instid0(VALU_DEP_1)
	v_add3_u32 v96, v96, v106, v75 /*v331*/
	s_set_vgpr_msb 4                        ;  msbs: dst=0 src0=0 src1=1 src2=0
	v_mul_i32_i24_e32 v106, v255, v114 /*v370*/
	s_set_vgpr_msb 0x45                     ;  msbs: dst=1 src0=1 src1=1 src2=0
	v_mul_i32_i24_e32 v75 /*v331*/, v2 /*v258*/, v116 /*v372*/
	s_set_vgpr_msb 20                       ;  msbs: dst=0 src0=0 src1=1 src2=1
	v_add3_u32 v96, v96, v128 /*v384*/, v143 /*v399*/
	s_set_vgpr_msb 0x45                     ;  msbs: dst=1 src0=1 src1=1 src2=0
	v_mul_i32_i24_e32 v128 /*v384*/, v4 /*v260*/, v94 /*v350*/
	s_set_vgpr_msb 4                        ;  msbs: dst=0 src0=0 src1=1 src2=0
	v_mad_i32_i24 v106, v251, v115 /*v371*/, v106
	s_set_vgpr_msb 0x45                     ;  msbs: dst=1 src0=1 src1=1 src2=0
	v_mul_i32_i24_e32 v143 /*v399*/, v11 /*v267*/, v119 /*v375*/
	s_set_vgpr_msb 20                       ;  msbs: dst=0 src0=0 src1=1 src2=1
	v_add3_u32 v96, v96, v144 /*v400*/, v145 /*v401*/
	s_set_vgpr_msb 0x45                     ;  msbs: dst=1 src0=1 src1=1 src2=0
	v_mul_i32_i24_e32 v144 /*v400*/, v13 /*v269*/, v95 /*v351*/
	s_set_vgpr_msb 20                       ;  msbs: dst=0 src0=0 src1=1 src2=1
	v_add3_u32 v106, v106, v75 /*v331*/, v128 /*v384*/
	s_set_vgpr_msb 0x45                     ;  msbs: dst=1 src0=1 src1=1 src2=0
	v_mul_i32_i24_e32 v75 /*v331*/, v6 /*v262*/, v117 /*v373*/
	v_mul_i32_i24_e32 v128 /*v384*/, v9 /*v265*/, v118 /*v374*/
	s_set_vgpr_msb 20                       ;  msbs: dst=0 src0=0 src1=1 src2=1
	v_add3_u32 v96, v96, v146 /*v402*/, v147 /*v403*/
	s_set_vgpr_msb 0x45                     ;  msbs: dst=1 src0=1 src1=1 src2=0
	v_mul_i32_i24_e32 v145 /*v401*/, v15 /*v271*/, v120 /*v376*/
	v_mul_i32_i24_e32 v146 /*v402*/, v16 /*v272*/, v121 /*v377*/
	v_mul_i32_i24_e32 v147 /*v403*/, v17 /*v273*/, v122 /*v378*/
	s_set_vgpr_msb 20                       ;  msbs: dst=0 src0=0 src1=1 src2=1
	v_add3_u32 v106, v106, v75 /*v331*/, v128 /*v384*/
	v_add3_u32 v96, v96, v148 /*v404*/, v149 /*v405*/
	s_set_vgpr_msb 0x45                     ;  msbs: dst=1 src0=1 src1=1 src2=0
	v_mul_i32_i24_e32 v148 /*v404*/, v19 /*v275*/, v96 /*v352*/
	v_mul_i32_i24_e32 v149 /*v405*/, v21 /*v277*/, v123 /*v379*/
	v_mul_i32_i24_e32 v75 /*v331*/, v137 /*v393*/, v58 /*v314*/
	s_set_vgpr_msb 20                       ;  msbs: dst=0 src0=0 src1=1 src2=1
	v_add3_u32 v106, v106, v143 /*v399*/, v144 /*v400*/
	;; [unrolled: 7-line block ×3, first 2 shown]
	v_mul_lo_u32 v96, v96, v57 /*v313*/
	s_set_vgpr_msb 0x45                     ;  msbs: dst=1 src0=1 src1=1 src2=0
	v_mul_i32_i24_e32 v145 /*v401*/, v142 /*v398*/, v72 /*v328*/
	v_mul_i32_i24_e32 v144 /*v400*/, v140 /*v396*/, v73 /*v329*/
	;; [unrolled: 1-line block ×3, first 2 shown]
	s_set_vgpr_msb 20                       ;  msbs: dst=0 src0=0 src1=1 src2=1
	v_add3_u32 v106, v106, v147 /*v403*/, v148 /*v404*/
	s_set_vgpr_msb 0x44                     ;  msbs: dst=1 src0=0 src1=1 src2=0
	v_mul_i32_i24_e32 v146 /*v402*/, v211, v82 /*v338*/
	s_set_vgpr_msb 0x55                     ;  msbs: dst=1 src0=1 src1=1 src2=1
	v_mad_i32_i24 v145 /*v401*/, v141 /*v397*/, v70 /*v326*/, v145 /*v401*/
	s_set_vgpr_msb 0x44                     ;  msbs: dst=1 src0=0 src1=1 src2=0
	v_mul_i32_i24_e32 v147 /*v403*/, v212, v90 /*v346*/
	v_mul_i32_i24_e32 v148 /*v404*/, v213, v91 /*v347*/
	s_set_vgpr_msb 20                       ;  msbs: dst=0 src0=0 src1=1 src2=1
	v_add3_u32 v106, v106, v149 /*v405*/, v150 /*v406*/
	s_set_vgpr_msb 0x44                     ;  msbs: dst=1 src0=0 src1=1 src2=0
	v_mul_i32_i24_e32 v149 /*v405*/, v214, v92 /*v348*/
	s_set_vgpr_msb 0x55                     ;  msbs: dst=1 src0=1 src1=1 src2=1
	v_add3_u32 v143 /*v399*/, v145 /*v401*/, v144 /*v400*/, v143 /*v399*/
	s_set_vgpr_msb 0x44                     ;  msbs: dst=1 src0=0 src1=1 src2=0
	v_mul_i32_i24_e32 v144 /*v400*/, v208, v76 /*v332*/
	v_mul_i32_i24_e32 v145 /*v401*/, v210, v81 /*v337*/
	s_set_vgpr_msb 20                       ;  msbs: dst=0 src0=0 src1=1 src2=1
	v_add3_u32 v106, v106, v151 /*v407*/, v152 /*v408*/
	s_set_vgpr_msb 0x44                     ;  msbs: dst=1 src0=0 src1=1 src2=0
	v_mul_i32_i24_e32 v150 /*v406*/, v215, v98 /*v354*/
	s_set_vgpr_msb 0x55                     ;  msbs: dst=1 src0=1 src1=1 src2=1
	v_add3_u32 v143 /*v399*/, v143 /*v399*/, v75 /*v331*/, v128 /*v384*/
	s_set_vgpr_msb 64                       ;  msbs: dst=1 src0=0 src1=0 src2=0
	v_mul_i32_i24_e32 v75 /*v331*/, v206, v101
	v_mul_i32_i24_e32 v128 /*v384*/, v204, v114
	s_set_vgpr_msb 4                        ;  msbs: dst=0 src0=0 src1=1 src2=0
	v_mad_u32 v96, v106, v54 /*v310*/, v96
	s_set_vgpr_msb 0x44                     ;  msbs: dst=1 src0=0 src1=1 src2=0
	v_mul_i32_i24_e32 v151 /*v407*/, v216, v103 /*v359*/
	v_mul_i32_i24_e32 v152 /*v408*/, v217, v104 /*v360*/
	s_set_vgpr_msb 0                        ;  msbs: dst=0 src0=0 src1=0 src2=0
	s_delay_alu instid0(VALU_DEP_3) | instskip(SKIP_1) | instid1(VALU_DEP_1)
	v_cvt_f32_i32_e32 v106, v96
	v_mul_i32_i24_e32 v96, v125, v98
	v_mad_i32_i24 v96, v123, v99, v96
	s_set_vgpr_msb 20                       ;  msbs: dst=0 src0=0 src1=1 src2=1
	s_delay_alu instid0(VALU_DEP_1) | instskip(SKIP_4) | instid1(VALU_DEP_1)
	v_add3_u32 v96, v96, v75 /*v331*/, v128 /*v384*/
	s_set_vgpr_msb 64                       ;  msbs: dst=1 src0=0 src1=0 src2=0
	v_mul_i32_i24_e32 v75 /*v331*/, v205, v118
	v_mul_i32_i24_e32 v128 /*v384*/, v207, v120
	s_set_vgpr_msb 20                       ;  msbs: dst=0 src0=0 src1=1 src2=1
	v_add3_u32 v96, v96, v75 /*v331*/, v128 /*v384*/
	s_set_vgpr_msb 0x44                     ;  msbs: dst=1 src0=0 src1=1 src2=0
	v_mul_i32_i24_e32 v75 /*v331*/, v221, v116 /*v372*/
	s_set_vgpr_msb 20                       ;  msbs: dst=0 src0=0 src1=1 src2=1
	s_delay_alu instid0(VALU_DEP_2)
	v_add3_u32 v96, v96, v144 /*v400*/, v145 /*v401*/
	s_set_vgpr_msb 0x44                     ;  msbs: dst=1 src0=0 src1=1 src2=0
	v_mul_i32_i24_e32 v144 /*v400*/, v223, v94 /*v350*/
	v_mul_i32_i24_e32 v145 /*v401*/, v231, v119 /*v375*/
	s_set_vgpr_msb 20                       ;  msbs: dst=0 src0=0 src1=1 src2=1
	v_add3_u32 v96, v96, v146 /*v402*/, v147 /*v403*/
	s_set_vgpr_msb 0x44                     ;  msbs: dst=1 src0=0 src1=1 src2=0
	v_mul_i32_i24_e32 v146 /*v402*/, v233, v95 /*v351*/
	v_mul_i32_i24_e32 v147 /*v403*/, v235, v120 /*v376*/
	s_set_vgpr_msb 20                       ;  msbs: dst=0 src0=0 src1=1 src2=1
	v_add3_u32 v96, v96, v148 /*v404*/, v149 /*v405*/
	s_set_vgpr_msb 0x44                     ;  msbs: dst=1 src0=0 src1=1 src2=0
	v_mul_i32_i24_e32 v148 /*v404*/, v237, v121 /*v377*/
	v_mul_i32_i24_e32 v149 /*v405*/, v240, v122 /*v378*/
	s_set_vgpr_msb 20                       ;  msbs: dst=0 src0=0 src1=1 src2=1
	v_add3_u32 v96, v96, v150 /*v406*/, v151 /*v407*/
	s_set_vgpr_msb 0x54                     ;  msbs: dst=1 src0=0 src1=1 src2=1
	v_mul_i32_i24_e32 v150 /*v406*/, v242, v96 /*v352*/
	v_mul_i32_i24_e32 v151 /*v407*/, v245, v123 /*v379*/
	s_delay_alu instid0(VALU_DEP_3)
	v_add3_u32 v128 /*v384*/, v96, v152 /*v408*/, v153 /*v409*/
	s_set_vgpr_msb 4                        ;  msbs: dst=0 src0=0 src1=1 src2=0
	v_mul_i32_i24_e32 v96, v220, v114 /*v370*/
	s_set_vgpr_msb 0x44                     ;  msbs: dst=1 src0=0 src1=1 src2=0
	v_mul_i32_i24_e32 v152 /*v408*/, v247, v124 /*v380*/
	v_mul_i32_i24_e32 v153 /*v409*/, v249, v126 /*v382*/
	s_set_vgpr_msb 4                        ;  msbs: dst=0 src0=0 src1=1 src2=0
	v_mad_i32_i24 v96, v219, v115 /*v371*/, v96
	s_set_vgpr_msb 20                       ;  msbs: dst=0 src0=0 src1=1 src2=1
	s_delay_alu instid0(VALU_DEP_1) | instskip(SKIP_4) | instid1(VALU_DEP_1)
	v_add3_u32 v96, v96, v75 /*v331*/, v144 /*v400*/
	s_set_vgpr_msb 0x44                     ;  msbs: dst=1 src0=0 src1=1 src2=0
	v_mul_i32_i24_e32 v75 /*v331*/, v227, v117 /*v373*/
	v_mul_i32_i24_e32 v144 /*v400*/, v229, v118 /*v374*/
	s_set_vgpr_msb 20                       ;  msbs: dst=0 src0=0 src1=1 src2=1
	v_add3_u32 v96, v96, v75 /*v331*/, v144 /*v400*/
	s_set_vgpr_msb 64                       ;  msbs: dst=1 src0=0 src1=0 src2=0
	v_mul_i32_i24_e32 v75 /*v331*/, v252, v101
	s_set_vgpr_msb 0                        ;  msbs: dst=0 src0=0 src1=0 src2=0
	v_mul_i32_i24_e32 v101, v176, v101
	s_set_vgpr_msb 20                       ;  msbs: dst=0 src0=0 src1=1 src2=1
	v_add3_u32 v96, v96, v145 /*v401*/, v146 /*v402*/
	s_set_vgpr_msb 64                       ;  msbs: dst=1 src0=0 src1=0 src2=0
	v_mul_i32_i24_e32 v145 /*v401*/, v248, v114
	s_set_vgpr_msb 0x44                     ;  msbs: dst=1 src0=0 src1=1 src2=0
	v_mul_i32_i24_e32 v146 /*v402*/, v254, v76 /*v332*/
	s_set_vgpr_msb 0                        ;  msbs: dst=0 src0=0 src1=0 src2=0
	v_mul_i32_i24_e32 v114, v174, v114
	s_set_vgpr_msb 20                       ;  msbs: dst=0 src0=0 src1=1 src2=1
	v_add3_u32 v96, v96, v147 /*v403*/, v148 /*v404*/
	s_set_vgpr_msb 0x45                     ;  msbs: dst=1 src0=1 src1=1 src2=0
	v_mul_i32_i24_e32 v147 /*v403*/, v0 /*v256*/, v81 /*v337*/
	v_mul_i32_i24_e32 v148 /*v404*/, v1 /*v257*/, v82 /*v338*/
	s_set_vgpr_msb 20                       ;  msbs: dst=0 src0=0 src1=1 src2=1
	v_add3_u32 v96, v96, v149 /*v405*/, v150 /*v406*/
	s_set_vgpr_msb 0x45                     ;  msbs: dst=1 src0=1 src1=1 src2=0
	v_mul_i32_i24_e32 v149 /*v405*/, v3 /*v259*/, v90 /*v346*/
	v_mul_i32_i24_e32 v150 /*v406*/, v5 /*v261*/, v91 /*v347*/
	s_set_vgpr_msb 20                       ;  msbs: dst=0 src0=0 src1=1 src2=1
	v_add3_u32 v96, v96, v151 /*v407*/, v152 /*v408*/
	s_set_vgpr_msb 0x45                     ;  msbs: dst=1 src0=1 src1=1 src2=0
	v_mul_i32_i24_e32 v151 /*v407*/, v7 /*v263*/, v92 /*v348*/
	v_mul_i32_i24_e32 v152 /*v408*/, v10 /*v266*/, v98 /*v354*/
	s_set_vgpr_msb 0x54                     ;  msbs: dst=1 src0=0 src1=1 src2=1
	v_add3_u32 v144 /*v400*/, v96, v153 /*v409*/, v154 /*v410*/
	s_set_vgpr_msb 0                        ;  msbs: dst=0 src0=0 src1=0 src2=0
	v_mul_i32_i24_e32 v96, v243, v98
	v_mul_i32_i24_e32 v98, v173, v98
	s_set_vgpr_msb 0x45                     ;  msbs: dst=1 src0=1 src1=1 src2=0
	v_mul_i32_i24_e32 v153 /*v409*/, v12 /*v268*/, v103 /*v359*/
	v_mul_i32_i24_e32 v154 /*v410*/, v14 /*v270*/, v104 /*v360*/
	s_set_vgpr_msb 0                        ;  msbs: dst=0 src0=0 src1=0 src2=0
	v_mad_i32_i24 v96, v238, v99, v96
	v_mad_i32_i24 v98, v172, v99, v98
	v_mul_i32_i24_e32 v99, v175, v118
	s_set_vgpr_msb 20                       ;  msbs: dst=0 src0=0 src1=1 src2=1
	s_delay_alu instid0(VALU_DEP_3)
	v_add3_u32 v96, v96, v75 /*v331*/, v145 /*v401*/
	s_set_vgpr_msb 64                       ;  msbs: dst=1 src0=0 src1=0 src2=0
	v_mul_i32_i24_e32 v75 /*v331*/, v250, v118
	v_mul_i32_i24_e32 v145 /*v401*/, v253, v120
	s_set_vgpr_msb 0                        ;  msbs: dst=0 src0=0 src1=0 src2=0
	v_add3_u32 v98, v98, v101, v114
	v_mul_i32_i24_e32 v101, v177, v120
	s_set_vgpr_msb 20                       ;  msbs: dst=0 src0=0 src1=1 src2=1
	v_mul_i32_i24_e32 v114, v178, v76 /*v332*/
	v_mul_i32_i24_e32 v118, v179, v81 /*v337*/
	v_add3_u32 v96, v96, v75 /*v331*/, v145 /*v401*/
	s_set_vgpr_msb 0x45                     ;  msbs: dst=1 src0=1 src1=1 src2=0
	v_mul_i32_i24_e32 v75 /*v331*/, v20 /*v276*/, v114 /*v370*/
	v_mul_i32_i24_e32 v145 /*v401*/, v23 /*v279*/, v116 /*v372*/
	s_set_vgpr_msb 0                        ;  msbs: dst=0 src0=0 src1=0 src2=0
	v_add3_u32 v98, v98, v99, v101
	s_set_vgpr_msb 20                       ;  msbs: dst=0 src0=0 src1=1 src2=1
	v_mul_i32_i24_e32 v120, v180, v82 /*v338*/
	v_add3_u32 v96, v96, v146 /*v402*/, v147 /*v403*/
	s_set_vgpr_msb 0x55                     ;  msbs: dst=1 src0=1 src1=1 src2=1
	v_mul_i32_i24_e32 v146 /*v402*/, v25 /*v281*/, v94 /*v350*/
	v_mad_i32_i24 v75 /*v331*/, v18 /*v274*/, v115 /*v371*/, v75 /*v331*/
	v_mul_i32_i24_e32 v147 /*v403*/, v28 /*v284*/, v119 /*v375*/
	s_set_vgpr_msb 0x44                     ;  msbs: dst=1 src0=0 src1=1 src2=0
	v_mul_i32_i24_e32 v76 /*v332*/, v181, v90 /*v346*/
	s_set_vgpr_msb 20                       ;  msbs: dst=0 src0=0 src1=1 src2=1
	v_add3_u32 v96, v96, v148 /*v404*/, v149 /*v405*/
	s_set_vgpr_msb 0x55                     ;  msbs: dst=1 src0=1 src1=1 src2=1
	v_mul_i32_i24_e32 v148 /*v404*/, v29 /*v285*/, v95 /*v351*/
	v_add3_u32 v75 /*v331*/, v75 /*v331*/, v145 /*v401*/, v146 /*v402*/
	v_mul_i32_i24_e32 v145 /*v401*/, v26 /*v282*/, v117 /*v373*/
	v_mul_i32_i24_e32 v146 /*v402*/, v27 /*v283*/, v118 /*v374*/
	s_set_vgpr_msb 20                       ;  msbs: dst=0 src0=0 src1=1 src2=1
	v_add3_u32 v96, v96, v150 /*v406*/, v151 /*v407*/
	s_set_vgpr_msb 0x55                     ;  msbs: dst=1 src0=1 src1=1 src2=1
	v_mul_i32_i24_e32 v149 /*v405*/, v30 /*v286*/, v120 /*v376*/
	v_mul_i32_i24_e32 v150 /*v406*/, v31 /*v287*/, v121 /*v377*/
	;; [unrolled: 1-line block ×3, first 2 shown]
	v_add3_u32 v75 /*v331*/, v75 /*v331*/, v145 /*v401*/, v146 /*v402*/
	s_set_vgpr_msb 20                       ;  msbs: dst=0 src0=0 src1=1 src2=1
	v_add3_u32 v96, v96, v152 /*v408*/, v153 /*v409*/
	s_set_vgpr_msb 0x45                     ;  msbs: dst=1 src0=1 src1=1 src2=0
	v_mul_i32_i24_e32 v152 /*v408*/, v33 /*v289*/, v96 /*v352*/
	s_set_vgpr_msb 0                        ;  msbs: dst=0 src0=0 src1=0 src2=0
	v_add3_u32 v98, v98, v114, v118
	s_set_vgpr_msb 0x55                     ;  msbs: dst=1 src0=1 src1=1 src2=1
	v_mul_i32_i24_e32 v153 /*v409*/, v34 /*v290*/, v123 /*v379*/
	v_add3_u32 v75 /*v331*/, v75 /*v331*/, v147 /*v403*/, v148 /*v404*/
	s_set_vgpr_msb 20                       ;  msbs: dst=0 src0=0 src1=1 src2=1
	v_add3_u32 v96, v96, v154 /*v410*/, v155 /*v411*/
	s_set_vgpr_msb 0x45                     ;  msbs: dst=1 src0=1 src1=1 src2=0
	v_mul_i32_i24_e32 v154 /*v410*/, v35 /*v291*/, v124 /*v380*/
	s_set_vgpr_msb 0x44                     ;  msbs: dst=1 src0=0 src1=1 src2=0
	v_mul_i32_i24_e32 v81 /*v337*/, v182, v91 /*v347*/
	v_mul_i32_i24_e32 v82 /*v338*/, v183, v92 /*v348*/
	s_set_vgpr_msb 0x55                     ;  msbs: dst=1 src0=1 src1=1 src2=1
	v_add3_u32 v75 /*v331*/, v75 /*v331*/, v149 /*v405*/, v150 /*v406*/
	s_set_vgpr_msb 16                       ;  msbs: dst=0 src0=0 src1=0 src2=1
	v_add3_u32 v98, v98, v120, v76 /*v332*/
	s_set_vgpr_msb 4                        ;  msbs: dst=0 src0=0 src1=1 src2=0
	v_mul_lo_u32 v96, v96, v66 /*v322*/
	s_set_vgpr_msb 0x45                     ;  msbs: dst=1 src0=1 src1=1 src2=0
	v_mul_i32_i24_e32 v155 /*v411*/, v36 /*v292*/, v126 /*v382*/
	s_set_vgpr_msb 0x44                     ;  msbs: dst=1 src0=0 src1=1 src2=0
	v_mul_i32_i24_e32 v90 /*v346*/, v184, v98 /*v354*/
	s_set_vgpr_msb 0x55                     ;  msbs: dst=1 src0=1 src1=1 src2=1
	v_add3_u32 v75 /*v331*/, v75 /*v331*/, v151 /*v407*/, v152 /*v408*/
	s_set_vgpr_msb 0x44                     ;  msbs: dst=1 src0=0 src1=1 src2=0
	v_mul_i32_i24_e32 v91 /*v347*/, v185, v103 /*v359*/
	s_set_vgpr_msb 20                       ;  msbs: dst=0 src0=0 src1=1 src2=1
	v_add3_u32 v98, v98, v81 /*v337*/, v82 /*v338*/
	s_set_vgpr_msb 0x44                     ;  msbs: dst=1 src0=0 src1=1 src2=0
	v_mul_i32_i24_e32 v92 /*v348*/, v186, v104 /*v360*/
	s_set_vgpr_msb 4                        ;  msbs: dst=0 src0=0 src1=1 src2=0
	v_mul_i32_i24_e32 v99, v190, v116 /*v372*/
	s_set_vgpr_msb 0x55                     ;  msbs: dst=1 src0=1 src1=1 src2=1
	v_add3_u32 v75 /*v331*/, v75 /*v331*/, v153 /*v409*/, v154 /*v410*/
	s_set_vgpr_msb 20                       ;  msbs: dst=0 src0=0 src1=1 src2=1
	v_mul_i32_i24_e32 v101, v191, v94 /*v350*/
	v_add3_u32 v98, v98, v90 /*v346*/, v91 /*v347*/
	v_mul_i32_i24_e32 v114, v194, v119 /*v375*/
	v_mul_i32_i24_e32 v118, v195, v95 /*v351*/
	s_set_vgpr_msb 0x55                     ;  msbs: dst=1 src0=1 src1=1 src2=1
	v_add3_u32 v145 /*v401*/, v75 /*v331*/, v155 /*v411*/, v156 /*v412*/
	s_set_vgpr_msb 4                        ;  msbs: dst=0 src0=0 src1=1 src2=0
	v_mul_i32_i24_e32 v120, v196, v120 /*v376*/
	s_set_vgpr_msb 0x44                     ;  msbs: dst=1 src0=0 src1=1 src2=0
	v_mul_i32_i24_e32 v76 /*v332*/, v197, v121 /*v377*/
	s_set_vgpr_msb 0x45                     ;  msbs: dst=1 src0=1 src1=1 src2=0
	v_mul_i32_i24_e32 v149 /*v405*/, v142 /*v398*/, v62 /*v318*/
	s_set_vgpr_msb 0x44                     ;  msbs: dst=1 src0=0 src1=1 src2=0
	v_mul_i32_i24_e32 v81 /*v337*/, v198, v122 /*v378*/
	s_set_vgpr_msb 5                        ;  msbs: dst=0 src0=1 src1=1 src2=0
	v_mad_u32 v96, v145 /*v401*/, v60 /*v316*/, v96
	s_set_vgpr_msb 0x54                     ;  msbs: dst=1 src0=0 src1=1 src2=1
	v_add3_u32 v145 /*v401*/, v98, v92 /*v348*/, v93 /*v349*/
	s_set_vgpr_msb 4                        ;  msbs: dst=0 src0=0 src1=1 src2=0
	v_mul_i32_i24_e32 v98, v189, v114 /*v370*/
	s_set_vgpr_msb 0x44                     ;  msbs: dst=1 src0=0 src1=1 src2=0
	v_mul_i32_i24_e32 v82 /*v338*/, v199, v96 /*v352*/
	s_set_vgpr_msb 0x55                     ;  msbs: dst=1 src0=1 src1=1 src2=1
	v_mul_i32_i24_e32 v147 /*v403*/, v139 /*v395*/, v65 /*v321*/
	v_mul_i32_i24_e32 v148 /*v404*/, v140 /*v396*/, v64 /*v320*/
	v_mad_i32_i24 v149 /*v405*/, v141 /*v397*/, v63 /*v319*/, v149 /*v405*/
	s_set_vgpr_msb 4                        ;  msbs: dst=0 src0=0 src1=1 src2=0
	v_mad_i32_i24 v98, v187, v115 /*v371*/, v98
	s_set_vgpr_msb 0x44                     ;  msbs: dst=1 src0=0 src1=1 src2=0
	v_mul_i32_i24_e32 v90 /*v346*/, v200, v123 /*v379*/
	v_mul_i32_i24_e32 v91 /*v347*/, v201, v124 /*v380*/
	s_set_vgpr_msb 0x45                     ;  msbs: dst=1 src0=1 src1=1 src2=0
	v_mul_i32_i24_e32 v75 /*v331*/, v137 /*v393*/, v67 /*v323*/
	v_mul_i32_i24_e32 v146 /*v402*/, v138 /*v394*/, v59 /*v315*/
	s_set_vgpr_msb 0                        ;  msbs: dst=0 src0=0 src1=0 src2=0
	v_add3_u32 v98, v98, v99, v101
	s_set_vgpr_msb 4                        ;  msbs: dst=0 src0=0 src1=1 src2=0
	v_mul_i32_i24_e32 v99, v192, v117 /*v373*/
	v_mul_i32_i24_e32 v101, v193, v118 /*v374*/
	s_set_vgpr_msb 0x55                     ;  msbs: dst=1 src0=1 src1=1 src2=1
	v_add3_u32 v147 /*v403*/, v149 /*v405*/, v148 /*v404*/, v147 /*v403*/
	s_set_vgpr_msb 0x44                     ;  msbs: dst=1 src0=0 src1=1 src2=0
	v_mul_i32_i24_e32 v92 /*v348*/, v202, v126 /*v382*/
	v_mul_i32_i24_e32 v93 /*v349*/, v203, v97 /*v353*/
	s_set_vgpr_msb 0                        ;  msbs: dst=0 src0=0 src1=0 src2=0
	v_cvt_f32_i32_e32 v96, v96
	v_add3_u32 v98, v98, v99, v101
	s_set_vgpr_msb 0x55                     ;  msbs: dst=1 src0=1 src1=1 src2=1
	v_add3_u32 v75 /*v331*/, v147 /*v403*/, v75 /*v331*/, v146 /*v402*/
	s_set_vgpr_msb 0                        ;  msbs: dst=0 src0=0 src1=0 src2=0
	s_delay_alu instid0(VALU_DEP_2) | instskip(SKIP_1) | instid1(VALU_DEP_1)
	v_add3_u32 v98, v98, v114, v118
	s_set_vgpr_msb 16                       ;  msbs: dst=0 src0=0 src1=0 src2=1
	v_add3_u32 v98, v98, v120, v76 /*v332*/
	s_set_vgpr_msb 20                       ;  msbs: dst=0 src0=0 src1=1 src2=1
	s_delay_alu instid0(VALU_DEP_1) | instskip(NEXT) | instid1(VALU_DEP_1)
	v_add3_u32 v98, v98, v81 /*v337*/, v82 /*v338*/
	v_add3_u32 v98, v98, v90 /*v346*/, v91 /*v347*/
	s_set_vgpr_msb 0x54                     ;  msbs: dst=1 src0=0 src1=1 src2=1
	s_delay_alu instid0(VALU_DEP_1) | instskip(SKIP_2) | instid1(VALU_DEP_1)
	v_add3_u32 v146 /*v402*/, v98, v92 /*v348*/, v93 /*v349*/
	s_set_vgpr_msb 0                        ;  msbs: dst=0 src0=0 src1=0 src2=0
	v_or_b32_e32 v98, s17, v149
	v_dual_lshlrev_b32 v99, 2, v98 :: v_dual_lshrrev_b32 v98, 1, v98
	s_set_vgpr_msb 64                       ;  msbs: dst=1 src0=0 src1=0 src2=0
	ds_load_b32 v76 /*v332*/, v98 offset:30368
	ds_load_b128 v[90:93] /*v[346:349]*/, v99 offset:16896
	ds_load_b128 v[116:119] /*v[372:375]*/, v99 offset:16912
	s_set_vgpr_msb 4                        ;  msbs: dst=0 src0=0 src1=1 src2=0
	ds_load_u16 v102, v102
	s_wait_dscnt 0x2
	v_ashrrev_i32_e32 v114, 24, v90 /*v346*/
	s_set_vgpr_msb 0x44                     ;  msbs: dst=1 src0=0 src1=1 src2=0
	v_ashrrev_i32_e32 v82 /*v338*/, 24, v91 /*v347*/
	s_set_vgpr_msb 1                        ;  msbs: dst=0 src0=1 src1=0 src2=0
	v_bfe_i32 v98, v90 /*v346*/, 0, 8
	v_bfe_i32 v99, v90 /*v346*/, 8, 8
	v_bfe_i32 v101, v90 /*v346*/, 16, 8
	v_bfe_i32 v118, v91 /*v347*/, 0, 8
	v_bfe_i32 v120, v91 /*v347*/, 8, 8
	s_set_vgpr_msb 0x41                     ;  msbs: dst=1 src0=1 src1=0 src2=0
	v_bfe_i32 v81 /*v337*/, v91 /*v347*/, 16, 8
	v_bfe_i32 v90 /*v346*/, v92 /*v348*/, 0, 8
	;; [unrolled: 1-line block ×4, first 2 shown]
	s_set_vgpr_msb 0x44                     ;  msbs: dst=1 src0=0 src1=1 src2=0
	v_ashrrev_i32_e32 v92 /*v348*/, 24, v92 /*v348*/
	s_set_vgpr_msb 0x41                     ;  msbs: dst=1 src0=1 src1=0 src2=0
	v_bfe_i32 v95 /*v351*/, v93 /*v349*/, 0, 8
	v_bfe_i32 v96 /*v352*/, v93 /*v349*/, 8, 8
	;; [unrolled: 1-line block ×3, first 2 shown]
	s_set_vgpr_msb 0x44                     ;  msbs: dst=1 src0=0 src1=1 src2=0
	v_ashrrev_i32_e32 v93 /*v349*/, 24, v93 /*v349*/
	s_set_vgpr_msb 0x41                     ;  msbs: dst=1 src0=1 src1=0 src2=0
	v_add_nc_u32_e32 v98 /*v354*/, v82 /*v338*/, v114
	s_set_vgpr_msb 64                       ;  msbs: dst=1 src0=0 src1=0 src2=0
	v_mul_i32_i24_e32 v103 /*v359*/, v224, v101
	v_mul_i32_i24_e32 v104 /*v360*/, v127, v114
	s_set_vgpr_msb 0x44                     ;  msbs: dst=1 src0=0 src1=1 src2=0
	v_mul_i32_i24_e32 v114 /*v370*/, v226, v81 /*v337*/
	v_mul_i32_i24_e32 v115 /*v371*/, v228, v82 /*v338*/
	s_set_vgpr_msb 0x55                     ;  msbs: dst=1 src0=1 src1=1 src2=1
	v_add3_u32 v147 /*v403*/, v98 /*v354*/, v92 /*v348*/, v93 /*v349*/
	s_set_vgpr_msb 0x41                     ;  msbs: dst=1 src0=1 src1=0 src2=0
	v_add_nc_u32_e32 v98 /*v354*/, v81 /*v337*/, v101
	s_set_vgpr_msb 0x44                     ;  msbs: dst=1 src0=0 src1=1 src2=0
	v_mul_i32_i24_e32 v123 /*v379*/, v230, v90 /*v346*/
	v_mul_i32_i24_e32 v124 /*v380*/, v232, v91 /*v347*/
	;; [unrolled: 1-line block ×4, first 2 shown]
	s_set_vgpr_msb 0x55                     ;  msbs: dst=1 src0=1 src1=1 src2=1
	v_add3_u32 v148 /*v404*/, v98 /*v354*/, v94 /*v350*/, v97 /*v353*/
	s_set_vgpr_msb 64                       ;  msbs: dst=1 src0=0 src1=0 src2=0
	v_add_nc_u32_e32 v98 /*v354*/, v120, v99
	s_set_vgpr_msb 0x44                     ;  msbs: dst=1 src0=0 src1=1 src2=0
	v_mul_i32_i24_e32 v152 /*v408*/, v239, v95 /*v351*/
	v_mul_i32_i24_e32 v153 /*v409*/, v241, v96 /*v352*/
	;; [unrolled: 1-line block ×4, first 2 shown]
	s_set_vgpr_msb 0x55                     ;  msbs: dst=1 src0=1 src1=1 src2=1
	v_add3_u32 v149 /*v405*/, v98 /*v354*/, v91 /*v347*/, v96 /*v352*/
	s_set_vgpr_msb 64                       ;  msbs: dst=1 src0=0 src1=0 src2=0
	v_add_nc_u32_e32 v98 /*v354*/, v118, v98
	s_wait_dscnt 0x1
	s_set_vgpr_msb 0x41                     ;  msbs: dst=1 src0=1 src1=0 src2=0
	v_bfe_i32 v120 /*v376*/, v116 /*v372*/, 0, 8
	v_bfe_i32 v121 /*v377*/, v116 /*v372*/, 8, 8
	;; [unrolled: 1-line block ×3, first 2 shown]
	s_set_vgpr_msb 0x55                     ;  msbs: dst=1 src0=1 src1=1 src2=1
	v_ashrrev_i32_e32 v116 /*v372*/, 24, v116 /*v372*/
	v_add3_u32 v150 /*v406*/, v98 /*v354*/, v90 /*v346*/, v95 /*v351*/
	s_set_vgpr_msb 64                       ;  msbs: dst=1 src0=0 src1=0 src2=0
	v_mul_i32_i24_e32 v98 /*v354*/, v121, v98
	s_set_vgpr_msb 0x44                     ;  msbs: dst=1 src0=0 src1=1 src2=0
	v_mul_i32_i24_e32 v156 /*v412*/, v216, v96 /*v352*/
	v_mul_i32_i24_e32 v157 /*v413*/, v217, v97 /*v353*/
	;; [unrolled: 1-line block ×3, first 2 shown]
	s_set_vgpr_msb 0x45                     ;  msbs: dst=1 src0=1 src1=1 src2=0
	v_mul_i32_i24_e32 v159 /*v415*/, v14 /*v270*/, v97 /*v353*/
	s_set_vgpr_msb 0x50                     ;  msbs: dst=1 src0=0 src1=0 src2=1
	v_mad_i32_i24 v98 /*v354*/, v119, v99, v98 /*v354*/
	s_set_vgpr_msb 0x44                     ;  msbs: dst=1 src0=0 src1=1 src2=0
	v_mul_i32_i24_e32 v160 /*v416*/, v209, v93 /*v349*/
	v_mul_i32_i24_e32 v93 /*v349*/, v188, v93 /*v349*/
	s_set_vgpr_msb 0x55                     ;  msbs: dst=1 src0=1 src1=1 src2=1
	v_bfe_i32 v168 /*v424*/, v118 /*v374*/, 16, 8
	v_bfe_i32 v169 /*v425*/, v119 /*v375*/, 0, 8
	v_add3_u32 v98 /*v354*/, v98 /*v354*/, v103 /*v359*/, v104 /*v360*/
	s_set_vgpr_msb 64                       ;  msbs: dst=1 src0=0 src1=0 src2=0
	v_mul_i32_i24_e32 v103 /*v359*/, v222, v118
	v_mul_i32_i24_e32 v104 /*v360*/, v225, v120
	s_set_vgpr_msb 0x41                     ;  msbs: dst=1 src0=1 src1=0 src2=0
	v_bfe_i32 v170 /*v426*/, v119 /*v375*/, 8, 8
	v_bfe_i32 v171 /*v427*/, v119 /*v375*/, 16, 8
	s_set_vgpr_msb 0x55                     ;  msbs: dst=1 src0=1 src1=1 src2=1
	v_ashrrev_i32_e32 v119 /*v375*/, 24, v119 /*v375*/
	v_mul_i32_i24_e32 v175 /*v431*/, v21 /*v277*/, v169 /*v425*/
	v_add3_u32 v98 /*v354*/, v98 /*v354*/, v103 /*v359*/, v104 /*v360*/
	v_mul_i32_i24_e32 v103 /*v359*/, v2 /*v258*/, v122 /*v378*/
	v_mul_i32_i24_e32 v104 /*v360*/, v4 /*v260*/, v116 /*v372*/
	;; [unrolled: 1-line block ×4, first 2 shown]
	v_add3_u32 v98 /*v354*/, v98 /*v354*/, v114 /*v370*/, v115 /*v371*/
	s_set_vgpr_msb 0x44                     ;  msbs: dst=1 src0=0 src1=1 src2=0
	v_mul_i32_i24_e32 v114 /*v370*/, v208, v81 /*v337*/
	v_mul_i32_i24_e32 v115 /*v371*/, v210, v82 /*v338*/
	;; [unrolled: 1-line block ×3, first 2 shown]
	s_set_vgpr_msb 0x55                     ;  msbs: dst=1 src0=1 src1=1 src2=1
	v_add3_u32 v98 /*v354*/, v98 /*v354*/, v123 /*v379*/, v124 /*v380*/
	s_set_vgpr_msb 0x44                     ;  msbs: dst=1 src0=0 src1=1 src2=0
	v_mul_i32_i24_e32 v124 /*v380*/, v211, v90 /*v346*/
	s_set_vgpr_msb 0x55                     ;  msbs: dst=1 src0=1 src1=1 src2=1
	s_delay_alu instid0(VALU_DEP_2) | instskip(NEXT) | instid1(VALU_DEP_1)
	v_add3_u32 v98 /*v354*/, v98 /*v354*/, v126 /*v382*/, v151 /*v407*/
	v_add3_u32 v98 /*v354*/, v98 /*v354*/, v152 /*v408*/, v153 /*v409*/
	s_set_vgpr_msb 0x44                     ;  msbs: dst=1 src0=0 src1=1 src2=0
	v_mul_i32_i24_e32 v152 /*v408*/, v212, v91 /*v347*/
	v_mul_i32_i24_e32 v153 /*v409*/, v213, v94 /*v350*/
	s_set_vgpr_msb 0x55                     ;  msbs: dst=1 src0=1 src1=1 src2=1
	v_add3_u32 v98 /*v354*/, v98 /*v354*/, v154 /*v410*/, v155 /*v411*/
	s_set_vgpr_msb 0x44                     ;  msbs: dst=1 src0=0 src1=1 src2=0
	v_mul_i32_i24_e32 v154 /*v410*/, v214, v92 /*v348*/
	v_mul_i32_i24_e32 v155 /*v411*/, v215, v95 /*v351*/
	s_set_vgpr_msb 0x45                     ;  msbs: dst=1 src0=1 src1=1 src2=0
	v_mul_lo_u32 v123 /*v379*/, v98 /*v354*/, v57 /*v313*/
	s_set_vgpr_msb 0x54                     ;  msbs: dst=1 src0=0 src1=1 src2=1
	v_mul_i32_i24_e32 v98 /*v354*/, v255, v120 /*v376*/
	s_delay_alu instid0(VALU_DEP_1) | instskip(SKIP_1) | instid1(VALU_DEP_1)
	v_mad_i32_i24 v98 /*v354*/, v251, v121 /*v377*/, v98 /*v354*/
	s_set_vgpr_msb 0x55                     ;  msbs: dst=1 src0=1 src1=1 src2=1
	v_add3_u32 v126 /*v382*/, v98 /*v354*/, v103 /*v359*/, v104 /*v360*/
	v_mul_i32_i24_e32 v104 /*v360*/, v150 /*v406*/, v72 /*v328*/
	v_mul_i32_i24_e32 v98 /*v354*/, v147 /*v403*/, v56 /*v312*/
	;; [unrolled: 1-line block ×3, first 2 shown]
	s_delay_alu instid0(VALU_DEP_3) | instskip(NEXT) | instid1(VALU_DEP_1)
	v_mad_i32_i24 v104 /*v360*/, v149 /*v405*/, v70 /*v326*/, v104 /*v360*/
	v_add3_u32 v151 /*v407*/, v104 /*v360*/, v103 /*v359*/, v98 /*v354*/
	s_set_vgpr_msb 0x50                     ;  msbs: dst=1 src0=0 src1=0 src2=1
	v_mul_i32_i24_e32 v98 /*v354*/, v125, v98
	v_mul_i32_i24_e32 v103 /*v359*/, v206, v101
	;; [unrolled: 1-line block ×3, first 2 shown]
	s_delay_alu instid0(VALU_DEP_3) | instskip(SKIP_1) | instid1(VALU_DEP_1)
	v_mad_i32_i24 v98 /*v354*/, v123, v99, v98 /*v354*/
	s_set_vgpr_msb 0x55                     ;  msbs: dst=1 src0=1 src1=1 src2=1
	v_add3_u32 v98 /*v354*/, v98 /*v354*/, v103 /*v359*/, v104 /*v360*/
	s_set_vgpr_msb 64                       ;  msbs: dst=1 src0=0 src1=0 src2=0
	v_mul_i32_i24_e32 v103 /*v359*/, v205, v118
	v_mul_i32_i24_e32 v104 /*v360*/, v207, v120
	s_set_vgpr_msb 0x55                     ;  msbs: dst=1 src0=1 src1=1 src2=1
	s_delay_alu instid0(VALU_DEP_1)
	v_add3_u32 v98 /*v354*/, v98 /*v354*/, v103 /*v359*/, v104 /*v360*/
	s_set_vgpr_msb 0x44                     ;  msbs: dst=1 src0=0 src1=1 src2=0
	v_mul_i32_i24_e32 v103 /*v359*/, v221, v122 /*v378*/
	v_mul_i32_i24_e32 v104 /*v360*/, v223, v116 /*v372*/
	s_set_vgpr_msb 0x55                     ;  msbs: dst=1 src0=1 src1=1 src2=1
	v_add3_u32 v98 /*v354*/, v98 /*v354*/, v114 /*v370*/, v115 /*v371*/
	s_set_vgpr_msb 0x44                     ;  msbs: dst=1 src0=0 src1=1 src2=0
	v_mul_i32_i24_e32 v114 /*v370*/, v254, v81 /*v337*/
	s_set_vgpr_msb 0x55                     ;  msbs: dst=1 src0=1 src1=1 src2=1
	v_mul_i32_i24_e32 v115 /*v371*/, v0 /*v256*/, v82 /*v338*/
	v_add3_u32 v98 /*v354*/, v98 /*v354*/, v124 /*v380*/, v152 /*v408*/
	v_mul_i32_i24_e32 v124 /*v380*/, v1 /*v257*/, v90 /*v346*/
	s_delay_alu instid0(VALU_DEP_2) | instskip(SKIP_1) | instid1(VALU_DEP_2)
	v_add3_u32 v98 /*v354*/, v98 /*v354*/, v153 /*v409*/, v154 /*v410*/
	v_mul_i32_i24_e32 v154 /*v410*/, v3 /*v259*/, v91 /*v347*/
	v_add3_u32 v98 /*v354*/, v98 /*v354*/, v155 /*v411*/, v156 /*v412*/
	v_mul_i32_i24_e32 v155 /*v411*/, v5 /*v261*/, v94 /*v350*/
	v_mul_i32_i24_e32 v156 /*v412*/, v7 /*v263*/, v92 /*v348*/
	s_delay_alu instid0(VALU_DEP_3)
	v_add3_u32 v152 /*v408*/, v98 /*v354*/, v157 /*v413*/, v158 /*v414*/
	s_set_vgpr_msb 0x44                     ;  msbs: dst=1 src0=0 src1=1 src2=0
	v_mul_i32_i24_e32 v98 /*v354*/, v220, v120 /*v376*/
	s_set_vgpr_msb 0x45                     ;  msbs: dst=1 src0=1 src1=1 src2=0
	v_mul_i32_i24_e32 v157 /*v413*/, v10 /*v266*/, v95 /*v351*/
	v_mul_i32_i24_e32 v158 /*v414*/, v12 /*v268*/, v96 /*v352*/
	s_set_vgpr_msb 0x54                     ;  msbs: dst=1 src0=0 src1=1 src2=1
	v_mad_i32_i24 v98 /*v354*/, v219, v121 /*v377*/, v98 /*v354*/
	s_set_vgpr_msb 0x55                     ;  msbs: dst=1 src0=1 src1=1 src2=1
	s_delay_alu instid0(VALU_DEP_1)
	v_add3_u32 v153 /*v409*/, v98 /*v354*/, v103 /*v359*/, v104 /*v360*/
	s_set_vgpr_msb 64                       ;  msbs: dst=1 src0=0 src1=0 src2=0
	v_mul_i32_i24_e32 v98 /*v354*/, v243, v98
	s_set_vgpr_msb 0                        ;  msbs: dst=0 src0=0 src1=0 src2=0
	v_mul_i32_i24_e32 v98, v173, v98
	s_set_vgpr_msb 64                       ;  msbs: dst=1 src0=0 src1=0 src2=0
	v_mul_i32_i24_e32 v103 /*v359*/, v252, v101
	v_mul_i32_i24_e32 v104 /*v360*/, v248, v114
	s_set_vgpr_msb 0                        ;  msbs: dst=0 src0=0 src1=0 src2=0
	v_mul_i32_i24_e32 v101, v176, v101
	v_mul_i32_i24_e32 v114, v174, v114
	v_mad_i32_i24 v98, v172, v99, v98
	s_set_vgpr_msb 0x50                     ;  msbs: dst=1 src0=0 src1=0 src2=1
	v_mad_i32_i24 v98 /*v354*/, v238, v99, v98 /*v354*/
	s_set_vgpr_msb 0                        ;  msbs: dst=0 src0=0 src1=0 src2=0
	v_mul_i32_i24_e32 v99, v175, v118
	v_add3_u32 v98, v98, v101, v114
	v_mul_i32_i24_e32 v101, v177, v120
	s_set_vgpr_msb 0x55                     ;  msbs: dst=1 src0=1 src1=1 src2=1
	v_add3_u32 v98 /*v354*/, v98 /*v354*/, v103 /*v359*/, v104 /*v360*/
	s_set_vgpr_msb 64                       ;  msbs: dst=1 src0=0 src1=0 src2=0
	v_mul_i32_i24_e32 v103 /*v359*/, v250, v118
	v_mul_i32_i24_e32 v104 /*v360*/, v253, v120
	s_set_vgpr_msb 4                        ;  msbs: dst=0 src0=0 src1=1 src2=0
	v_mul_i32_i24_e32 v114, v178, v81 /*v337*/
	v_mul_i32_i24_e32 v118, v179, v82 /*v338*/
	s_set_vgpr_msb 0                        ;  msbs: dst=0 src0=0 src1=0 src2=0
	v_add3_u32 v98, v98, v99, v101
	s_set_vgpr_msb 4                        ;  msbs: dst=0 src0=0 src1=1 src2=0
	v_mul_i32_i24_e32 v120, v180, v90 /*v346*/
	s_set_vgpr_msb 0x55                     ;  msbs: dst=1 src0=1 src1=1 src2=1
	v_add3_u32 v98 /*v354*/, v98 /*v354*/, v103 /*v359*/, v104 /*v360*/
	s_set_vgpr_msb 0x44                     ;  msbs: dst=1 src0=0 src1=1 src2=0
	v_mul_i32_i24_e32 v81 /*v337*/, v181, v91 /*v347*/
	v_mul_i32_i24_e32 v82 /*v338*/, v182, v94 /*v350*/
	s_set_vgpr_msb 0                        ;  msbs: dst=0 src0=0 src1=0 src2=0
	v_add3_u32 v98, v98, v114, v118
	s_set_vgpr_msb 0x44                     ;  msbs: dst=1 src0=0 src1=1 src2=0
	v_mul_i32_i24_e32 v90 /*v346*/, v183, v92 /*v348*/
	s_set_vgpr_msb 0x55                     ;  msbs: dst=1 src0=1 src1=1 src2=1
	v_add3_u32 v98 /*v354*/, v98 /*v354*/, v114 /*v370*/, v115 /*v371*/
	s_set_vgpr_msb 0x44                     ;  msbs: dst=1 src0=0 src1=1 src2=0
	v_mul_i32_i24_e32 v91 /*v347*/, v184, v95 /*v351*/
	v_mul_i32_i24_e32 v92 /*v348*/, v185, v96 /*v352*/
	s_set_vgpr_msb 16                       ;  msbs: dst=0 src0=0 src1=0 src2=1
	v_add3_u32 v98, v98, v120, v81 /*v337*/
	s_set_vgpr_msb 0x44                     ;  msbs: dst=1 src0=0 src1=1 src2=0
	v_mul_i32_i24_e32 v94 /*v350*/, v186, v97 /*v353*/
	s_set_vgpr_msb 0x55                     ;  msbs: dst=1 src0=1 src1=1 src2=1
	v_add3_u32 v98 /*v354*/, v98 /*v354*/, v124 /*v380*/, v154 /*v410*/
	s_set_vgpr_msb 4                        ;  msbs: dst=0 src0=0 src1=1 src2=0
	v_mul_i32_i24_e32 v99, v190, v122 /*v378*/
	s_wait_dscnt 0x0
	s_set_vgpr_msb 64                       ;  msbs: dst=1 src0=0 src1=0 src2=0
	v_lshrrev_b16 v81 /*v337*/, 8, v102
	s_set_vgpr_msb 20                       ;  msbs: dst=0 src0=0 src1=1 src2=1
	v_add3_u32 v98, v98, v82 /*v338*/, v90 /*v346*/
	s_set_vgpr_msb 64                       ;  msbs: dst=1 src0=0 src1=0 src2=0
	v_bfe_u32 v90 /*v346*/, v102, 4, 4
	s_set_vgpr_msb 0x55                     ;  msbs: dst=1 src0=1 src1=1 src2=1
	v_add3_u32 v98 /*v354*/, v98 /*v354*/, v155 /*v411*/, v156 /*v412*/
	v_mul_i32_i24_e32 v103 /*v359*/, v23 /*v279*/, v122 /*v378*/
	v_and_b32_e32 v82 /*v338*/, 0xffff, v81 /*v337*/
	s_set_vgpr_msb 20                       ;  msbs: dst=0 src0=0 src1=1 src2=1
	v_add3_u32 v98, v98, v91 /*v347*/, v92 /*v348*/
	s_set_vgpr_msb 0x55                     ;  msbs: dst=1 src0=1 src1=1 src2=1
	v_mul_lo_u32 v90 /*v346*/, 0x1010101, v90 /*v346*/
	v_add3_u32 v98 /*v354*/, v98 /*v354*/, v157 /*v413*/, v158 /*v414*/
	v_dual_lshrrev_b32 v82 /*v338*/, 4, v82 /*v338*/ :: v_dual_bitop2_b32 v81 /*v337*/, 15, v81 /*v337*/ bitop3:0x40
	s_set_vgpr_msb 0x54                     ;  msbs: dst=1 src0=0 src1=1 src2=1
	v_add3_u32 v157 /*v413*/, v98, v94 /*v350*/, v93 /*v349*/
	s_set_vgpr_msb 4                        ;  msbs: dst=0 src0=0 src1=1 src2=0
	v_mul_i32_i24_e32 v98, v189, v120 /*v376*/
	s_set_vgpr_msb 0x55                     ;  msbs: dst=1 src0=1 src1=1 src2=1
	v_add3_u32 v98 /*v354*/, v98 /*v354*/, v159 /*v415*/, v160 /*v416*/
	s_set_vgpr_msb 0                        ;  msbs: dst=0 src0=0 src1=0 src2=0
	v_and_b32_e32 v102, 15, v102
	s_set_vgpr_msb 0x44                     ;  msbs: dst=1 src0=0 src1=1 src2=0
	v_mul_lo_u32 v161 /*v417*/, 0x1010101, v82 /*v338*/
	s_set_vgpr_msb 4                        ;  msbs: dst=0 src0=0 src1=1 src2=0
	v_mad_i32_i24 v98, v187, v121 /*v377*/, v98
	s_set_vgpr_msb 0x45                     ;  msbs: dst=1 src0=1 src1=1 src2=0
	v_mul_lo_u32 v154 /*v410*/, v98 /*v354*/, v66 /*v322*/
	v_mul_i32_i24_e32 v98 /*v354*/, v20 /*v276*/, v120 /*v376*/
	v_lshrrev_b32_e32 v96 /*v352*/, 24, v90 /*v346*/
	s_set_vgpr_msb 4                        ;  msbs: dst=0 src0=0 src1=1 src2=0
	v_mul_i32_i24_e32 v101, v191, v116 /*v372*/
	s_set_vgpr_msb 0x55                     ;  msbs: dst=1 src0=1 src1=1 src2=1
	v_mul_i32_i24_e32 v104 /*v360*/, v25 /*v281*/, v116 /*v372*/
	v_bfe_i32 v93 /*v349*/, v90 /*v346*/, 0, 8
	v_mad_i32_i24 v98 /*v354*/, v18 /*v274*/, v121 /*v377*/, v98 /*v354*/
	v_bfe_i32 v94 /*v350*/, v90 /*v346*/, 8, 8
	s_set_vgpr_msb 0                        ;  msbs: dst=0 src0=0 src1=0 src2=0
	v_add3_u32 v118, v98, v99, v101
	v_or_b32_e32 v98, s17, v150
	v_cvt_f32_f16_e32 v99, v94
	s_set_vgpr_msb 0x55                     ;  msbs: dst=1 src0=1 src1=1 src2=1
	v_add3_u32 v155 /*v411*/, v98 /*v354*/, v103 /*v359*/, v104 /*v360*/
	v_mul_i32_i24_e32 v104 /*v360*/, v150 /*v406*/, v62 /*v318*/
	s_set_vgpr_msb 0                        ;  msbs: dst=0 src0=0 src1=0 src2=0
	v_lshrrev_b32_e32 v94, 16, v94
	v_lshlrev_b32_e32 v120, 2, v98
	s_set_vgpr_msb 64                       ;  msbs: dst=1 src0=0 src1=0 src2=0
	v_lshrrev_b32_e32 v158 /*v414*/, 1, v98
	s_set_vgpr_msb 0                        ;  msbs: dst=0 src0=0 src1=0 src2=0
	v_or_b32_e32 v98, s17, v151
	s_set_vgpr_msb 0x41                     ;  msbs: dst=1 src0=1 src1=0 src2=0
	v_bfe_i32 v95 /*v351*/, v90 /*v346*/, 16, 8
	s_set_vgpr_msb 0x44                     ;  msbs: dst=1 src0=0 src1=1 src2=0
	v_mul_i32_i24_e32 v92 /*v348*/, v124, v93 /*v349*/
	s_set_vgpr_msb 0x55                     ;  msbs: dst=1 src0=1 src1=1 src2=1
	v_mul_i32_i24_e32 v98 /*v354*/, v147 /*v403*/, v65 /*v321*/
	v_mul_i32_i24_e32 v103 /*v359*/, v148 /*v404*/, v64 /*v320*/
	v_mad_i32_i24 v104 /*v360*/, v149 /*v405*/, v63 /*v319*/, v104 /*v360*/
	s_set_vgpr_msb 0                        ;  msbs: dst=0 src0=0 src1=0 src2=0
	v_cvt_f32_f16_e32 v101, v94
	s_set_vgpr_msb 0x54                     ;  msbs: dst=1 src0=0 src1=1 src2=1
	v_mul_i32_i24_e32 v82 /*v338*/, v110, v96 /*v352*/
	v_mul_i32_i24_e32 v91 /*v347*/, v111, v95 /*v351*/
	v_mad_i32_i24 v92 /*v348*/, v122, v94 /*v350*/, v92 /*v348*/
	s_set_vgpr_msb 0x55                     ;  msbs: dst=1 src0=1 src1=1 src2=1
	v_add3_u32 v156 /*v412*/, v104 /*v360*/, v103 /*v359*/, v98 /*v354*/
	s_set_vgpr_msb 0                        ;  msbs: dst=0 src0=0 src1=0 src2=0
	v_mov_b32_e32 v114, v101
	s_set_vgpr_msb 64                       ;  msbs: dst=1 src0=0 src1=0 src2=0
	v_and_b32_e32 v98 /*v354*/, 0xffff, v102
	s_set_vgpr_msb 5                        ;  msbs: dst=0 src0=1 src1=1 src2=0
	v_mul_i32_i24_e32 v102, v84 /*v340*/, v96 /*v352*/
	s_set_vgpr_msb 0x55                     ;  msbs: dst=1 src0=1 src1=1 src2=1
	v_add3_u32 v104 /*v360*/, v92 /*v348*/, v91 /*v347*/, v82 /*v338*/
	v_mul_i32_i24_e32 v82 /*v338*/, v87 /*v343*/, v93 /*v349*/
	v_and_b32_e32 v92 /*v348*/, 0xffff, v81 /*v337*/
	v_mul_i32_i24_e32 v81 /*v337*/, v85 /*v341*/, v95 /*v351*/
	v_bfe_i32 v97 /*v353*/, v161 /*v417*/, 0, 8
	v_bfe_i32 v90 /*v346*/, v161 /*v417*/, 8, 8
	v_mad_i32_i24 v82 /*v338*/, v86 /*v342*/, v94 /*v350*/, v82 /*v338*/
	v_mul_i32_i24_e32 v91 /*v347*/, v140 /*v396*/, v95 /*v351*/
	s_set_vgpr_msb 64                       ;  msbs: dst=1 src0=0 src1=0 src2=0
	v_dual_lshlrev_b32 v159 /*v415*/, 2, v98 :: v_dual_lshrrev_b32 v160 /*v416*/, 1, v98
	s_set_vgpr_msb 0                        ;  msbs: dst=0 src0=0 src1=0 src2=0
	v_dual_mov_b32 v94, v99 :: v_dual_bitop2_b32 v98, s17, v152 bitop3:0x54
	s_set_vgpr_msb 0x45                     ;  msbs: dst=1 src0=1 src1=1 src2=0
	v_add3_u32 v163 /*v419*/, v82 /*v338*/, v81 /*v337*/, v102
	s_set_vgpr_msb 4                        ;  msbs: dst=0 src0=0 src1=1 src2=0
	v_mul_i32_i24_e32 v102, v218, v88 /*v344*/
	s_set_vgpr_msb 0x44                     ;  msbs: dst=1 src0=0 src1=1 src2=0
	v_mul_i32_i24_e32 v81 /*v337*/, v109, v113 /*v369*/
	s_set_vgpr_msb 0x45                     ;  msbs: dst=1 src0=1 src1=1 src2=0
	v_mul_i32_i24_e32 v82 /*v338*/, v109 /*v365*/, v93 /*v349*/
	v_mul_i32_i24_e32 v162 /*v418*/, v83 /*v339*/, v97 /*v353*/
	s_set_vgpr_msb 64                       ;  msbs: dst=1 src0=0 src1=0 src2=0
	v_dual_lshlrev_b32 v114 /*v370*/, 2, v98 :: v_dual_lshrrev_b32 v115 /*v371*/, 1, v98
	s_set_vgpr_msb 0x55                     ;  msbs: dst=1 src0=1 src1=1 src2=1
	v_add3_u32 v81 /*v337*/, v108 /*v364*/, v89 /*v345*/, v81 /*v337*/
	s_set_vgpr_msb 5                        ;  msbs: dst=0 src0=1 src1=1 src2=0
	v_add3_u32 v102, v100 /*v356*/, v99 /*v355*/, v102
	s_set_vgpr_msb 0x55                     ;  msbs: dst=1 src0=1 src1=1 src2=1
	v_mad_i32_i24 v82 /*v338*/, v111 /*v367*/, v94 /*v350*/, v82 /*v338*/
	v_mul_i32_i24_e32 v99 /*v355*/, v142 /*v398*/, v93 /*v349*/
	v_mul_i32_i24_e32 v89 /*v345*/, v139 /*v395*/, v96 /*v352*/
	v_mul_lo_u32 v165 /*v421*/, v81 /*v337*/, v98 /*v354*/
	s_set_vgpr_msb 0x44                     ;  msbs: dst=1 src0=0 src1=1 src2=0
	v_mul_lo_u32 v164 /*v420*/, v102, v92 /*v348*/
	s_set_vgpr_msb 5                        ;  msbs: dst=0 src0=1 src1=1 src2=0
	v_mul_i32_i24_e32 v102, v112 /*v368*/, v96 /*v352*/
	s_set_vgpr_msb 0x55                     ;  msbs: dst=1 src0=1 src1=1 src2=1
	v_mul_i32_i24_e32 v81 /*v337*/, v110 /*v366*/, v95 /*v351*/
	v_mad_i32_i24 v99 /*v355*/, v141 /*v397*/, v94 /*v350*/, v99 /*v355*/
	v_ashrrev_i32_e32 v108 /*v364*/, 24, v117 /*v373*/
	v_bfe_i32 v100 /*v356*/, v117 /*v373*/, 16, 8
	s_set_vgpr_msb 0                        ;  msbs: dst=0 src0=0 src1=0 src2=0
	v_cvt_f32_f16_e32 v98, v100
	s_set_vgpr_msb 0x45                     ;  msbs: dst=1 src0=1 src1=1 src2=0
	v_add3_u32 v166 /*v422*/, v82 /*v338*/, v81 /*v337*/, v102
	s_set_vgpr_msb 5                        ;  msbs: dst=0 src0=1 src1=1 src2=0
	v_mul_lo_u32 v102, v128 /*v384*/, v98 /*v354*/
	s_set_vgpr_msb 0x55                     ;  msbs: dst=1 src0=1 src1=1 src2=1
	v_mul_i32_i24_e32 v81 /*v337*/, v137 /*v393*/, v97 /*v353*/
	v_mul_i32_i24_e32 v82 /*v338*/, v138 /*v394*/, v90 /*v346*/
	v_add3_u32 v89 /*v345*/, v99 /*v355*/, v91 /*v347*/, v89 /*v345*/
	v_bfe_i32 v99 /*v355*/, v117 /*v373*/, 8, 8
	v_mul_i32_i24_e32 v128 /*v384*/, v17 /*v273*/, v168 /*v424*/
	s_set_vgpr_msb 0                        ;  msbs: dst=0 src0=0 src1=0 src2=0
	v_lshrrev_b32_e32 v100, 16, v100
	s_set_vgpr_msb 0x44                     ;  msbs: dst=1 src0=0 src1=1 src2=0
	v_mul_i32_i24_e32 v103 /*v359*/, v108, v97 /*v353*/
	s_set_vgpr_msb 0x55                     ;  msbs: dst=1 src0=1 src1=1 src2=1
	v_add3_u32 v167 /*v423*/, v89 /*v345*/, v81 /*v337*/, v82 /*v338*/
	v_bfe_i32 v89 /*v345*/, v117 /*v373*/, 0, 8
	v_bfe_i32 v117 /*v373*/, v118 /*v374*/, 0, 8
	s_set_vgpr_msb 5                        ;  msbs: dst=0 src0=1 src1=1 src2=0
	v_mad_u32 v102, v144 /*v400*/, v92 /*v348*/, v102
	s_set_vgpr_msb 0x41                     ;  msbs: dst=1 src0=1 src1=0 src2=0
	v_bfe_i32 v144 /*v400*/, v118 /*v374*/, 8, 8
	s_set_vgpr_msb 0x45                     ;  msbs: dst=1 src0=1 src1=1 src2=0
	v_ashrrev_i32_e32 v118 /*v374*/, 24, v118 /*v374*/
	v_mul_i32_i24_e32 v91 /*v347*/, v9 /*v265*/, v99 /*v355*/
	s_set_vgpr_msb 0                        ;  msbs: dst=0 src0=0 src1=0 src2=0
	v_cvt_f32_f16_e32 v100, v100
	s_set_vgpr_msb 0x45                     ;  msbs: dst=1 src0=1 src1=1 src2=0
	v_mul_i32_i24_e32 v174 /*v430*/, v19 /*v275*/, v118 /*v374*/
	s_set_vgpr_msb 64                       ;  msbs: dst=1 src0=0 src1=0 src2=0
	v_cvt_f32_i32_e32 v124 /*v380*/, v102
	s_set_vgpr_msb 5                        ;  msbs: dst=0 src0=1 src1=1 src2=0
	v_add_nc_u32_e32 v102, v108 /*v364*/, v116 /*v372*/
	s_set_vgpr_msb 0x45                     ;  msbs: dst=1 src0=1 src1=1 src2=0
	v_mul_i32_i24_e32 v116 /*v372*/, v11 /*v267*/, v100 /*v356*/
	s_set_vgpr_msb 0x54                     ;  msbs: dst=1 src0=0 src1=1 src2=1
	s_delay_alu instid0(VALU_DEP_2)
	v_add3_u32 v81 /*v337*/, v102, v118 /*v374*/, v119 /*v375*/
	s_set_vgpr_msb 5                        ;  msbs: dst=0 src0=1 src1=1 src2=0
	v_add_nc_u32_e32 v102, v100 /*v356*/, v122 /*v378*/
	s_set_vgpr_msb 0x45                     ;  msbs: dst=1 src0=1 src1=1 src2=0
	v_mul_i32_i24_e32 v122 /*v378*/, v16 /*v272*/, v144 /*v400*/
	s_set_vgpr_msb 0x54                     ;  msbs: dst=1 src0=0 src1=1 src2=1
	s_delay_alu instid0(VALU_DEP_2)
	v_add3_u32 v82 /*v338*/, v102, v168 /*v424*/, v171 /*v427*/
	;; [unrolled: 7-line block ×3, first 2 shown]
	s_set_vgpr_msb 5                        ;  msbs: dst=0 src0=1 src1=1 src2=0
	v_add_nc_u32_e32 v102, v99 /*v355*/, v121 /*v377*/
	s_set_vgpr_msb 0x45                     ;  msbs: dst=1 src0=1 src1=1 src2=0
	v_mul_i32_i24_e32 v121 /*v377*/, v15 /*v271*/, v117 /*v373*/
	s_set_vgpr_msb 0x54                     ;  msbs: dst=1 src0=0 src1=1 src2=1
	s_delay_alu instid0(VALU_DEP_2) | instskip(SKIP_3) | instid1(VALU_DEP_1)
	v_add3_u32 v173 /*v429*/, v102, v144 /*v400*/, v170 /*v426*/
	s_set_vgpr_msb 5                        ;  msbs: dst=0 src0=1 src1=1 src2=0
	v_mul_i32_i24_e32 v102, v6 /*v262*/, v89 /*v345*/
	s_set_vgpr_msb 17                       ;  msbs: dst=0 src0=1 src1=0 src2=1
	v_add3_u32 v102, v126 /*v382*/, v102, v91 /*v347*/
	s_set_vgpr_msb 0x45                     ;  msbs: dst=1 src0=1 src1=1 src2=0
	v_mul_i32_i24_e32 v91 /*v347*/, v172 /*v428*/, v58 /*v314*/
	s_set_vgpr_msb 20                       ;  msbs: dst=0 src0=0 src1=1 src2=1
	s_delay_alu instid0(VALU_DEP_2)
	v_add3_u32 v102, v102, v116 /*v372*/, v120 /*v376*/
	s_set_vgpr_msb 0x45                     ;  msbs: dst=1 src0=1 src1=1 src2=0
	v_mul_i32_i24_e32 v116 /*v372*/, v173 /*v429*/, v55 /*v311*/
	s_set_vgpr_msb 0x44                     ;  msbs: dst=1 src0=0 src1=1 src2=0
	v_mul_i32_i24_e32 v120 /*v376*/, v231, v100 /*v356*/
	s_set_vgpr_msb 20                       ;  msbs: dst=0 src0=0 src1=1 src2=1
	v_add3_u32 v102, v102, v121 /*v377*/, v122 /*v378*/
	s_set_vgpr_msb 0x55                     ;  msbs: dst=1 src0=1 src1=1 src2=1
	v_add3_u32 v151 /*v407*/, v151 /*v407*/, v91 /*v347*/, v116 /*v372*/
	s_set_vgpr_msb 0x44                     ;  msbs: dst=1 src0=0 src1=1 src2=0
	v_mul_i32_i24_e32 v91 /*v347*/, v227, v89 /*v345*/
	v_mul_i32_i24_e32 v116 /*v372*/, v229, v99 /*v355*/
	v_mul_i32_i24_e32 v121 /*v377*/, v233, v108 /*v364*/
	s_set_vgpr_msb 20                       ;  msbs: dst=0 src0=0 src1=1 src2=1
	v_add3_u32 v102, v102, v128 /*v384*/, v174 /*v430*/
	s_set_vgpr_msb 0x44                     ;  msbs: dst=1 src0=0 src1=1 src2=0
	v_mul_i32_i24_e32 v122 /*v378*/, v235, v117 /*v373*/
	v_mul_i32_i24_e32 v128 /*v384*/, v240, v168 /*v424*/
	s_set_vgpr_msb 0x55                     ;  msbs: dst=1 src0=1 src1=1 src2=1
	v_add3_u32 v91 /*v347*/, v153 /*v409*/, v91 /*v347*/, v116 /*v372*/
	s_set_vgpr_msb 0x44                     ;  msbs: dst=1 src0=0 src1=1 src2=0
	v_mul_i32_i24_e32 v174 /*v430*/, v245, v169 /*v425*/
	s_set_vgpr_msb 20                       ;  msbs: dst=0 src0=0 src1=1 src2=1
	v_add3_u32 v102, v102, v175 /*v431*/, v176 /*v432*/
	s_set_vgpr_msb 0x44                     ;  msbs: dst=1 src0=0 src1=1 src2=0
	v_mul_i32_i24_e32 v175 /*v431*/, v247, v170 /*v426*/
	v_mul_i32_i24_e32 v176 /*v432*/, v249, v171 /*v427*/
	s_set_vgpr_msb 0x55                     ;  msbs: dst=1 src0=1 src1=1 src2=1
	v_add3_u32 v91 /*v347*/, v91 /*v347*/, v120 /*v376*/, v121 /*v377*/
	v_mul_i32_i24_e32 v121 /*v377*/, v147 /*v403*/, v96 /*v352*/
	s_set_vgpr_msb 20                       ;  msbs: dst=0 src0=0 src1=1 src2=1
	v_add3_u32 v102, v102, v177 /*v433*/, v178 /*v434*/
	s_set_vgpr_msb 0x44                     ;  msbs: dst=1 src0=0 src1=1 src2=0
	v_mul_i32_i24_e32 v177 /*v433*/, v218, v119 /*v375*/
	s_set_vgpr_msb 0x45                     ;  msbs: dst=1 src0=1 src1=1 src2=0
	v_mul_i32_i24_e32 v116 /*v372*/, v172 /*v428*/, v97 /*v353*/
	v_mul_i32_i24_e32 v120 /*v376*/, v173 /*v429*/, v90 /*v346*/
	;; [unrolled: 1-line block ×3, first 2 shown]
	s_set_vgpr_msb 20                       ;  msbs: dst=0 src0=0 src1=1 src2=1
	v_mad_u32 v102, v102, v54 /*v310*/, v123 /*v379*/
	s_set_vgpr_msb 0x44                     ;  msbs: dst=1 src0=0 src1=1 src2=0
	v_mul_i32_i24_e32 v123 /*v379*/, v237, v144 /*v400*/
	s_set_vgpr_msb 0x55                     ;  msbs: dst=1 src0=1 src1=1 src2=1
	s_delay_alu instid0(VALU_DEP_1)
	v_add3_u32 v91 /*v347*/, v91 /*v347*/, v122 /*v378*/, v123 /*v379*/
	v_mul_i32_i24_e32 v123 /*v379*/, v150 /*v406*/, v93 /*v349*/
	v_mul_i32_i24_e32 v122 /*v378*/, v148 /*v404*/, v95 /*v351*/
	s_set_vgpr_msb 64                       ;  msbs: dst=1 src0=0 src1=0 src2=0
	v_cvt_f32_i32_e32 v126 /*v382*/, v102
	s_set_vgpr_msb 5                        ;  msbs: dst=0 src0=1 src1=1 src2=0
	v_mul_lo_u32 v102, v152 /*v408*/, v98 /*v354*/
	s_set_vgpr_msb 0x44                     ;  msbs: dst=1 src0=0 src1=1 src2=0
	v_mul_i32_i24_e32 v152 /*v408*/, v242, v118 /*v374*/
	s_set_vgpr_msb 0x55                     ;  msbs: dst=1 src0=1 src1=1 src2=1
	v_mad_i32_i24 v123 /*v379*/, v149 /*v405*/, v94 /*v350*/, v123 /*v379*/
	s_set_vgpr_msb 0x44                     ;  msbs: dst=1 src0=0 src1=1 src2=0
	v_mul_i32_i24_e32 v118 /*v374*/, v199, v118 /*v374*/
	s_set_vgpr_msb 0x55                     ;  msbs: dst=1 src0=1 src1=1 src2=1
	v_add3_u32 v91 /*v347*/, v91 /*v347*/, v128 /*v384*/, v152 /*v408*/
	v_add3_u32 v121 /*v377*/, v123 /*v379*/, v122 /*v378*/, v121 /*v377*/
	v_mul_i32_i24_e32 v122 /*v378*/, v31 /*v287*/, v144 /*v400*/
	v_mul_i32_i24_e32 v123 /*v379*/, v32 /*v288*/, v168 /*v424*/
	s_delay_alu instid0(VALU_DEP_4) | instskip(NEXT) | instid1(VALU_DEP_4)
	v_add3_u32 v91 /*v347*/, v91 /*v347*/, v174 /*v430*/, v175 /*v431*/
	v_add3_u32 v152 /*v408*/, v121 /*v377*/, v116 /*v372*/, v120 /*v376*/
	v_mul_i32_i24_e32 v116 /*v372*/, v28 /*v284*/, v100 /*v356*/
	v_mul_i32_i24_e32 v120 /*v376*/, v29 /*v285*/, v108 /*v364*/
	s_set_vgpr_msb 0x44                     ;  msbs: dst=1 src0=0 src1=1 src2=0
	v_mul_i32_i24_e32 v100 /*v356*/, v194, v100 /*v356*/
	s_set_vgpr_msb 0x55                     ;  msbs: dst=1 src0=1 src1=1 src2=1
	v_add3_u32 v91 /*v347*/, v91 /*v347*/, v176 /*v432*/, v177 /*v433*/
	s_set_vgpr_msb 0x44                     ;  msbs: dst=1 src0=0 src1=1 src2=0
	v_mul_i32_i24_e32 v108 /*v364*/, v195, v108 /*v364*/
	s_set_vgpr_msb 0x45                     ;  msbs: dst=1 src0=1 src1=1 src2=0
	v_mul_i32_i24_e32 v121 /*v377*/, v30 /*v286*/, v117 /*v373*/
	v_mul_i32_i24_e32 v177 /*v433*/, v8 /*v264*/, v119 /*v375*/
	s_set_vgpr_msb 0x44                     ;  msbs: dst=1 src0=0 src1=1 src2=0
	v_mul_i32_i24_e32 v119 /*v375*/, v203, v119 /*v375*/
	s_set_vgpr_msb 5                        ;  msbs: dst=0 src0=1 src1=1 src2=0
	v_mad_u32 v102, v91 /*v347*/, v92 /*v348*/, v102
	s_set_vgpr_msb 0x45                     ;  msbs: dst=1 src0=1 src1=1 src2=0
	v_mul_i32_i24_e32 v91 /*v347*/, v27 /*v283*/, v99 /*v355*/
	s_set_vgpr_msb 0x44                     ;  msbs: dst=1 src0=0 src1=1 src2=0
	v_mul_i32_i24_e32 v99 /*v355*/, v193, v99 /*v355*/
	s_set_vgpr_msb 0x45                     ;  msbs: dst=1 src0=1 src1=1 src2=0
	v_mul_i32_i24_e32 v174 /*v430*/, v34 /*v290*/, v169 /*v425*/
	v_mul_i32_i24_e32 v175 /*v431*/, v35 /*v291*/, v170 /*v426*/
	;; [unrolled: 1-line block ×3, first 2 shown]
	s_set_vgpr_msb 64                       ;  msbs: dst=1 src0=0 src1=0 src2=0
	v_cvt_f32_i32_e32 v128 /*v384*/, v102
	s_set_vgpr_msb 5                        ;  msbs: dst=0 src0=1 src1=1 src2=0
	v_mul_i32_i24_e32 v102, v26 /*v282*/, v89 /*v345*/
	s_set_vgpr_msb 0x44                     ;  msbs: dst=1 src0=0 src1=1 src2=0
	v_mul_i32_i24_e32 v89 /*v345*/, v192, v89 /*v345*/
	s_set_vgpr_msb 17                       ;  msbs: dst=0 src0=1 src1=0 src2=1
	s_delay_alu instid0(VALU_DEP_2)
	v_add3_u32 v102, v155 /*v411*/, v102, v91 /*v347*/
	s_set_vgpr_msb 0x45                     ;  msbs: dst=1 src0=1 src1=1 src2=0
	v_mul_i32_i24_e32 v91 /*v347*/, v172 /*v428*/, v67 /*v323*/
	s_set_vgpr_msb 20                       ;  msbs: dst=0 src0=0 src1=1 src2=1
	v_add3_u32 v118, v118, v89 /*v345*/, v99 /*v355*/
	v_add3_u32 v102, v102, v116 /*v372*/, v120 /*v376*/
	s_set_vgpr_msb 0x45                     ;  msbs: dst=1 src0=1 src1=1 src2=0
	v_mul_i32_i24_e32 v116 /*v372*/, v173 /*v429*/, v59 /*v315*/
	s_set_vgpr_msb 20                       ;  msbs: dst=0 src0=0 src1=1 src2=1
	v_add3_u32 v118, v118, v100 /*v356*/, v108 /*v364*/
	s_set_vgpr_msb 0x44                     ;  msbs: dst=1 src0=0 src1=1 src2=0
	v_mul_i32_i24_e32 v120 /*v376*/, v198, v168 /*v424*/
	s_set_vgpr_msb 20                       ;  msbs: dst=0 src0=0 src1=1 src2=1
	v_add3_u32 v102, v102, v121 /*v377*/, v122 /*v378*/
	s_set_vgpr_msb 0x55                     ;  msbs: dst=1 src0=1 src1=1 src2=1
	v_add3_u32 v91 /*v347*/, v156 /*v412*/, v91 /*v347*/, v116 /*v372*/
	s_set_vgpr_msb 0x44                     ;  msbs: dst=1 src0=0 src1=1 src2=0
	v_mul_i32_i24_e32 v116 /*v372*/, v196, v117 /*v373*/
	v_mul_i32_i24_e32 v117 /*v373*/, v197, v144 /*v400*/
	;; [unrolled: 1-line block ×4, first 2 shown]
	s_set_vgpr_msb 20                       ;  msbs: dst=0 src0=0 src1=1 src2=1
	v_add3_u32 v102, v102, v123 /*v379*/, v153 /*v409*/
	s_set_vgpr_msb 0x44                     ;  msbs: dst=1 src0=0 src1=1 src2=0
	v_mul_i32_i24_e32 v123 /*v379*/, v202, v171 /*v427*/
	s_set_vgpr_msb 20                       ;  msbs: dst=0 src0=0 src1=1 src2=1
	v_add3_u32 v118, v118, v116 /*v372*/, v117 /*v373*/
	v_add3_u32 v102, v102, v174 /*v430*/, v175 /*v431*/
	s_delay_alu instid0(VALU_DEP_2) | instskip(NEXT) | instid1(VALU_DEP_2)
	v_add3_u32 v118, v118, v120 /*v376*/, v118 /*v374*/
	v_add3_u32 v102, v102, v176 /*v432*/, v177 /*v433*/
	s_delay_alu instid0(VALU_DEP_2) | instskip(NEXT) | instid1(VALU_DEP_2)
	v_add3_u32 v118, v118, v121 /*v377*/, v122 /*v378*/
	v_mad_u32 v102, v102, v60 /*v316*/, v154 /*v410*/
	s_set_vgpr_msb 0x54                     ;  msbs: dst=1 src0=0 src1=1 src2=1
	s_delay_alu instid0(VALU_DEP_2)
	v_add3_u32 v144 /*v400*/, v118, v123 /*v379*/, v119 /*v375*/
	s_set_vgpr_msb 0x41                     ;  msbs: dst=1 src0=1 src1=0 src2=0
	ds_load_b32 v89 /*v345*/, v158 /*v414*/ offset:30368
	s_set_vgpr_msb 64                       ;  msbs: dst=1 src0=0 src1=0 src2=0
	ds_load_b128 v[116:119] /*v[372:375]*/, v120 offset:16896
	ds_load_b128 v[120:123] /*v[376:379]*/, v120 offset:16912
	s_set_vgpr_msb 0                        ;  msbs: dst=0 src0=0 src1=0 src2=0
	v_cvt_f32_i32_e32 v102, v102
	s_wait_dscnt 0x1
	s_set_vgpr_msb 1                        ;  msbs: dst=0 src0=1 src1=0 src2=0
	v_bfe_i32 v118, v116 /*v372*/, 0, 8
	v_bfe_i32 v120, v116 /*v372*/, 8, 8
	s_set_vgpr_msb 0x41                     ;  msbs: dst=1 src0=1 src1=0 src2=0
	v_bfe_i32 v99 /*v355*/, v116 /*v372*/, 16, 8
	s_set_vgpr_msb 0x44                     ;  msbs: dst=1 src0=0 src1=1 src2=0
	v_ashrrev_i32_e32 v100 /*v356*/, 24, v116 /*v372*/
	s_set_vgpr_msb 0x41                     ;  msbs: dst=1 src0=1 src1=0 src2=0
	v_bfe_i32 v108 /*v364*/, v117 /*v373*/, 0, 8
	s_set_vgpr_msb 64                       ;  msbs: dst=1 src0=0 src1=0 src2=0
	v_mul_i32_i24_e32 v169 /*v425*/, v121, v118
	s_set_vgpr_msb 0x41                     ;  msbs: dst=1 src0=1 src1=0 src2=0
	v_bfe_i32 v116 /*v372*/, v117 /*v373*/, 8, 8
	s_set_vgpr_msb 0x44                     ;  msbs: dst=1 src0=0 src1=1 src2=0
	v_mul_i32_i24_e32 v170 /*v426*/, v224, v99 /*v355*/
	v_mul_i32_i24_e32 v171 /*v427*/, v127, v100 /*v356*/
	s_set_vgpr_msb 0x41                     ;  msbs: dst=1 src0=1 src1=0 src2=0
	v_bfe_i32 v153 /*v409*/, v117 /*v373*/, 16, 8
	s_set_vgpr_msb 0x50                     ;  msbs: dst=1 src0=0 src1=0 src2=1
	v_mad_i32_i24 v169 /*v425*/, v119, v120, v169 /*v425*/
	s_set_vgpr_msb 0x44                     ;  msbs: dst=1 src0=0 src1=1 src2=0
	v_ashrrev_i32_e32 v117 /*v373*/, 24, v117 /*v373*/
	s_set_vgpr_msb 0x41                     ;  msbs: dst=1 src0=1 src1=0 src2=0
	v_add_nc_u32_e32 v168 /*v424*/, v108 /*v364*/, v118
	v_add_nc_u32_e32 v158 /*v414*/, v116 /*v372*/, v120
	s_set_vgpr_msb 0x55                     ;  msbs: dst=1 src0=1 src1=1 src2=1
	v_add_nc_u32_e32 v156 /*v412*/, v153 /*v409*/, v99 /*v355*/
	v_add3_u32 v169 /*v425*/, v169 /*v425*/, v170 /*v426*/, v171 /*v427*/
	s_set_vgpr_msb 0x44                     ;  msbs: dst=1 src0=0 src1=1 src2=0
	v_mul_i32_i24_e32 v170 /*v426*/, v222, v108 /*v364*/
	v_mul_i32_i24_e32 v171 /*v427*/, v225, v116 /*v372*/
	;; [unrolled: 1-line block ×5, first 2 shown]
	s_set_vgpr_msb 0x55                     ;  msbs: dst=1 src0=1 src1=1 src2=1
	v_add_nc_u32_e32 v155 /*v411*/, v117 /*v373*/, v100 /*v356*/
	v_add3_u32 v169 /*v425*/, v169 /*v425*/, v170 /*v426*/, v171 /*v427*/
	s_set_vgpr_msb 64                       ;  msbs: dst=1 src0=0 src1=0 src2=0
	v_mul_i32_i24_e32 v170 /*v426*/, v125, v118
	s_set_vgpr_msb 0x44                     ;  msbs: dst=1 src0=0 src1=1 src2=0
	v_mul_i32_i24_e32 v171 /*v427*/, v206, v99 /*v355*/
	s_set_vgpr_msb 0x55                     ;  msbs: dst=1 src0=1 src1=1 src2=1
	v_mul_i32_i24_e32 v179 /*v435*/, v0 /*v256*/, v117 /*v373*/
	v_bfe_i32 v154 /*v410*/, v118 /*v374*/, 0, 8
	v_add3_u32 v169 /*v425*/, v169 /*v425*/, v174 /*v430*/, v175 /*v431*/
	s_set_vgpr_msb 0x44                     ;  msbs: dst=1 src0=0 src1=1 src2=0
	v_mul_i32_i24_e32 v174 /*v430*/, v204, v100 /*v356*/
	s_set_vgpr_msb 0x50                     ;  msbs: dst=1 src0=0 src1=0 src2=1
	v_mad_i32_i24 v170 /*v426*/, v123, v120, v170 /*v426*/
	s_set_vgpr_msb 0x44                     ;  msbs: dst=1 src0=0 src1=1 src2=0
	v_mul_i32_i24_e32 v175 /*v431*/, v208, v153 /*v409*/
	v_mul_i32_i24_e32 v176 /*v432*/, v230, v154 /*v410*/
	v_mul_i32_i24_e32 v178 /*v434*/, v211, v154 /*v410*/
	s_set_vgpr_msb 0x55                     ;  msbs: dst=1 src0=1 src1=1 src2=1
	v_mul_i32_i24_e32 v180 /*v436*/, v1 /*v257*/, v154 /*v410*/
	v_add3_u32 v170 /*v426*/, v170 /*v426*/, v171 /*v427*/, v174 /*v430*/
	s_set_vgpr_msb 0x44                     ;  msbs: dst=1 src0=0 src1=1 src2=0
	v_mul_i32_i24_e32 v171 /*v427*/, v205, v108 /*v364*/
	v_mul_i32_i24_e32 v174 /*v430*/, v207, v116 /*v372*/
	s_set_vgpr_msb 0x55                     ;  msbs: dst=1 src0=1 src1=1 src2=1
	s_delay_alu instid0(VALU_DEP_1)
	v_add3_u32 v170 /*v426*/, v170 /*v426*/, v171 /*v427*/, v174 /*v430*/
	s_set_vgpr_msb 64                       ;  msbs: dst=1 src0=0 src1=0 src2=0
	v_mul_i32_i24_e32 v171 /*v427*/, v243, v118
	s_set_vgpr_msb 0                        ;  msbs: dst=0 src0=0 src1=0 src2=0
	v_mul_i32_i24_e32 v118, v173, v118
	s_set_vgpr_msb 0x44                     ;  msbs: dst=1 src0=0 src1=1 src2=0
	v_mul_i32_i24_e32 v174 /*v430*/, v252, v99 /*v355*/
	v_mul_i32_i24_e32 v99 /*v355*/, v176, v99 /*v355*/
	s_set_vgpr_msb 0x55                     ;  msbs: dst=1 src0=1 src1=1 src2=1
	v_add3_u32 v170 /*v426*/, v170 /*v426*/, v175 /*v431*/, v177 /*v433*/
	s_set_vgpr_msb 0x44                     ;  msbs: dst=1 src0=0 src1=1 src2=0
	v_mul_i32_i24_e32 v175 /*v431*/, v248, v100 /*v356*/
	v_mul_i32_i24_e32 v100 /*v356*/, v174, v100 /*v356*/
	s_set_vgpr_msb 0                        ;  msbs: dst=0 src0=0 src1=0 src2=0
	v_mad_i32_i24 v118, v172, v120, v118
	s_set_vgpr_msb 0x50                     ;  msbs: dst=1 src0=0 src1=0 src2=1
	v_mad_i32_i24 v171 /*v427*/, v238, v120, v171 /*v427*/
	s_set_vgpr_msb 4                        ;  msbs: dst=0 src0=0 src1=1 src2=0
	v_mul_i32_i24_e32 v120, v175, v108 /*v364*/
	s_set_vgpr_msb 0x44                     ;  msbs: dst=1 src0=0 src1=1 src2=0
	v_mul_i32_i24_e32 v177 /*v433*/, v254, v153 /*v409*/
	s_set_vgpr_msb 20                       ;  msbs: dst=0 src0=0 src1=1 src2=1
	v_add3_u32 v118, v118, v99 /*v355*/, v100 /*v356*/
	s_set_vgpr_msb 0x44                     ;  msbs: dst=1 src0=0 src1=1 src2=0
	v_mul_i32_i24_e32 v99 /*v355*/, v177, v116 /*v372*/
	s_set_vgpr_msb 0x55                     ;  msbs: dst=1 src0=1 src1=1 src2=1
	v_add3_u32 v171 /*v427*/, v171 /*v427*/, v174 /*v430*/, v175 /*v431*/
	s_set_vgpr_msb 0x44                     ;  msbs: dst=1 src0=0 src1=1 src2=0
	v_mul_i32_i24_e32 v174 /*v430*/, v250, v108 /*v364*/
	v_mul_i32_i24_e32 v175 /*v431*/, v253, v116 /*v372*/
	;; [unrolled: 1-line block ×4, first 2 shown]
	s_set_vgpr_msb 16                       ;  msbs: dst=0 src0=0 src1=0 src2=1
	v_add3_u32 v118, v118, v120, v99 /*v355*/
	s_set_vgpr_msb 0x55                     ;  msbs: dst=1 src0=1 src1=1 src2=1
	v_lshrrev_b32_e32 v99 /*v355*/, 24, v161 /*v417*/
	v_add3_u32 v171 /*v427*/, v171 /*v427*/, v174 /*v430*/, v175 /*v431*/
	v_lshrrev_b32_e32 v175 /*v431*/, 24, v107 /*v363*/
	s_set_vgpr_msb 0x54                     ;  msbs: dst=1 src0=0 src1=1 src2=1
	v_mul_i32_i24_e32 v153 /*v409*/, v180, v154 /*v410*/
	v_add3_u32 v174 /*v430*/, v118, v100 /*v356*/, v108 /*v364*/
	s_set_vgpr_msb 0x41                     ;  msbs: dst=1 src0=1 src1=0 src2=0
	v_bfe_i32 v100 /*v356*/, v161 /*v417*/, 16, 8
	v_bfe_i32 v161 /*v417*/, v107 /*v363*/, 16, 8
	s_set_vgpr_msb 5                        ;  msbs: dst=0 src0=1 src1=1 src2=0
	v_mul_i32_i24_e32 v118, v49 /*v305*/, v175 /*v431*/
	v_mul_i32_i24_e32 v120, v51 /*v307*/, v175 /*v431*/
	s_set_vgpr_msb 0x55                     ;  msbs: dst=1 src0=1 src1=1 src2=1
	v_add3_u32 v171 /*v427*/, v171 /*v427*/, v177 /*v433*/, v179 /*v435*/
	s_set_vgpr_msb 64                       ;  msbs: dst=1 src0=0 src1=0 src2=0
	v_bfe_i32 v177 /*v433*/, v2, 0, 8
	s_set_vgpr_msb 0x45                     ;  msbs: dst=1 src0=1 src1=1 src2=0
	v_mul_i32_i24_e32 v107 /*v363*/, v50 /*v306*/, v161 /*v417*/
	v_mul_i32_i24_e32 v108 /*v364*/, v52 /*v308*/, v161 /*v417*/
	s_set_vgpr_msb 64                       ;  msbs: dst=1 src0=0 src1=0 src2=0
	v_ashrrev_i32_e32 v179 /*v435*/, 24, v3
	s_set_vgpr_msb 0x45                     ;  msbs: dst=1 src0=1 src1=1 src2=0
	v_mul_i32_i24_e32 v187 /*v443*/, v15 /*v271*/, v177 /*v433*/
	s_set_vgpr_msb 4                        ;  msbs: dst=0 src0=0 src1=1 src2=0
	v_add3_u32 v117, v117, v107 /*v363*/, v118
	v_add3_u32 v115, v115, v108 /*v364*/, v120
	v_bfe_i32 v120, v1, 0, 8
	v_bfe_i32 v118, v1, 16, 8
	s_set_vgpr_msb 0x44                     ;  msbs: dst=1 src0=0 src1=1 src2=0
	v_mul_i32_i24_e32 v194 /*v450*/, v246, v179 /*v435*/
	v_cvt_f32_i32_e32 v117 /*v373*/, v117
	v_cvt_f32_i32_e32 v116 /*v372*/, v115
	s_set_vgpr_msb 0x41                     ;  msbs: dst=1 src0=1 src1=0 src2=0
	v_mul_i32_i24_e32 v185 /*v441*/, v11 /*v267*/, v118
	s_set_vgpr_msb 4                        ;  msbs: dst=0 src0=0 src1=1 src2=0
	s_delay_alu instid0(VALU_DEP_2) | instskip(SKIP_3) | instid1(VALU_DEP_2)
	v_pk_mul_f32 v[114:115], v[114:115], v[116:117] /*v[372:373]*/ op_sel_hi:[0,1]
	s_set_vgpr_msb 64                       ;  msbs: dst=1 src0=0 src1=0 src2=0
	v_ashrrev_i32_e32 v116 /*v372*/, 24, v1
	s_set_vgpr_msb 0                        ;  msbs: dst=0 src0=0 src1=0 src2=0
	v_pk_fma_f32 v[104:105], v[94:95], v[104:105], v[114:115] op_sel_hi:[0,1,1] neg_lo:[0,0,1] neg_hi:[0,0,1]
	v_lshrrev_b16 v94, 8, v1
	v_bfe_i32 v114, v0, 16, 8
	v_bfe_i32 v115, v0, 0, 8
	s_set_vgpr_msb 64                       ;  msbs: dst=1 src0=0 src1=0 src2=0
	v_ashrrev_i32_e32 v117 /*v373*/, 24, v2
	s_set_vgpr_msb 0                        ;  msbs: dst=0 src0=0 src1=0 src2=0
	v_pk_fma_f32 v[78:79], v[90:91], v[104:105], v[78:79]
	v_lshrrev_b16 v90, 8, v0
	v_lshrrev_b16 v104, 8, v2
	;; [unrolled: 1-line block ×3, first 2 shown]
	v_bfe_i32 v94, v94, 0, 8
	s_set_vgpr_msb 64                       ;  msbs: dst=1 src0=0 src1=0 src2=0
	v_add_nc_u32_e32 v108 /*v364*/, v120, v115
	s_set_vgpr_msb 0                        ;  msbs: dst=0 src0=0 src1=0 src2=0
	v_bfe_i32 v90, v90, 0, 8
	v_ashrrev_i32_e32 v117, 24, v0
	v_bfe_i32 v104, v104, 0, 8
	v_bfe_i32 v105, v105, 0, 8
	s_set_vgpr_msb 0x55                     ;  msbs: dst=1 src0=1 src1=1 src2=1
	v_add3_u32 v182 /*v438*/, v108 /*v364*/, v177 /*v433*/, v181 /*v437*/
	s_set_vgpr_msb 0                        ;  msbs: dst=0 src0=0 src1=0 src2=0
	v_add_nc_u32_e32 v0, v94, v90
	s_set_vgpr_msb 1                        ;  msbs: dst=0 src0=1 src1=0 src2=0
	v_add_nc_u32_e32 v1, v116 /*v372*/, v117
	s_set_vgpr_msb 0x41                     ;  msbs: dst=1 src0=1 src1=0 src2=0
	v_mul_i32_i24_e32 v184 /*v440*/, v4 /*v260*/, v117
	s_set_vgpr_msb 0x45                     ;  msbs: dst=1 src0=1 src1=1 src2=0
	v_mul_i32_i24_e32 v186 /*v442*/, v13 /*v269*/, v116 /*v372*/
	s_set_vgpr_msb 0                        ;  msbs: dst=0 src0=0 src1=0 src2=0
	v_bfe_i32 v2, v2, 16, 8
	s_set_vgpr_msb 64                       ;  msbs: dst=1 src0=0 src1=0 src2=0
	v_add3_u32 v183 /*v439*/, v0, v104, v105
	s_set_vgpr_msb 0                        ;  msbs: dst=0 src0=0 src1=0 src2=0
	v_mul_i32_i24_e32 v0, v255, v115
	s_set_vgpr_msb 0x54                     ;  msbs: dst=1 src0=0 src1=1 src2=1
	v_add3_u32 v108 /*v364*/, v1, v117 /*v373*/, v179 /*v435*/
	s_set_vgpr_msb 1                        ;  msbs: dst=0 src0=1 src1=0 src2=0
	v_mul_i32_i24_e32 v1, v2 /*v258*/, v114
	s_set_vgpr_msb 0x41                     ;  msbs: dst=1 src0=1 src1=0 src2=0
	v_mul_i32_i24_e32 v188 /*v444*/, v16 /*v272*/, v104
	v_mul_i32_i24_e32 v189 /*v445*/, v17 /*v273*/, v2
	s_set_vgpr_msb 0                        ;  msbs: dst=0 src0=0 src1=0 src2=0
	v_mad_i32_i24 v0, v251, v90, v0
	s_set_vgpr_msb 0x45                     ;  msbs: dst=1 src0=1 src1=1 src2=0
	v_mul_i32_i24_e32 v190 /*v446*/, v19 /*v275*/, v117 /*v373*/
	s_set_vgpr_msb 0                        ;  msbs: dst=0 src0=0 src1=0 src2=0
	v_bfe_i32 v3, v3, 16, 8
	s_set_vgpr_msb 0x41                     ;  msbs: dst=1 src0=1 src1=0 src2=0
	v_mul_i32_i24_e32 v192 /*v448*/, v22 /*v278*/, v105
	s_set_vgpr_msb 64                       ;  msbs: dst=1 src0=0 src1=0 src2=0
	v_mul_i32_i24_e32 v196 /*v452*/, v247, v105
	s_set_vgpr_msb 16                       ;  msbs: dst=0 src0=0 src1=0 src2=1
	v_add3_u32 v0, v0, v1, v184 /*v440*/
	s_set_vgpr_msb 1                        ;  msbs: dst=0 src0=1 src1=0 src2=0
	v_mul_i32_i24_e32 v1, v6 /*v262*/, v120
	s_set_vgpr_msb 0x41                     ;  msbs: dst=1 src0=1 src1=0 src2=0
	v_mul_i32_i24_e32 v184 /*v440*/, v9 /*v265*/, v94
	v_mul_i32_i24_e32 v193 /*v449*/, v24 /*v280*/, v3
	;; [unrolled: 1-line block ×4, first 2 shown]
	s_set_vgpr_msb 64                       ;  msbs: dst=1 src0=0 src1=0 src2=0
	v_add_nc_u32_e32 v107 /*v363*/, v118, v114
	s_set_vgpr_msb 16                       ;  msbs: dst=0 src0=0 src1=0 src2=1
	v_add3_u32 v0, v0, v1, v184 /*v440*/
	v_mul_i32_i24_e32 v1, v221, v114
	s_set_vgpr_msb 64                       ;  msbs: dst=1 src0=0 src1=0 src2=0
	v_mul_i32_i24_e32 v197 /*v453*/, v249, v3
	s_set_vgpr_msb 0                        ;  msbs: dst=0 src0=0 src1=0 src2=0
	v_mul_i32_i24_e32 v105, v201, v105
	s_set_vgpr_msb 0x41                     ;  msbs: dst=1 src0=1 src1=0 src2=0
	v_add3_u32 v107 /*v363*/, v107 /*v363*/, v2, v3
	s_set_vgpr_msb 20                       ;  msbs: dst=0 src0=0 src1=1 src2=1
	v_add3_u32 v0, v0, v185 /*v441*/, v186 /*v442*/
	s_set_vgpr_msb 0x45                     ;  msbs: dst=1 src0=1 src1=1 src2=0
	v_mul_i32_i24_e32 v185 /*v441*/, v108 /*v364*/, v175 /*v431*/
	v_mul_i32_i24_e32 v184 /*v440*/, v183 /*v439*/, v55 /*v311*/
	;; [unrolled: 1-line block ×3, first 2 shown]
	s_set_vgpr_msb 20                       ;  msbs: dst=0 src0=0 src1=1 src2=1
	v_add3_u32 v0, v0, v187 /*v443*/, v188 /*v444*/
	s_set_vgpr_msb 64                       ;  msbs: dst=1 src0=0 src1=0 src2=0
	v_mul_i32_i24_e32 v188 /*v444*/, v223, v117
	s_set_vgpr_msb 0x45                     ;  msbs: dst=1 src0=1 src1=1 src2=0
	v_mul_i32_i24_e32 v187 /*v443*/, v107 /*v363*/, v161 /*v417*/
	s_set_vgpr_msb 20                       ;  msbs: dst=0 src0=0 src1=1 src2=1
	v_add3_u32 v0, v0, v189 /*v445*/, v190 /*v446*/
	s_set_vgpr_msb 64                       ;  msbs: dst=1 src0=0 src1=0 src2=0
	v_mul_i32_i24_e32 v189 /*v445*/, v231, v118
	s_set_vgpr_msb 0x44                     ;  msbs: dst=1 src0=0 src1=1 src2=0
	v_mul_i32_i24_e32 v190 /*v446*/, v233, v116 /*v372*/
	s_set_vgpr_msb 20                       ;  msbs: dst=0 src0=0 src1=1 src2=1
	v_add3_u32 v0, v0, v191 /*v447*/, v192 /*v448*/
	s_set_vgpr_msb 0x44                     ;  msbs: dst=1 src0=0 src1=1 src2=0
	v_mul_i32_i24_e32 v191 /*v447*/, v235, v177 /*v433*/
	s_set_vgpr_msb 64                       ;  msbs: dst=1 src0=0 src1=0 src2=0
	v_mul_i32_i24_e32 v192 /*v448*/, v237, v104
	s_set_vgpr_msb 20                       ;  msbs: dst=0 src0=0 src1=1 src2=1
	v_add3_u32 v0, v0, v193 /*v449*/, v194 /*v450*/
	s_set_vgpr_msb 64                       ;  msbs: dst=1 src0=0 src1=0 src2=0
	v_mul_i32_i24_e32 v193 /*v449*/, v240, v2
	s_set_vgpr_msb 0x44                     ;  msbs: dst=1 src0=0 src1=1 src2=0
	v_mul_i32_i24_e32 v194 /*v450*/, v242, v117 /*v373*/
	s_set_vgpr_msb 20                       ;  msbs: dst=0 src0=0 src1=1 src2=1
	v_mad_u32 v0, v0, v54 /*v310*/, v127 /*v383*/
	s_set_vgpr_msb 64                       ;  msbs: dst=1 src0=0 src1=0 src2=0
	s_delay_alu instid0(VALU_DEP_1) | instskip(SKIP_2) | instid1(VALU_DEP_1)
	v_cvt_f32_i32_e32 v127 /*v383*/, v0
	s_set_vgpr_msb 0                        ;  msbs: dst=0 src0=0 src1=0 src2=0
	v_mul_i32_i24_e32 v0, v220, v115
	v_mad_i32_i24 v0, v219, v90, v0
	s_set_vgpr_msb 16                       ;  msbs: dst=0 src0=0 src1=0 src2=1
	s_delay_alu instid0(VALU_DEP_1) | instskip(SKIP_4) | instid1(VALU_DEP_1)
	v_add3_u32 v0, v0, v1, v188 /*v444*/
	v_mul_i32_i24_e32 v1, v227, v120
	s_set_vgpr_msb 64                       ;  msbs: dst=1 src0=0 src1=0 src2=0
	v_mul_i32_i24_e32 v188 /*v444*/, v229, v94
	s_set_vgpr_msb 16                       ;  msbs: dst=0 src0=0 src1=0 src2=1
	v_add3_u32 v0, v0, v1, v188 /*v444*/
	s_set_vgpr_msb 1                        ;  msbs: dst=0 src0=1 src1=0 src2=0
	v_mul_i32_i24_e32 v1, v23 /*v279*/, v114
	s_set_vgpr_msb 0                        ;  msbs: dst=0 src0=0 src1=0 src2=0
	v_mul_i32_i24_e32 v114, v190, v114
	s_set_vgpr_msb 20                       ;  msbs: dst=0 src0=0 src1=1 src2=1
	v_add3_u32 v0, v0, v189 /*v445*/, v190 /*v446*/
	s_set_vgpr_msb 0x41                     ;  msbs: dst=1 src0=1 src1=0 src2=0
	v_mul_i32_i24_e32 v189 /*v445*/, v25 /*v281*/, v117
	v_mul_i32_i24_e32 v190 /*v446*/, v28 /*v284*/, v118
	s_set_vgpr_msb 20                       ;  msbs: dst=0 src0=0 src1=1 src2=1
	v_add3_u32 v0, v0, v191 /*v447*/, v192 /*v448*/
	s_set_vgpr_msb 0x45                     ;  msbs: dst=1 src0=1 src1=1 src2=0
	v_mul_i32_i24_e32 v191 /*v447*/, v29 /*v285*/, v116 /*v372*/
	v_mul_i32_i24_e32 v192 /*v448*/, v30 /*v286*/, v177 /*v433*/
	s_set_vgpr_msb 20                       ;  msbs: dst=0 src0=0 src1=1 src2=1
	v_add3_u32 v0, v0, v193 /*v449*/, v194 /*v450*/
	s_set_vgpr_msb 0x41                     ;  msbs: dst=1 src0=1 src1=0 src2=0
	v_mul_i32_i24_e32 v193 /*v449*/, v31 /*v287*/, v104
	v_mul_i32_i24_e32 v194 /*v450*/, v32 /*v288*/, v2
	s_set_vgpr_msb 0                        ;  msbs: dst=0 src0=0 src1=0 src2=0
	v_mul_i32_i24_e32 v104, v197, v104
	v_mul_i32_i24_e32 v2, v198, v2
	s_set_vgpr_msb 0x54                     ;  msbs: dst=1 src0=0 src1=1 src2=1
	v_add3_u32 v188 /*v444*/, v0, v195 /*v451*/, v196 /*v452*/
	s_set_vgpr_msb 1                        ;  msbs: dst=0 src0=1 src1=0 src2=0
	v_mul_i32_i24_e32 v0, v20 /*v276*/, v115
	s_set_vgpr_msb 0x45                     ;  msbs: dst=1 src0=1 src1=1 src2=0
	v_mul_i32_i24_e32 v195 /*v451*/, v33 /*v289*/, v117 /*v373*/
	v_mul_i32_i24_e32 v196 /*v452*/, v34 /*v290*/, v181 /*v437*/
	s_set_vgpr_msb 1                        ;  msbs: dst=0 src0=1 src1=0 src2=0
	v_mad_i32_i24 v0, v18 /*v274*/, v90, v0
	s_set_vgpr_msb 16                       ;  msbs: dst=0 src0=0 src1=0 src2=1
	s_delay_alu instid0(VALU_DEP_1)
	v_add3_u32 v0, v0, v1, v189 /*v445*/
	s_set_vgpr_msb 1                        ;  msbs: dst=0 src0=1 src1=0 src2=0
	v_mul_i32_i24_e32 v1, v26 /*v282*/, v120
	s_set_vgpr_msb 0x41                     ;  msbs: dst=1 src0=1 src1=0 src2=0
	v_mul_i32_i24_e32 v189 /*v445*/, v27 /*v283*/, v94
	s_set_vgpr_msb 16                       ;  msbs: dst=0 src0=0 src1=0 src2=1
	v_mul_i32_i24_e32 v94, v193, v94
	s_delay_alu instid0(VALU_DEP_2)
	v_add3_u32 v0, v0, v1, v189 /*v445*/
	s_set_vgpr_msb 5                        ;  msbs: dst=0 src0=1 src1=1 src2=0
	v_mul_i32_i24_e32 v1, v8 /*v264*/, v179 /*v435*/
	s_set_vgpr_msb 0x44                     ;  msbs: dst=1 src0=0 src1=1 src2=0
	v_mul_i32_i24_e32 v189 /*v445*/, v209, v79 /*v335*/
	s_set_vgpr_msb 20                       ;  msbs: dst=0 src0=0 src1=1 src2=1
	v_add3_u32 v0, v0, v190 /*v446*/, v191 /*v447*/
	s_set_vgpr_msb 17                       ;  msbs: dst=0 src0=1 src1=0 src2=1
	s_delay_alu instid0(VALU_DEP_2)
	v_add3_u32 v113, v125 /*v381*/, v113, v189 /*v445*/
	s_set_vgpr_msb 0x45                     ;  msbs: dst=1 src0=1 src1=1 src2=0
	v_mul_i32_i24_e32 v125 /*v381*/, v183 /*v439*/, v59 /*v315*/
	v_mul_i32_i24_e32 v189 /*v445*/, v80 /*v336*/, v59 /*v315*/
	s_set_vgpr_msb 20                       ;  msbs: dst=0 src0=0 src1=1 src2=1
	v_add3_u32 v0, v0, v192 /*v448*/, v193 /*v449*/
	s_set_vgpr_msb 0x55                     ;  msbs: dst=1 src0=1 src1=1 src2=1
	s_delay_alu instid0(VALU_DEP_2) | instskip(SKIP_1) | instid1(VALU_DEP_2)
	v_add3_u32 v130 /*v386*/, v131 /*v387*/, v130 /*v386*/, v189 /*v445*/
	s_set_vgpr_msb 20                       ;  msbs: dst=0 src0=0 src1=1 src2=1
	v_add3_u32 v0, v0, v194 /*v450*/, v195 /*v451*/
	s_delay_alu instid0(VALU_DEP_1) | instskip(SKIP_1) | instid1(VALU_DEP_1)
	v_add3_u32 v0, v0, v196 /*v452*/, v198 /*v454*/
	s_set_vgpr_msb 4                        ;  msbs: dst=0 src0=0 src1=1 src2=0
	v_add3_u32 v0, v0, v199 /*v455*/, v1
	s_set_vgpr_msb 5                        ;  msbs: dst=0 src0=1 src1=1 src2=0
	v_mul_i32_i24_e32 v1, v182 /*v438*/, v67 /*v323*/
	s_set_vgpr_msb 20                       ;  msbs: dst=0 src0=0 src1=1 src2=1
	s_delay_alu instid0(VALU_DEP_2) | instskip(SKIP_1) | instid1(VALU_DEP_2)
	v_mad_u32 v0, v0, v60 /*v316*/, v133 /*v389*/
	s_set_vgpr_msb 0x51                     ;  msbs: dst=1 src0=1 src1=0 src2=1
	v_add3_u32 v131 /*v387*/, v134 /*v390*/, v1, v125 /*v381*/
	s_set_vgpr_msb 20                       ;  msbs: dst=0 src0=0 src1=1 src2=1
	v_mad_u32 v1, v113, v66 /*v322*/, v132 /*v388*/
	s_set_vgpr_msb 0                        ;  msbs: dst=0 src0=0 src1=0 src2=0
	v_mul_i32_i24_e32 v113, v189, v115
	v_mul_i32_i24_e32 v115, v191, v117
	s_set_vgpr_msb 4                        ;  msbs: dst=0 src0=0 src1=1 src2=0
	v_mul_i32_i24_e32 v117, v196, v177 /*v433*/
	s_set_vgpr_msb 0                        ;  msbs: dst=0 src0=0 src1=0 src2=0
	v_mad_i32_i24 v90, v187, v90, v113
	v_mul_i32_i24_e32 v113, v192, v120
	s_set_vgpr_msb 4                        ;  msbs: dst=0 src0=0 src1=1 src2=0
	v_mul_i32_i24_e32 v120, v200, v181 /*v437*/
	v_cvt_f32_i32_e32 v0, v0
	s_set_vgpr_msb 0                        ;  msbs: dst=0 src0=0 src1=0 src2=0
	v_add3_u32 v90, v90, v114, v115
	v_mul_i32_i24_e32 v114, v194, v118
	s_set_vgpr_msb 4                        ;  msbs: dst=0 src0=0 src1=1 src2=0
	v_mul_i32_i24_e32 v115, v195, v116 /*v372*/
	s_set_vgpr_msb 64                       ;  msbs: dst=1 src0=0 src1=0 src2=0
	v_mul_i32_i24_e32 v116 /*v372*/, v202, v3
	s_set_vgpr_msb 4                        ;  msbs: dst=0 src0=0 src1=1 src2=0
	v_mul_i32_i24_e32 v118, v199, v117 /*v373*/
	s_set_vgpr_msb 0                        ;  msbs: dst=0 src0=0 src1=0 src2=0
	v_add3_u32 v3, v90, v113, v94
	s_set_vgpr_msb 4                        ;  msbs: dst=0 src0=0 src1=1 src2=0
	v_mul_i32_i24_e32 v90, v109, v79 /*v335*/
	s_set_vgpr_msb 5                        ;  msbs: dst=0 src0=1 src1=1 src2=0
	v_mul_i32_i24_e32 v94, v182 /*v438*/, v97 /*v353*/
	v_mul_i32_i24_e32 v113, v107 /*v363*/, v100 /*v356*/
	s_set_vgpr_msb 0                        ;  msbs: dst=0 src0=0 src1=0 src2=0
	v_cvt_f32_i32_e32 v1, v1
	v_add3_u32 v3, v3, v114, v115
	v_add3_u32 v90, v112, v107, v90
	s_set_vgpr_msb 5                        ;  msbs: dst=0 src0=1 src1=1 src2=0
	v_mul_i32_i24_e32 v112, v52 /*v308*/, v100 /*v356*/
	s_set_vgpr_msb 0                        ;  msbs: dst=0 src0=0 src1=0 src2=0
	v_add3_u32 v3, v3, v117, v104
	s_set_vgpr_msb 20                       ;  msbs: dst=0 src0=0 src1=1 src2=1
	v_mad_u32 v90, v90, v98 /*v354*/, v164 /*v420*/
	s_set_vgpr_msb 5                        ;  msbs: dst=0 src0=1 src1=1 src2=0
	v_mul_i32_i24_e32 v104, v183 /*v439*/, v90 /*v346*/
	s_set_vgpr_msb 0                        ;  msbs: dst=0 src0=0 src1=0 src2=0
	v_add3_u32 v2, v3, v2, v118
	s_set_vgpr_msb 4                        ;  msbs: dst=0 src0=0 src1=1 src2=0
	v_mul_i32_i24_e32 v3, v218, v179 /*v435*/
	s_set_vgpr_msb 1                        ;  msbs: dst=0 src0=1 src1=0 src2=0
	v_add3_u32 v94, v166 /*v422*/, v94, v104
	s_set_vgpr_msb 64                       ;  msbs: dst=1 src0=0 src1=0 src2=0
	v_add3_u32 v117 /*v373*/, v2, v120, v105
	s_set_vgpr_msb 5                        ;  msbs: dst=0 src0=1 src1=1 src2=0
	v_add3_u32 v3, v188 /*v444*/, v197 /*v453*/, v3
	v_mul_i32_i24_e32 v105, v80 /*v336*/, v90 /*v346*/
	s_set_vgpr_msb 20                       ;  msbs: dst=0 src0=0 src1=1 src2=1
	v_mul_f32_e32 v2, v99, v127 /*v383*/
	s_delay_alu instid0(VALU_DEP_3)
	v_mad_u32 v3, v3, v92 /*v348*/, v165 /*v421*/
	s_set_vgpr_msb 5                        ;  msbs: dst=0 src0=1 src1=1 src2=0
	v_add3_u32 v107, v163 /*v419*/, v162 /*v418*/, v105
	s_set_vgpr_msb 0                        ;  msbs: dst=0 src0=0 src1=0 src2=0
	v_cvt_f32_i32_e32 v105, v90
	s_set_vgpr_msb 5                        ;  msbs: dst=0 src0=1 src1=1 src2=0
	v_mul_i32_i24_e32 v90, v108 /*v364*/, v99 /*v355*/
	s_set_vgpr_msb 0                        ;  msbs: dst=0 src0=0 src1=0 src2=0
	s_delay_alu instid0(VALU_DEP_1)
	v_add3_u32 v90, v94, v113, v90
	s_set_vgpr_msb 21                       ;  msbs: dst=0 src0=1 src1=1 src2=1
	v_mad_i32_i24 v94, v112 /*v368*/, v56 /*v312*/, v185 /*v441*/
	s_set_vgpr_msb 0                        ;  msbs: dst=0 src0=0 src1=0 src2=0
	v_cvt_f32_i32_e32 v104, v3
	s_set_vgpr_msb 5                        ;  msbs: dst=0 src0=1 src1=1 src2=0
	v_mul_i32_i24_e32 v3, v51 /*v307*/, v99 /*v355*/
	v_add3_u32 v94, v129 /*v385*/, v184 /*v440*/, v94
	s_set_vgpr_msb 0                        ;  msbs: dst=0 src0=0 src1=0 src2=0
	s_delay_alu instid0(VALU_DEP_2)
	v_add3_u32 v3, v107, v112, v3
	v_cvt_f32_i32_e32 v112, v90
	s_set_vgpr_msb 21                       ;  msbs: dst=0 src0=1 src1=1 src2=1
	v_mad_i32_i24 v90, v109 /*v365*/, v72 /*v328*/, v186 /*v442*/
	s_set_vgpr_msb 0                        ;  msbs: dst=0 src0=0 src1=0 src2=0
	v_cvt_f32_i32_e32 v113, v3
	s_set_vgpr_msb 21                       ;  msbs: dst=0 src0=1 src1=1 src2=1
	v_mad_i32_i24 v3, v110 /*v366*/, v73 /*v329*/, v187 /*v443*/
	s_set_vgpr_msb 0                        ;  msbs: dst=0 src0=0 src1=0 src2=0
	s_delay_alu instid0(VALU_DEP_2) | instskip(NEXT) | instid1(VALU_DEP_2)
	v_pk_mul_f32 v[112:113], v[100:101], v[112:113] op_sel_hi:[0,1]
	v_add3_u32 v3, v90, v3, v94
	s_set_vgpr_msb 5                        ;  msbs: dst=0 src0=1 src1=1 src2=0
	v_mul_i32_i24_e32 v90, v69 /*v325*/, v161 /*v417*/
	s_set_vgpr_msb 0                        ;  msbs: dst=0 src0=0 src1=0 src2=0
	v_mov_b32_e32 v94, v92
	v_pk_fma_f32 v[104:105], v[98:99], v[104:105], v[112:113] op_sel_hi:[0,1,1] neg_lo:[0,0,1] neg_hi:[0,0,1]
	v_cvt_f32_i32_e32 v3, v3
	v_dual_mov_b32 v112, v99 :: v_dual_mov_b32 v113, v101
	s_delay_alu instid0(VALU_DEP_3) | instskip(NEXT) | instid1(VALU_DEP_3)
	v_pk_fma_f32 v[80:81], v[92:93], v[104:105], v[80:81]
	v_mul_f32_e32 v114, v101, v3
	s_set_vgpr_msb 5                        ;  msbs: dst=0 src0=1 src1=1 src2=0
	v_mul_i32_i24_e32 v3, v68 /*v324*/, v175 /*v431*/
	s_set_vgpr_msb 1                        ;  msbs: dst=0 src0=1 src1=0 src2=0
	s_delay_alu instid0(VALU_DEP_1) | instskip(SKIP_2) | instid1(VALU_DEP_2)
	v_add3_u32 v3, v143 /*v399*/, v90, v3
	v_lshrrev_b32_e32 v90, 16, v126
	s_set_vgpr_msb 0                        ;  msbs: dst=0 src0=0 src1=0 src2=0
	v_cvt_f32_i32_e32 v107, v3
	s_delay_alu instid0(VALU_DEP_1)
	v_pk_mul_f32 v[104:105], v[112:113], v[106:107]
	s_set_vgpr_msb 1                        ;  msbs: dst=0 src0=1 src1=0 src2=0
	ds_load_u16 v106, v77 /*v333*/
	s_set_vgpr_msb 0                        ;  msbs: dst=0 src0=0 src1=0 src2=0
	v_dual_mov_b32 v3, v104 :: v_dual_mov_b32 v115, v105
	v_cvt_f32_f16_e32 v105, v90
	s_delay_alu instid0(VALU_DEP_2) | instskip(SKIP_1) | instid1(VALU_DEP_2)
	v_pk_add_f32 v[2:3], v[2:3], v[114:115] neg_lo:[0,1] neg_hi:[0,1]
	v_dual_mov_b32 v114, v98 :: v_dual_mov_b32 v115, v100
	v_pk_fma_f32 v[86:87], v[94:95], v[2:3], v[86:87]
	s_set_vgpr_msb 5                        ;  msbs: dst=0 src0=1 src1=1 src2=0
	v_mul_i32_i24_e32 v2, v68 /*v324*/, v99 /*v355*/
	v_mul_i32_i24_e32 v3, v69 /*v325*/, v100 /*v356*/
	v_lshrrev_b32_e32 v94, 16, v78 /*v334*/
	s_wait_dscnt 0x0
	s_set_vgpr_msb 0                        ;  msbs: dst=0 src0=0 src1=0 src2=0
	v_lshrrev_b16 v107, 8, v106
	s_set_vgpr_msb 64                       ;  msbs: dst=1 src0=0 src1=0 src2=0
	v_bfe_u32 v77 /*v333*/, v106, 4, 4
	s_set_vgpr_msb 1                        ;  msbs: dst=0 src0=1 src1=0 src2=0
	v_add3_u32 v2, v167 /*v423*/, v3, v2
	s_set_vgpr_msb 0                        ;  msbs: dst=0 src0=0 src1=0 src2=0
	v_cvt_f32_f16_e32 v104, v94
	v_dual_mov_b32 v94, v105 :: v_dual_bitop2_b32 v106, 15, v106 bitop3:0x40
	s_set_vgpr_msb 64                       ;  msbs: dst=1 src0=0 src1=0 src2=0
	v_cvt_f32_i32_e32 v125 /*v381*/, v2
	s_delay_alu instid0(VALU_DEP_2) | instskip(SKIP_1) | instid1(VALU_DEP_2)
	v_and_b32_e32 v134 /*v390*/, 0xffff, v106
	s_set_vgpr_msb 4                        ;  msbs: dst=0 src0=0 src1=1 src2=0
	v_pk_mul_f32 v[2:3], v[114:115], v[124:125] /*v[380:381]*/
	s_set_vgpr_msb 0                        ;  msbs: dst=0 src0=0 src1=0 src2=0
	s_delay_alu instid0(VALU_DEP_1) | instskip(SKIP_3) | instid1(VALU_DEP_2)
	v_sub_f32_e32 v2, v2, v3
	s_set_vgpr_msb 5                        ;  msbs: dst=0 src0=1 src1=1 src2=0
	v_mul_i32_i24_e32 v3, v82 /*v338*/, v161 /*v417*/
	s_set_vgpr_msb 0                        ;  msbs: dst=0 src0=0 src1=0 src2=0
	v_mul_f32_e32 v117, v95, v2
	s_set_vgpr_msb 5                        ;  msbs: dst=0 src0=1 src1=1 src2=0
	v_mul_i32_i24_e32 v2, v81 /*v337*/, v175 /*v431*/
	s_set_vgpr_msb 1                        ;  msbs: dst=0 src0=1 src1=0 src2=0
	s_delay_alu instid0(VALU_DEP_1) | instskip(SKIP_1) | instid1(VALU_DEP_1)
	v_add3_u32 v2, v151 /*v407*/, v3, v2
	s_set_vgpr_msb 64                       ;  msbs: dst=1 src0=0 src1=0 src2=0
	v_cvt_f32_i32_e32 v127 /*v383*/, v2
	s_set_vgpr_msb 4                        ;  msbs: dst=0 src0=0 src1=1 src2=0
	s_delay_alu instid0(VALU_DEP_1) | instskip(SKIP_1) | instid1(VALU_DEP_1)
	v_pk_mul_f32 v[2:3], v[112:113], v[126:127] /*v[382:383]*/
	s_set_vgpr_msb 0                        ;  msbs: dst=0 src0=0 src1=0 src2=0
	v_sub_f32_e32 v2, v2, v3
	s_set_vgpr_msb 5                        ;  msbs: dst=0 src0=1 src1=1 src2=0
	v_mul_i32_i24_e32 v3, v82 /*v338*/, v100 /*v356*/
	s_set_vgpr_msb 1                        ;  msbs: dst=0 src0=1 src1=0 src2=0
	s_delay_alu instid0(VALU_DEP_2) | instskip(SKIP_3) | instid1(VALU_DEP_1)
	v_mul_f32_e32 v120, v76 /*v332*/, v2
	s_set_vgpr_msb 5                        ;  msbs: dst=0 src0=1 src1=1 src2=0
	v_mul_i32_i24_e32 v2, v81 /*v337*/, v99 /*v355*/
	s_set_vgpr_msb 1                        ;  msbs: dst=0 src0=1 src1=0 src2=0
	v_add3_u32 v2, v152 /*v408*/, v3, v2
	s_set_vgpr_msb 64                       ;  msbs: dst=1 src0=0 src1=0 src2=0
	s_delay_alu instid0(VALU_DEP_1) | instskip(SKIP_1) | instid1(VALU_DEP_1)
	v_cvt_f32_i32_e32 v129 /*v385*/, v2
	s_set_vgpr_msb 4                        ;  msbs: dst=0 src0=0 src1=1 src2=0
	v_pk_mul_f32 v[2:3], v[114:115], v[128:129] /*v[384:385]*/
	s_set_vgpr_msb 0                        ;  msbs: dst=0 src0=0 src1=0 src2=0
	s_delay_alu instid0(VALU_DEP_1) | instskip(SKIP_3) | instid1(VALU_DEP_3)
	v_sub_f32_e32 v2, v2, v3
	v_cvt_f32_f16_e32 v3, v126
	v_and_b32_e32 v126, 0xffff, v107
	s_set_vgpr_msb 1                        ;  msbs: dst=0 src0=1 src1=0 src2=0
	v_dual_mul_f32 v118, v76 /*v332*/, v2 :: v_dual_bitop2_b32 v107, 15, v107 bitop3:0x40
	v_cvt_f32_f16_e64 v2, v78 /*v334*/
	s_delay_alu instid0(VALU_DEP_3)
	v_lshrrev_b32_e32 v126, 4, v126
	s_set_vgpr_msb 0x44                     ;  msbs: dst=1 src0=0 src1=1 src2=0
	v_mul_lo_u32 v78 /*v334*/, 0x1010101, v77 /*v333*/
	s_set_vgpr_msb 64                       ;  msbs: dst=1 src0=0 src1=0 src2=0
	v_and_b32_e32 v143 /*v399*/, 0xffff, v107
	s_set_vgpr_msb 0                        ;  msbs: dst=0 src0=0 src1=0 src2=0
	v_mov_b32_e32 v90, v3
	s_set_vgpr_msb 0x41                     ;  msbs: dst=1 src0=1 src1=0 src2=0
	v_mul_lo_u32 v127 /*v383*/, 0x1010101, v126
	s_delay_alu instid0(VALU_DEP_4)
	v_bfe_i32 v77 /*v333*/, v78 /*v334*/, 0, 8
	v_bfe_i32 v125 /*v381*/, v78 /*v334*/, 16, 8
	s_set_vgpr_msb 0x44                     ;  msbs: dst=1 src0=0 src1=1 src2=0
	v_lshrrev_b32_e32 v126 /*v382*/, 24, v78 /*v334*/
	s_set_vgpr_msb 0x41                     ;  msbs: dst=1 src0=1 src1=0 src2=0
	v_bfe_i32 v124 /*v380*/, v78 /*v334*/, 8, 8
	v_bfe_i32 v128 /*v384*/, v127 /*v383*/, 0, 8
	;; [unrolled: 1-line block ×3, first 2 shown]
	s_set_vgpr_msb 5                        ;  msbs: dst=0 src0=1 src1=1 src2=0
	v_mul_i32_i24_e32 v107, v84 /*v340*/, v126 /*v382*/
	s_set_vgpr_msb 0x41                     ;  msbs: dst=1 src0=1 src1=0 src2=0
	v_bfe_i32 v84 /*v340*/, v119 /*v375*/, 0, 8
	s_set_vgpr_msb 0x44                     ;  msbs: dst=1 src0=0 src1=1 src2=0
	v_mul_i32_i24_e32 v132 /*v388*/, v108, v128 /*v384*/
	s_set_vgpr_msb 4                        ;  msbs: dst=0 src0=0 src1=1 src2=0
	v_mul_i32_i24_e32 v108, v110, v126 /*v382*/
	v_mul_i32_i24_e32 v110, v111, v125 /*v381*/
	;; [unrolled: 1-line block ×3, first 2 shown]
	s_set_vgpr_msb 5                        ;  msbs: dst=0 src0=1 src1=1 src2=0
	v_mul_i32_i24_e32 v106, v83 /*v339*/, v128 /*v384*/
	s_set_vgpr_msb 0x45                     ;  msbs: dst=1 src0=1 src1=1 src2=0
	v_mul_i32_i24_e32 v83 /*v339*/, v109 /*v365*/, v77 /*v333*/
	v_mul_i32_i24_e32 v78 /*v334*/, v80 /*v336*/, v129 /*v385*/
	;; [unrolled: 1-line block ×3, first 2 shown]
	s_set_vgpr_msb 4                        ;  msbs: dst=0 src0=0 src1=1 src2=0
	v_mad_i32_i24 v111, v122, v124 /*v380*/, v111
	v_mul_i32_i24_e32 v122, v188, v79 /*v335*/
	s_set_vgpr_msb 0x55                     ;  msbs: dst=1 src0=1 src1=1 src2=1
	v_mul_i32_i24_e32 v79 /*v335*/, v112 /*v368*/, v126 /*v382*/
	v_mad_i32_i24 v83 /*v339*/, v111 /*v367*/, v124 /*v380*/, v83 /*v339*/
	s_set_vgpr_msb 5                        ;  msbs: dst=0 src0=1 src1=1 src2=0
	v_mul_i32_i24_e32 v124, v182 /*v438*/, v128 /*v384*/
	s_set_vgpr_msb 64                       ;  msbs: dst=1 src0=0 src1=0 src2=0
	v_add3_u32 v133 /*v389*/, v111, v110, v108
	s_set_vgpr_msb 5                        ;  msbs: dst=0 src0=1 src1=1 src2=0
	v_mul_i32_i24_e32 v110, v87 /*v343*/, v77 /*v333*/
	v_mul_i32_i24_e32 v108, v85 /*v341*/, v125 /*v381*/
	v_add3_u32 v122, v102 /*v358*/, v101 /*v357*/, v122
	s_set_vgpr_msb 4                        ;  msbs: dst=0 src0=0 src1=1 src2=0
	v_mul_i32_i24_e32 v111, v203, v179 /*v435*/
	s_set_vgpr_msb 5                        ;  msbs: dst=0 src0=1 src1=1 src2=0
	v_mul_i32_i24_e32 v126, v183 /*v439*/, v129 /*v385*/
	v_mad_i32_i24 v110, v86 /*v342*/, v124 /*v380*/, v110
	s_set_vgpr_msb 0x55                     ;  msbs: dst=1 src0=1 src1=1 src2=1
	v_add3_u32 v79 /*v335*/, v83 /*v339*/, v80 /*v336*/, v79 /*v335*/
	v_ashrrev_i32_e32 v109 /*v365*/, 24, v120 /*v376*/
	s_set_vgpr_msb 5                        ;  msbs: dst=0 src0=1 src1=1 src2=0
	v_add3_u32 v111, v117 /*v373*/, v116 /*v372*/, v111
	s_set_vgpr_msb 0x44                     ;  msbs: dst=1 src0=0 src1=1 src2=0
	v_dual_ashrrev_i32 v80 /*v336*/, 24, v118 /*v374*/ :: v_dual_ashrrev_i32 v87 /*v343*/, 24, v119 /*v375*/
	s_set_vgpr_msb 0                        ;  msbs: dst=0 src0=0 src1=0 src2=0
	v_add3_u32 v107, v110, v108, v107
	s_set_vgpr_msb 4                        ;  msbs: dst=0 src0=0 src1=1 src2=0
	v_mul_i32_i24_e32 v108, v203, v88 /*v344*/
	v_mul_i32_i24_e32 v110, v188, v113 /*v369*/
	s_set_vgpr_msb 0x41                     ;  msbs: dst=1 src0=1 src1=0 src2=0
	v_add3_u32 v83 /*v339*/, v79 /*v335*/, v124, v126
	s_set_vgpr_msb 5                        ;  msbs: dst=0 src0=1 src1=1 src2=0
	v_mul_i32_i24_e32 v124, v139 /*v395*/, v126 /*v382*/
	s_set_vgpr_msb 16                       ;  msbs: dst=0 src0=0 src1=0 src2=1
	v_add3_u32 v107, v107, v106, v78 /*v334*/
	s_set_vgpr_msb 5                        ;  msbs: dst=0 src0=1 src1=1 src2=0
	v_add3_u32 v108, v106 /*v362*/, v105 /*v361*/, v108
	v_add3_u32 v110, v136 /*v392*/, v135 /*v391*/, v110
	s_set_vgpr_msb 0x45                     ;  msbs: dst=1 src0=1 src1=1 src2=0
	v_mul_i32_i24_e32 v78 /*v334*/, v142 /*v398*/, v77 /*v333*/
	s_set_vgpr_msb 5                        ;  msbs: dst=0 src0=1 src1=1 src2=0
	v_mul_i32_i24_e32 v126, v140 /*v396*/, v125 /*v381*/
	s_set_vgpr_msb 0x44                     ;  msbs: dst=1 src0=0 src1=1 src2=0
	v_ashrrev_i32_e32 v113 /*v369*/, 24, v121 /*v377*/
	s_set_vgpr_msb 4                        ;  msbs: dst=0 src0=0 src1=1 src2=0
	v_mul_lo_u32 v108, v108, v143 /*v399*/
	v_mul_lo_u32 v110, v110, v134 /*v390*/
	s_set_vgpr_msb 0x55                     ;  msbs: dst=1 src0=1 src1=1 src2=1
	v_mad_i32_i24 v78 /*v334*/, v141 /*v397*/, v124 /*v380*/, v78 /*v334*/
	v_bfe_i32 v79 /*v335*/, v118 /*v374*/, 16, 8
	v_bfe_i32 v85 /*v341*/, v119 /*v375*/, 8, 8
	;; [unrolled: 1-line block ×4, first 2 shown]
	s_set_vgpr_msb 1                        ;  msbs: dst=0 src0=1 src1=0 src2=0
	v_add3_u32 v124, v78 /*v334*/, v126, v124
	s_set_vgpr_msb 5                        ;  msbs: dst=0 src0=1 src1=1 src2=0
	v_mul_i32_i24_e32 v126, v150 /*v406*/, v77 /*v333*/
	s_set_vgpr_msb 0x41                     ;  msbs: dst=1 src0=1 src1=0 src2=0
	v_bfe_i32 v102 /*v358*/, v120 /*v376*/, 8, 8
	v_bfe_i32 v105 /*v361*/, v120 /*v376*/, 16, 8
	s_set_vgpr_msb 4                        ;  msbs: dst=0 src0=0 src1=1 src2=0
	v_mad_u32 v108, v122, v134 /*v390*/, v108
	v_mad_u32 v106, v111, v143 /*v399*/, v110
	s_set_vgpr_msb 5                        ;  msbs: dst=0 src0=1 src1=1 src2=0
	v_mul_i32_i24_e32 v122, v138 /*v394*/, v129 /*v385*/
	v_mad_i32_i24 v126, v149 /*v405*/, v124 /*v380*/, v126
	s_set_vgpr_msb 0x41                     ;  msbs: dst=1 src0=1 src1=0 src2=0
	v_bfe_i32 v110 /*v366*/, v121 /*v377*/, 0, 8
	v_bfe_i32 v111 /*v367*/, v121 /*v377*/, 8, 8
	;; [unrolled: 1-line block ×5, first 2 shown]
	s_set_vgpr_msb 0x44                     ;  msbs: dst=1 src0=0 src1=1 src2=0
	v_ashrrev_i32_e32 v119 /*v375*/, 24, v122 /*v378*/
	s_set_vgpr_msb 0x41                     ;  msbs: dst=1 src0=1 src1=0 src2=0
	v_bfe_i32 v120 /*v376*/, v123 /*v379*/, 0, 8
	s_set_vgpr_msb 0                        ;  msbs: dst=0 src0=0 src1=0 src2=0
	v_cvt_f32_i32_e32 v111, v108
	s_set_vgpr_msb 5                        ;  msbs: dst=0 src0=1 src1=1 src2=0
	v_mul_i32_i24_e32 v108, v137 /*v393*/, v128 /*v384*/
	s_set_vgpr_msb 0                        ;  msbs: dst=0 src0=0 src1=0 src2=0
	v_cvt_f32_i32_e32 v110, v106
	s_set_vgpr_msb 5                        ;  msbs: dst=0 src0=1 src1=1 src2=0
	v_mul_lo_u32 v106, v145 /*v401*/, v134 /*v390*/
	s_set_vgpr_msb 0x41                     ;  msbs: dst=1 src0=1 src1=0 src2=0
	v_bfe_i32 v121 /*v377*/, v123 /*v379*/, 8, 8
	s_set_vgpr_msb 0x44                     ;  msbs: dst=1 src0=0 src1=1 src2=0
	v_mul_i32_i24_e32 v78 /*v334*/, v236, v80 /*v336*/
	s_set_vgpr_msb 64                       ;  msbs: dst=1 src0=0 src1=0 src2=0
	v_add3_u32 v101 /*v357*/, v124, v108, v122
	s_set_vgpr_msb 5                        ;  msbs: dst=0 src0=1 src1=1 src2=0
	v_mul_i32_i24_e32 v122, v147 /*v403*/, v126 /*v382*/
	v_mul_i32_i24_e32 v124, v148 /*v404*/, v125 /*v381*/
	s_set_vgpr_msb 0x44                     ;  msbs: dst=1 src0=0 src1=1 src2=0
	v_mul_i32_i24_e32 v145 /*v401*/, v241, v85 /*v341*/
	v_mul_i32_i24_e32 v147 /*v403*/, v116, v87 /*v343*/
	s_set_vgpr_msb 0x45                     ;  msbs: dst=1 src0=1 src1=1 src2=0
	v_mul_i32_i24_e32 v148 /*v404*/, v16 /*v272*/, v117 /*v373*/
	v_mul_i32_i24_e32 v151 /*v407*/, v21 /*v277*/, v120 /*v376*/
	s_set_vgpr_msb 0                        ;  msbs: dst=0 src0=0 src1=0 src2=0
	v_add3_u32 v122, v126, v124, v122
	s_set_vgpr_msb 5                        ;  msbs: dst=0 src0=1 src1=1 src2=0
	v_mul_i32_i24_e32 v124, v172 /*v428*/, v128 /*v384*/
	v_mul_i32_i24_e32 v126, v173 /*v429*/, v129 /*v385*/
	v_mad_u32 v106, v146 /*v402*/, v143 /*v399*/, v106
	s_set_vgpr_msb 0x44                     ;  msbs: dst=1 src0=0 src1=1 src2=0
	v_mul_i32_i24_e32 v146 /*v402*/, v244, v86 /*v342*/
	s_set_vgpr_msb 0x55                     ;  msbs: dst=1 src0=1 src1=1 src2=1
	v_mul_i32_i24_e32 v152 /*v408*/, v22 /*v278*/, v121 /*v377*/
	v_add3_u32 v139 /*v395*/, v155 /*v411*/, v80 /*v336*/, v87 /*v343*/
	s_set_vgpr_msb 64                       ;  msbs: dst=1 src0=0 src1=0 src2=0
	v_add3_u32 v106 /*v362*/, v122, v124, v126
	s_set_vgpr_msb 1                        ;  msbs: dst=0 src0=1 src1=0 src2=0
	v_bfe_i32 v124, v118 /*v374*/, 8, 8
	s_set_vgpr_msb 0x41                     ;  msbs: dst=1 src0=1 src1=0 src2=0
	v_bfe_i32 v118 /*v374*/, v122 /*v378*/, 16, 8
	v_bfe_i32 v122 /*v378*/, v123 /*v379*/, 16, 8
	s_set_vgpr_msb 0x44                     ;  msbs: dst=1 src0=0 src1=1 src2=0
	v_ashrrev_i32_e32 v123 /*v379*/, 24, v123 /*v379*/
	s_set_vgpr_msb 5                        ;  msbs: dst=0 src0=1 src1=1 src2=0
	v_add_nc_u32_e32 v122, v113 /*v369*/, v109 /*v365*/
	s_set_vgpr_msb 4                        ;  msbs: dst=0 src0=0 src1=1 src2=0
	v_mul_i32_i24_e32 v126, v234, v79 /*v335*/
	v_cvt_f32_i32_e32 v108, v106
	s_set_vgpr_msb 5                        ;  msbs: dst=0 src0=1 src1=1 src2=0
	v_mul_lo_u32 v106, v157 /*v413*/, v134 /*v390*/
	s_set_vgpr_msb 0x45                     ;  msbs: dst=1 src0=1 src1=1 src2=0
	v_mul_i32_i24_e32 v149 /*v405*/, v17 /*v273*/, v118 /*v374*/
	s_set_vgpr_msb 0x54                     ;  msbs: dst=1 src0=0 src1=1 src2=1
	v_add3_u32 v135 /*v391*/, v122, v119 /*v375*/, v123 /*v379*/
	s_set_vgpr_msb 5                        ;  msbs: dst=0 src0=1 src1=1 src2=0
	v_add_nc_u32_e32 v122, v112 /*v368*/, v105 /*v361*/
	s_set_vgpr_msb 0x55                     ;  msbs: dst=1 src0=1 src1=1 src2=1
	v_mul_i32_i24_e32 v150 /*v406*/, v19 /*v275*/, v119 /*v375*/
	v_add3_u32 v142 /*v398*/, v168 /*v424*/, v154 /*v410*/, v84 /*v340*/
	v_mul_i32_i24_e32 v154 /*v410*/, v24 /*v280*/, v122 /*v378*/
	s_set_vgpr_msb 0x54                     ;  msbs: dst=1 src0=0 src1=1 src2=1
	v_mul_i32_i24_e32 v155 /*v411*/, v246, v123 /*v379*/
	v_add3_u32 v136 /*v392*/, v122, v118 /*v374*/, v122 /*v378*/
	s_set_vgpr_msb 5                        ;  msbs: dst=0 src0=1 src1=1 src2=0
	v_add_nc_u32_e32 v122, v110 /*v366*/, v88 /*v344*/
	s_set_vgpr_msb 0x55                     ;  msbs: dst=1 src0=1 src1=1 src2=1
	v_add3_u32 v140 /*v396*/, v156 /*v412*/, v79 /*v335*/, v86 /*v342*/
	s_set_vgpr_msb 5                        ;  msbs: dst=0 src0=1 src1=1 src2=0
	v_mad_u32 v106, v144 /*v400*/, v143 /*v399*/, v106
	s_set_vgpr_msb 0x44                     ;  msbs: dst=1 src0=0 src1=1 src2=0
	v_mul_i32_i24_e32 v144 /*v400*/, v239, v84 /*v340*/
	s_set_vgpr_msb 0x51                     ;  msbs: dst=1 src0=1 src1=0 src2=1
	v_add3_u32 v141 /*v397*/, v158 /*v414*/, v124, v85 /*v341*/
	s_set_vgpr_msb 0x54                     ;  msbs: dst=1 src0=0 src1=1 src2=1
	v_add3_u32 v137 /*v393*/, v122, v116 /*v372*/, v120 /*v376*/
	s_set_vgpr_msb 5                        ;  msbs: dst=0 src0=1 src1=1 src2=0
	v_add_nc_u32_e32 v122, v111 /*v367*/, v102 /*v358*/
	s_set_vgpr_msb 0x44                     ;  msbs: dst=1 src0=0 src1=1 src2=0
	v_mul_i32_i24_e32 v156 /*v412*/, v249, v122 /*v378*/
	v_mul_i32_i24_e32 v157 /*v413*/, v218, v123 /*v379*/
	s_set_vgpr_msb 0x45                     ;  msbs: dst=1 src0=1 src1=1 src2=0
	v_mul_i32_i24_e32 v158 /*v414*/, v36 /*v292*/, v122 /*v378*/
	v_mul_i32_i24_e32 v162 /*v418*/, v8 /*v264*/, v123 /*v379*/
	s_set_vgpr_msb 0x54                     ;  msbs: dst=1 src0=0 src1=1 src2=1
	v_add3_u32 v138 /*v394*/, v122, v117 /*v373*/, v121 /*v377*/
	s_set_vgpr_msb 0                        ;  msbs: dst=0 src0=0 src1=0 src2=0
	v_mul_i32_i24_e32 v122, v232, v124
	v_cvt_f32_i32_e32 v106, v106
	s_set_vgpr_msb 5                        ;  msbs: dst=0 src0=1 src1=1 src2=0
	s_delay_alu instid0(VALU_DEP_2) | instskip(SKIP_1) | instid1(VALU_DEP_1)
	v_add3_u32 v122, v169 /*v425*/, v176 /*v432*/, v122
	s_set_vgpr_msb 16                       ;  msbs: dst=0 src0=0 src1=0 src2=1
	v_add3_u32 v122, v122, v126, v78 /*v334*/
	s_set_vgpr_msb 4                        ;  msbs: dst=0 src0=0 src1=1 src2=0
	v_mul_i32_i24_e32 v126, v255, v88 /*v344*/
	s_set_vgpr_msb 0x45                     ;  msbs: dst=1 src0=1 src1=1 src2=0
	v_mul_i32_i24_e32 v78 /*v334*/, v2 /*v258*/, v105 /*v361*/
	s_set_vgpr_msb 20                       ;  msbs: dst=0 src0=0 src1=1 src2=1
	v_add3_u32 v122, v122, v144 /*v400*/, v145 /*v401*/
	s_set_vgpr_msb 0x45                     ;  msbs: dst=1 src0=1 src1=1 src2=0
	v_mul_i32_i24_e32 v144 /*v400*/, v4 /*v260*/, v109 /*v365*/
	s_set_vgpr_msb 4                        ;  msbs: dst=0 src0=0 src1=1 src2=0
	v_mad_i32_i24 v126, v251, v102 /*v358*/, v126
	s_set_vgpr_msb 0x45                     ;  msbs: dst=1 src0=1 src1=1 src2=0
	v_mul_i32_i24_e32 v145 /*v401*/, v11 /*v267*/, v112 /*v368*/
	s_set_vgpr_msb 20                       ;  msbs: dst=0 src0=0 src1=1 src2=1
	v_add3_u32 v122, v122, v146 /*v402*/, v147 /*v403*/
	s_set_vgpr_msb 0x45                     ;  msbs: dst=1 src0=1 src1=1 src2=0
	v_mul_i32_i24_e32 v146 /*v402*/, v13 /*v269*/, v113 /*v369*/
	s_set_vgpr_msb 20                       ;  msbs: dst=0 src0=0 src1=1 src2=1
	v_add3_u32 v126, v126, v78 /*v334*/, v144 /*v400*/
	s_set_vgpr_msb 0x45                     ;  msbs: dst=1 src0=1 src1=1 src2=0
	v_mul_i32_i24_e32 v78 /*v334*/, v6 /*v262*/, v110 /*v366*/
	v_mul_i32_i24_e32 v144 /*v400*/, v9 /*v265*/, v111 /*v367*/
	;; [unrolled: 1-line block ×3, first 2 shown]
	s_set_vgpr_msb 20                       ;  msbs: dst=0 src0=0 src1=1 src2=1
	v_mul_lo_u32 v122, v122, v57 /*v313*/
	s_delay_alu instid0(VALU_DEP_3)
	v_add3_u32 v126, v126, v78 /*v334*/, v144 /*v400*/
	s_set_vgpr_msb 0x45                     ;  msbs: dst=1 src0=1 src1=1 src2=0
	v_mul_i32_i24_e32 v78 /*v334*/, v137 /*v393*/, v58 /*v314*/
	v_mul_i32_i24_e32 v144 /*v400*/, v138 /*v394*/, v55 /*v311*/
	s_set_vgpr_msb 20                       ;  msbs: dst=0 src0=0 src1=1 src2=1
	v_add3_u32 v126, v126, v145 /*v401*/, v146 /*v402*/
	s_set_vgpr_msb 0x45                     ;  msbs: dst=1 src0=1 src1=1 src2=0
	v_mul_i32_i24_e32 v145 /*v401*/, v139 /*v395*/, v56 /*v312*/
	v_mul_i32_i24_e32 v146 /*v402*/, v140 /*v396*/, v73 /*v329*/
	s_set_vgpr_msb 20                       ;  msbs: dst=0 src0=0 src1=1 src2=1
	v_add3_u32 v126, v126, v147 /*v403*/, v148 /*v404*/
	s_set_vgpr_msb 0x45                     ;  msbs: dst=1 src0=1 src1=1 src2=0
	v_mul_i32_i24_e32 v147 /*v403*/, v142 /*v398*/, v72 /*v328*/
	s_set_vgpr_msb 0x44                     ;  msbs: dst=1 src0=0 src1=1 src2=0
	v_mul_i32_i24_e32 v148 /*v404*/, v217, v86 /*v342*/
	s_set_vgpr_msb 20                       ;  msbs: dst=0 src0=0 src1=1 src2=1
	v_add3_u32 v126, v126, v149 /*v405*/, v150 /*v406*/
	s_set_vgpr_msb 0x55                     ;  msbs: dst=1 src0=1 src1=1 src2=1
	v_mad_i32_i24 v147 /*v403*/, v141 /*v397*/, v70 /*v326*/, v147 /*v403*/
	s_set_vgpr_msb 0x44                     ;  msbs: dst=1 src0=0 src1=1 src2=0
	v_mul_i32_i24_e32 v149 /*v405*/, v109, v87 /*v343*/
	v_mul_i32_i24_e32 v150 /*v406*/, v237, v117 /*v373*/
	s_set_vgpr_msb 20                       ;  msbs: dst=0 src0=0 src1=1 src2=1
	v_add3_u32 v126, v126, v151 /*v407*/, v152 /*v408*/
	s_set_vgpr_msb 0x55                     ;  msbs: dst=1 src0=1 src1=1 src2=1
	v_add3_u32 v145 /*v401*/, v147 /*v403*/, v146 /*v402*/, v145 /*v401*/
	s_set_vgpr_msb 0x44                     ;  msbs: dst=1 src0=0 src1=1 src2=0
	v_mul_i32_i24_e32 v146 /*v402*/, v215, v84 /*v340*/
	v_mul_i32_i24_e32 v147 /*v403*/, v216, v85 /*v341*/
	;; [unrolled: 1-line block ×3, first 2 shown]
	s_set_vgpr_msb 20                       ;  msbs: dst=0 src0=0 src1=1 src2=1
	v_add3_u32 v126, v126, v154 /*v410*/, v155 /*v411*/
	s_set_vgpr_msb 0x55                     ;  msbs: dst=1 src0=1 src1=1 src2=1
	v_add3_u32 v144 /*v400*/, v145 /*v401*/, v78 /*v334*/, v144 /*v400*/
	s_set_vgpr_msb 0x44                     ;  msbs: dst=1 src0=0 src1=1 src2=0
	v_mul_i32_i24_e32 v78 /*v334*/, v213, v79 /*v335*/
	v_mul_i32_i24_e32 v145 /*v401*/, v214, v80 /*v336*/
	;; [unrolled: 1-line block ×3, first 2 shown]
	s_set_vgpr_msb 4                        ;  msbs: dst=0 src0=0 src1=1 src2=0
	v_mad_u32 v122, v126, v54 /*v310*/, v122
	s_set_vgpr_msb 0x44                     ;  msbs: dst=1 src0=0 src1=1 src2=0
	v_mul_i32_i24_e32 v154 /*v410*/, v245, v120 /*v376*/
	v_mul_i32_i24_e32 v155 /*v411*/, v247, v121 /*v377*/
	s_set_vgpr_msb 0                        ;  msbs: dst=0 src0=0 src1=0 src2=0
	s_delay_alu instid0(VALU_DEP_3) | instskip(SKIP_2) | instid1(VALU_DEP_1)
	v_cvt_f32_i32_e32 v126, v122
	v_mul_i32_i24_e32 v122, v212, v124
	s_set_vgpr_msb 5                        ;  msbs: dst=0 src0=1 src1=1 src2=0
	v_add3_u32 v122, v170 /*v426*/, v178 /*v434*/, v122
	s_set_vgpr_msb 20                       ;  msbs: dst=0 src0=0 src1=1 src2=1
	s_delay_alu instid0(VALU_DEP_1)
	v_add3_u32 v122, v122, v78 /*v334*/, v145 /*v401*/
	s_set_vgpr_msb 0x44                     ;  msbs: dst=1 src0=0 src1=1 src2=0
	v_mul_i32_i24_e32 v78 /*v334*/, v220, v88 /*v344*/
	v_mul_i32_i24_e32 v145 /*v401*/, v221, v105 /*v361*/
	s_set_vgpr_msb 20                       ;  msbs: dst=0 src0=0 src1=1 src2=1
	v_add3_u32 v122, v122, v146 /*v402*/, v147 /*v403*/
	s_set_vgpr_msb 0x54                     ;  msbs: dst=1 src0=0 src1=1 src2=1
	v_mul_i32_i24_e32 v146 /*v402*/, v223, v109 /*v365*/
	v_mad_i32_i24 v78 /*v334*/, v219, v102 /*v358*/, v78 /*v334*/
	v_mul_i32_i24_e32 v147 /*v403*/, v231, v112 /*v368*/
	s_set_vgpr_msb 20                       ;  msbs: dst=0 src0=0 src1=1 src2=1
	v_add3_u32 v122, v122, v148 /*v404*/, v149 /*v405*/
	s_set_vgpr_msb 0x44                     ;  msbs: dst=1 src0=0 src1=1 src2=0
	v_mul_i32_i24_e32 v148 /*v404*/, v233, v113 /*v369*/
	s_set_vgpr_msb 0x55                     ;  msbs: dst=1 src0=1 src1=1 src2=1
	v_add3_u32 v78 /*v334*/, v78 /*v334*/, v145 /*v401*/, v146 /*v402*/
	s_set_vgpr_msb 0x44                     ;  msbs: dst=1 src0=0 src1=1 src2=0
	v_mul_i32_i24_e32 v145 /*v401*/, v227, v110 /*v366*/
	v_mul_i32_i24_e32 v146 /*v402*/, v229, v111 /*v367*/
	v_mul_i32_i24_e32 v149 /*v405*/, v235, v116 /*v372*/
	s_set_vgpr_msb 4                        ;  msbs: dst=0 src0=0 src1=1 src2=0
	v_mul_lo_u32 v122, v122, v98 /*v354*/
	s_set_vgpr_msb 0x55                     ;  msbs: dst=1 src0=1 src1=1 src2=1
	v_add3_u32 v78 /*v334*/, v78 /*v334*/, v145 /*v401*/, v146 /*v402*/
	v_mul_i32_i24_e32 v145 /*v401*/, v137 /*v393*/, v97 /*v353*/
	v_mul_i32_i24_e32 v146 /*v402*/, v138 /*v394*/, v90 /*v346*/
	s_delay_alu instid0(VALU_DEP_3) | instskip(SKIP_2) | instid1(VALU_DEP_3)
	v_add3_u32 v78 /*v334*/, v78 /*v334*/, v147 /*v403*/, v148 /*v404*/
	v_mul_i32_i24_e32 v147 /*v403*/, v139 /*v395*/, v96 /*v352*/
	v_mul_i32_i24_e32 v148 /*v404*/, v140 /*v396*/, v95 /*v351*/
	v_add3_u32 v78 /*v334*/, v78 /*v334*/, v149 /*v405*/, v150 /*v406*/
	v_mul_i32_i24_e32 v149 /*v405*/, v142 /*v398*/, v93 /*v349*/
	v_mul_i32_i24_e32 v150 /*v406*/, v14 /*v270*/, v86 /*v342*/
	s_set_vgpr_msb 0x44                     ;  msbs: dst=1 src0=0 src1=1 src2=0
	v_mul_i32_i24_e32 v86 /*v342*/, v186, v86 /*v342*/
	s_set_vgpr_msb 0x55                     ;  msbs: dst=1 src0=1 src1=1 src2=1
	v_add3_u32 v78 /*v334*/, v78 /*v334*/, v151 /*v407*/, v152 /*v408*/
	v_mad_i32_i24 v149 /*v405*/, v141 /*v397*/, v94 /*v350*/, v149 /*v405*/
	s_set_vgpr_msb 0x44                     ;  msbs: dst=1 src0=0 src1=1 src2=0
	v_mul_i32_i24_e32 v151 /*v407*/, v209, v87 /*v343*/
	v_mul_i32_i24_e32 v87 /*v343*/, v188, v87 /*v343*/
	s_set_vgpr_msb 0x55                     ;  msbs: dst=1 src0=1 src1=1 src2=1
	v_mul_i32_i24_e32 v152 /*v408*/, v31 /*v287*/, v117 /*v373*/
	v_add3_u32 v78 /*v334*/, v78 /*v334*/, v154 /*v410*/, v155 /*v411*/
	v_add3_u32 v147 /*v403*/, v149 /*v405*/, v148 /*v404*/, v147 /*v403*/
	v_mul_i32_i24_e32 v148 /*v404*/, v10 /*v266*/, v84 /*v340*/
	v_mul_i32_i24_e32 v149 /*v405*/, v12 /*v268*/, v85 /*v341*/
	s_set_vgpr_msb 0x44                     ;  msbs: dst=1 src0=0 src1=1 src2=0
	v_mul_i32_i24_e32 v84 /*v340*/, v184, v84 /*v340*/
	s_set_vgpr_msb 0x55                     ;  msbs: dst=1 src0=1 src1=1 src2=1
	v_add3_u32 v78 /*v334*/, v78 /*v334*/, v156 /*v412*/, v157 /*v413*/
	v_add3_u32 v145 /*v401*/, v147 /*v403*/, v145 /*v401*/, v146 /*v402*/
	v_mul_i32_i24_e32 v146 /*v402*/, v5 /*v261*/, v79 /*v335*/
	v_mul_i32_i24_e32 v147 /*v403*/, v7 /*v263*/, v80 /*v336*/
	s_set_vgpr_msb 0x44                     ;  msbs: dst=1 src0=0 src1=1 src2=0
	v_mul_i32_i24_e32 v79 /*v335*/, v182, v79 /*v335*/
	s_set_vgpr_msb 5                        ;  msbs: dst=0 src0=1 src1=1 src2=0
	v_mad_u32 v122, v78 /*v334*/, v92 /*v348*/, v122
	s_set_vgpr_msb 0x44                     ;  msbs: dst=1 src0=0 src1=1 src2=0
	v_mul_i32_i24_e32 v80 /*v336*/, v183, v80 /*v336*/
	v_mul_i32_i24_e32 v85 /*v341*/, v185, v85 /*v341*/
	s_set_vgpr_msb 0x45                     ;  msbs: dst=1 src0=1 src1=1 src2=0
	v_mul_i32_i24_e32 v154 /*v410*/, v32 /*v288*/, v118 /*v374*/
	v_mul_i32_i24_e32 v155 /*v411*/, v33 /*v289*/, v119 /*v375*/
	;; [unrolled: 1-line block ×4, first 2 shown]
	s_set_vgpr_msb 64                       ;  msbs: dst=1 src0=0 src1=0 src2=0
	v_cvt_f32_i32_e32 v78 /*v334*/, v122
	s_set_vgpr_msb 1                        ;  msbs: dst=0 src0=1 src1=0 src2=0
	v_mul_i32_i24_e32 v122, v3 /*v259*/, v124
	s_set_vgpr_msb 0                        ;  msbs: dst=0 src0=0 src1=0 src2=0
	v_mul_i32_i24_e32 v124, v181, v124
	s_set_vgpr_msb 5                        ;  msbs: dst=0 src0=1 src1=1 src2=0
	s_delay_alu instid0(VALU_DEP_2) | instskip(NEXT) | instid1(VALU_DEP_2)
	v_add3_u32 v122, v171 /*v427*/, v180 /*v436*/, v122
	v_add3_u32 v124, v174 /*v430*/, v153 /*v409*/, v124
	s_set_vgpr_msb 20                       ;  msbs: dst=0 src0=0 src1=1 src2=1
	s_delay_alu instid0(VALU_DEP_2) | instskip(NEXT) | instid1(VALU_DEP_2)
	v_add3_u32 v122, v122, v146 /*v402*/, v147 /*v403*/
	v_add3_u32 v124, v124, v79 /*v335*/, v80 /*v336*/
	s_set_vgpr_msb 0x44                     ;  msbs: dst=1 src0=0 src1=1 src2=0
	v_mul_i32_i24_e32 v79 /*v335*/, v189, v88 /*v344*/
	v_mul_i32_i24_e32 v80 /*v336*/, v190, v105 /*v361*/
	s_set_vgpr_msb 0x45                     ;  msbs: dst=1 src0=1 src1=1 src2=0
	v_mul_i32_i24_e32 v146 /*v402*/, v20 /*v276*/, v88 /*v344*/
	s_set_vgpr_msb 20                       ;  msbs: dst=0 src0=0 src1=1 src2=1
	v_add3_u32 v122, v122, v148 /*v404*/, v149 /*v405*/
	v_add3_u32 v124, v124, v84 /*v340*/, v85 /*v341*/
	s_set_vgpr_msb 0x54                     ;  msbs: dst=1 src0=0 src1=1 src2=1
	v_mul_i32_i24_e32 v84 /*v340*/, v191, v109 /*v365*/
	v_mad_i32_i24 v79 /*v335*/, v187, v102 /*v358*/, v79 /*v335*/
	v_mul_i32_i24_e32 v85 /*v341*/, v194, v112 /*v368*/
	s_set_vgpr_msb 0x45                     ;  msbs: dst=1 src0=1 src1=1 src2=0
	v_mul_i32_i24_e32 v147 /*v403*/, v23 /*v279*/, v105 /*v361*/
	s_set_vgpr_msb 20                       ;  msbs: dst=0 src0=0 src1=1 src2=1
	v_add3_u32 v124, v124, v86 /*v342*/, v87 /*v343*/
	s_set_vgpr_msb 0x44                     ;  msbs: dst=1 src0=0 src1=1 src2=0
	v_mul_i32_i24_e32 v86 /*v342*/, v195, v113 /*v369*/
	s_set_vgpr_msb 0x55                     ;  msbs: dst=1 src0=1 src1=1 src2=1
	v_add3_u32 v79 /*v335*/, v79 /*v335*/, v80 /*v336*/, v84 /*v340*/
	s_set_vgpr_msb 0x44                     ;  msbs: dst=1 src0=0 src1=1 src2=0
	v_mul_i32_i24_e32 v80 /*v336*/, v192, v110 /*v366*/
	v_mul_i32_i24_e32 v84 /*v340*/, v193, v111 /*v367*/
	s_set_vgpr_msb 0x55                     ;  msbs: dst=1 src0=1 src1=1 src2=1
	v_mul_i32_i24_e32 v148 /*v404*/, v25 /*v281*/, v109 /*v365*/
	v_mad_i32_i24 v146 /*v402*/, v18 /*v274*/, v102 /*v358*/, v146 /*v402*/
	s_set_vgpr_msb 0x44                     ;  msbs: dst=1 src0=0 src1=1 src2=0
	v_mul_i32_i24_e32 v87 /*v343*/, v196, v116 /*v372*/
	v_mul_i32_i24_e32 v88 /*v344*/, v197, v117 /*v373*/
	s_set_vgpr_msb 0x55                     ;  msbs: dst=1 src0=1 src1=1 src2=1
	v_add3_u32 v79 /*v335*/, v79 /*v335*/, v80 /*v336*/, v84 /*v340*/
	s_set_vgpr_msb 0x44                     ;  msbs: dst=1 src0=0 src1=1 src2=0
	v_mul_i32_i24_e32 v102 /*v358*/, v198, v118 /*v374*/
	s_set_vgpr_msb 0x55                     ;  msbs: dst=1 src0=1 src1=1 src2=1
	v_add3_u32 v146 /*v402*/, v146 /*v402*/, v147 /*v403*/, v148 /*v404*/
	v_mul_i32_i24_e32 v147 /*v403*/, v26 /*v282*/, v110 /*v366*/
	v_mul_i32_i24_e32 v148 /*v404*/, v27 /*v283*/, v111 /*v367*/
	v_add3_u32 v79 /*v335*/, v79 /*v335*/, v85 /*v341*/, v86 /*v342*/
	s_set_vgpr_msb 0x44                     ;  msbs: dst=1 src0=0 src1=1 src2=0
	v_mul_i32_i24_e32 v105 /*v361*/, v199, v119 /*v375*/
	s_set_vgpr_msb 20                       ;  msbs: dst=0 src0=0 src1=1 src2=1
	v_add3_u32 v122, v122, v150 /*v406*/, v151 /*v407*/
	s_set_vgpr_msb 0x55                     ;  msbs: dst=1 src0=1 src1=1 src2=1
	v_mul_i32_i24_e32 v149 /*v405*/, v28 /*v284*/, v112 /*v368*/
	v_mul_i32_i24_e32 v150 /*v406*/, v29 /*v285*/, v113 /*v369*/
	v_add3_u32 v79 /*v335*/, v79 /*v335*/, v87 /*v343*/, v88 /*v344*/
	v_mul_i32_i24_e32 v87 /*v343*/, v142 /*v398*/, v77 /*v333*/
	v_add3_u32 v146 /*v402*/, v146 /*v402*/, v147 /*v403*/, v148 /*v404*/
	s_set_vgpr_msb 0x44                     ;  msbs: dst=1 src0=0 src1=1 src2=0
	v_mul_i32_i24_e32 v109 /*v365*/, v200, v120 /*v376*/
	v_mul_i32_i24_e32 v110 /*v366*/, v201, v121 /*v377*/
	s_set_vgpr_msb 0x55                     ;  msbs: dst=1 src0=1 src1=1 src2=1
	v_add3_u32 v79 /*v335*/, v79 /*v335*/, v102 /*v358*/, v105 /*v361*/
	v_mul_i32_i24_e32 v85 /*v341*/, v139 /*v395*/, v126 /*v382*/
	v_mul_i32_i24_e32 v86 /*v342*/, v140 /*v396*/, v125 /*v381*/
	v_mad_i32_i24 v87 /*v343*/, v141 /*v397*/, v124 /*v380*/, v87 /*v343*/
	v_mul_i32_i24_e32 v151 /*v407*/, v30 /*v286*/, v116 /*v372*/
	v_add3_u32 v146 /*v402*/, v146 /*v402*/, v149 /*v405*/, v150 /*v406*/
	s_set_vgpr_msb 0x44                     ;  msbs: dst=1 src0=0 src1=1 src2=0
	v_mul_i32_i24_e32 v111 /*v367*/, v202, v122 /*v378*/
	v_mul_i32_i24_e32 v112 /*v368*/, v203, v123 /*v379*/
	s_set_vgpr_msb 0x55                     ;  msbs: dst=1 src0=1 src1=1 src2=1
	v_add3_u32 v79 /*v335*/, v79 /*v335*/, v109 /*v365*/, v110 /*v366*/
	v_mul_i32_i24_e32 v80 /*v336*/, v137 /*v393*/, v128 /*v384*/
	v_mul_i32_i24_e32 v84 /*v340*/, v138 /*v394*/, v129 /*v385*/
	v_add3_u32 v85 /*v341*/, v87 /*v343*/, v86 /*v342*/, v85 /*v341*/
	v_add3_u32 v146 /*v402*/, v146 /*v402*/, v151 /*v407*/, v152 /*v408*/
	;; [unrolled: 1-line block ×3, first 2 shown]
	v_mul_i32_i24_e32 v151 /*v407*/, v142 /*v398*/, v62 /*v318*/
	s_set_vgpr_msb 4                        ;  msbs: dst=0 src0=0 src1=1 src2=0
	v_mul_lo_u32 v122, v122, v66 /*v322*/
	s_set_vgpr_msb 0x55                     ;  msbs: dst=1 src0=1 src1=1 src2=1
	v_add3_u32 v109 /*v365*/, v85 /*v341*/, v80 /*v336*/, v84 /*v340*/
	ds_load_b32 v118 /*v374*/, v160 /*v416*/ offset:30368
	ds_load_b128 v[84:87] /*v[340:343]*/, v159 /*v415*/ offset:16896
	ds_load_b128 v[110:113] /*v[366:369]*/, v159 /*v415*/ offset:16912
	v_add3_u32 v146 /*v402*/, v146 /*v402*/, v154 /*v410*/, v155 /*v411*/
	v_mul_i32_i24_e32 v149 /*v405*/, v139 /*v395*/, v65 /*v321*/
	v_mul_i32_i24_e32 v150 /*v406*/, v140 /*v396*/, v64 /*v320*/
	v_mad_i32_i24 v151 /*v407*/, v141 /*v397*/, v63 /*v319*/, v151 /*v407*/
	v_mul_i32_i24_e32 v147 /*v403*/, v137 /*v393*/, v67 /*v323*/
	v_add3_u32 v146 /*v402*/, v146 /*v402*/, v156 /*v412*/, v157 /*v413*/
	v_mul_i32_i24_e32 v148 /*v404*/, v138 /*v394*/, v59 /*v315*/
	s_set_vgpr_msb 4                        ;  msbs: dst=0 src0=0 src1=1 src2=0
	v_mul_lo_u32 v124, v124, v134 /*v390*/
	s_set_vgpr_msb 0x55                     ;  msbs: dst=1 src0=1 src1=1 src2=1
	v_add3_u32 v149 /*v405*/, v151 /*v407*/, v150 /*v406*/, v149 /*v405*/
	v_add3_u32 v146 /*v402*/, v146 /*v402*/, v158 /*v414*/, v162 /*v418*/
	s_delay_alu instid0(VALU_DEP_2) | instskip(SKIP_1) | instid1(VALU_DEP_2)
	v_add3_u32 v147 /*v403*/, v149 /*v405*/, v147 /*v403*/, v148 /*v404*/
	s_set_vgpr_msb 5                        ;  msbs: dst=0 src0=1 src1=1 src2=0
	v_mad_u32 v122, v146 /*v402*/, v60 /*v316*/, v122
	v_mad_u32 v124, v79 /*v335*/, v143 /*v399*/, v124
	s_wait_dscnt 0x0
	s_set_vgpr_msb 0x41                     ;  msbs: dst=1 src0=1 src1=0 src2=0
	v_bfe_i32 v140 /*v396*/, v110 /*v366*/, 0, 8
	v_bfe_i32 v141 /*v397*/, v110 /*v366*/, 8, 8
	v_bfe_i32 v142 /*v398*/, v110 /*v366*/, 16, 8
	s_set_vgpr_msb 0x44                     ;  msbs: dst=1 src0=0 src1=1 src2=0
	v_ashrrev_i32_e32 v110 /*v366*/, 24, v110 /*v366*/
	s_set_vgpr_msb 0x41                     ;  msbs: dst=1 src0=1 src1=0 src2=0
	v_bfe_i32 v146 /*v402*/, v111 /*v367*/, 0, 8
	v_bfe_i32 v148 /*v404*/, v111 /*v367*/, 8, 8
	v_bfe_i32 v149 /*v405*/, v111 /*v367*/, 16, 8
	s_set_vgpr_msb 0x44                     ;  msbs: dst=1 src0=0 src1=1 src2=0
	v_ashrrev_i32_e32 v111 /*v367*/, 24, v111 /*v367*/
	s_set_vgpr_msb 0x41                     ;  msbs: dst=1 src0=1 src1=0 src2=0
	v_bfe_i32 v150 /*v406*/, v112 /*v368*/, 0, 8
	v_bfe_i32 v151 /*v407*/, v112 /*v368*/, 8, 8
	v_bfe_i32 v152 /*v408*/, v112 /*v368*/, 16, 8
	s_set_vgpr_msb 0x44                     ;  msbs: dst=1 src0=0 src1=1 src2=0
	v_ashrrev_i32_e32 v112 /*v368*/, 24, v112 /*v368*/
	s_set_vgpr_msb 0x55                     ;  msbs: dst=1 src0=1 src1=1 src2=1
	v_bfe_i32 v153 /*v409*/, v113 /*v369*/, 0, 8
	v_bfe_i32 v154 /*v410*/, v113 /*v369*/, 8, 8
	;; [unrolled: 1-line block ×3, first 2 shown]
	v_dual_ashrrev_i32 v113 /*v369*/, 24, v113 /*v369*/ :: v_dual_add_nc_u32 v80 /*v336*/, v111 /*v367*/, v110 /*v366*/
	v_bfe_i32 v79 /*v335*/, v84 /*v340*/, 0, 8
	v_bfe_i32 v88 /*v344*/, v84 /*v340*/, 8, 8
	v_bfe_i32 v105 /*v361*/, v84 /*v340*/, 16, 8
	v_ashrrev_i32_e32 v84 /*v340*/, 24, v84 /*v340*/
	v_add3_u32 v156 /*v412*/, v80 /*v336*/, v112 /*v368*/, v113 /*v369*/
	v_add_nc_u32_e32 v80 /*v336*/, v149 /*v405*/, v142 /*v398*/
	v_bfe_i32 v117 /*v373*/, v85 /*v341*/, 0, 8
	v_bfe_i32 v119 /*v375*/, v85 /*v341*/, 8, 8
	v_bfe_i32 v120 /*v376*/, v85 /*v341*/, 16, 8
	v_ashrrev_i32_e32 v85 /*v341*/, 24, v85 /*v341*/
	v_add3_u32 v157 /*v413*/, v80 /*v336*/, v152 /*v408*/, v155 /*v411*/
	v_add_nc_u32_e32 v80 /*v336*/, v146 /*v402*/, v140 /*v396*/
	;; [unrolled: 6-line block ×4, first 2 shown]
	s_set_vgpr_msb 0x44                     ;  msbs: dst=1 src0=0 src1=1 src2=0
	v_mul_i32_i24_e32 v102 /*v358*/, v224, v105 /*v361*/
	v_mul_i32_i24_e32 v116 /*v372*/, v127, v84 /*v340*/
	v_mul_i32_i24_e32 v165 /*v421*/, v226, v120 /*v376*/
	v_mul_i32_i24_e32 v166 /*v422*/, v228, v85 /*v341*/
	s_set_vgpr_msb 0x55                     ;  msbs: dst=1 src0=1 src1=1 src2=1
	v_add3_u32 v160 /*v416*/, v80 /*v336*/, v86 /*v342*/, v87 /*v343*/
	v_add_nc_u32_e32 v80 /*v336*/, v120 /*v376*/, v105 /*v361*/
	s_set_vgpr_msb 0x44                     ;  msbs: dst=1 src0=0 src1=1 src2=0
	v_mul_i32_i24_e32 v167 /*v423*/, v230, v121 /*v377*/
	v_mul_i32_i24_e32 v168 /*v424*/, v232, v122 /*v378*/
	v_mul_i32_i24_e32 v169 /*v425*/, v234, v123 /*v379*/
	v_mul_i32_i24_e32 v170 /*v426*/, v236, v86 /*v342*/
	s_set_vgpr_msb 0x55                     ;  msbs: dst=1 src0=1 src1=1 src2=1
	v_add3_u32 v162 /*v418*/, v80 /*v336*/, v123 /*v379*/, v139 /*v395*/
	v_add_nc_u32_e32 v80 /*v336*/, v119 /*v375*/, v88 /*v344*/
	;; [unrolled: 8-line block ×3, first 2 shown]
	s_set_vgpr_msb 0x44                     ;  msbs: dst=1 src0=0 src1=1 src2=0
	v_mul_i32_i24_e32 v176 /*v432*/, v246, v113 /*v369*/
	v_mul_i32_i24_e32 v177 /*v433*/, v109, v87 /*v343*/
	;; [unrolled: 1-line block ×4, first 2 shown]
	s_set_vgpr_msb 0x55                     ;  msbs: dst=1 src0=1 src1=1 src2=1
	v_add3_u32 v164 /*v420*/, v80 /*v336*/, v121 /*v377*/, v137 /*v393*/
	s_set_vgpr_msb 0x44                     ;  msbs: dst=1 src0=0 src1=1 src2=0
	v_mul_i32_i24_e32 v80 /*v336*/, v121, v79 /*v335*/
	v_mul_i32_i24_e32 v87 /*v343*/, v188, v87 /*v343*/
	s_set_vgpr_msb 0x45                     ;  msbs: dst=1 src0=1 src1=1 src2=0
	v_mul_i32_i24_e32 v180 /*v436*/, v8 /*v264*/, v113 /*v369*/
	s_set_vgpr_msb 0x44                     ;  msbs: dst=1 src0=0 src1=1 src2=0
	v_mul_i32_i24_e32 v113 /*v369*/, v203, v113 /*v369*/
	s_set_vgpr_msb 0                        ;  msbs: dst=0 src0=0 src1=0 src2=0
	v_cvt_f32_i32_e32 v122, v122
	s_set_vgpr_msb 0x54                     ;  msbs: dst=1 src0=0 src1=1 src2=1
	v_mad_i32_i24 v80 /*v336*/, v119, v88 /*v344*/, v80 /*v336*/
	s_set_vgpr_msb 0                        ;  msbs: dst=0 src0=0 src1=0 src2=0
	v_cvt_f32_i32_e32 v124, v124
	s_set_vgpr_msb 0x55                     ;  msbs: dst=1 src0=1 src1=1 src2=1
	s_delay_alu instid0(VALU_DEP_2) | instskip(SKIP_4) | instid1(VALU_DEP_1)
	v_add3_u32 v80 /*v336*/, v80 /*v336*/, v102 /*v358*/, v116 /*v372*/
	s_set_vgpr_msb 0x44                     ;  msbs: dst=1 src0=0 src1=1 src2=0
	v_mul_i32_i24_e32 v102 /*v358*/, v222, v117 /*v373*/
	v_mul_i32_i24_e32 v116 /*v372*/, v225, v119 /*v375*/
	s_set_vgpr_msb 0x55                     ;  msbs: dst=1 src0=1 src1=1 src2=1
	v_add3_u32 v80 /*v336*/, v80 /*v336*/, v102 /*v358*/, v116 /*v372*/
	s_set_vgpr_msb 0x44                     ;  msbs: dst=1 src0=0 src1=1 src2=0
	v_mul_i32_i24_e32 v102 /*v358*/, v255, v140 /*v396*/
	s_set_vgpr_msb 0x55                     ;  msbs: dst=1 src0=1 src1=1 src2=1
	v_mul_i32_i24_e32 v116 /*v372*/, v2 /*v258*/, v142 /*v398*/
	v_add3_u32 v80 /*v336*/, v80 /*v336*/, v165 /*v421*/, v166 /*v422*/
	v_mul_i32_i24_e32 v165 /*v421*/, v4 /*v260*/, v110 /*v366*/
	s_set_vgpr_msb 0x54                     ;  msbs: dst=1 src0=0 src1=1 src2=1
	v_mad_i32_i24 v102 /*v358*/, v251, v141 /*v397*/, v102 /*v358*/
	s_set_vgpr_msb 0x55                     ;  msbs: dst=1 src0=1 src1=1 src2=1
	v_mul_i32_i24_e32 v166 /*v422*/, v11 /*v267*/, v149 /*v405*/
	v_add3_u32 v80 /*v336*/, v80 /*v336*/, v167 /*v423*/, v168 /*v424*/
	v_mul_i32_i24_e32 v167 /*v423*/, v13 /*v269*/, v111 /*v367*/
	v_add3_u32 v102 /*v358*/, v102 /*v358*/, v116 /*v372*/, v165 /*v421*/
	v_mul_i32_i24_e32 v116 /*v372*/, v6 /*v262*/, v146 /*v402*/
	v_mul_i32_i24_e32 v165 /*v421*/, v9 /*v265*/, v148 /*v404*/
	v_add3_u32 v80 /*v336*/, v80 /*v336*/, v169 /*v425*/, v170 /*v426*/
	v_mul_i32_i24_e32 v168 /*v424*/, v15 /*v271*/, v150 /*v406*/
	v_mul_i32_i24_e32 v169 /*v425*/, v16 /*v272*/, v151 /*v407*/
	v_mul_i32_i24_e32 v170 /*v426*/, v17 /*v273*/, v152 /*v408*/
	v_add3_u32 v102 /*v358*/, v102 /*v358*/, v116 /*v372*/, v165 /*v421*/
	v_add3_u32 v80 /*v336*/, v80 /*v336*/, v171 /*v427*/, v172 /*v428*/
	v_mul_i32_i24_e32 v171 /*v427*/, v19 /*v275*/, v112 /*v368*/
	v_mul_i32_i24_e32 v172 /*v428*/, v21 /*v277*/, v153 /*v409*/
	v_mul_i32_i24_e32 v116 /*v372*/, v158 /*v414*/, v58 /*v314*/
	v_add3_u32 v102 /*v358*/, v102 /*v358*/, v166 /*v422*/, v167 /*v423*/
	;; [unrolled: 5-line block ×3, first 2 shown]
	v_mul_lo_u32 v80 /*v336*/, v80 /*v336*/, v57 /*v313*/
	v_mul_i32_i24_e32 v168 /*v424*/, v164 /*v420*/, v72 /*v328*/
	v_mul_i32_i24_e32 v167 /*v423*/, v162 /*v418*/, v73 /*v329*/
	;; [unrolled: 1-line block ×3, first 2 shown]
	v_add3_u32 v102 /*v358*/, v102 /*v358*/, v170 /*v426*/, v171 /*v427*/
	s_set_vgpr_msb 0x44                     ;  msbs: dst=1 src0=0 src1=1 src2=0
	v_mul_i32_i24_e32 v169 /*v425*/, v211, v121 /*v377*/
	s_set_vgpr_msb 0x55                     ;  msbs: dst=1 src0=1 src1=1 src2=1
	v_mad_i32_i24 v168 /*v424*/, v163 /*v419*/, v70 /*v326*/, v168 /*v424*/
	s_set_vgpr_msb 0x44                     ;  msbs: dst=1 src0=0 src1=1 src2=0
	v_mul_i32_i24_e32 v170 /*v426*/, v212, v122 /*v378*/
	v_mul_i32_i24_e32 v171 /*v427*/, v213, v123 /*v379*/
	s_set_vgpr_msb 0x55                     ;  msbs: dst=1 src0=1 src1=1 src2=1
	v_add3_u32 v102 /*v358*/, v102 /*v358*/, v172 /*v428*/, v173 /*v429*/
	s_set_vgpr_msb 0x44                     ;  msbs: dst=1 src0=0 src1=1 src2=0
	v_mul_i32_i24_e32 v172 /*v428*/, v214, v86 /*v342*/
	s_set_vgpr_msb 0x55                     ;  msbs: dst=1 src0=1 src1=1 src2=1
	v_add3_u32 v166 /*v422*/, v168 /*v424*/, v167 /*v423*/, v166 /*v422*/
	s_set_vgpr_msb 0x44                     ;  msbs: dst=1 src0=0 src1=1 src2=0
	v_mul_i32_i24_e32 v167 /*v423*/, v208, v120 /*v376*/
	v_mul_i32_i24_e32 v168 /*v424*/, v210, v85 /*v341*/
	s_set_vgpr_msb 0x55                     ;  msbs: dst=1 src0=1 src1=1 src2=1
	v_add3_u32 v102 /*v358*/, v102 /*v358*/, v174 /*v430*/, v176 /*v432*/
	s_set_vgpr_msb 0x44                     ;  msbs: dst=1 src0=0 src1=1 src2=0
	v_mul_i32_i24_e32 v173 /*v429*/, v215, v137 /*v393*/
	s_set_vgpr_msb 0x55                     ;  msbs: dst=1 src0=1 src1=1 src2=1
	v_add3_u32 v165 /*v421*/, v166 /*v422*/, v116 /*v372*/, v165 /*v421*/
	s_set_vgpr_msb 0x44                     ;  msbs: dst=1 src0=0 src1=1 src2=0
	v_mul_i32_i24_e32 v116 /*v372*/, v206, v105 /*v361*/
	v_mul_i32_i24_e32 v166 /*v422*/, v204, v84 /*v340*/
	s_set_vgpr_msb 0x55                     ;  msbs: dst=1 src0=1 src1=1 src2=1
	v_mad_u32 v80 /*v336*/, v102 /*v358*/, v54 /*v310*/, v80 /*v336*/
	s_set_vgpr_msb 0x44                     ;  msbs: dst=1 src0=0 src1=1 src2=0
	v_mul_i32_i24_e32 v174 /*v430*/, v216, v138 /*v394*/
	v_mul_i32_i24_e32 v176 /*v432*/, v217, v139 /*v395*/
	s_set_vgpr_msb 0x41                     ;  msbs: dst=1 src0=1 src1=0 src2=0
	s_delay_alu instid0(VALU_DEP_3) | instskip(SKIP_2) | instid1(VALU_DEP_1)
	v_cvt_f32_i32_e32 v102 /*v358*/, v80 /*v336*/
	s_set_vgpr_msb 0x54                     ;  msbs: dst=1 src0=0 src1=1 src2=1
	v_mul_i32_i24_e32 v80 /*v336*/, v125, v79 /*v335*/
	v_mad_i32_i24 v80 /*v336*/, v123, v88 /*v344*/, v80 /*v336*/
	s_set_vgpr_msb 0x55                     ;  msbs: dst=1 src0=1 src1=1 src2=1
	s_delay_alu instid0(VALU_DEP_1) | instskip(SKIP_4) | instid1(VALU_DEP_1)
	v_add3_u32 v80 /*v336*/, v80 /*v336*/, v116 /*v372*/, v166 /*v422*/
	s_set_vgpr_msb 0x44                     ;  msbs: dst=1 src0=0 src1=1 src2=0
	v_mul_i32_i24_e32 v116 /*v372*/, v205, v117 /*v373*/
	v_mul_i32_i24_e32 v166 /*v422*/, v207, v119 /*v375*/
	s_set_vgpr_msb 0x55                     ;  msbs: dst=1 src0=1 src1=1 src2=1
	v_add3_u32 v80 /*v336*/, v80 /*v336*/, v116 /*v372*/, v166 /*v422*/
	s_set_vgpr_msb 0x44                     ;  msbs: dst=1 src0=0 src1=1 src2=0
	v_mul_i32_i24_e32 v116 /*v372*/, v220, v140 /*v396*/
	v_mul_i32_i24_e32 v166 /*v422*/, v221, v142 /*v398*/
	s_set_vgpr_msb 0x55                     ;  msbs: dst=1 src0=1 src1=1 src2=1
	v_add3_u32 v80 /*v336*/, v80 /*v336*/, v167 /*v423*/, v168 /*v424*/
	s_set_vgpr_msb 0x54                     ;  msbs: dst=1 src0=0 src1=1 src2=1
	v_mul_i32_i24_e32 v167 /*v423*/, v223, v110 /*v366*/
	v_mad_i32_i24 v116 /*v372*/, v219, v141 /*v397*/, v116 /*v372*/
	v_mul_i32_i24_e32 v168 /*v424*/, v231, v149 /*v405*/
	s_set_vgpr_msb 0x55                     ;  msbs: dst=1 src0=1 src1=1 src2=1
	v_add3_u32 v80 /*v336*/, v80 /*v336*/, v169 /*v425*/, v170 /*v426*/
	s_set_vgpr_msb 0x44                     ;  msbs: dst=1 src0=0 src1=1 src2=0
	v_mul_i32_i24_e32 v169 /*v425*/, v233, v111 /*v367*/
	s_set_vgpr_msb 0x55                     ;  msbs: dst=1 src0=1 src1=1 src2=1
	v_add3_u32 v116 /*v372*/, v116 /*v372*/, v166 /*v422*/, v167 /*v423*/
	s_set_vgpr_msb 0x44                     ;  msbs: dst=1 src0=0 src1=1 src2=0
	v_mul_i32_i24_e32 v166 /*v422*/, v227, v146 /*v402*/
	v_mul_i32_i24_e32 v167 /*v423*/, v229, v148 /*v404*/
	s_set_vgpr_msb 0x55                     ;  msbs: dst=1 src0=1 src1=1 src2=1
	v_add3_u32 v80 /*v336*/, v80 /*v336*/, v171 /*v427*/, v172 /*v428*/
	s_set_vgpr_msb 0x44                     ;  msbs: dst=1 src0=0 src1=1 src2=0
	v_mul_i32_i24_e32 v170 /*v426*/, v235, v150 /*v406*/
	v_mul_i32_i24_e32 v171 /*v427*/, v237, v151 /*v407*/
	v_mul_i32_i24_e32 v172 /*v428*/, v240, v152 /*v408*/
	s_set_vgpr_msb 0x55                     ;  msbs: dst=1 src0=1 src1=1 src2=1
	v_add3_u32 v116 /*v372*/, v116 /*v372*/, v166 /*v422*/, v167 /*v423*/
	v_add3_u32 v80 /*v336*/, v80 /*v336*/, v173 /*v429*/, v174 /*v430*/
	s_set_vgpr_msb 0x44                     ;  msbs: dst=1 src0=0 src1=1 src2=0
	v_mul_i32_i24_e32 v173 /*v429*/, v242, v112 /*v368*/
	v_mul_i32_i24_e32 v174 /*v430*/, v245, v153 /*v409*/
	s_set_vgpr_msb 0x55                     ;  msbs: dst=1 src0=1 src1=1 src2=1
	v_mul_i32_i24_e32 v166 /*v422*/, v158 /*v414*/, v97 /*v353*/
	v_add3_u32 v116 /*v372*/, v116 /*v372*/, v168 /*v424*/, v169 /*v425*/
	v_add3_u32 v80 /*v336*/, v80 /*v336*/, v176 /*v432*/, v177 /*v433*/
	s_set_vgpr_msb 0x44                     ;  msbs: dst=1 src0=0 src1=1 src2=0
	v_mul_i32_i24_e32 v176 /*v432*/, v247, v154 /*v410*/
	v_mul_i32_i24_e32 v177 /*v433*/, v249, v155 /*v411*/
	s_set_vgpr_msb 0x55                     ;  msbs: dst=1 src0=1 src1=1 src2=1
	v_mul_i32_i24_e32 v168 /*v424*/, v160 /*v416*/, v96 /*v352*/
	v_add3_u32 v116 /*v372*/, v116 /*v372*/, v170 /*v426*/, v171 /*v427*/
	v_mul_lo_u32 v80 /*v336*/, v80 /*v336*/, v98 /*v354*/
	v_mul_i32_i24_e32 v170 /*v426*/, v164 /*v420*/, v93 /*v349*/
	v_mul_i32_i24_e32 v169 /*v425*/, v162 /*v418*/, v95 /*v351*/
	;; [unrolled: 1-line block ×3, first 2 shown]
	v_add3_u32 v116 /*v372*/, v116 /*v372*/, v172 /*v428*/, v173 /*v429*/
	v_mul_i32_i24_e32 v171 /*v427*/, v1 /*v257*/, v121 /*v377*/
	v_mad_i32_i24 v170 /*v426*/, v163 /*v419*/, v94 /*v350*/, v170 /*v426*/
	v_mul_i32_i24_e32 v172 /*v428*/, v3 /*v259*/, v122 /*v378*/
	v_mul_i32_i24_e32 v173 /*v429*/, v5 /*v261*/, v123 /*v379*/
	v_add3_u32 v116 /*v372*/, v116 /*v372*/, v174 /*v430*/, v176 /*v432*/
	v_mul_i32_i24_e32 v174 /*v430*/, v7 /*v263*/, v86 /*v342*/
	v_add3_u32 v168 /*v424*/, v170 /*v426*/, v169 /*v425*/, v168 /*v424*/
	v_mul_i32_i24_e32 v170 /*v426*/, v0 /*v256*/, v85 /*v341*/
	s_set_vgpr_msb 0x44                     ;  msbs: dst=1 src0=0 src1=1 src2=0
	v_mul_i32_i24_e32 v85 /*v341*/, v179, v85 /*v341*/
	s_set_vgpr_msb 0x55                     ;  msbs: dst=1 src0=1 src1=1 src2=1
	v_add3_u32 v116 /*v372*/, v116 /*v372*/, v177 /*v433*/, v178 /*v434*/
	s_set_vgpr_msb 0x44                     ;  msbs: dst=1 src0=0 src1=1 src2=0
	v_mul_i32_i24_e32 v169 /*v425*/, v254, v120 /*v376*/
	s_set_vgpr_msb 0x55                     ;  msbs: dst=1 src0=1 src1=1 src2=1
	v_add3_u32 v166 /*v422*/, v168 /*v424*/, v166 /*v422*/, v167 /*v423*/
	s_set_vgpr_msb 0x44                     ;  msbs: dst=1 src0=0 src1=1 src2=0
	v_mul_i32_i24_e32 v167 /*v423*/, v252, v105 /*v361*/
	v_mul_i32_i24_e32 v168 /*v424*/, v248, v84 /*v340*/
	s_set_vgpr_msb 0x55                     ;  msbs: dst=1 src0=1 src1=1 src2=1
	v_mad_u32 v80 /*v336*/, v116 /*v372*/, v92 /*v348*/, v80 /*v336*/
	s_set_vgpr_msb 0x44                     ;  msbs: dst=1 src0=0 src1=1 src2=0
	v_mul_i32_i24_e32 v105 /*v361*/, v176, v105 /*v361*/
	v_mul_i32_i24_e32 v84 /*v340*/, v174, v84 /*v340*/
	;; [unrolled: 1-line block ×3, first 2 shown]
	s_set_vgpr_msb 0x45                     ;  msbs: dst=1 src0=1 src1=1 src2=0
	v_mul_i32_i24_e32 v176 /*v432*/, v10 /*v266*/, v137 /*v393*/
	v_mul_i32_i24_e32 v177 /*v433*/, v12 /*v268*/, v138 /*v394*/
	;; [unrolled: 1-line block ×3, first 2 shown]
	v_cvt_f32_i32_e32 v116 /*v372*/, v80 /*v336*/
	s_set_vgpr_msb 0x54                     ;  msbs: dst=1 src0=0 src1=1 src2=1
	v_mul_i32_i24_e32 v80 /*v336*/, v243, v79 /*v335*/
	v_mul_i32_i24_e32 v79 /*v335*/, v173, v79 /*v335*/
	s_delay_alu instid0(VALU_DEP_2) | instskip(NEXT) | instid1(VALU_DEP_2)
	v_mad_i32_i24 v80 /*v336*/, v238, v88 /*v344*/, v80 /*v336*/
	v_mad_i32_i24 v79 /*v335*/, v172, v88 /*v344*/, v79 /*v335*/
	v_mul_i32_i24_e32 v88 /*v344*/, v177, v119 /*v375*/
	s_set_vgpr_msb 0x55                     ;  msbs: dst=1 src0=1 src1=1 src2=1
	s_delay_alu instid0(VALU_DEP_3) | instskip(NEXT) | instid1(VALU_DEP_3)
	v_add3_u32 v80 /*v336*/, v80 /*v336*/, v167 /*v423*/, v168 /*v424*/
	v_add3_u32 v79 /*v335*/, v79 /*v335*/, v105 /*v361*/, v84 /*v340*/
	s_set_vgpr_msb 0x44                     ;  msbs: dst=1 src0=0 src1=1 src2=0
	v_mul_i32_i24_e32 v84 /*v340*/, v175, v117 /*v373*/
	v_mul_i32_i24_e32 v105 /*v361*/, v178, v120 /*v376*/
	;; [unrolled: 1-line block ×5, first 2 shown]
	s_set_vgpr_msb 0x55                     ;  msbs: dst=1 src0=1 src1=1 src2=1
	v_add3_u32 v79 /*v335*/, v79 /*v335*/, v84 /*v340*/, v88 /*v344*/
	s_set_vgpr_msb 0x44                     ;  msbs: dst=1 src0=0 src1=1 src2=0
	v_mul_i32_i24_e32 v119 /*v375*/, v181, v122 /*v378*/
	v_mul_i32_i24_e32 v120 /*v376*/, v182, v123 /*v379*/
	;; [unrolled: 1-line block ×3, first 2 shown]
	s_set_vgpr_msb 0x55                     ;  msbs: dst=1 src0=1 src1=1 src2=1
	v_add3_u32 v80 /*v336*/, v80 /*v336*/, v167 /*v423*/, v168 /*v424*/
	v_add3_u32 v79 /*v335*/, v79 /*v335*/, v105 /*v361*/, v85 /*v341*/
	s_set_vgpr_msb 0x54                     ;  msbs: dst=1 src0=0 src1=1 src2=1
	v_mul_i32_i24_e32 v121 /*v377*/, v184, v137 /*v393*/
	v_mul_i32_i24_e32 v122 /*v378*/, v185, v138 /*v394*/
	;; [unrolled: 1-line block ×3, first 2 shown]
	v_mad_i32_i24 v84 /*v340*/, v187, v141 /*v397*/, v84 /*v340*/
	s_set_vgpr_msb 0x55                     ;  msbs: dst=1 src0=1 src1=1 src2=1
	v_add3_u32 v79 /*v335*/, v79 /*v335*/, v117 /*v373*/, v119 /*v375*/
	v_add3_u32 v80 /*v336*/, v80 /*v336*/, v169 /*v425*/, v170 /*v426*/
	s_set_vgpr_msb 0x44                     ;  msbs: dst=1 src0=0 src1=1 src2=0
	v_mul_i32_i24_e32 v123 /*v379*/, v186, v139 /*v395*/
	v_mul_i32_i24_e32 v88 /*v344*/, v195, v111 /*v367*/
	s_set_vgpr_msb 0x55                     ;  msbs: dst=1 src0=1 src1=1 src2=1
	v_mul_i32_i24_e32 v169 /*v425*/, v25 /*v281*/, v110 /*v366*/
	v_add3_u32 v79 /*v335*/, v79 /*v335*/, v120 /*v376*/, v86 /*v342*/
	s_set_vgpr_msb 0x44                     ;  msbs: dst=1 src0=0 src1=1 src2=0
	v_mul_i32_i24_e32 v86 /*v342*/, v191, v110 /*v366*/
	s_set_vgpr_msb 0x55                     ;  msbs: dst=1 src0=1 src1=1 src2=1
	v_add3_u32 v80 /*v336*/, v80 /*v336*/, v171 /*v427*/, v172 /*v428*/
	s_set_vgpr_msb 0x44                     ;  msbs: dst=1 src0=0 src1=1 src2=0
	v_mul_i32_i24_e32 v105 /*v361*/, v196, v150 /*v406*/
	v_mul_i32_i24_e32 v110 /*v366*/, v197, v151 /*v407*/
	s_set_vgpr_msb 0x55                     ;  msbs: dst=1 src0=1 src1=1 src2=1
	v_add3_u32 v79 /*v335*/, v79 /*v335*/, v121 /*v377*/, v122 /*v378*/
	v_add3_u32 v84 /*v340*/, v84 /*v340*/, v85 /*v341*/, v86 /*v342*/
	s_set_vgpr_msb 0x44                     ;  msbs: dst=1 src0=0 src1=1 src2=0
	v_mul_i32_i24_e32 v85 /*v341*/, v192, v146 /*v402*/
	v_mul_i32_i24_e32 v86 /*v342*/, v193, v148 /*v404*/
	s_set_vgpr_msb 0x55                     ;  msbs: dst=1 src0=1 src1=1 src2=1
	v_add3_u32 v80 /*v336*/, v80 /*v336*/, v173 /*v429*/, v174 /*v430*/
	v_add3_u32 v79 /*v335*/, v79 /*v335*/, v123 /*v379*/, v87 /*v343*/
	s_set_vgpr_msb 0x44                     ;  msbs: dst=1 src0=0 src1=1 src2=0
	v_mul_i32_i24_e32 v87 /*v343*/, v194, v149 /*v405*/
	s_set_vgpr_msb 0x55                     ;  msbs: dst=1 src0=1 src1=1 src2=1
	v_mul_i32_i24_e32 v171 /*v427*/, v29 /*v285*/, v111 /*v367*/
	v_add3_u32 v84 /*v340*/, v84 /*v340*/, v85 /*v341*/, v86 /*v342*/
	v_add3_u32 v80 /*v336*/, v80 /*v336*/, v176 /*v432*/, v177 /*v433*/
	v_mul_i32_i24_e32 v176 /*v432*/, v33 /*v289*/, v112 /*v368*/
	s_set_vgpr_msb 0x44                     ;  msbs: dst=1 src0=0 src1=1 src2=0
	v_mul_i32_i24_e32 v111 /*v367*/, v198, v152 /*v408*/
	v_mul_i32_i24_e32 v112 /*v368*/, v199, v112 /*v368*/
	s_set_vgpr_msb 0x55                     ;  msbs: dst=1 src0=1 src1=1 src2=1
	v_add3_u32 v84 /*v340*/, v84 /*v340*/, v87 /*v343*/, v88 /*v344*/
	s_set_vgpr_msb 0x44                     ;  msbs: dst=1 src0=0 src1=1 src2=0
	v_mul_i32_i24_e32 v117 /*v373*/, v200, v153 /*v409*/
	v_mul_i32_i24_e32 v119 /*v375*/, v201, v154 /*v410*/
	s_set_vgpr_msb 0x45                     ;  msbs: dst=1 src0=1 src1=1 src2=0
	v_mul_lo_u32 v79 /*v335*/, v79 /*v335*/, v134 /*v390*/
	s_set_vgpr_msb 0x44                     ;  msbs: dst=1 src0=0 src1=1 src2=0
	v_mul_i32_i24_e32 v120 /*v376*/, v202, v155 /*v411*/
	s_set_vgpr_msb 0x55                     ;  msbs: dst=1 src0=1 src1=1 src2=1
	v_add3_u32 v84 /*v340*/, v84 /*v340*/, v105 /*v361*/, v110 /*v366*/
	v_mul_i32_i24_e32 v105 /*v361*/, v164 /*v420*/, v77 /*v333*/
	v_mul_i32_i24_e32 v87 /*v343*/, v160 /*v416*/, v126 /*v382*/
	;; [unrolled: 1-line block ×4, first 2 shown]
	v_add3_u32 v84 /*v340*/, v84 /*v340*/, v111 /*v367*/, v112 /*v368*/
	v_mad_i32_i24 v105 /*v361*/, v163 /*v419*/, v124 /*v380*/, v105 /*v361*/
	v_mul_i32_i24_e32 v86 /*v342*/, v159 /*v415*/, v129 /*v385*/
	v_mul_i32_i24_e32 v167 /*v423*/, v20 /*v276*/, v140 /*v396*/
	;; [unrolled: 1-line block ×3, first 2 shown]
	v_add3_u32 v84 /*v340*/, v84 /*v340*/, v117 /*v373*/, v119 /*v375*/
	v_add3_u32 v87 /*v343*/, v105 /*v361*/, v88 /*v344*/, v87 /*v343*/
	v_mul_i32_i24_e32 v170 /*v426*/, v28 /*v284*/, v149 /*v405*/
	v_mad_i32_i24 v167 /*v423*/, v18 /*v274*/, v141 /*v397*/, v167 /*v423*/
	v_mul_i32_i24_e32 v172 /*v428*/, v30 /*v286*/, v150 /*v406*/
	v_add3_u32 v84 /*v340*/, v84 /*v340*/, v120 /*v376*/, v113 /*v369*/
	v_add3_u32 v119 /*v375*/, v87 /*v343*/, v85 /*v341*/, v86 /*v342*/
	v_mul_i32_i24_e32 v173 /*v429*/, v31 /*v287*/, v151 /*v407*/
	v_add3_u32 v167 /*v423*/, v167 /*v423*/, v168 /*v424*/, v169 /*v425*/
	v_mul_i32_i24_e32 v168 /*v424*/, v26 /*v282*/, v146 /*v402*/
	v_mad_u32 v79 /*v335*/, v84 /*v340*/, v143 /*v399*/, v79 /*v335*/
	ds_load_b32 v105 /*v361*/, v115 /*v371*/ offset:30368
	ds_load_b128 v[84:87] /*v[340:343]*/, v114 /*v370*/ offset:16896
	ds_load_b128 v[110:113] /*v[366:369]*/, v114 /*v370*/ offset:16912
	v_mul_i32_i24_e32 v169 /*v425*/, v27 /*v283*/, v148 /*v404*/
	v_mul_i32_i24_e32 v174 /*v430*/, v32 /*v288*/, v152 /*v408*/
	v_add3_u32 v80 /*v336*/, v80 /*v336*/, v178 /*v434*/, v179 /*v435*/
	v_mul_i32_i24_e32 v177 /*v433*/, v34 /*v290*/, v153 /*v409*/
	v_mul_i32_i24_e32 v178 /*v434*/, v35 /*v291*/, v154 /*v410*/
	v_add3_u32 v167 /*v423*/, v167 /*v423*/, v168 /*v424*/, v169 /*v425*/
	v_mul_i32_i24_e32 v179 /*v435*/, v36 /*v292*/, v155 /*v411*/
	v_mul_i32_i24_e32 v168 /*v424*/, v158 /*v414*/, v67 /*v323*/
	;; [unrolled: 1-line block ×3, first 2 shown]
	v_cvt_f32_i32_e32 v88 /*v344*/, v79 /*v335*/
	v_add3_u32 v167 /*v423*/, v167 /*v423*/, v170 /*v426*/, v171 /*v427*/
	v_mul_i32_i24_e32 v170 /*v426*/, v160 /*v416*/, v65 /*v321*/
	v_mul_i32_i24_e32 v171 /*v427*/, v162 /*v418*/, v64 /*v320*/
	v_mul_lo_u32 v80 /*v336*/, v80 /*v336*/, v66 /*v322*/
	s_delay_alu instid0(VALU_DEP_4)
	v_add3_u32 v167 /*v423*/, v167 /*v423*/, v172 /*v428*/, v173 /*v429*/
	v_mul_i32_i24_e32 v172 /*v428*/, v164 /*v420*/, v62 /*v318*/
	s_wait_dscnt 0x1
	v_bfe_i32 v114 /*v370*/, v84 /*v340*/, 0, 8
	s_wait_dscnt 0x0
	v_bfe_i32 v146 /*v402*/, v110 /*v366*/, 0, 8
	v_bfe_i32 v148 /*v404*/, v110 /*v366*/, 8, 8
	v_bfe_i32 v149 /*v405*/, v110 /*v366*/, 16, 8
	v_ashrrev_i32_e32 v110 /*v366*/, 24, v110 /*v366*/
	v_bfe_i32 v150 /*v406*/, v111 /*v367*/, 0, 8
	v_bfe_i32 v151 /*v407*/, v111 /*v367*/, 8, 8
	v_bfe_i32 v152 /*v408*/, v111 /*v367*/, 16, 8
	v_ashrrev_i32_e32 v111 /*v367*/, 24, v111 /*v367*/
	;; [unrolled: 4-line block ×3, first 2 shown]
	v_bfe_i32 v158 /*v414*/, v113 /*v369*/, 0, 8
	v_bfe_i32 v159 /*v415*/, v113 /*v369*/, 8, 8
	v_bfe_i32 v160 /*v416*/, v113 /*v369*/, 16, 8
	v_dual_ashrrev_i32 v113 /*v369*/, 24, v113 /*v369*/ :: v_dual_add_nc_u32 v79 /*v335*/, v111 /*v367*/, v110 /*v366*/
	v_add3_u32 v167 /*v423*/, v167 /*v423*/, v174 /*v430*/, v176 /*v432*/
	v_mad_i32_i24 v172 /*v428*/, v163 /*v419*/, v63 /*v319*/, v172 /*v428*/
	v_bfe_i32 v115 /*v371*/, v84 /*v340*/, 8, 8
	v_bfe_i32 v120 /*v376*/, v84 /*v340*/, 16, 8
	v_add3_u32 v162 /*v418*/, v79 /*v335*/, v112 /*v368*/, v113 /*v369*/
	v_add_nc_u32_e32 v79 /*v335*/, v152 /*v408*/, v149 /*v405*/
	v_add3_u32 v167 /*v423*/, v167 /*v423*/, v177 /*v433*/, v178 /*v434*/
	v_ashrrev_i32_e32 v84 /*v340*/, 24, v84 /*v340*/
	s_set_vgpr_msb 4                        ;  msbs: dst=0 src0=0 src1=1 src2=0
	v_mul_i32_i24_e32 v121, v121, v114 /*v370*/
	s_set_vgpr_msb 0x55                     ;  msbs: dst=1 src0=1 src1=1 src2=1
	v_bfe_i32 v121 /*v377*/, v85 /*v341*/, 0, 8
	v_add3_u32 v163 /*v419*/, v79 /*v335*/, v155 /*v411*/, v160 /*v416*/
	v_add_nc_u32_e32 v79 /*v335*/, v150 /*v406*/, v146 /*v402*/
	v_add3_u32 v167 /*v423*/, v167 /*v423*/, v179 /*v435*/, v180 /*v436*/
	v_bfe_i32 v122 /*v378*/, v85 /*v341*/, 8, 8
	v_bfe_i32 v123 /*v379*/, v85 /*v341*/, 16, 8
	v_ashrrev_i32_e32 v85 /*v341*/, 24, v85 /*v341*/
	v_add3_u32 v164 /*v420*/, v79 /*v335*/, v153 /*v409*/, v158 /*v414*/
	v_add_nc_u32_e32 v79 /*v335*/, v151 /*v407*/, v148 /*v404*/
	s_set_vgpr_msb 4                        ;  msbs: dst=0 src0=0 src1=1 src2=0
	v_mul_i32_i24_e32 v224, v224, v120 /*v376*/
	v_mul_i32_i24_e32 v127, v127, v84 /*v340*/
	v_mad_i32_i24 v119, v119, v115 /*v371*/, v121
	s_set_vgpr_msb 0x55                     ;  msbs: dst=1 src0=1 src1=1 src2=1
	v_add3_u32 v170 /*v426*/, v172 /*v428*/, v171 /*v427*/, v170 /*v426*/
	v_mad_u32 v80 /*v336*/, v167 /*v423*/, v60 /*v316*/, v80 /*v336*/
	v_bfe_i32 v137 /*v393*/, v86 /*v342*/, 0, 8
	v_bfe_i32 v138 /*v394*/, v86 /*v342*/, 8, 8
	;; [unrolled: 1-line block ×3, first 2 shown]
	v_ashrrev_i32_e32 v86 /*v342*/, 24, v86 /*v342*/
	v_bfe_i32 v140 /*v396*/, v87 /*v343*/, 0, 8
	v_bfe_i32 v141 /*v397*/, v87 /*v343*/, 8, 8
	v_bfe_i32 v142 /*v398*/, v87 /*v343*/, 16, 8
	v_ashrrev_i32_e32 v87 /*v343*/, 24, v87 /*v343*/
	v_add3_u32 v167 /*v423*/, v79 /*v335*/, v154 /*v410*/, v159 /*v415*/
	v_add_nc_u32_e32 v79 /*v335*/, v85 /*v341*/, v84 /*v340*/
	s_set_vgpr_msb 0                        ;  msbs: dst=0 src0=0 src1=0 src2=0
	v_add3_u32 v119, v119, v224, v127
	s_set_vgpr_msb 4                        ;  msbs: dst=0 src0=0 src1=1 src2=0
	v_mul_i32_i24_e32 v121, v222, v121 /*v377*/
	v_mul_i32_i24_e32 v127, v225, v122 /*v378*/
	s_set_vgpr_msb 0x55                     ;  msbs: dst=1 src0=1 src1=1 src2=1
	v_add3_u32 v168 /*v424*/, v170 /*v426*/, v168 /*v424*/, v169 /*v425*/
	v_add3_u32 v169 /*v425*/, v79 /*v335*/, v86 /*v342*/, v87 /*v343*/
	v_add_nc_u32_e32 v79 /*v335*/, v123 /*v379*/, v120 /*v376*/
	s_set_vgpr_msb 4                        ;  msbs: dst=0 src0=0 src1=1 src2=0
	v_mul_i32_i24_e32 v222, v226, v123 /*v379*/
	v_mul_i32_i24_e32 v224, v228, v85 /*v341*/
	s_set_vgpr_msb 0                        ;  msbs: dst=0 src0=0 src1=0 src2=0
	v_add3_u32 v119, v119, v121, v127
	s_set_vgpr_msb 4                        ;  msbs: dst=0 src0=0 src1=1 src2=0
	v_mul_i32_i24_e32 v121, v255, v146 /*v402*/
	s_set_vgpr_msb 0x55                     ;  msbs: dst=1 src0=1 src1=1 src2=1
	v_add3_u32 v170 /*v426*/, v79 /*v335*/, v139 /*v395*/, v142 /*v398*/
	v_add_nc_u32_e32 v79 /*v335*/, v122 /*v378*/, v115 /*v371*/
	s_set_vgpr_msb 5                        ;  msbs: dst=0 src0=1 src1=1 src2=0
	v_mul_i32_i24_e32 v127, v2 /*v258*/, v149 /*v405*/
	s_set_vgpr_msb 0                        ;  msbs: dst=0 src0=0 src1=0 src2=0
	v_add3_u32 v119, v119, v222, v224
	s_set_vgpr_msb 5                        ;  msbs: dst=0 src0=1 src1=1 src2=0
	v_mul_i32_i24_e32 v222, v4 /*v260*/, v110 /*v366*/
	s_set_vgpr_msb 4                        ;  msbs: dst=0 src0=0 src1=1 src2=0
	v_mad_i32_i24 v121, v251, v148 /*v404*/, v121
	s_set_vgpr_msb 0x55                     ;  msbs: dst=1 src0=1 src1=1 src2=1
	v_add3_u32 v171 /*v427*/, v79 /*v335*/, v138 /*v394*/, v141 /*v397*/
	v_add_nc_u32_e32 v79 /*v335*/, v121 /*v377*/, v114 /*v370*/
	s_set_vgpr_msb 4                        ;  msbs: dst=0 src0=0 src1=1 src2=0
	v_mul_i32_i24_e32 v225, v230, v137 /*v393*/
	v_mul_i32_i24_e32 v226, v232, v138 /*v394*/
	s_set_vgpr_msb 0                        ;  msbs: dst=0 src0=0 src1=0 src2=0
	v_add3_u32 v121, v121, v127, v222
	s_set_vgpr_msb 5                        ;  msbs: dst=0 src0=1 src1=1 src2=0
	v_mul_i32_i24_e32 v127, v6 /*v262*/, v150 /*v406*/
	v_mul_i32_i24_e32 v222, v9 /*v265*/, v151 /*v407*/
	s_set_vgpr_msb 0x55                     ;  msbs: dst=1 src0=1 src1=1 src2=1
	v_add3_u32 v172 /*v428*/, v79 /*v335*/, v137 /*v393*/, v140 /*v396*/
	s_set_vgpr_msb 0                        ;  msbs: dst=0 src0=0 src1=0 src2=0
	v_add3_u32 v119, v119, v225, v226
	s_set_vgpr_msb 5                        ;  msbs: dst=0 src0=1 src1=1 src2=0
	v_mul_i32_i24_e32 v224, v11 /*v267*/, v152 /*v408*/
	v_mul_i32_i24_e32 v225, v13 /*v269*/, v111 /*v367*/
	s_set_vgpr_msb 0                        ;  msbs: dst=0 src0=0 src1=0 src2=0
	v_add3_u32 v121, v121, v127, v222
	s_set_vgpr_msb 4                        ;  msbs: dst=0 src0=0 src1=1 src2=0
	v_mul_i32_i24_e32 v228, v234, v139 /*v395*/
	v_mul_i32_i24_e32 v230, v236, v86 /*v342*/
	;; [unrolled: 1-line block ×4, first 2 shown]
	s_set_vgpr_msb 0                        ;  msbs: dst=0 src0=0 src1=0 src2=0
	v_add3_u32 v121, v121, v224, v225
	s_set_vgpr_msb 5                        ;  msbs: dst=0 src0=1 src1=1 src2=0
	v_mul_i32_i24_e32 v225, v172 /*v428*/, v72 /*v328*/
	s_set_vgpr_msb 0                        ;  msbs: dst=0 src0=0 src1=0 src2=0
	v_add3_u32 v119, v119, v228, v230
	s_set_vgpr_msb 5                        ;  msbs: dst=0 src0=1 src1=1 src2=0
	v_mul_i32_i24_e32 v222, v169 /*v425*/, v56 /*v312*/
	v_mul_i32_i24_e32 v224, v170 /*v426*/, v73 /*v329*/
	;; [unrolled: 1-line block ×3, first 2 shown]
	v_mad_i32_i24 v225, v171 /*v427*/, v70 /*v326*/, v225
	v_mul_i32_i24_e32 v228, v16 /*v272*/, v154 /*v410*/
	s_set_vgpr_msb 4                        ;  msbs: dst=0 src0=0 src1=1 src2=0
	v_mul_i32_i24_e32 v236, v244, v142 /*v398*/
	s_set_vgpr_msb 0                        ;  msbs: dst=0 src0=0 src1=0 src2=0
	v_add3_u32 v119, v119, v232, v234
	s_set_vgpr_msb 4                        ;  msbs: dst=0 src0=0 src1=1 src2=0
	v_mul_i32_i24_e32 v116, v116, v87 /*v343*/
	s_set_vgpr_msb 0                        ;  msbs: dst=0 src0=0 src1=0 src2=0
	v_add3_u32 v222, v225, v224, v222
	v_mul_i32_i24_e32 v224, v109, v97
	s_set_vgpr_msb 5                        ;  msbs: dst=0 src0=1 src1=1 src2=0
	v_mul_i32_i24_e32 v230, v17 /*v273*/, v155 /*v411*/
	v_mul_i32_i24_e32 v232, v19 /*v275*/, v112 /*v368*/
	s_set_vgpr_msb 0                        ;  msbs: dst=0 src0=0 src1=0 src2=0
	v_add3_u32 v121, v121, v226, v228
	v_add3_u32 v116, v119, v236, v116
	s_set_vgpr_msb 5                        ;  msbs: dst=0 src0=1 src1=1 src2=0
	v_add3_u32 v224, v41 /*v297*/, v39 /*v295*/, v224
	v_mul_i32_i24_e32 v234, v21 /*v277*/, v158 /*v414*/
	v_mul_i32_i24_e32 v239, v22 /*v278*/, v159 /*v415*/
	s_set_vgpr_msb 0                        ;  msbs: dst=0 src0=0 src1=0 src2=0
	v_add3_u32 v121, v121, v230, v232
	s_set_vgpr_msb 4                        ;  msbs: dst=0 src0=0 src1=1 src2=0
	v_mul_lo_u32 v116, v116, v57 /*v313*/
	v_mul_lo_u32 v119, v224, v98 /*v354*/
	s_set_vgpr_msb 5                        ;  msbs: dst=0 src0=1 src1=1 src2=0
	v_mul_i32_i24_e32 v241, v24 /*v280*/, v160 /*v416*/
	s_set_vgpr_msb 4                        ;  msbs: dst=0 src0=0 src1=1 src2=0
	v_mul_i32_i24_e32 v224, v218, v53 /*v309*/
	s_set_vgpr_msb 0                        ;  msbs: dst=0 src0=0 src1=0 src2=0
	v_add3_u32 v121, v121, v234, v239
	s_set_vgpr_msb 4                        ;  msbs: dst=0 src0=0 src1=1 src2=0
	v_mul_i32_i24_e32 v225, v246, v113 /*v369*/
	s_set_vgpr_msb 5                        ;  msbs: dst=0 src0=1 src1=1 src2=0
	v_mul_i32_i24_e32 v127, v164 /*v420*/, v58 /*v314*/
	v_mul_i32_i24_e32 v232, v167 /*v423*/, v55 /*v311*/
	s_set_vgpr_msb 4                        ;  msbs: dst=0 src0=0 src1=1 src2=0
	v_mul_i32_i24_e32 v234, v103, v90 /*v346*/
	s_set_vgpr_msb 5                        ;  msbs: dst=0 src0=1 src1=1 src2=0
	v_add3_u32 v224, v46 /*v302*/, v45 /*v301*/, v224
	s_set_vgpr_msb 0                        ;  msbs: dst=0 src0=0 src1=0 src2=0
	v_add3_u32 v121, v121, v241, v225
	s_set_vgpr_msb 5                        ;  msbs: dst=0 src0=1 src1=1 src2=0
	v_mul_i32_i24_e32 v225, v49 /*v305*/, v99 /*v355*/
	v_mul_i32_i24_e32 v226, v162 /*v418*/, v175 /*v431*/
	;; [unrolled: 1-line block ×4, first 2 shown]
	v_add3_u32 v234, v104 /*v360*/, v103 /*v359*/, v234
	s_set_vgpr_msb 0                        ;  msbs: dst=0 src0=0 src1=0 src2=0
	v_add3_u32 v127, v222, v127, v232
	s_set_vgpr_msb 4                        ;  msbs: dst=0 src0=0 src1=1 src2=0
	v_mad_u32 v119, v224, v92 /*v348*/, v119
	v_mad_u32 v116, v121, v54 /*v310*/, v116
	s_set_vgpr_msb 64                       ;  msbs: dst=1 src0=0 src1=0 src2=0
	v_mov_b32_e32 v104 /*v360*/, v91
	s_set_vgpr_msb 0                        ;  msbs: dst=0 src0=0 src1=0 src2=0
	v_add3_u32 v222, v234, v228, v225
	v_add3_u32 v127, v127, v230, v226
	s_set_vgpr_msb 5                        ;  msbs: dst=0 src0=1 src1=1 src2=0
	v_mul_i32_i24_e32 v91, v135 /*v391*/, v175 /*v431*/
	s_set_vgpr_msb 4                        ;  msbs: dst=0 src0=0 src1=1 src2=0
	v_mul_i32_i24_e32 v109, v109, v87 /*v343*/
	s_set_vgpr_msb 0x41                     ;  msbs: dst=1 src0=1 src1=0 src2=0
	v_cvt_f32_i32_e32 v80 /*v336*/, v80 /*v336*/
	s_set_vgpr_msb 64                       ;  msbs: dst=1 src0=0 src1=0 src2=0
	v_cvt_f32_i32_e32 v16 /*v272*/, v222
	v_cvt_f32_i32_e32 v17 /*v273*/, v127
	s_set_vgpr_msb 0                        ;  msbs: dst=0 src0=0 src1=0 src2=0
	v_cvt_f32_i32_e32 v224, v119
	v_cvt_f32_i32_e32 v225, v116
	s_set_vgpr_msb 0x44                     ;  msbs: dst=1 src0=0 src1=1 src2=0
	v_pk_mul_f32 v[16:17] /*v[272:273]*/, v[100:101], v[16:17] /*v[272:273]*/
	s_set_vgpr_msb 4                        ;  msbs: dst=0 src0=0 src1=1 src2=0
	v_mul_i32_i24_e32 v101, v204, v84 /*v340*/
	s_set_vgpr_msb 5                        ;  msbs: dst=0 src0=1 src1=1 src2=0
	v_mul_i32_i24_e32 v204, v36 /*v292*/, v160 /*v416*/
	s_set_vgpr_msb 16                       ;  msbs: dst=0 src0=0 src1=0 src2=1
	v_pk_fma_f32 v[224:225], v[98:99], v[224:225], v[16:17] /*v[272:273]*/ neg_lo:[0,0,1] neg_hi:[0,0,1]
	s_set_vgpr_msb 5                        ;  msbs: dst=0 src0=1 src1=1 src2=0
	v_mul_i32_i24_e32 v99, v136 /*v392*/, v161 /*v417*/
	s_set_vgpr_msb 1                        ;  msbs: dst=0 src0=1 src1=0 src2=0
	s_delay_alu instid0(VALU_DEP_2) | instskip(NEXT) | instid1(VALU_DEP_2)
	v_pk_fma_f32 v[26:27], v[104:105] /*v[360:361]*/, v[224:225], v[26:27]
	v_add3_u32 v91, v144 /*v400*/, v99, v91
	s_set_vgpr_msb 5                        ;  msbs: dst=0 src0=1 src1=1 src2=0
	v_mul_i32_i24_e32 v99, v136 /*v392*/, v100 /*v356*/
	s_set_vgpr_msb 0                        ;  msbs: dst=0 src0=0 src1=0 src2=0
	s_delay_alu instid0(VALU_DEP_2) | instskip(NEXT) | instid1(VALU_DEP_1)
	v_cvt_f32_i32_e32 v127, v91
	v_pk_mul_f32 v[126:127], v[112:113], v[126:127]
	s_delay_alu instid0(VALU_DEP_1)
	v_sub_f32_e32 v91, v126, v127
	s_set_vgpr_msb 5                        ;  msbs: dst=0 src0=1 src1=1 src2=0
	v_mul_i32_i24_e32 v126, v14 /*v270*/, v142 /*v398*/
	v_mul_i32_i24_e32 v127, v35 /*v291*/, v159 /*v415*/
	s_set_vgpr_msb 1                        ;  msbs: dst=0 src0=1 src1=0 src2=0
	v_mul_f32_e32 v121, v89 /*v345*/, v91
	s_set_vgpr_msb 5                        ;  msbs: dst=0 src0=1 src1=1 src2=0
	v_mul_i32_i24_e32 v91, v135 /*v391*/, v99 /*v355*/
	s_set_vgpr_msb 0                        ;  msbs: dst=0 src0=0 src1=0 src2=0
	s_delay_alu instid0(VALU_DEP_2) | instskip(SKIP_1) | instid1(VALU_DEP_2)
	v_pk_add_f32 v[70:71], v[70:71], v[120:121]
	s_set_vgpr_msb 1                        ;  msbs: dst=0 src0=1 src1=0 src2=0
	v_add3_u32 v91, v145 /*v401*/, v99, v91
	s_set_vgpr_msb 5                        ;  msbs: dst=0 src0=1 src1=1 src2=0
	v_mul_i32_i24_e32 v99, v157 /*v413*/, v161 /*v417*/
	s_set_vgpr_msb 64                       ;  msbs: dst=1 src0=0 src1=0 src2=0
	s_delay_alu instid0(VALU_DEP_2) | instskip(SKIP_1) | instid1(VALU_DEP_1)
	v_cvt_f32_i32_e32 v79 /*v335*/, v91
	s_set_vgpr_msb 4                        ;  msbs: dst=0 src0=0 src1=1 src2=0
	v_pk_mul_f32 v[120:121], v[114:115], v[78:79] /*v[334:335]*/
	s_set_vgpr_msb 0                        ;  msbs: dst=0 src0=0 src1=0 src2=0
	s_delay_alu instid0(VALU_DEP_1)
	v_sub_f32_e32 v91, v120, v121
	s_set_vgpr_msb 4                        ;  msbs: dst=0 src0=0 src1=1 src2=0
	v_mul_i32_i24_e32 v120, v216, v141 /*v397*/
	v_mul_i32_i24_e32 v121, v217, v142 /*v398*/
	s_set_vgpr_msb 1                        ;  msbs: dst=0 src0=1 src1=0 src2=0
	v_mul_f32_e32 v119, v89 /*v345*/, v91
	s_set_vgpr_msb 5                        ;  msbs: dst=0 src0=1 src1=1 src2=0
	v_mul_i32_i24_e32 v91, v156 /*v412*/, v175 /*v431*/
	s_set_vgpr_msb 0                        ;  msbs: dst=0 src0=0 src1=0 src2=0
	s_delay_alu instid0(VALU_DEP_2) | instskip(SKIP_1) | instid1(VALU_DEP_2)
	v_pk_add_f32 v[72:73], v[72:73], v[118:119]
	s_set_vgpr_msb 1                        ;  msbs: dst=0 src0=1 src1=0 src2=0
	v_add3_u32 v91, v165 /*v421*/, v99, v91
	s_set_vgpr_msb 5                        ;  msbs: dst=0 src0=1 src1=1 src2=0
	v_mul_i32_i24_e32 v99, v157 /*v413*/, v100 /*v356*/
	s_set_vgpr_msb 4                        ;  msbs: dst=0 src0=0 src1=1 src2=0
	v_mul_i32_i24_e32 v118, v214, v86 /*v342*/
	v_mul_i32_i24_e32 v119, v215, v140 /*v396*/
	s_set_vgpr_msb 64                       ;  msbs: dst=1 src0=0 src1=0 src2=0
	v_cvt_f32_i32_e32 v103 /*v359*/, v91
	s_set_vgpr_msb 4                        ;  msbs: dst=0 src0=0 src1=1 src2=0
	s_delay_alu instid0(VALU_DEP_1) | instskip(SKIP_1) | instid1(VALU_DEP_1)
	v_pk_mul_f32 v[112:113], v[112:113], v[102:103] /*v[358:359]*/
	s_set_vgpr_msb 0                        ;  msbs: dst=0 src0=0 src1=0 src2=0
	v_sub_f32_e32 v91, v112, v113
	s_set_vgpr_msb 1                        ;  msbs: dst=0 src0=1 src1=0 src2=0
	s_delay_alu instid0(VALU_DEP_1) | instskip(SKIP_3) | instid1(VALU_DEP_1)
	v_mul_f32_e32 v116, v118 /*v374*/, v91
	s_set_vgpr_msb 5                        ;  msbs: dst=0 src0=1 src1=1 src2=0
	v_mul_i32_i24_e32 v91, v156 /*v412*/, v99 /*v355*/
	s_set_vgpr_msb 1                        ;  msbs: dst=0 src0=1 src1=0 src2=0
	v_add3_u32 v91, v166 /*v422*/, v99, v91
	s_set_vgpr_msb 4                        ;  msbs: dst=0 src0=0 src1=1 src2=0
	v_mul_i32_i24_e32 v99, v206, v120 /*v376*/
	s_set_vgpr_msb 1                        ;  msbs: dst=0 src0=1 src1=0 src2=0
	v_bfe_i32 v206, v61 /*v317*/, 16, 8
	s_set_vgpr_msb 64                       ;  msbs: dst=1 src0=0 src1=0 src2=0
	v_cvt_f32_i32_e32 v117 /*v373*/, v91
	s_set_vgpr_msb 4                        ;  msbs: dst=0 src0=0 src1=1 src2=0
	s_delay_alu instid0(VALU_DEP_1) | instskip(SKIP_3) | instid1(VALU_DEP_3)
	v_pk_mul_f32 v[112:113], v[114:115], v[116:117] /*v[372:373]*/
	v_mul_i32_i24_e32 v114, v210, v85 /*v341*/
	v_mul_i32_i24_e32 v115, v211, v137 /*v393*/
	s_set_vgpr_msb 0                        ;  msbs: dst=0 src0=0 src1=0 src2=0
	v_sub_f32_e32 v91, v112, v113
	s_set_vgpr_msb 4                        ;  msbs: dst=0 src0=0 src1=1 src2=0
	v_mul_i32_i24_e32 v113, v208, v123 /*v379*/
	s_set_vgpr_msb 1                        ;  msbs: dst=0 src0=1 src1=0 src2=0
	s_delay_alu instid0(VALU_DEP_2)
	v_mul_f32_e32 v112, v118 /*v374*/, v91
	s_set_vgpr_msb 4                        ;  msbs: dst=0 src0=0 src1=1 src2=0
	v_mul_i32_i24_e32 v91, v125, v114 /*v370*/
	s_set_vgpr_msb 0                        ;  msbs: dst=0 src0=0 src1=0 src2=0
	v_pk_add_f32 v[58:59], v[58:59], v[116:117]
	s_set_vgpr_msb 4                        ;  msbs: dst=0 src0=0 src1=1 src2=0
	v_mul_i32_i24_e32 v116, v212, v138 /*v394*/
	v_mul_i32_i24_e32 v117, v213, v139 /*v395*/
	;; [unrolled: 1-line block ×3, first 2 shown]
	v_mad_i32_i24 v91, v123, v115 /*v371*/, v91
	v_mul_i32_i24_e32 v123, v247, v159 /*v415*/
	s_set_vgpr_msb 0                        ;  msbs: dst=0 src0=0 src1=0 src2=0
	s_delay_alu instid0(VALU_DEP_2)
	v_add3_u32 v91, v91, v99, v101
	s_set_vgpr_msb 4                        ;  msbs: dst=0 src0=0 src1=1 src2=0
	v_mul_i32_i24_e32 v99, v205, v121 /*v377*/
	v_mul_i32_i24_e32 v101, v207, v122 /*v378*/
	s_set_vgpr_msb 1                        ;  msbs: dst=0 src0=1 src1=0 src2=0
	v_bfe_i32 v205, v127 /*v383*/, 16, 8
	s_set_vgpr_msb 0                        ;  msbs: dst=0 src0=0 src1=0 src2=0
	s_delay_alu instid0(VALU_DEP_2)
	v_add3_u32 v91, v91, v99, v101
	s_set_vgpr_msb 4                        ;  msbs: dst=0 src0=0 src1=1 src2=0
	v_mul_i32_i24_e32 v99, v220, v146 /*v402*/
	v_mul_i32_i24_e32 v101, v221, v149 /*v405*/
	s_set_vgpr_msb 0                        ;  msbs: dst=0 src0=0 src1=0 src2=0
	v_add3_u32 v91, v91, v113, v114
	s_set_vgpr_msb 4                        ;  msbs: dst=0 src0=0 src1=1 src2=0
	v_mul_i32_i24_e32 v113, v223, v110 /*v366*/
	v_mad_i32_i24 v99, v219, v148 /*v404*/, v99
	v_mul_i32_i24_e32 v114, v231, v152 /*v408*/
	s_set_vgpr_msb 0                        ;  msbs: dst=0 src0=0 src1=0 src2=0
	v_add3_u32 v91, v91, v115, v116
	s_set_vgpr_msb 4                        ;  msbs: dst=0 src0=0 src1=1 src2=0
	v_mul_i32_i24_e32 v115, v233, v111 /*v367*/
	s_set_vgpr_msb 0                        ;  msbs: dst=0 src0=0 src1=0 src2=0
	v_add3_u32 v99, v99, v101, v113
	s_set_vgpr_msb 4                        ;  msbs: dst=0 src0=0 src1=1 src2=0
	v_mul_i32_i24_e32 v101, v227, v150 /*v406*/
	v_mul_i32_i24_e32 v113, v229, v151 /*v407*/
	s_set_vgpr_msb 0                        ;  msbs: dst=0 src0=0 src1=0 src2=0
	v_add3_u32 v91, v91, v117, v118
	s_set_vgpr_msb 4                        ;  msbs: dst=0 src0=0 src1=1 src2=0
	v_mul_i32_i24_e32 v116, v235, v153 /*v409*/
	v_mul_i32_i24_e32 v117, v237, v154 /*v410*/
	;; [unrolled: 1-line block ×3, first 2 shown]
	s_set_vgpr_msb 0                        ;  msbs: dst=0 src0=0 src1=0 src2=0
	v_add3_u32 v99, v99, v101, v113
	v_add3_u32 v91, v91, v119, v120
	s_set_vgpr_msb 5                        ;  msbs: dst=0 src0=1 src1=1 src2=0
	v_mul_i32_i24_e32 v113, v169 /*v425*/, v96 /*v352*/
	s_set_vgpr_msb 4                        ;  msbs: dst=0 src0=0 src1=1 src2=0
	v_mul_i32_i24_e32 v119, v242, v112 /*v368*/
	v_mul_i32_i24_e32 v120, v245, v158 /*v414*/
	s_set_vgpr_msb 0                        ;  msbs: dst=0 src0=0 src1=0 src2=0
	v_add3_u32 v99, v99, v114, v115
	s_set_vgpr_msb 5                        ;  msbs: dst=0 src0=1 src1=1 src2=0
	v_mul_i32_i24_e32 v115, v172 /*v428*/, v93 /*v349*/
	v_mul_i32_i24_e32 v114, v170 /*v426*/, v95 /*v351*/
	s_set_vgpr_msb 0                        ;  msbs: dst=0 src0=0 src1=0 src2=0
	v_add3_u32 v91, v91, v121, v109
	s_set_vgpr_msb 5                        ;  msbs: dst=0 src0=1 src1=1 src2=0
	v_mul_i32_i24_e32 v101, v164 /*v420*/, v97 /*v353*/
	s_set_vgpr_msb 0                        ;  msbs: dst=0 src0=0 src1=0 src2=0
	v_add3_u32 v99, v99, v116, v117
	s_set_vgpr_msb 5                        ;  msbs: dst=0 src0=1 src1=1 src2=0
	v_mad_i32_i24 v115, v171 /*v427*/, v94 /*v350*/, v115
	v_mul_i32_i24_e32 v116, v167 /*v423*/, v90 /*v346*/
	s_set_vgpr_msb 4                        ;  msbs: dst=0 src0=0 src1=1 src2=0
	v_mul_lo_u32 v91, v91, v98 /*v354*/
	s_set_vgpr_msb 5                        ;  msbs: dst=0 src0=1 src1=1 src2=0
	v_mul_i32_i24_e32 v117, v1 /*v257*/, v137 /*v393*/
	s_set_vgpr_msb 0                        ;  msbs: dst=0 src0=0 src1=0 src2=0
	v_add3_u32 v99, v99, v118, v119
	v_add3_u32 v113, v115, v114, v113
	v_mul_i32_i24_e32 v114, v209, v97
	s_set_vgpr_msb 4                        ;  msbs: dst=0 src0=0 src1=1 src2=0
	v_mul_i32_i24_e32 v115, v218, v113 /*v369*/
	s_set_vgpr_msb 5                        ;  msbs: dst=0 src0=1 src1=1 src2=0
	v_mul_i32_i24_e32 v118, v3 /*v259*/, v138 /*v394*/
	s_set_vgpr_msb 0                        ;  msbs: dst=0 src0=0 src1=0 src2=0
	v_add3_u32 v99, v99, v120, v123
	v_add3_u32 v101, v113, v101, v116
	s_set_vgpr_msb 5                        ;  msbs: dst=0 src0=1 src1=1 src2=0
	v_add3_u32 v114, v38 /*v294*/, v37 /*v293*/, v114
	s_set_vgpr_msb 4                        ;  msbs: dst=0 src0=0 src1=1 src2=0
	v_mul_i32_i24_e32 v113, v254, v123 /*v379*/
	s_set_vgpr_msb 5                        ;  msbs: dst=0 src0=1 src1=1 src2=0
	v_mul_i32_i24_e32 v116, v0 /*v256*/, v85 /*v341*/
	s_set_vgpr_msb 0                        ;  msbs: dst=0 src0=0 src1=0 src2=0
	v_add3_u32 v99, v99, v125, v115
	s_set_vgpr_msb 4                        ;  msbs: dst=0 src0=0 src1=1 src2=0
	v_mul_i32_i24_e32 v115, v103, v59 /*v315*/
	v_mul_lo_u32 v109, v114, v66 /*v322*/
	s_set_vgpr_msb 5                        ;  msbs: dst=0 src0=1 src1=1 src2=0
	v_mul_i32_i24_e32 v114, v8 /*v264*/, v53 /*v309*/
	v_mul_i32_i24_e32 v119, v5 /*v261*/, v139 /*v395*/
	s_set_vgpr_msb 4                        ;  msbs: dst=0 src0=0 src1=1 src2=0
	v_mad_u32 v91, v99, v92 /*v348*/, v91
	s_set_vgpr_msb 5                        ;  msbs: dst=0 src0=1 src1=1 src2=0
	v_add3_u32 v120, v74 /*v330*/, v71 /*v327*/, v115
	s_set_vgpr_msb 4                        ;  msbs: dst=0 src0=0 src1=1 src2=0
	v_mul_i32_i24_e32 v99, v252, v120 /*v376*/
	s_set_vgpr_msb 5                        ;  msbs: dst=0 src0=1 src1=1 src2=0
	v_add3_u32 v114, v44 /*v300*/, v43 /*v299*/, v114
	v_mul_i32_i24_e32 v121, v7 /*v263*/, v86 /*v342*/
	v_mul_i32_i24_e32 v123, v10 /*v266*/, v140 /*v396*/
	;; [unrolled: 1-line block ×3, first 2 shown]
	s_set_vgpr_msb 0                        ;  msbs: dst=0 src0=0 src1=0 src2=0
	v_mul_i32_i24_e32 v97, v188, v97
	s_set_vgpr_msb 4                        ;  msbs: dst=0 src0=0 src1=1 src2=0
	v_mad_u32 v109, v114, v60 /*v316*/, v109
	v_mul_i32_i24_e32 v103, v103, v129 /*v385*/
	v_cvt_f32_i32_e32 v115, v91
	v_mul_i32_i24_e32 v91, v243, v114 /*v370*/
	s_set_vgpr_msb 5                        ;  msbs: dst=0 src0=1 src1=1 src2=0
	v_add3_u32 v97, v42 /*v298*/, v40 /*v296*/, v97
	v_add3_u32 v103, v133 /*v389*/, v132 /*v388*/, v103
	s_set_vgpr_msb 4                        ;  msbs: dst=0 src0=0 src1=1 src2=0
	v_mad_i32_i24 v91, v238, v115 /*v371*/, v91
	s_delay_alu instid0(VALU_DEP_3) | instskip(SKIP_3) | instid1(VALU_DEP_1)
	v_mul_lo_u32 v97, v97, v134 /*v390*/
	v_cvt_f32_i32_e32 v114, v109
	v_mul_i32_i24_e32 v109, v248, v84 /*v340*/
	s_set_vgpr_msb 0                        ;  msbs: dst=0 src0=0 src1=0 src2=0
	v_add3_u32 v91, v91, v99, v109
	s_set_vgpr_msb 4                        ;  msbs: dst=0 src0=0 src1=1 src2=0
	v_mul_i32_i24_e32 v99, v250, v121 /*v377*/
	v_mul_i32_i24_e32 v109, v253, v122 /*v378*/
	s_set_vgpr_msb 0                        ;  msbs: dst=0 src0=0 src1=0 src2=0
	s_delay_alu instid0(VALU_DEP_1)
	v_add3_u32 v91, v91, v99, v109
	s_set_vgpr_msb 5                        ;  msbs: dst=0 src0=1 src1=1 src2=0
	v_mul_i32_i24_e32 v99, v20 /*v276*/, v146 /*v402*/
	v_mul_i32_i24_e32 v109, v23 /*v279*/, v149 /*v405*/
	s_set_vgpr_msb 0                        ;  msbs: dst=0 src0=0 src1=0 src2=0
	v_add3_u32 v91, v91, v113, v116
	s_set_vgpr_msb 5                        ;  msbs: dst=0 src0=1 src1=1 src2=0
	v_mul_i32_i24_e32 v113, v25 /*v281*/, v110 /*v366*/
	v_mad_i32_i24 v99, v18 /*v274*/, v148 /*v404*/, v99
	v_mul_i32_i24_e32 v116, v28 /*v284*/, v152 /*v408*/
	s_set_vgpr_msb 0                        ;  msbs: dst=0 src0=0 src1=0 src2=0
	v_add3_u32 v91, v91, v117, v118
	s_set_vgpr_msb 5                        ;  msbs: dst=0 src0=1 src1=1 src2=0
	v_mul_i32_i24_e32 v117, v29 /*v285*/, v111 /*v367*/
	s_set_vgpr_msb 0                        ;  msbs: dst=0 src0=0 src1=0 src2=0
	v_add3_u32 v99, v99, v109, v113
	s_set_vgpr_msb 5                        ;  msbs: dst=0 src0=1 src1=1 src2=0
	v_mul_i32_i24_e32 v109, v26 /*v282*/, v150 /*v406*/
	v_mul_i32_i24_e32 v113, v27 /*v283*/, v151 /*v407*/
	s_set_vgpr_msb 0                        ;  msbs: dst=0 src0=0 src1=0 src2=0
	v_add3_u32 v91, v91, v119, v121
	s_set_vgpr_msb 5                        ;  msbs: dst=0 src0=1 src1=1 src2=0
	v_mul_i32_i24_e32 v118, v30 /*v286*/, v153 /*v409*/
	v_mul_i32_i24_e32 v119, v31 /*v287*/, v154 /*v410*/
	;; [unrolled: 1-line block ×3, first 2 shown]
	s_set_vgpr_msb 0                        ;  msbs: dst=0 src0=0 src1=0 src2=0
	v_add3_u32 v99, v99, v109, v113
	s_set_vgpr_msb 5                        ;  msbs: dst=0 src0=1 src1=1 src2=0
	v_mul_i32_i24_e32 v113, v169 /*v425*/, v65 /*v321*/
	s_set_vgpr_msb 0                        ;  msbs: dst=0 src0=0 src1=0 src2=0
	v_add3_u32 v91, v91, v123, v125
	s_set_vgpr_msb 5                        ;  msbs: dst=0 src0=1 src1=1 src2=0
	v_mul_i32_i24_e32 v123, v33 /*v289*/, v112 /*v368*/
	v_mul_i32_i24_e32 v125, v34 /*v290*/, v158 /*v414*/
	s_set_vgpr_msb 0                        ;  msbs: dst=0 src0=0 src1=0 src2=0
	v_add3_u32 v99, v99, v116, v117
	s_set_vgpr_msb 5                        ;  msbs: dst=0 src0=1 src1=1 src2=0
	v_mul_i32_i24_e32 v117, v172 /*v428*/, v62 /*v318*/
	v_mul_i32_i24_e32 v116, v170 /*v426*/, v64 /*v320*/
	;; [unrolled: 1-line block ×3, first 2 shown]
	s_set_vgpr_msb 0                        ;  msbs: dst=0 src0=0 src1=0 src2=0
	v_add3_u32 v99, v99, v118, v119
	s_set_vgpr_msb 5                        ;  msbs: dst=0 src0=1 src1=1 src2=0
	v_mad_i32_i24 v117, v171 /*v427*/, v63 /*v319*/, v117
	s_set_vgpr_msb 1                        ;  msbs: dst=0 src0=1 src1=0 src2=0
	v_mul_i32_i24_e32 v119, v163 /*v419*/, v206
	s_set_vgpr_msb 0                        ;  msbs: dst=0 src0=0 src1=0 src2=0
	v_add3_u32 v99, v99, v121, v123
	v_add3_u32 v113, v117, v116, v113
	s_set_vgpr_msb 4                        ;  msbs: dst=0 src0=0 src1=1 src2=0
	v_mul_i32_i24_e32 v116, v209, v87 /*v343*/
	s_set_vgpr_msb 5                        ;  msbs: dst=0 src0=1 src1=1 src2=0
	v_mul_i32_i24_e32 v117, v8 /*v264*/, v113 /*v369*/
	v_lshrrev_b32_e32 v121, 24, v127 /*v383*/
	s_set_vgpr_msb 0                        ;  msbs: dst=0 src0=0 src1=0 src2=0
	v_add3_u32 v99, v99, v125, v127
	s_set_vgpr_msb 4                        ;  msbs: dst=0 src0=0 src1=1 src2=0
	v_lshrrev_b32_e32 v127, 24, v61 /*v317*/
	s_set_vgpr_msb 0                        ;  msbs: dst=0 src0=0 src1=0 src2=0
	v_add3_u32 v91, v91, v126, v116
	s_set_vgpr_msb 4                        ;  msbs: dst=0 src0=0 src1=1 src2=0
	v_mul_i32_i24_e32 v116, v203, v53 /*v309*/
	s_set_vgpr_msb 5                        ;  msbs: dst=0 src0=1 src1=1 src2=0
	v_mul_i32_i24_e32 v125, v167 /*v423*/, v59 /*v315*/
	s_set_vgpr_msb 0                        ;  msbs: dst=0 src0=0 src1=0 src2=0
	v_add3_u32 v99, v99, v204, v117
	s_set_vgpr_msb 1                        ;  msbs: dst=0 src0=1 src1=0 src2=0
	v_mul_i32_i24_e32 v117, v162 /*v418*/, v127
	s_set_vgpr_msb 4                        ;  msbs: dst=0 src0=0 src1=1 src2=0
	v_mul_lo_u32 v91, v91, v66 /*v322*/
	s_set_vgpr_msb 5                        ;  msbs: dst=0 src0=1 src1=1 src2=0
	v_add3_u32 v116, v48 /*v304*/, v47 /*v303*/, v116
	s_set_vgpr_msb 1                        ;  msbs: dst=0 src0=1 src1=0 src2=0
	v_mul_i32_i24_e32 v118, v49 /*v305*/, v121
	v_mul_i32_i24_e32 v123, v50 /*v306*/, v205
	s_set_vgpr_msb 0                        ;  msbs: dst=0 src0=0 src1=0 src2=0
	v_add3_u32 v109, v113, v109, v125
	s_set_vgpr_msb 4                        ;  msbs: dst=0 src0=0 src1=1 src2=0
	v_mad_u32 v97, v116, v143 /*v399*/, v97
	s_set_vgpr_msb 0                        ;  msbs: dst=0 src0=0 src1=0 src2=0
	v_add3_u32 v103, v103, v123, v118
	v_add3_u32 v109, v109, v119, v117
	s_set_vgpr_msb 4                        ;  msbs: dst=0 src0=0 src1=1 src2=0
	v_mad_u32 v91, v99, v60 /*v316*/, v91
	s_set_vgpr_msb 1                        ;  msbs: dst=0 src0=1 src1=0 src2=0
	v_mul_i32_i24_e32 v99, v52 /*v308*/, v205
	s_set_vgpr_msb 0                        ;  msbs: dst=0 src0=0 src1=0 src2=0
	v_cvt_f32_i32_e32 v118, v103
	v_cvt_f32_i32_e32 v119, v109
	s_set_vgpr_msb 1                        ;  msbs: dst=0 src0=1 src1=0 src2=0
	v_mul_i32_i24_e32 v103, v107 /*v363*/, v205
	s_set_vgpr_msb 0                        ;  msbs: dst=0 src0=0 src1=0 src2=0
	v_cvt_f32_i32_e32 v116, v97
	s_set_vgpr_msb 1                        ;  msbs: dst=0 src0=1 src1=0 src2=0
	v_mul_i32_i24_e32 v97, v108 /*v364*/, v121
	s_set_vgpr_msb 0                        ;  msbs: dst=0 src0=0 src1=0 src2=0
	v_pk_mul_f32 v[118:119], v[104:105], v[118:119]
	v_cvt_f32_i32_e32 v117, v91
	s_set_vgpr_msb 1                        ;  msbs: dst=0 src0=1 src1=0 src2=0
	v_mul_i32_i24_e32 v91, v51 /*v307*/, v121
	v_add3_u32 v97, v83 /*v339*/, v103, v97
	v_mul_i32_i24_e32 v103, v107 /*v363*/, v206
	s_set_vgpr_msb 0                        ;  msbs: dst=0 src0=0 src1=0 src2=0
	v_pk_fma_f32 v[116:117], v[2:3], v[116:117], v[118:119] neg_lo:[0,0,1] neg_hi:[0,0,1]
	v_add3_u32 v91, v107, v99, v91
	v_cvt_f32_i32_e32 v118, v97
	s_set_vgpr_msb 1                        ;  msbs: dst=0 src0=1 src1=0 src2=0
	v_mul_i32_i24_e32 v97, v108 /*v364*/, v127
	v_mul_i32_i24_e32 v99, v52 /*v308*/, v206
	v_pk_fma_f32 v[34:35], v[104:105] /*v[360:361]*/, v[116:117], v[34:35]
	s_set_vgpr_msb 0                        ;  msbs: dst=0 src0=0 src1=0 src2=0
	v_cvt_f32_i32_e32 v119, v91
	s_set_vgpr_msb 1                        ;  msbs: dst=0 src0=1 src1=0 src2=0
	v_mul_i32_i24_e32 v91, v51 /*v307*/, v127
	v_add3_u32 v97, v131 /*v387*/, v103, v97
	s_set_vgpr_msb 0                        ;  msbs: dst=0 src0=0 src1=0 src2=0
	v_pk_mul_f32 v[118:119], v[104:105], v[118:119] op_sel_hi:[0,1]
	s_set_vgpr_msb 1                        ;  msbs: dst=0 src0=1 src1=0 src2=0
	v_add3_u32 v91, v130 /*v386*/, v99, v91
	s_set_vgpr_msb 4                        ;  msbs: dst=0 src0=0 src1=1 src2=0
	v_mul_i32_i24_e32 v99, v185, v141 /*v397*/
	s_set_vgpr_msb 0                        ;  msbs: dst=0 src0=0 src1=0 src2=0
	v_pk_fma_f32 v[110:111], v[2:3], v[110:111], v[118:119] op_sel_hi:[0,1,1] neg_lo:[0,0,1] neg_hi:[0,0,1]
	v_cvt_f32_i32_e32 v119, v91
	v_cvt_f32_i32_e32 v118, v97
	s_delay_alu instid0(VALU_DEP_3) | instskip(NEXT) | instid1(VALU_DEP_2)
	v_pk_fma_f32 v[84:85], v[92:93], v[110:111], v[84:85]
	v_pk_mul_f32 v[118:119], v[94:95], v[118:119] op_sel_hi:[0,1]
	s_delay_alu instid0(VALU_DEP_1) | instskip(NEXT) | instid1(VALU_DEP_1)
	v_pk_fma_f32 v[0:1], v[90:91], v[0:1], v[118:119] op_sel_hi:[0,1,1] neg_lo:[0,0,1] neg_hi:[0,0,1]
	v_pk_fma_f32 v[82:83], v[92:93], v[0:1], v[82:83]
	s_set_vgpr_msb 1                        ;  msbs: dst=0 src0=1 src1=0 src2=0
	v_mul_i32_i24_e32 v0, v68 /*v324*/, v127
	v_mul_i32_i24_e32 v1, v69 /*v325*/, v206
	s_delay_alu instid0(VALU_DEP_1) | instskip(SKIP_2) | instid1(VALU_DEP_2)
	v_add3_u32 v0, v75 /*v331*/, v1, v0
	s_set_vgpr_msb 0                        ;  msbs: dst=0 src0=0 src1=0 src2=0
	v_mov_b32_e32 v1, v105
	v_cvt_f32_i32_e32 v97, v0
	v_mov_b32_e32 v0, v3
	s_delay_alu instid0(VALU_DEP_1) | instskip(NEXT) | instid1(VALU_DEP_1)
	v_pk_mul_f32 v[90:91], v[0:1], v[96:97]
	v_sub_f32_e32 v90, v90, v91
	s_set_vgpr_msb 1                        ;  msbs: dst=0 src0=1 src1=0 src2=0
	v_mul_i32_i24_e32 v91, v69 /*v325*/, v205
	s_set_vgpr_msb 0                        ;  msbs: dst=0 src0=0 src1=0 src2=0
	s_delay_alu instid0(VALU_DEP_2) | instskip(SKIP_2) | instid1(VALU_DEP_1)
	v_mul_f32_e32 v113, v95, v90
	s_set_vgpr_msb 1                        ;  msbs: dst=0 src0=1 src1=0 src2=0
	v_mul_i32_i24_e32 v90, v68 /*v324*/, v121
	v_add3_u32 v90, v101 /*v357*/, v91, v90
	s_set_vgpr_msb 0                        ;  msbs: dst=0 src0=0 src1=0 src2=0
	v_mov_b32_e32 v91, v104
	s_delay_alu instid0(VALU_DEP_2) | instskip(SKIP_2) | instid1(VALU_DEP_2)
	v_cvt_f32_i32_e32 v109, v90
	v_mov_b32_e32 v90, v2
	v_pk_add_f32 v[62:63], v[62:63], v[112:113]
	v_pk_mul_f32 v[92:93], v[90:91], v[108:109]
	s_delay_alu instid0(VALU_DEP_1) | instskip(SKIP_3) | instid1(VALU_DEP_2)
	v_sub_f32_e32 v2, v92, v93
	s_set_vgpr_msb 1                        ;  msbs: dst=0 src0=1 src1=0 src2=0
	v_mul_i32_i24_e32 v92, v82 /*v338*/, v206
	s_set_vgpr_msb 0                        ;  msbs: dst=0 src0=0 src1=0 src2=0
	v_mul_f32_e32 v93, v95, v2
	s_set_vgpr_msb 1                        ;  msbs: dst=0 src0=1 src1=0 src2=0
	v_mul_i32_i24_e32 v2, v81 /*v337*/, v127
	s_delay_alu instid0(VALU_DEP_1) | instskip(SKIP_2) | instid1(VALU_DEP_2)
	v_add3_u32 v2, v91 /*v347*/, v92, v2
	v_mul_i32_i24_e32 v92, v82 /*v338*/, v205
	s_set_vgpr_msb 0                        ;  msbs: dst=0 src0=0 src1=0 src2=0
	v_cvt_f32_i32_e32 v103, v2
	s_delay_alu instid0(VALU_DEP_1) | instskip(NEXT) | instid1(VALU_DEP_1)
	v_pk_mul_f32 v[94:95], v[0:1], v[102:103]
	v_sub_f32_e32 v2, v94, v95
	s_set_vgpr_msb 1                        ;  msbs: dst=0 src0=1 src1=0 src2=0
	s_delay_alu instid0(VALU_DEP_1) | instskip(SKIP_1) | instid1(VALU_DEP_1)
	v_mul_f32_e32 v94, v76 /*v332*/, v2
	v_mul_i32_i24_e32 v2, v81 /*v337*/, v121
	v_add3_u32 v2, v106 /*v362*/, v92, v2
	v_mul_i32_i24_e32 v92, v136 /*v392*/, v206
	s_set_vgpr_msb 0                        ;  msbs: dst=0 src0=0 src1=0 src2=0
	s_delay_alu instid0(VALU_DEP_2) | instskip(NEXT) | instid1(VALU_DEP_1)
	v_cvt_f32_i32_e32 v107, v2
	v_pk_mul_f32 v[96:97], v[90:91], v[106:107]
	s_delay_alu instid0(VALU_DEP_1) | instskip(SKIP_1) | instid1(VALU_DEP_1)
	v_sub_f32_e32 v2, v96, v97
	s_set_vgpr_msb 1                        ;  msbs: dst=0 src0=1 src1=0 src2=0
	v_mul_f32_e32 v96, v76 /*v332*/, v2
	v_mul_i32_i24_e32 v2, v135 /*v391*/, v127
	s_delay_alu instid0(VALU_DEP_1) | instskip(SKIP_2) | instid1(VALU_DEP_2)
	v_add3_u32 v2, v147 /*v403*/, v92, v2
	v_mul_i32_i24_e32 v92, v136 /*v392*/, v205
	s_set_vgpr_msb 0                        ;  msbs: dst=0 src0=0 src1=0 src2=0
	v_cvt_f32_i32_e32 v123, v2
	s_delay_alu instid0(VALU_DEP_1) | instskip(NEXT) | instid1(VALU_DEP_1)
	v_pk_mul_f32 v[102:103], v[0:1], v[122:123]
	v_sub_f32_e32 v2, v102, v103
	s_set_vgpr_msb 4                        ;  msbs: dst=0 src0=0 src1=1 src2=0
	v_mul_i32_i24_e32 v102, v203, v113 /*v369*/
	s_set_vgpr_msb 1                        ;  msbs: dst=0 src0=1 src1=0 src2=0
	s_delay_alu instid0(VALU_DEP_2) | instskip(SKIP_2) | instid1(VALU_DEP_2)
	v_mul_f32_e32 v95, v89 /*v345*/, v2
	v_mul_i32_i24_e32 v2, v135 /*v391*/, v121
	s_set_vgpr_msb 0                        ;  msbs: dst=0 src0=0 src1=0 src2=0
	v_pk_add_f32 v[74:75], v[74:75], v[94:95]
	s_set_vgpr_msb 1                        ;  msbs: dst=0 src0=1 src1=0 src2=0
	s_delay_alu instid0(VALU_DEP_2) | instskip(SKIP_2) | instid1(VALU_DEP_2)
	v_add3_u32 v2, v109 /*v365*/, v92, v2
	v_mul_i32_i24_e32 v92, v157 /*v413*/, v206
	s_set_vgpr_msb 0                        ;  msbs: dst=0 src0=0 src1=0 src2=0
	v_cvt_f32_i32_e32 v125, v2
	s_delay_alu instid0(VALU_DEP_1) | instskip(NEXT) | instid1(VALU_DEP_1)
	v_pk_mul_f32 v[94:95], v[90:91], v[124:125]
	v_dual_sub_f32 v2, v94, v95 :: v_dual_mov_b32 v95, v100
	s_set_vgpr_msb 4                        ;  msbs: dst=0 src0=0 src1=1 src2=0
	v_mul_i32_i24_e32 v100, v186, v142 /*v398*/
	s_set_vgpr_msb 1                        ;  msbs: dst=0 src0=1 src1=0 src2=0
	s_delay_alu instid0(VALU_DEP_2) | instskip(SKIP_2) | instid1(VALU_DEP_2)
	v_mul_f32_e32 v97, v89 /*v345*/, v2
	v_mul_i32_i24_e32 v2, v156 /*v412*/, v127
	s_set_vgpr_msb 0                        ;  msbs: dst=0 src0=0 src1=0 src2=0
	v_pk_add_f32 v[76:77], v[76:77], v[96:97]
	s_set_vgpr_msb 1                        ;  msbs: dst=0 src0=1 src1=0 src2=0
	s_delay_alu instid0(VALU_DEP_2)
	v_add3_u32 v2, v168 /*v424*/, v92, v2
	s_set_vgpr_msb 4                        ;  msbs: dst=0 src0=0 src1=1 src2=0
	v_mul_i32_i24_e32 v96, v182, v139 /*v395*/
	v_mul_i32_i24_e32 v97, v183, v86 /*v342*/
	s_set_vgpr_msb 64                       ;  msbs: dst=1 src0=0 src1=0 src2=0
	v_cvt_f32_i32_e32 v81 /*v337*/, v2
	s_set_vgpr_msb 4                        ;  msbs: dst=0 src0=0 src1=1 src2=0
	v_mul_i32_i24_e32 v2, v127, v49 /*v305*/
	s_delay_alu instid0(VALU_DEP_2) | instskip(SKIP_1) | instid1(VALU_DEP_1)
	v_pk_mul_f32 v[0:1], v[0:1], v[80:81] /*v[336:337]*/
	s_set_vgpr_msb 0                        ;  msbs: dst=0 src0=0 src1=0 src2=0
	v_sub_f32_e32 v0, v0, v1
	s_set_vgpr_msb 1                        ;  msbs: dst=0 src0=1 src1=0 src2=0
	v_mul_i32_i24_e32 v1, v157 /*v413*/, v205
	s_delay_alu instid0(VALU_DEP_2) | instskip(SKIP_1) | instid1(VALU_DEP_1)
	v_mul_f32_e32 v92, v118 /*v374*/, v0
	v_mul_i32_i24_e32 v0, v156 /*v412*/, v121
	v_add3_u32 v0, v119 /*v375*/, v1, v0
	s_set_vgpr_msb 64                       ;  msbs: dst=1 src0=0 src1=0 src2=0
	s_delay_alu instid0(VALU_DEP_1) | instskip(SKIP_1) | instid1(VALU_DEP_1)
	v_cvt_f32_i32_e32 v89 /*v345*/, v0
	s_set_vgpr_msb 4                        ;  msbs: dst=0 src0=0 src1=1 src2=0
	v_pk_mul_f32 v[0:1], v[90:91], v[88:89] /*v[344:345]*/
	s_set_vgpr_msb 0                        ;  msbs: dst=0 src0=0 src1=0 src2=0
	s_delay_alu instid0(VALU_DEP_1) | instskip(SKIP_3) | instid1(VALU_DEP_2)
	v_sub_f32_e32 v0, v0, v1
	s_set_vgpr_msb 5                        ;  msbs: dst=0 src0=1 src1=1 src2=0
	v_mul_i32_i24_e32 v1, v162 /*v418*/, v99 /*v355*/
	s_set_vgpr_msb 1                        ;  msbs: dst=0 src0=1 src1=0 src2=0
	v_mul_f32_e32 v0, v118 /*v374*/, v0
	s_set_vgpr_msb 0                        ;  msbs: dst=0 src0=0 src1=0 src2=0
	v_pk_add_f32 v[66:67], v[66:67], v[92:93]
	s_set_vgpr_msb 5                        ;  msbs: dst=0 src0=1 src1=1 src2=0
	v_mul_i32_i24_e32 v92, v163 /*v419*/, v100 /*v356*/
	s_set_vgpr_msb 4                        ;  msbs: dst=0 src0=0 src1=1 src2=0
	v_mul_i32_i24_e32 v93, v206, v50 /*v306*/
	s_set_vgpr_msb 0                        ;  msbs: dst=0 src0=0 src1=0 src2=0
	s_delay_alu instid0(VALU_DEP_2) | instskip(NEXT) | instid1(VALU_DEP_2)
	v_add3_u32 v1, v101, v92, v1
	v_add3_u32 v94, v120, v93, v2
	v_dual_mov_b32 v2, v3 :: v_dual_mov_b32 v3, v98
	s_set_vgpr_msb 4                        ;  msbs: dst=0 src0=0 src1=1 src2=0
	v_mul_i32_i24_e32 v98, v184, v140 /*v396*/
	v_cvt_f32_i32_e32 v93, v1
	v_cvt_f32_i32_e32 v92, v94
	v_mov_b32_e32 v94, v105
	v_mul_i32_i24_e32 v1, v173, v114 /*v370*/
	v_mul_i32_i24_e32 v101, v188, v87 /*v343*/
	s_set_vgpr_msb 0                        ;  msbs: dst=0 src0=0 src1=0 src2=0
	s_delay_alu instid0(VALU_DEP_3)
	v_pk_mul_f32 v[92:93], v[94:95], v[92:93]
	s_set_vgpr_msb 4                        ;  msbs: dst=0 src0=0 src1=1 src2=0
	v_mad_i32_i24 v1, v172, v115 /*v371*/, v1
	v_mul_i32_i24_e32 v94, v180, v137 /*v393*/
	v_mul_i32_i24_e32 v95, v181, v138 /*v394*/
	s_set_vgpr_msb 0                        ;  msbs: dst=0 src0=0 src1=0 src2=0
	v_pk_fma_f32 v[2:3], v[2:3], v[114:115], v[92:93] neg_lo:[0,0,1] neg_hi:[0,0,1]
	s_set_vgpr_msb 4                        ;  msbs: dst=0 src0=0 src1=1 src2=0
	v_mul_i32_i24_e32 v92, v178, v123 /*v379*/
	v_mul_i32_i24_e32 v93, v179, v85 /*v341*/
	s_set_vgpr_msb 1                        ;  msbs: dst=0 src0=1 src1=0 src2=0
	v_pk_fma_f32 v[30:31], v[104:105] /*v[360:361]*/, v[2:3], v[30:31]
	s_set_vgpr_msb 4                        ;  msbs: dst=0 src0=0 src1=1 src2=0
	v_mul_i32_i24_e32 v2, v176, v120 /*v376*/
	v_mul_i32_i24_e32 v3, v174, v84 /*v340*/
	s_set_vgpr_msb 0                        ;  msbs: dst=0 src0=0 src1=0 src2=0
	s_delay_alu instid0(VALU_DEP_1) | instskip(SKIP_4) | instid1(VALU_DEP_1)
	v_add3_u32 v1, v1, v2, v3
	s_set_vgpr_msb 4                        ;  msbs: dst=0 src0=0 src1=1 src2=0
	v_mul_i32_i24_e32 v2, v175, v121 /*v377*/
	v_mul_i32_i24_e32 v3, v177, v122 /*v378*/
	s_set_vgpr_msb 0                        ;  msbs: dst=0 src0=0 src1=0 src2=0
	v_add3_u32 v1, v1, v2, v3
	s_set_vgpr_msb 4                        ;  msbs: dst=0 src0=0 src1=1 src2=0
	v_mul_i32_i24_e32 v2, v189, v146 /*v402*/
	v_mul_i32_i24_e32 v3, v190, v149 /*v405*/
	s_set_vgpr_msb 0                        ;  msbs: dst=0 src0=0 src1=0 src2=0
	v_add3_u32 v1, v1, v92, v93
	s_set_vgpr_msb 4                        ;  msbs: dst=0 src0=0 src1=1 src2=0
	v_mul_i32_i24_e32 v92, v191, v110 /*v366*/
	v_mad_i32_i24 v2, v187, v148 /*v404*/, v2
	v_mul_i32_i24_e32 v93, v194, v152 /*v408*/
	s_set_vgpr_msb 0                        ;  msbs: dst=0 src0=0 src1=0 src2=0
	v_add3_u32 v1, v1, v94, v95
	s_set_vgpr_msb 4                        ;  msbs: dst=0 src0=0 src1=1 src2=0
	v_mul_i32_i24_e32 v94, v195, v111 /*v367*/
	s_set_vgpr_msb 0                        ;  msbs: dst=0 src0=0 src1=0 src2=0
	v_add3_u32 v2, v2, v3, v92
	s_set_vgpr_msb 4                        ;  msbs: dst=0 src0=0 src1=1 src2=0
	v_mul_i32_i24_e32 v3, v192, v150 /*v406*/
	v_mul_i32_i24_e32 v92, v193, v151 /*v407*/
	s_set_vgpr_msb 0                        ;  msbs: dst=0 src0=0 src1=0 src2=0
	v_add3_u32 v1, v1, v96, v97
	s_set_vgpr_msb 4                        ;  msbs: dst=0 src0=0 src1=1 src2=0
	v_mul_i32_i24_e32 v95, v196, v153 /*v409*/
	v_mul_i32_i24_e32 v96, v197, v154 /*v410*/
	;; [unrolled: 1-line block ×3, first 2 shown]
	s_set_vgpr_msb 0                        ;  msbs: dst=0 src0=0 src1=0 src2=0
	v_add3_u32 v2, v2, v3, v92
	v_add3_u32 v1, v1, v98, v99
	s_set_vgpr_msb 4                        ;  msbs: dst=0 src0=0 src1=1 src2=0
	v_mul_i32_i24_e32 v98, v199, v112 /*v368*/
	v_mul_i32_i24_e32 v99, v200, v158 /*v414*/
	s_set_vgpr_msb 5                        ;  msbs: dst=0 src0=1 src1=1 src2=0
	v_mul_i32_i24_e32 v92, v164 /*v420*/, v128 /*v384*/
	s_set_vgpr_msb 0                        ;  msbs: dst=0 src0=0 src1=0 src2=0
	v_add3_u32 v2, v2, v93, v94
	v_add3_u32 v1, v1, v100, v101
	s_set_vgpr_msb 4                        ;  msbs: dst=0 src0=0 src1=1 src2=0
	v_mul_i32_i24_e32 v100, v201, v159 /*v415*/
	v_mul_i32_i24_e32 v101, v202, v160 /*v416*/
	s_set_vgpr_msb 5                        ;  msbs: dst=0 src0=1 src1=1 src2=0
	v_mul_i32_i24_e32 v94, v169 /*v425*/, v126 /*v382*/
	s_set_vgpr_msb 0                        ;  msbs: dst=0 src0=0 src1=0 src2=0
	v_add3_u32 v2, v2, v95, v96
	s_set_vgpr_msb 5                        ;  msbs: dst=0 src0=1 src1=1 src2=0
	v_mul_i32_i24_e32 v95, v170 /*v426*/, v125 /*v381*/
	v_mul_i32_i24_e32 v96, v171 /*v427*/, v124 /*v380*/
	s_set_vgpr_msb 4                        ;  msbs: dst=0 src0=0 src1=1 src2=0
	v_mul_lo_u32 v1, v1, v134 /*v390*/
	s_set_vgpr_msb 1                        ;  msbs: dst=0 src0=1 src1=0 src2=0
	v_mul_i32_i24_e32 v3, v163 /*v419*/, v205
	s_set_vgpr_msb 0                        ;  msbs: dst=0 src0=0 src1=0 src2=0
	v_add3_u32 v2, v2, v97, v98
	s_set_vgpr_msb 5                        ;  msbs: dst=0 src0=1 src1=1 src2=0
	v_mul_i32_i24_e32 v97, v172 /*v428*/, v77 /*v333*/
	v_mul_i32_i24_e32 v93, v167 /*v423*/, v129 /*v385*/
	s_set_vgpr_msb 0                        ;  msbs: dst=0 src0=0 src1=0 src2=0
	v_add3_u32 v2, v2, v99, v100
	s_delay_alu instid0(VALU_DEP_3) | instskip(NEXT) | instid1(VALU_DEP_2)
	v_add3_u32 v95, v96, v97, v95
	v_add3_u32 v2, v2, v101, v102
	s_delay_alu instid0(VALU_DEP_2) | instskip(SKIP_1) | instid1(VALU_DEP_2)
	v_add3_u32 v92, v95, v94, v92
	s_set_vgpr_msb 4                        ;  msbs: dst=0 src0=0 src1=1 src2=0
	v_mad_u32 v1, v2, v143 /*v399*/, v1
	s_set_vgpr_msb 0                        ;  msbs: dst=0 src0=0 src1=0 src2=0
	s_delay_alu instid0(VALU_DEP_2) | instskip(SKIP_1) | instid1(VALU_DEP_1)
	v_add3_u32 v3, v92, v93, v3
	s_set_vgpr_msb 1                        ;  msbs: dst=0 src0=1 src1=0 src2=0
	v_mad_i32_i24 v3, v162 /*v418*/, v121, v3
	s_set_vgpr_msb 0                        ;  msbs: dst=0 src0=0 src1=0 src2=0
	s_delay_alu instid0(VALU_DEP_1) | instskip(NEXT) | instid1(VALU_DEP_4)
	v_cvt_f32_i32_e32 v3, v3
	v_cvt_f32_i32_e32 v2, v1
	s_delay_alu instid0(VALU_DEP_1) | instskip(NEXT) | instid1(VALU_DEP_1)
	v_pk_mul_f32 v[2:3], v[90:91], v[2:3]
	v_sub_f32_e32 v1, v2, v3
	s_set_vgpr_msb 1                        ;  msbs: dst=0 src0=1 src1=0 src2=0
	s_delay_alu instid0(VALU_DEP_1) | instskip(SKIP_1) | instid1(VALU_DEP_1)
	v_mul_f32_e32 v1, v105 /*v361*/, v1
	s_set_vgpr_msb 0                        ;  msbs: dst=0 src0=0 src1=0 src2=0
	v_pk_add_f32 v[54:55], v[54:55], v[0:1]
	s_cbranch_scc1 .LBB148_12
; %bb.13:                               ;   in Loop: Header=BB148_8 Depth=2
	s_cmp_eq_u32 s5, 4
	s_barrier_signal -1
	s_barrier_wait -1
	s_cselect_b32 s15, -1, 0
	s_delay_alu instid0(SALU_CYCLE_1)
	s_and_b32 vcc_lo, exec_lo, s15
	s_cbranch_vccz .LBB148_8
	s_branch .LBB148_5
.LBB148_14:
	v_dual_mov_b32 v0, 0 :: v_dual_mov_b32 v24, 0
	v_dual_mov_b32 v1, 0 :: v_dual_mov_b32 v28, 0
	;; [unrolled: 1-line block ×12, first 2 shown]
	v_mov_b32_e32 v32, 0
	s_wait_xcnt 0x0
	s_mov_b32 s0, exec_lo
	v_cmpx_gt_u32_e64 s6, v15
	s_cbranch_execnz .LBB148_17
.LBB148_15:
	s_sendmsg sendmsg(MSG_DEALLOC_VGPRS)
	s_endpgm
.LBB148_16:
	v_cvt_pk_f16_f32 v33, v78, v79
	v_cvt_f16_f32_e32 v32, v86
	v_cvt_pk_f16_f32 v29, v80, v81
	v_cvt_pk_f16_f32 v28, v82, v83
	;; [unrolled: 1-line block ×3, first 2 shown]
	v_cvt_f16_f32_e32 v25, v87
	v_cvt_f16_f32_e32 v23, v59
	;; [unrolled: 1-line block ×16, first 2 shown]
	s_wait_xcnt 0x1
	v_cvt_pk_f16_f32 v3, v26, v27
	v_cvt_pk_f16_f32 v2, v30, v31
	s_wait_xcnt 0x0
	v_cvt_pk_f16_f32 v1, v34, v35
	v_cvt_f16_f32_e32 v0, v55
	v_dual_mov_b32 v4, v7 :: v_dual_mov_b32 v14, v13
	s_mov_b32 s0, exec_lo
	v_cmpx_gt_u32_e64 s6, v15
	s_cbranch_execz .LBB148_15
.LBB148_17:
	v_mul_lo_u32 v26, v15, s12
	v_add_nc_u32_e32 v7, s14, v14
	s_delay_alu instid0(VALU_DEP_1)
	v_cmp_gt_u32_e32 vcc_lo, s12, v7
	s_and_saveexec_b32 s0, vcc_lo
	s_cbranch_execz .LBB148_19
; %bb.18:
	s_delay_alu instid0(VALU_DEP_3)
	v_add_nc_u32_e32 v13, v7, v26
	s_wait_kmcnt 0x0
	global_store_d16_hi_b16 v13, v33, s[8:9] scale_offset
.LBB148_19:
	s_wait_xcnt 0x0
	s_or_b32 exec_lo, exec_lo, s0
	v_add_nc_u32_e32 v13, 32, v7
	s_delay_alu instid0(VALU_DEP_1)
	v_cmp_gt_u32_e64 s0, s12, v13
	s_and_saveexec_b32 s1, s0
	s_cbranch_execz .LBB148_21
; %bb.20:
	v_add_nc_u32_e32 v14, v13, v26
	s_wait_kmcnt 0x0
	global_store_b16 v14, v3, s[8:9] scale_offset
.LBB148_21:
	s_wait_xcnt 0x0
	s_or_b32 exec_lo, exec_lo, s1
	v_add_nc_u32_e32 v14, 64, v7
	s_delay_alu instid0(VALU_DEP_1)
	v_cmp_gt_u32_e64 s1, s12, v14
	s_and_saveexec_b32 s2, s1
	s_cbranch_execz .LBB148_23
; %bb.22:
	v_add_nc_u32_e32 v15, v14, v26
	s_wait_kmcnt 0x0
	global_store_b16 v15, v2, s[8:9] scale_offset
.LBB148_23:
	;; [unrolled: 12-line block ×3, first 2 shown]
	s_wait_xcnt 0x0
	s_or_b32 exec_lo, exec_lo, s3
	v_add3_u32 v26, v4, s13, 8
	s_delay_alu instid0(VALU_DEP_1)
	v_cmp_gt_u32_e64 s3, s6, v26
	s_and_b32 exec_lo, exec_lo, s3
	s_cbranch_execz .LBB148_15
; %bb.26:
	v_mul_lo_u32 v26, v26, s12
	s_and_saveexec_b32 s3, vcc_lo
	s_cbranch_execnz .LBB148_66
; %bb.27:
	s_or_b32 exec_lo, exec_lo, s3
	s_and_saveexec_b32 s3, s0
	s_cbranch_execnz .LBB148_67
.LBB148_28:
	s_or_b32 exec_lo, exec_lo, s3
	s_and_saveexec_b32 s3, s1
	s_cbranch_execnz .LBB148_68
.LBB148_29:
	s_or_b32 exec_lo, exec_lo, s3
	s_and_saveexec_b32 s3, s2
	s_cbranch_execz .LBB148_31
.LBB148_30:
	v_add_nc_u32_e32 v26, v26, v15
	s_wait_kmcnt 0x0
	global_store_d16_hi_b16 v26, v24, s[8:9] scale_offset
.LBB148_31:
	s_wait_xcnt 0x0
	s_or_b32 exec_lo, exec_lo, s3
	v_add3_u32 v26, v4, s13, 16
	s_delay_alu instid0(VALU_DEP_1)
	v_cmp_gt_u32_e64 s3, s6, v26
	s_and_b32 exec_lo, exec_lo, s3
	s_cbranch_execz .LBB148_15
; %bb.32:
	v_mul_lo_u32 v26, v26, s12
	s_and_saveexec_b32 s3, vcc_lo
	s_cbranch_execnz .LBB148_69
; %bb.33:
	s_or_b32 exec_lo, exec_lo, s3
	s_and_saveexec_b32 s3, s0
	s_cbranch_execnz .LBB148_70
.LBB148_34:
	s_or_b32 exec_lo, exec_lo, s3
	s_and_saveexec_b32 s3, s1
	s_cbranch_execnz .LBB148_71
.LBB148_35:
	s_or_b32 exec_lo, exec_lo, s3
	s_and_saveexec_b32 s3, s2
	s_cbranch_execz .LBB148_37
.LBB148_36:
	v_add_nc_u32_e32 v26, v26, v15
	s_wait_kmcnt 0x0
	global_store_b16 v26, v24, s[8:9] scale_offset
.LBB148_37:
	s_wait_xcnt 0x0
	s_or_b32 exec_lo, exec_lo, s3
	v_add3_u32 v24, v4, s13, 24
	s_delay_alu instid0(VALU_DEP_1)
	v_cmp_gt_u32_e64 s3, s6, v24
	s_and_b32 exec_lo, exec_lo, s3
	s_cbranch_execz .LBB148_15
; %bb.38:
	v_mul_lo_u32 v24, v24, s12
	s_and_saveexec_b32 s3, vcc_lo
	s_cbranch_execnz .LBB148_72
; %bb.39:
	s_or_b32 exec_lo, exec_lo, s3
	s_and_saveexec_b32 s3, s0
	s_cbranch_execnz .LBB148_73
.LBB148_40:
	s_or_b32 exec_lo, exec_lo, s3
	s_and_saveexec_b32 s3, s1
	s_cbranch_execnz .LBB148_74
.LBB148_41:
	s_or_b32 exec_lo, exec_lo, s3
	s_and_saveexec_b32 s3, s2
	s_cbranch_execz .LBB148_43
.LBB148_42:
	v_add_nc_u32_e32 v22, v24, v15
	s_wait_kmcnt 0x0
	global_store_b16 v22, v21, s[8:9] scale_offset
.LBB148_43:
	s_wait_xcnt 0x0
	s_or_b32 exec_lo, exec_lo, s3
	v_add3_u32 v21, v4, s13, 32
	s_delay_alu instid0(VALU_DEP_1)
	v_cmp_gt_u32_e64 s3, s6, v21
	s_and_b32 exec_lo, exec_lo, s3
	s_cbranch_execz .LBB148_15
; %bb.44:
	v_mul_lo_u32 v21, v21, s12
	s_and_saveexec_b32 s3, vcc_lo
	s_cbranch_execnz .LBB148_75
; %bb.45:
	s_or_b32 exec_lo, exec_lo, s3
	s_and_saveexec_b32 s3, s0
	s_cbranch_execnz .LBB148_76
.LBB148_46:
	s_or_b32 exec_lo, exec_lo, s3
	s_and_saveexec_b32 s3, s1
	s_cbranch_execnz .LBB148_77
.LBB148_47:
	s_or_b32 exec_lo, exec_lo, s3
	s_and_saveexec_b32 s3, s2
	s_cbranch_execz .LBB148_49
.LBB148_48:
	v_add_nc_u32_e32 v18, v21, v15
	s_wait_kmcnt 0x0
	global_store_b16 v18, v17, s[8:9] scale_offset
.LBB148_49:
	s_wait_xcnt 0x0
	s_or_b32 exec_lo, exec_lo, s3
	v_add3_u32 v17, v4, s13, 40
	s_delay_alu instid0(VALU_DEP_1)
	v_cmp_gt_u32_e64 s3, s6, v17
	s_and_b32 exec_lo, exec_lo, s3
	s_cbranch_execz .LBB148_15
; %bb.50:
	v_mul_lo_u32 v17, v17, s12
	s_and_saveexec_b32 s3, vcc_lo
	s_cbranch_execnz .LBB148_78
; %bb.51:
	s_or_b32 exec_lo, exec_lo, s3
	s_and_saveexec_b32 s3, s0
	s_cbranch_execnz .LBB148_79
.LBB148_52:
	s_or_b32 exec_lo, exec_lo, s3
	s_and_saveexec_b32 s3, s1
	s_cbranch_execnz .LBB148_80
.LBB148_53:
	s_or_b32 exec_lo, exec_lo, s3
	s_and_saveexec_b32 s3, s2
	s_cbranch_execz .LBB148_55
.LBB148_54:
	v_add_nc_u32_e32 v11, v17, v15
	s_wait_kmcnt 0x0
	global_store_b16 v11, v10, s[8:9] scale_offset
.LBB148_55:
	s_wait_xcnt 0x0
	s_or_b32 exec_lo, exec_lo, s3
	v_add3_u32 v10, v4, s13, 48
	s_delay_alu instid0(VALU_DEP_1)
	v_cmp_gt_u32_e64 s3, s6, v10
	s_and_b32 exec_lo, exec_lo, s3
	s_cbranch_execz .LBB148_15
; %bb.56:
	v_mul_lo_u32 v10, v10, s12
	s_and_saveexec_b32 s3, vcc_lo
	s_cbranch_execnz .LBB148_81
; %bb.57:
	s_or_b32 exec_lo, exec_lo, s3
	s_and_saveexec_b32 s3, s0
	s_cbranch_execnz .LBB148_82
.LBB148_58:
	s_or_b32 exec_lo, exec_lo, s3
	s_and_saveexec_b32 s3, s1
	s_cbranch_execnz .LBB148_83
.LBB148_59:
	s_or_b32 exec_lo, exec_lo, s3
	s_and_saveexec_b32 s3, s2
	s_cbranch_execz .LBB148_61
.LBB148_60:
	v_add_nc_u32_e32 v6, v10, v15
	s_wait_kmcnt 0x0
	global_store_b16 v6, v5, s[8:9] scale_offset
.LBB148_61:
	s_wait_xcnt 0x0
	s_or_b32 exec_lo, exec_lo, s3
	v_add3_u32 v4, v4, s13, 56
	s_delay_alu instid0(VALU_DEP_1)
	v_cmp_gt_u32_e64 s3, s6, v4
	s_and_b32 exec_lo, exec_lo, s3
	s_cbranch_execz .LBB148_15
; %bb.62:
	v_mul_lo_u32 v4, v4, s12
	s_and_saveexec_b32 s3, vcc_lo
	s_cbranch_execnz .LBB148_84
; %bb.63:
	s_or_b32 exec_lo, exec_lo, s3
	s_and_saveexec_b32 s3, s0
	s_cbranch_execnz .LBB148_85
.LBB148_64:
	s_or_b32 exec_lo, exec_lo, s3
	s_and_saveexec_b32 s0, s1
	s_cbranch_execnz .LBB148_86
.LBB148_65:
	s_or_b32 exec_lo, exec_lo, s0
	s_delay_alu instid0(SALU_CYCLE_1)
	s_and_b32 exec_lo, exec_lo, s2
	s_cbranch_execz .LBB148_15
	s_branch .LBB148_87
.LBB148_66:
	s_delay_alu instid0(VALU_DEP_1)
	v_add_nc_u32_e32 v27, v26, v7
	s_wait_kmcnt 0x0
	global_store_b16 v27, v33, s[8:9] scale_offset
	s_wait_xcnt 0x0
	s_or_b32 exec_lo, exec_lo, s3
	s_and_saveexec_b32 s3, s0
	s_cbranch_execz .LBB148_28
.LBB148_67:
	s_delay_alu instid0(VALU_DEP_1)
	v_add_nc_u32_e32 v27, v26, v13
	s_wait_kmcnt 0x0
	global_store_d16_hi_b16 v27, v29, s[8:9] scale_offset
	s_wait_xcnt 0x0
	s_or_b32 exec_lo, exec_lo, s3
	s_and_saveexec_b32 s3, s1
	s_cbranch_execz .LBB148_29
.LBB148_68:
	s_delay_alu instid0(VALU_DEP_1)
	v_add_nc_u32_e32 v27, v26, v14
	s_wait_kmcnt 0x0
	global_store_d16_hi_b16 v27, v28, s[8:9] scale_offset
	s_wait_xcnt 0x0
	s_or_b32 exec_lo, exec_lo, s3
	s_and_saveexec_b32 s3, s2
	s_cbranch_execnz .LBB148_30
	s_branch .LBB148_31
.LBB148_69:
	s_delay_alu instid0(VALU_DEP_1)
	v_add_nc_u32_e32 v27, v26, v7
	s_wait_kmcnt 0x0
	global_store_b16 v27, v32, s[8:9] scale_offset
	s_wait_xcnt 0x0
	s_or_b32 exec_lo, exec_lo, s3
	s_and_saveexec_b32 s3, s0
	s_cbranch_execz .LBB148_34
.LBB148_70:
	s_delay_alu instid0(VALU_DEP_1)
	v_add_nc_u32_e32 v27, v26, v13
	s_wait_kmcnt 0x0
	global_store_b16 v27, v29, s[8:9] scale_offset
	s_wait_xcnt 0x0
	s_or_b32 exec_lo, exec_lo, s3
	s_and_saveexec_b32 s3, s1
	s_cbranch_execz .LBB148_35
.LBB148_71:
	s_delay_alu instid0(VALU_DEP_1)
	v_add_nc_u32_e32 v27, v26, v14
	s_wait_kmcnt 0x0
	global_store_b16 v27, v28, s[8:9] scale_offset
	s_wait_xcnt 0x0
	s_or_b32 exec_lo, exec_lo, s3
	s_and_saveexec_b32 s3, s2
	s_cbranch_execnz .LBB148_36
	s_branch .LBB148_37
.LBB148_72:
	s_delay_alu instid0(VALU_DEP_1)
	v_add_nc_u32_e32 v26, v24, v7
	s_wait_kmcnt 0x0
	global_store_b16 v26, v25, s[8:9] scale_offset
	s_wait_xcnt 0x0
	s_or_b32 exec_lo, exec_lo, s3
	s_and_saveexec_b32 s3, s0
	s_cbranch_execz .LBB148_40
.LBB148_73:
	s_delay_alu instid0(VALU_DEP_1)
	v_add_nc_u32_e32 v25, v24, v13
	s_wait_kmcnt 0x0
	global_store_b16 v25, v23, s[8:9] scale_offset
	s_wait_xcnt 0x0
	s_or_b32 exec_lo, exec_lo, s3
	s_and_saveexec_b32 s3, s1
	s_cbranch_execz .LBB148_41
.LBB148_74:
	s_delay_alu instid0(VALU_DEP_1)
	v_add_nc_u32_e32 v23, v24, v14
	s_wait_kmcnt 0x0
	global_store_b16 v23, v22, s[8:9] scale_offset
	s_wait_xcnt 0x0
	s_or_b32 exec_lo, exec_lo, s3
	s_and_saveexec_b32 s3, s2
	s_cbranch_execnz .LBB148_42
	s_branch .LBB148_43
.LBB148_75:
	s_delay_alu instid0(VALU_DEP_1)
	v_add_nc_u32_e32 v22, v21, v7
	s_wait_kmcnt 0x0
	global_store_b16 v22, v20, s[8:9] scale_offset
	s_wait_xcnt 0x0
	s_or_b32 exec_lo, exec_lo, s3
	s_and_saveexec_b32 s3, s0
	s_cbranch_execz .LBB148_46
.LBB148_76:
	s_delay_alu instid0(VALU_DEP_1)
	v_add_nc_u32_e32 v20, v21, v13
	s_wait_kmcnt 0x0
	global_store_b16 v20, v19, s[8:9] scale_offset
	s_wait_xcnt 0x0
	s_or_b32 exec_lo, exec_lo, s3
	s_and_saveexec_b32 s3, s1
	s_cbranch_execz .LBB148_47
.LBB148_77:
	s_delay_alu instid0(VALU_DEP_1)
	v_add_nc_u32_e32 v19, v21, v14
	s_wait_kmcnt 0x0
	global_store_b16 v19, v18, s[8:9] scale_offset
	s_wait_xcnt 0x0
	s_or_b32 exec_lo, exec_lo, s3
	s_and_saveexec_b32 s3, s2
	s_cbranch_execnz .LBB148_48
	s_branch .LBB148_49
.LBB148_78:
	s_delay_alu instid0(VALU_DEP_1)
	v_add_nc_u32_e32 v18, v17, v7
	s_wait_kmcnt 0x0
	global_store_b16 v18, v16, s[8:9] scale_offset
	s_wait_xcnt 0x0
	s_or_b32 exec_lo, exec_lo, s3
	s_and_saveexec_b32 s3, s0
	s_cbranch_execz .LBB148_52
.LBB148_79:
	s_delay_alu instid0(VALU_DEP_1)
	v_add_nc_u32_e32 v16, v17, v13
	s_wait_kmcnt 0x0
	global_store_b16 v16, v12, s[8:9] scale_offset
	s_wait_xcnt 0x0
	s_or_b32 exec_lo, exec_lo, s3
	s_and_saveexec_b32 s3, s1
	s_cbranch_execz .LBB148_53
.LBB148_80:
	s_delay_alu instid0(VALU_DEP_1)
	v_add_nc_u32_e32 v12, v17, v14
	s_wait_kmcnt 0x0
	global_store_b16 v12, v11, s[8:9] scale_offset
	s_wait_xcnt 0x0
	s_or_b32 exec_lo, exec_lo, s3
	s_and_saveexec_b32 s3, s2
	s_cbranch_execnz .LBB148_54
	s_branch .LBB148_55
.LBB148_81:
	s_delay_alu instid0(VALU_DEP_1)
	v_add_nc_u32_e32 v11, v10, v7
	s_wait_kmcnt 0x0
	global_store_b16 v11, v9, s[8:9] scale_offset
	s_wait_xcnt 0x0
	s_or_b32 exec_lo, exec_lo, s3
	s_and_saveexec_b32 s3, s0
	s_cbranch_execz .LBB148_58
.LBB148_82:
	s_delay_alu instid0(VALU_DEP_1)
	v_add_nc_u32_e32 v9, v10, v13
	s_wait_kmcnt 0x0
	global_store_b16 v9, v8, s[8:9] scale_offset
	s_wait_xcnt 0x0
	s_or_b32 exec_lo, exec_lo, s3
	s_and_saveexec_b32 s3, s1
	s_cbranch_execz .LBB148_59
.LBB148_83:
	s_delay_alu instid0(VALU_DEP_1)
	v_add_nc_u32_e32 v8, v10, v14
	s_wait_kmcnt 0x0
	global_store_b16 v8, v6, s[8:9] scale_offset
	s_wait_xcnt 0x0
	s_or_b32 exec_lo, exec_lo, s3
	s_and_saveexec_b32 s3, s2
	s_cbranch_execnz .LBB148_60
	s_branch .LBB148_61
.LBB148_84:
	s_delay_alu instid0(VALU_DEP_1)
	v_add_nc_u32_e32 v5, v4, v7
	s_wait_kmcnt 0x0
	global_store_d16_hi_b16 v5, v3, s[8:9] scale_offset
	s_wait_xcnt 0x0
	s_or_b32 exec_lo, exec_lo, s3
	s_and_saveexec_b32 s3, s0
	s_cbranch_execz .LBB148_64
.LBB148_85:
	s_delay_alu instid0(VALU_DEP_1)
	v_add_nc_u32_e32 v3, v4, v13
	s_wait_kmcnt 0x0
	global_store_d16_hi_b16 v3, v2, s[8:9] scale_offset
	s_wait_xcnt 0x0
	s_or_b32 exec_lo, exec_lo, s3
	s_and_saveexec_b32 s0, s1
	s_cbranch_execz .LBB148_65
.LBB148_86:
	s_delay_alu instid0(VALU_DEP_1) | instskip(SKIP_4) | instid1(SALU_CYCLE_1)
	v_add_nc_u32_e32 v2, v4, v14
	s_wait_kmcnt 0x0
	global_store_d16_hi_b16 v2, v1, s[8:9] scale_offset
	s_wait_xcnt 0x0
	s_or_b32 exec_lo, exec_lo, s0
	s_and_b32 exec_lo, exec_lo, s2
	s_cbranch_execz .LBB148_15
.LBB148_87:
	v_add_nc_u32_e32 v1, v4, v15
	s_wait_kmcnt 0x0
	global_store_b16 v1, v0, s[8:9] scale_offset
	s_sendmsg sendmsg(MSG_DEALLOC_VGPRS)
	s_endpgm
	.section	.rodata,"a",@progbits
	.p2align	6, 0x0
	.amdhsa_kernel _ZL12mul_mat_q2_KIN3c104HalfELb1EEvPKvS3_PT_iiiii
		.amdhsa_group_segment_fixed_size 31392
		.amdhsa_private_segment_fixed_size 0
		.amdhsa_kernarg_size 44
		.amdhsa_user_sgpr_count 2
		.amdhsa_user_sgpr_dispatch_ptr 0
		.amdhsa_user_sgpr_queue_ptr 0
		.amdhsa_user_sgpr_kernarg_segment_ptr 1
		.amdhsa_user_sgpr_dispatch_id 0
		.amdhsa_user_sgpr_kernarg_preload_length 0
		.amdhsa_user_sgpr_kernarg_preload_offset 0
		.amdhsa_user_sgpr_private_segment_size 0
		.amdhsa_wavefront_size32 1
		.amdhsa_uses_dynamic_stack 0
		.amdhsa_enable_private_segment 0
		.amdhsa_system_sgpr_workgroup_id_x 1
		.amdhsa_system_sgpr_workgroup_id_y 1
		.amdhsa_system_sgpr_workgroup_id_z 0
		.amdhsa_system_sgpr_workgroup_info 0
		.amdhsa_system_vgpr_workitem_id 1
		.amdhsa_next_free_vgpr 456
		.amdhsa_next_free_sgpr 22
		.amdhsa_named_barrier_count 0
		.amdhsa_reserve_vcc 1
		.amdhsa_float_round_mode_32 0
		.amdhsa_float_round_mode_16_64 0
		.amdhsa_float_denorm_mode_32 3
		.amdhsa_float_denorm_mode_16_64 3
		.amdhsa_fp16_overflow 0
		.amdhsa_memory_ordered 1
		.amdhsa_forward_progress 1
		.amdhsa_inst_pref_size 255
		.amdhsa_round_robin_scheduling 0
		.amdhsa_exception_fp_ieee_invalid_op 0
		.amdhsa_exception_fp_denorm_src 0
		.amdhsa_exception_fp_ieee_div_zero 0
		.amdhsa_exception_fp_ieee_overflow 0
		.amdhsa_exception_fp_ieee_underflow 0
		.amdhsa_exception_fp_ieee_inexact 0
		.amdhsa_exception_int_div_zero 0
	.end_amdhsa_kernel
	.section	.text._ZL12mul_mat_q2_KIN3c104HalfELb1EEvPKvS3_PT_iiiii,"axG",@progbits,_ZL12mul_mat_q2_KIN3c104HalfELb1EEvPKvS3_PT_iiiii,comdat
.Lfunc_end148:
	.size	_ZL12mul_mat_q2_KIN3c104HalfELb1EEvPKvS3_PT_iiiii, .Lfunc_end148-_ZL12mul_mat_q2_KIN3c104HalfELb1EEvPKvS3_PT_iiiii
                                        ; -- End function
	.set _ZL12mul_mat_q2_KIN3c104HalfELb1EEvPKvS3_PT_iiiii.num_vgpr, 456
	.set _ZL12mul_mat_q2_KIN3c104HalfELb1EEvPKvS3_PT_iiiii.num_agpr, 0
	.set _ZL12mul_mat_q2_KIN3c104HalfELb1EEvPKvS3_PT_iiiii.numbered_sgpr, 22
	.set _ZL12mul_mat_q2_KIN3c104HalfELb1EEvPKvS3_PT_iiiii.num_named_barrier, 0
	.set _ZL12mul_mat_q2_KIN3c104HalfELb1EEvPKvS3_PT_iiiii.private_seg_size, 0
	.set _ZL12mul_mat_q2_KIN3c104HalfELb1EEvPKvS3_PT_iiiii.uses_vcc, 1
	.set _ZL12mul_mat_q2_KIN3c104HalfELb1EEvPKvS3_PT_iiiii.uses_flat_scratch, 0
	.set _ZL12mul_mat_q2_KIN3c104HalfELb1EEvPKvS3_PT_iiiii.has_dyn_sized_stack, 0
	.set _ZL12mul_mat_q2_KIN3c104HalfELb1EEvPKvS3_PT_iiiii.has_recursion, 0
	.set _ZL12mul_mat_q2_KIN3c104HalfELb1EEvPKvS3_PT_iiiii.has_indirect_call, 0
	.section	.AMDGPU.csdata,"",@progbits
; Kernel info:
; codeLenInByte = 51860
; TotalNumSgprs: 24
; NumVgprs: 456
; ScratchSize: 0
; MemoryBound: 0
; FloatMode: 240
; IeeeMode: 1
; LDSByteSize: 31392 bytes/workgroup (compile time only)
; SGPRBlocks: 0
; VGPRBlocks: 28
; NumSGPRsForWavesPerEU: 24
; NumVGPRsForWavesPerEU: 456
; NamedBarCnt: 0
; Occupancy: 2
; WaveLimiterHint : 0
; COMPUTE_PGM_RSRC2:SCRATCH_EN: 0
; COMPUTE_PGM_RSRC2:USER_SGPR: 2
; COMPUTE_PGM_RSRC2:TRAP_HANDLER: 0
; COMPUTE_PGM_RSRC2:TGID_X_EN: 1
; COMPUTE_PGM_RSRC2:TGID_Y_EN: 1
; COMPUTE_PGM_RSRC2:TGID_Z_EN: 0
; COMPUTE_PGM_RSRC2:TIDIG_COMP_CNT: 1
	.section	.text._ZL12mul_mat_q3_KIN3c104HalfELb0EEvPKvS3_PT_iiiii,"axG",@progbits,_ZL12mul_mat_q3_KIN3c104HalfELb0EEvPKvS3_PT_iiiii,comdat
	.globl	_ZL12mul_mat_q3_KIN3c104HalfELb0EEvPKvS3_PT_iiiii ; -- Begin function _ZL12mul_mat_q3_KIN3c104HalfELb0EEvPKvS3_PT_iiiii
	.p2align	8
	.type	_ZL12mul_mat_q3_KIN3c104HalfELb0EEvPKvS3_PT_iiiii,@function
_ZL12mul_mat_q3_KIN3c104HalfELb0EEvPKvS3_PT_iiiii: ; @_ZL12mul_mat_q3_KIN3c104HalfELb0EEvPKvS3_PT_iiiii
; %bb.0:
	s_clause 0x1
	s_load_b32 s10, s[0:1], 0x18
	s_load_b96 s[4:6], s[0:1], 0x20
	s_bfe_u32 s2, ttmp6, 0x4000c
	s_bfe_u32 s7, ttmp6, 0x40010
	s_add_co_i32 s2, s2, 1
	s_and_b32 s3, ttmp6, 15
	s_mul_i32 s2, ttmp9, s2
	s_add_co_i32 s7, s7, 1
	s_add_co_i32 s3, s3, s2
	s_mul_i32 s2, ttmp7, s7
	s_bfe_u32 s7, ttmp6, 0x40004
	s_getreg_b32 s8, hwreg(HW_REG_IB_STS2, 6, 4)
	s_add_co_i32 s7, s7, s2
	s_cmp_eq_u32 s8, 0
	v_bfe_u32 v9, v0, 10, 10
	s_cselect_b32 s7, ttmp7, s7
	v_and_b32_e32 v13, 0x3ff, v0
	s_cselect_b32 s2, ttmp9, s3
	s_lshl_b32 s7, s7, 6
	s_mov_b32 s3, 0
	s_wait_kmcnt 0x0
	s_cmp_gt_i32 s10, 0xff
	s_cbranch_scc1 .LBB149_2
; %bb.1:
	v_bfe_u32 v6, v0, 10, 10
	v_and_b32_e32 v37, 0x3ff, v0
	s_delay_alu instid0(VALU_DEP_2)
	v_add_nc_u32_e32 v19, s7, v6
	s_branch .LBB149_3
.LBB149_2:
	s_mov_b32 s3, -1
                                        ; implicit-def: $vgpr6
                                        ; implicit-def: $vgpr37
                                        ; implicit-def: $vgpr19
.LBB149_3:
	s_load_b64 s[8:9], s[0:1], 0x10
	v_dual_mov_b32 v1, 0 :: v_dual_mov_b32 v4, 0
	v_dual_mov_b32 v10, 0 :: v_dual_mov_b32 v15, 0
	;; [unrolled: 1-line block ×16, first 2 shown]
	s_and_not1_b32 vcc_lo, exec_lo, s3
	s_lshl_b32 s14, s2, 7
	s_cbranch_vccnz .LBB149_15
; %bb.4:
	v_dual_add_nc_u32 v18, 8, v9 :: v_dual_bitop2_b32 v42, 15, v0 bitop3:0x40
	v_bfe_u32 v32, v0, 1, 9
	v_dual_add_nc_u32 v19, s7, v9 :: v_dual_add_nc_u32 v40, 48, v9
	s_delay_alu instid0(VALU_DEP_3) | instskip(NEXT) | instid1(VALU_DEP_3)
	v_dual_lshlrev_b32 v10, 2, v42 :: v_dual_bitop2_b32 v12, 1, v0 bitop3:0x40
	v_lshl_add_u32 v1, v9, 4, v32
	v_bfe_u32 v8, v0, 4, 6
	s_delay_alu instid0(VALU_DEP_4) | instskip(NEXT) | instid1(VALU_DEP_4)
	v_dual_add_nc_u32 v15, 16, v19 :: v_dual_add_nc_u32 v21, 24, v19
	v_dual_lshlrev_b32 v2, 2, v12 :: v_dual_lshlrev_b32 v3, 1, v9
	s_delay_alu instid0(VALU_DEP_4) | instskip(SKIP_1) | instid1(VALU_DEP_4)
	v_and_b32_e32 v43, 0x7f, v1
	v_dual_lshrrev_b32 v1, 2, v1 :: v_dual_add_nc_u32 v6, 8, v19
	v_cvt_f64_u32_e32 v[16:17], v15
	s_delay_alu instid0(VALU_DEP_4) | instskip(NEXT) | instid1(VALU_DEP_4)
	v_add_nc_u32_e32 v50, v8, v3
	v_lshl_or_b32 v11, v43, 3, v2
	v_add_nc_u16 v2, v8, v3
	v_dual_add_nc_u32 v15, 32, v19 :: v_dual_bitop2_b32 v1, 28, v1 bitop3:0x40
	v_dual_add_nc_u32 v26, 40, v19 :: v_dual_add_nc_u32 v28, 48, v19
	v_cvt_f64_u32_e32 v[22:23], v21
	v_add_nc_u32_e32 v21, 56, v19
	s_add_co_i32 s16, s4, -1
	v_lshrrev_b16 v14, 1, v2
	v_cvt_f64_i32_e32 v[2:3], s16
	v_cvt_f64_u32_e32 v[4:5], v19
	v_cvt_f64_u32_e32 v[6:7], v6
	;; [unrolled: 1-line block ×6, first 2 shown]
	v_dual_add_nc_u32 v44, 56, v9 :: v_dual_add_nc_u32 v15, 16, v50
	v_add_nc_u32_e32 v35, 48, v50
	v_add3_u32 v21, v11, v1, 0x9380
	v_and_b32_e32 v1, 0xffff, v14
	v_dual_add_nc_u32 v11, 32, v50 :: v_dual_bitop2_b32 v110, 7, v0 bitop3:0x40
	v_lshlrev_b32_e32 v33, 1, v15
	s_delay_alu instid0(VALU_DEP_3) | instskip(NEXT) | instid1(VALU_DEP_3)
	v_dual_lshlrev_b32 v39, 1, v35 :: v_dual_lshlrev_b32 v1, 2, v1
	v_dual_lshlrev_b32 v14, 2, v110 :: v_dual_lshlrev_b32 v48, 6, v35
	s_delay_alu instid0(VALU_DEP_3) | instskip(SKIP_3) | instid1(VALU_DEP_4)
	v_and_b32_e32 v33, 0xffc, v33
	v_add_nc_u32_e32 v35, 0x70, v50
	v_dual_lshlrev_b32 v37, 1, v11 :: v_dual_lshlrev_b32 v41, 6, v50
	v_add3_u32 v1, v1, v10, 0x4200
	v_add3_u32 v45, v33, v10, 0x4200
	v_add_nc_u32_e32 v33, 64, v50
	v_and_b32_e32 v39, 0xffc, v39
	v_lshlrev_b32_e32 v52, 1, v35
	v_bfe_u32 v51, v0, 3, 7
	s_delay_alu instid0(VALU_DEP_4) | instskip(NEXT) | instid1(VALU_DEP_4)
	v_dual_lshlrev_b32 v15, 6, v15 :: v_dual_lshlrev_b32 v46, 1, v33
	v_add3_u32 v39, v39, v10, 0x4200
	v_min_num_f64_e32 v[16:17], v[16:17], v[2:3]
	v_min_num_f64_e32 v[4:5], v[4:5], v[2:3]
	;; [unrolled: 1-line block ×6, first 2 shown]
	v_dual_min_num_f64 v[28:29], v[28:29], v[2:3] :: v_dual_add_nc_u32 v39, v39, v48
	v_min_num_f64_e32 v[2:3], v[30:31], v[2:3]
	v_add_nc_u32_e32 v31, 0x60, v50
	v_lshl_add_u32 v51, v9, 2, v51
	v_dual_lshlrev_b32 v11, 6, v11 :: v_dual_lshlrev_b32 v53, 6, v33
	v_add_nc_u32_e32 v58, 0x60, v13
	s_delay_alu instid0(VALU_DEP_4) | instskip(NEXT) | instid1(VALU_DEP_4)
	v_dual_lshlrev_b32 v49, 1, v31 :: v_dual_lshlrev_b32 v55, 6, v31
	v_add_nc_u32_e32 v54, 32, v51
	v_and_b32_e32 v37, 0xffc, v37
	v_add_nc_u32_e32 v47, 0x50, v50
	s_delay_alu instid0(VALU_DEP_4)
	v_and_b32_e32 v33, 0xffc, v49
	v_and_b32_e32 v49, 0xffc, v52
	;; [unrolled: 1-line block ×3, first 2 shown]
	v_add3_u32 v37, v37, v10, 0x4200
	v_dual_lshlrev_b32 v46, 1, v47 :: v_dual_lshlrev_b32 v47, 6, v47
	v_add3_u32 v52, v33, v10, 0x4200
	v_and_b32_e32 v31, 0x7fc, v51
	v_dual_add_nc_u32 v36, 32, v9 :: v_dual_add_nc_u32 v38, 40, v9
	s_delay_alu instid0(VALU_DEP_4) | instskip(SKIP_1) | instid1(VALU_DEP_4)
	v_and_b32_e32 v46, 0xffc, v46
	v_add3_u32 v30, v30, v10, 0x4200
	v_add3_u32 v57, v31, v14, 0x8300
	v_dual_add_nc_u32 v20, 16, v9 :: v_dual_add_nc_u32 v34, 24, v9
	v_cvt_i32_f64_e32 v4, v[4:5]
	v_add3_u32 v46, v46, v10, 0x4200
	s_ashr_i32 s11, s10, 31
	s_ashr_i32 s12, s5, 31
	s_lshr_b32 s11, s11, 24
	v_dual_lshlrev_b32 v124, 5, v20 :: v_dual_lshlrev_b32 v125, 5, v34
	v_cvt_i32_f64_e32 v2, v[2:3]
	v_lshlrev_b32_e32 v3, 5, v13
	v_cvt_i32_f64_e32 v5, v[6:7]
	v_cvt_i32_f64_e32 v7, v[22:23]
	;; [unrolled: 1-line block ×5, first 2 shown]
	v_dual_add_nc_u32 v28, 32, v13 :: v_dual_add_nc_u32 v29, 64, v13
	v_cvt_i32_f64_e32 v6, v[16:17]
	v_and_b32_e32 v16, 0xfc, v0
	s_add_co_i32 s10, s10, s11
	s_delay_alu instid0(VALU_DEP_3)
	v_lshlrev_b32_e32 v17, 5, v28
	v_and_b32_e32 v25, 0x1fc, v28
	s_ashr_i32 s15, s10, 8
	v_add3_u32 v23, v3, v16, 0x8300
	v_lshlrev_b32_e32 v3, 5, v29
	v_and_b32_e32 v16, 0x1fc, v29
	v_add3_u32 v25, v17, v25, 0x8300
	v_lshlrev_b32_e32 v17, 5, v58
	v_and_b32_e32 v33, 0xffc, v54
	v_dual_lshlrev_b32 v56, 6, v35 :: v_dual_lshlrev_b32 v54, 5, v54
	v_add3_u32 v27, v3, v16, 0x8300
	v_lshlrev_b32_e32 v3, 5, v51
	s_delay_alu instid0(VALU_DEP_4)
	v_add3_u32 v16, v33, v14, 0x8300
	v_add_nc_u32_e32 v33, v1, v41
	v_add_nc_u32_e32 v1, 0x60, v51
	v_dual_add_nc_u32 v37, v37, v11 :: v_dual_bitop2_b32 v41, 31, v0 bitop3:0x40
	s_lshr_b32 s11, s12, 27
	s_mul_i32 s10, s15, s14
	s_delay_alu instid0(VALU_DEP_2)
	v_and_b32_e32 v11, 0xffc, v1
	v_lshlrev_b32_e32 v1, 5, v1
	v_lshl_or_b32 v48, v41, 2, 0x6300
	v_add_nc_u32_e32 v41, v30, v53
	v_lshlrev_b32_e32 v30, 7, v9
	v_add3_u32 v11, v11, v14, 0x8300
	s_add_co_i32 s5, s5, s11
	s_ashr_i32 s11, s10, 31
	s_ashr_i32 s5, s5, 5
	s_mul_u64 s[12:13], s[10:11], 0x6e
	v_dual_add_nc_u32 v63, v11, v1 :: v_dual_lshlrev_b32 v1, 7, v44
	v_bfe_u32 v11, v0, 2, 8
	v_and_b32_e32 v0, 3, v0
	s_lshl_b32 s10, s15, 3
	v_mul_lo_u32 v119, s5, v22
	v_add_nc_u32_e32 v93, v48, v1
	v_mul_lo_u32 v116, s5, v5
	v_add_nc_u16 v1, v0, -2
	v_cmp_gt_u32_e32 vcc_lo, 2, v0
	v_mul_lo_u32 v120, s5, v24
	v_mul_lo_u32 v121, s5, v26
	v_mul_lo_u32 v122, s5, v2
	v_lshrrev_b32_e32 v2, 1, v28
	v_cndmask_b32_e32 v1, v1, v0, vcc_lo
	v_and_b32_e32 v35, 0x1fc, v58
	v_add3_u32 v49, v49, v10, 0x4200
	s_lshl_b32 s11, s15, 4
	v_lshlrev_b32_e32 v53, 7, v34
	v_and_b32_e32 v1, 0xff, v1
	v_add3_u32 v31, v17, v35, 0x8300
	v_add_nc_u32_e32 v17, 64, v51
	v_add_nc_u32_e32 v35, v45, v15
	;; [unrolled: 1-line block ×3, first 2 shown]
	v_dual_add_nc_u32 v47, v52, v55 :: v_dual_lshlrev_b32 v52, 7, v20
	s_delay_alu instid0(VALU_DEP_4) | instskip(SKIP_2) | instid1(VALU_DEP_4)
	v_and_b32_e32 v15, 0xffc, v17
	v_dual_lshlrev_b32 v17, 5, v17 :: v_dual_add_nc_u32 v55, v57, v3
	v_dual_lshlrev_b32 v3, 7, v36 :: v_dual_add_nc_u32 v65, v48, v30
	v_add_nc_u32_e32 v75, v48, v52
	s_delay_alu instid0(VALU_DEP_4) | instskip(SKIP_3) | instid1(VALU_DEP_4)
	v_add3_u32 v15, v15, v14, 0x8300
	v_add_nc_u32_e32 v57, v16, v54
	v_lshlrev_b32_e32 v16, 7, v38
	v_dual_lshlrev_b32 v46, 7, v18 :: v_dual_lshlrev_b32 v123, 5, v18
	v_dual_add_nc_u32 v61, v15, v17 :: v_dual_lshlrev_b32 v15, 7, v40
	s_delay_alu instid0(VALU_DEP_3) | instskip(SKIP_2) | instid1(VALU_DEP_4)
	v_dual_add_nc_u32 v81, v48, v3 :: v_dual_add_nc_u32 v89, v48, v16
	v_lshl_add_u32 v3, v9, 3, v11
	v_mad_i32_i24 v18, s15, v9, s10
	v_dual_add_nc_u32 v91, v48, v15 :: v_dual_lshlrev_b32 v128, 5, v40
	s_delay_alu instid0(VALU_DEP_3) | instskip(NEXT) | instid1(VALU_DEP_3)
	v_dual_lshrrev_b32 v5, 4, v29 :: v_dual_bitop2_b32 v3, 63, v3 bitop3:0x40
	v_dual_lshlrev_b32 v15, 2, v0 :: v_dual_add_nc_u32 v20, s10, v18
	v_add_nc_u32_e32 v49, v49, v56
	v_dual_lshlrev_b32 v126, 5, v36 :: v_dual_lshlrev_b32 v127, 5, v38
	s_delay_alu instid0(VALU_DEP_4) | instskip(NEXT) | instid1(VALU_DEP_4)
	v_dual_mov_b32 v11, 0 :: v_dual_bitop2_b32 v16, s7, v3 bitop3:0x54
	v_lshl_or_b32 v3, v3, 4, v15
	v_add_nc_u32_e32 v22, s10, v20
	v_mad_i32_i24 v38, s15, v50, s11
	s_delay_alu instid0(VALU_DEP_4) | instskip(SKIP_2) | instid1(VALU_DEP_3)
	v_dual_mov_b32 v15, v11 :: v_dual_min_i32 v30, s16, v16
	v_lshlrev_b32_e32 v16, 2, v1
	v_dual_lshlrev_b32 v1, 2, v13 :: v_dual_mov_b32 v17, v11
	v_mad_u32 v97, v30, s5, v0
	v_dual_lshlrev_b32 v99, 1, v0 :: v_dual_add_nc_u32 v24, s10, v22
	v_lshlrev_b32_e32 v30, 1, v13
	s_delay_alu instid0(VALU_DEP_4) | instskip(SKIP_1) | instid1(VALU_DEP_3)
	v_mad_u32_u24 v103, 0x84, v9, v1
	v_dual_mov_b32 v1, v11 :: v_dual_bitop2_b32 v0, 28, v1 bitop3:0x40
	v_dual_add_nc_u32 v26, s10, v24 :: v_dual_bitop2_b32 v137, 4, v30 bitop3:0x40
	v_add_nc_u32_e32 v111, 0x97a0, v3
	v_lshrrev_b32_e32 v3, 4, v28
	v_dual_lshlrev_b32 v136, 2, v32 :: v_dual_lshlrev_b32 v138, 2, v30
	s_delay_alu instid0(VALU_DEP_4) | instskip(NEXT) | instid1(VALU_DEP_3)
	v_dual_add_nc_u32 v30, s10, v26 :: v_dual_lshlrev_b32 v129, 5, v44
	v_dual_lshlrev_b32 v140, 2, v3 :: v_dual_lshlrev_b32 v142, 2, v5
	v_add_nc_u32_e32 v44, s11, v38
	s_delay_alu instid0(VALU_DEP_3)
	v_add_nc_u32_e32 v32, s10, v30
	v_dual_add_nc_u32 v69, v48, v46 :: v_dual_add_nc_u32 v77, v48, v53
	s_wait_xcnt 0x0
	s_load_b128 s[0:3], s[0:1], 0x0
	s_lshl_b32 s16, s15, 5
	v_add_nc_u32_e32 v34, s10, v32
	v_mad_i32_i24 v74, s15, v51, s16
	v_lshlrev_b32_e32 v160, 5, v9
	v_cmp_lt_u32_e32 vcc_lo, 7, v42
	v_mul_lo_u32 v113, s5, v4
	v_add_nc_u32_e32 v36, s10, v34
	v_mul_lo_u32 v117, s5, v6
	v_mul_lo_u32 v118, s5, v7
	v_dual_lshrrev_b32 v4, 1, v29 :: v_dual_lshrrev_b32 v6, 1, v58
	s_delay_alu instid0(VALU_DEP_4)
	v_dual_lshrrev_b32 v7, 4, v58 :: v_dual_add_nc_u32 v40, s10, v36
	v_cndmask_b32_e64 v96, 0, 1, vcc_lo
	v_add_nc_u32_e32 v102, s16, v74
	v_cmp_lt_u32_e32 vcc_lo, 3, v110
	v_dual_lshlrev_b32 v130, 6, v28 :: v_dual_lshlrev_b32 v131, 3, v28
	v_dual_add_nc_u32 v46, s10, v40 :: v_dual_lshlrev_b32 v132, 6, v29
	v_dual_lshlrev_b32 v133, 3, v29 :: v_dual_lshlrev_b32 v134, 6, v58
	v_lshlrev_b32_e32 v135, 3, v58
	s_delay_alu instid0(VALU_DEP_3)
	v_dual_add_nc_u32 v54, s10, v46 :: v_dual_add_nc_u32 v48, s11, v44
	s_wait_kmcnt 0x0
	v_add_nc_u64_e32 v[28:29], s[2:3], v[0:1]
	v_mul_i32_i24_e32 v56, s15, v43
	v_mul_i32_i24_e32 v60, s15, v50
	v_dual_add_nc_u32 v68, s10, v54 :: v_dual_add_nc_u32 v62, s11, v48
	v_mul_i32_i24_e32 v64, s15, v51
	v_mov_b64_e32 v[82:83], 0
	v_mov_b64_e32 v[70:71], 0
	s_delay_alu instid0(VALU_DEP_4)
	v_dual_add_nc_u32 v80, s10, v68 :: v_dual_add_nc_u32 v76, s11, v62
	v_mov_b64_e32 v[50:51], 0
	v_mov_b64_e32 v[42:43], 0
	v_mov_b64_e32 v[104:105], 0
	v_mov_b64_e32 v[86:87], 0
	v_add_nc_u32_e32 v88, s11, v76
	v_mov_b64_e32 v[72:73], 0
	v_mov_b64_e32 v[52:53], 0
	;; [unrolled: 1-line block ×10, first 2 shown]
	v_dual_lshlrev_b32 v139, 2, v2 :: v_dual_lshlrev_b32 v141, 2, v4
	v_dual_lshlrev_b32 v143, 2, v6 :: v_dual_lshlrev_b32 v144, 2, v7
	v_add_nc_u32_e32 v145, 0x420, v103
	v_add_nc_u32_e32 v146, 0x840, v103
	;; [unrolled: 1-line block ×15, first 2 shown]
	v_mul_u32_u24_e32 v161, 0x84, v13
	v_dual_lshlrev_b32 v162, 6, v13 :: v_dual_lshlrev_b32 v163, 2, v8
	v_mul_i32_i24_e32 v90, s15, v9
	v_dual_add_nc_u32 v92, s10, v80 :: v_dual_add_nc_u32 v112, s16, v102
	v_add_nc_u32_e32 v98, s11, v88
	v_cndmask_b32_e64 v110, 0, 1, vcc_lo
	s_mov_b32 s11, 0
	s_add_nc_u64 s[0:1], s[0:1], s[12:13]
	s_mov_b32 s10, s11
	s_branch .LBB149_6
.LBB149_5:                              ;   in Loop: Header=BB149_6 Depth=1
	s_add_co_i32 s10, s10, 2
	s_delay_alu instid0(SALU_CYCLE_1)
	s_cmp_ge_i32 s10, s15
	s_cbranch_scc1 .LBB149_14
.LBB149_6:                              ; =>This Loop Header: Depth=1
                                        ;     Child Loop BB149_8 Depth 2
                                        ;       Child Loop BB149_10 Depth 3
                                        ;       Child Loop BB149_12 Depth 3
	s_mul_u64 s[12:13], s[10:11], 0x6e
	s_lshl_b32 s5, s10, 3
	s_add_nc_u64 s[12:13], s[0:1], s[12:13]
	v_add_nc_u32_e32 v164, s5, v97
	v_mad_nc_u64_u32 v[0:1], 0x6e, v8, s[12:13]
	s_delay_alu instid0(VALU_DEP_1) | instskip(NEXT) | instid1(VALU_DEP_1)
	v_mad_nc_u64_u32 v[2:3], 0x6e, v90, v[0:1]
	v_add_nc_u64_e32 v[2:3], v[2:3], v[10:11]
	global_load_b32 v2, v[2:3], off offset:32
	s_wait_loadcnt 0x0
	ds_store_b32 v103, v2
	s_wait_xcnt 0x0
	v_mad_nc_u64_u32 v[2:3], 0x6e, v18, v[0:1]
	s_delay_alu instid0(VALU_DEP_1)
	v_add_nc_u64_e32 v[2:3], v[2:3], v[10:11]
	global_load_b32 v2, v[2:3], off offset:32
	s_wait_loadcnt 0x0
	ds_store_b32 v145, v2
	s_wait_xcnt 0x0
	v_mad_nc_u64_u32 v[2:3], 0x6e, v20, v[0:1]
	s_delay_alu instid0(VALU_DEP_1)
	;; [unrolled: 7-line block ×13, first 2 shown]
	v_add_nc_u64_e32 v[2:3], v[2:3], v[10:11]
	global_load_b32 v2, v[2:3], off offset:32
	s_wait_loadcnt 0x0
	ds_store_b32 v157, v2
	s_wait_xcnt 0x0
	v_mad_nc_u64_u32 v[2:3], 0x6e, v80, v[0:1]
	v_mad_nc_u64_u32 v[0:1], 0x6e, v92, v[0:1]
	s_delay_alu instid0(VALU_DEP_2) | instskip(NEXT) | instid1(VALU_DEP_2)
	v_add_nc_u64_e32 v[2:3], v[2:3], v[10:11]
	v_add_nc_u64_e32 v[0:1], v[0:1], v[10:11]
	s_clause 0x1
	global_load_b32 v2, v[2:3], off offset:32
	global_load_b32 v0, v[0:1], off offset:32
	s_wait_loadcnt 0x1
	ds_store_b32 v158, v2
	s_wait_loadcnt 0x0
	ds_store_b32 v159, v0
	s_wait_xcnt 0x0
	v_mad_nc_u64_u32 v[0:1], 0x6e, v56, s[12:13]
	s_delay_alu instid0(VALU_DEP_1)
	v_mad_nc_u64_u32 v[0:1], 0x6e, v12, v[0:1]
	global_load_u16 v0, v[0:1], off offset:108
	s_wait_loadcnt 0x0
	s_wait_xcnt 0x0
	v_cvt_f32_f16_e32 v0, v0
	ds_store_b32 v21, v0
	v_mad_nc_u64_u32 v[0:1], 0x6e, v96, s[12:13]
	s_delay_alu instid0(VALU_DEP_1) | instskip(NEXT) | instid1(VALU_DEP_1)
	v_add_nc_u64_e32 v[0:1], v[0:1], v[14:15]
	v_mad_nc_u64_u32 v[2:3], 0x6e, v60, v[0:1]
	global_load_b32 v2, v[2:3], off
	s_wait_loadcnt 0x0
	s_wait_xcnt 0x0
	v_not_b32_e32 v2, v2
	ds_store_b32 v33, v2
	v_mad_nc_u64_u32 v[2:3], 0x6e, v38, v[0:1]
	global_load_b32 v2, v[2:3], off
	s_wait_loadcnt 0x0
	s_wait_xcnt 0x0
	v_not_b32_e32 v2, v2
	ds_store_b32 v35, v2
	;; [unrolled: 6-line block ×6, first 2 shown]
	v_mad_nc_u64_u32 v[2:3], 0x6e, v88, v[0:1]
	v_mad_nc_u64_u32 v[0:1], 0x6e, v98, v[0:1]
	s_clause 0x1
	global_load_b32 v2, v[2:3], off
	global_load_b32 v0, v[0:1], off
	s_wait_loadcnt 0x1
	s_wait_xcnt 0x1
	v_not_b32_e32 v2, v2
	s_wait_loadcnt 0x0
	s_wait_xcnt 0x0
	v_not_b32_e32 v0, v0
	ds_store_b32 v47, v2
	ds_store_b32 v49, v0
	v_mad_nc_u64_u32 v[0:1], 0x6e, v110, s[12:13]
	s_mov_b32 s12, 0
	s_delay_alu instid0(VALU_DEP_1) | instskip(NEXT) | instid1(VALU_DEP_1)
	v_mad_nc_u64_u32 v[2:3], 0x6e, v64, v[0:1]
	v_add_nc_u64_e32 v[4:5], v[2:3], v[16:17]
	s_clause 0x1
	global_load_b32 v2, v[2:3], off offset:104
	global_load_b32 v4, v[4:5], off offset:96
	s_wait_loadcnt 0x1
	s_wait_xcnt 0x1
	v_ashrrev_i32_e32 v2, v99, v2
	s_wait_loadcnt 0x0
	s_wait_xcnt 0x0
	s_delay_alu instid0(VALU_DEP_1) | instskip(NEXT) | instid1(VALU_DEP_1)
	v_dual_lshlrev_b32 v2, 4, v2 :: v_dual_ashrrev_i32 v4, v137, v4
	v_and_b32_e32 v4, 0xf0f0f0f, v4
	s_delay_alu instid0(VALU_DEP_1) | instskip(NEXT) | instid1(VALU_DEP_1)
	v_and_or_b32 v2, 0x30303030, v2, v4
	v_lshlrev_b16 v4, 8, v2
	v_lshrrev_b32_e32 v3, 16, v2
	s_delay_alu instid0(VALU_DEP_2) | instskip(NEXT) | instid1(VALU_DEP_1)
	v_add_nc_u16 v4, 0xe000, v4
	v_lshrrev_b16 v4, 8, v4
	s_delay_alu instid0(VALU_DEP_1) | instskip(NEXT) | instid1(VALU_DEP_4)
	v_bitop3_b16 v2, v2, v4, 0x3f00 bitop3:0xec
	v_lshlrev_b16 v4, 8, v3
	s_delay_alu instid0(VALU_DEP_2) | instskip(NEXT) | instid1(VALU_DEP_2)
	v_add_nc_u16 v2, 0xe000, v2
	v_add_nc_u16 v4, 0xe000, v4
	s_delay_alu instid0(VALU_DEP_2) | instskip(NEXT) | instid1(VALU_DEP_2)
	v_and_b32_e32 v2, 0xffff, v2
	v_lshrrev_b16 v4, 8, v4
	s_delay_alu instid0(VALU_DEP_1) | instskip(NEXT) | instid1(VALU_DEP_1)
	v_bitop3_b16 v3, v3, v4, 0x3f00 bitop3:0xec
	v_add_nc_u16 v3, 0xe000, v3
	s_delay_alu instid0(VALU_DEP_1) | instskip(NEXT) | instid1(VALU_DEP_1)
	v_lshlrev_b32_e32 v3, 16, v3
	v_or_b32_e32 v2, v2, v3
	ds_store_b32 v55, v2
	v_mad_nc_u64_u32 v[2:3], 0x6e, v74, v[0:1]
	s_delay_alu instid0(VALU_DEP_1)
	v_add_nc_u64_e32 v[4:5], v[2:3], v[16:17]
	s_clause 0x1
	global_load_b32 v2, v[2:3], off offset:104
	global_load_b32 v4, v[4:5], off offset:96
	s_wait_loadcnt 0x1
	s_wait_xcnt 0x1
	v_ashrrev_i32_e32 v2, v99, v2
	s_wait_loadcnt 0x0
	s_wait_xcnt 0x0
	s_delay_alu instid0(VALU_DEP_1) | instskip(NEXT) | instid1(VALU_DEP_1)
	v_dual_lshlrev_b32 v2, 4, v2 :: v_dual_ashrrev_i32 v4, v137, v4
	v_and_b32_e32 v4, 0xf0f0f0f, v4
	s_delay_alu instid0(VALU_DEP_1) | instskip(NEXT) | instid1(VALU_DEP_1)
	v_and_or_b32 v2, 0x30303030, v2, v4
	v_lshlrev_b16 v4, 8, v2
	v_lshrrev_b32_e32 v3, 16, v2
	s_delay_alu instid0(VALU_DEP_2) | instskip(NEXT) | instid1(VALU_DEP_1)
	v_add_nc_u16 v4, 0xe000, v4
	v_lshrrev_b16 v4, 8, v4
	s_delay_alu instid0(VALU_DEP_1) | instskip(NEXT) | instid1(VALU_DEP_4)
	v_bitop3_b16 v2, v2, v4, 0x3f00 bitop3:0xec
	v_lshlrev_b16 v4, 8, v3
	s_delay_alu instid0(VALU_DEP_2) | instskip(NEXT) | instid1(VALU_DEP_2)
	v_add_nc_u16 v2, 0xe000, v2
	v_add_nc_u16 v4, 0xe000, v4
	s_delay_alu instid0(VALU_DEP_2) | instskip(NEXT) | instid1(VALU_DEP_2)
	v_and_b32_e32 v2, 0xffff, v2
	v_lshrrev_b16 v4, 8, v4
	s_delay_alu instid0(VALU_DEP_1) | instskip(NEXT) | instid1(VALU_DEP_1)
	v_bitop3_b16 v3, v3, v4, 0x3f00 bitop3:0xec
	v_add_nc_u16 v3, 0xe000, v3
	s_delay_alu instid0(VALU_DEP_1) | instskip(NEXT) | instid1(VALU_DEP_1)
	v_lshlrev_b32_e32 v3, 16, v3
	v_or_b32_e32 v2, v2, v3
	ds_store_b32 v57, v2
	v_mad_nc_u64_u32 v[2:3], 0x6e, v102, v[0:1]
	v_mad_nc_u64_u32 v[0:1], 0x6e, v112, v[0:1]
	s_delay_alu instid0(VALU_DEP_2)
	v_add_nc_u64_e32 v[4:5], v[2:3], v[16:17]
	s_clause 0x1
	global_load_b32 v2, v[2:3], off offset:104
	global_load_b32 v4, v[4:5], off offset:96
	s_wait_loadcnt 0x1
	s_wait_xcnt 0x1
	v_ashrrev_i32_e32 v2, v99, v2
	s_wait_loadcnt 0x0
	s_wait_xcnt 0x0
	s_delay_alu instid0(VALU_DEP_1) | instskip(NEXT) | instid1(VALU_DEP_1)
	v_dual_lshlrev_b32 v2, 4, v2 :: v_dual_ashrrev_i32 v4, v137, v4
	v_and_b32_e32 v4, 0xf0f0f0f, v4
	s_delay_alu instid0(VALU_DEP_1) | instskip(NEXT) | instid1(VALU_DEP_1)
	v_and_or_b32 v2, 0x30303030, v2, v4
	v_lshlrev_b16 v4, 8, v2
	v_lshrrev_b32_e32 v3, 16, v2
	s_delay_alu instid0(VALU_DEP_2) | instskip(NEXT) | instid1(VALU_DEP_1)
	v_add_nc_u16 v4, 0xe000, v4
	v_lshrrev_b16 v4, 8, v4
	s_delay_alu instid0(VALU_DEP_1) | instskip(NEXT) | instid1(VALU_DEP_4)
	v_bitop3_b16 v2, v2, v4, 0x3f00 bitop3:0xec
	v_lshlrev_b16 v4, 8, v3
	s_delay_alu instid0(VALU_DEP_2) | instskip(NEXT) | instid1(VALU_DEP_2)
	v_add_nc_u16 v2, 0xe000, v2
	v_add_nc_u16 v4, 0xe000, v4
	s_delay_alu instid0(VALU_DEP_2) | instskip(NEXT) | instid1(VALU_DEP_2)
	v_and_b32_e32 v2, 0xffff, v2
	v_lshrrev_b16 v4, 8, v4
	s_delay_alu instid0(VALU_DEP_1) | instskip(NEXT) | instid1(VALU_DEP_1)
	v_bitop3_b16 v3, v3, v4, 0x3f00 bitop3:0xec
	v_add_nc_u16 v3, 0xe000, v3
	s_delay_alu instid0(VALU_DEP_1) | instskip(NEXT) | instid1(VALU_DEP_1)
	v_lshlrev_b32_e32 v3, 16, v3
	v_or_b32_e32 v2, v2, v3
	ds_store_b32 v61, v2
	v_add_nc_u64_e32 v[2:3], v[0:1], v[16:17]
	s_clause 0x1
	global_load_b32 v0, v[0:1], off offset:104
	global_load_b32 v2, v[2:3], off offset:96
	s_wait_loadcnt 0x1
	s_wait_xcnt 0x1
	v_ashrrev_i32_e32 v0, v99, v0
	s_wait_loadcnt 0x0
	s_wait_xcnt 0x0
	s_delay_alu instid0(VALU_DEP_1) | instskip(NEXT) | instid1(VALU_DEP_1)
	v_dual_lshlrev_b32 v0, 4, v0 :: v_dual_ashrrev_i32 v2, v137, v2
	v_and_b32_e32 v2, 0xf0f0f0f, v2
	s_delay_alu instid0(VALU_DEP_1) | instskip(NEXT) | instid1(VALU_DEP_1)
	v_and_or_b32 v0, 0x30303030, v0, v2
	v_lshlrev_b16 v2, 8, v0
	v_lshrrev_b32_e32 v1, 16, v0
	s_delay_alu instid0(VALU_DEP_2) | instskip(NEXT) | instid1(VALU_DEP_1)
	v_add_nc_u16 v2, 0xe000, v2
	v_lshrrev_b16 v2, 8, v2
	s_delay_alu instid0(VALU_DEP_1) | instskip(NEXT) | instid1(VALU_DEP_4)
	v_bitop3_b16 v0, v0, v2, 0x3f00 bitop3:0xec
	v_lshlrev_b16 v2, 8, v1
	s_delay_alu instid0(VALU_DEP_2) | instskip(NEXT) | instid1(VALU_DEP_2)
	v_add_nc_u16 v0, 0xe000, v0
	v_add_nc_u16 v2, 0xe000, v2
	s_delay_alu instid0(VALU_DEP_2) | instskip(NEXT) | instid1(VALU_DEP_2)
	v_and_b32_e32 v0, 0xffff, v0
	v_lshrrev_b16 v2, 8, v2
	s_delay_alu instid0(VALU_DEP_1) | instskip(NEXT) | instid1(VALU_DEP_1)
	v_bitop3_b16 v1, v1, v2, 0x3f00 bitop3:0xec
	v_add_nc_u16 v1, 0xe000, v1
	s_delay_alu instid0(VALU_DEP_1) | instskip(NEXT) | instid1(VALU_DEP_1)
	v_lshlrev_b32_e32 v1, 16, v1
	v_or_b32_e32 v0, v0, v1
	ds_store_b32 v63, v0
	s_branch .LBB149_8
.LBB149_7:                              ;   in Loop: Header=BB149_8 Depth=2
                                        ; implicit-def: $sgpr12
	s_and_b32 vcc_lo, exec_lo, s13
	s_cbranch_vccnz .LBB149_5
.LBB149_8:                              ;   Parent Loop BB149_6 Depth=1
                                        ; =>  This Loop Header: Depth=2
                                        ;       Child Loop BB149_10 Depth 3
                                        ;       Child Loop BB149_12 Depth 3
	s_lshr_b32 s13, s12, 1
	s_delay_alu instid0(SALU_CYCLE_1) | instskip(NEXT) | instid1(SALU_CYCLE_1)
	s_or_b32 s13, s13, s10
	s_cmp_lt_i32 s13, s15
	s_mov_b32 s13, -1
	s_cbranch_scc0 .LBB149_7
; %bb.9:                                ;   in Loop: Header=BB149_8 Depth=2
	v_lshl_add_u32 v0, s12, 5, v13
	v_lshl_add_u32 v1, s12, 2, v164
	s_or_b32 s16, s12, 1
	s_lshl_b32 s17, s12, 3
	s_lshl_b32 s13, s16, 3
	v_lshrrev_b32_e32 v0, 3, v0
	s_delay_alu instid0(VALU_DEP_1) | instskip(SKIP_1) | instid1(VALU_DEP_2)
	v_add_nc_u32_e32 v2, s5, v0
	v_mad_nc_u64_u32 v[0:1], v1, 36, s[2:3]
	v_dual_add_nc_u32 v3, v2, v122 :: v_dual_add_nc_u32 v168, v2, v119
	v_dual_add_nc_u32 v4, v2, v113 :: v_dual_add_nc_u32 v6, v2, v116
	;; [unrolled: 1-line block ×4, first 2 shown]
	s_delay_alu instid0(VALU_DEP_4) | instskip(NEXT) | instid1(VALU_DEP_4)
	v_mad_nc_i64_i32 v[2:3], v3, 36, v[28:29]
	v_mad_nc_i64_i32 v[4:5], v4, 36, v[28:29]
	;; [unrolled: 1-line block ×8, first 2 shown]
	s_clause 0x8
	global_load_b32 v165, v[0:1], off
	global_load_b32 v174, v[2:3], off offset:4
	global_load_b32 v175, v[4:5], off offset:4
	;; [unrolled: 1-line block ×8, first 2 shown]
	s_wait_loadcnt 0x8
	s_wait_xcnt 0x8
	v_cvt_f32_f16_e64 v0, v165
	s_wait_loadcnt 0x7
	ds_store_b32 v93, v174
	s_wait_loadcnt 0x6
	ds_store_b32 v65, v175
	;; [unrolled: 2-line block ×8, first 2 shown]
	ds_store_b32 v111, v0
	s_wait_dscnt 0x0
	s_barrier_signal -1
	s_barrier_wait -1
.LBB149_10:                             ;   Parent Loop BB149_6 Depth=1
                                        ;     Parent Loop BB149_8 Depth=2
                                        ; =>    This Inner Loop Header: Depth=3
	s_lshl_b32 s18, s17, 2
	s_and_b32 s20, s17, 6
	s_and_b32 s18, s18, 24
	s_and_b32 s22, s17, 0x3ffffff8
	v_or_b32_e32 v0, s18, v160
	v_lshl_add_u32 v237, s22, 2, v161
	s_lshr_b32 s21, s17, 4
	s_bfe_u32 s19, s17, 0x30001
	s_lshl_b32 s23, s21, 2
	v_dual_lshlrev_b32 v4, 2, v0 :: v_dual_lshrrev_b32 v0, 1, v0
	s_lshl_b32 s21, s21, 5
	s_and_b32 s22, s17, -2
	s_addk_co_i32 s21, 0x4200
	ds_load_b32 v115, v0 offset:38816
	ds_load_b128 v[0:3], v4 offset:25344
	ds_load_b128 v[4:7], v4 offset:25360
	ds_load_2addr_b32 v[166:167], v237 offset1:1
	v_add3_u32 v172, s21, v136, v162
	s_add_co_i32 s23, s23, 0x9380
	s_set_vgpr_msb 64                       ;  msbs: dst=1 src0=0 src1=0 src2=0
	v_add_nc_u32_e32 v46 /*v302*/, s22, v31
	s_add_co_i32 s17, s17, 2
	s_set_vgpr_msb 0                        ;  msbs: dst=0 src0=0 src1=0 src2=0
	ds_load_2addr_b32 v[168:169], v172 offset1:1
	s_cmp_lt_u32 s17, s13
	s_wait_dscnt 0x3
	v_bfe_i32 v224, v0, 0, 8
	v_bfe_i32 v225, v0, 8, 8
	s_wait_dscnt 0x1
	v_ashrrev_i32_e32 v165, s20, v166
	v_bfe_i32 v208, v3, 8, 8
	v_perm_b32 v245, v0, v0, 0xc0c0302
	v_bfe_i32 v222, v1, 0, 8
	v_bfe_i32 v218, v2, 0, 8
	v_and_b32_e32 v166, 0x3030303, v165
	v_bfe_u32 v165, v165, 24, 2
	v_bfe_i32 v206, v2, 8, 8
	s_wait_dscnt 0x0
	v_ashrrev_i32_e32 v168, s19, v168
	v_perm_b32 v209, v1, v1, 0xc030201
	v_lshrrev_b32_e32 v171, 16, v166
	v_lshrrev_b16 v170, 8, v166
	v_bfe_i32 v207, v3, 0, 8
	v_lshlrev_b32_e32 v168, 2, v168
	v_perm_b32 v210, v2, v2, 0xc0c0302
	v_bfe_i32 v219, v4, 0, 8
	v_bfe_i32 v220, v4, 8, 8
	v_perm_b32 v211, v3, v3, 0xc0c0302
	v_and_b32_e32 v168, 0x4040404, v168
	v_bfe_i32 v217, v7, 8, 8
	v_perm_b32 v246, v4, v4, 0xc0c0302
	v_bfe_i32 v215, v5, 0, 8
	v_bfe_i32 v114, v6, 0, 8
	v_dual_lshrrev_b32 v174, 24, v168 :: v_dual_lshrrev_b32 v175, 16, v168
	v_lshrrev_b16 v173, 8, v168
	v_bfe_i32 v214, v6, 8, 8
	v_perm_b32 v221, v5, v5, 0xc030201
	s_delay_alu instid0(VALU_DEP_4)
	v_sub_nc_u16 v165, v165, v174
	v_sub_nc_u16 v171, v171, v175
	v_bfe_i32 v199, v7, 0, 8
	v_perm_b32 v232, v6, v6, 0xc0c0302
	v_perm_b32 v233, v7, v7, 0xc0c0302
	v_lshlrev_b16 v165, 8, v165
	v_bfe_i32 v223, v1, 8, 8
	v_perm_b32 v1, v1, v1, 0xc0c0302
	v_bfe_i32 v216, v5, 8, 8
	v_perm_b32 v5, v5, v5, 0xc0c0302
	v_bitop3_b16 v174, v171, v165, 0xff bitop3:0xec
	v_sub_nc_u16 v165, v170, v173
	v_sub_nc_u16 v173, v166, v168
	v_perm_b32 v6, v6, v6, 0xc030201
	v_perm_b32 v7, v7, v7, 0xc030201
	;; [unrolled: 1-line block ×3, first 2 shown]
	v_lshlrev_b16 v170, 8, v165
	v_dual_ashrrev_i32 v165, s20, v167 :: v_dual_ashrrev_i32 v169, s19, v169
	s_delay_alu instid0(VALU_DEP_1) | instskip(SKIP_1) | instid1(VALU_DEP_2)
	v_and_b32_e32 v166, 0x3030303, v165
	v_bfe_u32 v165, v165, 24, 2
	v_dual_lshlrev_b32 v169, 2, v169 :: v_dual_lshrrev_b32 v168, 16, v166
	v_lshrrev_b16 v167, 8, v166
	s_delay_alu instid0(VALU_DEP_2) | instskip(NEXT) | instid1(VALU_DEP_1)
	v_and_b32_e32 v169, 0x4040404, v169
	v_dual_lshrrev_b32 v176, 24, v169 :: v_dual_lshrrev_b32 v177, 16, v169
	v_lshrrev_b16 v175, 8, v169
	v_sub_nc_u16 v178, v166, v169
	s_delay_alu instid0(VALU_DEP_3) | instskip(NEXT) | instid1(VALU_DEP_4)
	v_sub_nc_u16 v165, v165, v176
	v_sub_nc_u16 v177, v168, v177
	ds_load_2addr_b32 v[168:169], v172 offset0:2 offset1:3
	v_lshlrev_b16 v165, 8, v165
	s_delay_alu instid0(VALU_DEP_1) | instskip(SKIP_3) | instid1(VALU_DEP_1)
	v_bitop3_b16 v176, v177, v165, 0xff bitop3:0xec
	v_sub_nc_u16 v165, v167, v175
	ds_load_2addr_b32 v[166:167], v237 offset0:2 offset1:3
	v_lshlrev_b16 v175, 8, v165
	v_perm_b32 v175, v175, v175, 0xc0c0c01
	s_wait_dscnt 0x1
	v_dual_ashrrev_i32 v168, s19, v168 :: v_dual_ashrrev_i32 v169, s19, v169
	s_delay_alu instid0(VALU_DEP_1) | instskip(SKIP_2) | instid1(VALU_DEP_2)
	v_dual_lshlrev_b32 v168, 2, v168 :: v_dual_lshlrev_b32 v169, 2, v169
	s_wait_dscnt 0x0
	v_ashrrev_i32_e32 v165, s20, v166
	v_and_b32_e32 v168, 0x4040404, v168
	s_delay_alu instid0(VALU_DEP_3) | instskip(NEXT) | instid1(VALU_DEP_3)
	v_and_b32_e32 v169, 0x4040404, v169
	v_and_b32_e32 v166, 0x3030303, v165
	v_bfe_u32 v165, v165, 24, 2
	s_delay_alu instid0(VALU_DEP_4) | instskip(SKIP_1) | instid1(VALU_DEP_4)
	v_dual_lshrrev_b32 v182, 24, v168 :: v_dual_lshrrev_b32 v183, 16, v168
	v_lshrrev_b16 v181, 8, v168
	v_lshrrev_b32_e32 v180, 16, v166
	v_lshrrev_b16 v179, 8, v166
	s_delay_alu instid0(VALU_DEP_4) | instskip(SKIP_1) | instid1(VALU_DEP_4)
	v_sub_nc_u16 v165, v165, v182
	v_lshrrev_b32_e32 v182, 16, v169
	v_sub_nc_u16 v226, v180, v183
	v_sub_nc_u16 v180, v166, v168
	s_delay_alu instid0(VALU_DEP_4) | instskip(NEXT) | instid1(VALU_DEP_1)
	v_lshlrev_b16 v165, 8, v165
	v_bitop3_b16 v227, v226, v165, 0xff bitop3:0xec
	v_sub_nc_u16 v165, v179, v181
	v_lshrrev_b32_e32 v181, 24, v169
	v_lshrrev_b16 v179, 8, v169
	s_delay_alu instid0(VALU_DEP_3) | instskip(SKIP_1) | instid1(VALU_DEP_1)
	v_lshlrev_b16 v228, 8, v165
	v_ashrrev_i32_e32 v165, s20, v167
	v_and_b32_e32 v166, 0x3030303, v165
	v_bfe_u32 v165, v165, 24, 2
	s_delay_alu instid0(VALU_DEP_2) | instskip(SKIP_1) | instid1(VALU_DEP_3)
	v_lshrrev_b32_e32 v168, 16, v166
	v_lshrrev_b16 v167, 8, v166
	v_sub_nc_u16 v165, v165, v181
	v_sub_nc_u16 v181, v166, v169
	s_delay_alu instid0(VALU_DEP_4) | instskip(SKIP_2) | instid1(VALU_DEP_1)
	v_sub_nc_u16 v229, v168, v182
	ds_load_2addr_b32 v[168:169], v172 offset0:4 offset1:5
	v_lshlrev_b16 v165, 8, v165
	v_bitop3_b16 v230, v229, v165, 0xff bitop3:0xec
	v_sub_nc_u16 v165, v167, v179
	ds_load_2addr_b32 v[166:167], v237 offset0:4 offset1:5
	v_lshlrev_b16 v231, 8, v165
	s_wait_dscnt 0x1
	v_dual_ashrrev_i32 v168, s19, v168 :: v_dual_ashrrev_i32 v169, s19, v169
	s_delay_alu instid0(VALU_DEP_1) | instskip(SKIP_2) | instid1(VALU_DEP_2)
	v_dual_lshlrev_b32 v168, 2, v168 :: v_dual_lshlrev_b32 v169, 2, v169
	s_wait_dscnt 0x0
	v_ashrrev_i32_e32 v165, s20, v166
	v_and_b32_e32 v168, 0x4040404, v168
	s_delay_alu instid0(VALU_DEP_3) | instskip(NEXT) | instid1(VALU_DEP_3)
	v_and_b32_e32 v169, 0x4040404, v169
	v_and_b32_e32 v166, 0x3030303, v165
	v_bfe_u32 v165, v165, 24, 2
	s_delay_alu instid0(VALU_DEP_4) | instskip(SKIP_1) | instid1(VALU_DEP_4)
	v_dual_lshrrev_b32 v184, 24, v168 :: v_dual_lshrrev_b32 v185, 16, v168
	v_lshrrev_b16 v183, 8, v168
	v_lshrrev_b32_e32 v182, 16, v166
	v_lshrrev_b16 v179, 8, v166
	s_delay_alu instid0(VALU_DEP_4) | instskip(SKIP_1) | instid1(VALU_DEP_4)
	v_sub_nc_u16 v165, v165, v184
	v_dual_lshrrev_b32 v186, 24, v169 :: v_dual_lshrrev_b32 v187, 16, v169
	v_sub_nc_u16 v182, v182, v185
	v_lshrrev_b16 v185, 8, v169
	s_delay_alu instid0(VALU_DEP_4) | instskip(NEXT) | instid1(VALU_DEP_1)
	v_lshlrev_b16 v165, 8, v165
	v_bitop3_b16 v184, v182, v165, 0xff bitop3:0xec
	v_sub_nc_u16 v165, v179, v183
	v_sub_nc_u16 v183, v166, v168
	s_delay_alu instid0(VALU_DEP_2) | instskip(SKIP_1) | instid1(VALU_DEP_1)
	v_lshlrev_b16 v179, 8, v165
	v_ashrrev_i32_e32 v165, s20, v167
	v_and_b32_e32 v166, 0x3030303, v165
	v_bfe_u32 v165, v165, 24, 2
	s_delay_alu instid0(VALU_DEP_2) | instskip(SKIP_2) | instid1(VALU_DEP_4)
	v_lshrrev_b32_e32 v168, 16, v166
	v_lshrrev_b16 v167, 8, v166
	v_sub_nc_u16 v188, v166, v169
	v_sub_nc_u16 v165, v165, v186
	s_delay_alu instid0(VALU_DEP_4) | instskip(SKIP_2) | instid1(VALU_DEP_1)
	v_sub_nc_u16 v187, v168, v187
	ds_load_2addr_b32 v[168:169], v172 offset0:6 offset1:7
	v_lshlrev_b16 v165, 8, v165
	v_bitop3_b16 v186, v187, v165, 0xff bitop3:0xec
	v_sub_nc_u16 v165, v167, v185
	ds_load_2addr_b32 v[166:167], v237 offset0:6 offset1:7
	v_lshlrev_b16 v185, 8, v165
	s_delay_alu instid0(VALU_DEP_1) | instskip(SKIP_2) | instid1(VALU_DEP_1)
	v_perm_b32 v185, v185, v185, 0xc0c0c01
	s_wait_dscnt 0x1
	v_dual_ashrrev_i32 v168, s19, v168 :: v_dual_ashrrev_i32 v169, s19, v169
	v_dual_lshlrev_b32 v168, 2, v168 :: v_dual_lshlrev_b32 v169, 2, v169
	s_wait_dscnt 0x0
	v_ashrrev_i32_e32 v165, s20, v166
	s_delay_alu instid0(VALU_DEP_2) | instskip(NEXT) | instid1(VALU_DEP_3)
	v_and_b32_e32 v168, 0x4040404, v168
	v_and_b32_e32 v169, 0x4040404, v169
	s_delay_alu instid0(VALU_DEP_3) | instskip(SKIP_1) | instid1(VALU_DEP_4)
	v_and_b32_e32 v166, 0x3030303, v165
	v_bfe_u32 v165, v165, 24, 2
	v_dual_lshrrev_b32 v191, 24, v168 :: v_dual_lshrrev_b32 v192, 16, v168
	v_lshrrev_b16 v172, 8, v168
	s_delay_alu instid0(VALU_DEP_4) | instskip(SKIP_1) | instid1(VALU_DEP_4)
	v_lshrrev_b32_e32 v190, 16, v166
	v_lshrrev_b16 v189, 8, v166
	v_sub_nc_u16 v165, v165, v191
	v_lshrrev_b32_e32 v191, 16, v169
	s_delay_alu instid0(VALU_DEP_4) | instskip(SKIP_1) | instid1(VALU_DEP_4)
	v_sub_nc_u16 v239, v190, v192
	v_sub_nc_u16 v190, v166, v168
	v_lshlrev_b16 v165, 8, v165
	s_delay_alu instid0(VALU_DEP_1) | instskip(SKIP_3) | instid1(VALU_DEP_3)
	v_bitop3_b16 v240, v239, v165, 0xff bitop3:0xec
	v_sub_nc_u16 v165, v189, v172
	v_lshrrev_b32_e32 v189, 24, v169
	v_lshrrev_b16 v172, 8, v169
	v_lshlrev_b16 v241, 8, v165
	v_ashrrev_i32_e32 v165, s20, v167
	s_delay_alu instid0(VALU_DEP_1) | instskip(SKIP_1) | instid1(VALU_DEP_2)
	v_and_b32_e32 v166, 0x3030303, v165
	v_bfe_u32 v165, v165, 24, 2
	v_lshrrev_b32_e32 v168, 16, v166
	v_lshrrev_b16 v167, 8, v166
	s_delay_alu instid0(VALU_DEP_3)
	v_sub_nc_u16 v165, v165, v189
	v_sub_nc_u16 v189, v166, v169
	v_bfe_i32 v166, v173, 0, 8
	v_sub_nc_u16 v242, v168, v191
	v_add_nc_u32_e32 v191, s22, v23
	v_lshlrev_b16 v165, 8, v165
	s_delay_alu instid0(VALU_DEP_4) | instskip(NEXT) | instid1(VALU_DEP_2)
	v_mul_i32_i24_e32 v168, v166, v224
	v_bitop3_b16 v243, v242, v165, 0xff bitop3:0xec
	v_sub_nc_u16 v165, v167, v172
	v_bfe_i32 v167, v170, 8, 8
	v_bfe_i32 v172, v231, 8, 8
	;; [unrolled: 1-line block ×3, first 2 shown]
	s_delay_alu instid0(VALU_DEP_4) | instskip(NEXT) | instid1(VALU_DEP_4)
	v_lshlrev_b16 v244, 8, v165
	v_mad_i32_i24 v169, v167, v225, v168
	v_perm_b32 v168, v174, v171, 0xc0c0500
	v_add3_u32 v165, s23, v163, v138
	v_bfe_i32 v171, v228, 8, 8
	s_delay_alu instid0(VALU_DEP_3)
	v_dot4_i32_iu8 v0, v168, v245, v169 neg_lo:[1,1,0]
	v_bfe_i32 v169, v180, 0, 8
	v_mul_i32_i24_e32 v180, v208, v172
	v_perm_b32 v172, v176, v177, 0xc05000c
	ds_load_b32 v165, v165
	v_mul_i32_i24_e32 v174, v206, v171
	v_bfe_i32 v171, v181, 0, 8
	v_mad_i32_i24 v0, v170, v222, v0
	v_or_b32_e32 v172, v172, v175
	v_mul_i32_i24_e32 v173, v218, v169
	v_bfe_i32 v175, v179, 8, 8
	v_mul_i32_i24_e32 v178, v207, v171
	v_bfe_i32 v179, v241, 8, 8
	v_dot4_i32_iu8 v0, v172, v209, v0 neg_lo:[1,1,0]
	s_delay_alu instid0(VALU_DEP_1)
	v_add3_u32 v0, v0, v173, v174
	v_perm_b32 v173, v227, v226, 0xc0c0500
	v_bfe_i32 v174, v183, 0, 8
	v_mul_i32_i24_e32 v183, v214, v179
	v_bfe_i32 v179, v189, 0, 8
	v_perm_b32 v226, v227, v226, 0xc05000c
	v_perm_b32 v227, v228, v228, 0xc0c0c01
	v_dot4_i32_iu8 v0, v210, v173, v0 neg_lo:[1,1,0]
	v_mul_i32_i24_e32 v176, v174, v219
	v_perm_b32 v173, v230, v229, 0xc0c0500
	s_delay_alu instid0(VALU_DEP_4)
	v_or_b32_e32 v228, v226, v227
	v_perm_b32 v227, v230, v229, 0xc05000c
	v_perm_b32 v229, v231, v231, 0xc0c0c01
	v_add3_u32 v0, v0, v178, v180
	v_mad_i32_i24 v177, v175, v220, v176
	v_perm_b32 v176, v184, v182, 0xc0c0500
	v_bfe_i32 v180, v244, 8, 8
	v_bfe_i32 v178, v188, 0, 8
	v_mul_i32_i24_e32 v184, v199, v179
	v_or_b32_e32 v229, v227, v229
	v_dot4_i32_iu8 v0, v211, v173, v0 neg_lo:[1,1,0]
	ds_load_u16 v173, v191
	v_dot4_i32_iu8 v4, v176, v246, v177 neg_lo:[1,1,0]
	v_mul_i32_i24_e32 v188, v217, v180
	v_perm_b32 v180, v186, v187, 0xc05000c
	v_bfe_i32 v177, v190, 0, 8
	s_delay_alu instid0(VALU_DEP_4) | instskip(NEXT) | instid1(VALU_DEP_3)
	v_mad_i32_i24 v4, v178, v215, v4
	v_or_b32_e32 v180, v180, v185
	s_delay_alu instid0(VALU_DEP_3) | instskip(NEXT) | instid1(VALU_DEP_2)
	v_mul_i32_i24_e32 v182, v114, v177
	v_dot4_i32_iu8 v4, v180, v221, v4 neg_lo:[1,1,0]
	s_delay_alu instid0(VALU_DEP_1) | instskip(SKIP_4) | instid1(VALU_DEP_3)
	v_add3_u32 v4, v4, v182, v183
	v_perm_b32 v182, v240, v239, 0xc0c0500
	s_wait_dscnt 0x0
	v_lshrrev_b16 v181, 8, v173
	v_bfe_i32 v173, v173, 0, 8
	v_dot4_i32_iu8 v4, v232, v182, v4 neg_lo:[1,1,0]
	v_perm_b32 v182, v243, v242, 0xc0c0500
	s_delay_alu instid0(VALU_DEP_3) | instskip(SKIP_1) | instid1(VALU_DEP_4)
	v_mul_lo_u32 v0, v0, v173
	v_bfe_i32 v181, v181, 0, 8
	v_add3_u32 v4, v4, v184, v188
	v_add3_u32 v188, s21, v139, v130
	s_delay_alu instid0(VALU_DEP_2) | instskip(SKIP_3) | instid1(VALU_DEP_2)
	v_dot4_i32_iu8 v4, v233, v182, v4 neg_lo:[1,1,0]
	ds_load_2addr_b32 v[184:185], v188 offset1:1
	v_mad_u32 v0, v4, v181, v0
	v_mul_f32_e32 v4, v115, v165
	v_cvt_f32_i32_e32 v0, v0
	s_delay_alu instid0(VALU_DEP_1)
	v_mul_f32_e32 v4, v4, v0
	v_add_nc_u32_e32 v0, 0x1080, v237
	s_wait_dscnt 0x0
	v_ashrrev_i32_e32 v185, s19, v185
	ds_load_2addr_b32 v[182:183], v0 offset1:1
	v_dual_ashrrev_i32 v184, s19, v184 :: v_dual_lshlrev_b32 v185, 2, v185
	s_delay_alu instid0(VALU_DEP_1) | instskip(NEXT) | instid1(VALU_DEP_2)
	v_lshlrev_b32_e32 v184, 2, v184
	v_and_b32_e32 v185, 0x4040404, v185
	s_delay_alu instid0(VALU_DEP_2) | instskip(NEXT) | instid1(VALU_DEP_2)
	v_and_b32_e32 v184, 0x4040404, v184
	v_dual_lshrrev_b32 v192, 24, v185 :: v_dual_lshrrev_b32 v193, 16, v185
	s_delay_alu instid0(VALU_DEP_2) | instskip(SKIP_3) | instid1(VALU_DEP_1)
	v_lshrrev_b16 v189, 8, v184
	v_dual_lshrrev_b32 v190, 24, v184 :: v_dual_lshrrev_b32 v191, 16, v184
	s_wait_dscnt 0x0
	v_ashrrev_i32_e32 v0, s20, v182
	v_and_b32_e32 v182, 0x3030303, v0
	v_bfe_u32 v0, v0, 24, 2
	s_delay_alu instid0(VALU_DEP_2) | instskip(SKIP_1) | instid1(VALU_DEP_3)
	v_lshrrev_b16 v186, 8, v182
	v_lshrrev_b32_e32 v187, 16, v182
	v_sub_nc_u16 v0, v0, v190
	s_delay_alu instid0(VALU_DEP_3)
	v_sub_nc_u16 v186, v186, v189
	v_sub_nc_u16 v189, v182, v184
	v_ashrrev_i32_e32 v182, s20, v183
	v_sub_nc_u16 v187, v187, v191
	v_lshrrev_b16 v191, 8, v185
	v_lshlrev_b16 v0, 8, v0
	v_lshlrev_b16 v186, 8, v186
	v_and_b32_e32 v183, 0x3030303, v182
	v_bfe_u32 v182, v182, 24, 2
	s_delay_alu instid0(VALU_DEP_4) | instskip(NEXT) | instid1(VALU_DEP_3)
	v_bitop3_b16 v0, v187, v0, 0xff bitop3:0xec
	v_lshrrev_b32_e32 v190, 16, v183
	s_delay_alu instid0(VALU_DEP_3) | instskip(SKIP_1) | instid1(VALU_DEP_3)
	v_sub_nc_u16 v182, v182, v192
	v_lshrrev_b16 v184, 8, v183
	v_sub_nc_u16 v190, v190, v193
	s_delay_alu instid0(VALU_DEP_3) | instskip(SKIP_1) | instid1(VALU_DEP_2)
	v_lshlrev_b16 v182, 8, v182
	v_sub_nc_u16 v193, v183, v185
	v_bitop3_b16 v192, v190, v182, 0xff bitop3:0xec
	v_sub_nc_u16 v182, v184, v191
	ds_load_2addr_b32 v[184:185], v188 offset0:2 offset1:3
	v_lshlrev_b16 v191, 8, v182
	v_add_nc_u32_e32 v182, 0x1088, v237
	ds_load_2addr_b32 v[182:183], v182 offset1:1
	s_wait_dscnt 0x1
	v_dual_ashrrev_i32 v184, s19, v184 :: v_dual_ashrrev_i32 v185, s19, v185
	s_delay_alu instid0(VALU_DEP_1) | instskip(SKIP_2) | instid1(VALU_DEP_2)
	v_dual_lshlrev_b32 v184, 2, v184 :: v_dual_lshlrev_b32 v185, 2, v185
	s_wait_dscnt 0x0
	v_ashrrev_i32_e32 v182, s20, v182
	v_and_b32_e32 v184, 0x4040404, v184
	s_delay_alu instid0(VALU_DEP_3) | instskip(NEXT) | instid1(VALU_DEP_3)
	v_and_b32_e32 v185, 0x4040404, v185
	v_and_b32_e32 v194, 0x3030303, v182
	v_bfe_u32 v182, v182, 24, 2
	s_delay_alu instid0(VALU_DEP_4) | instskip(SKIP_1) | instid1(VALU_DEP_4)
	v_dual_lshrrev_b32 v198, 24, v184 :: v_dual_lshrrev_b32 v200, 16, v184
	v_lshrrev_b16 v197, 8, v184
	v_lshrrev_b32_e32 v196, 16, v194
	v_lshrrev_b16 v195, 8, v194
	v_sub_nc_u16 v194, v194, v184
	v_sub_nc_u16 v182, v182, v198
	v_lshrrev_b32_e32 v198, 16, v185
	v_sub_nc_u16 v247, v196, v200
	v_lshrrev_b16 v196, 8, v185
	s_delay_alu instid0(VALU_DEP_4) | instskip(NEXT) | instid1(VALU_DEP_1)
	v_lshlrev_b16 v182, 8, v182
	v_bitop3_b16 v248, v247, v182, 0xff bitop3:0xec
	v_sub_nc_u16 v182, v195, v197
	v_lshrrev_b32_e32 v197, 24, v185
	s_delay_alu instid0(VALU_DEP_2) | instskip(SKIP_1) | instid1(VALU_DEP_1)
	v_lshlrev_b16 v249, 8, v182
	v_ashrrev_i32_e32 v182, s20, v183
	v_and_b32_e32 v183, 0x3030303, v182
	v_bfe_u32 v182, v182, 24, 2
	s_delay_alu instid0(VALU_DEP_2) | instskip(NEXT) | instid1(VALU_DEP_2)
	v_lshrrev_b32_e32 v195, 16, v183
	v_sub_nc_u16 v182, v182, v197
	v_lshrrev_b16 v184, 8, v183
	s_delay_alu instid0(VALU_DEP_3) | instskip(NEXT) | instid1(VALU_DEP_3)
	v_sub_nc_u16 v250, v195, v198
	v_lshlrev_b16 v182, 8, v182
	v_sub_nc_u16 v195, v183, v185
	s_delay_alu instid0(VALU_DEP_2)
	v_bitop3_b16 v251, v250, v182, 0xff bitop3:0xec
	v_sub_nc_u16 v182, v184, v196
	ds_load_2addr_b32 v[184:185], v188 offset0:4 offset1:5
	v_lshlrev_b16 v252, 8, v182
	v_add_nc_u32_e32 v182, 0x1090, v237
	ds_load_2addr_b32 v[182:183], v182 offset1:1
	s_wait_dscnt 0x1
	v_dual_ashrrev_i32 v184, s19, v184 :: v_dual_ashrrev_i32 v185, s19, v185
	s_delay_alu instid0(VALU_DEP_1) | instskip(SKIP_2) | instid1(VALU_DEP_2)
	v_dual_lshlrev_b32 v184, 2, v184 :: v_dual_lshlrev_b32 v185, 2, v185
	s_wait_dscnt 0x0
	v_ashrrev_i32_e32 v182, s20, v182
	v_and_b32_e32 v184, 0x4040404, v184
	s_delay_alu instid0(VALU_DEP_3) | instskip(NEXT) | instid1(VALU_DEP_3)
	v_and_b32_e32 v185, 0x4040404, v185
	v_and_b32_e32 v196, 0x3030303, v182
	v_bfe_u32 v182, v182, 24, 2
	s_delay_alu instid0(VALU_DEP_4) | instskip(SKIP_1) | instid1(VALU_DEP_4)
	v_dual_lshrrev_b32 v201, 24, v184 :: v_dual_lshrrev_b32 v202, 16, v184
	v_lshrrev_b16 v200, 8, v184
	v_lshrrev_b32_e32 v198, 16, v196
	v_lshrrev_b16 v197, 8, v196
	v_dual_lshrrev_b32 v203, 24, v185 :: v_dual_lshrrev_b32 v204, 16, v185
	v_sub_nc_u16 v196, v196, v184
	v_sub_nc_u16 v182, v182, v201
	;; [unrolled: 1-line block ×3, first 2 shown]
	v_lshrrev_b16 v202, 8, v185
	s_delay_alu instid0(VALU_DEP_3) | instskip(NEXT) | instid1(VALU_DEP_1)
	v_lshlrev_b16 v182, 8, v182
	v_bitop3_b16 v201, v198, v182, 0xff bitop3:0xec
	v_sub_nc_u16 v182, v197, v200
	s_delay_alu instid0(VALU_DEP_1) | instskip(SKIP_1) | instid1(VALU_DEP_1)
	v_lshlrev_b16 v197, 8, v182
	v_ashrrev_i32_e32 v182, s20, v183
	v_and_b32_e32 v183, 0x3030303, v182
	v_bfe_u32 v182, v182, 24, 2
	s_delay_alu instid0(VALU_DEP_2) | instskip(NEXT) | instid1(VALU_DEP_2)
	v_lshrrev_b32_e32 v200, 16, v183
	v_sub_nc_u16 v182, v182, v203
	v_lshrrev_b16 v184, 8, v183
	s_delay_alu instid0(VALU_DEP_3) | instskip(NEXT) | instid1(VALU_DEP_3)
	v_sub_nc_u16 v200, v200, v204
	v_lshlrev_b16 v182, 8, v182
	v_sub_nc_u16 v204, v183, v185
	s_delay_alu instid0(VALU_DEP_2)
	v_bitop3_b16 v203, v200, v182, 0xff bitop3:0xec
	v_sub_nc_u16 v182, v184, v202
	ds_load_2addr_b32 v[184:185], v188 offset0:6 offset1:7
	v_lshlrev_b16 v202, 8, v182
	v_add_nc_u32_e32 v182, 0x1098, v237
	ds_load_2addr_b32 v[182:183], v182 offset1:1
	s_wait_dscnt 0x1
	v_dual_ashrrev_i32 v184, s19, v184 :: v_dual_ashrrev_i32 v185, s19, v185
	s_delay_alu instid0(VALU_DEP_1) | instskip(SKIP_2) | instid1(VALU_DEP_2)
	v_dual_lshlrev_b32 v184, 2, v184 :: v_dual_lshlrev_b32 v185, 2, v185
	s_wait_dscnt 0x0
	v_ashrrev_i32_e32 v182, s20, v182
	v_and_b32_e32 v185, 0x4040404, v185
	s_delay_alu instid0(VALU_DEP_3) | instskip(NEXT) | instid1(VALU_DEP_3)
	v_and_b32_e32 v184, 0x4040404, v184
	v_and_b32_e32 v205, 0x3030303, v182
	v_bfe_u32 v182, v182, 24, 2
	s_delay_alu instid0(VALU_DEP_3) | instskip(SKIP_1) | instid1(VALU_DEP_4)
	v_dual_lshrrev_b32 v234, 24, v184 :: v_dual_lshrrev_b32 v235, 16, v184
	v_lshrrev_b16 v188, 8, v184
	v_lshrrev_b32_e32 v213, 16, v205
	v_lshrrev_b16 v212, 8, v205
	v_sub_nc_u16 v205, v205, v184
	v_sub_nc_u16 v182, v182, v234
	v_lshrrev_b32_e32 v234, 16, v185
	v_sub_nc_u16 v253, v213, v235
	v_lshrrev_b32_e32 v213, 24, v185
	s_delay_alu instid0(VALU_DEP_4) | instskip(NEXT) | instid1(VALU_DEP_1)
	v_lshlrev_b16 v182, 8, v182
	v_bitop3_b16 v254, v253, v182, 0xff bitop3:0xec
	v_sub_nc_u16 v182, v212, v188
	v_lshrrev_b16 v212, 8, v185
	s_delay_alu instid0(VALU_DEP_2) | instskip(SKIP_1) | instid1(VALU_DEP_1)
	v_lshlrev_b16 v255, 8, v182
	v_ashrrev_i32_e32 v182, s20, v183
	v_and_b32_e32 v183, 0x3030303, v182
	s_delay_alu instid0(VALU_DEP_1) | instskip(SKIP_3) | instid1(VALU_DEP_3)
	v_lshrrev_b32_e32 v188, 16, v183
	v_bfe_u32 v182, v182, 24, 2
	v_lshrrev_b16 v184, 8, v183
	s_set_vgpr_msb 64                       ;  msbs: dst=1 src0=0 src1=0 src2=0
	v_sub_nc_u16 v0 /*v256*/, v188, v234
	s_set_vgpr_msb 0                        ;  msbs: dst=0 src0=0 src1=0 src2=0
	v_sub_nc_u16 v182, v182, v213
	v_sub_nc_u16 v213, v183, v185
	v_bfe_i32 v183, v189, 0, 8
	v_bfe_i32 v189, v252, 8, 8
	;; [unrolled: 1-line block ×3, first 2 shown]
	v_lshlrev_b16 v182, 8, v182
	s_delay_alu instid0(VALU_DEP_4) | instskip(NEXT) | instid1(VALU_DEP_4)
	v_mul_i32_i24_e32 v185, v183, v224
	v_mul_i32_i24_e32 v234, v208, v189
	v_perm_b32 v189, v192, v190, 0xc05000c
	v_perm_b32 v190, v191, v191, 0xc0c0c01
	v_bfe_i32 v191, v196, 0, 8
	v_bfe_i32 v192, v197, 8, 8
	;; [unrolled: 1-line block ×3, first 2 shown]
	s_set_vgpr_msb 0x41                     ;  msbs: dst=1 src0=1 src1=0 src2=0
	v_bitop3_b16 v1 /*v257*/, v0 /*v256*/, v182, 0xff bitop3:0xec
	s_set_vgpr_msb 0                        ;  msbs: dst=0 src0=0 src1=0 src2=0
	v_sub_nc_u16 v182, v184, v212
	v_bfe_i32 v184, v186, 8, 8
	v_or_b32_e32 v189, v189, v190
	v_perm_b32 v190, v248, v247, 0xc0c0500
	s_set_vgpr_msb 64                       ;  msbs: dst=1 src0=0 src1=0 src2=0
	v_lshlrev_b16 v2 /*v258*/, 8, v182
	s_set_vgpr_msb 0                        ;  msbs: dst=0 src0=0 src1=0 src2=0
	v_mad_i32_i24 v186, v184, v225, v185
	v_perm_b32 v185, v0, v187, 0xc0c0500
	v_bfe_i32 v187, v194, 0, 8
	v_mul_i32_i24_e32 v194, v206, v188
	v_bfe_i32 v188, v195, 0, 8
	v_add3_u32 v182, s23, v140, v131
	v_dot4_i32_iu8 v0, v185, v245, v186 neg_lo:[1,1,0]
	v_bfe_i32 v186, v193, 0, 8
	v_mul_i32_i24_e32 v193, v218, v187
	v_mul_i32_i24_e32 v195, v207, v188
	ds_load_b32 v182, v182
	v_add_nc_u32_e32 v212, s22, v25
	v_mad_i32_i24 v0, v186, v222, v0
	s_delay_alu instid0(VALU_DEP_1) | instskip(NEXT) | instid1(VALU_DEP_1)
	v_dot4_i32_iu8 v0, v189, v209, v0 neg_lo:[1,1,0]
	v_add3_u32 v0, v0, v193, v194
	v_mul_i32_i24_e32 v193, v191, v219
	s_delay_alu instid0(VALU_DEP_2) | instskip(NEXT) | instid1(VALU_DEP_2)
	v_dot4_i32_iu8 v0, v210, v190, v0 neg_lo:[1,1,0]
	v_mad_i32_i24 v194, v192, v220, v193
	v_perm_b32 v193, v201, v198, 0xc0c0500
	v_perm_b32 v190, v251, v250, 0xc0c0500
	v_mul_i32_i24_e32 v201, v214, v196
	v_bfe_i32 v196, v213, 0, 8
	v_add3_u32 v0, v0, v195, v234
	v_dot4_i32_iu8 v197, v193, v246, v194 neg_lo:[1,1,0]
	v_bfe_i32 v194, v204, 0, 8
	v_bfe_i32 v195, v205, 0, 8
	s_set_vgpr_msb 1                        ;  msbs: dst=0 src0=1 src1=0 src2=0
	v_bfe_i32 v204, v2 /*v258*/, 8, 8
	s_set_vgpr_msb 0                        ;  msbs: dst=0 src0=0 src1=0 src2=0
	v_mul_i32_i24_e32 v205, v199, v196
	v_dot4_i32_iu8 v0, v211, v190, v0 neg_lo:[1,1,0]
	ds_load_u16 v190, v212
	v_mad_i32_i24 v213, v194, v215, v197
	v_perm_b32 v197, v203, v200, 0xc05000c
	v_perm_b32 v200, v202, v202, 0xc0c0c01
	v_mul_i32_i24_e32 v198, v114, v195
	v_mul_i32_i24_e32 v204, v217, v204
	s_delay_alu instid0(VALU_DEP_3) | instskip(NEXT) | instid1(VALU_DEP_1)
	v_or_b32_e32 v197, v197, v200
	v_dot4_i32_iu8 v200, v197, v221, v213 neg_lo:[1,1,0]
	s_delay_alu instid0(VALU_DEP_1) | instskip(SKIP_4) | instid1(VALU_DEP_3)
	v_add3_u32 v198, v200, v198, v201
	v_perm_b32 v200, v254, v253, 0xc0c0500
	s_wait_dscnt 0x0
	v_lshrrev_b16 v212, 8, v190
	v_bfe_i32 v190, v190, 0, 8
	v_dot4_i32_iu8 v198, v232, v200, v198 neg_lo:[1,1,0]
	s_set_vgpr_msb 5                        ;  msbs: dst=0 src0=1 src1=1 src2=0
	v_perm_b32 v200, v1 /*v257*/, v0 /*v256*/, 0xc0c0500
	s_set_vgpr_msb 0                        ;  msbs: dst=0 src0=0 src1=0 src2=0
	v_mul_lo_u32 v0, v0, v190
	v_add3_u32 v198, v198, v205, v204
	s_delay_alu instid0(VALU_DEP_1) | instskip(SKIP_2) | instid1(VALU_DEP_2)
	v_dot4_i32_iu8 v200, v233, v200, v198 neg_lo:[1,1,0]
	v_bfe_i32 v198, v212, 0, 8
	v_add3_u32 v212, s21, v141, v132
	v_mad_u32 v0, v200, v198, v0
	v_mul_f32_e32 v200, v115, v182
	ds_load_2addr_b32 v[202:203], v212 offset1:1
	v_cvt_f32_i32_e32 v0, v0
	s_delay_alu instid0(VALU_DEP_1) | instskip(SKIP_4) | instid1(VALU_DEP_1)
	v_mul_f32_e32 v236, v200, v0
	v_add_nc_u32_e32 v0, 0x2100, v237
	ds_load_2addr_b32 v[200:201], v0 offset1:1
	s_wait_dscnt 0x1
	v_dual_ashrrev_i32 v202, s19, v202 :: v_dual_ashrrev_i32 v203, s19, v203
	v_dual_lshlrev_b32 v202, 2, v202 :: v_dual_lshlrev_b32 v203, 2, v203
	s_delay_alu instid0(VALU_DEP_1) | instskip(NEXT) | instid1(VALU_DEP_2)
	v_and_b32_e32 v202, 0x4040404, v202
	v_and_b32_e32 v203, 0x4040404, v203
	s_delay_alu instid0(VALU_DEP_2) | instskip(SKIP_2) | instid1(VALU_DEP_3)
	v_lshrrev_b16 v213, 8, v202
	v_dual_lshrrev_b32 v234, 24, v202 :: v_dual_lshrrev_b32 v235, 16, v202
	s_wait_dscnt 0x0
	v_dual_lshrrev_b32 v238, 24, v203 :: v_dual_ashrrev_i32 v0, s20, v200
	s_set_vgpr_msb 64                       ;  msbs: dst=1 src0=0 src1=0 src2=0
	v_lshrrev_b32_e32 v3 /*v259*/, 16, v203
	s_set_vgpr_msb 0                        ;  msbs: dst=0 src0=0 src1=0 src2=0
	s_delay_alu instid0(VALU_DEP_2) | instskip(NEXT) | instid1(VALU_DEP_1)
	v_and_b32_e32 v200, 0x3030303, v0
	v_lshrrev_b16 v204, 8, v200
	v_lshrrev_b32_e32 v205, 16, v200
	v_bfe_u32 v0, v0, 24, 2
	s_delay_alu instid0(VALU_DEP_3) | instskip(SKIP_2) | instid1(VALU_DEP_4)
	v_sub_nc_u16 v204, v204, v213
	v_sub_nc_u16 v213, v200, v202
	v_ashrrev_i32_e32 v200, s20, v201
	v_sub_nc_u16 v0, v0, v234
	v_sub_nc_u16 v205, v205, v235
	v_lshrrev_b16 v235, 8, v203
	v_lshlrev_b16 v204, 8, v204
	v_and_b32_e32 v201, 0x3030303, v200
	v_bfe_u32 v200, v200, 24, 2
	v_lshlrev_b16 v0, 8, v0
	s_delay_alu instid0(VALU_DEP_3) | instskip(SKIP_1) | instid1(VALU_DEP_3)
	v_lshrrev_b32_e32 v234, 16, v201
	v_lshrrev_b16 v202, 8, v201
	v_bitop3_b16 v0, v205, v0, 0xff bitop3:0xec
	v_sub_nc_u16 v200, v200, v238
	s_set_vgpr_msb 4                        ;  msbs: dst=0 src0=0 src1=1 src2=0
	v_sub_nc_u16 v234, v234, v3 /*v259*/
	s_set_vgpr_msb 64                       ;  msbs: dst=1 src0=0 src1=0 src2=0
	v_sub_nc_u16 v3 /*v259*/, v201, v203
	s_set_vgpr_msb 0                        ;  msbs: dst=0 src0=0 src1=0 src2=0
	v_lshlrev_b16 v200, 8, v200
	s_delay_alu instid0(VALU_DEP_1)
	v_bitop3_b16 v238, v234, v200, 0xff bitop3:0xec
	v_sub_nc_u16 v200, v202, v235
	ds_load_2addr_b32 v[202:203], v212 offset0:2 offset1:3
	v_lshlrev_b16 v235, 8, v200
	v_add_nc_u32_e32 v200, 0x2108, v237
	ds_load_2addr_b32 v[200:201], v200 offset1:1
	s_wait_dscnt 0x1
	v_dual_ashrrev_i32 v202, s19, v202 :: v_dual_ashrrev_i32 v203, s19, v203
	s_delay_alu instid0(VALU_DEP_1) | instskip(SKIP_2) | instid1(VALU_DEP_2)
	v_dual_lshlrev_b32 v202, 2, v202 :: v_dual_lshlrev_b32 v203, 2, v203
	s_wait_dscnt 0x0
	v_ashrrev_i32_e32 v200, s20, v200
	v_and_b32_e32 v202, 0x4040404, v202
	s_delay_alu instid0(VALU_DEP_3) | instskip(SKIP_1) | instid1(VALU_DEP_3)
	v_and_b32_e32 v203, 0x4040404, v203
	s_set_vgpr_msb 64                       ;  msbs: dst=1 src0=0 src1=0 src2=0
	v_and_b32_e32 v4 /*v260*/, 0x3030303, v200
	s_set_vgpr_msb 0                        ;  msbs: dst=0 src0=0 src1=0 src2=0
	v_bfe_u32 v200, v200, 24, 2
	s_set_vgpr_msb 64                       ;  msbs: dst=1 src0=0 src1=0 src2=0
	v_dual_lshrrev_b32 v8 /*v264*/, 24, v202 :: v_dual_lshrrev_b32 v9 /*v265*/, 16, v202
	v_lshrrev_b16 v7 /*v263*/, 8, v202
	s_set_vgpr_msb 0x44                     ;  msbs: dst=1 src0=0 src1=1 src2=0
	v_lshrrev_b32_e32 v6 /*v262*/, 16, v4 /*v260*/
	v_lshrrev_b16 v5 /*v261*/, 8, v4 /*v260*/
	s_set_vgpr_msb 0x41                     ;  msbs: dst=1 src0=1 src1=0 src2=0
	v_dual_lshrrev_b32 v10 /*v266*/, 24, v203 :: v_dual_lshrrev_b32 v11 /*v267*/, 16, v203
	v_sub_nc_u16 v4 /*v260*/, v4 /*v260*/, v202
	s_set_vgpr_msb 4                        ;  msbs: dst=0 src0=0 src1=1 src2=0
	v_sub_nc_u16 v200, v200, v8 /*v264*/
	s_set_vgpr_msb 0x45                     ;  msbs: dst=1 src0=1 src1=1 src2=0
	v_sub_nc_u16 v6 /*v262*/, v6 /*v262*/, v9 /*v265*/
	s_set_vgpr_msb 64                       ;  msbs: dst=1 src0=0 src1=0 src2=0
	v_lshrrev_b16 v9 /*v265*/, 8, v203
	s_set_vgpr_msb 0                        ;  msbs: dst=0 src0=0 src1=0 src2=0
	v_lshlrev_b16 v200, 8, v200
	s_set_vgpr_msb 0x41                     ;  msbs: dst=1 src0=1 src1=0 src2=0
	s_delay_alu instid0(VALU_DEP_1) | instskip(SKIP_3) | instid1(VALU_DEP_1)
	v_bitop3_b16 v8 /*v264*/, v6 /*v262*/, v200, 0xff bitop3:0xec
	s_set_vgpr_msb 5                        ;  msbs: dst=0 src0=1 src1=1 src2=0
	v_sub_nc_u16 v200, v5 /*v261*/, v7 /*v263*/
	s_set_vgpr_msb 64                       ;  msbs: dst=1 src0=0 src1=0 src2=0
	v_lshlrev_b16 v5 /*v261*/, 8, v200
	s_set_vgpr_msb 0                        ;  msbs: dst=0 src0=0 src1=0 src2=0
	v_ashrrev_i32_e32 v200, s20, v201
	s_delay_alu instid0(VALU_DEP_1) | instskip(SKIP_2) | instid1(VALU_DEP_2)
	v_and_b32_e32 v201, 0x3030303, v200
	v_bfe_u32 v200, v200, 24, 2
	s_set_vgpr_msb 64                       ;  msbs: dst=1 src0=0 src1=0 src2=0
	v_lshrrev_b32_e32 v7 /*v263*/, 16, v201
	s_set_vgpr_msb 4                        ;  msbs: dst=0 src0=0 src1=1 src2=0
	s_delay_alu instid0(VALU_DEP_2)
	v_sub_nc_u16 v200, v200, v10 /*v266*/
	s_set_vgpr_msb 0                        ;  msbs: dst=0 src0=0 src1=0 src2=0
	v_lshrrev_b16 v202, 8, v201
	s_set_vgpr_msb 0x45                     ;  msbs: dst=1 src0=1 src1=1 src2=0
	v_sub_nc_u16 v7 /*v263*/, v7 /*v263*/, v11 /*v267*/
	s_set_vgpr_msb 0                        ;  msbs: dst=0 src0=0 src1=0 src2=0
	v_lshlrev_b16 v200, 8, v200
	s_set_vgpr_msb 64                       ;  msbs: dst=1 src0=0 src1=0 src2=0
	v_sub_nc_u16 v11 /*v267*/, v201, v203
	s_set_vgpr_msb 0x41                     ;  msbs: dst=1 src0=1 src1=0 src2=0
	s_delay_alu instid0(VALU_DEP_2)
	v_bitop3_b16 v10 /*v266*/, v7 /*v263*/, v200, 0xff bitop3:0xec
	s_set_vgpr_msb 4                        ;  msbs: dst=0 src0=0 src1=1 src2=0
	v_sub_nc_u16 v200, v202, v9 /*v265*/
	ds_load_2addr_b32 v[202:203], v212 offset0:4 offset1:5
	s_set_vgpr_msb 64                       ;  msbs: dst=1 src0=0 src1=0 src2=0
	v_lshlrev_b16 v9 /*v265*/, 8, v200
	s_set_vgpr_msb 0                        ;  msbs: dst=0 src0=0 src1=0 src2=0
	v_add_nc_u32_e32 v200, 0x2110, v237
	ds_load_2addr_b32 v[200:201], v200 offset1:1
	s_wait_dscnt 0x1
	v_dual_ashrrev_i32 v202, s19, v202 :: v_dual_ashrrev_i32 v203, s19, v203
	s_delay_alu instid0(VALU_DEP_1) | instskip(SKIP_2) | instid1(VALU_DEP_2)
	v_dual_lshlrev_b32 v202, 2, v202 :: v_dual_lshlrev_b32 v203, 2, v203
	s_wait_dscnt 0x0
	v_ashrrev_i32_e32 v200, s20, v200
	v_and_b32_e32 v202, 0x4040404, v202
	s_delay_alu instid0(VALU_DEP_3) | instskip(SKIP_1) | instid1(VALU_DEP_3)
	v_and_b32_e32 v203, 0x4040404, v203
	s_set_vgpr_msb 64                       ;  msbs: dst=1 src0=0 src1=0 src2=0
	v_and_b32_e32 v12 /*v268*/, 0x3030303, v200
	s_set_vgpr_msb 0                        ;  msbs: dst=0 src0=0 src1=0 src2=0
	v_bfe_u32 v200, v200, 24, 2
	s_set_vgpr_msb 64                       ;  msbs: dst=1 src0=0 src1=0 src2=0
	v_dual_lshrrev_b32 v16 /*v272*/, 24, v202 :: v_dual_lshrrev_b32 v17 /*v273*/, 16, v202
	v_lshrrev_b16 v15 /*v271*/, 8, v202
	s_set_vgpr_msb 0x44                     ;  msbs: dst=1 src0=0 src1=1 src2=0
	v_lshrrev_b32_e32 v14 /*v270*/, 16, v12 /*v268*/
	v_lshrrev_b16 v13 /*v269*/, 8, v12 /*v268*/
	s_set_vgpr_msb 0x41                     ;  msbs: dst=1 src0=1 src1=0 src2=0
	v_lshrrev_b32_e32 v19 /*v275*/, 16, v203
	v_sub_nc_u16 v12 /*v268*/, v12 /*v268*/, v202
	s_set_vgpr_msb 4                        ;  msbs: dst=0 src0=0 src1=1 src2=0
	v_sub_nc_u16 v200, v200, v16 /*v272*/
	s_set_vgpr_msb 0x45                     ;  msbs: dst=1 src0=1 src1=1 src2=0
	v_sub_nc_u16 v14 /*v270*/, v14 /*v270*/, v17 /*v273*/
	s_set_vgpr_msb 64                       ;  msbs: dst=1 src0=0 src1=0 src2=0
	v_lshrrev_b16 v17 /*v273*/, 8, v203
	v_lshrrev_b32_e32 v18 /*v274*/, 24, v203
	s_set_vgpr_msb 0                        ;  msbs: dst=0 src0=0 src1=0 src2=0
	v_lshlrev_b16 v200, 8, v200
	s_set_vgpr_msb 0x41                     ;  msbs: dst=1 src0=1 src1=0 src2=0
	s_delay_alu instid0(VALU_DEP_1) | instskip(SKIP_3) | instid1(VALU_DEP_1)
	v_bitop3_b16 v16 /*v272*/, v14 /*v270*/, v200, 0xff bitop3:0xec
	s_set_vgpr_msb 5                        ;  msbs: dst=0 src0=1 src1=1 src2=0
	v_sub_nc_u16 v200, v13 /*v269*/, v15 /*v271*/
	s_set_vgpr_msb 64                       ;  msbs: dst=1 src0=0 src1=0 src2=0
	v_lshlrev_b16 v13 /*v269*/, 8, v200
	s_set_vgpr_msb 0                        ;  msbs: dst=0 src0=0 src1=0 src2=0
	v_ashrrev_i32_e32 v200, s20, v201
	s_delay_alu instid0(VALU_DEP_1) | instskip(SKIP_2) | instid1(VALU_DEP_2)
	v_and_b32_e32 v201, 0x3030303, v200
	v_bfe_u32 v200, v200, 24, 2
	s_set_vgpr_msb 64                       ;  msbs: dst=1 src0=0 src1=0 src2=0
	v_lshrrev_b32_e32 v15 /*v271*/, 16, v201
	s_set_vgpr_msb 0                        ;  msbs: dst=0 src0=0 src1=0 src2=0
	v_lshrrev_b16 v202, 8, v201
	s_set_vgpr_msb 4                        ;  msbs: dst=0 src0=0 src1=1 src2=0
	v_sub_nc_u16 v200, v200, v18 /*v274*/
	s_set_vgpr_msb 0x45                     ;  msbs: dst=1 src0=1 src1=1 src2=0
	v_sub_nc_u16 v15 /*v271*/, v15 /*v271*/, v19 /*v275*/
	s_set_vgpr_msb 64                       ;  msbs: dst=1 src0=0 src1=0 src2=0
	v_sub_nc_u16 v19 /*v275*/, v201, v203
	s_set_vgpr_msb 0                        ;  msbs: dst=0 src0=0 src1=0 src2=0
	v_lshlrev_b16 v200, 8, v200
	s_set_vgpr_msb 0x41                     ;  msbs: dst=1 src0=1 src1=0 src2=0
	s_delay_alu instid0(VALU_DEP_1)
	v_bitop3_b16 v18 /*v274*/, v15 /*v271*/, v200, 0xff bitop3:0xec
	s_set_vgpr_msb 4                        ;  msbs: dst=0 src0=0 src1=1 src2=0
	v_sub_nc_u16 v200, v202, v17 /*v273*/
	ds_load_2addr_b32 v[202:203], v212 offset0:6 offset1:7
	s_set_vgpr_msb 64                       ;  msbs: dst=1 src0=0 src1=0 src2=0
	v_lshlrev_b16 v17 /*v273*/, 8, v200
	s_set_vgpr_msb 0                        ;  msbs: dst=0 src0=0 src1=0 src2=0
	v_add_nc_u32_e32 v200, 0x2118, v237
	ds_load_2addr_b32 v[200:201], v200 offset1:1
	s_wait_dscnt 0x1
	v_dual_ashrrev_i32 v202, s19, v202 :: v_dual_ashrrev_i32 v203, s19, v203
	s_delay_alu instid0(VALU_DEP_1) | instskip(SKIP_2) | instid1(VALU_DEP_2)
	v_dual_lshlrev_b32 v202, 2, v202 :: v_dual_lshlrev_b32 v203, 2, v203
	s_wait_dscnt 0x0
	v_ashrrev_i32_e32 v200, s20, v200
	v_and_b32_e32 v202, 0x4040404, v202
	s_delay_alu instid0(VALU_DEP_3) | instskip(SKIP_1) | instid1(VALU_DEP_3)
	v_and_b32_e32 v203, 0x4040404, v203
	s_set_vgpr_msb 64                       ;  msbs: dst=1 src0=0 src1=0 src2=0
	v_and_b32_e32 v20 /*v276*/, 0x3030303, v200
	s_set_vgpr_msb 0                        ;  msbs: dst=0 src0=0 src1=0 src2=0
	v_bfe_u32 v200, v200, 24, 2
	s_set_vgpr_msb 64                       ;  msbs: dst=1 src0=0 src1=0 src2=0
	v_dual_lshrrev_b32 v23 /*v279*/, 24, v202 :: v_dual_lshrrev_b32 v24 /*v280*/, 16, v202
	v_lshrrev_b32_e32 v25 /*v281*/, 24, v203
	s_set_vgpr_msb 0x44                     ;  msbs: dst=1 src0=0 src1=1 src2=0
	v_lshrrev_b32_e32 v22 /*v278*/, 16, v20 /*v276*/
	v_lshrrev_b16 v21 /*v277*/, 8, v20 /*v276*/
	s_set_vgpr_msb 0                        ;  msbs: dst=0 src0=0 src1=0 src2=0
	v_lshrrev_b16 v212, 8, v202
	s_set_vgpr_msb 0x41                     ;  msbs: dst=1 src0=1 src1=0 src2=0
	v_sub_nc_u16 v20 /*v276*/, v20 /*v276*/, v202
	v_lshrrev_b32_e32 v26 /*v282*/, 16, v203
	s_set_vgpr_msb 4                        ;  msbs: dst=0 src0=0 src1=1 src2=0
	v_sub_nc_u16 v200, v200, v23 /*v279*/
	s_set_vgpr_msb 0x45                     ;  msbs: dst=1 src0=1 src1=1 src2=0
	v_sub_nc_u16 v22 /*v278*/, v22 /*v278*/, v24 /*v280*/
	s_set_vgpr_msb 64                       ;  msbs: dst=1 src0=0 src1=0 src2=0
	v_lshrrev_b16 v24 /*v280*/, 8, v203
	s_set_vgpr_msb 0                        ;  msbs: dst=0 src0=0 src1=0 src2=0
	v_lshlrev_b16 v200, 8, v200
	s_set_vgpr_msb 0x41                     ;  msbs: dst=1 src0=1 src1=0 src2=0
	s_delay_alu instid0(VALU_DEP_1) | instskip(SKIP_3) | instid1(VALU_DEP_1)
	v_bitop3_b16 v23 /*v279*/, v22 /*v278*/, v200, 0xff bitop3:0xec
	s_set_vgpr_msb 1                        ;  msbs: dst=0 src0=1 src1=0 src2=0
	v_sub_nc_u16 v200, v21 /*v277*/, v212
	s_set_vgpr_msb 64                       ;  msbs: dst=1 src0=0 src1=0 src2=0
	v_lshlrev_b16 v21 /*v277*/, 8, v200
	s_set_vgpr_msb 0                        ;  msbs: dst=0 src0=0 src1=0 src2=0
	v_ashrrev_i32_e32 v200, s20, v201
	s_delay_alu instid0(VALU_DEP_1) | instskip(SKIP_1) | instid1(VALU_DEP_2)
	v_and_b32_e32 v201, 0x3030303, v200
	v_bfe_u32 v200, v200, 24, 2
	v_lshrrev_b16 v202, 8, v201
	v_lshrrev_b32_e32 v212, 16, v201
	s_set_vgpr_msb 64                       ;  msbs: dst=1 src0=0 src1=0 src2=0
	v_sub_nc_u16 v27 /*v283*/, v201, v203
	s_set_vgpr_msb 0                        ;  msbs: dst=0 src0=0 src1=0 src2=0
	v_bfe_i32 v201, v213, 0, 8
	s_set_vgpr_msb 1                        ;  msbs: dst=0 src0=1 src1=0 src2=0
	v_bfe_i32 v213, v5 /*v261*/, 8, 8
	s_set_vgpr_msb 4                        ;  msbs: dst=0 src0=0 src1=1 src2=0
	v_sub_nc_u16 v200, v200, v25 /*v281*/
	s_set_vgpr_msb 0                        ;  msbs: dst=0 src0=0 src1=0 src2=0
	v_mul_i32_i24_e32 v203, v201, v224
	v_mul_i32_i24_e32 v213, v206, v213
	s_set_vgpr_msb 1                        ;  msbs: dst=0 src0=1 src1=0 src2=0
	v_bfe_i32 v206, v11 /*v267*/, 0, 8
	v_lshlrev_b16 v200, 8, v200
	s_set_vgpr_msb 64                       ;  msbs: dst=1 src0=0 src1=0 src2=0
	s_delay_alu instid0(VALU_DEP_2)
	v_mul_i32_i24_e32 v11 /*v267*/, v207, v206
	s_set_vgpr_msb 0                        ;  msbs: dst=0 src0=0 src1=0 src2=0
	v_perm_b32 v207, v238, v234, 0xc05000c
	v_perm_b32 v234, v235, v235, 0xc0c0c01
	s_set_vgpr_msb 1                        ;  msbs: dst=0 src0=1 src1=0 src2=0
	v_bfe_i32 v238, v21 /*v277*/, 8, 8
	s_set_vgpr_msb 0                        ;  msbs: dst=0 src0=0 src1=0 src2=0
	s_delay_alu instid0(VALU_DEP_2)
	v_or_b32_e32 v207, v207, v234
	s_set_vgpr_msb 0x44                     ;  msbs: dst=1 src0=0 src1=1 src2=0
	v_sub_nc_u16 v26 /*v282*/, v212, v26 /*v282*/
	s_set_vgpr_msb 0                        ;  msbs: dst=0 src0=0 src1=0 src2=0
	v_add_nc_u32_e32 v212, s22, v27
	v_mul_i32_i24_e32 v238, v214, v238
	s_set_vgpr_msb 1                        ;  msbs: dst=0 src0=1 src1=0 src2=0
	v_bfe_i32 v214, v27 /*v283*/, 0, 8
	s_set_vgpr_msb 0x41                     ;  msbs: dst=1 src0=1 src1=0 src2=0
	v_bitop3_b16 v25 /*v281*/, v26 /*v282*/, v200, 0xff bitop3:0xec
	s_set_vgpr_msb 4                        ;  msbs: dst=0 src0=0 src1=1 src2=0
	v_sub_nc_u16 v200, v202, v24 /*v280*/
	v_bfe_i32 v202, v204, 8, 8
	s_set_vgpr_msb 64                       ;  msbs: dst=1 src0=0 src1=0 src2=0
	s_delay_alu instid0(VALU_DEP_2) | instskip(SKIP_1) | instid1(VALU_DEP_2)
	v_lshlrev_b16 v24 /*v280*/, 8, v200
	s_set_vgpr_msb 0                        ;  msbs: dst=0 src0=0 src1=0 src2=0
	v_mad_i32_i24 v204, v202, v225, v203
	v_perm_b32 v203, v0, v205, 0xc0c0500
	s_set_vgpr_msb 1                        ;  msbs: dst=0 src0=1 src1=0 src2=0
	v_bfe_i32 v205, v4 /*v260*/, 0, 8
	s_set_vgpr_msb 0x41                     ;  msbs: dst=1 src0=1 src1=0 src2=0
	v_bfe_i32 v4 /*v260*/, v9 /*v265*/, 8, 8
	s_set_vgpr_msb 0                        ;  msbs: dst=0 src0=0 src1=0 src2=0
	v_add3_u32 v200, s23, v142, v133
	v_dot4_i32_iu8 v0, v203, v245, v204 neg_lo:[1,1,0]
	s_set_vgpr_msb 1                        ;  msbs: dst=0 src0=1 src1=0 src2=0
	v_bfe_i32 v204, v3 /*v259*/, 0, 8
	s_set_vgpr_msb 64                       ;  msbs: dst=1 src0=0 src1=0 src2=0
	v_mul_i32_i24_e32 v3 /*v259*/, v218, v205
	s_set_vgpr_msb 4                        ;  msbs: dst=0 src0=0 src1=1 src2=0
	v_mul_i32_i24_e32 v208, v208, v4 /*v260*/
	ds_load_b32 v200, v200
	s_set_vgpr_msb 0x41                     ;  msbs: dst=1 src0=1 src1=0 src2=0
	v_bfe_i32 v4 /*v260*/, v24 /*v280*/, 8, 8
	s_set_vgpr_msb 0                        ;  msbs: dst=0 src0=0 src1=0 src2=0
	v_mad_i32_i24 v0, v204, v222, v0
	s_set_vgpr_msb 0x44                     ;  msbs: dst=1 src0=0 src1=1 src2=0
	s_delay_alu instid0(VALU_DEP_2)
	v_mul_i32_i24_e32 v4 /*v260*/, v217, v4 /*v260*/
	s_set_vgpr_msb 5                        ;  msbs: dst=0 src0=1 src1=1 src2=0
	v_perm_b32 v217, v18 /*v274*/, v15 /*v271*/, 0xc05000c
	s_set_vgpr_msb 0                        ;  msbs: dst=0 src0=0 src1=0 src2=0
	v_dot4_i32_iu8 v0, v207, v209, v0 neg_lo:[1,1,0]
	s_set_vgpr_msb 5                        ;  msbs: dst=0 src0=1 src1=1 src2=0
	v_perm_b32 v209, v8 /*v264*/, v6 /*v262*/, 0xc0c0500
	s_set_vgpr_msb 4                        ;  msbs: dst=0 src0=0 src1=1 src2=0
	s_delay_alu instid0(VALU_DEP_2) | instskip(SKIP_3) | instid1(VALU_DEP_2)
	v_add3_u32 v0, v0, v3 /*v259*/, v213
	s_set_vgpr_msb 1                        ;  msbs: dst=0 src0=1 src1=0 src2=0
	v_bfe_i32 v213, v20 /*v276*/, 0, 8
	s_set_vgpr_msb 0                        ;  msbs: dst=0 src0=0 src1=0 src2=0
	v_dot4_i32_iu8 v0, v210, v209, v0 neg_lo:[1,1,0]
	s_set_vgpr_msb 1                        ;  msbs: dst=0 src0=1 src1=0 src2=0
	v_bfe_i32 v209, v12 /*v268*/, 0, 8
	v_bfe_i32 v210, v13 /*v269*/, 8, 8
	s_set_vgpr_msb 0x45                     ;  msbs: dst=1 src0=1 src1=1 src2=0
	v_perm_b32 v12 /*v268*/, v17 /*v273*/, v17 /*v273*/, 0xc0c0c01
	s_set_vgpr_msb 64                       ;  msbs: dst=1 src0=0 src1=0 src2=0
	v_mul_i32_i24_e32 v3 /*v259*/, v114, v213
	s_set_vgpr_msb 4                        ;  msbs: dst=0 src0=0 src1=1 src2=0
	v_add3_u32 v0, v0, v11 /*v267*/, v208
	s_set_vgpr_msb 5                        ;  msbs: dst=0 src0=1 src1=1 src2=0
	v_perm_b32 v208, v10 /*v266*/, v7 /*v263*/, 0xc0c0500
	s_set_vgpr_msb 64                       ;  msbs: dst=1 src0=0 src1=0 src2=0
	v_mul_i32_i24_e32 v11 /*v267*/, v199, v214
	s_set_vgpr_msb 4                        ;  msbs: dst=0 src0=0 src1=1 src2=0
	v_or_b32_e32 v217, v217, v12 /*v268*/
	s_set_vgpr_msb 0                        ;  msbs: dst=0 src0=0 src1=0 src2=0
	v_dot4_i32_iu8 v0, v211, v208, v0 neg_lo:[1,1,0]
	v_mul_i32_i24_e32 v211, v209, v219
	ds_load_u16 v208, v212
	v_mad_i32_i24 v212, v210, v220, v211
	s_set_vgpr_msb 5                        ;  msbs: dst=0 src0=1 src1=1 src2=0
	v_perm_b32 v211, v16 /*v272*/, v14 /*v270*/, 0xc0c0500
	s_set_vgpr_msb 0                        ;  msbs: dst=0 src0=0 src1=0 src2=0
	s_delay_alu instid0(VALU_DEP_1) | instskip(SKIP_3) | instid1(VALU_DEP_1)
	v_dot4_i32_iu8 v235, v211, v246, v212 neg_lo:[1,1,0]
	s_set_vgpr_msb 1                        ;  msbs: dst=0 src0=1 src1=0 src2=0
	v_bfe_i32 v212, v19 /*v275*/, 0, 8
	s_set_vgpr_msb 0                        ;  msbs: dst=0 src0=0 src1=0 src2=0
	v_mad_i32_i24 v235, v212, v215, v235
	s_wait_dscnt 0x0
	v_lshrrev_b16 v234, 8, v208
	s_delay_alu instid0(VALU_DEP_2)
	v_dot4_i32_iu8 v221, v217, v221, v235 neg_lo:[1,1,0]
	s_set_vgpr_msb 5                        ;  msbs: dst=0 src0=1 src1=1 src2=0
	v_perm_b32 v235, v23 /*v279*/, v22 /*v278*/, 0xc0c0500
	s_set_vgpr_msb 4                        ;  msbs: dst=0 src0=0 src1=1 src2=0
	v_bfe_i32 v208, v208, 0, 8
	v_add3_u32 v221, v221, v3 /*v259*/, v238
	s_set_vgpr_msb 0                        ;  msbs: dst=0 src0=0 src1=0 src2=0
	s_delay_alu instid0(VALU_DEP_2) | instskip(NEXT) | instid1(VALU_DEP_2)
	v_mul_lo_u32 v0, v0, v208
	v_dot4_i32_iu8 v221, v232, v235, v221 neg_lo:[1,1,0]
	s_set_vgpr_msb 5                        ;  msbs: dst=0 src0=1 src1=1 src2=0
	v_perm_b32 v232, v25 /*v281*/, v26 /*v282*/, 0xc0c0500
	s_set_vgpr_msb 20                       ;  msbs: dst=0 src0=0 src1=1 src2=1
	s_delay_alu instid0(VALU_DEP_2) | instskip(SKIP_3) | instid1(VALU_DEP_2)
	v_add3_u32 v221, v221, v11 /*v267*/, v4 /*v260*/
	s_set_vgpr_msb 64                       ;  msbs: dst=1 src0=0 src1=0 src2=0
	v_add3_u32 v11 /*v267*/, s21, v143, v134
	s_set_vgpr_msb 0                        ;  msbs: dst=0 src0=0 src1=0 src2=0
	v_dot4_i32_iu8 v232, v233, v232, v221 neg_lo:[1,1,0]
	v_bfe_i32 v221, v234, 0, 8
	s_set_vgpr_msb 1                        ;  msbs: dst=0 src0=1 src1=0 src2=0
	ds_load_2addr_b32 v[234:235], v11 /*v267*/ offset1:1
	s_set_vgpr_msb 0                        ;  msbs: dst=0 src0=0 src1=0 src2=0
	v_mad_u32 v0, v232, v221, v0
	v_mul_f32_e32 v232, v115, v200
	s_delay_alu instid0(VALU_DEP_2) | instskip(NEXT) | instid1(VALU_DEP_1)
	v_cvt_f32_i32_e32 v0, v0
	v_mul_f32_e32 v238, v232, v0
	v_add_nc_u32_e32 v0, 0x3180, v237
	s_wait_dscnt 0x0
	v_ashrrev_i32_e32 v235, s19, v235
	ds_load_2addr_b32 v[232:233], v0 offset1:1
	v_dual_ashrrev_i32 v234, s19, v234 :: v_dual_lshlrev_b32 v235, 2, v235
	s_delay_alu instid0(VALU_DEP_1) | instskip(NEXT) | instid1(VALU_DEP_2)
	v_lshlrev_b32_e32 v234, 2, v234
	v_and_b32_e32 v235, 0x4040404, v235
	s_delay_alu instid0(VALU_DEP_2) | instskip(SKIP_1) | instid1(VALU_DEP_2)
	v_and_b32_e32 v234, 0x4040404, v234
	s_set_vgpr_msb 64                       ;  msbs: dst=1 src0=0 src1=0 src2=0
	v_dual_lshrrev_b32 v15 /*v271*/, 24, v235 :: v_dual_lshrrev_b32 v16 /*v272*/, 16, v235
	s_delay_alu instid0(VALU_DEP_2) | instskip(SKIP_4) | instid1(VALU_DEP_1)
	v_dual_lshrrev_b32 v13 /*v269*/, 24, v234 :: v_dual_lshrrev_b32 v14 /*v270*/, 16, v234
	v_lshrrev_b16 v12 /*v268*/, 8, v234
	s_wait_dscnt 0x0
	s_set_vgpr_msb 0                        ;  msbs: dst=0 src0=0 src1=0 src2=0
	v_ashrrev_i32_e32 v0, s20, v232
	v_and_b32_e32 v232, 0x3030303, v0
	v_bfe_u32 v0, v0, 24, 2
	s_set_vgpr_msb 64                       ;  msbs: dst=1 src0=0 src1=0 src2=0
	s_delay_alu instid0(VALU_DEP_2) | instskip(SKIP_1) | instid1(VALU_DEP_2)
	v_lshrrev_b32_e32 v4 /*v260*/, 16, v232
	s_set_vgpr_msb 4                        ;  msbs: dst=0 src0=0 src1=1 src2=0
	v_sub_nc_u16 v0, v0, v13 /*v269*/
	s_set_vgpr_msb 64                       ;  msbs: dst=1 src0=0 src1=0 src2=0
	v_lshrrev_b16 v3 /*v259*/, 8, v232
	s_set_vgpr_msb 0x45                     ;  msbs: dst=1 src0=1 src1=1 src2=0
	v_sub_nc_u16 v4 /*v260*/, v4 /*v260*/, v14 /*v270*/
	s_set_vgpr_msb 0                        ;  msbs: dst=0 src0=0 src1=0 src2=0
	v_lshlrev_b16 v0, 8, v0
	s_set_vgpr_msb 64                       ;  msbs: dst=1 src0=0 src1=0 src2=0
	v_sub_nc_u16 v14 /*v270*/, v232, v234
	s_set_vgpr_msb 0x41                     ;  msbs: dst=1 src0=1 src1=0 src2=0
	s_delay_alu instid0(VALU_DEP_2)
	v_bitop3_b16 v13 /*v269*/, v4 /*v260*/, v0, 0xff bitop3:0xec
	s_set_vgpr_msb 5                        ;  msbs: dst=0 src0=1 src1=1 src2=0
	v_sub_nc_u16 v0, v3 /*v259*/, v12 /*v268*/
	s_set_vgpr_msb 0x41                     ;  msbs: dst=1 src0=1 src1=0 src2=0
	v_lshrrev_b16 v12 /*v268*/, 8, v235
	v_bfe_i32 v14 /*v270*/, v14 /*v270*/, 0, 8
	s_set_vgpr_msb 0x45                     ;  msbs: dst=1 src0=1 src1=1 src2=0
	v_perm_b32 v4 /*v260*/, v13 /*v269*/, v4 /*v260*/, 0xc0c0500
	s_set_vgpr_msb 64                       ;  msbs: dst=1 src0=0 src1=0 src2=0
	v_lshlrev_b16 v3 /*v259*/, 8, v0
	s_set_vgpr_msb 0                        ;  msbs: dst=0 src0=0 src1=0 src2=0
	v_ashrrev_i32_e32 v0, s20, v233
	s_set_vgpr_msb 4                        ;  msbs: dst=0 src0=0 src1=1 src2=0
	v_mul_i32_i24_e32 v224, v224, v14 /*v270*/
	s_set_vgpr_msb 0x41                     ;  msbs: dst=1 src0=1 src1=0 src2=0
	v_bfe_i32 v3 /*v259*/, v3 /*v259*/, 8, 8
	s_set_vgpr_msb 0                        ;  msbs: dst=0 src0=0 src1=0 src2=0
	v_and_b32_e32 v232, 0x3030303, v0
	v_bfe_u32 v0, v0, 24, 2
	s_set_vgpr_msb 4                        ;  msbs: dst=0 src0=0 src1=1 src2=0
	v_mad_i32_i24 v224, v225, v3 /*v259*/, v224
	s_set_vgpr_msb 0                        ;  msbs: dst=0 src0=0 src1=0 src2=0
	v_lshrrev_b32_e32 v234, 16, v232
	v_lshrrev_b16 v233, 8, v232
	s_set_vgpr_msb 64                       ;  msbs: dst=1 src0=0 src1=0 src2=0
	v_sub_nc_u16 v17 /*v273*/, v232, v235
	s_set_vgpr_msb 4                        ;  msbs: dst=0 src0=0 src1=1 src2=0
	v_sub_nc_u16 v0, v0, v15 /*v271*/
	v_dot4_i32_iu8 v224, v245, v4 /*v260*/, v224 neg_lo:[1,1,0]
	s_set_vgpr_msb 0x44                     ;  msbs: dst=1 src0=0 src1=1 src2=0
	v_sub_nc_u16 v16 /*v272*/, v234, v16 /*v272*/
	s_set_vgpr_msb 1                        ;  msbs: dst=0 src0=1 src1=0 src2=0
	ds_load_2addr_b32 v[234:235], v11 /*v267*/ offset0:2 offset1:3
	v_bfe_i32 v245, v17 /*v273*/, 0, 8
	v_lshlrev_b16 v0, 8, v0
	s_set_vgpr_msb 0                        ;  msbs: dst=0 src0=0 src1=0 src2=0
	s_delay_alu instid0(VALU_DEP_2) | instskip(SKIP_1) | instid1(VALU_DEP_2)
	v_mul_i32_i24_e32 v222, v222, v245
	s_set_vgpr_msb 0x41                     ;  msbs: dst=1 src0=1 src1=0 src2=0
	v_bitop3_b16 v15 /*v271*/, v16 /*v272*/, v0, 0xff bitop3:0xec
	s_set_vgpr_msb 4                        ;  msbs: dst=0 src0=0 src1=1 src2=0
	v_sub_nc_u16 v0, v233, v12 /*v268*/
	s_set_vgpr_msb 64                       ;  msbs: dst=1 src0=0 src1=0 src2=0
	s_delay_alu instid0(VALU_DEP_1) | instskip(SKIP_2) | instid1(VALU_DEP_2)
	v_lshlrev_b16 v12 /*v268*/, 8, v0
	s_set_vgpr_msb 1                        ;  msbs: dst=0 src0=1 src1=0 src2=0
	v_add_nc_u32_e32 v0, 0x3188, v237
	v_bfe_i32 v225, v12 /*v268*/, 8, 8
	s_set_vgpr_msb 0                        ;  msbs: dst=0 src0=0 src1=0 src2=0
	ds_load_2addr_b32 v[232:233], v0 offset1:1
	s_wait_dscnt 0x1
	v_dual_ashrrev_i32 v234, s19, v234 :: v_dual_ashrrev_i32 v235, s19, v235
	v_mul_i32_i24_e32 v223, v223, v225
	s_delay_alu instid0(VALU_DEP_2) | instskip(NEXT) | instid1(VALU_DEP_2)
	v_dual_lshlrev_b32 v234, 2, v234 :: v_dual_lshlrev_b32 v235, 2, v235
	v_add3_u32 v222, v224, v222, v223
	s_set_vgpr_msb 5                        ;  msbs: dst=0 src0=1 src1=1 src2=0
	v_perm_b32 v223, v15 /*v271*/, v16 /*v272*/, 0xc0c0500
	s_set_vgpr_msb 0                        ;  msbs: dst=0 src0=0 src1=0 src2=0
	v_and_b32_e32 v234, 0x4040404, v234
	v_and_b32_e32 v235, 0x4040404, v235
	s_delay_alu instid0(VALU_DEP_3) | instskip(SKIP_1) | instid1(VALU_DEP_3)
	v_dot4_i32_iu8 v1, v1, v223, v222 neg_lo:[1,1,0]
	s_set_vgpr_msb 64                       ;  msbs: dst=1 src0=0 src1=0 src2=0
	v_dual_lshrrev_b32 v27 /*v283*/, 24, v234 :: v_dual_lshrrev_b32 v28 /*v284*/, 16, v234
	s_delay_alu instid0(VALU_DEP_3)
	v_lshrrev_b32_e32 v29 /*v285*/, 16, v235
	v_lshrrev_b16 v20 /*v276*/, 8, v234
	s_wait_dscnt 0x0
	s_set_vgpr_msb 0                        ;  msbs: dst=0 src0=0 src1=0 src2=0
	v_ashrrev_i32_e32 v0, s20, v232
	s_set_vgpr_msb 64                       ;  msbs: dst=1 src0=0 src1=0 src2=0
	v_lshrrev_b16 v30 /*v286*/, 8, v235
	s_set_vgpr_msb 0                        ;  msbs: dst=0 src0=0 src1=0 src2=0
	s_delay_alu instid0(VALU_DEP_2) | instskip(SKIP_2) | instid1(VALU_DEP_2)
	v_and_b32_e32 v232, 0x3030303, v0
	v_bfe_u32 v0, v0, 24, 2
	s_set_vgpr_msb 64                       ;  msbs: dst=1 src0=0 src1=0 src2=0
	v_lshrrev_b32_e32 v19 /*v275*/, 16, v232
	v_lshrrev_b16 v18 /*v274*/, 8, v232
	s_set_vgpr_msb 4                        ;  msbs: dst=0 src0=0 src1=1 src2=0
	v_sub_nc_u16 v0, v0, v27 /*v283*/
	s_set_vgpr_msb 0x45                     ;  msbs: dst=1 src0=1 src1=1 src2=0
	v_sub_nc_u16 v19 /*v275*/, v19 /*v275*/, v28 /*v284*/
	s_set_vgpr_msb 64                       ;  msbs: dst=1 src0=0 src1=0 src2=0
	v_lshrrev_b32_e32 v28 /*v284*/, 24, v235
	s_set_vgpr_msb 0                        ;  msbs: dst=0 src0=0 src1=0 src2=0
	v_lshlrev_b16 v0, 8, v0
	s_set_vgpr_msb 0x41                     ;  msbs: dst=1 src0=1 src1=0 src2=0
	s_delay_alu instid0(VALU_DEP_1) | instskip(SKIP_4) | instid1(VALU_DEP_2)
	v_bitop3_b16 v27 /*v283*/, v19 /*v275*/, v0, 0xff bitop3:0xec
	s_set_vgpr_msb 5                        ;  msbs: dst=0 src0=1 src1=1 src2=0
	v_sub_nc_u16 v0, v18 /*v274*/, v20 /*v276*/
	s_set_vgpr_msb 64                       ;  msbs: dst=1 src0=0 src1=0 src2=0
	v_sub_nc_u16 v20 /*v276*/, v232, v234
	v_lshlrev_b16 v18 /*v274*/, 8, v0
	s_set_vgpr_msb 0                        ;  msbs: dst=0 src0=0 src1=0 src2=0
	v_ashrrev_i32_e32 v0, s20, v233
	s_set_vgpr_msb 0x41                     ;  msbs: dst=1 src0=1 src1=0 src2=0
	v_bfe_i32 v13 /*v269*/, v20 /*v276*/, 0, 8
	s_set_vgpr_msb 0                        ;  msbs: dst=0 src0=0 src1=0 src2=0
	s_delay_alu instid0(VALU_DEP_2) | instskip(SKIP_3) | instid1(VALU_DEP_2)
	v_bfe_u32 v232, v0, 24, 2
	v_and_b32_e32 v0, 0x3030303, v0
	s_set_vgpr_msb 1                        ;  msbs: dst=0 src0=1 src1=0 src2=0
	v_mad_i32_i24 v1, v13 /*v269*/, v218, v1
	v_lshrrev_b16 v234, 8, v0
	v_lshrrev_b32_e32 v233, 16, v0
	s_set_vgpr_msb 64                       ;  msbs: dst=1 src0=0 src1=0 src2=0
	v_sub_nc_u16 v31 /*v287*/, v0, v235
	s_set_vgpr_msb 4                        ;  msbs: dst=0 src0=0 src1=1 src2=0
	v_sub_nc_u16 v0, v234, v30 /*v286*/
	s_set_vgpr_msb 0x44                     ;  msbs: dst=1 src0=0 src1=1 src2=0
	v_sub_nc_u16 v29 /*v285*/, v233, v29 /*v285*/
	s_set_vgpr_msb 1                        ;  msbs: dst=0 src0=1 src1=0 src2=0
	ds_load_2addr_b32 v[234:235], v11 /*v267*/ offset0:4 offset1:5
	v_lshlrev_b16 v0, 8, v0
	s_set_vgpr_msb 0x41                     ;  msbs: dst=1 src0=1 src1=0 src2=0
	s_delay_alu instid0(VALU_DEP_1) | instskip(SKIP_3) | instid1(VALU_DEP_1)
	v_bitop3_b16 v30 /*v286*/, v31 /*v287*/, v0, 0xff bitop3:0xec
	s_set_vgpr_msb 4                        ;  msbs: dst=0 src0=0 src1=1 src2=0
	v_sub_nc_u16 v0, v232, v28 /*v284*/
	s_set_vgpr_msb 0                        ;  msbs: dst=0 src0=0 src1=0 src2=0
	v_lshlrev_b16 v0, 8, v0
	s_set_vgpr_msb 0x41                     ;  msbs: dst=1 src0=1 src1=0 src2=0
	s_delay_alu instid0(VALU_DEP_1)
	v_bitop3_b16 v28 /*v284*/, v29 /*v285*/, v0, 0xff bitop3:0xec
	s_set_vgpr_msb 0                        ;  msbs: dst=0 src0=0 src1=0 src2=0
	v_add_nc_u32_e32 v0, 0x3190, v237
	s_wait_dscnt 0x0
	v_dual_ashrrev_i32 v234, s19, v234 :: v_dual_ashrrev_i32 v235, s19, v235
	ds_load_2addr_b32 v[232:233], v0 offset1:1
	v_dual_lshlrev_b32 v234, 2, v234 :: v_dual_lshlrev_b32 v235, 2, v235
	s_delay_alu instid0(VALU_DEP_1) | instskip(NEXT) | instid1(VALU_DEP_2)
	v_and_b32_e32 v234, 0x4040404, v234
	v_and_b32_e32 v235, 0x4040404, v235
	s_set_vgpr_msb 64                       ;  msbs: dst=1 src0=0 src1=0 src2=0
	s_delay_alu instid0(VALU_DEP_2) | instskip(SKIP_1) | instid1(VALU_DEP_3)
	v_dual_lshrrev_b32 v35 /*v291*/, 24, v234 :: v_dual_lshrrev_b32 v36 /*v292*/, 16, v234
	v_lshrrev_b16 v34 /*v290*/, 8, v234
	v_dual_lshrrev_b32 v37 /*v293*/, 24, v235 :: v_dual_lshrrev_b32 v38 /*v294*/, 16, v235
	s_wait_dscnt 0x0
	s_set_vgpr_msb 0                        ;  msbs: dst=0 src0=0 src1=0 src2=0
	v_ashrrev_i32_e32 v0, s20, v232
	s_delay_alu instid0(VALU_DEP_1) | instskip(SKIP_2) | instid1(VALU_DEP_2)
	v_and_b32_e32 v232, 0x3030303, v0
	v_bfe_u32 v0, v0, 24, 2
	s_set_vgpr_msb 64                       ;  msbs: dst=1 src0=0 src1=0 src2=0
	v_lshrrev_b32_e32 v33 /*v289*/, 16, v232
	v_lshrrev_b16 v32 /*v288*/, 8, v232
	s_set_vgpr_msb 4                        ;  msbs: dst=0 src0=0 src1=1 src2=0
	v_sub_nc_u16 v0, v0, v35 /*v291*/
	s_set_vgpr_msb 0x45                     ;  msbs: dst=1 src0=1 src1=1 src2=0
	v_sub_nc_u16 v33 /*v289*/, v33 /*v289*/, v36 /*v292*/
	s_set_vgpr_msb 64                       ;  msbs: dst=1 src0=0 src1=0 src2=0
	v_sub_nc_u16 v36 /*v292*/, v232, v234
	s_set_vgpr_msb 0                        ;  msbs: dst=0 src0=0 src1=0 src2=0
	v_lshlrev_b16 v0, 8, v0
	s_set_vgpr_msb 0x41                     ;  msbs: dst=1 src0=1 src1=0 src2=0
	s_delay_alu instid0(VALU_DEP_2) | instskip(NEXT) | instid1(VALU_DEP_2)
	v_bfe_i32 v20 /*v276*/, v36 /*v292*/, 0, 8
	v_bitop3_b16 v35 /*v291*/, v33 /*v289*/, v0, 0xff bitop3:0xec
	s_set_vgpr_msb 5                        ;  msbs: dst=0 src0=1 src1=1 src2=0
	v_sub_nc_u16 v0, v32 /*v288*/, v34 /*v290*/
	s_set_vgpr_msb 64                       ;  msbs: dst=1 src0=0 src1=0 src2=0
	v_lshrrev_b16 v34 /*v290*/, 8, v235
	s_set_vgpr_msb 4                        ;  msbs: dst=0 src0=0 src1=1 src2=0
	v_mul_i32_i24_e32 v218, v219, v20 /*v276*/
	s_set_vgpr_msb 64                       ;  msbs: dst=1 src0=0 src1=0 src2=0
	v_lshlrev_b16 v32 /*v288*/, 8, v0
	s_set_vgpr_msb 0                        ;  msbs: dst=0 src0=0 src1=0 src2=0
	v_ashrrev_i32_e32 v0, s20, v233
	s_set_vgpr_msb 0x41                     ;  msbs: dst=1 src0=1 src1=0 src2=0
	s_delay_alu instid0(VALU_DEP_2) | instskip(SKIP_1) | instid1(VALU_DEP_2)
	v_bfe_i32 v17 /*v273*/, v32 /*v288*/, 8, 8
	s_set_vgpr_msb 0                        ;  msbs: dst=0 src0=0 src1=0 src2=0
	v_and_b32_e32 v232, 0x3030303, v0
	s_set_vgpr_msb 4                        ;  msbs: dst=0 src0=0 src1=1 src2=0
	s_delay_alu instid0(VALU_DEP_2) | instskip(SKIP_1) | instid1(VALU_DEP_2)
	v_mad_i32_i24 v218, v220, v17 /*v273*/, v218
	s_set_vgpr_msb 0                        ;  msbs: dst=0 src0=0 src1=0 src2=0
	v_lshrrev_b32_e32 v234, 16, v232
	v_bfe_u32 v0, v0, 24, 2
	v_lshrrev_b16 v233, 8, v232
	s_set_vgpr_msb 64                       ;  msbs: dst=1 src0=0 src1=0 src2=0
	v_sub_nc_u16 v39 /*v295*/, v232, v235
	s_set_vgpr_msb 5                        ;  msbs: dst=0 src0=1 src1=1 src2=0
	v_perm_b32 v220, v35 /*v291*/, v33 /*v289*/, 0xc0c0500
	s_set_vgpr_msb 0x44                     ;  msbs: dst=1 src0=0 src1=1 src2=0
	v_sub_nc_u16 v38 /*v294*/, v234, v38 /*v294*/
	s_set_vgpr_msb 4                        ;  msbs: dst=0 src0=0 src1=1 src2=0
	v_sub_nc_u16 v0, v0, v37 /*v293*/
	s_set_vgpr_msb 1                        ;  msbs: dst=0 src0=1 src1=0 src2=0
	ds_load_2addr_b32 v[234:235], v11 /*v267*/ offset0:6 offset1:7
	s_set_vgpr_msb 0                        ;  msbs: dst=0 src0=0 src1=0 src2=0
	v_dot4_i32_iu8 v218, v246, v220, v218 neg_lo:[1,1,0]
	s_set_vgpr_msb 1                        ;  msbs: dst=0 src0=1 src1=0 src2=0
	v_bfe_i32 v246, v39 /*v295*/, 0, 8
	v_lshlrev_b16 v0, 8, v0
	s_set_vgpr_msb 0                        ;  msbs: dst=0 src0=0 src1=0 src2=0
	s_delay_alu instid0(VALU_DEP_2) | instskip(SKIP_1) | instid1(VALU_DEP_2)
	v_mul_i32_i24_e32 v215, v215, v246
	s_set_vgpr_msb 0x41                     ;  msbs: dst=1 src0=1 src1=0 src2=0
	v_bitop3_b16 v37 /*v293*/, v38 /*v294*/, v0, 0xff bitop3:0xec
	s_set_vgpr_msb 4                        ;  msbs: dst=0 src0=0 src1=1 src2=0
	v_sub_nc_u16 v0, v233, v34 /*v290*/
	s_set_vgpr_msb 64                       ;  msbs: dst=1 src0=0 src1=0 src2=0
	s_delay_alu instid0(VALU_DEP_1) | instskip(SKIP_2) | instid1(VALU_DEP_2)
	v_lshlrev_b16 v34 /*v290*/, 8, v0
	s_set_vgpr_msb 1                        ;  msbs: dst=0 src0=1 src1=0 src2=0
	v_add_nc_u32_e32 v0, 0x3198, v237
	v_bfe_i32 v219, v34 /*v290*/, 8, 8
	s_set_vgpr_msb 0                        ;  msbs: dst=0 src0=0 src1=0 src2=0
	ds_load_2addr_b32 v[232:233], v0 offset1:1
	s_wait_dscnt 0x1
	v_dual_ashrrev_i32 v234, s19, v234 :: v_dual_ashrrev_i32 v235, s19, v235
	v_mul_i32_i24_e32 v216, v216, v219
	s_delay_alu instid0(VALU_DEP_2) | instskip(NEXT) | instid1(VALU_DEP_2)
	v_dual_lshlrev_b32 v234, 2, v234 :: v_dual_lshlrev_b32 v235, 2, v235
	v_add3_u32 v215, v218, v215, v216
	s_set_vgpr_msb 5                        ;  msbs: dst=0 src0=1 src1=1 src2=0
	v_perm_b32 v216, v37 /*v293*/, v38 /*v294*/, 0xc0c0500
	s_set_vgpr_msb 0                        ;  msbs: dst=0 src0=0 src1=0 src2=0
	v_and_b32_e32 v234, 0x4040404, v234
	v_and_b32_e32 v235, 0x4040404, v235
	s_delay_alu instid0(VALU_DEP_3) | instskip(SKIP_1) | instid1(VALU_DEP_3)
	v_dot4_i32_iu8 v5, v5, v216, v215 neg_lo:[1,1,0]
	s_set_vgpr_msb 64                       ;  msbs: dst=1 src0=0 src1=0 src2=0
	v_dual_lshrrev_b32 v41 /*v297*/, 24, v234 :: v_dual_lshrrev_b32 v42 /*v298*/, 16, v234
	s_delay_alu instid0(VALU_DEP_3)
	v_lshrrev_b32_e32 v43 /*v299*/, 24, v235
	v_lshrrev_b16 v11 /*v267*/, 8, v234
	s_wait_dscnt 0x0
	s_set_vgpr_msb 0                        ;  msbs: dst=0 src0=0 src1=0 src2=0
	v_ashrrev_i32_e32 v0, s20, v232
	s_set_vgpr_msb 64                       ;  msbs: dst=1 src0=0 src1=0 src2=0
	v_lshrrev_b32_e32 v44 /*v300*/, 16, v235
	s_set_vgpr_msb 0                        ;  msbs: dst=0 src0=0 src1=0 src2=0
	s_delay_alu instid0(VALU_DEP_2) | instskip(SKIP_2) | instid1(VALU_DEP_2)
	v_and_b32_e32 v232, 0x3030303, v0
	v_bfe_u32 v0, v0, 24, 2
	s_set_vgpr_msb 64                       ;  msbs: dst=1 src0=0 src1=0 src2=0
	v_lshrrev_b32_e32 v40 /*v296*/, 16, v232
	s_set_vgpr_msb 0                        ;  msbs: dst=0 src0=0 src1=0 src2=0
	v_lshrrev_b16 v237, 8, v232
	v_sub_nc_u16 v232, v232, v234
	s_set_vgpr_msb 4                        ;  msbs: dst=0 src0=0 src1=1 src2=0
	v_sub_nc_u16 v0, v0, v41 /*v297*/
	s_set_vgpr_msb 0x45                     ;  msbs: dst=1 src0=1 src1=1 src2=0
	v_sub_nc_u16 v40 /*v296*/, v40 /*v296*/, v42 /*v298*/
	s_set_vgpr_msb 64                       ;  msbs: dst=1 src0=0 src1=0 src2=0
	v_lshrrev_b16 v42 /*v298*/, 8, v235
	v_bfe_i32 v32 /*v288*/, v232, 0, 8
	s_set_vgpr_msb 1                        ;  msbs: dst=0 src0=1 src1=0 src2=0
	v_lshlrev_b16 v0, 8, v0
	s_delay_alu instid0(VALU_DEP_2) | instskip(SKIP_1) | instid1(VALU_DEP_2)
	v_mad_i32_i24 v215, v32 /*v288*/, v114, v5
	s_set_vgpr_msb 0x41                     ;  msbs: dst=1 src0=1 src1=0 src2=0
	v_bitop3_b16 v41 /*v297*/, v40 /*v296*/, v0, 0xff bitop3:0xec
	s_set_vgpr_msb 4                        ;  msbs: dst=0 src0=0 src1=1 src2=0
	v_sub_nc_u16 v0, v237, v11 /*v267*/
	s_set_vgpr_msb 0                        ;  msbs: dst=0 src0=0 src1=0 src2=0
	v_or_b32_e32 v5, s18, v123
	s_set_vgpr_msb 64                       ;  msbs: dst=1 src0=0 src1=0 src2=0
	s_delay_alu instid0(VALU_DEP_2) | instskip(SKIP_3) | instid1(VALU_DEP_2)
	v_lshlrev_b16 v11 /*v267*/, 8, v0
	s_set_vgpr_msb 0                        ;  msbs: dst=0 src0=0 src1=0 src2=0
	v_ashrrev_i32_e32 v0, s20, v233
	v_dual_lshlrev_b32 v216, 2, v5 :: v_dual_lshrrev_b32 v5, 1, v5
	v_and_b32_e32 v233, 0x3030303, v0
	v_bfe_u32 v0, v0, 24, 2
	s_delay_alu instid0(VALU_DEP_2) | instskip(SKIP_1) | instid1(VALU_DEP_2)
	v_lshrrev_b32_e32 v237, 16, v233
	s_set_vgpr_msb 4                        ;  msbs: dst=0 src0=0 src1=1 src2=0
	v_sub_nc_u16 v0, v0, v43 /*v299*/
	s_set_vgpr_msb 0                        ;  msbs: dst=0 src0=0 src1=0 src2=0
	v_lshrrev_b16 v234, 8, v233
	s_set_vgpr_msb 64                       ;  msbs: dst=1 src0=0 src1=0 src2=0
	v_sub_nc_u16 v45 /*v301*/, v233, v235
	s_set_vgpr_msb 0x44                     ;  msbs: dst=1 src0=0 src1=1 src2=0
	v_sub_nc_u16 v44 /*v300*/, v237, v44 /*v300*/
	s_set_vgpr_msb 0                        ;  msbs: dst=0 src0=0 src1=0 src2=0
	v_lshlrev_b16 v0, 8, v0
	v_perm_b32 v237, v244, v244, 0xc0c0c01
	s_set_vgpr_msb 0x41                     ;  msbs: dst=1 src0=1 src1=0 src2=0
	s_delay_alu instid0(VALU_DEP_2) | instskip(SKIP_3) | instid1(VALU_DEP_1)
	v_bitop3_b16 v43 /*v299*/, v44 /*v300*/, v0, 0xff bitop3:0xec
	s_set_vgpr_msb 4                        ;  msbs: dst=0 src0=0 src1=1 src2=0
	v_sub_nc_u16 v0, v234, v42 /*v298*/
	s_set_vgpr_msb 64                       ;  msbs: dst=1 src0=0 src1=0 src2=0
	v_lshlrev_b16 v42 /*v298*/, 8, v0
	s_set_vgpr_msb 0                        ;  msbs: dst=0 src0=0 src1=0 src2=0
	v_add3_u32 v0, s23, v144, v135
	ds_load_b32 v0, v0
	ds_load_b32 v114, v5 offset:38816
	ds_load_b128 v[222:225], v216 offset:25344
	ds_load_b128 v[232:235], v216 offset:25360
	s_wait_dscnt 0x1
	v_bfe_i32 v216, v222, 0, 8
	v_bfe_i32 v218, v222, 8, 8
	v_perm_b32 v222, v222, v222, 0xc0c0302
	v_bfe_i32 v219, v223, 0, 8
	v_perm_b32 v223, v223, v223, 0xc030201
	s_set_vgpr_msb 64                       ;  msbs: dst=1 src0=0 src1=0 src2=0
	v_bfe_i32 v33 /*v289*/, v224, 0, 8
	v_perm_b32 v50 /*v306*/, v224, v224, 0xc030201
	v_bfe_i32 v35 /*v291*/, v225, 0, 8
	s_set_vgpr_msb 0                        ;  msbs: dst=0 src0=0 src1=0 src2=0
	v_perm_b32 v226, v225, v225, 0xc030201
	s_wait_dscnt 0x0
	s_set_vgpr_msb 64                       ;  msbs: dst=1 src0=0 src1=0 src2=0
	v_bfe_i32 v36 /*v292*/, v232, 0, 8
	v_bfe_i32 v39 /*v295*/, v232, 8, 8
	s_set_vgpr_msb 0                        ;  msbs: dst=0 src0=0 src1=0 src2=0
	v_perm_b32 v230, v232, v232, 0xc0c0302
	s_set_vgpr_msb 64                       ;  msbs: dst=1 src0=0 src1=0 src2=0
	v_bfe_i32 v47 /*v303*/, v233, 0, 8
	s_set_vgpr_msb 0                        ;  msbs: dst=0 src0=0 src1=0 src2=0
	v_perm_b32 v231, v233, v233, 0xc030201
	s_set_vgpr_msb 64                       ;  msbs: dst=1 src0=0 src1=0 src2=0
	v_bfe_i32 v48 /*v304*/, v234, 0, 8
	s_set_vgpr_msb 0                        ;  msbs: dst=0 src0=0 src1=0 src2=0
	v_perm_b32 v232, v234, v234, 0xc030201
	v_perm_b32 v233, v240, v239, 0xc05000c
	;; [unrolled: 1-line block ×3, first 2 shown]
	s_set_vgpr_msb 64                       ;  msbs: dst=1 src0=0 src1=0 src2=0
	v_bfe_i32 v49 /*v305*/, v235, 0, 8
	s_set_vgpr_msb 5                        ;  msbs: dst=0 src0=1 src1=1 src2=0
	v_perm_b32 v239, v21 /*v277*/, v21 /*v277*/, 0xc0c0c01
	s_set_vgpr_msb 0                        ;  msbs: dst=0 src0=0 src1=0 src2=0
	v_mul_i32_i24_e32 v5, v216, v166
	s_set_vgpr_msb 1                        ;  msbs: dst=0 src0=1 src1=0 src2=0
	v_mul_i32_i24_e32 v227, v36 /*v292*/, v174
	s_set_vgpr_msb 0                        ;  msbs: dst=0 src0=0 src1=0 src2=0
	v_or_b32_e32 v233, v233, v234
	v_perm_b32 v234, v235, v235, 0xc030201
	v_perm_b32 v235, v243, v242, 0xc05000c
	v_mad_i32_i24 v5, v218, v167, v5
	s_set_vgpr_msb 1                        ;  msbs: dst=0 src0=1 src1=0 src2=0
	v_mad_i32_i24 v227, v39 /*v295*/, v175, v227
	s_set_vgpr_msb 0                        ;  msbs: dst=0 src0=0 src1=0 src2=0
	v_or_b32_e32 v235, v235, v237
	v_perm_b32 v237, v255, v255, 0xc0c0c01
	v_dot4_i32_iu8 v5, v222, v168, v5 neg_lo:[1,1,0]
	v_dot4_i32_iu8 v227, v230, v176, v227 neg_lo:[1,1,0]
	s_delay_alu instid0(VALU_DEP_2) | instskip(SKIP_1) | instid1(VALU_DEP_2)
	v_mad_i32_i24 v5, v219, v170, v5
	s_set_vgpr_msb 1                        ;  msbs: dst=0 src0=1 src1=0 src2=0
	v_mad_i32_i24 v227, v47 /*v303*/, v178, v227
	s_set_vgpr_msb 0                        ;  msbs: dst=0 src0=0 src1=0 src2=0
	s_delay_alu instid0(VALU_DEP_2) | instskip(NEXT) | instid1(VALU_DEP_2)
	v_dot4_i32_iu8 v5, v223, v172, v5 neg_lo:[1,1,0]
	v_dot4_i32_iu8 v227, v231, v180, v227 neg_lo:[1,1,0]
	s_set_vgpr_msb 4                        ;  msbs: dst=0 src0=0 src1=1 src2=0
	s_delay_alu instid0(VALU_DEP_2) | instskip(NEXT) | instid1(VALU_DEP_2)
	v_mad_i32_i24 v5, v169, v33 /*v289*/, v5
	v_mad_i32_i24 v227, v177, v48 /*v304*/, v227
	s_delay_alu instid0(VALU_DEP_2) | instskip(SKIP_1) | instid1(VALU_DEP_2)
	v_dot4_i32_iu8 v5, v228, v50 /*v306*/, v5 neg_lo:[1,1,0]
	s_set_vgpr_msb 0                        ;  msbs: dst=0 src0=0 src1=0 src2=0
	v_dot4_i32_iu8 v227, v233, v232, v227 neg_lo:[1,1,0]
	s_set_vgpr_msb 4                        ;  msbs: dst=0 src0=0 src1=1 src2=0
	s_delay_alu instid0(VALU_DEP_2) | instskip(NEXT) | instid1(VALU_DEP_2)
	v_mad_i32_i24 v5, v171, v35 /*v291*/, v5
	v_mad_i32_i24 v227, v179, v49 /*v305*/, v227
	s_set_vgpr_msb 0                        ;  msbs: dst=0 src0=0 src1=0 src2=0
	s_delay_alu instid0(VALU_DEP_2) | instskip(NEXT) | instid1(VALU_DEP_2)
	v_dot4_i32_iu8 v5, v229, v226, v5 neg_lo:[1,1,0]
	v_dot4_i32_iu8 v227, v235, v234, v227 neg_lo:[1,1,0]
	s_delay_alu instid0(VALU_DEP_2) | instskip(NEXT) | instid1(VALU_DEP_1)
	v_mul_lo_u32 v5, v5, v173
	v_mad_u32 v5, v227, v181, v5
	v_mul_f32_e32 v227, v165, v114
	s_delay_alu instid0(VALU_DEP_2) | instskip(NEXT) | instid1(VALU_DEP_1)
	v_cvt_f32_i32_e32 v5, v5
	v_mul_f32_e32 v5, v227, v5
	v_perm_b32 v227, v249, v249, 0xc0c0c01
	s_delay_alu instid0(VALU_DEP_2) | instskip(SKIP_2) | instid1(VALU_DEP_2)
	v_pk_add_f32 v[104:105], v[104:105], v[4:5]
	v_mul_i32_i24_e32 v4, v216, v183
	v_perm_b32 v5, v248, v247, 0xc05000c
	v_mad_i32_i24 v4, v218, v184, v4
	s_delay_alu instid0(VALU_DEP_2) | instskip(SKIP_2) | instid1(VALU_DEP_4)
	v_or_b32_e32 v240, v5, v227
	v_perm_b32 v5, v251, v250, 0xc05000c
	v_perm_b32 v227, v252, v252, 0xc0c0c01
	v_dot4_i32_iu8 v4, v222, v185, v4 neg_lo:[1,1,0]
	s_delay_alu instid0(VALU_DEP_2)
	v_or_b32_e32 v241, v5, v227
	s_set_vgpr_msb 1                        ;  msbs: dst=0 src0=1 src1=0 src2=0
	v_mul_i32_i24_e32 v5, v36 /*v292*/, v191
	s_set_vgpr_msb 0                        ;  msbs: dst=0 src0=0 src1=0 src2=0
	v_perm_b32 v227, v254, v253, 0xc05000c
	v_mad_i32_i24 v4, v219, v186, v4
	s_set_vgpr_msb 1                        ;  msbs: dst=0 src0=1 src1=0 src2=0
	v_mad_i32_i24 v5, v39 /*v295*/, v192, v5
	s_set_vgpr_msb 0                        ;  msbs: dst=0 src0=0 src1=0 src2=0
	v_or_b32_e32 v242, v227, v237
	s_set_vgpr_msb 5                        ;  msbs: dst=0 src0=1 src1=1 src2=0
	v_perm_b32 v227, v1 /*v257*/, v0 /*v256*/, 0xc05000c
	v_perm_b32 v237, v2 /*v258*/, v2 /*v258*/, 0xc0c0c01
	s_set_vgpr_msb 0                        ;  msbs: dst=0 src0=0 src1=0 src2=0
	v_dot4_i32_iu8 v4, v223, v189, v4 neg_lo:[1,1,0]
	v_dot4_i32_iu8 v5, v230, v193, v5 neg_lo:[1,1,0]
	s_delay_alu instid0(VALU_DEP_3)
	v_or_b32_e32 v243, v227, v237
	s_set_vgpr_msb 5                        ;  msbs: dst=0 src0=1 src1=1 src2=0
	v_perm_b32 v227, v5 /*v261*/, v5 /*v261*/, 0xc0c0c01
	s_set_vgpr_msb 4                        ;  msbs: dst=0 src0=0 src1=1 src2=0
	v_mad_i32_i24 v4, v187, v33 /*v289*/, v4
	s_set_vgpr_msb 1                        ;  msbs: dst=0 src0=1 src1=0 src2=0
	v_mad_i32_i24 v5, v47 /*v303*/, v194, v5
	s_set_vgpr_msb 4                        ;  msbs: dst=0 src0=0 src1=1 src2=0
	s_delay_alu instid0(VALU_DEP_2) | instskip(SKIP_1) | instid1(VALU_DEP_2)
	v_dot4_i32_iu8 v4, v240, v50 /*v306*/, v4 neg_lo:[1,1,0]
	s_set_vgpr_msb 0                        ;  msbs: dst=0 src0=0 src1=0 src2=0
	v_dot4_i32_iu8 v5, v231, v197, v5 neg_lo:[1,1,0]
	s_set_vgpr_msb 4                        ;  msbs: dst=0 src0=0 src1=1 src2=0
	s_delay_alu instid0(VALU_DEP_2) | instskip(NEXT) | instid1(VALU_DEP_2)
	v_mad_i32_i24 v4, v188, v35 /*v291*/, v4
	v_mad_i32_i24 v5, v195, v48 /*v304*/, v5
	s_set_vgpr_msb 0                        ;  msbs: dst=0 src0=0 src1=0 src2=0
	s_delay_alu instid0(VALU_DEP_2) | instskip(NEXT) | instid1(VALU_DEP_2)
	v_dot4_i32_iu8 v4, v241, v226, v4 neg_lo:[1,1,0]
	v_dot4_i32_iu8 v5, v242, v232, v5 neg_lo:[1,1,0]
	s_delay_alu instid0(VALU_DEP_2) | instskip(SKIP_1) | instid1(VALU_DEP_2)
	v_mul_lo_u32 v4, v4, v190
	s_set_vgpr_msb 4                        ;  msbs: dst=0 src0=0 src1=1 src2=0
	v_mad_i32_i24 v5, v196, v49 /*v305*/, v5
	s_set_vgpr_msb 0                        ;  msbs: dst=0 src0=0 src1=0 src2=0
	s_delay_alu instid0(VALU_DEP_1) | instskip(NEXT) | instid1(VALU_DEP_1)
	v_dot4_i32_iu8 v5, v243, v234, v5 neg_lo:[1,1,0]
	v_mad_u32 v4, v5, v198, v4
	v_mul_f32_e32 v5, v182, v114
	s_delay_alu instid0(VALU_DEP_2) | instskip(NEXT) | instid1(VALU_DEP_1)
	v_cvt_f32_i32_e32 v4, v4
	v_mul_f32_e32 v237, v5, v4
	v_mul_i32_i24_e32 v4, v216, v201
	s_set_vgpr_msb 5                        ;  msbs: dst=0 src0=1 src1=1 src2=0
	v_perm_b32 v5, v8 /*v264*/, v6 /*v262*/, 0xc05000c
	s_set_vgpr_msb 0                        ;  msbs: dst=0 src0=0 src1=0 src2=0
	v_pk_add_f32 v[106:107], v[106:107], v[236:237]
	v_mad_i32_i24 v4, v218, v202, v4
	s_delay_alu instid0(VALU_DEP_3)
	v_or_b32_e32 v236, v5, v227
	s_set_vgpr_msb 5                        ;  msbs: dst=0 src0=1 src1=1 src2=0
	v_perm_b32 v5, v10 /*v266*/, v7 /*v263*/, 0xc05000c
	v_perm_b32 v227, v9 /*v265*/, v9 /*v265*/, 0xc0c0c01
	s_set_vgpr_msb 0                        ;  msbs: dst=0 src0=0 src1=0 src2=0
	v_dot4_i32_iu8 v4, v222, v203, v4 neg_lo:[1,1,0]
	s_delay_alu instid0(VALU_DEP_2)
	v_or_b32_e32 v237, v5, v227
	s_set_vgpr_msb 1                        ;  msbs: dst=0 src0=1 src1=0 src2=0
	v_mul_i32_i24_e32 v5, v36 /*v292*/, v209
	s_set_vgpr_msb 5                        ;  msbs: dst=0 src0=1 src1=1 src2=0
	v_perm_b32 v227, v23 /*v279*/, v22 /*v278*/, 0xc05000c
	s_set_vgpr_msb 0                        ;  msbs: dst=0 src0=0 src1=0 src2=0
	v_mad_i32_i24 v4, v219, v204, v4
	s_set_vgpr_msb 1                        ;  msbs: dst=0 src0=1 src1=0 src2=0
	v_mad_i32_i24 v5, v39 /*v295*/, v210, v5
	s_set_vgpr_msb 0                        ;  msbs: dst=0 src0=0 src1=0 src2=0
	v_or_b32_e32 v244, v227, v239
	s_set_vgpr_msb 5                        ;  msbs: dst=0 src0=1 src1=1 src2=0
	v_perm_b32 v227, v25 /*v281*/, v26 /*v282*/, 0xc05000c
	v_perm_b32 v239, v24 /*v280*/, v24 /*v280*/, 0xc0c0c01
	s_set_vgpr_msb 0                        ;  msbs: dst=0 src0=0 src1=0 src2=0
	v_dot4_i32_iu8 v4, v223, v207, v4 neg_lo:[1,1,0]
	v_dot4_i32_iu8 v5, v230, v211, v5 neg_lo:[1,1,0]
	s_delay_alu instid0(VALU_DEP_3) | instskip(SKIP_1) | instid1(VALU_DEP_3)
	v_or_b32_e32 v247, v227, v239
	s_set_vgpr_msb 4                        ;  msbs: dst=0 src0=0 src1=1 src2=0
	v_mad_i32_i24 v4, v205, v33 /*v289*/, v4
	s_set_vgpr_msb 1                        ;  msbs: dst=0 src0=1 src1=0 src2=0
	v_mad_i32_i24 v5, v47 /*v303*/, v212, v5
	s_set_vgpr_msb 4                        ;  msbs: dst=0 src0=0 src1=1 src2=0
	s_delay_alu instid0(VALU_DEP_2) | instskip(SKIP_1) | instid1(VALU_DEP_2)
	v_dot4_i32_iu8 v4, v236, v50 /*v306*/, v4 neg_lo:[1,1,0]
	s_set_vgpr_msb 0                        ;  msbs: dst=0 src0=0 src1=0 src2=0
	v_dot4_i32_iu8 v5, v231, v217, v5 neg_lo:[1,1,0]
	s_set_vgpr_msb 4                        ;  msbs: dst=0 src0=0 src1=1 src2=0
	s_delay_alu instid0(VALU_DEP_2) | instskip(NEXT) | instid1(VALU_DEP_2)
	v_mad_i32_i24 v4, v206, v35 /*v291*/, v4
	v_mad_i32_i24 v5, v213, v48 /*v304*/, v5
	s_set_vgpr_msb 0                        ;  msbs: dst=0 src0=0 src1=0 src2=0
	s_delay_alu instid0(VALU_DEP_2) | instskip(NEXT) | instid1(VALU_DEP_2)
	v_dot4_i32_iu8 v4, v237, v226, v4 neg_lo:[1,1,0]
	v_dot4_i32_iu8 v5, v244, v232, v5 neg_lo:[1,1,0]
	s_delay_alu instid0(VALU_DEP_2) | instskip(SKIP_1) | instid1(VALU_DEP_2)
	v_mul_lo_u32 v4, v4, v208
	s_set_vgpr_msb 4                        ;  msbs: dst=0 src0=0 src1=1 src2=0
	v_mad_i32_i24 v5, v214, v49 /*v305*/, v5
	s_set_vgpr_msb 0                        ;  msbs: dst=0 src0=0 src1=0 src2=0
	s_delay_alu instid0(VALU_DEP_1) | instskip(NEXT) | instid1(VALU_DEP_1)
	v_dot4_i32_iu8 v5, v247, v234, v5 neg_lo:[1,1,0]
	v_mad_u32 v4, v5, v221, v4
	v_mul_f32_e32 v5, v200, v114
	s_delay_alu instid0(VALU_DEP_2) | instskip(NEXT) | instid1(VALU_DEP_1)
	v_cvt_f32_i32_e32 v4, v4
	v_mul_f32_e32 v239, v5, v4
	s_set_vgpr_msb 1                        ;  msbs: dst=0 src0=1 src1=0 src2=0
	v_mul_i32_i24_e32 v4, v14 /*v270*/, v216
	s_set_vgpr_msb 5                        ;  msbs: dst=0 src0=1 src1=1 src2=0
	v_perm_b32 v5, v15 /*v271*/, v16 /*v272*/, 0xc05000c
	v_perm_b32 v216, v12 /*v268*/, v12 /*v268*/, 0xc0c0c01
	s_set_vgpr_msb 0                        ;  msbs: dst=0 src0=0 src1=0 src2=0
	v_pk_add_f32 v[108:109], v[108:109], v[238:239]
	s_set_vgpr_msb 1                        ;  msbs: dst=0 src0=1 src1=0 src2=0
	v_mad_i32_i24 v4, v3 /*v259*/, v218, v4
	s_set_vgpr_msb 5                        ;  msbs: dst=0 src0=1 src1=1 src2=0
	v_perm_b32 v218, v34 /*v290*/, v34 /*v290*/, 0xc0c0c01
	s_set_vgpr_msb 0                        ;  msbs: dst=0 src0=0 src1=0 src2=0
	v_or_b32_e32 v238, v5, v216
	s_set_vgpr_msb 5                        ;  msbs: dst=0 src0=1 src1=1 src2=0
	v_mul_i32_i24_e32 v5, v20 /*v276*/, v36 /*v292*/
	v_perm_b32 v216, v37 /*v293*/, v38 /*v294*/, 0xc05000c
	s_set_vgpr_msb 1                        ;  msbs: dst=0 src0=1 src1=0 src2=0
	v_dot4_i32_iu8 v4, v4 /*v260*/, v222, v4 neg_lo:[1,1,0]
	s_set_vgpr_msb 5                        ;  msbs: dst=0 src0=1 src1=1 src2=0
	v_mad_i32_i24 v5, v17 /*v273*/, v39 /*v295*/, v5
	s_set_vgpr_msb 0                        ;  msbs: dst=0 src0=0 src1=0 src2=0
	s_delay_alu instid0(VALU_DEP_2) | instskip(NEXT) | instid1(VALU_DEP_2)
	v_mad_i32_i24 v4, v245, v219, v4
	v_dot4_i32_iu8 v5, v220, v230, v5 neg_lo:[1,1,0]
	v_or_b32_e32 v230, v216, v218
	s_set_vgpr_msb 1                        ;  msbs: dst=0 src0=1 src1=0 src2=0
	ds_load_u16 v216, v46 /*v302*/
	s_set_vgpr_msb 0                        ;  msbs: dst=0 src0=0 src1=0 src2=0
	v_dot4_i32_iu8 v4, v238, v223, v4 neg_lo:[1,1,0]
	s_set_vgpr_msb 4                        ;  msbs: dst=0 src0=0 src1=1 src2=0
	v_mad_i32_i24 v5, v246, v47 /*v303*/, v5
	s_set_vgpr_msb 5                        ;  msbs: dst=0 src0=1 src1=1 src2=0
	s_delay_alu instid0(VALU_DEP_2) | instskip(SKIP_1) | instid1(VALU_DEP_2)
	v_mad_i32_i24 v4, v33 /*v289*/, v13 /*v269*/, v4
	s_set_vgpr_msb 0                        ;  msbs: dst=0 src0=0 src1=0 src2=0
	v_dot4_i32_iu8 v5, v230, v231, v5 neg_lo:[1,1,0]
	s_set_vgpr_msb 5                        ;  msbs: dst=0 src0=1 src1=1 src2=0
	v_bfe_i32 v231, v45 /*v301*/, 0, 8
	s_delay_alu instid0(VALU_DEP_2)
	v_mad_i32_i24 v5, v48 /*v304*/, v32 /*v288*/, v5
	s_wait_dscnt 0x0
	s_set_vgpr_msb 0                        ;  msbs: dst=0 src0=0 src1=0 src2=0
	v_lshrrev_b16 v218, 8, v216
	v_bfe_i32 v248, v216, 0, 8
	s_set_vgpr_msb 5                        ;  msbs: dst=0 src0=1 src1=1 src2=0
	v_perm_b32 v216, v19 /*v275*/, v18 /*v274*/, 0xc0c0401
	s_set_vgpr_msb 0                        ;  msbs: dst=0 src0=0 src1=0 src2=0
	v_bfe_i32 v239, v218, 0, 8
	v_perm_b32 v218, v224, v224, 0xc0c0201
	s_delay_alu instid0(VALU_DEP_1) | instskip(SKIP_4) | instid1(VALU_DEP_1)
	v_dot4_i32_iu8 v4, v218, v216, v4 neg_lo:[1,1,0]
	s_set_vgpr_msb 5                        ;  msbs: dst=0 src0=1 src1=1 src2=0
	v_perm_b32 v216, v41 /*v297*/, v40 /*v296*/, 0xc05000c
	v_perm_b32 v218, v11 /*v267*/, v11 /*v267*/, 0xc0c0c01
	s_set_vgpr_msb 0                        ;  msbs: dst=0 src0=0 src1=0 src2=0
	v_or_b32_e32 v249, v216, v218
	s_delay_alu instid0(VALU_DEP_1) | instskip(SKIP_1) | instid1(VALU_DEP_2)
	v_dot4_i32_iu8 v6, v6, v249, v215 neg_lo:[1,1,0]
	v_perm_b32 v215, v225, v224, 0xc0c0403
	v_mad_i32_i24 v6, v199, v231, v6
	s_set_vgpr_msb 5                        ;  msbs: dst=0 src0=1 src1=1 src2=0
	v_perm_b32 v199, v31 /*v287*/, v27 /*v283*/, 0xc0c0401
	s_set_vgpr_msb 0                        ;  msbs: dst=0 src0=0 src1=0 src2=0
	s_delay_alu instid0(VALU_DEP_1) | instskip(SKIP_4) | instid1(VALU_DEP_1)
	v_dot4_i32_iu8 v4, v215, v199, v4 neg_lo:[1,1,0]
	s_set_vgpr_msb 5                        ;  msbs: dst=0 src0=1 src1=1 src2=0
	v_perm_b32 v199, v28 /*v284*/, v29 /*v285*/, 0xc05000c
	v_perm_b32 v215, v30 /*v286*/, v30 /*v286*/, 0xc0c0c01
	s_set_vgpr_msb 0                        ;  msbs: dst=0 src0=0 src1=0 src2=0
	v_or_b32_e32 v199, v199, v215
	s_set_vgpr_msb 5                        ;  msbs: dst=0 src0=1 src1=1 src2=0
	v_perm_b32 v215, v42 /*v298*/, v42 /*v298*/, 0xc0c0c01
	s_set_vgpr_msb 0                        ;  msbs: dst=0 src0=0 src1=0 src2=0
	s_delay_alu instid0(VALU_DEP_2) | instskip(SKIP_3) | instid1(VALU_DEP_2)
	v_dot4_i32_iu8 v4, v226, v199, v4 neg_lo:[1,1,0]
	s_set_vgpr_msb 5                        ;  msbs: dst=0 src0=1 src1=1 src2=0
	v_perm_b32 v199, v43 /*v299*/, v44 /*v300*/, 0xc05000c
	s_set_vgpr_msb 0                        ;  msbs: dst=0 src0=0 src1=0 src2=0
	v_mul_lo_u32 v4, v4, v248
	s_delay_alu instid0(VALU_DEP_2) | instskip(SKIP_3) | instid1(VALU_DEP_2)
	v_or_b32_e32 v199, v199, v215
	s_set_vgpr_msb 5                        ;  msbs: dst=0 src0=1 src1=1 src2=0
	v_perm_b32 v215, v18 /*v274*/, v18 /*v274*/, 0xc0c0c01
	s_set_vgpr_msb 0                        ;  msbs: dst=0 src0=0 src1=0 src2=0
	v_dot4_i32_iu8 v6, v7, v199, v6 neg_lo:[1,1,0]
	s_set_vgpr_msb 5                        ;  msbs: dst=0 src0=1 src1=1 src2=0
	v_perm_b32 v7, v27 /*v283*/, v19 /*v275*/, 0xc05000c
	s_set_vgpr_msb 0                        ;  msbs: dst=0 src0=0 src1=0 src2=0
	s_delay_alu instid0(VALU_DEP_2) | instskip(NEXT) | instid1(VALU_DEP_2)
	v_mul_lo_u32 v6, v6, v239
	v_or_b32_e32 v215, v7, v215
	s_set_vgpr_msb 5                        ;  msbs: dst=0 src0=1 src1=1 src2=0
	v_perm_b32 v7, v28 /*v284*/, v29 /*v285*/, 0x5000c0c
	s_set_vgpr_msb 0                        ;  msbs: dst=0 src0=0 src1=0 src2=0
	s_delay_alu instid0(VALU_DEP_2) | instskip(SKIP_4) | instid1(VALU_DEP_2)
	v_dot4_i32_iu8 v1, v2, v215, v1 neg_lo:[1,1,0]
	v_dot4_i32_iu8 v2, v232, v249, v5 neg_lo:[1,1,0]
	s_set_vgpr_msb 5                        ;  msbs: dst=0 src0=1 src1=1 src2=0
	v_perm_b32 v5, v30 /*v286*/, v31 /*v287*/, 0xc0c0500
	s_set_vgpr_msb 1                        ;  msbs: dst=0 src0=1 src1=0 src2=0
	v_mad_i32_i24 v2, v49 /*v305*/, v231, v2
	s_set_vgpr_msb 0                        ;  msbs: dst=0 src0=0 src1=0 src2=0
	s_delay_alu instid0(VALU_DEP_2) | instskip(NEXT) | instid1(VALU_DEP_2)
	v_or_b32_e32 v232, v7, v5
	v_dot4_i32_iu8 v2, v234, v199, v2 neg_lo:[1,1,0]
	s_delay_alu instid0(VALU_DEP_2) | instskip(NEXT) | instid1(VALU_DEP_2)
	v_dot4_i32_iu8 v1, v3, v232, v1 neg_lo:[1,1,0]
	v_mad_u32 v4, v2, v239, v4
	s_delay_alu instid0(VALU_DEP_2) | instskip(NEXT) | instid1(VALU_DEP_2)
	v_mad_u32 v1, v1, v248, v6
	v_cvt_f32_i32_e32 v4, v4
	s_delay_alu instid0(VALU_DEP_2) | instskip(SKIP_2) | instid1(VALU_DEP_2)
	v_pk_mul_f32 v[2:3], v[0:1], v[114:115] op_sel_hi:[0,1]
	v_cvt_f32_i32_e32 v5, v1
	v_or_b32_e32 v1, s18, v124
	v_pk_fma_f32 v[82:83], v[2:3], v[4:5], v[82:83]
	s_delay_alu instid0(VALU_DEP_2)
	v_dual_lshlrev_b32 v6, 2, v1 :: v_dual_lshrrev_b32 v1, 1, v1
	ds_load_b32 v1, v1 offset:38816
	ds_load_b128 v[2:5], v6 offset:25344
	ds_load_b128 v[222:225], v6 offset:25360
	s_wait_dscnt 0x1
	v_bfe_i32 v7, v2, 0, 8
	v_bfe_i32 v115, v2, 8, 8
	v_perm_b32 v2, v2, v2, 0xc0c0302
	v_bfe_i32 v216, v3, 0, 8
	v_perm_b32 v3, v3, v3, 0xc030201
	;; [unrolled: 2-line block ×4, first 2 shown]
	s_wait_dscnt 0x0
	v_bfe_i32 v226, v222, 0, 8
	v_bfe_i32 v227, v222, 8, 8
	v_perm_b32 v222, v222, v222, 0xc0c0302
	v_bfe_i32 v234, v223, 0, 8
	v_perm_b32 v223, v223, v223, 0xc030201
	;; [unrolled: 2-line block ×4, first 2 shown]
	v_mul_i32_i24_e32 v6, v7, v166
	v_mul_i32_i24_e32 v114, v226, v174
	v_mul_i32_i24_e32 v253, v226, v191
	s_delay_alu instid0(VALU_DEP_3) | instskip(NEXT) | instid1(VALU_DEP_3)
	v_mad_i32_i24 v6, v115, v167, v6
	v_mad_i32_i24 v114, v227, v175, v114
	s_delay_alu instid0(VALU_DEP_3) | instskip(NEXT) | instid1(VALU_DEP_3)
	v_mad_i32_i24 v253, v227, v192, v253
	v_dot4_i32_iu8 v6, v2, v168, v6 neg_lo:[1,1,0]
	s_delay_alu instid0(VALU_DEP_3) | instskip(NEXT) | instid1(VALU_DEP_3)
	v_dot4_i32_iu8 v114, v222, v176, v114 neg_lo:[1,1,0]
	v_dot4_i32_iu8 v253, v222, v193, v253 neg_lo:[1,1,0]
	s_delay_alu instid0(VALU_DEP_3) | instskip(NEXT) | instid1(VALU_DEP_3)
	v_mad_i32_i24 v6, v216, v170, v6
	v_mad_i32_i24 v114, v234, v178, v114
	s_delay_alu instid0(VALU_DEP_3) | instskip(NEXT) | instid1(VALU_DEP_3)
	v_mad_i32_i24 v253, v234, v194, v253
	v_dot4_i32_iu8 v6, v3, v172, v6 neg_lo:[1,1,0]
	s_delay_alu instid0(VALU_DEP_3) | instskip(NEXT) | instid1(VALU_DEP_3)
	v_dot4_i32_iu8 v114, v223, v180, v114 neg_lo:[1,1,0]
	v_dot4_i32_iu8 v253, v223, v197, v253 neg_lo:[1,1,0]
	;; [unrolled: 9-line block ×4, first 2 shown]
	s_delay_alu instid0(VALU_DEP_3) | instskip(NEXT) | instid1(VALU_DEP_1)
	v_mul_lo_u32 v6, v6, v173
	v_mad_u32 v6, v114, v181, v6
	v_mul_f32_e32 v114, v165, v1
	s_delay_alu instid0(VALU_DEP_2) | instskip(NEXT) | instid1(VALU_DEP_1)
	v_cvt_f32_i32_e32 v6, v6
	v_mul_f32_e32 v6, v114, v6
	v_mul_i32_i24_e32 v114, v7, v183
	s_delay_alu instid0(VALU_DEP_1) | instskip(NEXT) | instid1(VALU_DEP_1)
	v_mad_i32_i24 v114, v115, v184, v114
	v_dot4_i32_iu8 v114, v2, v185, v114 neg_lo:[1,1,0]
	s_delay_alu instid0(VALU_DEP_1) | instskip(NEXT) | instid1(VALU_DEP_1)
	v_mad_i32_i24 v114, v216, v186, v114
	v_dot4_i32_iu8 v114, v3, v189, v114 neg_lo:[1,1,0]
	;; [unrolled: 3-line block ×4, first 2 shown]
	s_delay_alu instid0(VALU_DEP_1) | instskip(NEXT) | instid1(VALU_DEP_1)
	v_mul_lo_u32 v114, v114, v190
	v_mad_u32 v114, v253, v198, v114
	v_mul_f32_e32 v253, v182, v1
	s_delay_alu instid0(VALU_DEP_2) | instskip(NEXT) | instid1(VALU_DEP_1)
	v_cvt_f32_i32_e32 v114, v114
	v_mul_f32_e32 v114, v253, v114
	v_mul_i32_i24_e32 v253, v7, v201
	s_set_vgpr_msb 1                        ;  msbs: dst=0 src0=1 src1=0 src2=0
	v_mul_i32_i24_e32 v7, v14 /*v270*/, v7
	s_set_vgpr_msb 0                        ;  msbs: dst=0 src0=0 src1=0 src2=0
	s_delay_alu instid0(VALU_DEP_2) | instskip(SKIP_1) | instid1(VALU_DEP_2)
	v_mad_i32_i24 v253, v115, v202, v253
	s_set_vgpr_msb 1                        ;  msbs: dst=0 src0=1 src1=0 src2=0
	v_mad_i32_i24 v7, v3 /*v259*/, v115, v7
	s_set_vgpr_msb 0                        ;  msbs: dst=0 src0=0 src1=0 src2=0
	s_delay_alu instid0(VALU_DEP_2) | instskip(SKIP_1) | instid1(VALU_DEP_2)
	v_dot4_i32_iu8 v253, v2, v203, v253 neg_lo:[1,1,0]
	s_set_vgpr_msb 1                        ;  msbs: dst=0 src0=1 src1=0 src2=0
	v_dot4_i32_iu8 v2, v4 /*v260*/, v2, v7 neg_lo:[1,1,0]
	s_set_vgpr_msb 0                        ;  msbs: dst=0 src0=0 src1=0 src2=0
	s_delay_alu instid0(VALU_DEP_2) | instskip(NEXT) | instid1(VALU_DEP_2)
	v_mad_i32_i24 v253, v216, v204, v253
	v_mad_i32_i24 v2, v245, v216, v2
	s_delay_alu instid0(VALU_DEP_2) | instskip(NEXT) | instid1(VALU_DEP_2)
	v_dot4_i32_iu8 v253, v3, v207, v253 neg_lo:[1,1,0]
	v_dot4_i32_iu8 v2, v238, v3, v2 neg_lo:[1,1,0]
	s_set_vgpr_msb 1                        ;  msbs: dst=0 src0=1 src1=0 src2=0
	v_mul_i32_i24_e32 v3, v20 /*v276*/, v226
	s_set_vgpr_msb 0                        ;  msbs: dst=0 src0=0 src1=0 src2=0
	v_mad_i32_i24 v253, v205, v219, v253
	s_set_vgpr_msb 4                        ;  msbs: dst=0 src0=0 src1=1 src2=0
	v_mad_i32_i24 v2, v219, v13 /*v269*/, v2
	s_set_vgpr_msb 1                        ;  msbs: dst=0 src0=1 src1=0 src2=0
	v_mad_i32_i24 v3, v17 /*v273*/, v227, v3
	s_set_vgpr_msb 0                        ;  msbs: dst=0 src0=0 src1=0 src2=0
	v_dot4_i32_iu8 v253, v236, v4, v253 neg_lo:[1,1,0]
	v_dot4_i32_iu8 v2, v4, v215, v2 neg_lo:[1,1,0]
	s_delay_alu instid0(VALU_DEP_3) | instskip(NEXT) | instid1(VALU_DEP_3)
	v_dot4_i32_iu8 v3, v220, v222, v3 neg_lo:[1,1,0]
	v_mad_i32_i24 v218, v206, v218, v253
	s_delay_alu instid0(VALU_DEP_3) | instskip(NEXT) | instid1(VALU_DEP_3)
	v_dot4_i32_iu8 v2, v232, v5, v2 neg_lo:[1,1,0]
	v_mad_i32_i24 v3, v246, v234, v3
	s_delay_alu instid0(VALU_DEP_3) | instskip(SKIP_1) | instid1(VALU_DEP_3)
	v_dot4_i32_iu8 v218, v237, v252, v218 neg_lo:[1,1,0]
	v_mul_i32_i24_e32 v252, v226, v209
	v_dot4_i32_iu8 v3, v230, v223, v3 neg_lo:[1,1,0]
	v_mul_lo_u32 v2, v2, v248
	s_delay_alu instid0(VALU_DEP_4) | instskip(NEXT) | instid1(VALU_DEP_4)
	v_mul_lo_u32 v218, v218, v208
	v_mad_i32_i24 v252, v227, v210, v252
	s_set_vgpr_msb 4                        ;  msbs: dst=0 src0=0 src1=1 src2=0
	v_mad_i32_i24 v3, v250, v32 /*v288*/, v3
	s_set_vgpr_msb 0                        ;  msbs: dst=0 src0=0 src1=0 src2=0
	s_delay_alu instid0(VALU_DEP_2) | instskip(NEXT) | instid1(VALU_DEP_2)
	v_dot4_i32_iu8 v252, v222, v211, v252 neg_lo:[1,1,0]
	v_dot4_i32_iu8 v3, v224, v249, v3 neg_lo:[1,1,0]
	s_delay_alu instid0(VALU_DEP_2) | instskip(NEXT) | instid1(VALU_DEP_2)
	v_mad_i32_i24 v252, v234, v212, v252
	v_mad_i32_i24 v3, v231, v251, v3
	s_delay_alu instid0(VALU_DEP_2) | instskip(NEXT) | instid1(VALU_DEP_2)
	v_dot4_i32_iu8 v252, v223, v217, v252 neg_lo:[1,1,0]
	v_dot4_i32_iu8 v3, v199, v225, v3 neg_lo:[1,1,0]
	s_delay_alu instid0(VALU_DEP_2) | instskip(NEXT) | instid1(VALU_DEP_2)
	v_mad_i32_i24 v252, v213, v250, v252
	v_mad_u32 v2, v3, v239, v2
	s_delay_alu instid0(VALU_DEP_2) | instskip(NEXT) | instid1(VALU_DEP_1)
	v_dot4_i32_iu8 v252, v244, v224, v252 neg_lo:[1,1,0]
	v_mad_i32_i24 v252, v214, v251, v252
	s_delay_alu instid0(VALU_DEP_3) | instskip(NEXT) | instid1(VALU_DEP_2)
	v_cvt_f32_i32_e32 v2, v2
	v_dot4_i32_iu8 v252, v247, v225, v252 neg_lo:[1,1,0]
	s_delay_alu instid0(VALU_DEP_1) | instskip(SKIP_2) | instid1(VALU_DEP_1)
	v_mad_u32 v218, v252, v221, v218
	v_mul_f32_e32 v252, v200, v1
	v_mul_f32_e32 v1, v0, v1
	v_dual_mul_f32 v226, v1, v2 :: v_dual_bitop2_b32 v1, s18, v125 bitop3:0x54
	s_delay_alu instid0(VALU_DEP_4) | instskip(NEXT) | instid1(VALU_DEP_2)
	v_cvt_f32_i32_e32 v218, v218
	v_dual_lshlrev_b32 v7, 2, v1 :: v_dual_lshrrev_b32 v1, 1, v1
	ds_load_b32 v1, v1 offset:38816
	ds_load_b128 v[2:5], v7 offset:25344
	ds_load_b128 v[222:225], v7 offset:25360
	v_mul_f32_e32 v218, v252, v218
	s_wait_dscnt 0x1
	v_bfe_i32 v216, v2, 0, 8
	v_bfe_i32 v227, v2, 8, 8
	v_perm_b32 v2, v2, v2, 0xc0c0302
	v_bfe_i32 v234, v3, 0, 8
	v_perm_b32 v3, v3, v3, 0xc030201
	v_bfe_i32 v250, v4, 0, 8
	v_perm_b32 v4, v4, v4, 0xc030201
	v_bfe_i32 v219, v5, 0, 8
	s_set_vgpr_msb 64                       ;  msbs: dst=1 src0=0 src1=0 src2=0
	v_perm_b32 v0 /*v256*/, v5, v5, 0xc030201
	s_wait_dscnt 0x0
	s_set_vgpr_msb 0                        ;  msbs: dst=0 src0=0 src1=0 src2=0
	v_bfe_i32 v251, v222, 0, 8
	v_bfe_i32 v252, v222, 8, 8
	v_perm_b32 v222, v222, v222, 0xc0c0302
	v_bfe_i32 v253, v223, 0, 8
	v_perm_b32 v223, v223, v223, 0xc030201
	v_bfe_i32 v254, v224, 0, 8
	v_perm_b32 v224, v224, v224, 0xc030201
	v_bfe_i32 v255, v225, 0, 8
	v_perm_b32 v225, v225, v225, 0xc030201
	v_mul_i32_i24_e32 v7, v216, v166
	v_mul_i32_i24_e32 v115, v251, v174
	s_delay_alu instid0(VALU_DEP_2) | instskip(NEXT) | instid1(VALU_DEP_2)
	v_mad_i32_i24 v7, v227, v167, v7
	v_mad_i32_i24 v115, v252, v175, v115
	s_delay_alu instid0(VALU_DEP_2) | instskip(NEXT) | instid1(VALU_DEP_2)
	v_dot4_i32_iu8 v7, v2, v168, v7 neg_lo:[1,1,0]
	v_dot4_i32_iu8 v115, v222, v176, v115 neg_lo:[1,1,0]
	s_delay_alu instid0(VALU_DEP_2) | instskip(NEXT) | instid1(VALU_DEP_2)
	v_mad_i32_i24 v7, v234, v170, v7
	v_mad_i32_i24 v115, v253, v178, v115
	s_delay_alu instid0(VALU_DEP_2) | instskip(NEXT) | instid1(VALU_DEP_2)
	v_dot4_i32_iu8 v7, v3, v172, v7 neg_lo:[1,1,0]
	v_dot4_i32_iu8 v115, v223, v180, v115 neg_lo:[1,1,0]
	;; [unrolled: 6-line block ×3, first 2 shown]
	s_delay_alu instid0(VALU_DEP_2) | instskip(NEXT) | instid1(VALU_DEP_2)
	v_mad_i32_i24 v7, v171, v219, v7
	v_mad_i32_i24 v115, v179, v255, v115
	s_set_vgpr_msb 4                        ;  msbs: dst=0 src0=0 src1=1 src2=0
	s_delay_alu instid0(VALU_DEP_2) | instskip(SKIP_1) | instid1(VALU_DEP_2)
	v_dot4_i32_iu8 v7, v229, v0 /*v256*/, v7 neg_lo:[1,1,0]
	s_set_vgpr_msb 0                        ;  msbs: dst=0 src0=0 src1=0 src2=0
	v_dot4_i32_iu8 v115, v235, v225, v115 neg_lo:[1,1,0]
	s_delay_alu instid0(VALU_DEP_2) | instskip(NEXT) | instid1(VALU_DEP_1)
	v_mul_lo_u32 v7, v7, v173
	v_mad_u32 v7, v115, v181, v7
	v_mul_f32_e32 v115, v165, v1
	s_delay_alu instid0(VALU_DEP_2) | instskip(NEXT) | instid1(VALU_DEP_1)
	v_cvt_f32_i32_e32 v7, v7
	v_mul_f32_e32 v7, v115, v7
	s_delay_alu instid0(VALU_DEP_1) | instskip(SKIP_2) | instid1(VALU_DEP_2)
	v_pk_add_f32 v[86:87], v[86:87], v[6:7]
	v_mul_i32_i24_e32 v6, v216, v183
	v_mul_i32_i24_e32 v7, v251, v191
	v_mad_i32_i24 v6, v227, v184, v6
	s_delay_alu instid0(VALU_DEP_2) | instskip(NEXT) | instid1(VALU_DEP_2)
	v_mad_i32_i24 v7, v252, v192, v7
	v_dot4_i32_iu8 v6, v2, v185, v6 neg_lo:[1,1,0]
	s_delay_alu instid0(VALU_DEP_2) | instskip(NEXT) | instid1(VALU_DEP_2)
	v_dot4_i32_iu8 v7, v222, v193, v7 neg_lo:[1,1,0]
	v_mad_i32_i24 v6, v234, v186, v6
	s_delay_alu instid0(VALU_DEP_2) | instskip(NEXT) | instid1(VALU_DEP_2)
	v_mad_i32_i24 v7, v253, v194, v7
	v_dot4_i32_iu8 v6, v3, v189, v6 neg_lo:[1,1,0]
	s_delay_alu instid0(VALU_DEP_2) | instskip(NEXT) | instid1(VALU_DEP_2)
	v_dot4_i32_iu8 v7, v223, v197, v7 neg_lo:[1,1,0]
	;; [unrolled: 6-line block ×3, first 2 shown]
	v_mad_i32_i24 v6, v188, v219, v6
	s_delay_alu instid0(VALU_DEP_2) | instskip(SKIP_1) | instid1(VALU_DEP_2)
	v_mad_i32_i24 v7, v196, v255, v7
	s_set_vgpr_msb 4                        ;  msbs: dst=0 src0=0 src1=1 src2=0
	v_dot4_i32_iu8 v6, v241, v0 /*v256*/, v6 neg_lo:[1,1,0]
	s_set_vgpr_msb 0                        ;  msbs: dst=0 src0=0 src1=0 src2=0
	s_delay_alu instid0(VALU_DEP_2) | instskip(NEXT) | instid1(VALU_DEP_2)
	v_dot4_i32_iu8 v7, v243, v225, v7 neg_lo:[1,1,0]
	v_mul_lo_u32 v6, v6, v190
	s_delay_alu instid0(VALU_DEP_1) | instskip(SKIP_1) | instid1(VALU_DEP_2)
	v_mad_u32 v6, v7, v198, v6
	v_mul_f32_e32 v7, v182, v1
	v_cvt_f32_i32_e32 v6, v6
	s_delay_alu instid0(VALU_DEP_1) | instskip(SKIP_2) | instid1(VALU_DEP_3)
	v_mul_f32_e32 v115, v7, v6
	v_mul_i32_i24_e32 v6, v216, v201
	v_mul_i32_i24_e32 v7, v251, v209
	v_pk_add_f32 v[94:95], v[94:95], v[114:115]
	s_delay_alu instid0(VALU_DEP_3) | instskip(NEXT) | instid1(VALU_DEP_3)
	v_mad_i32_i24 v6, v227, v202, v6
	v_mad_i32_i24 v7, v252, v210, v7
	s_delay_alu instid0(VALU_DEP_2) | instskip(NEXT) | instid1(VALU_DEP_2)
	v_dot4_i32_iu8 v6, v2, v203, v6 neg_lo:[1,1,0]
	v_dot4_i32_iu8 v7, v222, v211, v7 neg_lo:[1,1,0]
	s_delay_alu instid0(VALU_DEP_2) | instskip(NEXT) | instid1(VALU_DEP_2)
	v_mad_i32_i24 v6, v234, v204, v6
	v_mad_i32_i24 v7, v253, v212, v7
	s_delay_alu instid0(VALU_DEP_2) | instskip(NEXT) | instid1(VALU_DEP_2)
	v_dot4_i32_iu8 v6, v3, v207, v6 neg_lo:[1,1,0]
	v_dot4_i32_iu8 v7, v223, v217, v7 neg_lo:[1,1,0]
	s_delay_alu instid0(VALU_DEP_2) | instskip(NEXT) | instid1(VALU_DEP_2)
	;; [unrolled: 6-line block ×3, first 2 shown]
	v_mad_i32_i24 v6, v206, v219, v6
	v_mad_i32_i24 v7, v214, v255, v7
	s_set_vgpr_msb 4                        ;  msbs: dst=0 src0=0 src1=1 src2=0
	s_delay_alu instid0(VALU_DEP_2) | instskip(SKIP_1) | instid1(VALU_DEP_2)
	v_dot4_i32_iu8 v6, v237, v0 /*v256*/, v6 neg_lo:[1,1,0]
	s_set_vgpr_msb 0                        ;  msbs: dst=0 src0=0 src1=0 src2=0
	v_dot4_i32_iu8 v7, v247, v225, v7 neg_lo:[1,1,0]
	s_delay_alu instid0(VALU_DEP_2) | instskip(NEXT) | instid1(VALU_DEP_1)
	v_mul_lo_u32 v6, v6, v208
	v_mad_u32 v6, v7, v221, v6
	v_mul_f32_e32 v7, v200, v1
	v_mul_f32_e32 v1, v0, v1
	s_delay_alu instid0(VALU_DEP_3) | instskip(NEXT) | instid1(VALU_DEP_1)
	v_cvt_f32_i32_e32 v6, v6
	v_mul_f32_e32 v219, v7, v6
	s_set_vgpr_msb 1                        ;  msbs: dst=0 src0=1 src1=0 src2=0
	v_mul_i32_i24_e32 v6, v14 /*v270*/, v216
	s_set_vgpr_msb 0                        ;  msbs: dst=0 src0=0 src1=0 src2=0
	s_delay_alu instid0(VALU_DEP_2) | instskip(SKIP_1) | instid1(VALU_DEP_2)
	v_pk_add_f32 v[100:101], v[100:101], v[218:219]
	s_set_vgpr_msb 1                        ;  msbs: dst=0 src0=1 src1=0 src2=0
	v_mad_i32_i24 v6, v3 /*v259*/, v227, v6
	s_delay_alu instid0(VALU_DEP_1) | instskip(SKIP_1) | instid1(VALU_DEP_1)
	v_dot4_i32_iu8 v2, v4 /*v260*/, v2, v6 neg_lo:[1,1,0]
	s_set_vgpr_msb 0                        ;  msbs: dst=0 src0=0 src1=0 src2=0
	v_mad_i32_i24 v2, v245, v234, v2
	s_delay_alu instid0(VALU_DEP_1) | instskip(SKIP_3) | instid1(VALU_DEP_2)
	v_dot4_i32_iu8 v2, v238, v3, v2 neg_lo:[1,1,0]
	s_set_vgpr_msb 1                        ;  msbs: dst=0 src0=1 src1=0 src2=0
	v_mul_i32_i24_e32 v3, v20 /*v276*/, v251
	s_set_vgpr_msb 4                        ;  msbs: dst=0 src0=0 src1=1 src2=0
	v_mad_i32_i24 v2, v250, v13 /*v269*/, v2
	s_set_vgpr_msb 1                        ;  msbs: dst=0 src0=1 src1=0 src2=0
	s_delay_alu instid0(VALU_DEP_2) | instskip(SKIP_1) | instid1(VALU_DEP_2)
	v_mad_i32_i24 v3, v17 /*v273*/, v252, v3
	s_set_vgpr_msb 0                        ;  msbs: dst=0 src0=0 src1=0 src2=0
	v_dot4_i32_iu8 v2, v4, v215, v2 neg_lo:[1,1,0]
	s_delay_alu instid0(VALU_DEP_2) | instskip(NEXT) | instid1(VALU_DEP_2)
	v_dot4_i32_iu8 v3, v220, v222, v3 neg_lo:[1,1,0]
	v_dot4_i32_iu8 v2, v232, v5, v2 neg_lo:[1,1,0]
	s_delay_alu instid0(VALU_DEP_2) | instskip(NEXT) | instid1(VALU_DEP_2)
	v_mad_i32_i24 v3, v246, v253, v3
	v_mul_lo_u32 v2, v2, v248
	s_delay_alu instid0(VALU_DEP_2) | instskip(SKIP_1) | instid1(VALU_DEP_1)
	v_dot4_i32_iu8 v3, v230, v223, v3 neg_lo:[1,1,0]
	s_set_vgpr_msb 4                        ;  msbs: dst=0 src0=0 src1=1 src2=0
	v_mad_i32_i24 v3, v254, v32 /*v288*/, v3
	s_set_vgpr_msb 0                        ;  msbs: dst=0 src0=0 src1=0 src2=0
	s_delay_alu instid0(VALU_DEP_1) | instskip(NEXT) | instid1(VALU_DEP_1)
	v_dot4_i32_iu8 v3, v224, v249, v3 neg_lo:[1,1,0]
	v_mad_i32_i24 v3, v231, v255, v3
	s_delay_alu instid0(VALU_DEP_1) | instskip(NEXT) | instid1(VALU_DEP_1)
	v_dot4_i32_iu8 v3, v199, v225, v3 neg_lo:[1,1,0]
	v_mad_u32 v2, v3, v239, v2
	s_delay_alu instid0(VALU_DEP_1) | instskip(NEXT) | instid1(VALU_DEP_1)
	v_cvt_f32_i32_e32 v2, v2
	v_mul_f32_e32 v227, v1, v2
	v_or_b32_e32 v1, s18, v126
	s_delay_alu instid0(VALU_DEP_2) | instskip(NEXT) | instid1(VALU_DEP_2)
	v_pk_add_f32 v[70:71], v[70:71], v[226:227]
	v_dual_lshlrev_b32 v6, 2, v1 :: v_dual_lshrrev_b32 v1, 1, v1
	ds_load_b32 v1, v1 offset:38816
	ds_load_b128 v[2:5], v6 offset:25344
	ds_load_b128 v[222:225], v6 offset:25360
	s_wait_dscnt 0x1
	v_bfe_i32 v7, v2, 0, 8
	v_bfe_i32 v115, v2, 8, 8
	v_perm_b32 v2, v2, v2, 0xc0c0302
	v_bfe_i32 v216, v3, 0, 8
	v_perm_b32 v3, v3, v3, 0xc030201
	;; [unrolled: 2-line block ×4, first 2 shown]
	s_wait_dscnt 0x0
	v_bfe_i32 v226, v222, 0, 8
	v_bfe_i32 v227, v222, 8, 8
	v_perm_b32 v222, v222, v222, 0xc0c0302
	v_bfe_i32 v234, v223, 0, 8
	v_perm_b32 v223, v223, v223, 0xc030201
	;; [unrolled: 2-line block ×4, first 2 shown]
	v_mul_i32_i24_e32 v6, v7, v166
	v_mul_i32_i24_e32 v114, v226, v174
	;; [unrolled: 1-line block ×3, first 2 shown]
	s_delay_alu instid0(VALU_DEP_3) | instskip(NEXT) | instid1(VALU_DEP_3)
	v_mad_i32_i24 v6, v115, v167, v6
	v_mad_i32_i24 v114, v227, v175, v114
	s_delay_alu instid0(VALU_DEP_3) | instskip(NEXT) | instid1(VALU_DEP_3)
	v_mad_i32_i24 v253, v227, v192, v253
	v_dot4_i32_iu8 v6, v2, v168, v6 neg_lo:[1,1,0]
	s_delay_alu instid0(VALU_DEP_3) | instskip(NEXT) | instid1(VALU_DEP_3)
	v_dot4_i32_iu8 v114, v222, v176, v114 neg_lo:[1,1,0]
	v_dot4_i32_iu8 v253, v222, v193, v253 neg_lo:[1,1,0]
	s_delay_alu instid0(VALU_DEP_3) | instskip(NEXT) | instid1(VALU_DEP_3)
	v_mad_i32_i24 v6, v216, v170, v6
	v_mad_i32_i24 v114, v234, v178, v114
	s_delay_alu instid0(VALU_DEP_3) | instskip(NEXT) | instid1(VALU_DEP_3)
	v_mad_i32_i24 v253, v234, v194, v253
	v_dot4_i32_iu8 v6, v3, v172, v6 neg_lo:[1,1,0]
	s_delay_alu instid0(VALU_DEP_3) | instskip(NEXT) | instid1(VALU_DEP_3)
	v_dot4_i32_iu8 v114, v223, v180, v114 neg_lo:[1,1,0]
	v_dot4_i32_iu8 v253, v223, v197, v253 neg_lo:[1,1,0]
	;; [unrolled: 9-line block ×4, first 2 shown]
	s_delay_alu instid0(VALU_DEP_3) | instskip(NEXT) | instid1(VALU_DEP_1)
	v_mul_lo_u32 v6, v6, v173
	v_mad_u32 v6, v114, v181, v6
	v_mul_f32_e32 v114, v165, v1
	s_delay_alu instid0(VALU_DEP_2) | instskip(NEXT) | instid1(VALU_DEP_1)
	v_cvt_f32_i32_e32 v6, v6
	v_mul_f32_e32 v6, v114, v6
	v_mul_i32_i24_e32 v114, v7, v183
	s_delay_alu instid0(VALU_DEP_1) | instskip(NEXT) | instid1(VALU_DEP_1)
	v_mad_i32_i24 v114, v115, v184, v114
	v_dot4_i32_iu8 v114, v2, v185, v114 neg_lo:[1,1,0]
	s_delay_alu instid0(VALU_DEP_1) | instskip(NEXT) | instid1(VALU_DEP_1)
	v_mad_i32_i24 v114, v216, v186, v114
	v_dot4_i32_iu8 v114, v3, v189, v114 neg_lo:[1,1,0]
	;; [unrolled: 3-line block ×4, first 2 shown]
	s_delay_alu instid0(VALU_DEP_1) | instskip(NEXT) | instid1(VALU_DEP_1)
	v_mul_lo_u32 v114, v114, v190
	v_mad_u32 v114, v253, v198, v114
	v_mul_f32_e32 v253, v182, v1
	s_delay_alu instid0(VALU_DEP_2) | instskip(NEXT) | instid1(VALU_DEP_1)
	v_cvt_f32_i32_e32 v114, v114
	v_mul_f32_e32 v114, v253, v114
	v_mul_i32_i24_e32 v253, v7, v201
	s_set_vgpr_msb 1                        ;  msbs: dst=0 src0=1 src1=0 src2=0
	v_mul_i32_i24_e32 v7, v14 /*v270*/, v7
	s_set_vgpr_msb 0                        ;  msbs: dst=0 src0=0 src1=0 src2=0
	s_delay_alu instid0(VALU_DEP_2) | instskip(SKIP_1) | instid1(VALU_DEP_2)
	v_mad_i32_i24 v253, v115, v202, v253
	s_set_vgpr_msb 1                        ;  msbs: dst=0 src0=1 src1=0 src2=0
	v_mad_i32_i24 v7, v3 /*v259*/, v115, v7
	s_set_vgpr_msb 0                        ;  msbs: dst=0 src0=0 src1=0 src2=0
	s_delay_alu instid0(VALU_DEP_2) | instskip(SKIP_1) | instid1(VALU_DEP_2)
	v_dot4_i32_iu8 v253, v2, v203, v253 neg_lo:[1,1,0]
	s_set_vgpr_msb 1                        ;  msbs: dst=0 src0=1 src1=0 src2=0
	v_dot4_i32_iu8 v2, v4 /*v260*/, v2, v7 neg_lo:[1,1,0]
	s_set_vgpr_msb 0                        ;  msbs: dst=0 src0=0 src1=0 src2=0
	s_delay_alu instid0(VALU_DEP_2) | instskip(NEXT) | instid1(VALU_DEP_2)
	v_mad_i32_i24 v253, v216, v204, v253
	v_mad_i32_i24 v2, v245, v216, v2
	s_delay_alu instid0(VALU_DEP_2) | instskip(NEXT) | instid1(VALU_DEP_2)
	v_dot4_i32_iu8 v253, v3, v207, v253 neg_lo:[1,1,0]
	v_dot4_i32_iu8 v2, v238, v3, v2 neg_lo:[1,1,0]
	s_set_vgpr_msb 1                        ;  msbs: dst=0 src0=1 src1=0 src2=0
	v_mul_i32_i24_e32 v3, v20 /*v276*/, v226
	s_set_vgpr_msb 0                        ;  msbs: dst=0 src0=0 src1=0 src2=0
	v_mad_i32_i24 v253, v205, v219, v253
	s_set_vgpr_msb 4                        ;  msbs: dst=0 src0=0 src1=1 src2=0
	v_mad_i32_i24 v2, v219, v13 /*v269*/, v2
	s_set_vgpr_msb 1                        ;  msbs: dst=0 src0=1 src1=0 src2=0
	v_mad_i32_i24 v3, v17 /*v273*/, v227, v3
	s_set_vgpr_msb 0                        ;  msbs: dst=0 src0=0 src1=0 src2=0
	v_dot4_i32_iu8 v253, v236, v4, v253 neg_lo:[1,1,0]
	v_dot4_i32_iu8 v2, v4, v215, v2 neg_lo:[1,1,0]
	s_delay_alu instid0(VALU_DEP_3) | instskip(NEXT) | instid1(VALU_DEP_3)
	v_dot4_i32_iu8 v3, v220, v222, v3 neg_lo:[1,1,0]
	v_mad_i32_i24 v218, v206, v218, v253
	s_delay_alu instid0(VALU_DEP_3) | instskip(NEXT) | instid1(VALU_DEP_3)
	v_dot4_i32_iu8 v2, v232, v5, v2 neg_lo:[1,1,0]
	v_mad_i32_i24 v3, v246, v234, v3
	s_delay_alu instid0(VALU_DEP_3) | instskip(SKIP_1) | instid1(VALU_DEP_3)
	v_dot4_i32_iu8 v218, v237, v252, v218 neg_lo:[1,1,0]
	v_mul_i32_i24_e32 v252, v226, v209
	v_dot4_i32_iu8 v3, v230, v223, v3 neg_lo:[1,1,0]
	v_mul_lo_u32 v2, v2, v248
	s_delay_alu instid0(VALU_DEP_4) | instskip(NEXT) | instid1(VALU_DEP_4)
	v_mul_lo_u32 v218, v218, v208
	v_mad_i32_i24 v252, v227, v210, v252
	s_set_vgpr_msb 4                        ;  msbs: dst=0 src0=0 src1=1 src2=0
	v_mad_i32_i24 v3, v250, v32 /*v288*/, v3
	s_set_vgpr_msb 0                        ;  msbs: dst=0 src0=0 src1=0 src2=0
	s_delay_alu instid0(VALU_DEP_2) | instskip(NEXT) | instid1(VALU_DEP_2)
	v_dot4_i32_iu8 v252, v222, v211, v252 neg_lo:[1,1,0]
	v_dot4_i32_iu8 v3, v224, v249, v3 neg_lo:[1,1,0]
	s_delay_alu instid0(VALU_DEP_2) | instskip(NEXT) | instid1(VALU_DEP_2)
	v_mad_i32_i24 v252, v234, v212, v252
	v_mad_i32_i24 v3, v231, v251, v3
	s_delay_alu instid0(VALU_DEP_2) | instskip(NEXT) | instid1(VALU_DEP_2)
	v_dot4_i32_iu8 v252, v223, v217, v252 neg_lo:[1,1,0]
	v_dot4_i32_iu8 v3, v199, v225, v3 neg_lo:[1,1,0]
	s_delay_alu instid0(VALU_DEP_2) | instskip(NEXT) | instid1(VALU_DEP_2)
	v_mad_i32_i24 v252, v213, v250, v252
	v_mad_u32 v2, v3, v239, v2
	s_delay_alu instid0(VALU_DEP_2) | instskip(NEXT) | instid1(VALU_DEP_1)
	v_dot4_i32_iu8 v252, v244, v224, v252 neg_lo:[1,1,0]
	v_mad_i32_i24 v252, v214, v251, v252
	s_delay_alu instid0(VALU_DEP_3) | instskip(NEXT) | instid1(VALU_DEP_2)
	v_cvt_f32_i32_e32 v2, v2
	v_dot4_i32_iu8 v252, v247, v225, v252 neg_lo:[1,1,0]
	s_delay_alu instid0(VALU_DEP_1) | instskip(SKIP_2) | instid1(VALU_DEP_1)
	v_mad_u32 v218, v252, v221, v218
	v_mul_f32_e32 v252, v200, v1
	v_mul_f32_e32 v1, v0, v1
	v_dual_mul_f32 v226, v1, v2 :: v_dual_bitop2_b32 v1, s18, v127 bitop3:0x54
	s_delay_alu instid0(VALU_DEP_4) | instskip(NEXT) | instid1(VALU_DEP_2)
	v_cvt_f32_i32_e32 v218, v218
	v_dual_lshlrev_b32 v7, 2, v1 :: v_dual_lshrrev_b32 v1, 1, v1
	ds_load_b32 v1, v1 offset:38816
	ds_load_b128 v[2:5], v7 offset:25344
	ds_load_b128 v[222:225], v7 offset:25360
	v_mul_f32_e32 v218, v252, v218
	s_wait_dscnt 0x1
	v_bfe_i32 v216, v2, 0, 8
	v_bfe_i32 v227, v2, 8, 8
	v_perm_b32 v2, v2, v2, 0xc0c0302
	v_bfe_i32 v234, v3, 0, 8
	v_perm_b32 v3, v3, v3, 0xc030201
	;; [unrolled: 2-line block ×3, first 2 shown]
	v_bfe_i32 v219, v5, 0, 8
	s_wait_dscnt 0x0
	v_bfe_i32 v251, v222, 0, 8
	v_bfe_i32 v252, v222, 8, 8
	v_perm_b32 v222, v222, v222, 0xc0c0302
	v_bfe_i32 v253, v223, 0, 8
	v_mul_i32_i24_e32 v7, v216, v166
	v_mul_i32_i24_e32 v115, v251, v174
	v_perm_b32 v223, v223, v223, 0xc030201
	v_bfe_i32 v254, v224, 0, 8
	s_set_vgpr_msb 64                       ;  msbs: dst=1 src0=0 src1=0 src2=0
	v_perm_b32 v0 /*v256*/, v5, v5, 0xc030201
	s_set_vgpr_msb 0                        ;  msbs: dst=0 src0=0 src1=0 src2=0
	v_mad_i32_i24 v7, v227, v167, v7
	v_mad_i32_i24 v115, v252, v175, v115
	v_perm_b32 v224, v224, v224, 0xc030201
	v_bfe_i32 v255, v225, 0, 8
	v_perm_b32 v225, v225, v225, 0xc030201
	v_dot4_i32_iu8 v7, v2, v168, v7 neg_lo:[1,1,0]
	v_dot4_i32_iu8 v115, v222, v176, v115 neg_lo:[1,1,0]
	s_delay_alu instid0(VALU_DEP_2) | instskip(NEXT) | instid1(VALU_DEP_2)
	v_mad_i32_i24 v7, v234, v170, v7
	v_mad_i32_i24 v115, v253, v178, v115
	s_delay_alu instid0(VALU_DEP_2) | instskip(NEXT) | instid1(VALU_DEP_2)
	v_dot4_i32_iu8 v7, v3, v172, v7 neg_lo:[1,1,0]
	v_dot4_i32_iu8 v115, v223, v180, v115 neg_lo:[1,1,0]
	s_delay_alu instid0(VALU_DEP_2) | instskip(NEXT) | instid1(VALU_DEP_2)
	v_mad_i32_i24 v7, v169, v250, v7
	v_mad_i32_i24 v115, v177, v254, v115
	s_delay_alu instid0(VALU_DEP_2) | instskip(NEXT) | instid1(VALU_DEP_2)
	v_dot4_i32_iu8 v7, v228, v4, v7 neg_lo:[1,1,0]
	v_dot4_i32_iu8 v115, v233, v224, v115 neg_lo:[1,1,0]
	s_delay_alu instid0(VALU_DEP_2) | instskip(NEXT) | instid1(VALU_DEP_2)
	v_mad_i32_i24 v7, v171, v219, v7
	v_mad_i32_i24 v115, v179, v255, v115
	s_set_vgpr_msb 4                        ;  msbs: dst=0 src0=0 src1=1 src2=0
	s_delay_alu instid0(VALU_DEP_2) | instskip(SKIP_1) | instid1(VALU_DEP_2)
	v_dot4_i32_iu8 v7, v229, v0 /*v256*/, v7 neg_lo:[1,1,0]
	s_set_vgpr_msb 0                        ;  msbs: dst=0 src0=0 src1=0 src2=0
	v_dot4_i32_iu8 v115, v235, v225, v115 neg_lo:[1,1,0]
	s_delay_alu instid0(VALU_DEP_2) | instskip(NEXT) | instid1(VALU_DEP_1)
	v_mul_lo_u32 v7, v7, v173
	v_mad_u32 v7, v115, v181, v7
	v_mul_f32_e32 v115, v165, v1
	s_delay_alu instid0(VALU_DEP_2) | instskip(NEXT) | instid1(VALU_DEP_1)
	v_cvt_f32_i32_e32 v7, v7
	v_mul_f32_e32 v7, v115, v7
	s_delay_alu instid0(VALU_DEP_1) | instskip(SKIP_2) | instid1(VALU_DEP_2)
	v_pk_add_f32 v[72:73], v[72:73], v[6:7]
	v_mul_i32_i24_e32 v6, v216, v183
	v_mul_i32_i24_e32 v7, v251, v191
	v_mad_i32_i24 v6, v227, v184, v6
	s_delay_alu instid0(VALU_DEP_2) | instskip(NEXT) | instid1(VALU_DEP_2)
	v_mad_i32_i24 v7, v252, v192, v7
	v_dot4_i32_iu8 v6, v2, v185, v6 neg_lo:[1,1,0]
	s_delay_alu instid0(VALU_DEP_2) | instskip(NEXT) | instid1(VALU_DEP_2)
	v_dot4_i32_iu8 v7, v222, v193, v7 neg_lo:[1,1,0]
	v_mad_i32_i24 v6, v234, v186, v6
	s_delay_alu instid0(VALU_DEP_2) | instskip(NEXT) | instid1(VALU_DEP_2)
	v_mad_i32_i24 v7, v253, v194, v7
	v_dot4_i32_iu8 v6, v3, v189, v6 neg_lo:[1,1,0]
	s_delay_alu instid0(VALU_DEP_2) | instskip(NEXT) | instid1(VALU_DEP_2)
	v_dot4_i32_iu8 v7, v223, v197, v7 neg_lo:[1,1,0]
	v_mad_i32_i24 v6, v187, v250, v6
	s_delay_alu instid0(VALU_DEP_2) | instskip(NEXT) | instid1(VALU_DEP_2)
	v_mad_i32_i24 v7, v195, v254, v7
	v_dot4_i32_iu8 v6, v240, v4, v6 neg_lo:[1,1,0]
	s_delay_alu instid0(VALU_DEP_2) | instskip(NEXT) | instid1(VALU_DEP_2)
	v_dot4_i32_iu8 v7, v242, v224, v7 neg_lo:[1,1,0]
	v_mad_i32_i24 v6, v188, v219, v6
	s_delay_alu instid0(VALU_DEP_2) | instskip(SKIP_1) | instid1(VALU_DEP_2)
	v_mad_i32_i24 v7, v196, v255, v7
	s_set_vgpr_msb 4                        ;  msbs: dst=0 src0=0 src1=1 src2=0
	v_dot4_i32_iu8 v6, v241, v0 /*v256*/, v6 neg_lo:[1,1,0]
	s_set_vgpr_msb 0                        ;  msbs: dst=0 src0=0 src1=0 src2=0
	s_delay_alu instid0(VALU_DEP_2) | instskip(NEXT) | instid1(VALU_DEP_2)
	v_dot4_i32_iu8 v7, v243, v225, v7 neg_lo:[1,1,0]
	v_mul_lo_u32 v6, v6, v190
	s_delay_alu instid0(VALU_DEP_1) | instskip(SKIP_1) | instid1(VALU_DEP_2)
	v_mad_u32 v6, v7, v198, v6
	v_mul_f32_e32 v7, v182, v1
	v_cvt_f32_i32_e32 v6, v6
	s_delay_alu instid0(VALU_DEP_1) | instskip(SKIP_2) | instid1(VALU_DEP_3)
	v_mul_f32_e32 v115, v7, v6
	v_mul_i32_i24_e32 v6, v216, v201
	v_mul_i32_i24_e32 v7, v251, v209
	v_pk_add_f32 v[78:79], v[78:79], v[114:115]
	s_delay_alu instid0(VALU_DEP_3) | instskip(NEXT) | instid1(VALU_DEP_3)
	v_mad_i32_i24 v6, v227, v202, v6
	v_mad_i32_i24 v7, v252, v210, v7
	s_delay_alu instid0(VALU_DEP_2) | instskip(NEXT) | instid1(VALU_DEP_2)
	v_dot4_i32_iu8 v6, v2, v203, v6 neg_lo:[1,1,0]
	v_dot4_i32_iu8 v7, v222, v211, v7 neg_lo:[1,1,0]
	s_delay_alu instid0(VALU_DEP_2) | instskip(NEXT) | instid1(VALU_DEP_2)
	v_mad_i32_i24 v6, v234, v204, v6
	v_mad_i32_i24 v7, v253, v212, v7
	s_delay_alu instid0(VALU_DEP_2) | instskip(NEXT) | instid1(VALU_DEP_2)
	v_dot4_i32_iu8 v6, v3, v207, v6 neg_lo:[1,1,0]
	v_dot4_i32_iu8 v7, v223, v217, v7 neg_lo:[1,1,0]
	s_delay_alu instid0(VALU_DEP_2) | instskip(NEXT) | instid1(VALU_DEP_2)
	;; [unrolled: 6-line block ×3, first 2 shown]
	v_mad_i32_i24 v6, v206, v219, v6
	v_mad_i32_i24 v7, v214, v255, v7
	s_set_vgpr_msb 4                        ;  msbs: dst=0 src0=0 src1=1 src2=0
	s_delay_alu instid0(VALU_DEP_2) | instskip(SKIP_1) | instid1(VALU_DEP_2)
	v_dot4_i32_iu8 v6, v237, v0 /*v256*/, v6 neg_lo:[1,1,0]
	s_set_vgpr_msb 0                        ;  msbs: dst=0 src0=0 src1=0 src2=0
	v_dot4_i32_iu8 v7, v247, v225, v7 neg_lo:[1,1,0]
	s_delay_alu instid0(VALU_DEP_2) | instskip(NEXT) | instid1(VALU_DEP_1)
	v_mul_lo_u32 v6, v6, v208
	v_mad_u32 v6, v7, v221, v6
	v_mul_f32_e32 v7, v200, v1
	v_mul_f32_e32 v1, v0, v1
	s_delay_alu instid0(VALU_DEP_3) | instskip(NEXT) | instid1(VALU_DEP_1)
	v_cvt_f32_i32_e32 v6, v6
	v_mul_f32_e32 v219, v7, v6
	s_set_vgpr_msb 1                        ;  msbs: dst=0 src0=1 src1=0 src2=0
	v_mul_i32_i24_e32 v6, v14 /*v270*/, v216
	s_set_vgpr_msb 0                        ;  msbs: dst=0 src0=0 src1=0 src2=0
	s_delay_alu instid0(VALU_DEP_2) | instskip(SKIP_1) | instid1(VALU_DEP_2)
	v_pk_add_f32 v[84:85], v[84:85], v[218:219]
	s_set_vgpr_msb 1                        ;  msbs: dst=0 src0=1 src1=0 src2=0
	v_mad_i32_i24 v6, v3 /*v259*/, v227, v6
	s_delay_alu instid0(VALU_DEP_1) | instskip(SKIP_1) | instid1(VALU_DEP_1)
	v_dot4_i32_iu8 v2, v4 /*v260*/, v2, v6 neg_lo:[1,1,0]
	s_set_vgpr_msb 0                        ;  msbs: dst=0 src0=0 src1=0 src2=0
	v_mad_i32_i24 v2, v245, v234, v2
	s_delay_alu instid0(VALU_DEP_1) | instskip(SKIP_3) | instid1(VALU_DEP_2)
	v_dot4_i32_iu8 v2, v238, v3, v2 neg_lo:[1,1,0]
	s_set_vgpr_msb 1                        ;  msbs: dst=0 src0=1 src1=0 src2=0
	v_mul_i32_i24_e32 v3, v20 /*v276*/, v251
	s_set_vgpr_msb 4                        ;  msbs: dst=0 src0=0 src1=1 src2=0
	v_mad_i32_i24 v2, v250, v13 /*v269*/, v2
	s_set_vgpr_msb 1                        ;  msbs: dst=0 src0=1 src1=0 src2=0
	s_delay_alu instid0(VALU_DEP_2) | instskip(SKIP_1) | instid1(VALU_DEP_2)
	v_mad_i32_i24 v3, v17 /*v273*/, v252, v3
	s_set_vgpr_msb 0                        ;  msbs: dst=0 src0=0 src1=0 src2=0
	v_dot4_i32_iu8 v2, v4, v215, v2 neg_lo:[1,1,0]
	s_delay_alu instid0(VALU_DEP_2) | instskip(NEXT) | instid1(VALU_DEP_2)
	v_dot4_i32_iu8 v3, v220, v222, v3 neg_lo:[1,1,0]
	v_dot4_i32_iu8 v2, v232, v5, v2 neg_lo:[1,1,0]
	s_delay_alu instid0(VALU_DEP_2) | instskip(NEXT) | instid1(VALU_DEP_2)
	v_mad_i32_i24 v3, v246, v253, v3
	v_mul_lo_u32 v2, v2, v248
	s_delay_alu instid0(VALU_DEP_2) | instskip(SKIP_1) | instid1(VALU_DEP_1)
	v_dot4_i32_iu8 v3, v230, v223, v3 neg_lo:[1,1,0]
	s_set_vgpr_msb 4                        ;  msbs: dst=0 src0=0 src1=1 src2=0
	v_mad_i32_i24 v3, v254, v32 /*v288*/, v3
	s_set_vgpr_msb 0                        ;  msbs: dst=0 src0=0 src1=0 src2=0
	s_delay_alu instid0(VALU_DEP_1) | instskip(NEXT) | instid1(VALU_DEP_1)
	v_dot4_i32_iu8 v3, v224, v249, v3 neg_lo:[1,1,0]
	v_mad_i32_i24 v3, v231, v255, v3
	s_delay_alu instid0(VALU_DEP_1) | instskip(NEXT) | instid1(VALU_DEP_1)
	v_dot4_i32_iu8 v3, v199, v225, v3 neg_lo:[1,1,0]
	v_mad_u32 v2, v3, v239, v2
	s_delay_alu instid0(VALU_DEP_1) | instskip(NEXT) | instid1(VALU_DEP_1)
	v_cvt_f32_i32_e32 v2, v2
	v_dual_mul_f32 v227, v1, v2 :: v_dual_bitop2_b32 v1, s18, v128 bitop3:0x54
	s_delay_alu instid0(VALU_DEP_1) | instskip(NEXT) | instid1(VALU_DEP_2)
	v_pk_add_f32 v[50:51], v[50:51], v[226:227]
	v_dual_lshlrev_b32 v6, 2, v1 :: v_dual_lshrrev_b32 v1, 1, v1
	ds_load_b32 v1, v1 offset:38816
	ds_load_b128 v[2:5], v6 offset:25344
	ds_load_b128 v[222:225], v6 offset:25360
	s_wait_dscnt 0x1
	v_bfe_i32 v7, v2, 0, 8
	v_bfe_i32 v115, v2, 8, 8
	v_perm_b32 v2, v2, v2, 0xc0c0302
	s_wait_dscnt 0x0
	v_bfe_i32 v226, v222, 0, 8
	v_bfe_i32 v218, v3, 0, 8
	v_mul_i32_i24_e32 v6, v7, v166
	v_bfe_i32 v227, v222, 8, 8
	v_perm_b32 v3, v3, v3, 0xc030201
	v_mul_i32_i24_e32 v114, v226, v174
	v_perm_b32 v222, v222, v222, 0xc0c0302
	v_mad_i32_i24 v6, v115, v167, v6
	v_bfe_i32 v219, v4, 0, 8
	v_bfe_i32 v234, v223, 0, 8
	v_mad_i32_i24 v114, v227, v175, v114
	v_perm_b32 v4, v4, v4, 0xc030201
	v_dot4_i32_iu8 v6, v2, v168, v6 neg_lo:[1,1,0]
	v_perm_b32 v223, v223, v223, 0xc030201
	v_bfe_i32 v216, v5, 0, 8
	v_dot4_i32_iu8 v114, v222, v176, v114 neg_lo:[1,1,0]
	v_bfe_i32 v250, v224, 0, 8
	v_mad_i32_i24 v6, v218, v170, v6
	v_perm_b32 v252, v5, v5, 0xc030201
	v_perm_b32 v224, v224, v224, 0xc030201
	v_mad_i32_i24 v114, v234, v178, v114
	v_bfe_i32 v251, v225, 0, 8
	v_dot4_i32_iu8 v6, v3, v172, v6 neg_lo:[1,1,0]
	v_perm_b32 v225, v225, v225, 0xc030201
	v_mul_i32_i24_e32 v253, v226, v191
	v_dot4_i32_iu8 v114, v223, v180, v114 neg_lo:[1,1,0]
	s_delay_alu instid0(VALU_DEP_4) | instskip(NEXT) | instid1(VALU_DEP_3)
	v_mad_i32_i24 v6, v169, v219, v6
	v_mad_i32_i24 v253, v227, v192, v253
	s_delay_alu instid0(VALU_DEP_3) | instskip(NEXT) | instid1(VALU_DEP_3)
	v_mad_i32_i24 v114, v177, v250, v114
	v_dot4_i32_iu8 v6, v228, v4, v6 neg_lo:[1,1,0]
	s_delay_alu instid0(VALU_DEP_3) | instskip(NEXT) | instid1(VALU_DEP_3)
	v_dot4_i32_iu8 v253, v222, v193, v253 neg_lo:[1,1,0]
	v_dot4_i32_iu8 v114, v233, v224, v114 neg_lo:[1,1,0]
	s_delay_alu instid0(VALU_DEP_3) | instskip(NEXT) | instid1(VALU_DEP_3)
	v_mad_i32_i24 v6, v171, v216, v6
	v_mad_i32_i24 v253, v234, v194, v253
	s_delay_alu instid0(VALU_DEP_3) | instskip(NEXT) | instid1(VALU_DEP_3)
	v_mad_i32_i24 v114, v179, v251, v114
	v_dot4_i32_iu8 v6, v229, v252, v6 neg_lo:[1,1,0]
	s_delay_alu instid0(VALU_DEP_3) | instskip(NEXT) | instid1(VALU_DEP_3)
	v_dot4_i32_iu8 v253, v223, v197, v253 neg_lo:[1,1,0]
	v_dot4_i32_iu8 v114, v235, v225, v114 neg_lo:[1,1,0]
	s_delay_alu instid0(VALU_DEP_3) | instskip(NEXT) | instid1(VALU_DEP_3)
	v_mul_lo_u32 v6, v6, v173
	v_mad_i32_i24 v253, v195, v250, v253
	s_delay_alu instid0(VALU_DEP_1) | instskip(NEXT) | instid1(VALU_DEP_3)
	v_dot4_i32_iu8 v253, v242, v224, v253 neg_lo:[1,1,0]
	v_mad_u32 v6, v114, v181, v6
	v_mul_f32_e32 v114, v165, v1
	s_delay_alu instid0(VALU_DEP_3) | instskip(NEXT) | instid1(VALU_DEP_1)
	v_mad_i32_i24 v253, v196, v251, v253
	v_dot4_i32_iu8 v253, v243, v225, v253 neg_lo:[1,1,0]
	s_delay_alu instid0(VALU_DEP_4) | instskip(NEXT) | instid1(VALU_DEP_1)
	v_cvt_f32_i32_e32 v6, v6
	v_mul_f32_e32 v6, v114, v6
	v_mul_i32_i24_e32 v114, v7, v183
	s_delay_alu instid0(VALU_DEP_1) | instskip(NEXT) | instid1(VALU_DEP_1)
	v_mad_i32_i24 v114, v115, v184, v114
	v_dot4_i32_iu8 v114, v2, v185, v114 neg_lo:[1,1,0]
	s_delay_alu instid0(VALU_DEP_1) | instskip(NEXT) | instid1(VALU_DEP_1)
	v_mad_i32_i24 v114, v218, v186, v114
	v_dot4_i32_iu8 v114, v3, v189, v114 neg_lo:[1,1,0]
	;; [unrolled: 3-line block ×4, first 2 shown]
	s_delay_alu instid0(VALU_DEP_1) | instskip(NEXT) | instid1(VALU_DEP_1)
	v_mul_lo_u32 v114, v114, v190
	v_mad_u32 v114, v253, v198, v114
	v_mul_f32_e32 v253, v182, v1
	s_delay_alu instid0(VALU_DEP_2) | instskip(NEXT) | instid1(VALU_DEP_1)
	v_cvt_f32_i32_e32 v114, v114
	v_mul_f32_e32 v114, v253, v114
	v_mul_i32_i24_e32 v253, v7, v201
	s_set_vgpr_msb 1                        ;  msbs: dst=0 src0=1 src1=0 src2=0
	v_mul_i32_i24_e32 v7, v14 /*v270*/, v7
	s_set_vgpr_msb 0                        ;  msbs: dst=0 src0=0 src1=0 src2=0
	s_delay_alu instid0(VALU_DEP_2) | instskip(SKIP_1) | instid1(VALU_DEP_2)
	v_mad_i32_i24 v253, v115, v202, v253
	s_set_vgpr_msb 1                        ;  msbs: dst=0 src0=1 src1=0 src2=0
	v_mad_i32_i24 v7, v3 /*v259*/, v115, v7
	s_set_vgpr_msb 0                        ;  msbs: dst=0 src0=0 src1=0 src2=0
	s_delay_alu instid0(VALU_DEP_2) | instskip(SKIP_1) | instid1(VALU_DEP_2)
	v_dot4_i32_iu8 v253, v2, v203, v253 neg_lo:[1,1,0]
	s_set_vgpr_msb 1                        ;  msbs: dst=0 src0=1 src1=0 src2=0
	v_dot4_i32_iu8 v2, v4 /*v260*/, v2, v7 neg_lo:[1,1,0]
	s_set_vgpr_msb 0                        ;  msbs: dst=0 src0=0 src1=0 src2=0
	s_delay_alu instid0(VALU_DEP_2) | instskip(NEXT) | instid1(VALU_DEP_2)
	v_mad_i32_i24 v253, v218, v204, v253
	v_mad_i32_i24 v2, v245, v218, v2
	s_delay_alu instid0(VALU_DEP_2) | instskip(NEXT) | instid1(VALU_DEP_2)
	v_dot4_i32_iu8 v253, v3, v207, v253 neg_lo:[1,1,0]
	v_dot4_i32_iu8 v2, v238, v3, v2 neg_lo:[1,1,0]
	s_set_vgpr_msb 1                        ;  msbs: dst=0 src0=1 src1=0 src2=0
	v_mul_i32_i24_e32 v3, v20 /*v276*/, v226
	s_set_vgpr_msb 0                        ;  msbs: dst=0 src0=0 src1=0 src2=0
	v_mad_i32_i24 v253, v205, v219, v253
	s_set_vgpr_msb 4                        ;  msbs: dst=0 src0=0 src1=1 src2=0
	v_mad_i32_i24 v2, v219, v13 /*v269*/, v2
	s_set_vgpr_msb 1                        ;  msbs: dst=0 src0=1 src1=0 src2=0
	v_mad_i32_i24 v3, v17 /*v273*/, v227, v3
	s_set_vgpr_msb 0                        ;  msbs: dst=0 src0=0 src1=0 src2=0
	v_dot4_i32_iu8 v253, v236, v4, v253 neg_lo:[1,1,0]
	v_dot4_i32_iu8 v2, v4, v215, v2 neg_lo:[1,1,0]
	s_delay_alu instid0(VALU_DEP_3) | instskip(NEXT) | instid1(VALU_DEP_3)
	v_dot4_i32_iu8 v3, v220, v222, v3 neg_lo:[1,1,0]
	v_mad_i32_i24 v216, v206, v216, v253
	s_delay_alu instid0(VALU_DEP_3) | instskip(NEXT) | instid1(VALU_DEP_3)
	v_dot4_i32_iu8 v2, v232, v5, v2 neg_lo:[1,1,0]
	v_mad_i32_i24 v3, v246, v234, v3
	s_delay_alu instid0(VALU_DEP_3) | instskip(SKIP_1) | instid1(VALU_DEP_3)
	v_dot4_i32_iu8 v216, v237, v252, v216 neg_lo:[1,1,0]
	v_mul_i32_i24_e32 v252, v226, v209
	v_dot4_i32_iu8 v3, v230, v223, v3 neg_lo:[1,1,0]
	v_mul_lo_u32 v2, v2, v248
	s_delay_alu instid0(VALU_DEP_4) | instskip(NEXT) | instid1(VALU_DEP_4)
	v_mul_lo_u32 v216, v216, v208
	v_mad_i32_i24 v252, v227, v210, v252
	s_set_vgpr_msb 4                        ;  msbs: dst=0 src0=0 src1=1 src2=0
	v_mad_i32_i24 v3, v250, v32 /*v288*/, v3
	s_set_vgpr_msb 0                        ;  msbs: dst=0 src0=0 src1=0 src2=0
	s_delay_alu instid0(VALU_DEP_2) | instskip(NEXT) | instid1(VALU_DEP_2)
	v_dot4_i32_iu8 v252, v222, v211, v252 neg_lo:[1,1,0]
	v_dot4_i32_iu8 v3, v224, v249, v3 neg_lo:[1,1,0]
	s_delay_alu instid0(VALU_DEP_2) | instskip(NEXT) | instid1(VALU_DEP_2)
	v_mad_i32_i24 v252, v234, v212, v252
	v_mad_i32_i24 v3, v231, v251, v3
	s_delay_alu instid0(VALU_DEP_2) | instskip(NEXT) | instid1(VALU_DEP_2)
	v_dot4_i32_iu8 v252, v223, v217, v252 neg_lo:[1,1,0]
	v_dot4_i32_iu8 v3, v199, v225, v3 neg_lo:[1,1,0]
	s_delay_alu instid0(VALU_DEP_2) | instskip(NEXT) | instid1(VALU_DEP_2)
	v_mad_i32_i24 v252, v213, v250, v252
	v_mad_u32 v2, v3, v239, v2
	s_delay_alu instid0(VALU_DEP_2) | instskip(NEXT) | instid1(VALU_DEP_1)
	v_dot4_i32_iu8 v252, v244, v224, v252 neg_lo:[1,1,0]
	v_mad_i32_i24 v252, v214, v251, v252
	s_delay_alu instid0(VALU_DEP_3) | instskip(NEXT) | instid1(VALU_DEP_2)
	v_cvt_f32_i32_e32 v2, v2
	v_dot4_i32_iu8 v252, v247, v225, v252 neg_lo:[1,1,0]
	s_delay_alu instid0(VALU_DEP_1) | instskip(SKIP_2) | instid1(VALU_DEP_1)
	v_mad_u32 v216, v252, v221, v216
	v_mul_f32_e32 v252, v200, v1
	v_mul_f32_e32 v1, v0, v1
	v_dual_mul_f32 v218, v1, v2 :: v_dual_bitop2_b32 v1, s18, v129 bitop3:0x54
	s_delay_alu instid0(VALU_DEP_4) | instskip(NEXT) | instid1(VALU_DEP_2)
	v_cvt_f32_i32_e32 v216, v216
	v_dual_lshlrev_b32 v7, 2, v1 :: v_dual_lshrrev_b32 v1, 1, v1
	ds_load_b32 v1, v1 offset:38816
	ds_load_b128 v[2:5], v7 offset:25344
	ds_load_b128 v[222:225], v7 offset:25360
	v_mul_f32_e32 v216, v252, v216
	s_wait_dscnt 0x2
	v_mul_f32_e32 v0, v0, v1
	s_wait_dscnt 0x1
	v_bfe_i32 v219, v2, 0, 8
	v_bfe_i32 v226, v2, 8, 8
	v_perm_b32 v2, v2, v2, 0xc0c0302
	s_wait_dscnt 0x0
	v_bfe_i32 v251, v222, 0, 8
	v_bfe_i32 v227, v3, 0, 8
	v_mul_i32_i24_e32 v7, v219, v166
	v_bfe_i32 v252, v222, 8, 8
	v_perm_b32 v3, v3, v3, 0xc030201
	v_mul_i32_i24_e32 v115, v251, v174
	v_bfe_i32 v234, v4, 0, 8
	v_mad_i32_i24 v7, v226, v167, v7
	v_perm_b32 v167, v222, v222, 0xc0c0302
	v_bfe_i32 v253, v223, 0, 8
	v_mad_i32_i24 v115, v252, v175, v115
	v_perm_b32 v4, v4, v4, 0xc030201
	v_dot4_i32_iu8 v7, v2, v168, v7 neg_lo:[1,1,0]
	v_perm_b32 v168, v223, v223, 0xc030201
	v_bfe_i32 v250, v5, 0, 8
	v_dot4_i32_iu8 v115, v167, v176, v115 neg_lo:[1,1,0]
	v_bfe_i32 v254, v224, 0, 8
	v_mad_i32_i24 v7, v227, v170, v7
	v_perm_b32 v166, v5, v5, 0xc030201
	v_bfe_i32 v255, v225, 0, 8
	v_mad_i32_i24 v115, v253, v178, v115
	v_perm_b32 v170, v225, v225, 0xc030201
	v_dot4_i32_iu8 v7, v3, v172, v7 neg_lo:[1,1,0]
	s_delay_alu instid0(VALU_DEP_3) | instskip(NEXT) | instid1(VALU_DEP_2)
	v_dot4_i32_iu8 v115, v168, v180, v115 neg_lo:[1,1,0]
	v_mad_i32_i24 v7, v169, v234, v7
	v_perm_b32 v169, v224, v224, 0xc030201
	s_delay_alu instid0(VALU_DEP_3) | instskip(NEXT) | instid1(VALU_DEP_3)
	v_mad_i32_i24 v115, v177, v254, v115
	v_dot4_i32_iu8 v7, v228, v4, v7 neg_lo:[1,1,0]
	s_delay_alu instid0(VALU_DEP_2) | instskip(NEXT) | instid1(VALU_DEP_2)
	v_dot4_i32_iu8 v115, v233, v169, v115 neg_lo:[1,1,0]
	v_mad_i32_i24 v7, v171, v250, v7
	s_delay_alu instid0(VALU_DEP_2) | instskip(NEXT) | instid1(VALU_DEP_2)
	v_mad_i32_i24 v115, v179, v255, v115
	v_dot4_i32_iu8 v7, v229, v166, v7 neg_lo:[1,1,0]
	s_delay_alu instid0(VALU_DEP_2) | instskip(NEXT) | instid1(VALU_DEP_2)
	v_dot4_i32_iu8 v115, v235, v170, v115 neg_lo:[1,1,0]
	v_mul_lo_u32 v7, v7, v173
	s_delay_alu instid0(VALU_DEP_1) | instskip(SKIP_1) | instid1(VALU_DEP_2)
	v_mad_u32 v7, v115, v181, v7
	v_mul_f32_e32 v115, v165, v1
	v_cvt_f32_i32_e32 v7, v7
	s_delay_alu instid0(VALU_DEP_1) | instskip(NEXT) | instid1(VALU_DEP_1)
	v_mul_f32_e32 v7, v115, v7
	v_pk_add_f32 v[52:53], v[52:53], v[6:7]
	v_mul_i32_i24_e32 v6, v219, v183
	v_mul_i32_i24_e32 v7, v251, v191
	s_delay_alu instid0(VALU_DEP_2) | instskip(NEXT) | instid1(VALU_DEP_2)
	v_mad_i32_i24 v6, v226, v184, v6
	v_mad_i32_i24 v7, v252, v192, v7
	s_delay_alu instid0(VALU_DEP_2) | instskip(NEXT) | instid1(VALU_DEP_2)
	v_dot4_i32_iu8 v6, v2, v185, v6 neg_lo:[1,1,0]
	v_dot4_i32_iu8 v7, v167, v193, v7 neg_lo:[1,1,0]
	s_delay_alu instid0(VALU_DEP_2) | instskip(NEXT) | instid1(VALU_DEP_2)
	v_mad_i32_i24 v6, v227, v186, v6
	v_mad_i32_i24 v7, v253, v194, v7
	s_delay_alu instid0(VALU_DEP_2) | instskip(NEXT) | instid1(VALU_DEP_2)
	v_dot4_i32_iu8 v6, v3, v189, v6 neg_lo:[1,1,0]
	v_dot4_i32_iu8 v7, v168, v197, v7 neg_lo:[1,1,0]
	;; [unrolled: 6-line block ×4, first 2 shown]
	s_delay_alu instid0(VALU_DEP_2) | instskip(NEXT) | instid1(VALU_DEP_1)
	v_mul_lo_u32 v6, v6, v190
	v_mad_u32 v6, v7, v198, v6
	v_mul_f32_e32 v7, v182, v1
	s_delay_alu instid0(VALU_DEP_2) | instskip(NEXT) | instid1(VALU_DEP_1)
	v_cvt_f32_i32_e32 v6, v6
	v_mul_f32_e32 v115, v7, v6
	v_mul_i32_i24_e32 v6, v219, v201
	v_mul_i32_i24_e32 v7, v251, v209
	s_delay_alu instid0(VALU_DEP_3) | instskip(NEXT) | instid1(VALU_DEP_3)
	v_pk_add_f32 v[58:59], v[58:59], v[114:115]
	v_mad_i32_i24 v6, v226, v202, v6
	s_delay_alu instid0(VALU_DEP_3) | instskip(NEXT) | instid1(VALU_DEP_2)
	v_mad_i32_i24 v7, v252, v210, v7
	v_dot4_i32_iu8 v6, v2, v203, v6 neg_lo:[1,1,0]
	s_delay_alu instid0(VALU_DEP_2) | instskip(NEXT) | instid1(VALU_DEP_2)
	v_dot4_i32_iu8 v7, v167, v211, v7 neg_lo:[1,1,0]
	v_mad_i32_i24 v6, v227, v204, v6
	s_delay_alu instid0(VALU_DEP_2) | instskip(NEXT) | instid1(VALU_DEP_2)
	v_mad_i32_i24 v7, v253, v212, v7
	v_dot4_i32_iu8 v6, v3, v207, v6 neg_lo:[1,1,0]
	s_delay_alu instid0(VALU_DEP_2) | instskip(NEXT) | instid1(VALU_DEP_2)
	v_dot4_i32_iu8 v7, v168, v217, v7 neg_lo:[1,1,0]
	v_mad_i32_i24 v6, v205, v234, v6
	s_delay_alu instid0(VALU_DEP_2) | instskip(NEXT) | instid1(VALU_DEP_2)
	;; [unrolled: 6-line block ×3, first 2 shown]
	v_mad_i32_i24 v7, v214, v255, v7
	v_dot4_i32_iu8 v6, v237, v166, v6 neg_lo:[1,1,0]
	s_delay_alu instid0(VALU_DEP_2) | instskip(NEXT) | instid1(VALU_DEP_2)
	v_dot4_i32_iu8 v7, v247, v170, v7 neg_lo:[1,1,0]
	v_mul_lo_u32 v6, v6, v208
	s_delay_alu instid0(VALU_DEP_1) | instskip(SKIP_1) | instid1(VALU_DEP_2)
	v_mad_u32 v6, v7, v221, v6
	v_mul_f32_e32 v7, v200, v1
	v_cvt_f32_i32_e32 v6, v6
	s_delay_alu instid0(VALU_DEP_1) | instskip(SKIP_3) | instid1(VALU_DEP_2)
	v_mul_f32_e32 v217, v7, v6
	s_set_vgpr_msb 1                        ;  msbs: dst=0 src0=1 src1=0 src2=0
	v_mul_i32_i24_e32 v6, v14 /*v270*/, v219
	s_set_vgpr_msb 0                        ;  msbs: dst=0 src0=0 src1=0 src2=0
	v_pk_add_f32 v[66:67], v[66:67], v[216:217]
	s_set_vgpr_msb 1                        ;  msbs: dst=0 src0=1 src1=0 src2=0
	s_delay_alu instid0(VALU_DEP_2) | instskip(NEXT) | instid1(VALU_DEP_1)
	v_mad_i32_i24 v6, v3 /*v259*/, v226, v6
	v_dot4_i32_iu8 v2, v4 /*v260*/, v2, v6 neg_lo:[1,1,0]
	s_set_vgpr_msb 0                        ;  msbs: dst=0 src0=0 src1=0 src2=0
	s_delay_alu instid0(VALU_DEP_1) | instskip(NEXT) | instid1(VALU_DEP_1)
	v_mad_i32_i24 v2, v245, v227, v2
	v_dot4_i32_iu8 v2, v238, v3, v2 neg_lo:[1,1,0]
	s_set_vgpr_msb 1                        ;  msbs: dst=0 src0=1 src1=0 src2=0
	v_mul_i32_i24_e32 v3, v20 /*v276*/, v251
	s_set_vgpr_msb 4                        ;  msbs: dst=0 src0=0 src1=1 src2=0
	s_delay_alu instid0(VALU_DEP_2) | instskip(SKIP_1) | instid1(VALU_DEP_2)
	v_mad_i32_i24 v2, v234, v13 /*v269*/, v2
	s_set_vgpr_msb 1                        ;  msbs: dst=0 src0=1 src1=0 src2=0
	v_mad_i32_i24 v3, v17 /*v273*/, v252, v3
	s_set_vgpr_msb 0                        ;  msbs: dst=0 src0=0 src1=0 src2=0
	s_delay_alu instid0(VALU_DEP_2) | instskip(NEXT) | instid1(VALU_DEP_2)
	v_dot4_i32_iu8 v2, v4, v215, v2 neg_lo:[1,1,0]
	v_dot4_i32_iu8 v3, v220, v167, v3 neg_lo:[1,1,0]
	s_delay_alu instid0(VALU_DEP_2) | instskip(NEXT) | instid1(VALU_DEP_2)
	v_dot4_i32_iu8 v2, v232, v5, v2 neg_lo:[1,1,0]
	v_mad_i32_i24 v3, v246, v253, v3
	s_delay_alu instid0(VALU_DEP_2) | instskip(NEXT) | instid1(VALU_DEP_2)
	v_mul_lo_u32 v2, v2, v248
	v_dot4_i32_iu8 v3, v230, v168, v3 neg_lo:[1,1,0]
	s_set_vgpr_msb 4                        ;  msbs: dst=0 src0=0 src1=1 src2=0
	s_delay_alu instid0(VALU_DEP_1) | instskip(SKIP_1) | instid1(VALU_DEP_1)
	v_mad_i32_i24 v3, v254, v32 /*v288*/, v3
	s_set_vgpr_msb 0                        ;  msbs: dst=0 src0=0 src1=0 src2=0
	v_dot4_i32_iu8 v3, v169, v249, v3 neg_lo:[1,1,0]
	s_delay_alu instid0(VALU_DEP_1) | instskip(NEXT) | instid1(VALU_DEP_1)
	v_mad_i32_i24 v3, v231, v255, v3
	v_dot4_i32_iu8 v3, v199, v170, v3 neg_lo:[1,1,0]
	s_delay_alu instid0(VALU_DEP_1) | instskip(NEXT) | instid1(VALU_DEP_1)
	v_mad_u32 v2, v3, v239, v2
	v_cvt_f32_i32_e32 v1, v2
	s_delay_alu instid0(VALU_DEP_1) | instskip(NEXT) | instid1(VALU_DEP_1)
	v_mul_f32_e32 v219, v0, v1
	v_pk_add_f32 v[42:43], v[42:43], v[218:219]
	s_cbranch_scc1 .LBB149_10
; %bb.11:                               ;   in Loop: Header=BB149_8 Depth=2
	v_lshl_add_u32 v0, s16, 5, v13
	v_lshl_add_u32 v1, s16, 2, v164
	s_barrier_signal -1
	s_barrier_wait -1
	s_delay_alu instid0(VALU_DEP_2) | instskip(SKIP_1) | instid1(SALU_CYCLE_1)
	v_lshrrev_b32_e32 v0, 3, v0
	s_add_co_i32 s12, s12, 2
	s_lshl_b32 s16, s12, 3
	s_delay_alu instid0(VALU_DEP_1) | instskip(SKIP_1) | instid1(VALU_DEP_2)
	v_add_nc_u32_e32 v2, s5, v0
	v_mad_nc_u64_u32 v[0:1], v1, 36, s[2:3]
	v_dual_add_nc_u32 v3, v2, v122 :: v_dual_add_nc_u32 v168, v2, v119
	v_dual_add_nc_u32 v4, v2, v113 :: v_dual_add_nc_u32 v6, v2, v116
	;; [unrolled: 1-line block ×4, first 2 shown]
	s_delay_alu instid0(VALU_DEP_4) | instskip(NEXT) | instid1(VALU_DEP_4)
	v_mad_nc_i64_i32 v[2:3], v3, 36, v[28:29]
	v_mad_nc_i64_i32 v[4:5], v4, 36, v[28:29]
	v_mad_nc_i64_i32 v[6:7], v6, 36, v[28:29]
	v_mad_nc_i64_i32 v[114:115], v114, 36, v[28:29]
	v_mad_nc_i64_i32 v[166:167], v165, 36, v[28:29]
	v_mad_nc_i64_i32 v[168:169], v168, 36, v[28:29]
	v_mad_nc_i64_i32 v[170:171], v170, 36, v[28:29]
	v_mad_nc_i64_i32 v[172:173], v172, 36, v[28:29]
	s_clause 0x8
	global_load_b32 v165, v[0:1], off
	global_load_b32 v174, v[2:3], off offset:4
	global_load_b32 v175, v[4:5], off offset:4
	;; [unrolled: 1-line block ×8, first 2 shown]
	s_wait_loadcnt 0x8
	s_wait_xcnt 0x8
	v_cvt_f32_f16_e64 v0, v165
	s_wait_loadcnt 0x7
	ds_store_b32 v93, v174
	s_wait_loadcnt 0x6
	ds_store_b32 v65, v175
	s_wait_loadcnt 0x5
	ds_store_b32 v69, v176
	s_wait_loadcnt 0x4
	ds_store_b32 v75, v177
	s_wait_loadcnt 0x3
	ds_store_b32 v77, v178
	s_wait_loadcnt 0x2
	ds_store_b32 v81, v179
	s_wait_loadcnt 0x1
	ds_store_b32 v89, v180
	s_wait_loadcnt 0x0
	ds_store_b32 v91, v181
	ds_store_b32 v111, v0
	s_wait_dscnt 0x0
	s_barrier_signal -1
	s_barrier_wait -1
.LBB149_12:                             ;   Parent Loop BB149_6 Depth=1
                                        ;     Parent Loop BB149_8 Depth=2
                                        ; =>    This Inner Loop Header: Depth=3
	s_lshl_b32 s17, s13, 2
	s_and_b32 s19, s13, 6
	s_and_b32 s17, s17, 24
	;; [unrolled: 1-line block ×3, first 2 shown]
	v_or_b32_e32 v0, s17, v160
	v_lshl_add_u32 v215, s21, 2, v161
	s_lshr_b32 s20, s13, 4
	s_bfe_u32 s18, s13, 0x30001
	s_lshl_b32 s22, s20, 2
	v_dual_lshlrev_b32 v4, 2, v0 :: v_dual_lshrrev_b32 v0, 1, v0
	s_lshl_b32 s20, s20, 5
	s_and_b32 s21, s13, -2
	s_addk_co_i32 s20, 0x4200
	ds_load_b32 v115, v0 offset:38816
	ds_load_b128 v[0:3], v4 offset:25344
	ds_load_b128 v[4:7], v4 offset:25360
	ds_load_2addr_b32 v[166:167], v215 offset1:1
	v_add3_u32 v172, s20, v136, v162
	s_add_co_i32 s22, s22, 0x9380
	s_add_co_i32 s13, s13, 2
	s_delay_alu instid0(SALU_CYCLE_1)
	s_cmp_lt_u32 s13, s16
	ds_load_2addr_b32 v[168:169], v172 offset1:1
	s_wait_dscnt 0x3
	v_bfe_i32 v207, v0, 0, 8
	v_bfe_i32 v208, v0, 8, 8
	s_wait_dscnt 0x1
	v_ashrrev_i32_e32 v165, s19, v166
	v_bfe_i32 v230, v3, 8, 8
	v_perm_b32 v239, v0, v0, 0xc0c0302
	v_bfe_i32 v205, v1, 0, 8
	v_bfe_i32 v202, v2, 0, 8
	v_and_b32_e32 v166, 0x3030303, v165
	v_bfe_u32 v165, v165, 24, 2
	v_bfe_i32 v228, v2, 8, 8
	s_wait_dscnt 0x0
	v_ashrrev_i32_e32 v168, s18, v168
	v_perm_b32 v231, v1, v1, 0xc030201
	v_lshrrev_b32_e32 v171, 16, v166
	v_lshrrev_b16 v170, 8, v166
	v_bfe_i32 v229, v3, 0, 8
	v_lshlrev_b32_e32 v168, 2, v168
	v_perm_b32 v232, v2, v2, 0xc0c0302
	v_bfe_i32 v203, v4, 0, 8
	v_bfe_i32 v204, v4, 8, 8
	v_perm_b32 v233, v3, v3, 0xc0c0302
	v_and_b32_e32 v168, 0x4040404, v168
	v_bfe_i32 v237, v7, 8, 8
	v_perm_b32 v241, v4, v4, 0xc0c0302
	v_bfe_i32 v200, v5, 0, 8
	v_bfe_i32 v114, v6, 0, 8
	v_dual_lshrrev_b32 v174, 24, v168 :: v_dual_lshrrev_b32 v175, 16, v168
	v_lshrrev_b16 v173, 8, v168
	v_bfe_i32 v236, v6, 8, 8
	v_perm_b32 v238, v5, v5, 0xc030201
	s_delay_alu instid0(VALU_DEP_4)
	v_sub_nc_u16 v165, v165, v174
	v_sub_nc_u16 v171, v171, v175
	v_bfe_i32 v182, v7, 0, 8
	v_perm_b32 v242, v6, v6, 0xc0c0302
	v_perm_b32 v243, v7, v7, 0xc0c0302
	v_lshlrev_b16 v165, 8, v165
	v_bfe_i32 v206, v1, 8, 8
	v_perm_b32 v1, v1, v1, 0xc0c0302
	v_bfe_i32 v201, v5, 8, 8
	v_perm_b32 v5, v5, v5, 0xc0c0302
	v_bitop3_b16 v174, v171, v165, 0xff bitop3:0xec
	v_sub_nc_u16 v165, v170, v173
	v_sub_nc_u16 v173, v166, v168
	v_perm_b32 v6, v6, v6, 0xc030201
	v_perm_b32 v7, v7, v7, 0xc030201
	v_perm_b32 v2, v2, v2, 0xc030201
	v_lshlrev_b16 v170, 8, v165
	v_dual_ashrrev_i32 v165, s19, v167 :: v_dual_ashrrev_i32 v169, s18, v169
	s_delay_alu instid0(VALU_DEP_1) | instskip(SKIP_1) | instid1(VALU_DEP_2)
	v_and_b32_e32 v166, 0x3030303, v165
	v_bfe_u32 v165, v165, 24, 2
	v_dual_lshlrev_b32 v169, 2, v169 :: v_dual_lshrrev_b32 v168, 16, v166
	v_lshrrev_b16 v167, 8, v166
	s_delay_alu instid0(VALU_DEP_2) | instskip(NEXT) | instid1(VALU_DEP_1)
	v_and_b32_e32 v169, 0x4040404, v169
	v_dual_lshrrev_b32 v176, 24, v169 :: v_dual_lshrrev_b32 v177, 16, v169
	v_lshrrev_b16 v175, 8, v169
	v_sub_nc_u16 v178, v166, v169
	s_delay_alu instid0(VALU_DEP_3) | instskip(NEXT) | instid1(VALU_DEP_4)
	v_sub_nc_u16 v165, v165, v176
	v_sub_nc_u16 v177, v168, v177
	ds_load_2addr_b32 v[168:169], v172 offset0:2 offset1:3
	v_lshlrev_b16 v165, 8, v165
	s_delay_alu instid0(VALU_DEP_1) | instskip(SKIP_3) | instid1(VALU_DEP_1)
	v_bitop3_b16 v176, v177, v165, 0xff bitop3:0xec
	v_sub_nc_u16 v165, v167, v175
	ds_load_2addr_b32 v[166:167], v215 offset0:2 offset1:3
	v_lshlrev_b16 v175, 8, v165
	v_perm_b32 v175, v175, v175, 0xc0c0c01
	s_wait_dscnt 0x1
	v_dual_ashrrev_i32 v168, s18, v168 :: v_dual_ashrrev_i32 v169, s18, v169
	s_delay_alu instid0(VALU_DEP_1) | instskip(SKIP_2) | instid1(VALU_DEP_2)
	v_dual_lshlrev_b32 v168, 2, v168 :: v_dual_lshlrev_b32 v169, 2, v169
	s_wait_dscnt 0x0
	v_ashrrev_i32_e32 v165, s19, v166
	v_and_b32_e32 v168, 0x4040404, v168
	s_delay_alu instid0(VALU_DEP_3) | instskip(NEXT) | instid1(VALU_DEP_3)
	v_and_b32_e32 v169, 0x4040404, v169
	v_and_b32_e32 v166, 0x3030303, v165
	v_bfe_u32 v165, v165, 24, 2
	s_delay_alu instid0(VALU_DEP_4) | instskip(SKIP_1) | instid1(VALU_DEP_4)
	v_dual_lshrrev_b32 v183, 24, v168 :: v_dual_lshrrev_b32 v184, 16, v168
	v_lshrrev_b16 v181, 8, v168
	v_lshrrev_b32_e32 v180, 16, v166
	v_lshrrev_b16 v179, 8, v166
	s_delay_alu instid0(VALU_DEP_4) | instskip(SKIP_1) | instid1(VALU_DEP_4)
	v_sub_nc_u16 v165, v165, v183
	v_lshrrev_b32_e32 v183, 16, v169
	v_sub_nc_u16 v209, v180, v184
	v_sub_nc_u16 v180, v166, v168
	s_delay_alu instid0(VALU_DEP_4) | instskip(NEXT) | instid1(VALU_DEP_1)
	v_lshlrev_b16 v165, 8, v165
	v_bitop3_b16 v210, v209, v165, 0xff bitop3:0xec
	v_sub_nc_u16 v165, v179, v181
	v_lshrrev_b32_e32 v181, 24, v169
	v_lshrrev_b16 v179, 8, v169
	s_delay_alu instid0(VALU_DEP_3) | instskip(SKIP_1) | instid1(VALU_DEP_1)
	v_lshlrev_b16 v211, 8, v165
	v_ashrrev_i32_e32 v165, s19, v167
	v_and_b32_e32 v166, 0x3030303, v165
	v_bfe_u32 v165, v165, 24, 2
	s_delay_alu instid0(VALU_DEP_2) | instskip(SKIP_1) | instid1(VALU_DEP_3)
	v_lshrrev_b32_e32 v168, 16, v166
	v_lshrrev_b16 v167, 8, v166
	v_sub_nc_u16 v165, v165, v181
	v_sub_nc_u16 v181, v166, v169
	s_delay_alu instid0(VALU_DEP_4) | instskip(SKIP_2) | instid1(VALU_DEP_1)
	v_sub_nc_u16 v212, v168, v183
	ds_load_2addr_b32 v[168:169], v172 offset0:4 offset1:5
	v_lshlrev_b16 v165, 8, v165
	v_bitop3_b16 v213, v212, v165, 0xff bitop3:0xec
	v_sub_nc_u16 v165, v167, v179
	ds_load_2addr_b32 v[166:167], v215 offset0:4 offset1:5
	v_lshlrev_b16 v214, 8, v165
	s_wait_dscnt 0x1
	v_dual_ashrrev_i32 v168, s18, v168 :: v_dual_ashrrev_i32 v169, s18, v169
	s_delay_alu instid0(VALU_DEP_1) | instskip(SKIP_2) | instid1(VALU_DEP_2)
	v_dual_lshlrev_b32 v168, 2, v168 :: v_dual_lshlrev_b32 v169, 2, v169
	s_wait_dscnt 0x0
	v_ashrrev_i32_e32 v165, s19, v166
	v_and_b32_e32 v168, 0x4040404, v168
	s_delay_alu instid0(VALU_DEP_3) | instskip(NEXT) | instid1(VALU_DEP_3)
	v_and_b32_e32 v169, 0x4040404, v169
	v_and_b32_e32 v166, 0x3030303, v165
	v_bfe_u32 v165, v165, 24, 2
	s_delay_alu instid0(VALU_DEP_4) | instskip(SKIP_1) | instid1(VALU_DEP_4)
	v_dual_lshrrev_b32 v185, 24, v168 :: v_dual_lshrrev_b32 v186, 16, v168
	v_lshrrev_b16 v184, 8, v168
	v_lshrrev_b32_e32 v183, 16, v166
	v_lshrrev_b16 v179, 8, v166
	s_delay_alu instid0(VALU_DEP_4) | instskip(SKIP_1) | instid1(VALU_DEP_4)
	v_sub_nc_u16 v165, v165, v185
	v_dual_lshrrev_b32 v187, 24, v169 :: v_dual_lshrrev_b32 v188, 16, v169
	v_sub_nc_u16 v183, v183, v186
	v_lshrrev_b16 v186, 8, v169
	s_delay_alu instid0(VALU_DEP_4) | instskip(NEXT) | instid1(VALU_DEP_1)
	v_lshlrev_b16 v165, 8, v165
	v_bitop3_b16 v185, v183, v165, 0xff bitop3:0xec
	v_sub_nc_u16 v165, v179, v184
	v_sub_nc_u16 v184, v166, v168
	s_delay_alu instid0(VALU_DEP_2) | instskip(SKIP_1) | instid1(VALU_DEP_1)
	v_lshlrev_b16 v179, 8, v165
	v_ashrrev_i32_e32 v165, s19, v167
	v_and_b32_e32 v166, 0x3030303, v165
	v_bfe_u32 v165, v165, 24, 2
	s_delay_alu instid0(VALU_DEP_2) | instskip(SKIP_2) | instid1(VALU_DEP_4)
	v_lshrrev_b32_e32 v168, 16, v166
	v_lshrrev_b16 v167, 8, v166
	v_sub_nc_u16 v189, v166, v169
	v_sub_nc_u16 v165, v165, v187
	s_delay_alu instid0(VALU_DEP_4) | instskip(SKIP_2) | instid1(VALU_DEP_1)
	v_sub_nc_u16 v188, v168, v188
	ds_load_2addr_b32 v[168:169], v172 offset0:6 offset1:7
	v_lshlrev_b16 v165, 8, v165
	v_bitop3_b16 v187, v188, v165, 0xff bitop3:0xec
	v_sub_nc_u16 v165, v167, v186
	ds_load_2addr_b32 v[166:167], v215 offset0:6 offset1:7
	v_lshlrev_b16 v186, 8, v165
	s_delay_alu instid0(VALU_DEP_1) | instskip(SKIP_2) | instid1(VALU_DEP_1)
	v_perm_b32 v186, v186, v186, 0xc0c0c01
	s_wait_dscnt 0x1
	v_dual_ashrrev_i32 v168, s18, v168 :: v_dual_ashrrev_i32 v169, s18, v169
	v_dual_lshlrev_b32 v168, 2, v168 :: v_dual_lshlrev_b32 v169, 2, v169
	s_wait_dscnt 0x0
	v_ashrrev_i32_e32 v165, s19, v166
	s_delay_alu instid0(VALU_DEP_2) | instskip(NEXT) | instid1(VALU_DEP_3)
	v_and_b32_e32 v168, 0x4040404, v168
	v_and_b32_e32 v169, 0x4040404, v169
	s_delay_alu instid0(VALU_DEP_3) | instskip(SKIP_1) | instid1(VALU_DEP_4)
	v_and_b32_e32 v166, 0x3030303, v165
	v_bfe_u32 v165, v165, 24, 2
	v_dual_lshrrev_b32 v192, 24, v168 :: v_dual_lshrrev_b32 v193, 16, v168
	v_lshrrev_b16 v172, 8, v168
	s_delay_alu instid0(VALU_DEP_4) | instskip(SKIP_1) | instid1(VALU_DEP_4)
	v_lshrrev_b32_e32 v191, 16, v166
	v_lshrrev_b16 v190, 8, v166
	v_sub_nc_u16 v165, v165, v192
	v_lshrrev_b32_e32 v192, 16, v169
	s_delay_alu instid0(VALU_DEP_4) | instskip(SKIP_1) | instid1(VALU_DEP_4)
	v_sub_nc_u16 v216, v191, v193
	v_sub_nc_u16 v191, v166, v168
	v_lshlrev_b16 v165, 8, v165
	s_delay_alu instid0(VALU_DEP_1) | instskip(SKIP_3) | instid1(VALU_DEP_3)
	v_bitop3_b16 v217, v216, v165, 0xff bitop3:0xec
	v_sub_nc_u16 v165, v190, v172
	v_lshrrev_b32_e32 v190, 24, v169
	v_lshrrev_b16 v172, 8, v169
	v_lshlrev_b16 v218, 8, v165
	v_ashrrev_i32_e32 v165, s19, v167
	s_delay_alu instid0(VALU_DEP_1) | instskip(SKIP_1) | instid1(VALU_DEP_2)
	v_and_b32_e32 v166, 0x3030303, v165
	v_bfe_u32 v165, v165, 24, 2
	v_lshrrev_b32_e32 v168, 16, v166
	v_lshrrev_b16 v167, 8, v166
	s_delay_alu instid0(VALU_DEP_3)
	v_sub_nc_u16 v165, v165, v190
	v_sub_nc_u16 v190, v166, v169
	v_bfe_i32 v166, v173, 0, 8
	v_sub_nc_u16 v220, v168, v192
	v_add_nc_u32_e32 v192, s21, v23
	v_lshlrev_b16 v165, 8, v165
	s_delay_alu instid0(VALU_DEP_4) | instskip(NEXT) | instid1(VALU_DEP_2)
	v_mul_i32_i24_e32 v168, v166, v207
	v_bitop3_b16 v221, v220, v165, 0xff bitop3:0xec
	v_sub_nc_u16 v165, v167, v172
	v_bfe_i32 v167, v170, 8, 8
	v_bfe_i32 v172, v214, 8, 8
	;; [unrolled: 1-line block ×3, first 2 shown]
	s_delay_alu instid0(VALU_DEP_4) | instskip(NEXT) | instid1(VALU_DEP_4)
	v_lshlrev_b16 v222, 8, v165
	v_mad_i32_i24 v169, v167, v208, v168
	v_perm_b32 v168, v174, v171, 0xc0c0500
	v_add3_u32 v165, s22, v163, v138
	v_bfe_i32 v171, v211, 8, 8
	s_delay_alu instid0(VALU_DEP_3)
	v_dot4_i32_iu8 v0, v168, v239, v169 neg_lo:[1,1,0]
	v_bfe_i32 v169, v180, 0, 8
	v_mul_i32_i24_e32 v180, v230, v172
	v_perm_b32 v172, v176, v177, 0xc05000c
	ds_load_b32 v165, v165
	v_mul_i32_i24_e32 v174, v228, v171
	v_bfe_i32 v171, v181, 0, 8
	v_mad_i32_i24 v0, v170, v205, v0
	v_or_b32_e32 v172, v172, v175
	v_mul_i32_i24_e32 v173, v202, v169
	v_bfe_i32 v175, v179, 8, 8
	v_mul_i32_i24_e32 v178, v229, v171
	v_bfe_i32 v179, v218, 8, 8
	v_dot4_i32_iu8 v0, v172, v231, v0 neg_lo:[1,1,0]
	s_delay_alu instid0(VALU_DEP_1)
	v_add3_u32 v0, v0, v173, v174
	v_perm_b32 v173, v210, v209, 0xc0c0500
	v_bfe_i32 v174, v184, 0, 8
	v_mul_i32_i24_e32 v184, v236, v179
	v_bfe_i32 v179, v190, 0, 8
	v_perm_b32 v209, v210, v209, 0xc05000c
	v_perm_b32 v210, v211, v211, 0xc0c0c01
	;; [unrolled: 1-line block ×3, first 2 shown]
	v_dot4_i32_iu8 v0, v232, v173, v0 neg_lo:[1,1,0]
	v_mul_i32_i24_e32 v176, v174, v203
	v_perm_b32 v173, v213, v212, 0xc0c0500
	v_perm_b32 v212, v214, v214, 0xc0c0c01
	v_or_b32_e32 v209, v209, v210
	v_perm_b32 v213, v217, v216, 0xc05000c
	v_perm_b32 v214, v218, v218, 0xc0c0c01
	v_add3_u32 v0, v0, v178, v180
	v_mad_i32_i24 v177, v175, v204, v176
	v_perm_b32 v176, v185, v183, 0xc0c0500
	v_bfe_i32 v180, v222, 8, 8
	v_bfe_i32 v178, v189, 0, 8
	v_mul_i32_i24_e32 v185, v182, v179
	v_dot4_i32_iu8 v0, v233, v173, v0 neg_lo:[1,1,0]
	ds_load_u16 v173, v192
	v_dot4_i32_iu8 v4, v176, v241, v177 neg_lo:[1,1,0]
	v_mul_i32_i24_e32 v189, v237, v180
	v_perm_b32 v180, v187, v188, 0xc05000c
	v_bfe_i32 v177, v191, 0, 8
	s_delay_alu instid0(VALU_DEP_4) | instskip(NEXT) | instid1(VALU_DEP_3)
	v_mad_i32_i24 v4, v178, v200, v4
	v_or_b32_e32 v180, v180, v186
	s_delay_alu instid0(VALU_DEP_3) | instskip(NEXT) | instid1(VALU_DEP_2)
	v_mul_i32_i24_e32 v183, v114, v177
	v_dot4_i32_iu8 v4, v180, v238, v4 neg_lo:[1,1,0]
	s_delay_alu instid0(VALU_DEP_1)
	v_add3_u32 v4, v4, v183, v184
	v_perm_b32 v183, v217, v216, 0xc0c0500
	v_perm_b32 v216, v222, v222, 0xc0c0c01
	s_wait_dscnt 0x0
	v_lshrrev_b16 v181, 8, v173
	v_bfe_i32 v173, v173, 0, 8
	v_dot4_i32_iu8 v4, v242, v183, v4 neg_lo:[1,1,0]
	v_perm_b32 v183, v221, v220, 0xc0c0500
	s_delay_alu instid0(VALU_DEP_4) | instskip(NEXT) | instid1(VALU_DEP_4)
	v_bfe_i32 v181, v181, 0, 8
	v_mul_lo_u32 v0, v0, v173
	s_delay_alu instid0(VALU_DEP_4) | instskip(SKIP_1) | instid1(VALU_DEP_2)
	v_add3_u32 v4, v4, v185, v189
	v_add3_u32 v189, s20, v139, v130
	v_dot4_i32_iu8 v4, v243, v183, v4 neg_lo:[1,1,0]
	ds_load_2addr_b32 v[186:187], v189 offset1:1
	v_mad_u32 v0, v4, v181, v0
	v_mul_f32_e32 v4, v115, v165
	s_delay_alu instid0(VALU_DEP_2) | instskip(NEXT) | instid1(VALU_DEP_1)
	v_cvt_f32_i32_e32 v0, v0
	v_mul_f32_e32 v4, v4, v0
	v_add_nc_u32_e32 v0, 0x1080, v215
	s_wait_dscnt 0x0
	v_ashrrev_i32_e32 v187, s18, v187
	ds_load_2addr_b32 v[184:185], v0 offset1:1
	v_dual_ashrrev_i32 v186, s18, v186 :: v_dual_lshlrev_b32 v187, 2, v187
	s_delay_alu instid0(VALU_DEP_1) | instskip(NEXT) | instid1(VALU_DEP_2)
	v_lshlrev_b32_e32 v186, 2, v186
	v_and_b32_e32 v187, 0x4040404, v187
	s_delay_alu instid0(VALU_DEP_2) | instskip(NEXT) | instid1(VALU_DEP_2)
	v_and_b32_e32 v186, 0x4040404, v186
	v_dual_lshrrev_b32 v193, 24, v187 :: v_dual_lshrrev_b32 v194, 16, v187
	s_delay_alu instid0(VALU_DEP_2) | instskip(SKIP_3) | instid1(VALU_DEP_1)
	v_lshrrev_b16 v190, 8, v186
	v_dual_lshrrev_b32 v191, 24, v186 :: v_dual_lshrrev_b32 v192, 16, v186
	s_wait_dscnt 0x0
	v_ashrrev_i32_e32 v0, s19, v184
	v_and_b32_e32 v183, 0x3030303, v0
	v_bfe_u32 v0, v0, 24, 2
	s_delay_alu instid0(VALU_DEP_2) | instskip(SKIP_1) | instid1(VALU_DEP_3)
	v_lshrrev_b16 v184, 8, v183
	v_lshrrev_b32_e32 v188, 16, v183
	v_sub_nc_u16 v0, v0, v191
	v_sub_nc_u16 v191, v183, v186
	v_ashrrev_i32_e32 v183, s19, v185
	v_sub_nc_u16 v184, v184, v190
	v_sub_nc_u16 v188, v188, v192
	v_lshrrev_b16 v192, 8, v187
	v_lshlrev_b16 v0, 8, v0
	s_delay_alu instid0(VALU_DEP_4) | instskip(SKIP_2) | instid1(VALU_DEP_4)
	v_lshlrev_b16 v190, 8, v184
	v_and_b32_e32 v184, 0x3030303, v183
	v_bfe_u32 v183, v183, 24, 2
	v_bitop3_b16 v0, v188, v0, 0xff bitop3:0xec
	s_delay_alu instid0(VALU_DEP_3) | instskip(SKIP_3) | instid1(VALU_DEP_4)
	v_lshrrev_b32_e32 v186, 16, v184
	v_lshrrev_b16 v185, 8, v184
	v_sub_nc_u16 v195, v184, v187
	v_sub_nc_u16 v183, v183, v193
	;; [unrolled: 1-line block ×3, first 2 shown]
	ds_load_2addr_b32 v[186:187], v189 offset0:2 offset1:3
	v_lshlrev_b16 v183, 8, v183
	s_delay_alu instid0(VALU_DEP_1) | instskip(SKIP_1) | instid1(VALU_DEP_1)
	v_bitop3_b16 v193, v194, v183, 0xff bitop3:0xec
	v_sub_nc_u16 v183, v185, v192
	v_lshlrev_b16 v192, 8, v183
	v_add_nc_u32_e32 v183, 0x1088, v215
	s_delay_alu instid0(VALU_DEP_2) | instskip(SKIP_3) | instid1(VALU_DEP_1)
	v_perm_b32 v192, v192, v192, 0xc0c0c01
	ds_load_2addr_b32 v[184:185], v183 offset1:1
	s_wait_dscnt 0x1
	v_dual_ashrrev_i32 v186, s18, v186 :: v_dual_ashrrev_i32 v187, s18, v187
	v_dual_lshlrev_b32 v186, 2, v186 :: v_dual_lshlrev_b32 v187, 2, v187
	s_delay_alu instid0(VALU_DEP_1) | instskip(NEXT) | instid1(VALU_DEP_2)
	v_and_b32_e32 v186, 0x4040404, v186
	v_and_b32_e32 v187, 0x4040404, v187
	s_delay_alu instid0(VALU_DEP_2) | instskip(SKIP_3) | instid1(VALU_DEP_1)
	v_dual_lshrrev_b32 v199, 24, v186 :: v_dual_lshrrev_b32 v219, 16, v186
	v_lshrrev_b16 v198, 8, v186
	s_wait_dscnt 0x0
	v_ashrrev_i32_e32 v183, s19, v184
	v_and_b32_e32 v184, 0x3030303, v183
	s_delay_alu instid0(VALU_DEP_1) | instskip(SKIP_2) | instid1(VALU_DEP_3)
	v_lshrrev_b32_e32 v197, 16, v184
	v_bfe_u32 v183, v183, 24, 2
	v_lshrrev_b16 v196, 8, v184
	v_sub_nc_u16 v248, v197, v219
	s_delay_alu instid0(VALU_DEP_3) | instskip(SKIP_2) | instid1(VALU_DEP_3)
	v_sub_nc_u16 v183, v183, v199
	v_sub_nc_u16 v197, v184, v186
	v_lshrrev_b32_e32 v199, 16, v187
	v_lshlrev_b16 v183, 8, v183
	s_delay_alu instid0(VALU_DEP_1) | instskip(SKIP_3) | instid1(VALU_DEP_3)
	v_bitop3_b16 v249, v248, v183, 0xff bitop3:0xec
	v_sub_nc_u16 v183, v196, v198
	v_lshrrev_b32_e32 v198, 24, v187
	v_lshrrev_b16 v196, 8, v187
	v_lshlrev_b16 v250, 8, v183
	v_ashrrev_i32_e32 v183, s19, v185
	s_delay_alu instid0(VALU_DEP_1) | instskip(SKIP_1) | instid1(VALU_DEP_2)
	v_and_b32_e32 v184, 0x3030303, v183
	v_bfe_u32 v183, v183, 24, 2
	v_lshrrev_b32_e32 v186, 16, v184
	v_lshrrev_b16 v185, 8, v184
	s_delay_alu instid0(VALU_DEP_3) | instskip(SKIP_1) | instid1(VALU_DEP_4)
	v_sub_nc_u16 v183, v183, v198
	v_sub_nc_u16 v198, v184, v187
	;; [unrolled: 1-line block ×3, first 2 shown]
	ds_load_2addr_b32 v[186:187], v189 offset0:4 offset1:5
	v_lshlrev_b16 v183, 8, v183
	s_delay_alu instid0(VALU_DEP_1) | instskip(SKIP_1) | instid1(VALU_DEP_1)
	v_bitop3_b16 v252, v251, v183, 0xff bitop3:0xec
	v_sub_nc_u16 v183, v185, v196
	v_lshlrev_b16 v253, 8, v183
	v_add_nc_u32_e32 v183, 0x1090, v215
	ds_load_2addr_b32 v[184:185], v183 offset1:1
	s_wait_dscnt 0x1
	v_dual_ashrrev_i32 v186, s18, v186 :: v_dual_ashrrev_i32 v187, s18, v187
	s_delay_alu instid0(VALU_DEP_1) | instskip(NEXT) | instid1(VALU_DEP_1)
	v_dual_lshlrev_b32 v186, 2, v186 :: v_dual_lshlrev_b32 v187, 2, v187
	v_and_b32_e32 v186, 0x4040404, v186
	s_delay_alu instid0(VALU_DEP_2) | instskip(NEXT) | instid1(VALU_DEP_2)
	v_and_b32_e32 v187, 0x4040404, v187
	v_dual_lshrrev_b32 v223, 24, v186 :: v_dual_lshrrev_b32 v224, 16, v186
	v_lshrrev_b16 v219, 8, v186
	s_wait_dscnt 0x0
	s_delay_alu instid0(VALU_DEP_3) | instskip(SKIP_1) | instid1(VALU_DEP_2)
	v_dual_ashrrev_i32 v183, s19, v184 :: v_dual_lshrrev_b32 v225, 24, v187
	v_lshrrev_b32_e32 v226, 16, v187
	v_and_b32_e32 v184, 0x3030303, v183
	s_delay_alu instid0(VALU_DEP_1) | instskip(SKIP_2) | instid1(VALU_DEP_3)
	v_lshrrev_b32_e32 v199, 16, v184
	v_bfe_u32 v183, v183, 24, 2
	v_lshrrev_b16 v196, 8, v184
	v_sub_nc_u16 v199, v199, v224
	s_delay_alu instid0(VALU_DEP_3) | instskip(SKIP_1) | instid1(VALU_DEP_2)
	v_sub_nc_u16 v183, v183, v223
	v_lshrrev_b16 v224, 8, v187
	v_lshlrev_b16 v183, 8, v183
	s_delay_alu instid0(VALU_DEP_1) | instskip(SKIP_2) | instid1(VALU_DEP_2)
	v_bitop3_b16 v223, v199, v183, 0xff bitop3:0xec
	v_sub_nc_u16 v183, v196, v219
	v_sub_nc_u16 v219, v184, v186
	v_lshlrev_b16 v196, 8, v183
	v_ashrrev_i32_e32 v183, s19, v185
	s_delay_alu instid0(VALU_DEP_1) | instskip(SKIP_1) | instid1(VALU_DEP_2)
	v_and_b32_e32 v184, 0x3030303, v183
	v_bfe_u32 v183, v183, 24, 2
	v_lshrrev_b32_e32 v186, 16, v184
	v_lshrrev_b16 v185, 8, v184
	v_sub_nc_u16 v227, v184, v187
	s_delay_alu instid0(VALU_DEP_4) | instskip(NEXT) | instid1(VALU_DEP_4)
	v_sub_nc_u16 v183, v183, v225
	v_sub_nc_u16 v226, v186, v226
	ds_load_2addr_b32 v[186:187], v189 offset0:6 offset1:7
	v_lshlrev_b16 v183, 8, v183
	s_delay_alu instid0(VALU_DEP_1) | instskip(SKIP_1) | instid1(VALU_DEP_1)
	v_bitop3_b16 v225, v226, v183, 0xff bitop3:0xec
	v_sub_nc_u16 v183, v185, v224
	v_lshlrev_b16 v224, 8, v183
	v_add_nc_u32_e32 v183, 0x1098, v215
	s_delay_alu instid0(VALU_DEP_2) | instskip(SKIP_3) | instid1(VALU_DEP_1)
	v_perm_b32 v224, v224, v224, 0xc0c0c01
	ds_load_2addr_b32 v[184:185], v183 offset1:1
	s_wait_dscnt 0x1
	v_dual_ashrrev_i32 v186, s18, v186 :: v_dual_ashrrev_i32 v187, s18, v187
	v_dual_lshlrev_b32 v186, 2, v186 :: v_dual_lshlrev_b32 v187, 2, v187
	s_delay_alu instid0(VALU_DEP_1) | instskip(NEXT) | instid1(VALU_DEP_2)
	v_and_b32_e32 v186, 0x4040404, v186
	v_and_b32_e32 v187, 0x4040404, v187
	s_delay_alu instid0(VALU_DEP_2) | instskip(SKIP_3) | instid1(VALU_DEP_1)
	v_dual_lshrrev_b32 v240, 24, v186 :: v_dual_lshrrev_b32 v244, 16, v186
	v_lshrrev_b16 v189, 8, v186
	s_wait_dscnt 0x0
	v_ashrrev_i32_e32 v183, s19, v184
	v_and_b32_e32 v184, 0x3030303, v183
	s_delay_alu instid0(VALU_DEP_1) | instskip(SKIP_2) | instid1(VALU_DEP_3)
	v_lshrrev_b32_e32 v235, 16, v184
	v_bfe_u32 v183, v183, 24, 2
	v_lshrrev_b16 v234, 8, v184
	v_sub_nc_u16 v254, v235, v244
	s_delay_alu instid0(VALU_DEP_3) | instskip(SKIP_2) | instid1(VALU_DEP_3)
	v_sub_nc_u16 v183, v183, v240
	v_sub_nc_u16 v235, v184, v186
	v_lshrrev_b32_e32 v240, 16, v187
	v_lshlrev_b16 v183, 8, v183
	s_delay_alu instid0(VALU_DEP_1) | instskip(SKIP_3) | instid1(VALU_DEP_4)
	v_bitop3_b16 v255, v254, v183, 0xff bitop3:0xec
	v_sub_nc_u16 v183, v234, v189
	v_lshrrev_b32_e32 v234, 24, v187
	v_lshrrev_b16 v189, 8, v187
	v_perm_b32 v217, v255, v254, 0xc05000c
	s_set_vgpr_msb 64                       ;  msbs: dst=1 src0=0 src1=0 src2=0
	v_lshlrev_b16 v0 /*v256*/, 8, v183
	s_set_vgpr_msb 0                        ;  msbs: dst=0 src0=0 src1=0 src2=0
	v_ashrrev_i32_e32 v183, s19, v185
	s_set_vgpr_msb 5                        ;  msbs: dst=0 src0=1 src1=1 src2=0
	s_delay_alu instid0(VALU_DEP_2) | instskip(SKIP_1) | instid1(VALU_DEP_2)
	v_perm_b32 v218, v0 /*v256*/, v0 /*v256*/, 0xc0c0c01
	s_set_vgpr_msb 0                        ;  msbs: dst=0 src0=0 src1=0 src2=0
	v_and_b32_e32 v184, 0x3030303, v183
	v_bfe_u32 v183, v183, 24, 2
	s_delay_alu instid0(VALU_DEP_2) | instskip(SKIP_1) | instid1(VALU_DEP_3)
	v_dual_lshrrev_b32 v186, 16, v184 :: v_dual_bitop2_b32 v217, v217, v218 bitop3:0x54
	v_lshrrev_b16 v185, 8, v184
	v_sub_nc_u16 v183, v183, v234
	v_sub_nc_u16 v234, v184, v187
	v_bfe_i32 v184, v191, 0, 8
	s_set_vgpr_msb 64                       ;  msbs: dst=1 src0=0 src1=0 src2=0
	v_sub_nc_u16 v1 /*v257*/, v186, v240
	s_set_vgpr_msb 0                        ;  msbs: dst=0 src0=0 src1=0 src2=0
	v_lshlrev_b16 v183, 8, v183
	v_mul_i32_i24_e32 v186, v184, v207
	s_set_vgpr_msb 0x41                     ;  msbs: dst=1 src0=1 src1=0 src2=0
	s_delay_alu instid0(VALU_DEP_2)
	v_bitop3_b16 v2 /*v258*/, v1 /*v257*/, v183, 0xff bitop3:0xec
	s_set_vgpr_msb 0                        ;  msbs: dst=0 src0=0 src1=0 src2=0
	v_sub_nc_u16 v183, v185, v189
	v_bfe_i32 v185, v190, 8, 8
	v_bfe_i32 v189, v250, 8, 8
	;; [unrolled: 1-line block ×3, first 2 shown]
	s_set_vgpr_msb 5                        ;  msbs: dst=0 src0=1 src1=1 src2=0
	v_perm_b32 v218, v2 /*v258*/, v1 /*v257*/, 0xc05000c
	s_set_vgpr_msb 64                       ;  msbs: dst=1 src0=0 src1=0 src2=0
	v_lshlrev_b16 v3 /*v259*/, 8, v183
	s_set_vgpr_msb 0                        ;  msbs: dst=0 src0=0 src1=0 src2=0
	v_mad_i32_i24 v187, v185, v208, v186
	v_perm_b32 v186, v0, v188, 0xc0c0500
	v_bfe_i32 v188, v197, 0, 8
	v_add3_u32 v183, s22, v140, v131
	s_delay_alu instid0(VALU_DEP_3)
	v_dot4_i32_iu8 v0, v186, v239, v187 neg_lo:[1,1,0]
	v_bfe_i32 v187, v195, 0, 8
	v_mul_i32_i24_e32 v195, v228, v189
	v_bfe_i32 v189, v198, 0, 8
	v_mul_i32_i24_e32 v198, v230, v190
	v_perm_b32 v190, v193, v194, 0xc05000c
	v_add_nc_u32_e32 v240, s21, v25
	v_mul_i32_i24_e32 v191, v202, v188
	v_bfe_i32 v193, v196, 8, 8
	ds_load_b32 v183, v183
	v_bfe_i32 v196, v235, 0, 8
	v_mad_i32_i24 v0, v187, v205, v0
	v_or_b32_e32 v190, v190, v192
	v_bfe_i32 v192, v219, 0, 8
	v_mul_i32_i24_e32 v197, v229, v189
	s_delay_alu instid0(VALU_DEP_3) | instskip(NEXT) | instid1(VALU_DEP_3)
	v_dot4_i32_iu8 v0, v190, v231, v0 neg_lo:[1,1,0]
	v_mul_i32_i24_e32 v194, v192, v203
	s_delay_alu instid0(VALU_DEP_2) | instskip(SKIP_1) | instid1(VALU_DEP_3)
	v_add3_u32 v0, v0, v191, v195
	v_perm_b32 v191, v249, v248, 0xc0c0500
	v_mad_i32_i24 v195, v193, v204, v194
	v_perm_b32 v194, v223, v199, 0xc0c0500
	v_mul_i32_i24_e32 v199, v114, v196
	s_set_vgpr_msb 1                        ;  msbs: dst=0 src0=1 src1=0 src2=0
	v_bfe_i32 v223, v3 /*v259*/, 8, 8
	s_set_vgpr_msb 0                        ;  msbs: dst=0 src0=0 src1=0 src2=0
	v_dot4_i32_iu8 v0, v232, v191, v0 neg_lo:[1,1,0]
	v_perm_b32 v191, v252, v251, 0xc0c0500
	s_delay_alu instid0(VALU_DEP_3) | instskip(NEXT) | instid1(VALU_DEP_3)
	v_mul_i32_i24_e32 v223, v237, v223
	v_add3_u32 v0, v0, v197, v198
	v_dot4_i32_iu8 v198, v194, v241, v195 neg_lo:[1,1,0]
	v_bfe_i32 v195, v227, 0, 8
	s_set_vgpr_msb 1                        ;  msbs: dst=0 src0=1 src1=0 src2=0
	v_bfe_i32 v197, v0 /*v256*/, 8, 8
	s_set_vgpr_msb 0                        ;  msbs: dst=0 src0=0 src1=0 src2=0
	v_dot4_i32_iu8 v0, v233, v191, v0 neg_lo:[1,1,0]
	ds_load_u16 v191, v240
	v_mul_i32_i24_e32 v219, v236, v197
	v_bfe_i32 v197, v234, 0, 8
	v_mad_i32_i24 v234, v195, v200, v198
	v_perm_b32 v198, v225, v226, 0xc05000c
	s_delay_alu instid0(VALU_DEP_3) | instskip(NEXT) | instid1(VALU_DEP_2)
	v_mul_i32_i24_e32 v227, v182, v197
	v_or_b32_e32 v198, v198, v224
	s_delay_alu instid0(VALU_DEP_1) | instskip(SKIP_1) | instid1(VALU_DEP_2)
	v_dot4_i32_iu8 v224, v198, v238, v234 neg_lo:[1,1,0]
	v_add3_u32 v234, s20, v141, v132
	v_add3_u32 v199, v224, v199, v219
	v_perm_b32 v219, v255, v254, 0xc0c0500
	s_wait_dscnt 0x0
	v_lshrrev_b16 v240, 8, v191
	v_bfe_i32 v191, v191, 0, 8
	s_delay_alu instid0(VALU_DEP_3)
	v_dot4_i32_iu8 v199, v242, v219, v199 neg_lo:[1,1,0]
	s_set_vgpr_msb 5                        ;  msbs: dst=0 src0=1 src1=1 src2=0
	v_perm_b32 v219, v2 /*v258*/, v1 /*v257*/, 0xc0c0500
	s_set_vgpr_msb 0                        ;  msbs: dst=0 src0=0 src1=0 src2=0
	v_mul_lo_u32 v0, v0, v191
	v_add3_u32 v199, v199, v227, v223
	ds_load_2addr_b32 v[226:227], v234 offset1:1
	v_dot4_i32_iu8 v219, v243, v219, v199 neg_lo:[1,1,0]
	v_bfe_i32 v199, v240, 0, 8
	s_delay_alu instid0(VALU_DEP_1) | instskip(SKIP_3) | instid1(VALU_DEP_3)
	v_mad_u32 v0, v219, v199, v0
	v_mul_f32_e32 v219, v115, v183
	s_wait_dscnt 0x0
	v_ashrrev_i32_e32 v227, s18, v227
	v_cvt_f32_i32_e32 v0, v0
	s_delay_alu instid0(VALU_DEP_1) | instskip(SKIP_1) | instid1(VALU_DEP_2)
	v_dual_mul_f32 v240, v219, v0 :: v_dual_lshlrev_b32 v227, 2, v227
	v_add_nc_u32_e32 v0, 0x2100, v215
	v_and_b32_e32 v227, 0x4040404, v227
	ds_load_2addr_b32 v[224:225], v0 offset1:1
	v_dual_ashrrev_i32 v226, s18, v226 :: v_dual_lshrrev_b32 v246, 24, v227
	s_delay_alu instid0(VALU_DEP_1) | instskip(NEXT) | instid1(VALU_DEP_1)
	v_dual_lshrrev_b32 v247, 16, v227 :: v_dual_lshlrev_b32 v226, 2, v226
	v_and_b32_e32 v226, 0x4040404, v226
	s_delay_alu instid0(VALU_DEP_1) | instskip(SKIP_3) | instid1(VALU_DEP_1)
	v_lshrrev_b16 v235, 8, v226
	v_dual_lshrrev_b32 v244, 24, v226 :: v_dual_lshrrev_b32 v245, 16, v226
	s_wait_dscnt 0x0
	v_ashrrev_i32_e32 v0, s19, v224
	v_and_b32_e32 v219, 0x3030303, v0
	s_delay_alu instid0(VALU_DEP_1) | instskip(SKIP_2) | instid1(VALU_DEP_3)
	v_lshrrev_b16 v223, 8, v219
	v_lshrrev_b32_e32 v224, 16, v219
	v_bfe_u32 v0, v0, 24, 2
	v_sub_nc_u16 v223, v223, v235
	s_delay_alu instid0(VALU_DEP_3) | instskip(NEXT) | instid1(VALU_DEP_3)
	v_sub_nc_u16 v245, v224, v245
	v_sub_nc_u16 v0, v0, v244
	v_lshrrev_b16 v244, 8, v227
	s_delay_alu instid0(VALU_DEP_4) | instskip(SKIP_3) | instid1(VALU_DEP_3)
	v_lshlrev_b16 v235, 8, v223
	v_sub_nc_u16 v223, v219, v226
	v_ashrrev_i32_e32 v219, s19, v225
	v_lshlrev_b16 v0, 8, v0
	v_bfe_i32 v223, v223, 0, 8
	s_delay_alu instid0(VALU_DEP_3) | instskip(SKIP_1) | instid1(VALU_DEP_4)
	v_and_b32_e32 v224, 0x3030303, v219
	v_bfe_u32 v219, v219, 24, 2
	v_bitop3_b16 v0, v245, v0, 0xff bitop3:0xec
	s_delay_alu instid0(VALU_DEP_3)
	v_lshrrev_b32_e32 v226, 16, v224
	v_lshrrev_b16 v225, 8, v224
	s_set_vgpr_msb 64                       ;  msbs: dst=1 src0=0 src1=0 src2=0
	v_sub_nc_u16 v4 /*v260*/, v224, v227
	s_set_vgpr_msb 0                        ;  msbs: dst=0 src0=0 src1=0 src2=0
	v_sub_nc_u16 v219, v219, v246
	v_sub_nc_u16 v247, v226, v247
	ds_load_2addr_b32 v[226:227], v234 offset0:2 offset1:3
	v_lshlrev_b16 v219, 8, v219
	s_delay_alu instid0(VALU_DEP_1) | instskip(SKIP_1) | instid1(VALU_DEP_1)
	v_bitop3_b16 v246, v247, v219, 0xff bitop3:0xec
	v_sub_nc_u16 v219, v225, v244
	v_lshlrev_b16 v244, 8, v219
	v_add_nc_u32_e32 v219, 0x2108, v215
	s_delay_alu instid0(VALU_DEP_2) | instskip(SKIP_3) | instid1(VALU_DEP_1)
	v_perm_b32 v244, v244, v244, 0xc0c0c01
	ds_load_2addr_b32 v[224:225], v219 offset1:1
	s_wait_dscnt 0x1
	v_dual_ashrrev_i32 v226, s18, v226 :: v_dual_ashrrev_i32 v227, s18, v227
	v_dual_lshlrev_b32 v226, 2, v226 :: v_dual_lshlrev_b32 v227, 2, v227
	s_delay_alu instid0(VALU_DEP_1) | instskip(NEXT) | instid1(VALU_DEP_2)
	v_and_b32_e32 v226, 0x4040404, v226
	v_and_b32_e32 v227, 0x4040404, v227
	s_set_vgpr_msb 64                       ;  msbs: dst=1 src0=0 src1=0 src2=0
	s_delay_alu instid0(VALU_DEP_2) | instskip(NEXT) | instid1(VALU_DEP_2)
	v_dual_lshrrev_b32 v8 /*v264*/, 24, v226 :: v_dual_lshrrev_b32 v9 /*v265*/, 16, v226
	v_lshrrev_b32_e32 v10 /*v266*/, 24, v227
	v_lshrrev_b16 v7 /*v263*/, 8, v226
	s_wait_dscnt 0x0
	s_set_vgpr_msb 0                        ;  msbs: dst=0 src0=0 src1=0 src2=0
	v_ashrrev_i32_e32 v219, s19, v224
	s_set_vgpr_msb 64                       ;  msbs: dst=1 src0=0 src1=0 src2=0
	v_lshrrev_b32_e32 v11 /*v267*/, 16, v227
	s_set_vgpr_msb 0                        ;  msbs: dst=0 src0=0 src1=0 src2=0
	s_delay_alu instid0(VALU_DEP_2) | instskip(SKIP_2) | instid1(VALU_DEP_2)
	v_and_b32_e32 v224, 0x3030303, v219
	v_bfe_u32 v219, v219, 24, 2
	s_set_vgpr_msb 64                       ;  msbs: dst=1 src0=0 src1=0 src2=0
	v_lshrrev_b32_e32 v6 /*v262*/, 16, v224
	v_lshrrev_b16 v5 /*v261*/, 8, v224
	s_set_vgpr_msb 4                        ;  msbs: dst=0 src0=0 src1=1 src2=0
	v_sub_nc_u16 v219, v219, v8 /*v264*/
	s_set_vgpr_msb 0x45                     ;  msbs: dst=1 src0=1 src1=1 src2=0
	v_sub_nc_u16 v6 /*v262*/, v6 /*v262*/, v9 /*v265*/
	s_set_vgpr_msb 64                       ;  msbs: dst=1 src0=0 src1=0 src2=0
	v_sub_nc_u16 v9 /*v265*/, v224, v226
	s_set_vgpr_msb 0                        ;  msbs: dst=0 src0=0 src1=0 src2=0
	v_lshlrev_b16 v219, 8, v219
	s_set_vgpr_msb 0x41                     ;  msbs: dst=1 src0=1 src1=0 src2=0
	s_delay_alu instid0(VALU_DEP_1) | instskip(SKIP_4) | instid1(VALU_DEP_2)
	v_bitop3_b16 v8 /*v264*/, v6 /*v262*/, v219, 0xff bitop3:0xec
	s_set_vgpr_msb 5                        ;  msbs: dst=0 src0=1 src1=1 src2=0
	v_sub_nc_u16 v219, v5 /*v261*/, v7 /*v263*/
	s_set_vgpr_msb 64                       ;  msbs: dst=1 src0=0 src1=0 src2=0
	v_lshrrev_b16 v7 /*v263*/, 8, v227
	v_lshlrev_b16 v5 /*v261*/, 8, v219
	s_set_vgpr_msb 0                        ;  msbs: dst=0 src0=0 src1=0 src2=0
	v_ashrrev_i32_e32 v219, s19, v225
	s_delay_alu instid0(VALU_DEP_1) | instskip(SKIP_1) | instid1(VALU_DEP_2)
	v_and_b32_e32 v224, 0x3030303, v219
	v_bfe_u32 v219, v219, 24, 2
	v_lshrrev_b32_e32 v226, 16, v224
	s_set_vgpr_msb 4                        ;  msbs: dst=0 src0=0 src1=1 src2=0
	s_delay_alu instid0(VALU_DEP_2)
	v_sub_nc_u16 v219, v219, v10 /*v266*/
	s_set_vgpr_msb 0                        ;  msbs: dst=0 src0=0 src1=0 src2=0
	v_lshrrev_b16 v225, 8, v224
	s_set_vgpr_msb 64                       ;  msbs: dst=1 src0=0 src1=0 src2=0
	v_sub_nc_u16 v12 /*v268*/, v224, v227
	s_set_vgpr_msb 0x44                     ;  msbs: dst=1 src0=0 src1=1 src2=0
	v_sub_nc_u16 v11 /*v267*/, v226, v11 /*v267*/
	s_set_vgpr_msb 0                        ;  msbs: dst=0 src0=0 src1=0 src2=0
	v_lshlrev_b16 v219, 8, v219
	ds_load_2addr_b32 v[226:227], v234 offset0:4 offset1:5
	s_set_vgpr_msb 0x41                     ;  msbs: dst=1 src0=1 src1=0 src2=0
	v_bitop3_b16 v10 /*v266*/, v11 /*v267*/, v219, 0xff bitop3:0xec
	s_set_vgpr_msb 4                        ;  msbs: dst=0 src0=0 src1=1 src2=0
	v_sub_nc_u16 v219, v225, v7 /*v263*/
	s_set_vgpr_msb 64                       ;  msbs: dst=1 src0=0 src1=0 src2=0
	s_delay_alu instid0(VALU_DEP_1)
	v_lshlrev_b16 v7 /*v263*/, 8, v219
	s_set_vgpr_msb 0                        ;  msbs: dst=0 src0=0 src1=0 src2=0
	v_add_nc_u32_e32 v219, 0x2110, v215
	ds_load_2addr_b32 v[224:225], v219 offset1:1
	s_wait_dscnt 0x1
	v_dual_ashrrev_i32 v226, s18, v226 :: v_dual_ashrrev_i32 v227, s18, v227
	s_delay_alu instid0(VALU_DEP_1) | instskip(NEXT) | instid1(VALU_DEP_1)
	v_dual_lshlrev_b32 v226, 2, v226 :: v_dual_lshlrev_b32 v227, 2, v227
	v_and_b32_e32 v226, 0x4040404, v226
	s_delay_alu instid0(VALU_DEP_2) | instskip(SKIP_1) | instid1(VALU_DEP_2)
	v_and_b32_e32 v227, 0x4040404, v227
	s_set_vgpr_msb 64                       ;  msbs: dst=1 src0=0 src1=0 src2=0
	v_dual_lshrrev_b32 v16 /*v272*/, 24, v226 :: v_dual_lshrrev_b32 v17 /*v273*/, 16, v226
	s_wait_dscnt 0x0
	s_set_vgpr_msb 0                        ;  msbs: dst=0 src0=0 src1=0 src2=0
	v_ashrrev_i32_e32 v219, s19, v224
	s_set_vgpr_msb 64                       ;  msbs: dst=1 src0=0 src1=0 src2=0
	v_lshrrev_b16 v15 /*v271*/, 8, v226
	v_dual_lshrrev_b32 v18 /*v274*/, 24, v227 :: v_dual_lshrrev_b32 v19 /*v275*/, 16, v227
	s_set_vgpr_msb 0                        ;  msbs: dst=0 src0=0 src1=0 src2=0
	v_and_b32_e32 v224, 0x3030303, v219
	v_bfe_u32 v219, v219, 24, 2
	s_set_vgpr_msb 64                       ;  msbs: dst=1 src0=0 src1=0 src2=0
	s_delay_alu instid0(VALU_DEP_2)
	v_lshrrev_b32_e32 v14 /*v270*/, 16, v224
	v_lshrrev_b16 v13 /*v269*/, 8, v224
	s_set_vgpr_msb 4                        ;  msbs: dst=0 src0=0 src1=1 src2=0
	v_sub_nc_u16 v219, v219, v16 /*v272*/
	s_set_vgpr_msb 0x45                     ;  msbs: dst=1 src0=1 src1=1 src2=0
	v_sub_nc_u16 v14 /*v270*/, v14 /*v270*/, v17 /*v273*/
	s_set_vgpr_msb 64                       ;  msbs: dst=1 src0=0 src1=0 src2=0
	v_lshrrev_b16 v17 /*v273*/, 8, v227
	s_set_vgpr_msb 0                        ;  msbs: dst=0 src0=0 src1=0 src2=0
	v_lshlrev_b16 v219, 8, v219
	s_set_vgpr_msb 0x41                     ;  msbs: dst=1 src0=1 src1=0 src2=0
	s_delay_alu instid0(VALU_DEP_1) | instskip(SKIP_4) | instid1(VALU_DEP_2)
	v_bitop3_b16 v16 /*v272*/, v14 /*v270*/, v219, 0xff bitop3:0xec
	s_set_vgpr_msb 5                        ;  msbs: dst=0 src0=1 src1=1 src2=0
	v_sub_nc_u16 v219, v13 /*v269*/, v15 /*v271*/
	s_set_vgpr_msb 64                       ;  msbs: dst=1 src0=0 src1=0 src2=0
	v_sub_nc_u16 v15 /*v271*/, v224, v226
	v_lshlrev_b16 v13 /*v269*/, 8, v219
	s_set_vgpr_msb 0                        ;  msbs: dst=0 src0=0 src1=0 src2=0
	v_ashrrev_i32_e32 v219, s19, v225
	s_delay_alu instid0(VALU_DEP_1) | instskip(NEXT) | instid1(VALU_DEP_1)
	v_and_b32_e32 v224, 0x3030303, v219
	v_lshrrev_b32_e32 v226, 16, v224
	v_bfe_u32 v219, v219, 24, 2
	v_lshrrev_b16 v225, 8, v224
	s_set_vgpr_msb 64                       ;  msbs: dst=1 src0=0 src1=0 src2=0
	v_sub_nc_u16 v20 /*v276*/, v224, v227
	s_set_vgpr_msb 0x44                     ;  msbs: dst=1 src0=0 src1=1 src2=0
	v_sub_nc_u16 v19 /*v275*/, v226, v19 /*v275*/
	s_set_vgpr_msb 4                        ;  msbs: dst=0 src0=0 src1=1 src2=0
	v_sub_nc_u16 v219, v219, v18 /*v274*/
	ds_load_2addr_b32 v[226:227], v234 offset0:6 offset1:7
	s_set_vgpr_msb 0                        ;  msbs: dst=0 src0=0 src1=0 src2=0
	v_lshlrev_b16 v219, 8, v219
	s_set_vgpr_msb 0x41                     ;  msbs: dst=1 src0=1 src1=0 src2=0
	s_delay_alu instid0(VALU_DEP_1) | instskip(SKIP_3) | instid1(VALU_DEP_1)
	v_bitop3_b16 v18 /*v274*/, v19 /*v275*/, v219, 0xff bitop3:0xec
	s_set_vgpr_msb 4                        ;  msbs: dst=0 src0=0 src1=1 src2=0
	v_sub_nc_u16 v219, v225, v17 /*v273*/
	s_set_vgpr_msb 64                       ;  msbs: dst=1 src0=0 src1=0 src2=0
	v_lshlrev_b16 v17 /*v273*/, 8, v219
	s_set_vgpr_msb 0                        ;  msbs: dst=0 src0=0 src1=0 src2=0
	v_add_nc_u32_e32 v219, 0x2118, v215
	s_wait_dscnt 0x0
	v_ashrrev_i32_e32 v226, s18, v226
	ds_load_2addr_b32 v[224:225], v219 offset1:1
	v_dual_ashrrev_i32 v227, s18, v227 :: v_dual_lshlrev_b32 v226, 2, v226
	s_delay_alu instid0(VALU_DEP_1) | instskip(NEXT) | instid1(VALU_DEP_2)
	v_lshlrev_b32_e32 v227, 2, v227
	v_and_b32_e32 v226, 0x4040404, v226
	s_delay_alu instid0(VALU_DEP_2) | instskip(SKIP_1) | instid1(VALU_DEP_2)
	v_and_b32_e32 v227, 0x4040404, v227
	s_set_vgpr_msb 64                       ;  msbs: dst=1 src0=0 src1=0 src2=0
	v_dual_lshrrev_b32 v23 /*v279*/, 24, v226 :: v_dual_lshrrev_b32 v24 /*v280*/, 16, v226
	s_delay_alu instid0(VALU_DEP_2)
	v_lshrrev_b32_e32 v25 /*v281*/, 24, v227
	s_set_vgpr_msb 0                        ;  msbs: dst=0 src0=0 src1=0 src2=0
	v_lshrrev_b16 v234, 8, v226
	s_set_vgpr_msb 64                       ;  msbs: dst=1 src0=0 src1=0 src2=0
	v_lshrrev_b32_e32 v26 /*v282*/, 16, v227
	s_wait_dscnt 0x0
	s_set_vgpr_msb 0                        ;  msbs: dst=0 src0=0 src1=0 src2=0
	v_ashrrev_i32_e32 v219, s19, v224
	s_delay_alu instid0(VALU_DEP_1) | instskip(SKIP_2) | instid1(VALU_DEP_2)
	v_and_b32_e32 v224, 0x3030303, v219
	v_bfe_u32 v219, v219, 24, 2
	s_set_vgpr_msb 64                       ;  msbs: dst=1 src0=0 src1=0 src2=0
	v_lshrrev_b32_e32 v22 /*v278*/, 16, v224
	v_lshrrev_b16 v21 /*v277*/, 8, v224
	s_set_vgpr_msb 4                        ;  msbs: dst=0 src0=0 src1=1 src2=0
	v_sub_nc_u16 v219, v219, v23 /*v279*/
	s_set_vgpr_msb 0x45                     ;  msbs: dst=1 src0=1 src1=1 src2=0
	v_sub_nc_u16 v22 /*v278*/, v22 /*v278*/, v24 /*v280*/
	s_set_vgpr_msb 64                       ;  msbs: dst=1 src0=0 src1=0 src2=0
	v_sub_nc_u16 v24 /*v280*/, v224, v226
	s_set_vgpr_msb 0                        ;  msbs: dst=0 src0=0 src1=0 src2=0
	v_lshlrev_b16 v219, 8, v219
	s_set_vgpr_msb 0x41                     ;  msbs: dst=1 src0=1 src1=0 src2=0
	s_delay_alu instid0(VALU_DEP_1)
	v_bitop3_b16 v23 /*v279*/, v22 /*v278*/, v219, 0xff bitop3:0xec
	s_set_vgpr_msb 1                        ;  msbs: dst=0 src0=1 src1=0 src2=0
	v_sub_nc_u16 v219, v21 /*v277*/, v234
	v_lshrrev_b16 v234, 8, v227
	s_set_vgpr_msb 5                        ;  msbs: dst=0 src0=1 src1=1 src2=0
	v_perm_b32 v222, v23 /*v279*/, v22 /*v278*/, 0xc05000c
	s_set_vgpr_msb 64                       ;  msbs: dst=1 src0=0 src1=0 src2=0
	v_lshlrev_b16 v21 /*v277*/, 8, v219
	s_set_vgpr_msb 0                        ;  msbs: dst=0 src0=0 src1=0 src2=0
	v_ashrrev_i32_e32 v219, s19, v225
	s_delay_alu instid0(VALU_DEP_1) | instskip(SKIP_1) | instid1(VALU_DEP_2)
	v_and_b32_e32 v224, 0x3030303, v219
	v_bfe_u32 v219, v219, 24, 2
	v_lshrrev_b32_e32 v226, 16, v224
	s_set_vgpr_msb 4                        ;  msbs: dst=0 src0=0 src1=1 src2=0
	s_delay_alu instid0(VALU_DEP_2)
	v_sub_nc_u16 v219, v219, v25 /*v281*/
	s_set_vgpr_msb 0                        ;  msbs: dst=0 src0=0 src1=0 src2=0
	v_lshrrev_b16 v225, 8, v224
	s_set_vgpr_msb 64                       ;  msbs: dst=1 src0=0 src1=0 src2=0
	v_sub_nc_u16 v27 /*v283*/, v224, v227
	s_set_vgpr_msb 0                        ;  msbs: dst=0 src0=0 src1=0 src2=0
	v_bfe_i32 v224, v235, 8, 8
	s_set_vgpr_msb 1                        ;  msbs: dst=0 src0=1 src1=0 src2=0
	v_bfe_i32 v235, v5 /*v261*/, 8, 8
	v_bfe_i32 v227, v9 /*v265*/, 0, 8
	s_set_vgpr_msb 0x44                     ;  msbs: dst=1 src0=0 src1=1 src2=0
	v_sub_nc_u16 v26 /*v282*/, v226, v26 /*v282*/
	s_set_vgpr_msb 0                        ;  msbs: dst=0 src0=0 src1=0 src2=0
	v_lshlrev_b16 v219, 8, v219
	v_mul_i32_i24_e32 v235, v228, v235
	s_set_vgpr_msb 1                        ;  msbs: dst=0 src0=1 src1=0 src2=0
	v_bfe_i32 v228, v12 /*v268*/, 0, 8
	s_set_vgpr_msb 0x45                     ;  msbs: dst=1 src0=1 src1=1 src2=0
	v_perm_b32 v12 /*v268*/, v17 /*v273*/, v17 /*v273*/, 0xc0c0c01
	s_set_vgpr_msb 0x41                     ;  msbs: dst=1 src0=1 src1=0 src2=0
	v_bitop3_b16 v25 /*v281*/, v26 /*v282*/, v219, 0xff bitop3:0xec
	s_set_vgpr_msb 0                        ;  msbs: dst=0 src0=0 src1=0 src2=0
	v_sub_nc_u16 v219, v225, v234
	v_mul_i32_i24_e32 v225, v223, v207
	s_set_vgpr_msb 64                       ;  msbs: dst=1 src0=0 src1=0 src2=0
	v_mul_i32_i24_e32 v9 /*v265*/, v229, v228
	s_set_vgpr_msb 0                        ;  msbs: dst=0 src0=0 src1=0 src2=0
	v_perm_b32 v229, v246, v247, 0xc05000c
	v_add_nc_u32_e32 v234, s21, v27
	s_set_vgpr_msb 1                        ;  msbs: dst=0 src0=1 src1=0 src2=0
	v_bfe_i32 v246, v21 /*v277*/, 8, 8
	s_set_vgpr_msb 0                        ;  msbs: dst=0 src0=0 src1=0 src2=0
	v_mad_i32_i24 v226, v224, v208, v225
	v_perm_b32 v225, v0, v245, 0xc0c0500
	v_or_b32_e32 v229, v229, v244
	v_mul_i32_i24_e32 v245, v202, v227
	s_set_vgpr_msb 64                       ;  msbs: dst=1 src0=0 src1=0 src2=0
	v_lshlrev_b16 v28 /*v284*/, 8, v219
	s_set_vgpr_msb 0                        ;  msbs: dst=0 src0=0 src1=0 src2=0
	v_add3_u32 v219, s22, v142, v133
	v_mul_i32_i24_e32 v246, v236, v246
	s_set_vgpr_msb 1                        ;  msbs: dst=0 src0=1 src1=0 src2=0
	v_bfe_i32 v236, v27 /*v283*/, 0, 8
	s_set_vgpr_msb 0                        ;  msbs: dst=0 src0=0 src1=0 src2=0
	v_dot4_i32_iu8 v0, v225, v239, v226 neg_lo:[1,1,0]
	s_set_vgpr_msb 1                        ;  msbs: dst=0 src0=1 src1=0 src2=0
	v_bfe_i32 v226, v4 /*v260*/, 0, 8
	s_set_vgpr_msb 0x41                     ;  msbs: dst=1 src0=1 src1=0 src2=0
	v_bfe_i32 v4 /*v260*/, v7 /*v263*/, 8, 8
	s_set_vgpr_msb 0                        ;  msbs: dst=0 src0=0 src1=0 src2=0
	ds_load_b32 v219, v219
	v_mad_i32_i24 v0, v226, v205, v0
	s_set_vgpr_msb 4                        ;  msbs: dst=0 src0=0 src1=1 src2=0
	v_mul_i32_i24_e32 v230, v230, v4 /*v260*/
	s_set_vgpr_msb 0x41                     ;  msbs: dst=1 src0=1 src1=0 src2=0
	v_bfe_i32 v4 /*v260*/, v28 /*v284*/, 8, 8
	s_set_vgpr_msb 0                        ;  msbs: dst=0 src0=0 src1=0 src2=0
	v_dot4_i32_iu8 v0, v229, v231, v0 neg_lo:[1,1,0]
	s_set_vgpr_msb 5                        ;  msbs: dst=0 src0=1 src1=1 src2=0
	v_perm_b32 v231, v8 /*v264*/, v6 /*v262*/, 0xc0c0500
	s_set_vgpr_msb 0x44                     ;  msbs: dst=1 src0=0 src1=1 src2=0
	v_mul_i32_i24_e32 v4 /*v260*/, v237, v4 /*v260*/
	s_set_vgpr_msb 5                        ;  msbs: dst=0 src0=1 src1=1 src2=0
	v_perm_b32 v237, v18 /*v274*/, v19 /*v275*/, 0xc05000c
	s_set_vgpr_msb 0                        ;  msbs: dst=0 src0=0 src1=0 src2=0
	v_add3_u32 v0, v0, v245, v235
	s_set_vgpr_msb 1                        ;  msbs: dst=0 src0=1 src1=0 src2=0
	v_bfe_i32 v235, v24 /*v280*/, 0, 8
	s_set_vgpr_msb 4                        ;  msbs: dst=0 src0=0 src1=1 src2=0
	v_or_b32_e32 v237, v237, v12 /*v268*/
	s_set_vgpr_msb 0                        ;  msbs: dst=0 src0=0 src1=0 src2=0
	v_dot4_i32_iu8 v0, v232, v231, v0 neg_lo:[1,1,0]
	s_set_vgpr_msb 1                        ;  msbs: dst=0 src0=1 src1=0 src2=0
	v_bfe_i32 v231, v15 /*v271*/, 0, 8
	v_bfe_i32 v232, v13 /*v269*/, 8, 8
	s_set_vgpr_msb 0                        ;  msbs: dst=0 src0=0 src1=0 src2=0
	v_mul_i32_i24_e32 v247, v114, v235
	s_set_vgpr_msb 4                        ;  msbs: dst=0 src0=0 src1=1 src2=0
	v_add3_u32 v0, v0, v9 /*v265*/, v230
	s_set_vgpr_msb 5                        ;  msbs: dst=0 src0=1 src1=1 src2=0
	v_perm_b32 v230, v10 /*v266*/, v11 /*v267*/, 0xc0c0500
	s_set_vgpr_msb 64                       ;  msbs: dst=1 src0=0 src1=0 src2=0
	v_mul_i32_i24_e32 v9 /*v265*/, v182, v236
	s_set_vgpr_msb 0                        ;  msbs: dst=0 src0=0 src1=0 src2=0
	s_delay_alu instid0(VALU_DEP_2)
	v_dot4_i32_iu8 v0, v233, v230, v0 neg_lo:[1,1,0]
	v_mul_i32_i24_e32 v233, v231, v203
	ds_load_u16 v230, v234
	v_or_b32_e32 v213, v213, v214
	v_perm_b32 v214, v221, v220, 0xc05000c
	s_set_vgpr_msb 5                        ;  msbs: dst=0 src0=1 src1=1 src2=0
	v_perm_b32 v220, v3 /*v259*/, v3 /*v259*/, 0xc0c0c01
	v_perm_b32 v221, v7 /*v263*/, v7 /*v263*/, 0xc0c0c01
	s_set_vgpr_msb 0                        ;  msbs: dst=0 src0=0 src1=0 src2=0
	v_mad_i32_i24 v234, v232, v204, v233
	s_set_vgpr_msb 5                        ;  msbs: dst=0 src0=1 src1=1 src2=0
	v_perm_b32 v233, v16 /*v272*/, v14 /*v270*/, 0xc0c0500
	s_set_vgpr_msb 0                        ;  msbs: dst=0 src0=0 src1=0 src2=0
	v_or_b32_e32 v214, v214, v216
	v_perm_b32 v216, v253, v253, 0xc0c0c01
	v_or_b32_e32 v218, v218, v220
	s_set_vgpr_msb 5                        ;  msbs: dst=0 src0=1 src1=1 src2=0
	v_perm_b32 v220, v5 /*v261*/, v5 /*v261*/, 0xc0c0c01
	s_set_vgpr_msb 0                        ;  msbs: dst=0 src0=0 src1=0 src2=0
	v_dot4_i32_iu8 v245, v233, v241, v234 neg_lo:[1,1,0]
	s_set_vgpr_msb 1                        ;  msbs: dst=0 src0=1 src1=0 src2=0
	v_bfe_i32 v234, v20 /*v276*/, 0, 8
	s_set_vgpr_msb 0                        ;  msbs: dst=0 src0=0 src1=0 src2=0
	s_delay_alu instid0(VALU_DEP_1) | instskip(SKIP_3) | instid1(VALU_DEP_3)
	v_mad_i32_i24 v245, v234, v200, v245
	s_wait_dscnt 0x0
	v_lshrrev_b16 v244, 8, v230
	v_bfe_i32 v230, v230, 0, 8
	v_dot4_i32_iu8 v238, v237, v238, v245 neg_lo:[1,1,0]
	s_set_vgpr_msb 5                        ;  msbs: dst=0 src0=1 src1=1 src2=0
	v_perm_b32 v245, v23 /*v279*/, v22 /*v278*/, 0xc0c0500
	s_set_vgpr_msb 0                        ;  msbs: dst=0 src0=0 src1=0 src2=0
	v_mul_lo_u32 v0, v0, v230
	v_add3_u32 v238, v238, v247, v246
	s_delay_alu instid0(VALU_DEP_1) | instskip(SKIP_3) | instid1(VALU_DEP_2)
	v_dot4_i32_iu8 v238, v242, v245, v238 neg_lo:[1,1,0]
	s_set_vgpr_msb 5                        ;  msbs: dst=0 src0=1 src1=1 src2=0
	v_perm_b32 v242, v25 /*v281*/, v26 /*v282*/, 0xc0c0500
	s_set_vgpr_msb 20                       ;  msbs: dst=0 src0=0 src1=1 src2=1
	v_add3_u32 v238, v238, v9 /*v265*/, v4 /*v260*/
	s_set_vgpr_msb 64                       ;  msbs: dst=1 src0=0 src1=0 src2=0
	v_add3_u32 v9 /*v265*/, s20, v143, v134
	s_set_vgpr_msb 0                        ;  msbs: dst=0 src0=0 src1=0 src2=0
	s_delay_alu instid0(VALU_DEP_2)
	v_dot4_i32_iu8 v242, v243, v242, v238 neg_lo:[1,1,0]
	v_bfe_i32 v238, v244, 0, 8
	s_set_vgpr_msb 1                        ;  msbs: dst=0 src0=1 src1=0 src2=0
	ds_load_2addr_b32 v[246:247], v9 /*v265*/ offset1:1
	s_set_vgpr_msb 0                        ;  msbs: dst=0 src0=0 src1=0 src2=0
	v_mad_u32 v0, v242, v238, v0
	v_mul_f32_e32 v242, v115, v219
	s_delay_alu instid0(VALU_DEP_2) | instskip(NEXT) | instid1(VALU_DEP_1)
	v_cvt_f32_i32_e32 v0, v0
	v_mul_f32_e32 v242, v242, v0
	v_add_nc_u32_e32 v0, 0x3180, v215
	s_wait_dscnt 0x0
	v_dual_ashrrev_i32 v246, s18, v246 :: v_dual_ashrrev_i32 v247, s18, v247
	ds_load_2addr_b32 v[244:245], v0 offset1:1
	v_dual_lshlrev_b32 v246, 2, v246 :: v_dual_lshlrev_b32 v247, 2, v247
	s_delay_alu instid0(VALU_DEP_1) | instskip(NEXT) | instid1(VALU_DEP_2)
	v_and_b32_e32 v246, 0x4040404, v246
	v_and_b32_e32 v247, 0x4040404, v247
	s_set_vgpr_msb 64                       ;  msbs: dst=1 src0=0 src1=0 src2=0
	s_delay_alu instid0(VALU_DEP_2) | instskip(SKIP_1) | instid1(VALU_DEP_3)
	v_dual_lshrrev_b32 v13 /*v269*/, 24, v246 :: v_dual_lshrrev_b32 v14 /*v270*/, 16, v246
	v_lshrrev_b16 v12 /*v268*/, 8, v246
	v_dual_lshrrev_b32 v15 /*v271*/, 24, v247 :: v_dual_lshrrev_b32 v16 /*v272*/, 16, v247
	s_wait_dscnt 0x0
	s_set_vgpr_msb 0                        ;  msbs: dst=0 src0=0 src1=0 src2=0
	v_ashrrev_i32_e32 v0, s19, v244
	s_delay_alu instid0(VALU_DEP_1) | instskip(SKIP_2) | instid1(VALU_DEP_2)
	v_and_b32_e32 v243, 0x3030303, v0
	v_bfe_u32 v0, v0, 24, 2
	s_set_vgpr_msb 64                       ;  msbs: dst=1 src0=0 src1=0 src2=0
	v_lshrrev_b32_e32 v4 /*v260*/, 16, v243
	s_set_vgpr_msb 4                        ;  msbs: dst=0 src0=0 src1=1 src2=0
	s_delay_alu instid0(VALU_DEP_2)
	v_sub_nc_u16 v0, v0, v13 /*v269*/
	s_set_vgpr_msb 0                        ;  msbs: dst=0 src0=0 src1=0 src2=0
	v_lshrrev_b16 v244, 8, v243
	v_sub_nc_u16 v243, v243, v246
	s_set_vgpr_msb 0x45                     ;  msbs: dst=1 src0=1 src1=1 src2=0
	v_sub_nc_u16 v4 /*v260*/, v4 /*v260*/, v14 /*v270*/
	s_set_vgpr_msb 0                        ;  msbs: dst=0 src0=0 src1=0 src2=0
	v_lshlrev_b16 v0, 8, v0
	s_set_vgpr_msb 0x41                     ;  msbs: dst=1 src0=1 src1=0 src2=0
	v_lshrrev_b16 v14 /*v270*/, 8, v247
	s_delay_alu instid0(VALU_DEP_2) | instskip(SKIP_3) | instid1(VALU_DEP_1)
	v_bitop3_b16 v13 /*v269*/, v4 /*v260*/, v0, 0xff bitop3:0xec
	s_set_vgpr_msb 4                        ;  msbs: dst=0 src0=0 src1=1 src2=0
	v_sub_nc_u16 v0, v244, v12 /*v268*/
	s_set_vgpr_msb 64                       ;  msbs: dst=1 src0=0 src1=0 src2=0
	v_lshlrev_b16 v12 /*v268*/, 8, v0
	s_set_vgpr_msb 0                        ;  msbs: dst=0 src0=0 src1=0 src2=0
	v_ashrrev_i32_e32 v0, s19, v245
	s_set_vgpr_msb 0x41                     ;  msbs: dst=1 src0=1 src1=0 src2=0
	s_delay_alu instid0(VALU_DEP_2) | instskip(SKIP_1) | instid1(VALU_DEP_2)
	v_bfe_i32 v12 /*v268*/, v12 /*v268*/, 8, 8
	s_set_vgpr_msb 0                        ;  msbs: dst=0 src0=0 src1=0 src2=0
	v_and_b32_e32 v244, 0x3030303, v0
	v_bfe_u32 v0, v0, 24, 2
	s_delay_alu instid0(VALU_DEP_2)
	v_lshrrev_b32_e32 v246, 16, v244
	v_lshrrev_b16 v245, 8, v244
	s_set_vgpr_msb 64                       ;  msbs: dst=1 src0=0 src1=0 src2=0
	v_sub_nc_u16 v17 /*v273*/, v244, v247
	s_set_vgpr_msb 4                        ;  msbs: dst=0 src0=0 src1=1 src2=0
	v_sub_nc_u16 v0, v0, v15 /*v271*/
	s_set_vgpr_msb 0x44                     ;  msbs: dst=1 src0=0 src1=1 src2=0
	v_sub_nc_u16 v16 /*v272*/, v246, v16 /*v272*/
	s_set_vgpr_msb 1                        ;  msbs: dst=0 src0=1 src1=0 src2=0
	ds_load_2addr_b32 v[246:247], v9 /*v265*/ offset0:2 offset1:3
	v_lshlrev_b16 v0, 8, v0
	s_set_vgpr_msb 0x41                     ;  msbs: dst=1 src0=1 src1=0 src2=0
	s_delay_alu instid0(VALU_DEP_1) | instskip(SKIP_3) | instid1(VALU_DEP_1)
	v_bitop3_b16 v15 /*v271*/, v16 /*v272*/, v0, 0xff bitop3:0xec
	s_set_vgpr_msb 4                        ;  msbs: dst=0 src0=0 src1=1 src2=0
	v_sub_nc_u16 v0, v245, v14 /*v270*/
	s_set_vgpr_msb 64                       ;  msbs: dst=1 src0=0 src1=0 src2=0
	v_lshlrev_b16 v14 /*v270*/, 8, v0
	s_set_vgpr_msb 0                        ;  msbs: dst=0 src0=0 src1=0 src2=0
	v_add_nc_u32_e32 v0, 0x3188, v215
	ds_load_2addr_b32 v[244:245], v0 offset1:1
	s_wait_dscnt 0x1
	v_dual_ashrrev_i32 v246, s18, v246 :: v_dual_ashrrev_i32 v247, s18, v247
	s_delay_alu instid0(VALU_DEP_1) | instskip(NEXT) | instid1(VALU_DEP_1)
	v_dual_lshlrev_b32 v246, 2, v246 :: v_dual_lshlrev_b32 v247, 2, v247
	v_and_b32_e32 v246, 0x4040404, v246
	s_delay_alu instid0(VALU_DEP_2) | instskip(SKIP_1) | instid1(VALU_DEP_2)
	v_and_b32_e32 v247, 0x4040404, v247
	s_set_vgpr_msb 64                       ;  msbs: dst=1 src0=0 src1=0 src2=0
	v_dual_lshrrev_b32 v24 /*v280*/, 24, v246 :: v_dual_lshrrev_b32 v27 /*v283*/, 16, v246
	s_delay_alu instid0(VALU_DEP_2)
	v_lshrrev_b32_e32 v29 /*v285*/, 16, v247
	v_lshrrev_b16 v20 /*v276*/, 8, v246
	s_wait_dscnt 0x0
	s_set_vgpr_msb 0                        ;  msbs: dst=0 src0=0 src1=0 src2=0
	v_ashrrev_i32_e32 v0, s19, v244
	s_set_vgpr_msb 64                       ;  msbs: dst=1 src0=0 src1=0 src2=0
	v_lshrrev_b16 v30 /*v286*/, 8, v247
	s_set_vgpr_msb 0                        ;  msbs: dst=0 src0=0 src1=0 src2=0
	s_delay_alu instid0(VALU_DEP_2) | instskip(SKIP_2) | instid1(VALU_DEP_2)
	v_and_b32_e32 v244, 0x3030303, v0
	v_bfe_u32 v0, v0, 24, 2
	s_set_vgpr_msb 64                       ;  msbs: dst=1 src0=0 src1=0 src2=0
	v_lshrrev_b32_e32 v19 /*v275*/, 16, v244
	v_lshrrev_b16 v18 /*v274*/, 8, v244
	s_set_vgpr_msb 4                        ;  msbs: dst=0 src0=0 src1=1 src2=0
	v_sub_nc_u16 v0, v0, v24 /*v280*/
	s_set_vgpr_msb 0x45                     ;  msbs: dst=1 src0=1 src1=1 src2=0
	v_sub_nc_u16 v19 /*v275*/, v19 /*v275*/, v27 /*v283*/
	s_set_vgpr_msb 64                       ;  msbs: dst=1 src0=0 src1=0 src2=0
	v_lshrrev_b32_e32 v27 /*v283*/, 24, v247
	s_set_vgpr_msb 0                        ;  msbs: dst=0 src0=0 src1=0 src2=0
	v_lshlrev_b16 v0, 8, v0
	s_set_vgpr_msb 0x41                     ;  msbs: dst=1 src0=1 src1=0 src2=0
	s_delay_alu instid0(VALU_DEP_1) | instskip(SKIP_4) | instid1(VALU_DEP_2)
	v_bitop3_b16 v24 /*v280*/, v19 /*v275*/, v0, 0xff bitop3:0xec
	s_set_vgpr_msb 5                        ;  msbs: dst=0 src0=1 src1=1 src2=0
	v_sub_nc_u16 v0, v18 /*v274*/, v20 /*v276*/
	s_set_vgpr_msb 64                       ;  msbs: dst=1 src0=0 src1=0 src2=0
	v_sub_nc_u16 v20 /*v276*/, v244, v246
	v_lshlrev_b16 v18 /*v274*/, 8, v0
	s_set_vgpr_msb 0                        ;  msbs: dst=0 src0=0 src1=0 src2=0
	v_ashrrev_i32_e32 v0, s19, v245
	s_delay_alu instid0(VALU_DEP_1) | instskip(SKIP_1) | instid1(VALU_DEP_1)
	v_bfe_u32 v244, v0, 24, 2
	v_and_b32_e32 v0, 0x3030303, v0
	v_lshrrev_b16 v246, 8, v0
	v_lshrrev_b32_e32 v245, 16, v0
	s_set_vgpr_msb 64                       ;  msbs: dst=1 src0=0 src1=0 src2=0
	v_sub_nc_u16 v31 /*v287*/, v0, v247
	s_set_vgpr_msb 4                        ;  msbs: dst=0 src0=0 src1=1 src2=0
	v_sub_nc_u16 v0, v246, v30 /*v286*/
	s_set_vgpr_msb 0x44                     ;  msbs: dst=1 src0=0 src1=1 src2=0
	v_sub_nc_u16 v29 /*v285*/, v245, v29 /*v285*/
	s_set_vgpr_msb 1                        ;  msbs: dst=0 src0=1 src1=0 src2=0
	ds_load_2addr_b32 v[246:247], v9 /*v265*/ offset0:4 offset1:5
	v_lshlrev_b16 v0, 8, v0
	s_set_vgpr_msb 0x41                     ;  msbs: dst=1 src0=1 src1=0 src2=0
	s_delay_alu instid0(VALU_DEP_1) | instskip(SKIP_3) | instid1(VALU_DEP_1)
	v_bitop3_b16 v30 /*v286*/, v31 /*v287*/, v0, 0xff bitop3:0xec
	s_set_vgpr_msb 4                        ;  msbs: dst=0 src0=0 src1=1 src2=0
	v_sub_nc_u16 v0, v244, v27 /*v283*/
	s_set_vgpr_msb 0                        ;  msbs: dst=0 src0=0 src1=0 src2=0
	v_lshlrev_b16 v0, 8, v0
	s_set_vgpr_msb 0x41                     ;  msbs: dst=1 src0=1 src1=0 src2=0
	s_delay_alu instid0(VALU_DEP_1)
	v_bitop3_b16 v27 /*v283*/, v29 /*v285*/, v0, 0xff bitop3:0xec
	s_set_vgpr_msb 0                        ;  msbs: dst=0 src0=0 src1=0 src2=0
	v_add_nc_u32_e32 v0, 0x3190, v215
	s_wait_dscnt 0x0
	v_dual_ashrrev_i32 v246, s18, v246 :: v_dual_ashrrev_i32 v247, s18, v247
	ds_load_2addr_b32 v[244:245], v0 offset1:1
	v_dual_lshlrev_b32 v246, 2, v246 :: v_dual_lshlrev_b32 v247, 2, v247
	s_delay_alu instid0(VALU_DEP_1) | instskip(NEXT) | instid1(VALU_DEP_2)
	v_and_b32_e32 v246, 0x4040404, v246
	v_and_b32_e32 v247, 0x4040404, v247
	s_set_vgpr_msb 64                       ;  msbs: dst=1 src0=0 src1=0 src2=0
	s_delay_alu instid0(VALU_DEP_2) | instskip(SKIP_1) | instid1(VALU_DEP_3)
	v_dual_lshrrev_b32 v35 /*v291*/, 24, v246 :: v_dual_lshrrev_b32 v36 /*v292*/, 16, v246
	v_lshrrev_b16 v34 /*v290*/, 8, v246
	v_dual_lshrrev_b32 v37 /*v293*/, 24, v247 :: v_dual_lshrrev_b32 v38 /*v294*/, 16, v247
	s_wait_dscnt 0x0
	s_set_vgpr_msb 0                        ;  msbs: dst=0 src0=0 src1=0 src2=0
	v_ashrrev_i32_e32 v0, s19, v244
	s_delay_alu instid0(VALU_DEP_1) | instskip(SKIP_2) | instid1(VALU_DEP_2)
	v_and_b32_e32 v244, 0x3030303, v0
	v_bfe_u32 v0, v0, 24, 2
	s_set_vgpr_msb 64                       ;  msbs: dst=1 src0=0 src1=0 src2=0
	v_lshrrev_b32_e32 v33 /*v289*/, 16, v244
	s_set_vgpr_msb 4                        ;  msbs: dst=0 src0=0 src1=1 src2=0
	s_delay_alu instid0(VALU_DEP_2)
	v_sub_nc_u16 v0, v0, v35 /*v291*/
	s_set_vgpr_msb 64                       ;  msbs: dst=1 src0=0 src1=0 src2=0
	v_lshrrev_b16 v32 /*v288*/, 8, v244
	s_set_vgpr_msb 0x45                     ;  msbs: dst=1 src0=1 src1=1 src2=0
	v_sub_nc_u16 v33 /*v289*/, v33 /*v289*/, v36 /*v292*/
	s_set_vgpr_msb 0                        ;  msbs: dst=0 src0=0 src1=0 src2=0
	v_lshlrev_b16 v0, 8, v0
	s_set_vgpr_msb 64                       ;  msbs: dst=1 src0=0 src1=0 src2=0
	v_sub_nc_u16 v36 /*v292*/, v244, v246
	s_set_vgpr_msb 0x41                     ;  msbs: dst=1 src0=1 src1=0 src2=0
	s_delay_alu instid0(VALU_DEP_2) | instskip(SKIP_4) | instid1(VALU_DEP_2)
	v_bitop3_b16 v35 /*v291*/, v33 /*v289*/, v0, 0xff bitop3:0xec
	s_set_vgpr_msb 5                        ;  msbs: dst=0 src0=1 src1=1 src2=0
	v_sub_nc_u16 v0, v32 /*v288*/, v34 /*v290*/
	s_set_vgpr_msb 64                       ;  msbs: dst=1 src0=0 src1=0 src2=0
	v_lshrrev_b16 v34 /*v290*/, 8, v247
	v_lshlrev_b16 v32 /*v288*/, 8, v0
	s_set_vgpr_msb 0                        ;  msbs: dst=0 src0=0 src1=0 src2=0
	v_ashrrev_i32_e32 v0, s19, v245
	s_delay_alu instid0(VALU_DEP_1) | instskip(SKIP_1) | instid1(VALU_DEP_2)
	v_and_b32_e32 v244, 0x3030303, v0
	v_bfe_u32 v0, v0, 24, 2
	v_lshrrev_b32_e32 v246, 16, v244
	v_lshrrev_b16 v245, 8, v244
	s_set_vgpr_msb 64                       ;  msbs: dst=1 src0=0 src1=0 src2=0
	v_sub_nc_u16 v39 /*v295*/, v244, v247
	s_set_vgpr_msb 4                        ;  msbs: dst=0 src0=0 src1=1 src2=0
	v_sub_nc_u16 v0, v0, v37 /*v293*/
	s_set_vgpr_msb 0x44                     ;  msbs: dst=1 src0=0 src1=1 src2=0
	v_sub_nc_u16 v38 /*v294*/, v246, v38 /*v294*/
	s_set_vgpr_msb 1                        ;  msbs: dst=0 src0=1 src1=0 src2=0
	ds_load_2addr_b32 v[246:247], v9 /*v265*/ offset0:6 offset1:7
	v_lshlrev_b16 v0, 8, v0
	s_set_vgpr_msb 0x41                     ;  msbs: dst=1 src0=1 src1=0 src2=0
	s_delay_alu instid0(VALU_DEP_1) | instskip(SKIP_3) | instid1(VALU_DEP_1)
	v_bitop3_b16 v37 /*v293*/, v38 /*v294*/, v0, 0xff bitop3:0xec
	s_set_vgpr_msb 4                        ;  msbs: dst=0 src0=0 src1=1 src2=0
	v_sub_nc_u16 v0, v245, v34 /*v290*/
	s_set_vgpr_msb 64                       ;  msbs: dst=1 src0=0 src1=0 src2=0
	v_lshlrev_b16 v34 /*v290*/, 8, v0
	s_set_vgpr_msb 0                        ;  msbs: dst=0 src0=0 src1=0 src2=0
	v_add_nc_u32_e32 v0, 0x3198, v215
	ds_load_2addr_b32 v[244:245], v0 offset1:1
	s_wait_dscnt 0x1
	v_dual_ashrrev_i32 v246, s18, v246 :: v_dual_ashrrev_i32 v247, s18, v247
	s_delay_alu instid0(VALU_DEP_1) | instskip(NEXT) | instid1(VALU_DEP_1)
	v_dual_lshlrev_b32 v246, 2, v246 :: v_dual_lshlrev_b32 v247, 2, v247
	v_and_b32_e32 v246, 0x4040404, v246
	s_delay_alu instid0(VALU_DEP_2) | instskip(SKIP_1) | instid1(VALU_DEP_2)
	v_and_b32_e32 v247, 0x4040404, v247
	s_set_vgpr_msb 64                       ;  msbs: dst=1 src0=0 src1=0 src2=0
	v_dual_lshrrev_b32 v41 /*v297*/, 24, v246 :: v_dual_lshrrev_b32 v42 /*v298*/, 16, v246
	v_lshrrev_b16 v9 /*v265*/, 8, v246
	s_delay_alu instid0(VALU_DEP_3) | instskip(SKIP_3) | instid1(VALU_DEP_1)
	v_dual_lshrrev_b32 v43 /*v299*/, 24, v247 :: v_dual_lshrrev_b32 v44 /*v300*/, 16, v247
	s_wait_dscnt 0x0
	s_set_vgpr_msb 0                        ;  msbs: dst=0 src0=0 src1=0 src2=0
	v_ashrrev_i32_e32 v0, s19, v244
	v_and_b32_e32 v215, 0x3030303, v0
	v_bfe_u32 v0, v0, 24, 2
	s_set_vgpr_msb 64                       ;  msbs: dst=1 src0=0 src1=0 src2=0
	s_delay_alu instid0(VALU_DEP_2) | instskip(SKIP_1) | instid1(VALU_DEP_2)
	v_lshrrev_b32_e32 v40 /*v296*/, 16, v215
	s_set_vgpr_msb 4                        ;  msbs: dst=0 src0=0 src1=1 src2=0
	v_sub_nc_u16 v0, v0, v41 /*v297*/
	s_set_vgpr_msb 0                        ;  msbs: dst=0 src0=0 src1=0 src2=0
	v_lshrrev_b16 v244, 8, v215
	v_sub_nc_u16 v215, v215, v246
	s_set_vgpr_msb 0x45                     ;  msbs: dst=1 src0=1 src1=1 src2=0
	v_sub_nc_u16 v40 /*v296*/, v40 /*v296*/, v42 /*v298*/
	s_set_vgpr_msb 64                       ;  msbs: dst=1 src0=0 src1=0 src2=0
	v_lshrrev_b16 v42 /*v298*/, 8, v247
	s_set_vgpr_msb 0                        ;  msbs: dst=0 src0=0 src1=0 src2=0
	v_lshlrev_b16 v0, 8, v0
	v_bfe_i32 v215, v215, 0, 8
	s_set_vgpr_msb 0x41                     ;  msbs: dst=1 src0=1 src1=0 src2=0
	s_delay_alu instid0(VALU_DEP_2) | instskip(SKIP_3) | instid1(VALU_DEP_1)
	v_bitop3_b16 v41 /*v297*/, v40 /*v296*/, v0, 0xff bitop3:0xec
	s_set_vgpr_msb 4                        ;  msbs: dst=0 src0=0 src1=1 src2=0
	v_sub_nc_u16 v0, v244, v9 /*v265*/
	s_set_vgpr_msb 0                        ;  msbs: dst=0 src0=0 src1=0 src2=0
	v_lshlrev_b16 v244, 8, v0
	v_ashrrev_i32_e32 v0, s19, v245
	s_delay_alu instid0(VALU_DEP_1) | instskip(SKIP_2) | instid1(VALU_DEP_2)
	v_and_b32_e32 v245, 0x3030303, v0
	v_bfe_u32 v0, v0, 24, 2
	s_set_vgpr_msb 64                       ;  msbs: dst=1 src0=0 src1=0 src2=0
	v_lshrrev_b32_e32 v9 /*v265*/, 16, v245
	s_set_vgpr_msb 4                        ;  msbs: dst=0 src0=0 src1=1 src2=0
	s_delay_alu instid0(VALU_DEP_2)
	v_sub_nc_u16 v0, v0, v43 /*v299*/
	s_set_vgpr_msb 0                        ;  msbs: dst=0 src0=0 src1=0 src2=0
	v_lshrrev_b16 v246, 8, v245
	v_sub_nc_u16 v245, v245, v247
	s_set_vgpr_msb 0x45                     ;  msbs: dst=1 src0=1 src1=1 src2=0
	v_sub_nc_u16 v9 /*v265*/, v9 /*v265*/, v44 /*v300*/
	s_set_vgpr_msb 0                        ;  msbs: dst=0 src0=0 src1=0 src2=0
	v_lshlrev_b16 v0, 8, v0
	s_set_vgpr_msb 0x41                     ;  msbs: dst=1 src0=1 src1=0 src2=0
	s_delay_alu instid0(VALU_DEP_1)
	v_bitop3_b16 v43 /*v299*/, v9 /*v265*/, v0, 0xff bitop3:0xec
	s_set_vgpr_msb 4                        ;  msbs: dst=0 src0=0 src1=1 src2=0
	v_sub_nc_u16 v0, v246, v42 /*v298*/
	s_set_vgpr_msb 64                       ;  msbs: dst=1 src0=0 src1=0 src2=0
	v_bfe_i32 v42 /*v298*/, v243, 0, 8
	s_set_vgpr_msb 0                        ;  msbs: dst=0 src0=0 src1=0 src2=0
	s_delay_alu instid0(VALU_DEP_2) | instskip(SKIP_1) | instid1(VALU_DEP_2)
	v_lshlrev_b16 v246, 8, v0
	s_set_vgpr_msb 4                        ;  msbs: dst=0 src0=0 src1=1 src2=0
	v_mul_i32_i24_e32 v207, v207, v42 /*v298*/
	s_set_vgpr_msb 0                        ;  msbs: dst=0 src0=0 src1=0 src2=0
	v_add3_u32 v0, s22, v144, v135
	s_set_vgpr_msb 4                        ;  msbs: dst=0 src0=0 src1=1 src2=0
	s_delay_alu instid0(VALU_DEP_2)
	v_mad_i32_i24 v207, v208, v12 /*v268*/, v207
	s_set_vgpr_msb 5                        ;  msbs: dst=0 src0=1 src1=1 src2=0
	v_perm_b32 v208, v13 /*v269*/, v4 /*v260*/, 0xc0c0500
	s_set_vgpr_msb 0x41                     ;  msbs: dst=1 src0=1 src1=0 src2=0
	v_bfe_i32 v4 /*v260*/, v17 /*v273*/, 0, 8
	v_bfe_i32 v17 /*v273*/, v36 /*v292*/, 0, 8
	;; [unrolled: 1-line block ×4, first 2 shown]
	s_set_vgpr_msb 0                        ;  msbs: dst=0 src0=0 src1=0 src2=0
	ds_load_b32 v0, v0
	v_or_b32_e32 v211, v211, v212
	v_dot4_i32_iu8 v207, v239, v208, v207 neg_lo:[1,1,0]
	s_set_vgpr_msb 1                        ;  msbs: dst=0 src0=1 src1=0 src2=0
	v_bfe_i32 v239, v14 /*v270*/, 8, 8
	s_set_vgpr_msb 4                        ;  msbs: dst=0 src0=0 src1=1 src2=0
	v_mul_i32_i24_e32 v205, v205, v4 /*v260*/
	v_mul_i32_i24_e32 v200, v200, v32 /*v288*/
	s_set_vgpr_msb 0                        ;  msbs: dst=0 src0=0 src1=0 src2=0
	v_mul_i32_i24_e32 v206, v206, v239
	s_set_vgpr_msb 1                        ;  msbs: dst=0 src0=1 src1=0 src2=0
	v_bfe_i32 v239, v20 /*v276*/, 0, 8
	s_set_vgpr_msb 0x45                     ;  msbs: dst=1 src0=1 src1=1 src2=0
	v_perm_b32 v20 /*v276*/, v35 /*v291*/, v33 /*v289*/, 0xc0c0500
	s_set_vgpr_msb 0                        ;  msbs: dst=0 src0=0 src1=0 src2=0
	v_add3_u32 v205, v207, v205, v206
	s_set_vgpr_msb 5                        ;  msbs: dst=0 src0=1 src1=1 src2=0
	v_perm_b32 v206, v15 /*v271*/, v16 /*v272*/, 0xc0c0500
	s_set_vgpr_msb 0                        ;  msbs: dst=0 src0=0 src1=0 src2=0
	s_delay_alu instid0(VALU_DEP_1) | instskip(NEXT) | instid1(VALU_DEP_1)
	v_dot4_i32_iu8 v1, v1, v206, v205 neg_lo:[1,1,0]
	v_mad_i32_i24 v1, v239, v202, v1
	s_set_vgpr_msb 4                        ;  msbs: dst=0 src0=0 src1=1 src2=0
	v_mul_i32_i24_e32 v202, v203, v17 /*v273*/
	s_set_vgpr_msb 1                        ;  msbs: dst=0 src0=1 src1=0 src2=0
	v_bfe_i32 v203, v34 /*v290*/, 8, 8
	s_set_vgpr_msb 4                        ;  msbs: dst=0 src0=0 src1=1 src2=0
	s_delay_alu instid0(VALU_DEP_2) | instskip(SKIP_1) | instid1(VALU_DEP_2)
	v_mad_i32_i24 v202, v204, v13 /*v269*/, v202
	s_set_vgpr_msb 0                        ;  msbs: dst=0 src0=0 src1=0 src2=0
	v_mul_i32_i24_e32 v201, v201, v203
	s_set_vgpr_msb 4                        ;  msbs: dst=0 src0=0 src1=1 src2=0
	s_delay_alu instid0(VALU_DEP_2) | instskip(SKIP_1) | instid1(VALU_DEP_1)
	v_dot4_i32_iu8 v202, v241, v20 /*v276*/, v202 neg_lo:[1,1,0]
	s_set_vgpr_msb 0                        ;  msbs: dst=0 src0=0 src1=0 src2=0
	v_add3_u32 v200, v202, v200, v201
	s_set_vgpr_msb 5                        ;  msbs: dst=0 src0=1 src1=1 src2=0
	v_perm_b32 v201, v37 /*v293*/, v38 /*v294*/, 0xc0c0500
	s_set_vgpr_msb 0                        ;  msbs: dst=0 src0=0 src1=0 src2=0
	s_delay_alu instid0(VALU_DEP_1) | instskip(SKIP_1) | instid1(VALU_DEP_1)
	v_dot4_i32_iu8 v5, v5, v201, v200 neg_lo:[1,1,0]
	s_set_vgpr_msb 64                       ;  msbs: dst=1 src0=0 src1=0 src2=0
	v_mad_i32_i24 v33 /*v289*/, v215, v114, v5
	s_set_vgpr_msb 0                        ;  msbs: dst=0 src0=0 src1=0 src2=0
	v_or_b32_e32 v5, s17, v123
	s_delay_alu instid0(VALU_DEP_1)
	v_dual_add_nc_u32 v247, s21, v31 :: v_dual_lshlrev_b32 v204, 2, v5
	v_lshrrev_b32_e32 v5, 1, v5
	ds_load_b32 v114, v5 offset:38816
	ds_load_b128 v[200:203], v204 offset:25344
	ds_load_b128 v[204:207], v204 offset:25360
	s_wait_dscnt 0x1
	s_set_vgpr_msb 64                       ;  msbs: dst=1 src0=0 src1=0 src2=0
	v_bfe_i32 v35 /*v291*/, v200, 0, 8
	v_bfe_i32 v36 /*v292*/, v200, 8, 8
	s_set_vgpr_msb 0                        ;  msbs: dst=0 src0=0 src1=0 src2=0
	v_perm_b32 v200, v200, v200, 0xc0c0302
	s_set_vgpr_msb 64                       ;  msbs: dst=1 src0=0 src1=0 src2=0
	v_bfe_i32 v39 /*v295*/, v201, 0, 8
	s_set_vgpr_msb 0                        ;  msbs: dst=0 src0=0 src1=0 src2=0
	v_perm_b32 v201, v201, v201, 0xc030201
	s_set_vgpr_msb 64                       ;  msbs: dst=1 src0=0 src1=0 src2=0
	v_bfe_i32 v44 /*v300*/, v202, 0, 8
	v_perm_b32 v50 /*v306*/, v202, v202, 0xc030201
	s_set_vgpr_msb 0                        ;  msbs: dst=0 src0=0 src1=0 src2=0
	v_bfe_i32 v243, v203, 0, 8
	v_perm_b32 v210, v203, v203, 0xc030201
	s_wait_dscnt 0x0
	s_set_vgpr_msb 64                       ;  msbs: dst=1 src0=0 src1=0 src2=0
	v_bfe_i32 v45 /*v301*/, v204, 0, 8
	v_bfe_i32 v46 /*v302*/, v204, 8, 8
	s_set_vgpr_msb 0                        ;  msbs: dst=0 src0=0 src1=0 src2=0
	v_perm_b32 v204, v204, v204, 0xc0c0302
	s_set_vgpr_msb 64                       ;  msbs: dst=1 src0=0 src1=0 src2=0
	v_bfe_i32 v47 /*v303*/, v205, 0, 8
	s_set_vgpr_msb 0                        ;  msbs: dst=0 src0=0 src1=0 src2=0
	v_perm_b32 v205, v205, v205, 0xc030201
	s_set_vgpr_msb 64                       ;  msbs: dst=1 src0=0 src1=0 src2=0
	v_bfe_i32 v48 /*v304*/, v206, 0, 8
	s_set_vgpr_msb 0                        ;  msbs: dst=0 src0=0 src1=0 src2=0
	v_perm_b32 v206, v206, v206, 0xc030201
	s_set_vgpr_msb 64                       ;  msbs: dst=1 src0=0 src1=0 src2=0
	v_bfe_i32 v49 /*v305*/, v207, 0, 8
	s_set_vgpr_msb 0                        ;  msbs: dst=0 src0=0 src1=0 src2=0
	v_perm_b32 v207, v207, v207, 0xc030201
	s_set_vgpr_msb 1                        ;  msbs: dst=0 src0=1 src1=0 src2=0
	v_mul_i32_i24_e32 v5, v35 /*v291*/, v166
	v_mul_i32_i24_e32 v212, v45 /*v301*/, v174
	s_delay_alu instid0(VALU_DEP_2) | instskip(NEXT) | instid1(VALU_DEP_2)
	v_mad_i32_i24 v5, v36 /*v292*/, v167, v5
	v_mad_i32_i24 v212, v46 /*v302*/, v175, v212
	s_set_vgpr_msb 0                        ;  msbs: dst=0 src0=0 src1=0 src2=0
	s_delay_alu instid0(VALU_DEP_2) | instskip(NEXT) | instid1(VALU_DEP_2)
	v_dot4_i32_iu8 v5, v200, v168, v5 neg_lo:[1,1,0]
	v_dot4_i32_iu8 v212, v204, v176, v212 neg_lo:[1,1,0]
	s_set_vgpr_msb 1                        ;  msbs: dst=0 src0=1 src1=0 src2=0
	s_delay_alu instid0(VALU_DEP_2) | instskip(NEXT) | instid1(VALU_DEP_2)
	v_mad_i32_i24 v5, v39 /*v295*/, v170, v5
	v_mad_i32_i24 v212, v47 /*v303*/, v178, v212
	s_set_vgpr_msb 0                        ;  msbs: dst=0 src0=0 src1=0 src2=0
	s_delay_alu instid0(VALU_DEP_2) | instskip(NEXT) | instid1(VALU_DEP_2)
	v_dot4_i32_iu8 v5, v201, v172, v5 neg_lo:[1,1,0]
	v_dot4_i32_iu8 v212, v205, v180, v212 neg_lo:[1,1,0]
	s_set_vgpr_msb 4                        ;  msbs: dst=0 src0=0 src1=1 src2=0
	s_delay_alu instid0(VALU_DEP_2) | instskip(NEXT) | instid1(VALU_DEP_2)
	v_mad_i32_i24 v5, v169, v44 /*v300*/, v5
	v_mad_i32_i24 v212, v177, v48 /*v304*/, v212
	s_delay_alu instid0(VALU_DEP_2) | instskip(SKIP_1) | instid1(VALU_DEP_2)
	v_dot4_i32_iu8 v5, v209, v50 /*v306*/, v5 neg_lo:[1,1,0]
	s_set_vgpr_msb 0                        ;  msbs: dst=0 src0=0 src1=0 src2=0
	v_dot4_i32_iu8 v212, v213, v206, v212 neg_lo:[1,1,0]
	s_delay_alu instid0(VALU_DEP_2) | instskip(SKIP_1) | instid1(VALU_DEP_2)
	v_mad_i32_i24 v5, v171, v243, v5
	s_set_vgpr_msb 4                        ;  msbs: dst=0 src0=0 src1=1 src2=0
	v_mad_i32_i24 v212, v179, v49 /*v305*/, v212
	s_set_vgpr_msb 0                        ;  msbs: dst=0 src0=0 src1=0 src2=0
	s_delay_alu instid0(VALU_DEP_2) | instskip(NEXT) | instid1(VALU_DEP_2)
	v_dot4_i32_iu8 v5, v211, v210, v5 neg_lo:[1,1,0]
	v_dot4_i32_iu8 v212, v214, v207, v212 neg_lo:[1,1,0]
	s_delay_alu instid0(VALU_DEP_2) | instskip(NEXT) | instid1(VALU_DEP_1)
	v_mul_lo_u32 v5, v5, v173
	v_mad_u32 v5, v212, v181, v5
	v_mul_f32_e32 v212, v165, v114
	s_delay_alu instid0(VALU_DEP_2) | instskip(NEXT) | instid1(VALU_DEP_1)
	v_cvt_f32_i32_e32 v5, v5
	v_mul_f32_e32 v5, v212, v5
	v_perm_b32 v212, v250, v250, 0xc0c0c01
	s_delay_alu instid0(VALU_DEP_2)
	v_pk_add_f32 v[104:105], v[104:105], v[4:5]
	s_set_vgpr_msb 1                        ;  msbs: dst=0 src0=1 src1=0 src2=0
	v_mul_i32_i24_e32 v4, v35 /*v291*/, v184
	s_set_vgpr_msb 0                        ;  msbs: dst=0 src0=0 src1=0 src2=0
	v_perm_b32 v5, v249, v248, 0xc05000c
	s_set_vgpr_msb 1                        ;  msbs: dst=0 src0=1 src1=0 src2=0
	s_delay_alu instid0(VALU_DEP_2) | instskip(SKIP_1) | instid1(VALU_DEP_2)
	v_mad_i32_i24 v4, v36 /*v292*/, v185, v4
	s_set_vgpr_msb 0                        ;  msbs: dst=0 src0=0 src1=0 src2=0
	v_or_b32_e32 v212, v5, v212
	v_perm_b32 v5, v252, v251, 0xc05000c
	s_delay_alu instid0(VALU_DEP_3) | instskip(NEXT) | instid1(VALU_DEP_2)
	v_dot4_i32_iu8 v4, v200, v186, v4 neg_lo:[1,1,0]
	v_or_b32_e32 v216, v5, v216
	s_set_vgpr_msb 1                        ;  msbs: dst=0 src0=1 src1=0 src2=0
	v_mul_i32_i24_e32 v5, v45 /*v301*/, v192
	s_delay_alu instid0(VALU_DEP_3) | instskip(NEXT) | instid1(VALU_DEP_2)
	v_mad_i32_i24 v4, v39 /*v295*/, v187, v4
	v_mad_i32_i24 v5, v46 /*v302*/, v193, v5
	s_set_vgpr_msb 0                        ;  msbs: dst=0 src0=0 src1=0 src2=0
	s_delay_alu instid0(VALU_DEP_2) | instskip(NEXT) | instid1(VALU_DEP_2)
	v_dot4_i32_iu8 v4, v201, v190, v4 neg_lo:[1,1,0]
	v_dot4_i32_iu8 v5, v204, v194, v5 neg_lo:[1,1,0]
	s_set_vgpr_msb 4                        ;  msbs: dst=0 src0=0 src1=1 src2=0
	s_delay_alu instid0(VALU_DEP_2) | instskip(SKIP_1) | instid1(VALU_DEP_2)
	v_mad_i32_i24 v4, v188, v44 /*v300*/, v4
	s_set_vgpr_msb 1                        ;  msbs: dst=0 src0=1 src1=0 src2=0
	v_mad_i32_i24 v5, v47 /*v303*/, v195, v5
	s_set_vgpr_msb 4                        ;  msbs: dst=0 src0=0 src1=1 src2=0
	s_delay_alu instid0(VALU_DEP_2) | instskip(SKIP_1) | instid1(VALU_DEP_2)
	v_dot4_i32_iu8 v4, v212, v50 /*v306*/, v4 neg_lo:[1,1,0]
	s_set_vgpr_msb 0                        ;  msbs: dst=0 src0=0 src1=0 src2=0
	v_dot4_i32_iu8 v5, v205, v198, v5 neg_lo:[1,1,0]
	s_delay_alu instid0(VALU_DEP_2) | instskip(SKIP_1) | instid1(VALU_DEP_2)
	v_mad_i32_i24 v4, v189, v243, v4
	s_set_vgpr_msb 4                        ;  msbs: dst=0 src0=0 src1=1 src2=0
	v_mad_i32_i24 v5, v196, v48 /*v304*/, v5
	s_set_vgpr_msb 0                        ;  msbs: dst=0 src0=0 src1=0 src2=0
	s_delay_alu instid0(VALU_DEP_2) | instskip(NEXT) | instid1(VALU_DEP_2)
	v_dot4_i32_iu8 v4, v216, v210, v4 neg_lo:[1,1,0]
	v_dot4_i32_iu8 v5, v217, v206, v5 neg_lo:[1,1,0]
	s_delay_alu instid0(VALU_DEP_2) | instskip(SKIP_1) | instid1(VALU_DEP_2)
	v_mul_lo_u32 v4, v4, v191
	s_set_vgpr_msb 4                        ;  msbs: dst=0 src0=0 src1=1 src2=0
	v_mad_i32_i24 v5, v197, v49 /*v305*/, v5
	s_set_vgpr_msb 0                        ;  msbs: dst=0 src0=0 src1=0 src2=0
	s_delay_alu instid0(VALU_DEP_1) | instskip(NEXT) | instid1(VALU_DEP_1)
	v_dot4_i32_iu8 v5, v218, v207, v5 neg_lo:[1,1,0]
	v_mad_u32 v4, v5, v199, v4
	v_mul_f32_e32 v5, v183, v114
	s_delay_alu instid0(VALU_DEP_2) | instskip(NEXT) | instid1(VALU_DEP_1)
	v_cvt_f32_i32_e32 v4, v4
	v_mul_f32_e32 v241, v5, v4
	s_set_vgpr_msb 1                        ;  msbs: dst=0 src0=1 src1=0 src2=0
	v_mul_i32_i24_e32 v4, v35 /*v291*/, v223
	s_set_vgpr_msb 5                        ;  msbs: dst=0 src0=1 src1=1 src2=0
	v_perm_b32 v5, v8 /*v264*/, v6 /*v262*/, 0xc05000c
	s_set_vgpr_msb 0                        ;  msbs: dst=0 src0=0 src1=0 src2=0
	v_pk_add_f32 v[106:107], v[106:107], v[240:241]
	s_set_vgpr_msb 1                        ;  msbs: dst=0 src0=1 src1=0 src2=0
	v_mad_i32_i24 v4, v36 /*v292*/, v224, v4
	s_set_vgpr_msb 0                        ;  msbs: dst=0 src0=0 src1=0 src2=0
	v_or_b32_e32 v220, v5, v220
	s_set_vgpr_msb 5                        ;  msbs: dst=0 src0=1 src1=1 src2=0
	v_perm_b32 v5, v10 /*v266*/, v11 /*v267*/, 0xc05000c
	v_perm_b32 v240, v21 /*v277*/, v21 /*v277*/, 0xc0c0c01
	;; [unrolled: 1-line block ×3, first 2 shown]
	s_set_vgpr_msb 0                        ;  msbs: dst=0 src0=0 src1=0 src2=0
	v_dot4_i32_iu8 v4, v200, v225, v4 neg_lo:[1,1,0]
	v_or_b32_e32 v221, v5, v221
	s_set_vgpr_msb 1                        ;  msbs: dst=0 src0=1 src1=0 src2=0
	v_mul_i32_i24_e32 v5, v45 /*v301*/, v231
	s_set_vgpr_msb 0                        ;  msbs: dst=0 src0=0 src1=0 src2=0
	v_or_b32_e32 v222, v222, v240
	s_set_vgpr_msb 5                        ;  msbs: dst=0 src0=1 src1=1 src2=0
	v_perm_b32 v240, v25 /*v281*/, v26 /*v282*/, 0xc05000c
	s_set_vgpr_msb 1                        ;  msbs: dst=0 src0=1 src1=0 src2=0
	v_mad_i32_i24 v4, v39 /*v295*/, v226, v4
	v_mad_i32_i24 v5, v46 /*v302*/, v232, v5
	s_set_vgpr_msb 0                        ;  msbs: dst=0 src0=0 src1=0 src2=0
	v_or_b32_e32 v240, v240, v241
	s_delay_alu instid0(VALU_DEP_3) | instskip(NEXT) | instid1(VALU_DEP_3)
	v_dot4_i32_iu8 v4, v201, v229, v4 neg_lo:[1,1,0]
	v_dot4_i32_iu8 v5, v204, v233, v5 neg_lo:[1,1,0]
	s_set_vgpr_msb 4                        ;  msbs: dst=0 src0=0 src1=1 src2=0
	s_delay_alu instid0(VALU_DEP_2) | instskip(SKIP_1) | instid1(VALU_DEP_2)
	v_mad_i32_i24 v4, v227, v44 /*v300*/, v4
	s_set_vgpr_msb 1                        ;  msbs: dst=0 src0=1 src1=0 src2=0
	v_mad_i32_i24 v5, v47 /*v303*/, v234, v5
	s_set_vgpr_msb 4                        ;  msbs: dst=0 src0=0 src1=1 src2=0
	s_delay_alu instid0(VALU_DEP_2) | instskip(SKIP_1) | instid1(VALU_DEP_2)
	v_dot4_i32_iu8 v4, v220, v50 /*v306*/, v4 neg_lo:[1,1,0]
	s_set_vgpr_msb 0                        ;  msbs: dst=0 src0=0 src1=0 src2=0
	v_dot4_i32_iu8 v5, v205, v237, v5 neg_lo:[1,1,0]
	s_delay_alu instid0(VALU_DEP_2) | instskip(SKIP_1) | instid1(VALU_DEP_2)
	v_mad_i32_i24 v4, v228, v243, v4
	s_set_vgpr_msb 4                        ;  msbs: dst=0 src0=0 src1=1 src2=0
	v_mad_i32_i24 v5, v235, v48 /*v304*/, v5
	s_set_vgpr_msb 0                        ;  msbs: dst=0 src0=0 src1=0 src2=0
	s_delay_alu instid0(VALU_DEP_2) | instskip(NEXT) | instid1(VALU_DEP_2)
	v_dot4_i32_iu8 v4, v221, v210, v4 neg_lo:[1,1,0]
	v_dot4_i32_iu8 v5, v222, v206, v5 neg_lo:[1,1,0]
	s_delay_alu instid0(VALU_DEP_2) | instskip(SKIP_1) | instid1(VALU_DEP_2)
	v_mul_lo_u32 v4, v4, v230
	s_set_vgpr_msb 4                        ;  msbs: dst=0 src0=0 src1=1 src2=0
	v_mad_i32_i24 v5, v236, v49 /*v305*/, v5
	s_set_vgpr_msb 0                        ;  msbs: dst=0 src0=0 src1=0 src2=0
	s_delay_alu instid0(VALU_DEP_1) | instskip(NEXT) | instid1(VALU_DEP_1)
	v_dot4_i32_iu8 v5, v240, v207, v5 neg_lo:[1,1,0]
	v_mad_u32 v4, v5, v238, v4
	v_mul_f32_e32 v5, v219, v114
	s_delay_alu instid0(VALU_DEP_2) | instskip(NEXT) | instid1(VALU_DEP_1)
	v_cvt_f32_i32_e32 v4, v4
	v_mul_f32_e32 v243, v5, v4
	s_set_vgpr_msb 5                        ;  msbs: dst=0 src0=1 src1=1 src2=0
	v_mul_i32_i24_e32 v4, v42 /*v298*/, v35 /*v291*/
	v_perm_b32 v5, v15 /*v271*/, v16 /*v272*/, 0xc05000c
	s_set_vgpr_msb 0                        ;  msbs: dst=0 src0=0 src1=0 src2=0
	v_pk_add_f32 v[108:109], v[108:109], v[242:243]
	s_set_vgpr_msb 5                        ;  msbs: dst=0 src0=1 src1=1 src2=0
	v_mad_i32_i24 v4, v12 /*v268*/, v36 /*v292*/, v4
	s_set_vgpr_msb 0                        ;  msbs: dst=0 src0=0 src1=0 src2=0
	v_bfe_i32 v243, v245, 0, 8
	s_delay_alu instid0(VALU_DEP_2) | instskip(SKIP_2) | instid1(VALU_DEP_2)
	v_dot4_i32_iu8 v4, v208, v200, v4 neg_lo:[1,1,0]
	s_set_vgpr_msb 5                        ;  msbs: dst=0 src0=1 src1=1 src2=0
	v_perm_b32 v200, v14 /*v270*/, v14 /*v270*/, 0xc0c0c01
	v_mad_i32_i24 v4, v4 /*v260*/, v39 /*v295*/, v4
	s_set_vgpr_msb 0                        ;  msbs: dst=0 src0=0 src1=0 src2=0
	s_delay_alu instid0(VALU_DEP_2)
	v_or_b32_e32 v241, v5, v200
	s_set_vgpr_msb 5                        ;  msbs: dst=0 src0=1 src1=1 src2=0
	v_perm_b32 v200, v37 /*v293*/, v38 /*v294*/, 0xc05000c
	v_mul_i32_i24_e32 v5, v17 /*v273*/, v45 /*v301*/
	s_set_vgpr_msb 0                        ;  msbs: dst=0 src0=0 src1=0 src2=0
	v_dot4_i32_iu8 v4, v241, v201, v4 neg_lo:[1,1,0]
	s_set_vgpr_msb 5                        ;  msbs: dst=0 src0=1 src1=1 src2=0
	v_perm_b32 v201, v34 /*v290*/, v34 /*v290*/, 0xc0c0c01
	v_mad_i32_i24 v5, v13 /*v269*/, v46 /*v302*/, v5
	s_set_vgpr_msb 1                        ;  msbs: dst=0 src0=1 src1=0 src2=0
	v_mad_i32_i24 v4, v44 /*v300*/, v239, v4
	s_set_vgpr_msb 0                        ;  msbs: dst=0 src0=0 src1=0 src2=0
	v_or_b32_e32 v242, v200, v201
	ds_load_u16 v200, v247
	s_set_vgpr_msb 1                        ;  msbs: dst=0 src0=1 src1=0 src2=0
	v_dot4_i32_iu8 v5, v20 /*v276*/, v204, v5 neg_lo:[1,1,0]
	s_set_vgpr_msb 5                        ;  msbs: dst=0 src0=1 src1=1 src2=0
	s_delay_alu instid0(VALU_DEP_1) | instskip(SKIP_1) | instid1(VALU_DEP_1)
	v_mad_i32_i24 v5, v32 /*v288*/, v47 /*v303*/, v5
	s_set_vgpr_msb 0                        ;  msbs: dst=0 src0=0 src1=0 src2=0
	v_dot4_i32_iu8 v5, v242, v205, v5 neg_lo:[1,1,0]
	s_set_vgpr_msb 1                        ;  msbs: dst=0 src0=1 src1=0 src2=0
	s_delay_alu instid0(VALU_DEP_1)
	v_mad_i32_i24 v5, v48 /*v304*/, v215, v5
	s_wait_dscnt 0x0
	v_lshrrev_b16 v201, 8, v200
	s_set_vgpr_msb 0                        ;  msbs: dst=0 src0=0 src1=0 src2=0
	v_bfe_i32 v247, v200, 0, 8
	s_set_vgpr_msb 5                        ;  msbs: dst=0 src0=1 src1=1 src2=0
	v_perm_b32 v200, v19 /*v275*/, v18 /*v274*/, 0xc0c0401
	s_set_vgpr_msb 0                        ;  msbs: dst=0 src0=0 src1=0 src2=0
	v_bfe_i32 v245, v201, 0, 8
	v_perm_b32 v201, v202, v202, 0xc0c0201
	s_delay_alu instid0(VALU_DEP_1) | instskip(SKIP_4) | instid1(VALU_DEP_1)
	v_dot4_i32_iu8 v4, v201, v200, v4 neg_lo:[1,1,0]
	s_set_vgpr_msb 5                        ;  msbs: dst=0 src0=1 src1=1 src2=0
	v_perm_b32 v200, v41 /*v297*/, v40 /*v296*/, 0xc05000c
	s_set_vgpr_msb 16                       ;  msbs: dst=0 src0=0 src1=0 src2=1
	v_perm_b32 v201, v244, v244, 0xc0c0c01
	v_or_b32_e32 v244, v200, v201
	v_perm_b32 v200, v203, v202, 0xc0c0403
	s_delay_alu instid0(VALU_DEP_2) | instskip(SKIP_1) | instid1(VALU_DEP_1)
	v_dot4_i32_iu8 v6, v6, v244, v33 /*v289*/ neg_lo:[1,1,0]
	s_set_vgpr_msb 0                        ;  msbs: dst=0 src0=0 src1=0 src2=0
	v_mad_i32_i24 v6, v182, v243, v6
	s_set_vgpr_msb 5                        ;  msbs: dst=0 src0=1 src1=1 src2=0
	v_perm_b32 v182, v31 /*v287*/, v24 /*v280*/, 0xc0c0401
	s_set_vgpr_msb 0                        ;  msbs: dst=0 src0=0 src1=0 src2=0
	s_delay_alu instid0(VALU_DEP_1) | instskip(SKIP_4) | instid1(VALU_DEP_1)
	v_dot4_i32_iu8 v4, v200, v182, v4 neg_lo:[1,1,0]
	s_set_vgpr_msb 5                        ;  msbs: dst=0 src0=1 src1=1 src2=0
	v_perm_b32 v182, v27 /*v283*/, v29 /*v285*/, 0xc05000c
	v_perm_b32 v200, v30 /*v286*/, v30 /*v286*/, 0xc0c0c01
	s_set_vgpr_msb 0                        ;  msbs: dst=0 src0=0 src1=0 src2=0
	v_or_b32_e32 v182, v182, v200
	v_perm_b32 v200, v246, v246, 0xc0c0c01
	s_delay_alu instid0(VALU_DEP_2) | instskip(SKIP_3) | instid1(VALU_DEP_2)
	v_dot4_i32_iu8 v4, v210, v182, v4 neg_lo:[1,1,0]
	s_set_vgpr_msb 5                        ;  msbs: dst=0 src0=1 src1=1 src2=0
	v_perm_b32 v182, v43 /*v299*/, v9 /*v265*/, 0xc05000c
	s_set_vgpr_msb 0                        ;  msbs: dst=0 src0=0 src1=0 src2=0
	v_mul_lo_u32 v4, v4, v247
	s_delay_alu instid0(VALU_DEP_2) | instskip(SKIP_3) | instid1(VALU_DEP_2)
	v_or_b32_e32 v210, v182, v200
	s_set_vgpr_msb 5                        ;  msbs: dst=0 src0=1 src1=1 src2=0
	v_perm_b32 v182, v18 /*v274*/, v18 /*v274*/, 0xc0c0c01
	s_set_vgpr_msb 0                        ;  msbs: dst=0 src0=0 src1=0 src2=0
	v_dot4_i32_iu8 v6, v7, v210, v6 neg_lo:[1,1,0]
	s_set_vgpr_msb 5                        ;  msbs: dst=0 src0=1 src1=1 src2=0
	v_perm_b32 v7, v24 /*v280*/, v19 /*v275*/, 0xc05000c
	s_set_vgpr_msb 0                        ;  msbs: dst=0 src0=0 src1=0 src2=0
	s_delay_alu instid0(VALU_DEP_2) | instskip(NEXT) | instid1(VALU_DEP_2)
	v_mul_lo_u32 v6, v6, v245
	v_or_b32_e32 v246, v7, v182
	s_set_vgpr_msb 5                        ;  msbs: dst=0 src0=1 src1=1 src2=0
	v_perm_b32 v7, v27 /*v283*/, v29 /*v285*/, 0x5000c0c
	s_set_vgpr_msb 0                        ;  msbs: dst=0 src0=0 src1=0 src2=0
	s_delay_alu instid0(VALU_DEP_2) | instskip(SKIP_4) | instid1(VALU_DEP_2)
	v_dot4_i32_iu8 v1, v2, v246, v1 neg_lo:[1,1,0]
	v_dot4_i32_iu8 v2, v206, v244, v5 neg_lo:[1,1,0]
	s_set_vgpr_msb 5                        ;  msbs: dst=0 src0=1 src1=1 src2=0
	v_perm_b32 v5, v30 /*v286*/, v31 /*v287*/, 0xc0c0500
	s_set_vgpr_msb 1                        ;  msbs: dst=0 src0=1 src1=0 src2=0
	v_mad_i32_i24 v2, v49 /*v305*/, v243, v2
	s_set_vgpr_msb 0                        ;  msbs: dst=0 src0=0 src1=0 src2=0
	s_delay_alu instid0(VALU_DEP_2) | instskip(NEXT) | instid1(VALU_DEP_2)
	v_or_b32_e32 v248, v7, v5
	v_dot4_i32_iu8 v2, v207, v210, v2 neg_lo:[1,1,0]
	s_delay_alu instid0(VALU_DEP_2) | instskip(NEXT) | instid1(VALU_DEP_2)
	v_dot4_i32_iu8 v1, v3, v248, v1 neg_lo:[1,1,0]
	v_mad_u32 v4, v2, v245, v4
	s_delay_alu instid0(VALU_DEP_2) | instskip(NEXT) | instid1(VALU_DEP_2)
	v_mad_u32 v1, v1, v247, v6
	v_cvt_f32_i32_e32 v4, v4
	s_delay_alu instid0(VALU_DEP_2) | instskip(SKIP_2) | instid1(VALU_DEP_2)
	v_pk_mul_f32 v[2:3], v[0:1], v[114:115] op_sel_hi:[0,1]
	v_cvt_f32_i32_e32 v5, v1
	v_or_b32_e32 v1, s17, v124
	v_pk_fma_f32 v[82:83], v[2:3], v[4:5], v[82:83]
	s_delay_alu instid0(VALU_DEP_2)
	v_dual_lshlrev_b32 v6, 2, v1 :: v_dual_lshrrev_b32 v1, 1, v1
	ds_load_b32 v1, v1 offset:38816
	ds_load_b128 v[2:5], v6 offset:25344
	ds_load_b128 v[200:203], v6 offset:25360
	s_wait_dscnt 0x1
	v_bfe_i32 v7, v2, 0, 8
	v_bfe_i32 v115, v2, 8, 8
	v_perm_b32 v2, v2, v2, 0xc0c0302
	v_bfe_i32 v182, v3, 0, 8
	v_perm_b32 v3, v3, v3, 0xc030201
	;; [unrolled: 2-line block ×4, first 2 shown]
	s_wait_dscnt 0x0
	v_bfe_i32 v206, v200, 0, 8
	v_bfe_i32 v207, v200, 8, 8
	v_perm_b32 v200, v200, v200, 0xc0c0302
	v_bfe_i32 v249, v201, 0, 8
	v_perm_b32 v201, v201, v201, 0xc030201
	;; [unrolled: 2-line block ×4, first 2 shown]
	v_mul_i32_i24_e32 v6, v7, v166
	v_mul_i32_i24_e32 v114, v206, v174
	;; [unrolled: 1-line block ×3, first 2 shown]
	s_delay_alu instid0(VALU_DEP_3) | instskip(NEXT) | instid1(VALU_DEP_3)
	v_mad_i32_i24 v6, v115, v167, v6
	v_mad_i32_i24 v114, v207, v175, v114
	s_delay_alu instid0(VALU_DEP_3) | instskip(NEXT) | instid1(VALU_DEP_3)
	v_mad_i32_i24 v253, v207, v193, v253
	v_dot4_i32_iu8 v6, v2, v168, v6 neg_lo:[1,1,0]
	s_delay_alu instid0(VALU_DEP_3) | instskip(NEXT) | instid1(VALU_DEP_3)
	v_dot4_i32_iu8 v114, v200, v176, v114 neg_lo:[1,1,0]
	v_dot4_i32_iu8 v253, v200, v194, v253 neg_lo:[1,1,0]
	s_delay_alu instid0(VALU_DEP_3) | instskip(NEXT) | instid1(VALU_DEP_3)
	v_mad_i32_i24 v6, v182, v170, v6
	v_mad_i32_i24 v114, v249, v178, v114
	s_delay_alu instid0(VALU_DEP_3) | instskip(NEXT) | instid1(VALU_DEP_3)
	v_mad_i32_i24 v253, v249, v195, v253
	v_dot4_i32_iu8 v6, v3, v172, v6 neg_lo:[1,1,0]
	s_delay_alu instid0(VALU_DEP_3) | instskip(NEXT) | instid1(VALU_DEP_3)
	v_dot4_i32_iu8 v114, v201, v180, v114 neg_lo:[1,1,0]
	v_dot4_i32_iu8 v253, v201, v198, v253 neg_lo:[1,1,0]
	;; [unrolled: 9-line block ×4, first 2 shown]
	s_delay_alu instid0(VALU_DEP_3) | instskip(NEXT) | instid1(VALU_DEP_1)
	v_mul_lo_u32 v6, v6, v173
	v_mad_u32 v6, v114, v181, v6
	v_mul_f32_e32 v114, v165, v1
	s_delay_alu instid0(VALU_DEP_2) | instskip(NEXT) | instid1(VALU_DEP_1)
	v_cvt_f32_i32_e32 v6, v6
	v_mul_f32_e32 v6, v114, v6
	v_mul_i32_i24_e32 v114, v7, v184
	s_delay_alu instid0(VALU_DEP_1) | instskip(NEXT) | instid1(VALU_DEP_1)
	v_mad_i32_i24 v114, v115, v185, v114
	v_dot4_i32_iu8 v114, v2, v186, v114 neg_lo:[1,1,0]
	s_delay_alu instid0(VALU_DEP_1) | instskip(NEXT) | instid1(VALU_DEP_1)
	v_mad_i32_i24 v114, v182, v187, v114
	v_dot4_i32_iu8 v114, v3, v190, v114 neg_lo:[1,1,0]
	;; [unrolled: 3-line block ×4, first 2 shown]
	s_delay_alu instid0(VALU_DEP_1) | instskip(NEXT) | instid1(VALU_DEP_1)
	v_mul_lo_u32 v114, v114, v191
	v_mad_u32 v114, v253, v199, v114
	v_mul_f32_e32 v253, v183, v1
	s_delay_alu instid0(VALU_DEP_2) | instskip(NEXT) | instid1(VALU_DEP_1)
	v_cvt_f32_i32_e32 v114, v114
	v_mul_f32_e32 v114, v253, v114
	v_mul_i32_i24_e32 v253, v7, v223
	s_set_vgpr_msb 1                        ;  msbs: dst=0 src0=1 src1=0 src2=0
	v_mul_i32_i24_e32 v7, v42 /*v298*/, v7
	s_set_vgpr_msb 0                        ;  msbs: dst=0 src0=0 src1=0 src2=0
	s_delay_alu instid0(VALU_DEP_2) | instskip(SKIP_1) | instid1(VALU_DEP_2)
	v_mad_i32_i24 v253, v115, v224, v253
	s_set_vgpr_msb 1                        ;  msbs: dst=0 src0=1 src1=0 src2=0
	v_mad_i32_i24 v7, v12 /*v268*/, v115, v7
	s_set_vgpr_msb 0                        ;  msbs: dst=0 src0=0 src1=0 src2=0
	s_delay_alu instid0(VALU_DEP_2) | instskip(NEXT) | instid1(VALU_DEP_2)
	v_dot4_i32_iu8 v253, v2, v225, v253 neg_lo:[1,1,0]
	v_dot4_i32_iu8 v2, v208, v2, v7 neg_lo:[1,1,0]
	s_delay_alu instid0(VALU_DEP_2) | instskip(SKIP_1) | instid1(VALU_DEP_2)
	v_mad_i32_i24 v253, v182, v226, v253
	s_set_vgpr_msb 1                        ;  msbs: dst=0 src0=1 src1=0 src2=0
	v_mad_i32_i24 v2, v4 /*v260*/, v182, v2
	s_set_vgpr_msb 0                        ;  msbs: dst=0 src0=0 src1=0 src2=0
	s_delay_alu instid0(VALU_DEP_2) | instskip(NEXT) | instid1(VALU_DEP_2)
	v_dot4_i32_iu8 v253, v3, v229, v253 neg_lo:[1,1,0]
	v_dot4_i32_iu8 v2, v241, v3, v2 neg_lo:[1,1,0]
	s_set_vgpr_msb 1                        ;  msbs: dst=0 src0=1 src1=0 src2=0
	v_mul_i32_i24_e32 v3, v17 /*v273*/, v206
	s_set_vgpr_msb 0                        ;  msbs: dst=0 src0=0 src1=0 src2=0
	v_mad_i32_i24 v253, v227, v205, v253
	v_mad_i32_i24 v2, v205, v239, v2
	s_set_vgpr_msb 1                        ;  msbs: dst=0 src0=1 src1=0 src2=0
	v_mad_i32_i24 v3, v13 /*v269*/, v207, v3
	s_set_vgpr_msb 0                        ;  msbs: dst=0 src0=0 src1=0 src2=0
	v_dot4_i32_iu8 v253, v220, v4, v253 neg_lo:[1,1,0]
	v_dot4_i32_iu8 v2, v4, v246, v2 neg_lo:[1,1,0]
	s_set_vgpr_msb 1                        ;  msbs: dst=0 src0=1 src1=0 src2=0
	v_dot4_i32_iu8 v3, v20 /*v276*/, v200, v3 neg_lo:[1,1,0]
	s_set_vgpr_msb 0                        ;  msbs: dst=0 src0=0 src1=0 src2=0
	v_mad_i32_i24 v204, v228, v204, v253
	v_dot4_i32_iu8 v2, v248, v5, v2 neg_lo:[1,1,0]
	s_set_vgpr_msb 1                        ;  msbs: dst=0 src0=1 src1=0 src2=0
	v_mad_i32_i24 v3, v32 /*v288*/, v249, v3
	s_set_vgpr_msb 0                        ;  msbs: dst=0 src0=0 src1=0 src2=0
	v_dot4_i32_iu8 v204, v221, v252, v204 neg_lo:[1,1,0]
	v_mul_i32_i24_e32 v252, v206, v231
	s_delay_alu instid0(VALU_DEP_3) | instskip(SKIP_1) | instid1(VALU_DEP_4)
	v_dot4_i32_iu8 v3, v242, v201, v3 neg_lo:[1,1,0]
	v_mul_lo_u32 v2, v2, v247
	v_mul_lo_u32 v204, v204, v230
	s_delay_alu instid0(VALU_DEP_4) | instskip(NEXT) | instid1(VALU_DEP_4)
	v_mad_i32_i24 v252, v207, v232, v252
	v_mad_i32_i24 v3, v250, v215, v3
	s_delay_alu instid0(VALU_DEP_2) | instskip(NEXT) | instid1(VALU_DEP_2)
	v_dot4_i32_iu8 v252, v200, v233, v252 neg_lo:[1,1,0]
	v_dot4_i32_iu8 v3, v202, v244, v3 neg_lo:[1,1,0]
	s_delay_alu instid0(VALU_DEP_2) | instskip(NEXT) | instid1(VALU_DEP_2)
	v_mad_i32_i24 v252, v249, v234, v252
	v_mad_i32_i24 v3, v243, v251, v3
	s_delay_alu instid0(VALU_DEP_2) | instskip(NEXT) | instid1(VALU_DEP_2)
	v_dot4_i32_iu8 v252, v201, v237, v252 neg_lo:[1,1,0]
	v_dot4_i32_iu8 v3, v210, v203, v3 neg_lo:[1,1,0]
	s_delay_alu instid0(VALU_DEP_2) | instskip(NEXT) | instid1(VALU_DEP_2)
	v_mad_i32_i24 v252, v235, v250, v252
	v_mad_u32 v2, v3, v245, v2
	s_delay_alu instid0(VALU_DEP_2) | instskip(NEXT) | instid1(VALU_DEP_1)
	v_dot4_i32_iu8 v252, v222, v202, v252 neg_lo:[1,1,0]
	v_mad_i32_i24 v252, v236, v251, v252
	s_delay_alu instid0(VALU_DEP_3) | instskip(NEXT) | instid1(VALU_DEP_2)
	v_cvt_f32_i32_e32 v2, v2
	v_dot4_i32_iu8 v252, v240, v203, v252 neg_lo:[1,1,0]
	s_delay_alu instid0(VALU_DEP_1) | instskip(SKIP_1) | instid1(VALU_DEP_1)
	v_mad_u32 v204, v252, v238, v204
	v_dual_mul_f32 v252, v219, v1 :: v_dual_mul_f32 v1, v0, v1
	v_dual_mul_f32 v206, v1, v2 :: v_dual_bitop2_b32 v1, s17, v125 bitop3:0x54
	s_delay_alu instid0(VALU_DEP_3) | instskip(NEXT) | instid1(VALU_DEP_2)
	v_cvt_f32_i32_e32 v204, v204
	v_dual_lshlrev_b32 v7, 2, v1 :: v_dual_lshrrev_b32 v1, 1, v1
	ds_load_b32 v1, v1 offset:38816
	ds_load_b128 v[2:5], v7 offset:25344
	ds_load_b128 v[200:203], v7 offset:25360
	v_mul_f32_e32 v204, v252, v204
	s_wait_dscnt 0x1
	v_bfe_i32 v182, v2, 0, 8
	v_bfe_i32 v207, v2, 8, 8
	v_perm_b32 v2, v2, v2, 0xc0c0302
	v_bfe_i32 v249, v3, 0, 8
	v_perm_b32 v3, v3, v3, 0xc030201
	v_bfe_i32 v250, v4, 0, 8
	v_perm_b32 v4, v4, v4, 0xc030201
	v_bfe_i32 v205, v5, 0, 8
	s_set_vgpr_msb 64                       ;  msbs: dst=1 src0=0 src1=0 src2=0
	v_perm_b32 v0 /*v256*/, v5, v5, 0xc030201
	s_wait_dscnt 0x0
	s_set_vgpr_msb 0                        ;  msbs: dst=0 src0=0 src1=0 src2=0
	v_bfe_i32 v251, v200, 0, 8
	v_bfe_i32 v252, v200, 8, 8
	v_perm_b32 v200, v200, v200, 0xc0c0302
	v_bfe_i32 v253, v201, 0, 8
	v_perm_b32 v201, v201, v201, 0xc030201
	;; [unrolled: 2-line block ×4, first 2 shown]
	v_mul_i32_i24_e32 v7, v182, v166
	v_mul_i32_i24_e32 v115, v251, v174
	s_delay_alu instid0(VALU_DEP_2) | instskip(NEXT) | instid1(VALU_DEP_2)
	v_mad_i32_i24 v7, v207, v167, v7
	v_mad_i32_i24 v115, v252, v175, v115
	s_delay_alu instid0(VALU_DEP_2) | instskip(NEXT) | instid1(VALU_DEP_2)
	v_dot4_i32_iu8 v7, v2, v168, v7 neg_lo:[1,1,0]
	v_dot4_i32_iu8 v115, v200, v176, v115 neg_lo:[1,1,0]
	s_delay_alu instid0(VALU_DEP_2) | instskip(NEXT) | instid1(VALU_DEP_2)
	v_mad_i32_i24 v7, v249, v170, v7
	v_mad_i32_i24 v115, v253, v178, v115
	s_delay_alu instid0(VALU_DEP_2) | instskip(NEXT) | instid1(VALU_DEP_2)
	v_dot4_i32_iu8 v7, v3, v172, v7 neg_lo:[1,1,0]
	v_dot4_i32_iu8 v115, v201, v180, v115 neg_lo:[1,1,0]
	s_delay_alu instid0(VALU_DEP_2) | instskip(NEXT) | instid1(VALU_DEP_2)
	v_mad_i32_i24 v7, v169, v250, v7
	v_mad_i32_i24 v115, v177, v254, v115
	s_delay_alu instid0(VALU_DEP_2) | instskip(NEXT) | instid1(VALU_DEP_2)
	v_dot4_i32_iu8 v7, v209, v4, v7 neg_lo:[1,1,0]
	v_dot4_i32_iu8 v115, v213, v202, v115 neg_lo:[1,1,0]
	s_delay_alu instid0(VALU_DEP_2) | instskip(NEXT) | instid1(VALU_DEP_2)
	v_mad_i32_i24 v7, v171, v205, v7
	v_mad_i32_i24 v115, v179, v255, v115
	s_set_vgpr_msb 4                        ;  msbs: dst=0 src0=0 src1=1 src2=0
	s_delay_alu instid0(VALU_DEP_2) | instskip(SKIP_1) | instid1(VALU_DEP_2)
	v_dot4_i32_iu8 v7, v211, v0 /*v256*/, v7 neg_lo:[1,1,0]
	s_set_vgpr_msb 0                        ;  msbs: dst=0 src0=0 src1=0 src2=0
	v_dot4_i32_iu8 v115, v214, v203, v115 neg_lo:[1,1,0]
	s_delay_alu instid0(VALU_DEP_2) | instskip(NEXT) | instid1(VALU_DEP_1)
	v_mul_lo_u32 v7, v7, v173
	v_mad_u32 v7, v115, v181, v7
	v_mul_f32_e32 v115, v165, v1
	s_delay_alu instid0(VALU_DEP_2) | instskip(NEXT) | instid1(VALU_DEP_1)
	v_cvt_f32_i32_e32 v7, v7
	v_mul_f32_e32 v7, v115, v7
	s_delay_alu instid0(VALU_DEP_1) | instskip(SKIP_2) | instid1(VALU_DEP_2)
	v_pk_add_f32 v[86:87], v[86:87], v[6:7]
	v_mul_i32_i24_e32 v6, v182, v184
	v_mul_i32_i24_e32 v7, v251, v192
	v_mad_i32_i24 v6, v207, v185, v6
	s_delay_alu instid0(VALU_DEP_2) | instskip(NEXT) | instid1(VALU_DEP_2)
	v_mad_i32_i24 v7, v252, v193, v7
	v_dot4_i32_iu8 v6, v2, v186, v6 neg_lo:[1,1,0]
	s_delay_alu instid0(VALU_DEP_2) | instskip(NEXT) | instid1(VALU_DEP_2)
	v_dot4_i32_iu8 v7, v200, v194, v7 neg_lo:[1,1,0]
	v_mad_i32_i24 v6, v249, v187, v6
	s_delay_alu instid0(VALU_DEP_2) | instskip(NEXT) | instid1(VALU_DEP_2)
	v_mad_i32_i24 v7, v253, v195, v7
	v_dot4_i32_iu8 v6, v3, v190, v6 neg_lo:[1,1,0]
	s_delay_alu instid0(VALU_DEP_2) | instskip(NEXT) | instid1(VALU_DEP_2)
	v_dot4_i32_iu8 v7, v201, v198, v7 neg_lo:[1,1,0]
	;; [unrolled: 6-line block ×3, first 2 shown]
	v_mad_i32_i24 v6, v189, v205, v6
	s_delay_alu instid0(VALU_DEP_2) | instskip(SKIP_1) | instid1(VALU_DEP_2)
	v_mad_i32_i24 v7, v197, v255, v7
	s_set_vgpr_msb 4                        ;  msbs: dst=0 src0=0 src1=1 src2=0
	v_dot4_i32_iu8 v6, v216, v0 /*v256*/, v6 neg_lo:[1,1,0]
	s_set_vgpr_msb 0                        ;  msbs: dst=0 src0=0 src1=0 src2=0
	s_delay_alu instid0(VALU_DEP_2) | instskip(NEXT) | instid1(VALU_DEP_2)
	v_dot4_i32_iu8 v7, v218, v203, v7 neg_lo:[1,1,0]
	v_mul_lo_u32 v6, v6, v191
	s_delay_alu instid0(VALU_DEP_1) | instskip(SKIP_1) | instid1(VALU_DEP_2)
	v_mad_u32 v6, v7, v199, v6
	v_mul_f32_e32 v7, v183, v1
	v_cvt_f32_i32_e32 v6, v6
	s_delay_alu instid0(VALU_DEP_1) | instskip(SKIP_2) | instid1(VALU_DEP_3)
	v_mul_f32_e32 v115, v7, v6
	v_mul_i32_i24_e32 v6, v182, v223
	v_mul_i32_i24_e32 v7, v251, v231
	v_pk_add_f32 v[94:95], v[94:95], v[114:115]
	s_delay_alu instid0(VALU_DEP_3) | instskip(NEXT) | instid1(VALU_DEP_3)
	v_mad_i32_i24 v6, v207, v224, v6
	v_mad_i32_i24 v7, v252, v232, v7
	s_delay_alu instid0(VALU_DEP_2) | instskip(NEXT) | instid1(VALU_DEP_2)
	v_dot4_i32_iu8 v6, v2, v225, v6 neg_lo:[1,1,0]
	v_dot4_i32_iu8 v7, v200, v233, v7 neg_lo:[1,1,0]
	s_delay_alu instid0(VALU_DEP_2) | instskip(NEXT) | instid1(VALU_DEP_2)
	v_mad_i32_i24 v6, v249, v226, v6
	v_mad_i32_i24 v7, v253, v234, v7
	s_delay_alu instid0(VALU_DEP_2) | instskip(NEXT) | instid1(VALU_DEP_2)
	v_dot4_i32_iu8 v6, v3, v229, v6 neg_lo:[1,1,0]
	v_dot4_i32_iu8 v7, v201, v237, v7 neg_lo:[1,1,0]
	s_delay_alu instid0(VALU_DEP_2) | instskip(NEXT) | instid1(VALU_DEP_2)
	;; [unrolled: 6-line block ×3, first 2 shown]
	v_mad_i32_i24 v6, v228, v205, v6
	v_mad_i32_i24 v7, v236, v255, v7
	s_set_vgpr_msb 4                        ;  msbs: dst=0 src0=0 src1=1 src2=0
	s_delay_alu instid0(VALU_DEP_2) | instskip(SKIP_1) | instid1(VALU_DEP_2)
	v_dot4_i32_iu8 v6, v221, v0 /*v256*/, v6 neg_lo:[1,1,0]
	s_set_vgpr_msb 0                        ;  msbs: dst=0 src0=0 src1=0 src2=0
	v_dot4_i32_iu8 v7, v240, v203, v7 neg_lo:[1,1,0]
	s_delay_alu instid0(VALU_DEP_2) | instskip(NEXT) | instid1(VALU_DEP_1)
	v_mul_lo_u32 v6, v6, v230
	v_mad_u32 v6, v7, v238, v6
	v_dual_mul_f32 v7, v219, v1 :: v_dual_mul_f32 v1, v0, v1
	s_delay_alu instid0(VALU_DEP_2) | instskip(NEXT) | instid1(VALU_DEP_1)
	v_cvt_f32_i32_e32 v6, v6
	v_mul_f32_e32 v205, v7, v6
	s_set_vgpr_msb 1                        ;  msbs: dst=0 src0=1 src1=0 src2=0
	v_mul_i32_i24_e32 v6, v42 /*v298*/, v182
	s_set_vgpr_msb 0                        ;  msbs: dst=0 src0=0 src1=0 src2=0
	s_delay_alu instid0(VALU_DEP_2) | instskip(SKIP_1) | instid1(VALU_DEP_2)
	v_pk_add_f32 v[100:101], v[100:101], v[204:205]
	s_set_vgpr_msb 1                        ;  msbs: dst=0 src0=1 src1=0 src2=0
	v_mad_i32_i24 v6, v12 /*v268*/, v207, v6
	s_set_vgpr_msb 0                        ;  msbs: dst=0 src0=0 src1=0 src2=0
	s_delay_alu instid0(VALU_DEP_1) | instskip(SKIP_1) | instid1(VALU_DEP_1)
	v_dot4_i32_iu8 v2, v208, v2, v6 neg_lo:[1,1,0]
	s_set_vgpr_msb 1                        ;  msbs: dst=0 src0=1 src1=0 src2=0
	v_mad_i32_i24 v2, v4 /*v260*/, v249, v2
	s_set_vgpr_msb 0                        ;  msbs: dst=0 src0=0 src1=0 src2=0
	s_delay_alu instid0(VALU_DEP_1) | instskip(SKIP_3) | instid1(VALU_DEP_2)
	v_dot4_i32_iu8 v2, v241, v3, v2 neg_lo:[1,1,0]
	s_set_vgpr_msb 1                        ;  msbs: dst=0 src0=1 src1=0 src2=0
	v_mul_i32_i24_e32 v3, v17 /*v273*/, v251
	s_set_vgpr_msb 0                        ;  msbs: dst=0 src0=0 src1=0 src2=0
	v_mad_i32_i24 v2, v250, v239, v2
	s_set_vgpr_msb 1                        ;  msbs: dst=0 src0=1 src1=0 src2=0
	s_delay_alu instid0(VALU_DEP_2) | instskip(SKIP_1) | instid1(VALU_DEP_2)
	v_mad_i32_i24 v3, v13 /*v269*/, v252, v3
	s_set_vgpr_msb 0                        ;  msbs: dst=0 src0=0 src1=0 src2=0
	v_dot4_i32_iu8 v2, v4, v246, v2 neg_lo:[1,1,0]
	s_set_vgpr_msb 1                        ;  msbs: dst=0 src0=1 src1=0 src2=0
	s_delay_alu instid0(VALU_DEP_2) | instskip(SKIP_1) | instid1(VALU_DEP_2)
	v_dot4_i32_iu8 v3, v20 /*v276*/, v200, v3 neg_lo:[1,1,0]
	s_set_vgpr_msb 0                        ;  msbs: dst=0 src0=0 src1=0 src2=0
	v_dot4_i32_iu8 v2, v248, v5, v2 neg_lo:[1,1,0]
	s_set_vgpr_msb 1                        ;  msbs: dst=0 src0=1 src1=0 src2=0
	s_delay_alu instid0(VALU_DEP_2) | instskip(SKIP_1) | instid1(VALU_DEP_2)
	v_mad_i32_i24 v3, v32 /*v288*/, v253, v3
	s_set_vgpr_msb 0                        ;  msbs: dst=0 src0=0 src1=0 src2=0
	v_mul_lo_u32 v2, v2, v247
	s_delay_alu instid0(VALU_DEP_2) | instskip(NEXT) | instid1(VALU_DEP_1)
	v_dot4_i32_iu8 v3, v242, v201, v3 neg_lo:[1,1,0]
	v_mad_i32_i24 v3, v254, v215, v3
	s_delay_alu instid0(VALU_DEP_1) | instskip(NEXT) | instid1(VALU_DEP_1)
	v_dot4_i32_iu8 v3, v202, v244, v3 neg_lo:[1,1,0]
	v_mad_i32_i24 v3, v243, v255, v3
	s_delay_alu instid0(VALU_DEP_1) | instskip(NEXT) | instid1(VALU_DEP_1)
	v_dot4_i32_iu8 v3, v210, v203, v3 neg_lo:[1,1,0]
	v_mad_u32 v2, v3, v245, v2
	s_delay_alu instid0(VALU_DEP_1) | instskip(NEXT) | instid1(VALU_DEP_1)
	v_cvt_f32_i32_e32 v2, v2
	v_mul_f32_e32 v207, v1, v2
	v_or_b32_e32 v1, s17, v126
	s_delay_alu instid0(VALU_DEP_2) | instskip(NEXT) | instid1(VALU_DEP_2)
	v_pk_add_f32 v[70:71], v[70:71], v[206:207]
	v_dual_lshlrev_b32 v6, 2, v1 :: v_dual_lshrrev_b32 v1, 1, v1
	ds_load_b32 v1, v1 offset:38816
	ds_load_b128 v[2:5], v6 offset:25344
	ds_load_b128 v[200:203], v6 offset:25360
	s_wait_dscnt 0x1
	v_bfe_i32 v7, v2, 0, 8
	v_bfe_i32 v115, v2, 8, 8
	v_perm_b32 v2, v2, v2, 0xc0c0302
	v_bfe_i32 v182, v3, 0, 8
	v_perm_b32 v3, v3, v3, 0xc030201
	;; [unrolled: 2-line block ×4, first 2 shown]
	s_wait_dscnt 0x0
	v_bfe_i32 v206, v200, 0, 8
	v_bfe_i32 v207, v200, 8, 8
	v_perm_b32 v200, v200, v200, 0xc0c0302
	v_bfe_i32 v249, v201, 0, 8
	v_perm_b32 v201, v201, v201, 0xc030201
	;; [unrolled: 2-line block ×4, first 2 shown]
	v_mul_i32_i24_e32 v6, v7, v166
	v_mul_i32_i24_e32 v114, v206, v174
	;; [unrolled: 1-line block ×3, first 2 shown]
	s_delay_alu instid0(VALU_DEP_3) | instskip(NEXT) | instid1(VALU_DEP_3)
	v_mad_i32_i24 v6, v115, v167, v6
	v_mad_i32_i24 v114, v207, v175, v114
	s_delay_alu instid0(VALU_DEP_3) | instskip(NEXT) | instid1(VALU_DEP_3)
	v_mad_i32_i24 v253, v207, v193, v253
	v_dot4_i32_iu8 v6, v2, v168, v6 neg_lo:[1,1,0]
	s_delay_alu instid0(VALU_DEP_3) | instskip(NEXT) | instid1(VALU_DEP_3)
	v_dot4_i32_iu8 v114, v200, v176, v114 neg_lo:[1,1,0]
	v_dot4_i32_iu8 v253, v200, v194, v253 neg_lo:[1,1,0]
	s_delay_alu instid0(VALU_DEP_3) | instskip(NEXT) | instid1(VALU_DEP_3)
	v_mad_i32_i24 v6, v182, v170, v6
	v_mad_i32_i24 v114, v249, v178, v114
	s_delay_alu instid0(VALU_DEP_3) | instskip(NEXT) | instid1(VALU_DEP_3)
	v_mad_i32_i24 v253, v249, v195, v253
	v_dot4_i32_iu8 v6, v3, v172, v6 neg_lo:[1,1,0]
	s_delay_alu instid0(VALU_DEP_3) | instskip(NEXT) | instid1(VALU_DEP_3)
	v_dot4_i32_iu8 v114, v201, v180, v114 neg_lo:[1,1,0]
	v_dot4_i32_iu8 v253, v201, v198, v253 neg_lo:[1,1,0]
	;; [unrolled: 9-line block ×4, first 2 shown]
	s_delay_alu instid0(VALU_DEP_3) | instskip(NEXT) | instid1(VALU_DEP_1)
	v_mul_lo_u32 v6, v6, v173
	v_mad_u32 v6, v114, v181, v6
	v_mul_f32_e32 v114, v165, v1
	s_delay_alu instid0(VALU_DEP_2) | instskip(NEXT) | instid1(VALU_DEP_1)
	v_cvt_f32_i32_e32 v6, v6
	v_mul_f32_e32 v6, v114, v6
	v_mul_i32_i24_e32 v114, v7, v184
	s_delay_alu instid0(VALU_DEP_1) | instskip(NEXT) | instid1(VALU_DEP_1)
	v_mad_i32_i24 v114, v115, v185, v114
	v_dot4_i32_iu8 v114, v2, v186, v114 neg_lo:[1,1,0]
	s_delay_alu instid0(VALU_DEP_1) | instskip(NEXT) | instid1(VALU_DEP_1)
	v_mad_i32_i24 v114, v182, v187, v114
	v_dot4_i32_iu8 v114, v3, v190, v114 neg_lo:[1,1,0]
	s_delay_alu instid0(VALU_DEP_1) | instskip(NEXT) | instid1(VALU_DEP_1)
	v_mad_i32_i24 v114, v188, v205, v114
	v_dot4_i32_iu8 v114, v212, v4, v114 neg_lo:[1,1,0]
	s_delay_alu instid0(VALU_DEP_1) | instskip(NEXT) | instid1(VALU_DEP_1)
	v_mad_i32_i24 v114, v189, v204, v114
	v_dot4_i32_iu8 v114, v216, v252, v114 neg_lo:[1,1,0]
	s_delay_alu instid0(VALU_DEP_1) | instskip(NEXT) | instid1(VALU_DEP_1)
	v_mul_lo_u32 v114, v114, v191
	v_mad_u32 v114, v253, v199, v114
	v_mul_f32_e32 v253, v183, v1
	s_delay_alu instid0(VALU_DEP_2) | instskip(NEXT) | instid1(VALU_DEP_1)
	v_cvt_f32_i32_e32 v114, v114
	v_mul_f32_e32 v114, v253, v114
	v_mul_i32_i24_e32 v253, v7, v223
	s_set_vgpr_msb 1                        ;  msbs: dst=0 src0=1 src1=0 src2=0
	v_mul_i32_i24_e32 v7, v42 /*v298*/, v7
	s_set_vgpr_msb 0                        ;  msbs: dst=0 src0=0 src1=0 src2=0
	s_delay_alu instid0(VALU_DEP_2) | instskip(SKIP_1) | instid1(VALU_DEP_2)
	v_mad_i32_i24 v253, v115, v224, v253
	s_set_vgpr_msb 1                        ;  msbs: dst=0 src0=1 src1=0 src2=0
	v_mad_i32_i24 v7, v12 /*v268*/, v115, v7
	s_set_vgpr_msb 0                        ;  msbs: dst=0 src0=0 src1=0 src2=0
	s_delay_alu instid0(VALU_DEP_2) | instskip(NEXT) | instid1(VALU_DEP_2)
	v_dot4_i32_iu8 v253, v2, v225, v253 neg_lo:[1,1,0]
	v_dot4_i32_iu8 v2, v208, v2, v7 neg_lo:[1,1,0]
	s_delay_alu instid0(VALU_DEP_2) | instskip(SKIP_1) | instid1(VALU_DEP_2)
	v_mad_i32_i24 v253, v182, v226, v253
	s_set_vgpr_msb 1                        ;  msbs: dst=0 src0=1 src1=0 src2=0
	v_mad_i32_i24 v2, v4 /*v260*/, v182, v2
	s_set_vgpr_msb 0                        ;  msbs: dst=0 src0=0 src1=0 src2=0
	s_delay_alu instid0(VALU_DEP_2) | instskip(NEXT) | instid1(VALU_DEP_2)
	v_dot4_i32_iu8 v253, v3, v229, v253 neg_lo:[1,1,0]
	v_dot4_i32_iu8 v2, v241, v3, v2 neg_lo:[1,1,0]
	s_set_vgpr_msb 1                        ;  msbs: dst=0 src0=1 src1=0 src2=0
	v_mul_i32_i24_e32 v3, v17 /*v273*/, v206
	s_set_vgpr_msb 0                        ;  msbs: dst=0 src0=0 src1=0 src2=0
	v_mad_i32_i24 v253, v227, v205, v253
	v_mad_i32_i24 v2, v205, v239, v2
	s_set_vgpr_msb 1                        ;  msbs: dst=0 src0=1 src1=0 src2=0
	v_mad_i32_i24 v3, v13 /*v269*/, v207, v3
	s_set_vgpr_msb 0                        ;  msbs: dst=0 src0=0 src1=0 src2=0
	v_dot4_i32_iu8 v253, v220, v4, v253 neg_lo:[1,1,0]
	v_dot4_i32_iu8 v2, v4, v246, v2 neg_lo:[1,1,0]
	s_set_vgpr_msb 1                        ;  msbs: dst=0 src0=1 src1=0 src2=0
	v_dot4_i32_iu8 v3, v20 /*v276*/, v200, v3 neg_lo:[1,1,0]
	s_set_vgpr_msb 0                        ;  msbs: dst=0 src0=0 src1=0 src2=0
	v_mad_i32_i24 v204, v228, v204, v253
	v_dot4_i32_iu8 v2, v248, v5, v2 neg_lo:[1,1,0]
	s_set_vgpr_msb 1                        ;  msbs: dst=0 src0=1 src1=0 src2=0
	v_mad_i32_i24 v3, v32 /*v288*/, v249, v3
	s_set_vgpr_msb 0                        ;  msbs: dst=0 src0=0 src1=0 src2=0
	v_dot4_i32_iu8 v204, v221, v252, v204 neg_lo:[1,1,0]
	v_mul_i32_i24_e32 v252, v206, v231
	s_delay_alu instid0(VALU_DEP_3) | instskip(SKIP_1) | instid1(VALU_DEP_4)
	v_dot4_i32_iu8 v3, v242, v201, v3 neg_lo:[1,1,0]
	v_mul_lo_u32 v2, v2, v247
	v_mul_lo_u32 v204, v204, v230
	s_delay_alu instid0(VALU_DEP_4) | instskip(NEXT) | instid1(VALU_DEP_4)
	v_mad_i32_i24 v252, v207, v232, v252
	v_mad_i32_i24 v3, v250, v215, v3
	s_delay_alu instid0(VALU_DEP_2) | instskip(NEXT) | instid1(VALU_DEP_2)
	v_dot4_i32_iu8 v252, v200, v233, v252 neg_lo:[1,1,0]
	v_dot4_i32_iu8 v3, v202, v244, v3 neg_lo:[1,1,0]
	s_delay_alu instid0(VALU_DEP_2) | instskip(NEXT) | instid1(VALU_DEP_2)
	v_mad_i32_i24 v252, v249, v234, v252
	v_mad_i32_i24 v3, v243, v251, v3
	s_delay_alu instid0(VALU_DEP_2) | instskip(NEXT) | instid1(VALU_DEP_2)
	v_dot4_i32_iu8 v252, v201, v237, v252 neg_lo:[1,1,0]
	v_dot4_i32_iu8 v3, v210, v203, v3 neg_lo:[1,1,0]
	s_delay_alu instid0(VALU_DEP_2) | instskip(NEXT) | instid1(VALU_DEP_2)
	v_mad_i32_i24 v252, v235, v250, v252
	v_mad_u32 v2, v3, v245, v2
	s_delay_alu instid0(VALU_DEP_2) | instskip(NEXT) | instid1(VALU_DEP_1)
	v_dot4_i32_iu8 v252, v222, v202, v252 neg_lo:[1,1,0]
	v_mad_i32_i24 v252, v236, v251, v252
	s_delay_alu instid0(VALU_DEP_3) | instskip(NEXT) | instid1(VALU_DEP_2)
	v_cvt_f32_i32_e32 v2, v2
	v_dot4_i32_iu8 v252, v240, v203, v252 neg_lo:[1,1,0]
	s_delay_alu instid0(VALU_DEP_1) | instskip(SKIP_1) | instid1(VALU_DEP_1)
	v_mad_u32 v204, v252, v238, v204
	v_dual_mul_f32 v252, v219, v1 :: v_dual_mul_f32 v1, v0, v1
	v_dual_mul_f32 v206, v1, v2 :: v_dual_bitop2_b32 v1, s17, v127 bitop3:0x54
	s_delay_alu instid0(VALU_DEP_3) | instskip(NEXT) | instid1(VALU_DEP_2)
	v_cvt_f32_i32_e32 v204, v204
	v_dual_lshlrev_b32 v7, 2, v1 :: v_dual_lshrrev_b32 v1, 1, v1
	ds_load_b32 v1, v1 offset:38816
	ds_load_b128 v[2:5], v7 offset:25344
	ds_load_b128 v[200:203], v7 offset:25360
	v_mul_f32_e32 v204, v252, v204
	s_wait_dscnt 0x1
	v_bfe_i32 v182, v2, 0, 8
	v_bfe_i32 v207, v2, 8, 8
	v_perm_b32 v2, v2, v2, 0xc0c0302
	v_bfe_i32 v249, v3, 0, 8
	v_perm_b32 v3, v3, v3, 0xc030201
	;; [unrolled: 2-line block ×3, first 2 shown]
	v_bfe_i32 v205, v5, 0, 8
	s_set_vgpr_msb 64                       ;  msbs: dst=1 src0=0 src1=0 src2=0
	v_perm_b32 v0 /*v256*/, v5, v5, 0xc030201
	s_wait_dscnt 0x0
	s_set_vgpr_msb 0                        ;  msbs: dst=0 src0=0 src1=0 src2=0
	v_bfe_i32 v251, v200, 0, 8
	v_bfe_i32 v252, v200, 8, 8
	v_perm_b32 v200, v200, v200, 0xc0c0302
	v_bfe_i32 v253, v201, 0, 8
	v_perm_b32 v201, v201, v201, 0xc030201
	;; [unrolled: 2-line block ×4, first 2 shown]
	v_mul_i32_i24_e32 v7, v182, v166
	v_mul_i32_i24_e32 v115, v251, v174
	s_delay_alu instid0(VALU_DEP_2) | instskip(NEXT) | instid1(VALU_DEP_2)
	v_mad_i32_i24 v7, v207, v167, v7
	v_mad_i32_i24 v115, v252, v175, v115
	s_delay_alu instid0(VALU_DEP_2) | instskip(NEXT) | instid1(VALU_DEP_2)
	v_dot4_i32_iu8 v7, v2, v168, v7 neg_lo:[1,1,0]
	v_dot4_i32_iu8 v115, v200, v176, v115 neg_lo:[1,1,0]
	s_delay_alu instid0(VALU_DEP_2) | instskip(NEXT) | instid1(VALU_DEP_2)
	v_mad_i32_i24 v7, v249, v170, v7
	v_mad_i32_i24 v115, v253, v178, v115
	s_delay_alu instid0(VALU_DEP_2) | instskip(NEXT) | instid1(VALU_DEP_2)
	v_dot4_i32_iu8 v7, v3, v172, v7 neg_lo:[1,1,0]
	v_dot4_i32_iu8 v115, v201, v180, v115 neg_lo:[1,1,0]
	;; [unrolled: 6-line block ×3, first 2 shown]
	s_delay_alu instid0(VALU_DEP_2) | instskip(NEXT) | instid1(VALU_DEP_2)
	v_mad_i32_i24 v7, v171, v205, v7
	v_mad_i32_i24 v115, v179, v255, v115
	s_set_vgpr_msb 4                        ;  msbs: dst=0 src0=0 src1=1 src2=0
	s_delay_alu instid0(VALU_DEP_2) | instskip(SKIP_1) | instid1(VALU_DEP_2)
	v_dot4_i32_iu8 v7, v211, v0 /*v256*/, v7 neg_lo:[1,1,0]
	s_set_vgpr_msb 0                        ;  msbs: dst=0 src0=0 src1=0 src2=0
	v_dot4_i32_iu8 v115, v214, v203, v115 neg_lo:[1,1,0]
	s_delay_alu instid0(VALU_DEP_2) | instskip(NEXT) | instid1(VALU_DEP_1)
	v_mul_lo_u32 v7, v7, v173
	v_mad_u32 v7, v115, v181, v7
	v_mul_f32_e32 v115, v165, v1
	s_delay_alu instid0(VALU_DEP_2) | instskip(NEXT) | instid1(VALU_DEP_1)
	v_cvt_f32_i32_e32 v7, v7
	v_mul_f32_e32 v7, v115, v7
	s_delay_alu instid0(VALU_DEP_1) | instskip(SKIP_2) | instid1(VALU_DEP_2)
	v_pk_add_f32 v[72:73], v[72:73], v[6:7]
	v_mul_i32_i24_e32 v6, v182, v184
	v_mul_i32_i24_e32 v7, v251, v192
	v_mad_i32_i24 v6, v207, v185, v6
	s_delay_alu instid0(VALU_DEP_2) | instskip(NEXT) | instid1(VALU_DEP_2)
	v_mad_i32_i24 v7, v252, v193, v7
	v_dot4_i32_iu8 v6, v2, v186, v6 neg_lo:[1,1,0]
	s_delay_alu instid0(VALU_DEP_2) | instskip(NEXT) | instid1(VALU_DEP_2)
	v_dot4_i32_iu8 v7, v200, v194, v7 neg_lo:[1,1,0]
	v_mad_i32_i24 v6, v249, v187, v6
	s_delay_alu instid0(VALU_DEP_2) | instskip(NEXT) | instid1(VALU_DEP_2)
	v_mad_i32_i24 v7, v253, v195, v7
	v_dot4_i32_iu8 v6, v3, v190, v6 neg_lo:[1,1,0]
	s_delay_alu instid0(VALU_DEP_2) | instskip(NEXT) | instid1(VALU_DEP_2)
	v_dot4_i32_iu8 v7, v201, v198, v7 neg_lo:[1,1,0]
	;; [unrolled: 6-line block ×3, first 2 shown]
	v_mad_i32_i24 v6, v189, v205, v6
	s_delay_alu instid0(VALU_DEP_2) | instskip(SKIP_1) | instid1(VALU_DEP_2)
	v_mad_i32_i24 v7, v197, v255, v7
	s_set_vgpr_msb 4                        ;  msbs: dst=0 src0=0 src1=1 src2=0
	v_dot4_i32_iu8 v6, v216, v0 /*v256*/, v6 neg_lo:[1,1,0]
	s_set_vgpr_msb 0                        ;  msbs: dst=0 src0=0 src1=0 src2=0
	s_delay_alu instid0(VALU_DEP_2) | instskip(NEXT) | instid1(VALU_DEP_2)
	v_dot4_i32_iu8 v7, v218, v203, v7 neg_lo:[1,1,0]
	v_mul_lo_u32 v6, v6, v191
	s_delay_alu instid0(VALU_DEP_1) | instskip(SKIP_1) | instid1(VALU_DEP_2)
	v_mad_u32 v6, v7, v199, v6
	v_mul_f32_e32 v7, v183, v1
	v_cvt_f32_i32_e32 v6, v6
	s_delay_alu instid0(VALU_DEP_1) | instskip(SKIP_2) | instid1(VALU_DEP_2)
	v_mul_f32_e32 v115, v7, v6
	v_mul_i32_i24_e32 v6, v182, v223
	v_mul_i32_i24_e32 v7, v251, v231
	v_mad_i32_i24 v6, v207, v224, v6
	s_delay_alu instid0(VALU_DEP_2) | instskip(NEXT) | instid1(VALU_DEP_2)
	v_mad_i32_i24 v7, v252, v232, v7
	v_dot4_i32_iu8 v6, v2, v225, v6 neg_lo:[1,1,0]
	s_delay_alu instid0(VALU_DEP_2) | instskip(NEXT) | instid1(VALU_DEP_2)
	v_dot4_i32_iu8 v7, v200, v233, v7 neg_lo:[1,1,0]
	v_mad_i32_i24 v6, v249, v226, v6
	s_delay_alu instid0(VALU_DEP_2) | instskip(NEXT) | instid1(VALU_DEP_2)
	v_mad_i32_i24 v7, v253, v234, v7
	v_dot4_i32_iu8 v6, v3, v229, v6 neg_lo:[1,1,0]
	s_delay_alu instid0(VALU_DEP_2) | instskip(NEXT) | instid1(VALU_DEP_2)
	v_dot4_i32_iu8 v7, v201, v237, v7 neg_lo:[1,1,0]
	;; [unrolled: 6-line block ×3, first 2 shown]
	v_mad_i32_i24 v6, v228, v205, v6
	s_delay_alu instid0(VALU_DEP_2) | instskip(SKIP_1) | instid1(VALU_DEP_2)
	v_mad_i32_i24 v7, v236, v255, v7
	s_set_vgpr_msb 4                        ;  msbs: dst=0 src0=0 src1=1 src2=0
	v_dot4_i32_iu8 v6, v221, v0 /*v256*/, v6 neg_lo:[1,1,0]
	s_set_vgpr_msb 0                        ;  msbs: dst=0 src0=0 src1=0 src2=0
	s_delay_alu instid0(VALU_DEP_2) | instskip(NEXT) | instid1(VALU_DEP_2)
	v_dot4_i32_iu8 v7, v240, v203, v7 neg_lo:[1,1,0]
	v_mul_lo_u32 v6, v6, v230
	s_delay_alu instid0(VALU_DEP_1) | instskip(SKIP_1) | instid1(VALU_DEP_2)
	v_mad_u32 v6, v7, v238, v6
	v_dual_mul_f32 v7, v219, v1 :: v_dual_mul_f32 v1, v0, v1
	v_cvt_f32_i32_e32 v6, v6
	s_delay_alu instid0(VALU_DEP_1)
	v_mul_f32_e32 v205, v7, v6
	s_set_vgpr_msb 1                        ;  msbs: dst=0 src0=1 src1=0 src2=0
	v_mul_i32_i24_e32 v6, v42 /*v298*/, v182
	s_set_vgpr_msb 0                        ;  msbs: dst=0 src0=0 src1=0 src2=0
	v_pk_add_f32 v[78:79], v[78:79], v[114:115]
	v_pk_add_f32 v[84:85], v[84:85], v[204:205]
	s_set_vgpr_msb 1                        ;  msbs: dst=0 src0=1 src1=0 src2=0
	v_mad_i32_i24 v6, v12 /*v268*/, v207, v6
	s_set_vgpr_msb 0                        ;  msbs: dst=0 src0=0 src1=0 src2=0
	s_delay_alu instid0(VALU_DEP_1) | instskip(SKIP_1) | instid1(VALU_DEP_1)
	v_dot4_i32_iu8 v2, v208, v2, v6 neg_lo:[1,1,0]
	s_set_vgpr_msb 1                        ;  msbs: dst=0 src0=1 src1=0 src2=0
	v_mad_i32_i24 v2, v4 /*v260*/, v249, v2
	s_set_vgpr_msb 0                        ;  msbs: dst=0 src0=0 src1=0 src2=0
	s_delay_alu instid0(VALU_DEP_1) | instskip(SKIP_3) | instid1(VALU_DEP_2)
	v_dot4_i32_iu8 v2, v241, v3, v2 neg_lo:[1,1,0]
	s_set_vgpr_msb 1                        ;  msbs: dst=0 src0=1 src1=0 src2=0
	v_mul_i32_i24_e32 v3, v17 /*v273*/, v251
	s_set_vgpr_msb 0                        ;  msbs: dst=0 src0=0 src1=0 src2=0
	v_mad_i32_i24 v2, v250, v239, v2
	s_set_vgpr_msb 1                        ;  msbs: dst=0 src0=1 src1=0 src2=0
	s_delay_alu instid0(VALU_DEP_2) | instskip(SKIP_1) | instid1(VALU_DEP_2)
	v_mad_i32_i24 v3, v13 /*v269*/, v252, v3
	s_set_vgpr_msb 0                        ;  msbs: dst=0 src0=0 src1=0 src2=0
	v_dot4_i32_iu8 v2, v4, v246, v2 neg_lo:[1,1,0]
	s_set_vgpr_msb 1                        ;  msbs: dst=0 src0=1 src1=0 src2=0
	s_delay_alu instid0(VALU_DEP_2) | instskip(SKIP_1) | instid1(VALU_DEP_2)
	v_dot4_i32_iu8 v3, v20 /*v276*/, v200, v3 neg_lo:[1,1,0]
	s_set_vgpr_msb 0                        ;  msbs: dst=0 src0=0 src1=0 src2=0
	v_dot4_i32_iu8 v2, v248, v5, v2 neg_lo:[1,1,0]
	s_set_vgpr_msb 1                        ;  msbs: dst=0 src0=1 src1=0 src2=0
	s_delay_alu instid0(VALU_DEP_2) | instskip(SKIP_1) | instid1(VALU_DEP_2)
	v_mad_i32_i24 v3, v32 /*v288*/, v253, v3
	s_set_vgpr_msb 0                        ;  msbs: dst=0 src0=0 src1=0 src2=0
	v_mul_lo_u32 v2, v2, v247
	s_delay_alu instid0(VALU_DEP_2) | instskip(NEXT) | instid1(VALU_DEP_1)
	v_dot4_i32_iu8 v3, v242, v201, v3 neg_lo:[1,1,0]
	v_mad_i32_i24 v3, v254, v215, v3
	s_delay_alu instid0(VALU_DEP_1) | instskip(NEXT) | instid1(VALU_DEP_1)
	v_dot4_i32_iu8 v3, v202, v244, v3 neg_lo:[1,1,0]
	v_mad_i32_i24 v3, v243, v255, v3
	s_delay_alu instid0(VALU_DEP_1) | instskip(NEXT) | instid1(VALU_DEP_1)
	v_dot4_i32_iu8 v3, v210, v203, v3 neg_lo:[1,1,0]
	v_mad_u32 v2, v3, v245, v2
	s_delay_alu instid0(VALU_DEP_1) | instskip(NEXT) | instid1(VALU_DEP_1)
	v_cvt_f32_i32_e32 v2, v2
	v_dual_mul_f32 v207, v1, v2 :: v_dual_bitop2_b32 v1, s17, v128 bitop3:0x54
	s_delay_alu instid0(VALU_DEP_1) | instskip(NEXT) | instid1(VALU_DEP_2)
	v_pk_add_f32 v[50:51], v[50:51], v[206:207]
	v_dual_lshlrev_b32 v6, 2, v1 :: v_dual_lshrrev_b32 v1, 1, v1
	ds_load_b32 v1, v1 offset:38816
	ds_load_b128 v[2:5], v6 offset:25344
	ds_load_b128 v[200:203], v6 offset:25360
	s_wait_dscnt 0x1
	v_bfe_i32 v7, v2, 0, 8
	v_bfe_i32 v115, v2, 8, 8
	v_perm_b32 v2, v2, v2, 0xc0c0302
	v_bfe_i32 v204, v3, 0, 8
	v_perm_b32 v3, v3, v3, 0xc030201
	;; [unrolled: 2-line block ×4, first 2 shown]
	s_wait_dscnt 0x0
	v_bfe_i32 v206, v200, 0, 8
	v_bfe_i32 v207, v200, 8, 8
	v_perm_b32 v200, v200, v200, 0xc0c0302
	v_bfe_i32 v249, v201, 0, 8
	v_perm_b32 v201, v201, v201, 0xc030201
	;; [unrolled: 2-line block ×4, first 2 shown]
	v_mul_i32_i24_e32 v6, v7, v166
	v_mul_i32_i24_e32 v114, v206, v174
	;; [unrolled: 1-line block ×3, first 2 shown]
	s_delay_alu instid0(VALU_DEP_3) | instskip(NEXT) | instid1(VALU_DEP_3)
	v_mad_i32_i24 v6, v115, v167, v6
	v_mad_i32_i24 v114, v207, v175, v114
	s_delay_alu instid0(VALU_DEP_3) | instskip(NEXT) | instid1(VALU_DEP_3)
	v_mad_i32_i24 v253, v207, v193, v253
	v_dot4_i32_iu8 v6, v2, v168, v6 neg_lo:[1,1,0]
	s_delay_alu instid0(VALU_DEP_3) | instskip(NEXT) | instid1(VALU_DEP_3)
	v_dot4_i32_iu8 v114, v200, v176, v114 neg_lo:[1,1,0]
	v_dot4_i32_iu8 v253, v200, v194, v253 neg_lo:[1,1,0]
	s_delay_alu instid0(VALU_DEP_3) | instskip(NEXT) | instid1(VALU_DEP_3)
	v_mad_i32_i24 v6, v204, v170, v6
	v_mad_i32_i24 v114, v249, v178, v114
	s_delay_alu instid0(VALU_DEP_3) | instskip(NEXT) | instid1(VALU_DEP_3)
	v_mad_i32_i24 v253, v249, v195, v253
	v_dot4_i32_iu8 v6, v3, v172, v6 neg_lo:[1,1,0]
	s_delay_alu instid0(VALU_DEP_3) | instskip(NEXT) | instid1(VALU_DEP_3)
	v_dot4_i32_iu8 v114, v201, v180, v114 neg_lo:[1,1,0]
	v_dot4_i32_iu8 v253, v201, v198, v253 neg_lo:[1,1,0]
	;; [unrolled: 9-line block ×4, first 2 shown]
	s_delay_alu instid0(VALU_DEP_3) | instskip(NEXT) | instid1(VALU_DEP_1)
	v_mul_lo_u32 v6, v6, v173
	v_mad_u32 v6, v114, v181, v6
	v_mul_f32_e32 v114, v165, v1
	s_delay_alu instid0(VALU_DEP_2) | instskip(NEXT) | instid1(VALU_DEP_1)
	v_cvt_f32_i32_e32 v6, v6
	v_mul_f32_e32 v6, v114, v6
	v_mul_i32_i24_e32 v114, v7, v184
	s_delay_alu instid0(VALU_DEP_1) | instskip(NEXT) | instid1(VALU_DEP_1)
	v_mad_i32_i24 v114, v115, v185, v114
	v_dot4_i32_iu8 v114, v2, v186, v114 neg_lo:[1,1,0]
	s_delay_alu instid0(VALU_DEP_1) | instskip(NEXT) | instid1(VALU_DEP_1)
	v_mad_i32_i24 v114, v204, v187, v114
	v_dot4_i32_iu8 v114, v3, v190, v114 neg_lo:[1,1,0]
	;; [unrolled: 3-line block ×4, first 2 shown]
	s_delay_alu instid0(VALU_DEP_1) | instskip(NEXT) | instid1(VALU_DEP_1)
	v_mul_lo_u32 v114, v114, v191
	v_mad_u32 v114, v253, v199, v114
	v_mul_f32_e32 v253, v183, v1
	s_delay_alu instid0(VALU_DEP_2) | instskip(NEXT) | instid1(VALU_DEP_1)
	v_cvt_f32_i32_e32 v114, v114
	v_mul_f32_e32 v114, v253, v114
	v_mul_i32_i24_e32 v253, v7, v223
	s_set_vgpr_msb 1                        ;  msbs: dst=0 src0=1 src1=0 src2=0
	v_mul_i32_i24_e32 v7, v42 /*v298*/, v7
	s_set_vgpr_msb 0                        ;  msbs: dst=0 src0=0 src1=0 src2=0
	s_delay_alu instid0(VALU_DEP_2) | instskip(SKIP_1) | instid1(VALU_DEP_2)
	v_mad_i32_i24 v253, v115, v224, v253
	s_set_vgpr_msb 1                        ;  msbs: dst=0 src0=1 src1=0 src2=0
	v_mad_i32_i24 v7, v12 /*v268*/, v115, v7
	s_set_vgpr_msb 0                        ;  msbs: dst=0 src0=0 src1=0 src2=0
	s_delay_alu instid0(VALU_DEP_2) | instskip(NEXT) | instid1(VALU_DEP_2)
	v_dot4_i32_iu8 v253, v2, v225, v253 neg_lo:[1,1,0]
	v_dot4_i32_iu8 v2, v208, v2, v7 neg_lo:[1,1,0]
	s_delay_alu instid0(VALU_DEP_2) | instskip(SKIP_1) | instid1(VALU_DEP_2)
	v_mad_i32_i24 v253, v204, v226, v253
	s_set_vgpr_msb 1                        ;  msbs: dst=0 src0=1 src1=0 src2=0
	v_mad_i32_i24 v2, v4 /*v260*/, v204, v2
	s_set_vgpr_msb 0                        ;  msbs: dst=0 src0=0 src1=0 src2=0
	s_delay_alu instid0(VALU_DEP_2) | instskip(NEXT) | instid1(VALU_DEP_2)
	v_dot4_i32_iu8 v253, v3, v229, v253 neg_lo:[1,1,0]
	v_dot4_i32_iu8 v2, v241, v3, v2 neg_lo:[1,1,0]
	s_set_vgpr_msb 1                        ;  msbs: dst=0 src0=1 src1=0 src2=0
	v_mul_i32_i24_e32 v3, v17 /*v273*/, v206
	s_set_vgpr_msb 0                        ;  msbs: dst=0 src0=0 src1=0 src2=0
	v_mad_i32_i24 v253, v227, v205, v253
	v_mad_i32_i24 v2, v205, v239, v2
	s_set_vgpr_msb 1                        ;  msbs: dst=0 src0=1 src1=0 src2=0
	v_mad_i32_i24 v3, v13 /*v269*/, v207, v3
	s_set_vgpr_msb 0                        ;  msbs: dst=0 src0=0 src1=0 src2=0
	v_dot4_i32_iu8 v253, v220, v4, v253 neg_lo:[1,1,0]
	v_dot4_i32_iu8 v2, v4, v246, v2 neg_lo:[1,1,0]
	s_set_vgpr_msb 1                        ;  msbs: dst=0 src0=1 src1=0 src2=0
	v_dot4_i32_iu8 v3, v20 /*v276*/, v200, v3 neg_lo:[1,1,0]
	s_set_vgpr_msb 0                        ;  msbs: dst=0 src0=0 src1=0 src2=0
	v_mad_i32_i24 v182, v228, v182, v253
	v_dot4_i32_iu8 v2, v248, v5, v2 neg_lo:[1,1,0]
	s_set_vgpr_msb 1                        ;  msbs: dst=0 src0=1 src1=0 src2=0
	v_mad_i32_i24 v3, v32 /*v288*/, v249, v3
	s_set_vgpr_msb 0                        ;  msbs: dst=0 src0=0 src1=0 src2=0
	v_dot4_i32_iu8 v182, v221, v252, v182 neg_lo:[1,1,0]
	v_mul_i32_i24_e32 v252, v206, v231
	s_delay_alu instid0(VALU_DEP_3) | instskip(SKIP_1) | instid1(VALU_DEP_4)
	v_dot4_i32_iu8 v3, v242, v201, v3 neg_lo:[1,1,0]
	v_mul_lo_u32 v2, v2, v247
	v_mul_lo_u32 v182, v182, v230
	s_delay_alu instid0(VALU_DEP_4) | instskip(NEXT) | instid1(VALU_DEP_4)
	v_mad_i32_i24 v252, v207, v232, v252
	v_mad_i32_i24 v3, v250, v215, v3
	s_delay_alu instid0(VALU_DEP_2) | instskip(NEXT) | instid1(VALU_DEP_2)
	v_dot4_i32_iu8 v252, v200, v233, v252 neg_lo:[1,1,0]
	v_dot4_i32_iu8 v3, v202, v244, v3 neg_lo:[1,1,0]
	s_delay_alu instid0(VALU_DEP_2) | instskip(NEXT) | instid1(VALU_DEP_2)
	v_mad_i32_i24 v252, v249, v234, v252
	v_mad_i32_i24 v3, v243, v251, v3
	s_delay_alu instid0(VALU_DEP_2) | instskip(NEXT) | instid1(VALU_DEP_2)
	v_dot4_i32_iu8 v252, v201, v237, v252 neg_lo:[1,1,0]
	v_dot4_i32_iu8 v3, v210, v203, v3 neg_lo:[1,1,0]
	s_delay_alu instid0(VALU_DEP_2) | instskip(NEXT) | instid1(VALU_DEP_2)
	v_mad_i32_i24 v252, v235, v250, v252
	v_mad_u32 v2, v3, v245, v2
	s_delay_alu instid0(VALU_DEP_2) | instskip(NEXT) | instid1(VALU_DEP_1)
	v_dot4_i32_iu8 v252, v222, v202, v252 neg_lo:[1,1,0]
	v_mad_i32_i24 v252, v236, v251, v252
	s_delay_alu instid0(VALU_DEP_3) | instskip(NEXT) | instid1(VALU_DEP_2)
	v_cvt_f32_i32_e32 v2, v2
	v_dot4_i32_iu8 v252, v240, v203, v252 neg_lo:[1,1,0]
	s_delay_alu instid0(VALU_DEP_1) | instskip(SKIP_1) | instid1(VALU_DEP_1)
	v_mad_u32 v182, v252, v238, v182
	v_dual_mul_f32 v252, v219, v1 :: v_dual_mul_f32 v1, v0, v1
	v_dual_mul_f32 v204, v1, v2 :: v_dual_bitop2_b32 v1, s17, v129 bitop3:0x54
	s_delay_alu instid0(VALU_DEP_3) | instskip(NEXT) | instid1(VALU_DEP_2)
	v_cvt_f32_i32_e32 v182, v182
	v_dual_lshlrev_b32 v7, 2, v1 :: v_dual_lshrrev_b32 v1, 1, v1
	ds_load_b32 v1, v1 offset:38816
	ds_load_b128 v[2:5], v7 offset:25344
	ds_load_b128 v[200:203], v7 offset:25360
	v_mul_f32_e32 v182, v252, v182
	s_wait_dscnt 0x2
	v_mul_f32_e32 v0, v0, v1
	s_wait_dscnt 0x1
	v_bfe_i32 v205, v2, 0, 8
	v_bfe_i32 v206, v2, 8, 8
	v_perm_b32 v2, v2, v2, 0xc0c0302
	s_wait_dscnt 0x0
	v_bfe_i32 v251, v200, 0, 8
	v_bfe_i32 v207, v3, 0, 8
	v_mul_i32_i24_e32 v7, v205, v166
	v_bfe_i32 v252, v200, 8, 8
	v_perm_b32 v3, v3, v3, 0xc030201
	v_mul_i32_i24_e32 v115, v251, v174
	v_bfe_i32 v249, v4, 0, 8
	v_mad_i32_i24 v7, v206, v167, v7
	v_perm_b32 v167, v200, v200, 0xc0c0302
	v_bfe_i32 v253, v201, 0, 8
	v_mad_i32_i24 v115, v252, v175, v115
	v_perm_b32 v4, v4, v4, 0xc030201
	v_dot4_i32_iu8 v7, v2, v168, v7 neg_lo:[1,1,0]
	v_perm_b32 v168, v201, v201, 0xc030201
	v_bfe_i32 v250, v5, 0, 8
	v_dot4_i32_iu8 v115, v167, v176, v115 neg_lo:[1,1,0]
	v_bfe_i32 v254, v202, 0, 8
	v_mad_i32_i24 v7, v207, v170, v7
	v_perm_b32 v166, v5, v5, 0xc030201
	v_bfe_i32 v255, v203, 0, 8
	v_mad_i32_i24 v115, v253, v178, v115
	v_perm_b32 v170, v203, v203, 0xc030201
	v_dot4_i32_iu8 v7, v3, v172, v7 neg_lo:[1,1,0]
	s_delay_alu instid0(VALU_DEP_3) | instskip(NEXT) | instid1(VALU_DEP_2)
	v_dot4_i32_iu8 v115, v168, v180, v115 neg_lo:[1,1,0]
	v_mad_i32_i24 v7, v169, v249, v7
	v_perm_b32 v169, v202, v202, 0xc030201
	s_delay_alu instid0(VALU_DEP_3) | instskip(NEXT) | instid1(VALU_DEP_3)
	v_mad_i32_i24 v115, v177, v254, v115
	v_dot4_i32_iu8 v7, v209, v4, v7 neg_lo:[1,1,0]
	s_delay_alu instid0(VALU_DEP_2) | instskip(NEXT) | instid1(VALU_DEP_2)
	v_dot4_i32_iu8 v115, v213, v169, v115 neg_lo:[1,1,0]
	v_mad_i32_i24 v7, v171, v250, v7
	s_delay_alu instid0(VALU_DEP_2) | instskip(NEXT) | instid1(VALU_DEP_2)
	v_mad_i32_i24 v115, v179, v255, v115
	v_dot4_i32_iu8 v7, v211, v166, v7 neg_lo:[1,1,0]
	s_delay_alu instid0(VALU_DEP_2) | instskip(NEXT) | instid1(VALU_DEP_2)
	v_dot4_i32_iu8 v115, v214, v170, v115 neg_lo:[1,1,0]
	v_mul_lo_u32 v7, v7, v173
	s_delay_alu instid0(VALU_DEP_1) | instskip(SKIP_1) | instid1(VALU_DEP_2)
	v_mad_u32 v7, v115, v181, v7
	v_mul_f32_e32 v115, v165, v1
	v_cvt_f32_i32_e32 v7, v7
	s_delay_alu instid0(VALU_DEP_1) | instskip(NEXT) | instid1(VALU_DEP_1)
	v_mul_f32_e32 v7, v115, v7
	v_pk_add_f32 v[52:53], v[52:53], v[6:7]
	v_mul_i32_i24_e32 v6, v205, v184
	v_mul_i32_i24_e32 v7, v251, v192
	s_delay_alu instid0(VALU_DEP_2) | instskip(NEXT) | instid1(VALU_DEP_2)
	v_mad_i32_i24 v6, v206, v185, v6
	v_mad_i32_i24 v7, v252, v193, v7
	s_delay_alu instid0(VALU_DEP_2) | instskip(NEXT) | instid1(VALU_DEP_2)
	v_dot4_i32_iu8 v6, v2, v186, v6 neg_lo:[1,1,0]
	v_dot4_i32_iu8 v7, v167, v194, v7 neg_lo:[1,1,0]
	s_delay_alu instid0(VALU_DEP_2) | instskip(NEXT) | instid1(VALU_DEP_2)
	v_mad_i32_i24 v6, v207, v187, v6
	v_mad_i32_i24 v7, v253, v195, v7
	s_delay_alu instid0(VALU_DEP_2) | instskip(NEXT) | instid1(VALU_DEP_2)
	v_dot4_i32_iu8 v6, v3, v190, v6 neg_lo:[1,1,0]
	v_dot4_i32_iu8 v7, v168, v198, v7 neg_lo:[1,1,0]
	;; [unrolled: 6-line block ×4, first 2 shown]
	s_delay_alu instid0(VALU_DEP_2) | instskip(NEXT) | instid1(VALU_DEP_1)
	v_mul_lo_u32 v6, v6, v191
	v_mad_u32 v6, v7, v199, v6
	v_mul_f32_e32 v7, v183, v1
	s_delay_alu instid0(VALU_DEP_2) | instskip(NEXT) | instid1(VALU_DEP_1)
	v_cvt_f32_i32_e32 v6, v6
	v_mul_f32_e32 v115, v7, v6
	v_mul_i32_i24_e32 v6, v205, v223
	v_mul_i32_i24_e32 v7, v251, v231
	s_delay_alu instid0(VALU_DEP_3) | instskip(NEXT) | instid1(VALU_DEP_3)
	v_pk_add_f32 v[58:59], v[58:59], v[114:115]
	v_mad_i32_i24 v6, v206, v224, v6
	s_delay_alu instid0(VALU_DEP_3) | instskip(NEXT) | instid1(VALU_DEP_2)
	v_mad_i32_i24 v7, v252, v232, v7
	v_dot4_i32_iu8 v6, v2, v225, v6 neg_lo:[1,1,0]
	s_delay_alu instid0(VALU_DEP_2) | instskip(NEXT) | instid1(VALU_DEP_2)
	v_dot4_i32_iu8 v7, v167, v233, v7 neg_lo:[1,1,0]
	v_mad_i32_i24 v6, v207, v226, v6
	s_delay_alu instid0(VALU_DEP_2) | instskip(NEXT) | instid1(VALU_DEP_2)
	v_mad_i32_i24 v7, v253, v234, v7
	v_dot4_i32_iu8 v6, v3, v229, v6 neg_lo:[1,1,0]
	s_delay_alu instid0(VALU_DEP_2) | instskip(NEXT) | instid1(VALU_DEP_2)
	v_dot4_i32_iu8 v7, v168, v237, v7 neg_lo:[1,1,0]
	v_mad_i32_i24 v6, v227, v249, v6
	s_delay_alu instid0(VALU_DEP_2) | instskip(NEXT) | instid1(VALU_DEP_2)
	;; [unrolled: 6-line block ×3, first 2 shown]
	v_mad_i32_i24 v7, v236, v255, v7
	v_dot4_i32_iu8 v6, v221, v166, v6 neg_lo:[1,1,0]
	s_delay_alu instid0(VALU_DEP_2) | instskip(NEXT) | instid1(VALU_DEP_2)
	v_dot4_i32_iu8 v7, v240, v170, v7 neg_lo:[1,1,0]
	v_mul_lo_u32 v6, v6, v230
	s_delay_alu instid0(VALU_DEP_1) | instskip(SKIP_1) | instid1(VALU_DEP_2)
	v_mad_u32 v6, v7, v238, v6
	v_mul_f32_e32 v7, v219, v1
	v_cvt_f32_i32_e32 v6, v6
	s_delay_alu instid0(VALU_DEP_1) | instskip(SKIP_2) | instid1(VALU_DEP_1)
	v_mul_f32_e32 v183, v7, v6
	s_set_vgpr_msb 1                        ;  msbs: dst=0 src0=1 src1=0 src2=0
	v_mul_i32_i24_e32 v6, v42 /*v298*/, v205
	v_mad_i32_i24 v6, v12 /*v268*/, v206, v6
	s_set_vgpr_msb 0                        ;  msbs: dst=0 src0=0 src1=0 src2=0
	s_delay_alu instid0(VALU_DEP_1) | instskip(SKIP_1) | instid1(VALU_DEP_1)
	v_dot4_i32_iu8 v2, v208, v2, v6 neg_lo:[1,1,0]
	s_set_vgpr_msb 1                        ;  msbs: dst=0 src0=1 src1=0 src2=0
	v_mad_i32_i24 v2, v4 /*v260*/, v207, v2
	s_set_vgpr_msb 0                        ;  msbs: dst=0 src0=0 src1=0 src2=0
	s_delay_alu instid0(VALU_DEP_1) | instskip(SKIP_3) | instid1(VALU_DEP_2)
	v_dot4_i32_iu8 v2, v241, v3, v2 neg_lo:[1,1,0]
	s_set_vgpr_msb 1                        ;  msbs: dst=0 src0=1 src1=0 src2=0
	v_mul_i32_i24_e32 v3, v17 /*v273*/, v251
	s_set_vgpr_msb 0                        ;  msbs: dst=0 src0=0 src1=0 src2=0
	v_mad_i32_i24 v2, v249, v239, v2
	s_set_vgpr_msb 1                        ;  msbs: dst=0 src0=1 src1=0 src2=0
	s_delay_alu instid0(VALU_DEP_2) | instskip(SKIP_1) | instid1(VALU_DEP_2)
	v_mad_i32_i24 v3, v13 /*v269*/, v252, v3
	s_set_vgpr_msb 0                        ;  msbs: dst=0 src0=0 src1=0 src2=0
	v_dot4_i32_iu8 v2, v4, v246, v2 neg_lo:[1,1,0]
	s_set_vgpr_msb 1                        ;  msbs: dst=0 src0=1 src1=0 src2=0
	s_delay_alu instid0(VALU_DEP_2) | instskip(SKIP_1) | instid1(VALU_DEP_2)
	v_dot4_i32_iu8 v3, v20 /*v276*/, v167, v3 neg_lo:[1,1,0]
	s_set_vgpr_msb 0                        ;  msbs: dst=0 src0=0 src1=0 src2=0
	v_dot4_i32_iu8 v2, v248, v5, v2 neg_lo:[1,1,0]
	s_set_vgpr_msb 1                        ;  msbs: dst=0 src0=1 src1=0 src2=0
	s_delay_alu instid0(VALU_DEP_2) | instskip(SKIP_1) | instid1(VALU_DEP_2)
	v_mad_i32_i24 v3, v32 /*v288*/, v253, v3
	s_set_vgpr_msb 0                        ;  msbs: dst=0 src0=0 src1=0 src2=0
	v_mul_lo_u32 v2, v2, v247
	s_delay_alu instid0(VALU_DEP_2) | instskip(NEXT) | instid1(VALU_DEP_1)
	v_dot4_i32_iu8 v3, v242, v168, v3 neg_lo:[1,1,0]
	v_mad_i32_i24 v3, v254, v215, v3
	s_delay_alu instid0(VALU_DEP_1) | instskip(NEXT) | instid1(VALU_DEP_1)
	v_dot4_i32_iu8 v3, v169, v244, v3 neg_lo:[1,1,0]
	v_mad_i32_i24 v3, v243, v255, v3
	s_delay_alu instid0(VALU_DEP_1) | instskip(NEXT) | instid1(VALU_DEP_1)
	v_dot4_i32_iu8 v3, v210, v170, v3 neg_lo:[1,1,0]
	v_mad_u32 v2, v3, v245, v2
	s_delay_alu instid0(VALU_DEP_1) | instskip(NEXT) | instid1(VALU_DEP_1)
	v_cvt_f32_i32_e32 v1, v2
	v_mul_f32_e32 v205, v0, v1
	v_pk_add_f32 v[66:67], v[66:67], v[182:183]
	s_delay_alu instid0(VALU_DEP_2)
	v_pk_add_f32 v[42:43], v[42:43], v[204:205]
	s_cbranch_scc1 .LBB149_12
; %bb.13:                               ;   in Loop: Header=BB149_8 Depth=2
	s_cmp_eq_u32 s12, 4
	s_barrier_signal -1
	s_barrier_wait -1
	s_cselect_b32 s13, -1, 0
	s_delay_alu instid0(SALU_CYCLE_1)
	s_and_b32 vcc_lo, exec_lo, s13
	s_cbranch_vccz .LBB149_8
	s_branch .LBB149_5
.LBB149_14:
	v_cvt_f16_f32_e32 v36, v104
	v_cvt_f16_f32_e32 v35, v106
	v_cvt_f16_f32_e32 v18, v108
	v_cvt_f16_f32_e32 v33, v83
	v_cvt_f16_f32_e32 v34, v105
	v_cvt_f16_f32_e32 v32, v107
	v_cvt_f16_f32_e32 v31, v109
	v_cvt_f16_f32_e32 v29, v82
	v_cvt_f16_f32_e32 v30, v86
	v_cvt_f16_f32_e32 v28, v94
	v_cvt_f16_f32_e32 v27, v100
	v_cvt_f16_f32_e32 v25, v70
	v_cvt_f16_f32_e32 v26, v87
	v_cvt_f16_f32_e32 v24, v95
	v_cvt_f16_f32_e32 v23, v101
	v_cvt_f16_f32_e32 v21, v71
	v_cvt_f16_f32_e32 v22, v72
	v_cvt_f16_f32_e32 v20, v78
	v_cvt_f16_f32_e32 v17, v84
	v_cvt_f16_f32_e32 v15, v50
	v_cvt_f16_f32_e32 v16, v73
	v_cvt_f16_f32_e32 v14, v79
	v_cvt_f16_f32_e32 v12, v85
	v_cvt_f16_f32_e32 v10, v51
	v_cvt_f16_f32_e32 v11, v52
	v_cvt_f16_f32_e32 v8, v58
	v_cvt_f16_f32_e32 v7, v66
	v_cvt_f16_f32_e32 v4, v42
	v_cvt_f16_f32_e32 v5, v53
	v_cvt_f16_f32_e32 v3, v59
	v_cvt_f16_f32_e32 v2, v67
	v_cvt_f16_f32_e32 v1, v43
	v_dual_mov_b32 v6, v9 :: v_dual_mov_b32 v37, v13
.LBB149_15:
	s_wait_xcnt 0x0
	s_mov_b32 s0, exec_lo
	v_cmpx_gt_u32_e64 s4, v19
	s_cbranch_execz .LBB149_66
; %bb.16:
	v_mul_lo_u32 v19, v19, s6
	v_add_nc_u32_e32 v0, s14, v37
	s_delay_alu instid0(VALU_DEP_1)
	v_cmp_gt_u32_e32 vcc_lo, s6, v0
	s_and_saveexec_b32 s0, vcc_lo
	s_cbranch_execz .LBB149_18
; %bb.17:
	s_delay_alu instid0(VALU_DEP_3)
	v_add_nc_u32_e32 v9, v0, v19
	s_wait_kmcnt 0x0
	global_store_b16 v9, v36, s[8:9] scale_offset
.LBB149_18:
	s_wait_xcnt 0x0
	s_or_b32 exec_lo, exec_lo, s0
	v_add_nc_u32_e32 v9, 32, v0
	s_delay_alu instid0(VALU_DEP_1)
	v_cmp_gt_u32_e64 s0, s6, v9
	s_and_saveexec_b32 s1, s0
	s_cbranch_execz .LBB149_20
; %bb.19:
	v_add_nc_u32_e32 v13, v9, v19
	s_wait_kmcnt 0x0
	global_store_b16 v13, v35, s[8:9] scale_offset
.LBB149_20:
	s_wait_xcnt 0x0
	s_or_b32 exec_lo, exec_lo, s1
	v_add_nc_u32_e32 v13, 64, v0
	s_delay_alu instid0(VALU_DEP_1)
	v_cmp_gt_u32_e64 s1, s6, v13
	s_and_saveexec_b32 s2, s1
	s_cbranch_execz .LBB149_22
; %bb.21:
	v_add_nc_u32_e32 v35, v13, v19
	s_wait_kmcnt 0x0
	global_store_b16 v35, v18, s[8:9] scale_offset
.LBB149_22:
	;; [unrolled: 12-line block ×3, first 2 shown]
	s_wait_xcnt 0x0
	s_or_b32 exec_lo, exec_lo, s3
	v_add3_u32 v19, v6, s7, 8
	s_delay_alu instid0(VALU_DEP_1)
	v_cmp_gt_u32_e64 s3, s4, v19
	s_and_b32 exec_lo, exec_lo, s3
	s_cbranch_execz .LBB149_66
; %bb.25:
	v_mul_lo_u32 v19, v19, s6
	s_and_saveexec_b32 s3, vcc_lo
	s_cbranch_execnz .LBB149_67
; %bb.26:
	s_or_b32 exec_lo, exec_lo, s3
	s_and_saveexec_b32 s3, s0
	s_cbranch_execnz .LBB149_68
.LBB149_27:
	s_or_b32 exec_lo, exec_lo, s3
	s_and_saveexec_b32 s3, s1
	s_cbranch_execnz .LBB149_69
.LBB149_28:
	s_or_b32 exec_lo, exec_lo, s3
	s_and_saveexec_b32 s3, s2
	s_cbranch_execz .LBB149_30
.LBB149_29:
	v_add_nc_u32_e32 v19, v19, v18
	s_wait_kmcnt 0x0
	global_store_b16 v19, v29, s[8:9] scale_offset
.LBB149_30:
	s_wait_xcnt 0x0
	s_or_b32 exec_lo, exec_lo, s3
	v_add3_u32 v19, v6, s7, 16
	s_delay_alu instid0(VALU_DEP_1)
	v_cmp_gt_u32_e64 s3, s4, v19
	s_and_b32 exec_lo, exec_lo, s3
	s_cbranch_execz .LBB149_66
; %bb.31:
	v_mul_lo_u32 v19, v19, s6
	s_and_saveexec_b32 s3, vcc_lo
	s_cbranch_execnz .LBB149_70
; %bb.32:
	s_or_b32 exec_lo, exec_lo, s3
	s_and_saveexec_b32 s3, s0
	s_cbranch_execnz .LBB149_71
.LBB149_33:
	s_or_b32 exec_lo, exec_lo, s3
	s_and_saveexec_b32 s3, s1
	s_cbranch_execnz .LBB149_72
.LBB149_34:
	s_or_b32 exec_lo, exec_lo, s3
	s_and_saveexec_b32 s3, s2
	s_cbranch_execz .LBB149_36
.LBB149_35:
	v_add_nc_u32_e32 v19, v19, v18
	s_wait_kmcnt 0x0
	global_store_b16 v19, v25, s[8:9] scale_offset
.LBB149_36:
	s_wait_xcnt 0x0
	s_or_b32 exec_lo, exec_lo, s3
	v_add3_u32 v19, v6, s7, 24
	s_delay_alu instid0(VALU_DEP_1)
	v_cmp_gt_u32_e64 s3, s4, v19
	s_and_b32 exec_lo, exec_lo, s3
	s_cbranch_execz .LBB149_66
; %bb.37:
	v_mul_lo_u32 v19, v19, s6
	s_and_saveexec_b32 s3, vcc_lo
	s_cbranch_execnz .LBB149_73
; %bb.38:
	s_or_b32 exec_lo, exec_lo, s3
	s_and_saveexec_b32 s3, s0
	s_cbranch_execnz .LBB149_74
.LBB149_39:
	s_or_b32 exec_lo, exec_lo, s3
	s_and_saveexec_b32 s3, s1
	s_cbranch_execnz .LBB149_75
.LBB149_40:
	s_or_b32 exec_lo, exec_lo, s3
	s_and_saveexec_b32 s3, s2
	s_cbranch_execz .LBB149_42
.LBB149_41:
	v_add_nc_u32_e32 v19, v19, v18
	s_wait_kmcnt 0x0
	global_store_b16 v19, v21, s[8:9] scale_offset
.LBB149_42:
	s_wait_xcnt 0x0
	s_or_b32 exec_lo, exec_lo, s3
	v_add3_u32 v19, v6, s7, 32
	s_delay_alu instid0(VALU_DEP_1)
	v_cmp_gt_u32_e64 s3, s4, v19
	s_and_b32 exec_lo, exec_lo, s3
	s_cbranch_execz .LBB149_66
; %bb.43:
	v_mul_lo_u32 v19, v19, s6
	s_and_saveexec_b32 s3, vcc_lo
	s_cbranch_execnz .LBB149_76
; %bb.44:
	s_or_b32 exec_lo, exec_lo, s3
	s_and_saveexec_b32 s3, s0
	s_cbranch_execnz .LBB149_77
.LBB149_45:
	s_or_b32 exec_lo, exec_lo, s3
	s_and_saveexec_b32 s3, s1
	s_cbranch_execnz .LBB149_78
.LBB149_46:
	s_or_b32 exec_lo, exec_lo, s3
	s_and_saveexec_b32 s3, s2
	s_cbranch_execz .LBB149_48
.LBB149_47:
	v_add_nc_u32_e32 v17, v19, v18
	s_wait_kmcnt 0x0
	global_store_b16 v17, v15, s[8:9] scale_offset
.LBB149_48:
	s_wait_xcnt 0x0
	s_or_b32 exec_lo, exec_lo, s3
	v_add3_u32 v15, v6, s7, 40
	s_delay_alu instid0(VALU_DEP_1)
	v_cmp_gt_u32_e64 s3, s4, v15
	s_and_b32 exec_lo, exec_lo, s3
	s_cbranch_execz .LBB149_66
; %bb.49:
	v_mul_lo_u32 v15, v15, s6
	s_and_saveexec_b32 s3, vcc_lo
	s_cbranch_execnz .LBB149_79
; %bb.50:
	s_or_b32 exec_lo, exec_lo, s3
	s_and_saveexec_b32 s3, s0
	s_cbranch_execnz .LBB149_80
.LBB149_51:
	s_or_b32 exec_lo, exec_lo, s3
	s_and_saveexec_b32 s3, s1
	s_cbranch_execnz .LBB149_81
.LBB149_52:
	s_or_b32 exec_lo, exec_lo, s3
	s_and_saveexec_b32 s3, s2
	s_cbranch_execz .LBB149_54
.LBB149_53:
	v_add_nc_u32_e32 v12, v15, v18
	s_wait_kmcnt 0x0
	global_store_b16 v12, v10, s[8:9] scale_offset
.LBB149_54:
	s_wait_xcnt 0x0
	s_or_b32 exec_lo, exec_lo, s3
	v_add3_u32 v10, v6, s7, 48
	s_delay_alu instid0(VALU_DEP_1)
	v_cmp_gt_u32_e64 s3, s4, v10
	s_and_b32 exec_lo, exec_lo, s3
	s_cbranch_execz .LBB149_66
; %bb.55:
	v_mul_lo_u32 v10, v10, s6
	s_and_saveexec_b32 s3, vcc_lo
	s_cbranch_execnz .LBB149_82
; %bb.56:
	s_or_b32 exec_lo, exec_lo, s3
	s_and_saveexec_b32 s3, s0
	s_cbranch_execnz .LBB149_83
.LBB149_57:
	s_or_b32 exec_lo, exec_lo, s3
	s_and_saveexec_b32 s3, s1
	s_cbranch_execnz .LBB149_84
.LBB149_58:
	s_or_b32 exec_lo, exec_lo, s3
	s_and_saveexec_b32 s3, s2
	s_cbranch_execz .LBB149_60
.LBB149_59:
	v_add_nc_u32_e32 v7, v10, v18
	s_wait_kmcnt 0x0
	global_store_b16 v7, v4, s[8:9] scale_offset
.LBB149_60:
	s_wait_xcnt 0x0
	s_or_b32 exec_lo, exec_lo, s3
	v_add3_u32 v4, v6, s7, 56
	s_delay_alu instid0(VALU_DEP_1)
	v_cmp_gt_u32_e64 s3, s4, v4
	s_and_b32 exec_lo, exec_lo, s3
	s_cbranch_execz .LBB149_66
; %bb.61:
	v_mul_lo_u32 v4, v4, s6
	s_and_saveexec_b32 s3, vcc_lo
	s_cbranch_execnz .LBB149_85
; %bb.62:
	s_or_b32 exec_lo, exec_lo, s3
	s_and_saveexec_b32 s3, s0
	s_cbranch_execnz .LBB149_86
.LBB149_63:
	s_or_b32 exec_lo, exec_lo, s3
	s_and_saveexec_b32 s0, s1
	s_cbranch_execnz .LBB149_87
.LBB149_64:
	s_or_b32 exec_lo, exec_lo, s0
	s_delay_alu instid0(SALU_CYCLE_1)
	s_and_b32 exec_lo, exec_lo, s2
	s_cbranch_execz .LBB149_66
.LBB149_65:
	v_add_nc_u32_e32 v0, v4, v18
	s_wait_kmcnt 0x0
	global_store_b16 v0, v1, s[8:9] scale_offset
.LBB149_66:
	s_sendmsg sendmsg(MSG_DEALLOC_VGPRS)
	s_endpgm
.LBB149_67:
	s_delay_alu instid0(VALU_DEP_1)
	v_add_nc_u32_e32 v33, v19, v0
	s_wait_kmcnt 0x0
	global_store_b16 v33, v34, s[8:9] scale_offset
	s_wait_xcnt 0x0
	s_or_b32 exec_lo, exec_lo, s3
	s_and_saveexec_b32 s3, s0
	s_cbranch_execz .LBB149_27
.LBB149_68:
	s_delay_alu instid0(VALU_DEP_1)
	v_add_nc_u32_e32 v33, v19, v9
	s_wait_kmcnt 0x0
	global_store_b16 v33, v32, s[8:9] scale_offset
	s_wait_xcnt 0x0
	s_or_b32 exec_lo, exec_lo, s3
	s_and_saveexec_b32 s3, s1
	s_cbranch_execz .LBB149_28
.LBB149_69:
	s_delay_alu instid0(VALU_DEP_1)
	v_add_nc_u32_e32 v32, v19, v13
	s_wait_kmcnt 0x0
	global_store_b16 v32, v31, s[8:9] scale_offset
	s_wait_xcnt 0x0
	s_or_b32 exec_lo, exec_lo, s3
	s_and_saveexec_b32 s3, s2
	s_cbranch_execnz .LBB149_29
	s_branch .LBB149_30
.LBB149_70:
	s_delay_alu instid0(VALU_DEP_1)
	v_add_nc_u32_e32 v29, v19, v0
	s_wait_kmcnt 0x0
	global_store_b16 v29, v30, s[8:9] scale_offset
	s_wait_xcnt 0x0
	s_or_b32 exec_lo, exec_lo, s3
	s_and_saveexec_b32 s3, s0
	s_cbranch_execz .LBB149_33
.LBB149_71:
	s_delay_alu instid0(VALU_DEP_1)
	v_add_nc_u32_e32 v29, v19, v9
	s_wait_kmcnt 0x0
	global_store_b16 v29, v28, s[8:9] scale_offset
	s_wait_xcnt 0x0
	s_or_b32 exec_lo, exec_lo, s3
	s_and_saveexec_b32 s3, s1
	s_cbranch_execz .LBB149_34
.LBB149_72:
	s_delay_alu instid0(VALU_DEP_1)
	v_add_nc_u32_e32 v28, v19, v13
	s_wait_kmcnt 0x0
	global_store_b16 v28, v27, s[8:9] scale_offset
	s_wait_xcnt 0x0
	s_or_b32 exec_lo, exec_lo, s3
	s_and_saveexec_b32 s3, s2
	s_cbranch_execnz .LBB149_35
	s_branch .LBB149_36
.LBB149_73:
	s_delay_alu instid0(VALU_DEP_1)
	v_add_nc_u32_e32 v25, v19, v0
	s_wait_kmcnt 0x0
	global_store_b16 v25, v26, s[8:9] scale_offset
	s_wait_xcnt 0x0
	s_or_b32 exec_lo, exec_lo, s3
	s_and_saveexec_b32 s3, s0
	s_cbranch_execz .LBB149_39
.LBB149_74:
	s_delay_alu instid0(VALU_DEP_1)
	v_add_nc_u32_e32 v25, v19, v9
	s_wait_kmcnt 0x0
	global_store_b16 v25, v24, s[8:9] scale_offset
	s_wait_xcnt 0x0
	s_or_b32 exec_lo, exec_lo, s3
	s_and_saveexec_b32 s3, s1
	s_cbranch_execz .LBB149_40
.LBB149_75:
	s_delay_alu instid0(VALU_DEP_1)
	v_add_nc_u32_e32 v24, v19, v13
	s_wait_kmcnt 0x0
	global_store_b16 v24, v23, s[8:9] scale_offset
	s_wait_xcnt 0x0
	s_or_b32 exec_lo, exec_lo, s3
	s_and_saveexec_b32 s3, s2
	s_cbranch_execnz .LBB149_41
	s_branch .LBB149_42
.LBB149_76:
	s_delay_alu instid0(VALU_DEP_1)
	v_add_nc_u32_e32 v21, v19, v0
	s_wait_kmcnt 0x0
	global_store_b16 v21, v22, s[8:9] scale_offset
	s_wait_xcnt 0x0
	s_or_b32 exec_lo, exec_lo, s3
	s_and_saveexec_b32 s3, s0
	s_cbranch_execz .LBB149_45
.LBB149_77:
	s_delay_alu instid0(VALU_DEP_1)
	v_add_nc_u32_e32 v21, v19, v9
	s_wait_kmcnt 0x0
	global_store_b16 v21, v20, s[8:9] scale_offset
	s_wait_xcnt 0x0
	s_or_b32 exec_lo, exec_lo, s3
	s_and_saveexec_b32 s3, s1
	s_cbranch_execz .LBB149_46
.LBB149_78:
	s_delay_alu instid0(VALU_DEP_1)
	v_add_nc_u32_e32 v20, v19, v13
	s_wait_kmcnt 0x0
	global_store_b16 v20, v17, s[8:9] scale_offset
	s_wait_xcnt 0x0
	s_or_b32 exec_lo, exec_lo, s3
	s_and_saveexec_b32 s3, s2
	s_cbranch_execnz .LBB149_47
	s_branch .LBB149_48
.LBB149_79:
	s_delay_alu instid0(VALU_DEP_1)
	v_add_nc_u32_e32 v17, v15, v0
	s_wait_kmcnt 0x0
	global_store_b16 v17, v16, s[8:9] scale_offset
	s_wait_xcnt 0x0
	s_or_b32 exec_lo, exec_lo, s3
	s_and_saveexec_b32 s3, s0
	s_cbranch_execz .LBB149_51
.LBB149_80:
	s_delay_alu instid0(VALU_DEP_1)
	v_add_nc_u32_e32 v16, v15, v9
	s_wait_kmcnt 0x0
	global_store_b16 v16, v14, s[8:9] scale_offset
	s_wait_xcnt 0x0
	s_or_b32 exec_lo, exec_lo, s3
	s_and_saveexec_b32 s3, s1
	s_cbranch_execz .LBB149_52
.LBB149_81:
	s_delay_alu instid0(VALU_DEP_1)
	v_add_nc_u32_e32 v14, v15, v13
	s_wait_kmcnt 0x0
	global_store_b16 v14, v12, s[8:9] scale_offset
	s_wait_xcnt 0x0
	s_or_b32 exec_lo, exec_lo, s3
	s_and_saveexec_b32 s3, s2
	s_cbranch_execnz .LBB149_53
	s_branch .LBB149_54
.LBB149_82:
	s_delay_alu instid0(VALU_DEP_1)
	v_add_nc_u32_e32 v12, v10, v0
	s_wait_kmcnt 0x0
	global_store_b16 v12, v11, s[8:9] scale_offset
	s_wait_xcnt 0x0
	s_or_b32 exec_lo, exec_lo, s3
	s_and_saveexec_b32 s3, s0
	s_cbranch_execz .LBB149_57
.LBB149_83:
	s_delay_alu instid0(VALU_DEP_1)
	v_add_nc_u32_e32 v11, v10, v9
	s_wait_kmcnt 0x0
	global_store_b16 v11, v8, s[8:9] scale_offset
	s_wait_xcnt 0x0
	s_or_b32 exec_lo, exec_lo, s3
	s_and_saveexec_b32 s3, s1
	s_cbranch_execz .LBB149_58
.LBB149_84:
	s_delay_alu instid0(VALU_DEP_1)
	v_add_nc_u32_e32 v8, v10, v13
	s_wait_kmcnt 0x0
	global_store_b16 v8, v7, s[8:9] scale_offset
	s_wait_xcnt 0x0
	s_or_b32 exec_lo, exec_lo, s3
	s_and_saveexec_b32 s3, s2
	s_cbranch_execnz .LBB149_59
	s_branch .LBB149_60
.LBB149_85:
	s_delay_alu instid0(VALU_DEP_1)
	v_add_nc_u32_e32 v0, v4, v0
	s_wait_kmcnt 0x0
	global_store_b16 v0, v5, s[8:9] scale_offset
	s_wait_xcnt 0x0
	s_or_b32 exec_lo, exec_lo, s3
	s_and_saveexec_b32 s3, s0
	s_cbranch_execz .LBB149_63
.LBB149_86:
	s_delay_alu instid0(VALU_DEP_1)
	v_add_nc_u32_e32 v0, v4, v9
	s_wait_kmcnt 0x0
	global_store_b16 v0, v3, s[8:9] scale_offset
	s_wait_xcnt 0x0
	s_or_b32 exec_lo, exec_lo, s3
	s_and_saveexec_b32 s0, s1
	s_cbranch_execz .LBB149_64
.LBB149_87:
	s_delay_alu instid0(VALU_DEP_1) | instskip(SKIP_4) | instid1(SALU_CYCLE_1)
	v_add_nc_u32_e32 v0, v4, v13
	s_wait_kmcnt 0x0
	global_store_b16 v0, v2, s[8:9] scale_offset
	s_wait_xcnt 0x0
	s_or_b32 exec_lo, exec_lo, s0
	s_and_b32 exec_lo, exec_lo, s2
	s_cbranch_execnz .LBB149_65
	s_branch .LBB149_66
	.section	.rodata,"a",@progbits
	.p2align	6, 0x0
	.amdhsa_kernel _ZL12mul_mat_q3_KIN3c104HalfELb0EEvPKvS3_PT_iiiii
		.amdhsa_group_segment_fixed_size 39840
		.amdhsa_private_segment_fixed_size 0
		.amdhsa_kernarg_size 44
		.amdhsa_user_sgpr_count 2
		.amdhsa_user_sgpr_dispatch_ptr 0
		.amdhsa_user_sgpr_queue_ptr 0
		.amdhsa_user_sgpr_kernarg_segment_ptr 1
		.amdhsa_user_sgpr_dispatch_id 0
		.amdhsa_user_sgpr_kernarg_preload_length 0
		.amdhsa_user_sgpr_kernarg_preload_offset 0
		.amdhsa_user_sgpr_private_segment_size 0
		.amdhsa_wavefront_size32 1
		.amdhsa_uses_dynamic_stack 0
		.amdhsa_enable_private_segment 0
		.amdhsa_system_sgpr_workgroup_id_x 1
		.amdhsa_system_sgpr_workgroup_id_y 1
		.amdhsa_system_sgpr_workgroup_id_z 0
		.amdhsa_system_sgpr_workgroup_info 0
		.amdhsa_system_vgpr_workitem_id 1
		.amdhsa_next_free_vgpr 307
		.amdhsa_next_free_sgpr 24
		.amdhsa_named_barrier_count 0
		.amdhsa_reserve_vcc 1
		.amdhsa_float_round_mode_32 0
		.amdhsa_float_round_mode_16_64 0
		.amdhsa_float_denorm_mode_32 3
		.amdhsa_float_denorm_mode_16_64 3
		.amdhsa_fp16_overflow 0
		.amdhsa_memory_ordered 1
		.amdhsa_forward_progress 1
		.amdhsa_inst_pref_size 255
		.amdhsa_round_robin_scheduling 0
		.amdhsa_exception_fp_ieee_invalid_op 0
		.amdhsa_exception_fp_denorm_src 0
		.amdhsa_exception_fp_ieee_div_zero 0
		.amdhsa_exception_fp_ieee_overflow 0
		.amdhsa_exception_fp_ieee_underflow 0
		.amdhsa_exception_fp_ieee_inexact 0
		.amdhsa_exception_int_div_zero 0
	.end_amdhsa_kernel
	.section	.text._ZL12mul_mat_q3_KIN3c104HalfELb0EEvPKvS3_PT_iiiii,"axG",@progbits,_ZL12mul_mat_q3_KIN3c104HalfELb0EEvPKvS3_PT_iiiii,comdat
.Lfunc_end149:
	.size	_ZL12mul_mat_q3_KIN3c104HalfELb0EEvPKvS3_PT_iiiii, .Lfunc_end149-_ZL12mul_mat_q3_KIN3c104HalfELb0EEvPKvS3_PT_iiiii
                                        ; -- End function
	.set _ZL12mul_mat_q3_KIN3c104HalfELb0EEvPKvS3_PT_iiiii.num_vgpr, 307
	.set _ZL12mul_mat_q3_KIN3c104HalfELb0EEvPKvS3_PT_iiiii.num_agpr, 0
	.set _ZL12mul_mat_q3_KIN3c104HalfELb0EEvPKvS3_PT_iiiii.numbered_sgpr, 24
	.set _ZL12mul_mat_q3_KIN3c104HalfELb0EEvPKvS3_PT_iiiii.num_named_barrier, 0
	.set _ZL12mul_mat_q3_KIN3c104HalfELb0EEvPKvS3_PT_iiiii.private_seg_size, 0
	.set _ZL12mul_mat_q3_KIN3c104HalfELb0EEvPKvS3_PT_iiiii.uses_vcc, 1
	.set _ZL12mul_mat_q3_KIN3c104HalfELb0EEvPKvS3_PT_iiiii.uses_flat_scratch, 0
	.set _ZL12mul_mat_q3_KIN3c104HalfELb0EEvPKvS3_PT_iiiii.has_dyn_sized_stack, 0
	.set _ZL12mul_mat_q3_KIN3c104HalfELb0EEvPKvS3_PT_iiiii.has_recursion, 0
	.set _ZL12mul_mat_q3_KIN3c104HalfELb0EEvPKvS3_PT_iiiii.has_indirect_call, 0
	.section	.AMDGPU.csdata,"",@progbits
; Kernel info:
; codeLenInByte = 41828
; TotalNumSgprs: 26
; NumVgprs: 307
; ScratchSize: 0
; MemoryBound: 0
; FloatMode: 240
; IeeeMode: 1
; LDSByteSize: 39840 bytes/workgroup (compile time only)
; SGPRBlocks: 0
; VGPRBlocks: 19
; NumSGPRsForWavesPerEU: 26
; NumVGPRsForWavesPerEU: 307
; NamedBarCnt: 0
; Occupancy: 3
; WaveLimiterHint : 0
; COMPUTE_PGM_RSRC2:SCRATCH_EN: 0
; COMPUTE_PGM_RSRC2:USER_SGPR: 2
; COMPUTE_PGM_RSRC2:TRAP_HANDLER: 0
; COMPUTE_PGM_RSRC2:TGID_X_EN: 1
; COMPUTE_PGM_RSRC2:TGID_Y_EN: 1
; COMPUTE_PGM_RSRC2:TGID_Z_EN: 0
; COMPUTE_PGM_RSRC2:TIDIG_COMP_CNT: 1
	.section	.text._ZL12mul_mat_q3_KIN3c104HalfELb1EEvPKvS3_PT_iiiii,"axG",@progbits,_ZL12mul_mat_q3_KIN3c104HalfELb1EEvPKvS3_PT_iiiii,comdat
	.globl	_ZL12mul_mat_q3_KIN3c104HalfELb1EEvPKvS3_PT_iiiii ; -- Begin function _ZL12mul_mat_q3_KIN3c104HalfELb1EEvPKvS3_PT_iiiii
	.p2align	8
	.type	_ZL12mul_mat_q3_KIN3c104HalfELb1EEvPKvS3_PT_iiiii,@function
_ZL12mul_mat_q3_KIN3c104HalfELb1EEvPKvS3_PT_iiiii: ; @_ZL12mul_mat_q3_KIN3c104HalfELb1EEvPKvS3_PT_iiiii
; %bb.0:
	s_clause 0x1
	s_load_b128 s[4:7], s[0:1], 0x18
	s_load_b32 s12, s[0:1], 0x28
	s_bfe_u32 s2, ttmp6, 0x4000c
	s_bfe_u32 s8, ttmp6, 0x40010
	s_add_co_i32 s2, s2, 1
	s_and_b32 s3, ttmp6, 15
	s_mul_i32 s2, ttmp9, s2
	s_add_co_i32 s8, s8, 1
	s_add_co_i32 s3, s3, s2
	s_mul_i32 s2, ttmp7, s8
	s_bfe_u32 s8, ttmp6, 0x40004
	s_getreg_b32 s9, hwreg(HW_REG_IB_STS2, 6, 4)
	s_add_co_i32 s8, s8, s2
	s_cmp_eq_u32 s9, 0
	v_bfe_u32 v9, v0, 10, 10
	s_cselect_b32 s8, ttmp7, s8
	v_and_b32_e32 v11, 0x3ff, v0
	s_cselect_b32 s2, ttmp9, s3
	s_lshl_b32 s13, s8, 6
	s_mov_b32 s3, 0
	s_wait_kmcnt 0x0
	s_cmp_gt_i32 s4, 0xff
	s_cbranch_scc1 .LBB150_2
; %bb.1:
	v_bfe_u32 v6, v0, 10, 10
	v_and_b32_e32 v30, 0x3ff, v0
	s_delay_alu instid0(VALU_DEP_2)
	v_add_nc_u32_e32 v21, s13, v6
	s_branch .LBB150_3
.LBB150_2:
	s_mov_b32 s3, -1
                                        ; implicit-def: $vgpr6
                                        ; implicit-def: $vgpr30
                                        ; implicit-def: $vgpr21
.LBB150_3:
	s_load_b64 s[8:9], s[0:1], 0x10
	v_dual_mov_b32 v1, 0 :: v_dual_mov_b32 v4, 0
	v_dual_mov_b32 v10, 0 :: v_dual_mov_b32 v15, 0
	;; [unrolled: 1-line block ×16, first 2 shown]
	s_and_not1_b32 vcc_lo, exec_lo, s3
	s_lshl_b32 s14, s2, 7
	s_cbranch_vccnz .LBB150_15
; %bb.4:
	v_bfe_u32 v20, v0, 1, 9
	v_dual_add_nc_u32 v30, 8, v9 :: v_dual_bitop2_b32 v110, 15, v0 bitop3:0x40
	s_not_b32 s2, s14
	v_bfe_u32 v8, v0, 4, 6
	s_delay_alu instid0(VALU_DEP_3) | instskip(SKIP_3) | instid1(VALU_DEP_3)
	v_lshl_add_u32 v1, v9, 4, v20
	s_add_co_i32 s5, s5, s2
	v_dual_add_nc_u32 v21, s13, v9 :: v_dual_bitop2_b32 v112, 7, v0 bitop3:0x40
	v_dual_add_nc_u32 v31, 16, v9 :: v_dual_bitop2_b32 v10, 1, v0 bitop3:0x40
	v_and_b32_e32 v1, 0x7f, v1
	v_lshlrev_b32_e32 v12, 2, v110
	v_lshl_add_u32 v13, v9, 1, v8
	v_dual_add_nc_u32 v15, 24, v21 :: v_dual_add_nc_u32 v22, 32, v21
	s_delay_alu instid0(VALU_DEP_4) | instskip(SKIP_2) | instid1(VALU_DEP_2)
	v_dual_lshlrev_b32 v1, 2, v10 :: v_dual_min_i32 v46, s5, v1
	v_add_nc_u32_e32 v6, 8, v21
	s_add_co_i32 s16, s6, -1
	v_dual_add_nc_u32 v14, 16, v21 :: v_dual_ashrrev_i32 v7, 31, v46
	v_add_nc_u32_e32 v24, 40, v21
	v_cvt_f64_i32_e32 v[2:3], s16
	v_cvt_f64_u32_e32 v[4:5], v21
	v_dual_add_nc_u32 v26, 48, v21 :: v_dual_add_nc_u32 v28, 56, v21
	v_dual_lshrrev_b32 v7, 28, v7 :: v_dual_min_i32 v47, s5, v13
	v_cvt_f64_u32_e32 v[16:17], v14
	v_cvt_f64_u32_e32 v[18:19], v15
	;; [unrolled: 1-line block ×3, first 2 shown]
	s_delay_alu instid0(VALU_DEP_4)
	v_add_nc_u32_e32 v25, v46, v7
	v_cvt_f64_u32_e32 v[6:7], v6
	v_cvt_f64_u32_e32 v[26:27], v26
	;; [unrolled: 1-line block ×3, first 2 shown]
	v_add_min_i32_e64 v49, v13, 32, s5
	v_dual_ashrrev_i32 v14, 4, v25 :: v_dual_lshrrev_b32 v15, 31, v47
	v_cvt_f64_u32_e32 v[24:25], v24
	s_delay_alu instid0(VALU_DEP_3)
	v_dual_lshlrev_b32 v33, 3, v46 :: v_dual_lshrrev_b32 v34, 31, v49
	v_add_min_i32_e64 v56, v13, 48, s5
	v_add_min_i32_e64 v64, 0x50, v13, s5
	;; [unrolled: 1-line block ×4, first 2 shown]
	v_add_lshl_u32 v34, v49, v34, 1
	v_lshrrev_b32_e32 v36, 31, v56
	v_add_min_i32_e64 v48, v13, 16, s5
	v_dual_lshrrev_b32 v39, 31, v65 :: v_dual_lshlrev_b32 v14, 2, v14
	s_delay_alu instid0(VALU_DEP_4) | instskip(NEXT) | instid1(VALU_DEP_4)
	v_and_b32_e32 v34, -4, v34
	v_add_lshl_u32 v36, v56, v36, 1
	s_delay_alu instid0(VALU_DEP_4) | instskip(SKIP_3) | instid1(VALU_DEP_4)
	v_lshrrev_b32_e32 v32, 31, v48
	v_add_min_i32_e64 v68, 0x70, v13, s5
	v_add_lshl_u32 v15, v47, v15, 1
	v_dual_min_num_f64 v[4:5], v[4:5], v[2:3] :: v_dual_lshlrev_b32 v41, 6, v56
	v_add_lshl_u32 v32, v48, v32, 1
	v_add3_u32 v1, v14, v1, 0x9380
	s_delay_alu instid0(VALU_DEP_4)
	v_dual_lshlrev_b32 v14, 2, v112 :: v_dual_bitop2_b32 v15, -4, v15 bitop3:0x40
	v_min_num_f64_e32 v[16:17], v[16:17], v[2:3]
	v_min_num_f64_e32 v[18:19], v[18:19], v[2:3]
	;; [unrolled: 1-line block ×4, first 2 shown]
	v_dual_min_num_f64 v[26:27], v[26:27], v[2:3] :: v_dual_lshlrev_b32 v42, 6, v57
	v_dual_lshlrev_b32 v35, 6, v47 :: v_dual_bitop2_b32 v32, -4, v32 bitop3:0x40
	v_add3_u32 v15, v15, v12, 0x4200
	v_min_num_f64_e32 v[24:25], v[24:25], v[2:3]
	v_dual_min_num_f64 v[2:3], v[28:29], v[2:3] :: v_dual_lshrrev_b32 v28, 31, v64
	v_dual_lshlrev_b32 v36, 6, v49 :: v_dual_bitop2_b32 v29, -4, v36 bitop3:0x40
	v_add3_u32 v32, v32, v12, 0x4200
	v_dual_lshlrev_b32 v37, 6, v48 :: v_dual_lshrrev_b32 v38, 31, v57
	s_delay_alu instid0(VALU_DEP_4) | instskip(NEXT) | instid1(VALU_DEP_4)
	v_add_lshl_u32 v28, v64, v28, 1
	v_add3_u32 v40, v29, v12, 0x4200
	v_add_lshl_u32 v29, v65, v39, 1
	v_bfe_u32 v39, v0, 3, 7
	v_dual_add_nc_u32 v33, v1, v33 :: v_dual_add_nc_u32 v35, v15, v35
	v_and_b32_e32 v28, -4, v28
	s_delay_alu instid0(VALU_DEP_4) | instskip(NEXT) | instid1(VALU_DEP_4)
	v_and_b32_e32 v29, -4, v29
	v_lshl_add_u32 v13, v9, 2, v39
	v_cvt_i32_f64_e32 v4, v[4:5]
	v_lshrrev_b32_e32 v39, 31, v68
	v_add3_u32 v34, v34, v12, 0x4200
	v_add_lshl_u32 v38, v57, v38, 1
	v_min_i32_e32 v69, s5, v13
	v_add_min_i32_e64 v70, v13, 32, s5
	v_add_lshl_u32 v39, v68, v39, 1
	v_add_min_i32_e64 v71, v13, 64, s5
	v_add_min_i32_e64 v78, 0x60, v13, s5
	v_cvt_i32_f64_e32 v5, v[6:7]
	v_cvt_i32_f64_e32 v6, v[16:17]
	v_cvt_i32_f64_e32 v7, v[18:19]
	v_lshlrev_b32_e32 v16, 5, v11
	v_and_b32_e32 v17, 0xfc, v0
	v_cvt_i32_f64_e32 v18, v[22:23]
	v_cvt_i32_f64_e32 v19, v[24:25]
	v_add_nc_u32_e32 v24, 32, v11
	v_cvt_i32_f64_e32 v2, v[2:3]
	v_add_nc_u32_e32 v3, 64, v11
	v_add3_u32 v23, v16, v17, 0x8300
	v_dual_lshlrev_b32 v44, 6, v64 :: v_dual_bitop2_b32 v38, -4, v38 bitop3:0x40
	v_lshlrev_b32_e32 v16, 5, v24
	v_and_b32_e32 v17, 0x1fc, v24
	v_ashrrev_i32_e32 v1, 31, v70
	v_cvt_i32_f64_e32 v22, v[26:27]
	v_add_nc_u32_e32 v26, 0x60, v11
	v_add3_u32 v38, v38, v12, 0x4200
	v_add3_u32 v25, v16, v17, 0x8300
	v_ashrrev_i32_e32 v16, 31, v69
	v_lshlrev_b32_e32 v17, 6, v65
	v_lshrrev_b32_e32 v1, 30, v1
	v_add3_u32 v50, v29, v12, 0x4200
	v_dual_lshlrev_b32 v27, 5, v3 :: v_dual_lshlrev_b32 v43, 5, v26
	v_dual_lshrrev_b32 v16, 30, v16 :: v_dual_bitop2_b32 v15, -4, v39 bitop3:0x40
	v_add_nc_u32_e32 v39, v34, v36
	v_and_b32_e32 v29, 0x1fc, v3
	v_and_b32_e32 v45, 0x1fc, v26
	s_delay_alu instid0(VALU_DEP_4) | instskip(SKIP_2) | instid1(VALU_DEP_3)
	v_dual_add_nc_u32 v16, v69, v16 :: v_dual_add_nc_u32 v37, v32, v37
	v_dual_ashrrev_i32 v32, 31, v71 :: v_dual_add_nc_u32 v1, v70, v1
	v_add3_u32 v28, v28, v12, 0x4200
	v_and_b32_e32 v13, -4, v16
	v_add3_u32 v27, v27, v29, 0x8300
	s_delay_alu instid0(VALU_DEP_4) | instskip(SKIP_2) | instid1(VALU_DEP_3)
	v_dual_lshrrev_b32 v16, 30, v32 :: v_dual_ashrrev_i32 v32, 31, v78
	v_add3_u32 v29, v43, v45, 0x8300
	v_dual_add_nc_u32 v43, v38, v42 :: v_dual_bitop2_b32 v1, -4, v1 bitop3:0x40
	v_add_nc_u32_e32 v16, v71, v16
	s_delay_alu instid0(VALU_DEP_4) | instskip(SKIP_3) | instid1(VALU_DEP_4)
	v_lshrrev_b32_e32 v32, 30, v32
	v_add3_u32 v15, v15, v12, 0x4200
	v_dual_add_nc_u32 v41, v40, v41 :: v_dual_lshlrev_b32 v34, 6, v68
	v_add3_u32 v13, v13, v14, 0x8300
	v_dual_add_nc_u32 v32, v78, v32 :: v_dual_lshlrev_b32 v36, 5, v69
	v_and_b32_e32 v16, -4, v16
	v_add3_u32 v1, v1, v14, 0x8300
	v_dual_add_nc_u32 v45, v28, v44 :: v_dual_add_nc_u32 v51, v50, v17
	s_delay_alu instid0(VALU_DEP_4) | instskip(SKIP_3) | instid1(VALU_DEP_4)
	v_dual_lshlrev_b32 v28, 5, v70 :: v_dual_bitop2_b32 v32, -4, v32 bitop3:0x40
	v_dual_add_nc_u32 v53, v15, v34 :: v_dual_bitop2_b32 v17, 31, v0 bitop3:0x40
	v_dual_lshlrev_b32 v15, 5, v71 :: v_dual_add_nc_u32 v55, v13, v36
	v_lshlrev_b32_e32 v13, 5, v78
	v_add3_u32 v32, v32, v14, 0x8300
	s_delay_alu instid0(VALU_DEP_4) | instskip(SKIP_4) | instid1(VALU_DEP_3)
	v_lshl_or_b32 v17, v17, 2, 0x6300
	v_dual_add_nc_u32 v59, v1, v28 :: v_dual_lshlrev_b32 v1, 7, v9
	v_dual_lshlrev_b32 v28, 7, v30 :: v_dual_lshlrev_b32 v34, 7, v31
	v_add3_u32 v16, v16, v14, 0x8300
	v_add_nc_u32_e32 v63, v32, v13
	v_dual_add_nc_u32 v67, v17, v1 :: v_dual_add_nc_u32 v73, v17, v28
	s_delay_alu instid0(VALU_DEP_4) | instskip(NEXT) | instid1(VALU_DEP_4)
	v_dual_add_nc_u32 v75, v17, v34 :: v_dual_add_nc_u32 v28, 24, v9
	v_dual_add_nc_u32 v61, v16, v15 :: v_dual_add_nc_u32 v32, 32, v9
	;; [unrolled: 1-line block ×3, first 2 shown]
	s_delay_alu instid0(VALU_DEP_3) | instskip(NEXT) | instid1(VALU_DEP_2)
	v_dual_add_nc_u32 v38, 56, v9 :: v_dual_lshlrev_b32 v1, 7, v28
	v_dual_lshlrev_b32 v13, 7, v32 :: v_dual_lshlrev_b32 v15, 7, v34
	s_delay_alu instid0(VALU_DEP_2) | instskip(NEXT) | instid1(VALU_DEP_3)
	v_dual_lshlrev_b32 v16, 7, v36 :: v_dual_lshlrev_b32 v40, 7, v38
	v_add_nc_u32_e32 v77, v17, v1
	v_bfe_u32 v1, v0, 2, 8
	s_delay_alu instid0(VALU_DEP_4)
	v_dual_add_nc_u32 v81, v17, v13 :: v_dual_bitop2_b32 v0, 3, v0 bitop3:0x40
	v_add_nc_u32_e32 v83, v17, v15
	s_wait_xcnt 0x0
	s_load_b128 s[0:3], s[0:1], 0x0
	v_lshl_add_u32 v1, v9, 3, v1
	v_add_nc_u32_e32 v85, v17, v16
	v_add_nc_u16 v13, v0, -2
	v_cmp_gt_u32_e32 vcc_lo, 2, v0
	s_ashr_i32 s10, s4, 31
	v_dual_add_nc_u32 v91, v17, v40 :: v_dual_bitop2_b32 v1, 63, v1 bitop3:0x40
	s_lshr_b32 s10, s10, 24
	s_ashr_i32 s11, s7, 31
	s_add_co_i32 s4, s4, s10
	s_delay_alu instid0(VALU_DEP_1) | instskip(SKIP_2) | instid1(VALU_DEP_2)
	v_or_b32_e32 v17, s13, v1
	s_lshr_b32 s10, s11, 27
	v_dual_cndmask_b32 v16, v13, v0 :: v_dual_lshlrev_b32 v15, 2, v0
	v_dual_mov_b32 v13, 0 :: v_dual_min_i32 v42, s16, v17
	v_lshlrev_b32_e32 v50, 2, v11
	s_ashr_i32 s15, s4, 8
	s_add_co_i32 s4, s7, s10
	v_lshl_or_b32 v40, v1, 4, v15
	s_ashr_i32 s4, s4, 5
	v_and_b32_e32 v1, 0xff, v16
	v_dual_mov_b32 v15, v13 :: v_dual_min_i32 v44, s5, v9
	v_mov_b32_e32 v17, v13
	v_mad_u32 v95, v42, s4, v0
	v_min_i32_e32 v42, s5, v30
	v_dual_lshlrev_b32 v138, 5, v30 :: v_dual_min_i32 v52, s5, v31
	v_dual_lshlrev_b32 v139, 5, v31 :: v_dual_min_i32 v54, s5, v28
	;; [unrolled: 1-line block ×6, first 2 shown]
	v_add_min_i32_e64 v72, v9, 64, s5
	v_add_min_i32_e64 v74, 0x48, v9, s5
	;; [unrolled: 1-line block ×8, first 2 shown]
	v_mul_lo_u32 v136, s4, v22
	v_dual_lshlrev_b32 v22, 1, v11 :: v_dual_lshlrev_b32 v149, 6, v26
	v_cmp_lt_u32_e32 vcc_lo, 7, v110
	v_dual_lshlrev_b32 v16, 2, v1 :: v_dual_lshlrev_b32 v97, 1, v0
	v_dual_mov_b32 v1, v13 :: v_dual_bitop2_b32 v0, 28, v50 bitop3:0x40
	v_mad_u32 v99, 0x84, v44, v50
	v_mad_u32 v111, 0x84, v42, v50
	;; [unrolled: 1-line block ×16, first 2 shown]
	v_add_nc_u32_e32 v129, 0x97a0, v40
	v_mul_lo_u32 v130, s4, v4
	v_mul_lo_u32 v131, s4, v5
	;; [unrolled: 1-line block ×7, first 2 shown]
	v_dual_lshlrev_b32 v144, 5, v38 :: v_dual_lshrrev_b32 v4, 4, v24
	v_dual_lshrrev_b32 v2, 1, v24 :: v_dual_lshlrev_b32 v145, 6, v24
	v_dual_lshlrev_b32 v146, 3, v24 :: v_dual_lshrrev_b32 v5, 1, v3
	v_dual_lshrrev_b32 v6, 4, v3 :: v_dual_lshlrev_b32 v147, 6, v3
	;; [unrolled: 2-line block ×3, first 2 shown]
	v_dual_lshlrev_b32 v151, 2, v20 :: v_dual_bitop2_b32 v152, 4, v22 bitop3:0x40
	v_lshlrev_b32_e32 v153, 2, v22
	v_mul_lo_u32 v20, v44, s15
	v_mul_lo_u32 v22, v42, s15
	;; [unrolled: 1-line block ×29, first 2 shown]
	v_cndmask_b32_e64 v110, 0, 1, vcc_lo
	v_cmp_lt_u32_e32 vcc_lo, 3, v112
	s_mul_i32 s10, s15, s14
	s_wait_kmcnt 0x0
	v_add_nc_u64_e32 v[18:19], s[2:3], v[0:1]
	v_mov_b64_e32 v[86:87], 0
	v_mov_b64_e32 v[68:69], 0
	;; [unrolled: 1-line block ×16, first 2 shown]
	s_ashr_i32 s11, s10, 31
	v_dual_lshlrev_b32 v154, 2, v2 :: v_dual_lshlrev_b32 v155, 2, v4
	v_dual_lshlrev_b32 v156, 2, v5 :: v_dual_lshlrev_b32 v157, 2, v6
	;; [unrolled: 1-line block ×4, first 2 shown]
	v_mul_u32_u24_e32 v161, 0x84, v11
	v_lshlrev_b32_e32 v162, 6, v11
	v_cndmask_b32_e64 v112, 0, 1, vcc_lo
	s_mul_u64 s[10:11], s[10:11], 0x6e
	s_mov_b32 s5, 0
	s_add_nc_u64 s[0:1], s[0:1], s[10:11]
	s_mov_b32 s4, s5
	s_branch .LBB150_6
.LBB150_5:                              ;   in Loop: Header=BB150_6 Depth=1
	s_add_co_i32 s4, s4, 2
	s_delay_alu instid0(SALU_CYCLE_1)
	s_cmp_ge_i32 s4, s15
	s_cbranch_scc1 .LBB150_14
.LBB150_6:                              ; =>This Loop Header: Depth=1
                                        ;     Child Loop BB150_8 Depth 2
                                        ;       Child Loop BB150_10 Depth 3
                                        ;       Child Loop BB150_12 Depth 3
	s_mul_u64 s[10:11], s[4:5], 0x6e
	s_lshl_b32 s7, s4, 3
	s_add_nc_u64 s[10:11], s[0:1], s[10:11]
	v_add_nc_u32_e32 v164, s7, v95
	v_mad_nc_u64_u32 v[0:1], 0x6e, v8, s[10:11]
	s_delay_alu instid0(VALU_DEP_1) | instskip(NEXT) | instid1(VALU_DEP_1)
	v_mad_nc_i64_i32 v[2:3], 0x6e, v20, v[0:1]
	v_add_nc_u64_e32 v[2:3], v[2:3], v[12:13]
	global_load_b32 v2, v[2:3], off offset:32
	s_wait_loadcnt 0x0
	ds_store_b32 v99, v2
	s_wait_xcnt 0x0
	v_mad_nc_i64_i32 v[2:3], 0x6e, v22, v[0:1]
	s_delay_alu instid0(VALU_DEP_1)
	v_add_nc_u64_e32 v[2:3], v[2:3], v[12:13]
	global_load_b32 v2, v[2:3], off offset:32
	s_wait_loadcnt 0x0
	ds_store_b32 v111, v2
	s_wait_xcnt 0x0
	v_mad_nc_i64_i32 v[2:3], 0x6e, v24, v[0:1]
	s_delay_alu instid0(VALU_DEP_1)
	v_add_nc_u64_e32 v[2:3], v[2:3], v[12:13]
	global_load_b32 v2, v[2:3], off offset:32
	s_wait_loadcnt 0x0
	ds_store_b32 v113, v2
	s_wait_xcnt 0x0
	v_mad_nc_i64_i32 v[2:3], 0x6e, v26, v[0:1]
	s_delay_alu instid0(VALU_DEP_1)
	v_add_nc_u64_e32 v[2:3], v[2:3], v[12:13]
	global_load_b32 v2, v[2:3], off offset:32
	s_wait_loadcnt 0x0
	ds_store_b32 v116, v2
	s_wait_xcnt 0x0
	v_mad_nc_i64_i32 v[2:3], 0x6e, v28, v[0:1]
	s_delay_alu instid0(VALU_DEP_1)
	v_add_nc_u64_e32 v[2:3], v[2:3], v[12:13]
	global_load_b32 v2, v[2:3], off offset:32
	s_wait_loadcnt 0x0
	ds_store_b32 v117, v2
	s_wait_xcnt 0x0
	v_mad_nc_i64_i32 v[2:3], 0x6e, v32, v[0:1]
	s_delay_alu instid0(VALU_DEP_1)
	v_add_nc_u64_e32 v[2:3], v[2:3], v[12:13]
	global_load_b32 v2, v[2:3], off offset:32
	s_wait_loadcnt 0x0
	ds_store_b32 v118, v2
	s_wait_xcnt 0x0
	v_mad_nc_i64_i32 v[2:3], 0x6e, v34, v[0:1]
	s_delay_alu instid0(VALU_DEP_1)
	v_add_nc_u64_e32 v[2:3], v[2:3], v[12:13]
	global_load_b32 v2, v[2:3], off offset:32
	s_wait_loadcnt 0x0
	ds_store_b32 v119, v2
	s_wait_xcnt 0x0
	v_mad_nc_i64_i32 v[2:3], 0x6e, v36, v[0:1]
	s_delay_alu instid0(VALU_DEP_1)
	v_add_nc_u64_e32 v[2:3], v[2:3], v[12:13]
	global_load_b32 v2, v[2:3], off offset:32
	s_wait_loadcnt 0x0
	ds_store_b32 v120, v2
	s_wait_xcnt 0x0
	v_mad_nc_i64_i32 v[2:3], 0x6e, v38, v[0:1]
	s_delay_alu instid0(VALU_DEP_1)
	v_add_nc_u64_e32 v[2:3], v[2:3], v[12:13]
	global_load_b32 v2, v[2:3], off offset:32
	s_wait_loadcnt 0x0
	ds_store_b32 v121, v2
	s_wait_xcnt 0x0
	v_mad_nc_i64_i32 v[2:3], 0x6e, v40, v[0:1]
	s_delay_alu instid0(VALU_DEP_1)
	v_add_nc_u64_e32 v[2:3], v[2:3], v[12:13]
	global_load_b32 v2, v[2:3], off offset:32
	s_wait_loadcnt 0x0
	ds_store_b32 v122, v2
	s_wait_xcnt 0x0
	v_mad_nc_i64_i32 v[2:3], 0x6e, v42, v[0:1]
	s_delay_alu instid0(VALU_DEP_1)
	v_add_nc_u64_e32 v[2:3], v[2:3], v[12:13]
	global_load_b32 v2, v[2:3], off offset:32
	s_wait_loadcnt 0x0
	ds_store_b32 v123, v2
	s_wait_xcnt 0x0
	v_mad_nc_i64_i32 v[2:3], 0x6e, v44, v[0:1]
	s_delay_alu instid0(VALU_DEP_1)
	v_add_nc_u64_e32 v[2:3], v[2:3], v[12:13]
	global_load_b32 v2, v[2:3], off offset:32
	s_wait_loadcnt 0x0
	ds_store_b32 v124, v2
	s_wait_xcnt 0x0
	v_mad_nc_i64_i32 v[2:3], 0x6e, v50, v[0:1]
	s_delay_alu instid0(VALU_DEP_1)
	v_add_nc_u64_e32 v[2:3], v[2:3], v[12:13]
	global_load_b32 v2, v[2:3], off offset:32
	s_wait_loadcnt 0x0
	ds_store_b32 v125, v2
	s_wait_xcnt 0x0
	v_mad_nc_i64_i32 v[2:3], 0x6e, v52, v[0:1]
	s_delay_alu instid0(VALU_DEP_1)
	v_add_nc_u64_e32 v[2:3], v[2:3], v[12:13]
	global_load_b32 v2, v[2:3], off offset:32
	s_wait_loadcnt 0x0
	ds_store_b32 v126, v2
	s_wait_xcnt 0x0
	v_mad_nc_i64_i32 v[2:3], 0x6e, v54, v[0:1]
	v_mad_nc_i64_i32 v[0:1], 0x6e, v58, v[0:1]
	s_delay_alu instid0(VALU_DEP_2) | instskip(NEXT) | instid1(VALU_DEP_2)
	v_add_nc_u64_e32 v[2:3], v[2:3], v[12:13]
	v_add_nc_u64_e32 v[0:1], v[0:1], v[12:13]
	s_clause 0x1
	global_load_b32 v2, v[2:3], off offset:32
	global_load_b32 v0, v[0:1], off offset:32
	s_wait_loadcnt 0x1
	ds_store_b32 v127, v2
	s_wait_loadcnt 0x0
	ds_store_b32 v128, v0
	s_wait_xcnt 0x0
	v_mad_nc_i64_i32 v[0:1], 0x6e, v60, s[10:11]
	s_delay_alu instid0(VALU_DEP_1)
	v_mad_nc_u64_u32 v[0:1], 0x6e, v10, v[0:1]
	global_load_u16 v0, v[0:1], off offset:108
	s_wait_loadcnt 0x0
	s_wait_xcnt 0x0
	v_cvt_f32_f16_e32 v0, v0
	ds_store_b32 v33, v0
	v_mad_nc_u64_u32 v[0:1], 0x6e, v110, s[10:11]
	s_delay_alu instid0(VALU_DEP_1) | instskip(NEXT) | instid1(VALU_DEP_1)
	v_add_nc_u64_e32 v[0:1], v[0:1], v[14:15]
	v_mad_nc_i64_i32 v[2:3], 0x6e, v62, v[0:1]
	global_load_b32 v2, v[2:3], off
	s_wait_loadcnt 0x0
	s_wait_xcnt 0x0
	v_not_b32_e32 v2, v2
	ds_store_b32 v35, v2
	v_mad_nc_i64_i32 v[2:3], 0x6e, v66, v[0:1]
	global_load_b32 v2, v[2:3], off
	s_wait_loadcnt 0x0
	s_wait_xcnt 0x0
	v_not_b32_e32 v2, v2
	ds_store_b32 v37, v2
	;; [unrolled: 6-line block ×6, first 2 shown]
	v_mad_nc_i64_i32 v[2:3], 0x6e, v82, v[0:1]
	v_mad_nc_i64_i32 v[0:1], 0x6e, v84, v[0:1]
	s_clause 0x1
	global_load_b32 v2, v[2:3], off
	global_load_b32 v0, v[0:1], off
	s_wait_loadcnt 0x1
	s_wait_xcnt 0x1
	v_not_b32_e32 v2, v2
	s_wait_loadcnt 0x0
	s_wait_xcnt 0x0
	v_not_b32_e32 v0, v0
	ds_store_b32 v51, v2
	ds_store_b32 v53, v0
	v_mad_nc_u64_u32 v[0:1], 0x6e, v112, s[10:11]
	s_mov_b32 s10, 0
	s_delay_alu instid0(VALU_DEP_1) | instskip(NEXT) | instid1(VALU_DEP_1)
	v_mad_nc_i64_i32 v[2:3], 0x6e, v90, v[0:1]
	v_add_nc_u64_e32 v[4:5], v[2:3], v[16:17]
	s_clause 0x1
	global_load_b32 v2, v[2:3], off offset:104
	global_load_b32 v4, v[4:5], off offset:96
	s_wait_loadcnt 0x1
	s_wait_xcnt 0x1
	v_ashrrev_i32_e32 v2, v97, v2
	s_wait_loadcnt 0x0
	s_wait_xcnt 0x0
	s_delay_alu instid0(VALU_DEP_1) | instskip(NEXT) | instid1(VALU_DEP_1)
	v_dual_lshlrev_b32 v2, 4, v2 :: v_dual_ashrrev_i32 v4, v152, v4
	v_and_b32_e32 v4, 0xf0f0f0f, v4
	s_delay_alu instid0(VALU_DEP_1) | instskip(NEXT) | instid1(VALU_DEP_1)
	v_and_or_b32 v2, 0x30303030, v2, v4
	v_lshlrev_b16 v4, 8, v2
	v_lshrrev_b32_e32 v3, 16, v2
	s_delay_alu instid0(VALU_DEP_2) | instskip(NEXT) | instid1(VALU_DEP_1)
	v_add_nc_u16 v4, 0xe000, v4
	v_lshrrev_b16 v4, 8, v4
	s_delay_alu instid0(VALU_DEP_1) | instskip(NEXT) | instid1(VALU_DEP_4)
	v_bitop3_b16 v2, v2, v4, 0x3f00 bitop3:0xec
	v_lshlrev_b16 v4, 8, v3
	s_delay_alu instid0(VALU_DEP_2) | instskip(NEXT) | instid1(VALU_DEP_2)
	v_add_nc_u16 v2, 0xe000, v2
	v_add_nc_u16 v4, 0xe000, v4
	s_delay_alu instid0(VALU_DEP_2) | instskip(NEXT) | instid1(VALU_DEP_2)
	v_and_b32_e32 v2, 0xffff, v2
	v_lshrrev_b16 v4, 8, v4
	s_delay_alu instid0(VALU_DEP_1) | instskip(NEXT) | instid1(VALU_DEP_1)
	v_bitop3_b16 v3, v3, v4, 0x3f00 bitop3:0xec
	v_add_nc_u16 v3, 0xe000, v3
	s_delay_alu instid0(VALU_DEP_1) | instskip(NEXT) | instid1(VALU_DEP_1)
	v_lshlrev_b32_e32 v3, 16, v3
	v_or_b32_e32 v2, v2, v3
	ds_store_b32 v55, v2
	v_mad_nc_i64_i32 v[2:3], 0x6e, v94, v[0:1]
	s_delay_alu instid0(VALU_DEP_1)
	v_add_nc_u64_e32 v[4:5], v[2:3], v[16:17]
	s_clause 0x1
	global_load_b32 v2, v[2:3], off offset:104
	global_load_b32 v4, v[4:5], off offset:96
	s_wait_loadcnt 0x1
	s_wait_xcnt 0x1
	v_ashrrev_i32_e32 v2, v97, v2
	s_wait_loadcnt 0x0
	s_wait_xcnt 0x0
	s_delay_alu instid0(VALU_DEP_1) | instskip(NEXT) | instid1(VALU_DEP_1)
	v_dual_lshlrev_b32 v2, 4, v2 :: v_dual_ashrrev_i32 v4, v152, v4
	v_and_b32_e32 v4, 0xf0f0f0f, v4
	s_delay_alu instid0(VALU_DEP_1) | instskip(NEXT) | instid1(VALU_DEP_1)
	v_and_or_b32 v2, 0x30303030, v2, v4
	v_lshlrev_b16 v4, 8, v2
	v_lshrrev_b32_e32 v3, 16, v2
	s_delay_alu instid0(VALU_DEP_2) | instskip(NEXT) | instid1(VALU_DEP_1)
	v_add_nc_u16 v4, 0xe000, v4
	v_lshrrev_b16 v4, 8, v4
	s_delay_alu instid0(VALU_DEP_1) | instskip(NEXT) | instid1(VALU_DEP_4)
	v_bitop3_b16 v2, v2, v4, 0x3f00 bitop3:0xec
	v_lshlrev_b16 v4, 8, v3
	s_delay_alu instid0(VALU_DEP_2) | instskip(NEXT) | instid1(VALU_DEP_2)
	v_add_nc_u16 v2, 0xe000, v2
	v_add_nc_u16 v4, 0xe000, v4
	s_delay_alu instid0(VALU_DEP_2) | instskip(NEXT) | instid1(VALU_DEP_2)
	v_and_b32_e32 v2, 0xffff, v2
	v_lshrrev_b16 v4, 8, v4
	s_delay_alu instid0(VALU_DEP_1) | instskip(NEXT) | instid1(VALU_DEP_1)
	v_bitop3_b16 v3, v3, v4, 0x3f00 bitop3:0xec
	v_add_nc_u16 v3, 0xe000, v3
	s_delay_alu instid0(VALU_DEP_1) | instskip(NEXT) | instid1(VALU_DEP_1)
	v_lshlrev_b32_e32 v3, 16, v3
	v_or_b32_e32 v2, v2, v3
	ds_store_b32 v59, v2
	v_mad_nc_i64_i32 v[2:3], 0x6e, v96, v[0:1]
	v_mad_nc_i64_i32 v[0:1], 0x6e, v98, v[0:1]
	s_delay_alu instid0(VALU_DEP_2)
	v_add_nc_u64_e32 v[4:5], v[2:3], v[16:17]
	s_clause 0x1
	global_load_b32 v2, v[2:3], off offset:104
	global_load_b32 v4, v[4:5], off offset:96
	s_wait_loadcnt 0x1
	s_wait_xcnt 0x1
	v_ashrrev_i32_e32 v2, v97, v2
	s_wait_loadcnt 0x0
	s_wait_xcnt 0x0
	s_delay_alu instid0(VALU_DEP_1) | instskip(NEXT) | instid1(VALU_DEP_1)
	v_dual_lshlrev_b32 v2, 4, v2 :: v_dual_ashrrev_i32 v4, v152, v4
	v_and_b32_e32 v4, 0xf0f0f0f, v4
	s_delay_alu instid0(VALU_DEP_1) | instskip(NEXT) | instid1(VALU_DEP_1)
	v_and_or_b32 v2, 0x30303030, v2, v4
	v_lshlrev_b16 v4, 8, v2
	v_lshrrev_b32_e32 v3, 16, v2
	s_delay_alu instid0(VALU_DEP_2) | instskip(NEXT) | instid1(VALU_DEP_1)
	v_add_nc_u16 v4, 0xe000, v4
	v_lshrrev_b16 v4, 8, v4
	s_delay_alu instid0(VALU_DEP_1) | instskip(NEXT) | instid1(VALU_DEP_4)
	v_bitop3_b16 v2, v2, v4, 0x3f00 bitop3:0xec
	v_lshlrev_b16 v4, 8, v3
	s_delay_alu instid0(VALU_DEP_2) | instskip(NEXT) | instid1(VALU_DEP_2)
	v_add_nc_u16 v2, 0xe000, v2
	v_add_nc_u16 v4, 0xe000, v4
	s_delay_alu instid0(VALU_DEP_2) | instskip(NEXT) | instid1(VALU_DEP_2)
	v_and_b32_e32 v2, 0xffff, v2
	v_lshrrev_b16 v4, 8, v4
	s_delay_alu instid0(VALU_DEP_1) | instskip(NEXT) | instid1(VALU_DEP_1)
	v_bitop3_b16 v3, v3, v4, 0x3f00 bitop3:0xec
	v_add_nc_u16 v3, 0xe000, v3
	s_delay_alu instid0(VALU_DEP_1) | instskip(NEXT) | instid1(VALU_DEP_1)
	v_lshlrev_b32_e32 v3, 16, v3
	v_or_b32_e32 v2, v2, v3
	ds_store_b32 v61, v2
	v_add_nc_u64_e32 v[2:3], v[0:1], v[16:17]
	s_clause 0x1
	global_load_b32 v0, v[0:1], off offset:104
	global_load_b32 v2, v[2:3], off offset:96
	s_wait_loadcnt 0x1
	s_wait_xcnt 0x1
	v_ashrrev_i32_e32 v0, v97, v0
	s_wait_loadcnt 0x0
	s_wait_xcnt 0x0
	s_delay_alu instid0(VALU_DEP_1) | instskip(NEXT) | instid1(VALU_DEP_1)
	v_dual_lshlrev_b32 v0, 4, v0 :: v_dual_ashrrev_i32 v2, v152, v2
	v_and_b32_e32 v2, 0xf0f0f0f, v2
	s_delay_alu instid0(VALU_DEP_1) | instskip(NEXT) | instid1(VALU_DEP_1)
	v_and_or_b32 v0, 0x30303030, v0, v2
	v_lshlrev_b16 v2, 8, v0
	v_lshrrev_b32_e32 v1, 16, v0
	s_delay_alu instid0(VALU_DEP_2) | instskip(NEXT) | instid1(VALU_DEP_1)
	v_add_nc_u16 v2, 0xe000, v2
	v_lshrrev_b16 v2, 8, v2
	s_delay_alu instid0(VALU_DEP_1) | instskip(NEXT) | instid1(VALU_DEP_4)
	v_bitop3_b16 v0, v0, v2, 0x3f00 bitop3:0xec
	v_lshlrev_b16 v2, 8, v1
	s_delay_alu instid0(VALU_DEP_2) | instskip(NEXT) | instid1(VALU_DEP_2)
	v_add_nc_u16 v0, 0xe000, v0
	v_add_nc_u16 v2, 0xe000, v2
	s_delay_alu instid0(VALU_DEP_2) | instskip(NEXT) | instid1(VALU_DEP_2)
	v_and_b32_e32 v0, 0xffff, v0
	v_lshrrev_b16 v2, 8, v2
	s_delay_alu instid0(VALU_DEP_1) | instskip(NEXT) | instid1(VALU_DEP_1)
	v_bitop3_b16 v1, v1, v2, 0x3f00 bitop3:0xec
	v_add_nc_u16 v1, 0xe000, v1
	s_delay_alu instid0(VALU_DEP_1) | instskip(NEXT) | instid1(VALU_DEP_1)
	v_lshlrev_b32_e32 v1, 16, v1
	v_or_b32_e32 v0, v0, v1
	ds_store_b32 v63, v0
	s_branch .LBB150_8
.LBB150_7:                              ;   in Loop: Header=BB150_8 Depth=2
                                        ; implicit-def: $sgpr10
	s_and_b32 vcc_lo, exec_lo, s11
	s_cbranch_vccnz .LBB150_5
.LBB150_8:                              ;   Parent Loop BB150_6 Depth=1
                                        ; =>  This Loop Header: Depth=2
                                        ;       Child Loop BB150_10 Depth 3
                                        ;       Child Loop BB150_12 Depth 3
	s_lshr_b32 s11, s10, 1
	s_delay_alu instid0(SALU_CYCLE_1) | instskip(NEXT) | instid1(SALU_CYCLE_1)
	s_or_b32 s11, s11, s4
	s_cmp_lt_i32 s11, s15
	s_mov_b32 s11, -1
	s_cbranch_scc0 .LBB150_7
; %bb.9:                                ;   in Loop: Header=BB150_8 Depth=2
	v_lshl_add_u32 v0, s10, 5, v11
	v_lshl_add_u32 v1, s10, 2, v164
	s_or_b32 s16, s10, 1
	s_lshl_b32 s17, s10, 3
	s_lshl_b32 s11, s16, 3
	v_lshrrev_b32_e32 v0, 3, v0
	s_delay_alu instid0(VALU_DEP_1) | instskip(SKIP_1) | instid1(VALU_DEP_2)
	v_add_nc_u32_e32 v2, s7, v0
	v_mad_nc_u64_u32 v[0:1], v1, 36, s[2:3]
	v_dual_add_nc_u32 v3, v2, v137 :: v_dual_add_nc_u32 v168, v2, v134
	v_dual_add_nc_u32 v4, v2, v130 :: v_dual_add_nc_u32 v6, v2, v131
	;; [unrolled: 1-line block ×4, first 2 shown]
	s_delay_alu instid0(VALU_DEP_4) | instskip(NEXT) | instid1(VALU_DEP_4)
	v_mad_nc_i64_i32 v[2:3], v3, 36, v[18:19]
	v_mad_nc_i64_i32 v[4:5], v4, 36, v[18:19]
	;; [unrolled: 1-line block ×8, first 2 shown]
	s_clause 0x8
	global_load_b32 v165, v[0:1], off
	global_load_b32 v174, v[2:3], off offset:4
	global_load_b32 v175, v[4:5], off offset:4
	;; [unrolled: 1-line block ×8, first 2 shown]
	s_wait_loadcnt 0x8
	s_wait_xcnt 0x8
	v_cvt_f32_f16_e64 v0, v165
	s_wait_loadcnt 0x7
	ds_store_b32 v91, v174
	s_wait_loadcnt 0x6
	ds_store_b32 v67, v175
	;; [unrolled: 2-line block ×8, first 2 shown]
	ds_store_b32 v129, v0
	s_wait_dscnt 0x0
	s_barrier_signal -1
	s_barrier_wait -1
.LBB150_10:                             ;   Parent Loop BB150_6 Depth=1
                                        ;     Parent Loop BB150_8 Depth=2
                                        ; =>    This Inner Loop Header: Depth=3
	s_lshl_b32 s18, s17, 2
	s_and_b32 s20, s17, 6
	s_and_b32 s18, s18, 24
	;; [unrolled: 1-line block ×3, first 2 shown]
	v_or_b32_e32 v0, s18, v160
	v_lshl_add_u32 v237, s22, 2, v161
	s_lshr_b32 s21, s17, 4
	s_bfe_u32 s19, s17, 0x30001
	s_lshl_b32 s23, s21, 2
	v_dual_lshlrev_b32 v4, 2, v0 :: v_dual_lshrrev_b32 v0, 1, v0
	s_lshl_b32 s21, s21, 5
	s_and_b32 s22, s17, -2
	s_addk_co_i32 s21, 0x4200
	ds_load_b32 v115, v0 offset:38816
	ds_load_b128 v[0:3], v4 offset:25344
	ds_load_b128 v[4:7], v4 offset:25360
	ds_load_2addr_b32 v[166:167], v237 offset1:1
	v_add3_u32 v172, s21, v151, v162
	s_add_co_i32 s23, s23, 0x9380
	s_add_co_i32 s17, s17, 2
	s_set_vgpr_msb 64                       ;  msbs: dst=1 src0=0 src1=0 src2=0
	v_add_nc_u32_e32 v46 /*v302*/, s22, v29
	s_cmp_lt_u32 s17, s11
	s_set_vgpr_msb 0                        ;  msbs: dst=0 src0=0 src1=0 src2=0
	ds_load_2addr_b32 v[168:169], v172 offset1:1
	s_wait_dscnt 0x3
	v_bfe_i32 v224, v0, 0, 8
	v_bfe_i32 v225, v0, 8, 8
	s_wait_dscnt 0x1
	v_ashrrev_i32_e32 v165, s20, v166
	v_bfe_i32 v208, v3, 8, 8
	v_perm_b32 v245, v0, v0, 0xc0c0302
	v_bfe_i32 v222, v1, 0, 8
	v_bfe_i32 v218, v2, 0, 8
	v_and_b32_e32 v166, 0x3030303, v165
	s_wait_dscnt 0x0
	v_ashrrev_i32_e32 v168, s19, v168
	v_bfe_u32 v165, v165, 24, 2
	v_ashrrev_i32_e32 v169, s19, v169
	v_bfe_i32 v206, v2, 8, 8
	s_delay_alu instid0(VALU_DEP_4) | instskip(SKIP_1) | instid1(VALU_DEP_4)
	v_dual_lshrrev_b32 v171, 16, v166 :: v_dual_lshlrev_b32 v168, 2, v168
	v_lshrrev_b16 v170, 8, v166
	v_lshlrev_b32_e32 v169, 2, v169
	v_perm_b32 v209, v1, v1, 0xc030201
	v_bfe_i32 v207, v3, 0, 8
	v_and_b32_e32 v168, 0x4040404, v168
	v_perm_b32 v210, v2, v2, 0xc0c0302
	v_and_b32_e32 v169, 0x4040404, v169
	v_bfe_i32 v219, v4, 0, 8
	v_bfe_i32 v220, v4, 8, 8
	v_dual_lshrrev_b32 v174, 24, v168 :: v_dual_lshrrev_b32 v175, 16, v168
	v_lshrrev_b16 v173, 8, v168
	v_dual_lshrrev_b32 v176, 24, v169 :: v_dual_lshrrev_b32 v177, 16, v169
	s_delay_alu instid0(VALU_DEP_3) | instskip(NEXT) | instid1(VALU_DEP_4)
	v_sub_nc_u16 v165, v165, v174
	v_sub_nc_u16 v171, v171, v175
	v_lshrrev_b16 v175, 8, v169
	v_perm_b32 v211, v3, v3, 0xc0c0302
	v_bfe_i32 v217, v7, 8, 8
	v_lshlrev_b16 v165, 8, v165
	v_perm_b32 v246, v4, v4, 0xc0c0302
	v_bfe_i32 v215, v5, 0, 8
	v_bfe_i32 v114, v6, 0, 8
	;; [unrolled: 1-line block ×3, first 2 shown]
	v_bitop3_b16 v174, v171, v165, 0xff bitop3:0xec
	v_sub_nc_u16 v165, v170, v173
	v_sub_nc_u16 v173, v166, v168
	v_perm_b32 v221, v5, v5, 0xc030201
	v_bfe_i32 v199, v7, 0, 8
	v_perm_b32 v232, v6, v6, 0xc0c0302
	v_lshlrev_b16 v170, 8, v165
	v_ashrrev_i32_e32 v165, s20, v167
	v_perm_b32 v233, v7, v7, 0xc0c0302
	v_bfe_i32 v223, v1, 8, 8
	v_perm_b32 v1, v1, v1, 0xc0c0302
	v_bfe_i32 v216, v5, 8, 8
	v_and_b32_e32 v166, 0x3030303, v165
	v_bfe_u32 v165, v165, 24, 2
	v_perm_b32 v5, v5, v5, 0xc0c0302
	v_perm_b32 v6, v6, v6, 0xc030201
	v_perm_b32 v7, v7, v7, 0xc030201
	v_lshrrev_b32_e32 v168, 16, v166
	v_sub_nc_u16 v165, v165, v176
	v_lshrrev_b16 v167, 8, v166
	v_sub_nc_u16 v178, v166, v169
	v_perm_b32 v2, v2, v2, 0xc030201
	v_sub_nc_u16 v177, v168, v177
	v_lshlrev_b16 v165, 8, v165
	ds_load_2addr_b32 v[168:169], v172 offset0:2 offset1:3
	v_bitop3_b16 v176, v177, v165, 0xff bitop3:0xec
	v_sub_nc_u16 v165, v167, v175
	ds_load_2addr_b32 v[166:167], v237 offset0:2 offset1:3
	v_lshlrev_b16 v175, 8, v165
	s_delay_alu instid0(VALU_DEP_1) | instskip(SKIP_3) | instid1(VALU_DEP_1)
	v_perm_b32 v175, v175, v175, 0xc0c0c01
	s_wait_dscnt 0x1
	v_dual_ashrrev_i32 v168, s19, v168 :: v_dual_ashrrev_i32 v169, s19, v169
	s_wait_dscnt 0x0
	v_dual_lshlrev_b32 v168, 2, v168 :: v_dual_ashrrev_i32 v165, s20, v166
	s_delay_alu instid0(VALU_DEP_2) | instskip(NEXT) | instid1(VALU_DEP_2)
	v_lshlrev_b32_e32 v169, 2, v169
	v_and_b32_e32 v168, 0x4040404, v168
	s_delay_alu instid0(VALU_DEP_3) | instskip(SKIP_1) | instid1(VALU_DEP_4)
	v_and_b32_e32 v166, 0x3030303, v165
	v_bfe_u32 v165, v165, 24, 2
	v_and_b32_e32 v169, 0x4040404, v169
	s_delay_alu instid0(VALU_DEP_4) | instskip(NEXT) | instid1(VALU_DEP_4)
	v_dual_lshrrev_b32 v182, 24, v168 :: v_dual_lshrrev_b32 v183, 16, v168
	v_lshrrev_b32_e32 v180, 16, v166
	v_lshrrev_b16 v179, 8, v166
	v_lshrrev_b16 v181, 8, v168
	s_delay_alu instid0(VALU_DEP_4) | instskip(SKIP_3) | instid1(VALU_DEP_4)
	v_sub_nc_u16 v165, v165, v182
	v_lshrrev_b32_e32 v182, 16, v169
	v_sub_nc_u16 v226, v180, v183
	v_sub_nc_u16 v180, v166, v168
	v_lshlrev_b16 v165, 8, v165
	s_delay_alu instid0(VALU_DEP_1) | instskip(SKIP_3) | instid1(VALU_DEP_3)
	v_bitop3_b16 v227, v226, v165, 0xff bitop3:0xec
	v_sub_nc_u16 v165, v179, v181
	v_lshrrev_b32_e32 v181, 24, v169
	v_lshrrev_b16 v179, 8, v169
	v_lshlrev_b16 v228, 8, v165
	v_ashrrev_i32_e32 v165, s20, v167
	s_delay_alu instid0(VALU_DEP_1) | instskip(SKIP_1) | instid1(VALU_DEP_2)
	v_and_b32_e32 v166, 0x3030303, v165
	v_bfe_u32 v165, v165, 24, 2
	v_lshrrev_b32_e32 v168, 16, v166
	s_delay_alu instid0(VALU_DEP_2) | instskip(SKIP_2) | instid1(VALU_DEP_4)
	v_sub_nc_u16 v165, v165, v181
	v_lshrrev_b16 v167, 8, v166
	v_sub_nc_u16 v181, v166, v169
	v_sub_nc_u16 v229, v168, v182
	s_delay_alu instid0(VALU_DEP_4)
	v_lshlrev_b16 v165, 8, v165
	ds_load_2addr_b32 v[168:169], v172 offset0:4 offset1:5
	v_bitop3_b16 v230, v229, v165, 0xff bitop3:0xec
	v_sub_nc_u16 v165, v167, v179
	ds_load_2addr_b32 v[166:167], v237 offset0:4 offset1:5
	v_lshlrev_b16 v231, 8, v165
	s_wait_dscnt 0x1
	v_dual_ashrrev_i32 v168, s19, v168 :: v_dual_ashrrev_i32 v169, s19, v169
	s_wait_dscnt 0x0
	s_delay_alu instid0(VALU_DEP_1) | instskip(NEXT) | instid1(VALU_DEP_2)
	v_dual_lshlrev_b32 v168, 2, v168 :: v_dual_ashrrev_i32 v165, s20, v166
	v_lshlrev_b32_e32 v169, 2, v169
	s_delay_alu instid0(VALU_DEP_2) | instskip(NEXT) | instid1(VALU_DEP_3)
	v_and_b32_e32 v168, 0x4040404, v168
	v_and_b32_e32 v166, 0x3030303, v165
	v_bfe_u32 v165, v165, 24, 2
	s_delay_alu instid0(VALU_DEP_4) | instskip(NEXT) | instid1(VALU_DEP_4)
	v_and_b32_e32 v169, 0x4040404, v169
	v_dual_lshrrev_b32 v184, 24, v168 :: v_dual_lshrrev_b32 v185, 16, v168
	s_delay_alu instid0(VALU_DEP_4) | instskip(SKIP_2) | instid1(VALU_DEP_4)
	v_lshrrev_b32_e32 v182, 16, v166
	v_lshrrev_b16 v179, 8, v166
	v_lshrrev_b16 v183, 8, v168
	v_sub_nc_u16 v165, v165, v184
	v_dual_lshrrev_b32 v186, 24, v169 :: v_dual_lshrrev_b32 v187, 16, v169
	v_sub_nc_u16 v182, v182, v185
	v_lshrrev_b16 v185, 8, v169
	s_delay_alu instid0(VALU_DEP_4) | instskip(NEXT) | instid1(VALU_DEP_1)
	v_lshlrev_b16 v165, 8, v165
	v_bitop3_b16 v184, v182, v165, 0xff bitop3:0xec
	v_sub_nc_u16 v165, v179, v183
	v_sub_nc_u16 v183, v166, v168
	s_delay_alu instid0(VALU_DEP_2) | instskip(SKIP_1) | instid1(VALU_DEP_1)
	v_lshlrev_b16 v179, 8, v165
	v_ashrrev_i32_e32 v165, s20, v167
	v_and_b32_e32 v166, 0x3030303, v165
	v_bfe_u32 v165, v165, 24, 2
	s_delay_alu instid0(VALU_DEP_2) | instskip(NEXT) | instid1(VALU_DEP_2)
	v_lshrrev_b32_e32 v168, 16, v166
	v_sub_nc_u16 v165, v165, v186
	v_lshrrev_b16 v167, 8, v166
	v_sub_nc_u16 v188, v166, v169
	s_delay_alu instid0(VALU_DEP_4) | instskip(NEXT) | instid1(VALU_DEP_4)
	v_sub_nc_u16 v187, v168, v187
	v_lshlrev_b16 v165, 8, v165
	ds_load_2addr_b32 v[168:169], v172 offset0:6 offset1:7
	v_bitop3_b16 v186, v187, v165, 0xff bitop3:0xec
	v_sub_nc_u16 v165, v167, v185
	ds_load_2addr_b32 v[166:167], v237 offset0:6 offset1:7
	v_lshlrev_b16 v185, 8, v165
	s_delay_alu instid0(VALU_DEP_1) | instskip(SKIP_3) | instid1(VALU_DEP_1)
	v_perm_b32 v185, v185, v185, 0xc0c0c01
	s_wait_dscnt 0x1
	v_dual_ashrrev_i32 v168, s19, v168 :: v_dual_ashrrev_i32 v169, s19, v169
	s_wait_dscnt 0x0
	v_dual_lshlrev_b32 v168, 2, v168 :: v_dual_ashrrev_i32 v165, s20, v166
	s_delay_alu instid0(VALU_DEP_2) | instskip(NEXT) | instid1(VALU_DEP_2)
	v_lshlrev_b32_e32 v169, 2, v169
	v_and_b32_e32 v168, 0x4040404, v168
	s_delay_alu instid0(VALU_DEP_3) | instskip(SKIP_1) | instid1(VALU_DEP_4)
	v_and_b32_e32 v166, 0x3030303, v165
	v_bfe_u32 v165, v165, 24, 2
	v_and_b32_e32 v169, 0x4040404, v169
	s_delay_alu instid0(VALU_DEP_4) | instskip(NEXT) | instid1(VALU_DEP_4)
	v_dual_lshrrev_b32 v191, 24, v168 :: v_dual_lshrrev_b32 v192, 16, v168
	v_lshrrev_b32_e32 v190, 16, v166
	v_lshrrev_b16 v189, 8, v166
	v_lshrrev_b16 v172, 8, v168
	s_delay_alu instid0(VALU_DEP_4) | instskip(SKIP_3) | instid1(VALU_DEP_4)
	v_sub_nc_u16 v165, v165, v191
	v_lshrrev_b32_e32 v191, 16, v169
	v_sub_nc_u16 v239, v190, v192
	v_sub_nc_u16 v190, v166, v168
	v_lshlrev_b16 v165, 8, v165
	s_delay_alu instid0(VALU_DEP_1) | instskip(SKIP_3) | instid1(VALU_DEP_3)
	v_bitop3_b16 v240, v239, v165, 0xff bitop3:0xec
	v_sub_nc_u16 v165, v189, v172
	v_lshrrev_b32_e32 v189, 24, v169
	v_lshrrev_b16 v172, 8, v169
	v_lshlrev_b16 v241, 8, v165
	v_ashrrev_i32_e32 v165, s20, v167
	s_delay_alu instid0(VALU_DEP_1) | instskip(SKIP_1) | instid1(VALU_DEP_2)
	v_and_b32_e32 v166, 0x3030303, v165
	v_bfe_u32 v165, v165, 24, 2
	v_lshrrev_b32_e32 v168, 16, v166
	s_delay_alu instid0(VALU_DEP_2)
	v_sub_nc_u16 v165, v165, v189
	v_lshrrev_b16 v167, 8, v166
	v_sub_nc_u16 v189, v166, v169
	v_bfe_i32 v166, v173, 0, 8
	v_sub_nc_u16 v242, v168, v191
	v_lshlrev_b16 v165, 8, v165
	v_add_nc_u32_e32 v191, s22, v23
	s_delay_alu instid0(VALU_DEP_4) | instskip(NEXT) | instid1(VALU_DEP_3)
	v_mul_i32_i24_e32 v168, v166, v224
	v_bitop3_b16 v243, v242, v165, 0xff bitop3:0xec
	v_sub_nc_u16 v165, v167, v172
	v_bfe_i32 v167, v170, 8, 8
	v_bfe_i32 v172, v231, 8, 8
	;; [unrolled: 1-line block ×3, first 2 shown]
	s_delay_alu instid0(VALU_DEP_4) | instskip(NEXT) | instid1(VALU_DEP_4)
	v_lshlrev_b16 v244, 8, v165
	v_mad_i32_i24 v169, v167, v225, v168
	v_perm_b32 v168, v174, v171, 0xc0c0500
	v_add3_u32 v165, s23, v163, v153
	v_bfe_i32 v171, v228, 8, 8
	s_delay_alu instid0(VALU_DEP_3)
	v_dot4_i32_iu8 v0, v168, v245, v169 neg_lo:[1,1,0]
	v_bfe_i32 v169, v180, 0, 8
	v_mul_i32_i24_e32 v180, v208, v172
	v_perm_b32 v172, v176, v177, 0xc05000c
	ds_load_b32 v165, v165
	v_mad_i32_i24 v0, v170, v222, v0
	v_mul_i32_i24_e32 v173, v218, v169
	v_mul_i32_i24_e32 v174, v206, v171
	v_or_b32_e32 v172, v172, v175
	v_bfe_i32 v171, v181, 0, 8
	v_bfe_i32 v175, v179, 8, 8
	;; [unrolled: 1-line block ×3, first 2 shown]
	s_delay_alu instid0(VALU_DEP_4) | instskip(NEXT) | instid1(VALU_DEP_4)
	v_dot4_i32_iu8 v0, v172, v209, v0 neg_lo:[1,1,0]
	v_mul_i32_i24_e32 v178, v207, v171
	s_delay_alu instid0(VALU_DEP_2)
	v_add3_u32 v0, v0, v173, v174
	v_perm_b32 v173, v227, v226, 0xc0c0500
	v_bfe_i32 v174, v183, 0, 8
	v_mul_i32_i24_e32 v183, v214, v179
	v_bfe_i32 v179, v189, 0, 8
	v_perm_b32 v226, v227, v226, 0xc05000c
	v_dot4_i32_iu8 v0, v210, v173, v0 neg_lo:[1,1,0]
	v_mul_i32_i24_e32 v176, v174, v219
	v_perm_b32 v173, v230, v229, 0xc0c0500
	v_perm_b32 v227, v228, v228, 0xc0c0c01
	s_delay_alu instid0(VALU_DEP_4) | instskip(NEXT) | instid1(VALU_DEP_4)
	v_add3_u32 v0, v0, v178, v180
	v_mad_i32_i24 v177, v175, v220, v176
	v_perm_b32 v176, v184, v182, 0xc0c0500
	v_bfe_i32 v180, v244, 8, 8
	v_bfe_i32 v178, v188, 0, 8
	v_dot4_i32_iu8 v0, v211, v173, v0 neg_lo:[1,1,0]
	ds_load_u16 v173, v191
	v_dot4_i32_iu8 v4, v176, v246, v177 neg_lo:[1,1,0]
	v_mul_i32_i24_e32 v188, v217, v180
	v_perm_b32 v180, v186, v187, 0xc05000c
	v_bfe_i32 v177, v190, 0, 8
	v_mul_i32_i24_e32 v184, v199, v179
	v_mad_i32_i24 v4, v178, v215, v4
	v_or_b32_e32 v228, v226, v227
	v_or_b32_e32 v180, v180, v185
	v_mul_i32_i24_e32 v182, v114, v177
	v_perm_b32 v227, v230, v229, 0xc05000c
	v_perm_b32 v229, v231, v231, 0xc0c0c01
	s_delay_alu instid0(VALU_DEP_4) | instskip(NEXT) | instid1(VALU_DEP_2)
	v_dot4_i32_iu8 v4, v180, v221, v4 neg_lo:[1,1,0]
	v_or_b32_e32 v229, v227, v229
	s_delay_alu instid0(VALU_DEP_2) | instskip(SKIP_4) | instid1(VALU_DEP_3)
	v_add3_u32 v4, v4, v182, v183
	v_perm_b32 v182, v240, v239, 0xc0c0500
	s_wait_dscnt 0x0
	v_lshrrev_b16 v181, 8, v173
	v_bfe_i32 v173, v173, 0, 8
	v_dot4_i32_iu8 v4, v232, v182, v4 neg_lo:[1,1,0]
	v_perm_b32 v182, v243, v242, 0xc0c0500
	s_delay_alu instid0(VALU_DEP_3) | instskip(SKIP_1) | instid1(VALU_DEP_4)
	v_mul_lo_u32 v0, v0, v173
	v_bfe_i32 v181, v181, 0, 8
	v_add3_u32 v4, v4, v184, v188
	v_add3_u32 v188, s21, v154, v145
	s_delay_alu instid0(VALU_DEP_2) | instskip(SKIP_3) | instid1(VALU_DEP_2)
	v_dot4_i32_iu8 v4, v233, v182, v4 neg_lo:[1,1,0]
	ds_load_2addr_b32 v[184:185], v188 offset1:1
	v_mad_u32 v0, v4, v181, v0
	v_mul_f32_e32 v4, v115, v165
	v_cvt_f32_i32_e32 v0, v0
	s_delay_alu instid0(VALU_DEP_1)
	v_mul_f32_e32 v4, v4, v0
	v_add_nc_u32_e32 v0, 0x1080, v237
	s_wait_dscnt 0x0
	v_ashrrev_i32_e32 v185, s19, v185
	ds_load_2addr_b32 v[182:183], v0 offset1:1
	v_dual_ashrrev_i32 v184, s19, v184 :: v_dual_lshlrev_b32 v185, 2, v185
	s_delay_alu instid0(VALU_DEP_1) | instskip(NEXT) | instid1(VALU_DEP_2)
	v_lshlrev_b32_e32 v184, 2, v184
	v_and_b32_e32 v185, 0x4040404, v185
	s_delay_alu instid0(VALU_DEP_2) | instskip(NEXT) | instid1(VALU_DEP_2)
	v_and_b32_e32 v184, 0x4040404, v184
	v_dual_lshrrev_b32 v192, 24, v185 :: v_dual_lshrrev_b32 v193, 16, v185
	s_delay_alu instid0(VALU_DEP_2) | instskip(SKIP_3) | instid1(VALU_DEP_1)
	v_lshrrev_b16 v189, 8, v184
	v_dual_lshrrev_b32 v190, 24, v184 :: v_dual_lshrrev_b32 v191, 16, v184
	s_wait_dscnt 0x0
	v_ashrrev_i32_e32 v0, s20, v182
	v_and_b32_e32 v182, 0x3030303, v0
	v_bfe_u32 v0, v0, 24, 2
	s_delay_alu instid0(VALU_DEP_2) | instskip(SKIP_1) | instid1(VALU_DEP_3)
	v_lshrrev_b16 v186, 8, v182
	v_lshrrev_b32_e32 v187, 16, v182
	v_sub_nc_u16 v0, v0, v190
	s_delay_alu instid0(VALU_DEP_3)
	v_sub_nc_u16 v186, v186, v189
	v_sub_nc_u16 v189, v182, v184
	v_ashrrev_i32_e32 v182, s20, v183
	v_sub_nc_u16 v187, v187, v191
	v_lshrrev_b16 v191, 8, v185
	v_lshlrev_b16 v0, 8, v0
	v_lshlrev_b16 v186, 8, v186
	v_and_b32_e32 v183, 0x3030303, v182
	v_bfe_u32 v182, v182, 24, 2
	s_delay_alu instid0(VALU_DEP_4) | instskip(NEXT) | instid1(VALU_DEP_3)
	v_bitop3_b16 v0, v187, v0, 0xff bitop3:0xec
	v_lshrrev_b32_e32 v190, 16, v183
	s_delay_alu instid0(VALU_DEP_3) | instskip(SKIP_1) | instid1(VALU_DEP_3)
	v_sub_nc_u16 v182, v182, v192
	v_lshrrev_b16 v184, 8, v183
	v_sub_nc_u16 v190, v190, v193
	s_delay_alu instid0(VALU_DEP_3) | instskip(SKIP_1) | instid1(VALU_DEP_2)
	v_lshlrev_b16 v182, 8, v182
	v_sub_nc_u16 v193, v183, v185
	v_bitop3_b16 v192, v190, v182, 0xff bitop3:0xec
	v_sub_nc_u16 v182, v184, v191
	ds_load_2addr_b32 v[184:185], v188 offset0:2 offset1:3
	v_lshlrev_b16 v191, 8, v182
	v_add_nc_u32_e32 v182, 0x1088, v237
	ds_load_2addr_b32 v[182:183], v182 offset1:1
	s_wait_dscnt 0x1
	v_dual_ashrrev_i32 v184, s19, v184 :: v_dual_ashrrev_i32 v185, s19, v185
	s_delay_alu instid0(VALU_DEP_1) | instskip(SKIP_2) | instid1(VALU_DEP_2)
	v_dual_lshlrev_b32 v184, 2, v184 :: v_dual_lshlrev_b32 v185, 2, v185
	s_wait_dscnt 0x0
	v_ashrrev_i32_e32 v182, s20, v182
	v_and_b32_e32 v184, 0x4040404, v184
	s_delay_alu instid0(VALU_DEP_3) | instskip(NEXT) | instid1(VALU_DEP_3)
	v_and_b32_e32 v185, 0x4040404, v185
	v_and_b32_e32 v194, 0x3030303, v182
	v_bfe_u32 v182, v182, 24, 2
	s_delay_alu instid0(VALU_DEP_4) | instskip(SKIP_1) | instid1(VALU_DEP_4)
	v_dual_lshrrev_b32 v198, 24, v184 :: v_dual_lshrrev_b32 v200, 16, v184
	v_lshrrev_b16 v197, 8, v184
	v_lshrrev_b32_e32 v196, 16, v194
	v_lshrrev_b16 v195, 8, v194
	s_delay_alu instid0(VALU_DEP_4)
	v_sub_nc_u16 v182, v182, v198
	v_lshrrev_b32_e32 v198, 16, v185
	v_sub_nc_u16 v194, v194, v184
	v_sub_nc_u16 v247, v196, v200
	v_lshrrev_b16 v196, 8, v185
	v_lshlrev_b16 v182, 8, v182
	s_delay_alu instid0(VALU_DEP_1) | instskip(SKIP_2) | instid1(VALU_DEP_2)
	v_bitop3_b16 v248, v247, v182, 0xff bitop3:0xec
	v_sub_nc_u16 v182, v195, v197
	v_lshrrev_b32_e32 v197, 24, v185
	v_lshlrev_b16 v249, 8, v182
	v_ashrrev_i32_e32 v182, s20, v183
	s_delay_alu instid0(VALU_DEP_1) | instskip(SKIP_1) | instid1(VALU_DEP_2)
	v_and_b32_e32 v183, 0x3030303, v182
	v_bfe_u32 v182, v182, 24, 2
	v_lshrrev_b32_e32 v195, 16, v183
	s_delay_alu instid0(VALU_DEP_2) | instskip(SKIP_1) | instid1(VALU_DEP_3)
	v_sub_nc_u16 v182, v182, v197
	v_lshrrev_b16 v184, 8, v183
	v_sub_nc_u16 v250, v195, v198
	s_delay_alu instid0(VALU_DEP_3) | instskip(SKIP_1) | instid1(VALU_DEP_2)
	v_lshlrev_b16 v182, 8, v182
	v_sub_nc_u16 v195, v183, v185
	v_bitop3_b16 v251, v250, v182, 0xff bitop3:0xec
	v_sub_nc_u16 v182, v184, v196
	ds_load_2addr_b32 v[184:185], v188 offset0:4 offset1:5
	v_lshlrev_b16 v252, 8, v182
	v_add_nc_u32_e32 v182, 0x1090, v237
	ds_load_2addr_b32 v[182:183], v182 offset1:1
	s_wait_dscnt 0x1
	v_dual_ashrrev_i32 v184, s19, v184 :: v_dual_ashrrev_i32 v185, s19, v185
	s_delay_alu instid0(VALU_DEP_1) | instskip(SKIP_2) | instid1(VALU_DEP_2)
	v_dual_lshlrev_b32 v184, 2, v184 :: v_dual_lshlrev_b32 v185, 2, v185
	s_wait_dscnt 0x0
	v_ashrrev_i32_e32 v182, s20, v182
	v_and_b32_e32 v184, 0x4040404, v184
	s_delay_alu instid0(VALU_DEP_3) | instskip(NEXT) | instid1(VALU_DEP_3)
	v_and_b32_e32 v185, 0x4040404, v185
	v_and_b32_e32 v196, 0x3030303, v182
	v_bfe_u32 v182, v182, 24, 2
	s_delay_alu instid0(VALU_DEP_4) | instskip(SKIP_1) | instid1(VALU_DEP_4)
	v_dual_lshrrev_b32 v201, 24, v184 :: v_dual_lshrrev_b32 v202, 16, v184
	v_lshrrev_b16 v200, 8, v184
	v_lshrrev_b32_e32 v198, 16, v196
	v_lshrrev_b16 v197, 8, v196
	s_delay_alu instid0(VALU_DEP_4) | instskip(SKIP_1) | instid1(VALU_DEP_4)
	v_sub_nc_u16 v182, v182, v201
	v_dual_lshrrev_b32 v203, 24, v185 :: v_dual_lshrrev_b32 v204, 16, v185
	v_sub_nc_u16 v198, v198, v202
	v_sub_nc_u16 v196, v196, v184
	s_delay_alu instid0(VALU_DEP_4) | instskip(SKIP_1) | instid1(VALU_DEP_2)
	v_lshlrev_b16 v182, 8, v182
	v_lshrrev_b16 v202, 8, v185
	v_bitop3_b16 v201, v198, v182, 0xff bitop3:0xec
	v_sub_nc_u16 v182, v197, v200
	s_delay_alu instid0(VALU_DEP_1) | instskip(SKIP_1) | instid1(VALU_DEP_1)
	v_lshlrev_b16 v197, 8, v182
	v_ashrrev_i32_e32 v182, s20, v183
	v_and_b32_e32 v183, 0x3030303, v182
	v_bfe_u32 v182, v182, 24, 2
	s_delay_alu instid0(VALU_DEP_2) | instskip(NEXT) | instid1(VALU_DEP_2)
	v_lshrrev_b32_e32 v200, 16, v183
	v_sub_nc_u16 v182, v182, v203
	v_lshrrev_b16 v184, 8, v183
	s_delay_alu instid0(VALU_DEP_3) | instskip(NEXT) | instid1(VALU_DEP_3)
	v_sub_nc_u16 v200, v200, v204
	v_lshlrev_b16 v182, 8, v182
	v_sub_nc_u16 v204, v183, v185
	s_delay_alu instid0(VALU_DEP_2)
	v_bitop3_b16 v203, v200, v182, 0xff bitop3:0xec
	v_sub_nc_u16 v182, v184, v202
	ds_load_2addr_b32 v[184:185], v188 offset0:6 offset1:7
	v_lshlrev_b16 v202, 8, v182
	v_add_nc_u32_e32 v182, 0x1098, v237
	ds_load_2addr_b32 v[182:183], v182 offset1:1
	s_wait_dscnt 0x1
	v_dual_ashrrev_i32 v184, s19, v184 :: v_dual_ashrrev_i32 v185, s19, v185
	s_delay_alu instid0(VALU_DEP_1) | instskip(SKIP_2) | instid1(VALU_DEP_2)
	v_dual_lshlrev_b32 v184, 2, v184 :: v_dual_lshlrev_b32 v185, 2, v185
	s_wait_dscnt 0x0
	v_ashrrev_i32_e32 v182, s20, v182
	v_and_b32_e32 v184, 0x4040404, v184
	s_delay_alu instid0(VALU_DEP_3) | instskip(NEXT) | instid1(VALU_DEP_3)
	v_and_b32_e32 v185, 0x4040404, v185
	v_and_b32_e32 v205, 0x3030303, v182
	v_bfe_u32 v182, v182, 24, 2
	s_delay_alu instid0(VALU_DEP_4) | instskip(SKIP_1) | instid1(VALU_DEP_4)
	v_dual_lshrrev_b32 v234, 24, v184 :: v_dual_lshrrev_b32 v235, 16, v184
	v_lshrrev_b16 v188, 8, v184
	v_lshrrev_b32_e32 v213, 16, v205
	v_lshrrev_b16 v212, 8, v205
	s_delay_alu instid0(VALU_DEP_4)
	v_sub_nc_u16 v182, v182, v234
	v_lshrrev_b32_e32 v234, 16, v185
	v_sub_nc_u16 v205, v205, v184
	v_sub_nc_u16 v253, v213, v235
	v_lshrrev_b32_e32 v213, 24, v185
	v_lshlrev_b16 v182, 8, v182
	s_delay_alu instid0(VALU_DEP_1) | instskip(SKIP_2) | instid1(VALU_DEP_2)
	v_bitop3_b16 v254, v253, v182, 0xff bitop3:0xec
	v_sub_nc_u16 v182, v212, v188
	v_lshrrev_b16 v212, 8, v185
	v_lshlrev_b16 v255, 8, v182
	v_ashrrev_i32_e32 v182, s20, v183
	s_delay_alu instid0(VALU_DEP_1) | instskip(NEXT) | instid1(VALU_DEP_1)
	v_and_b32_e32 v183, 0x3030303, v182
	v_lshrrev_b32_e32 v188, 16, v183
	v_bfe_u32 v182, v182, 24, 2
	v_lshrrev_b16 v184, 8, v183
	s_set_vgpr_msb 64                       ;  msbs: dst=1 src0=0 src1=0 src2=0
	s_delay_alu instid0(VALU_DEP_3)
	v_sub_nc_u16 v0 /*v256*/, v188, v234
	s_set_vgpr_msb 0                        ;  msbs: dst=0 src0=0 src1=0 src2=0
	v_sub_nc_u16 v182, v182, v213
	v_sub_nc_u16 v213, v183, v185
	v_bfe_i32 v183, v189, 0, 8
	v_bfe_i32 v189, v252, 8, 8
	;; [unrolled: 1-line block ×3, first 2 shown]
	v_lshlrev_b16 v182, 8, v182
	s_delay_alu instid0(VALU_DEP_4) | instskip(NEXT) | instid1(VALU_DEP_4)
	v_mul_i32_i24_e32 v185, v183, v224
	v_mul_i32_i24_e32 v234, v208, v189
	v_perm_b32 v189, v192, v190, 0xc05000c
	s_set_vgpr_msb 0x41                     ;  msbs: dst=1 src0=1 src1=0 src2=0
	v_bitop3_b16 v1 /*v257*/, v0 /*v256*/, v182, 0xff bitop3:0xec
	s_set_vgpr_msb 0                        ;  msbs: dst=0 src0=0 src1=0 src2=0
	v_sub_nc_u16 v182, v184, v212
	v_bfe_i32 v184, v186, 8, 8
	v_perm_b32 v190, v191, v191, 0xc0c0c01
	v_bfe_i32 v191, v196, 0, 8
	v_bfe_i32 v192, v197, 8, 8
	s_set_vgpr_msb 64                       ;  msbs: dst=1 src0=0 src1=0 src2=0
	v_lshlrev_b16 v2 /*v258*/, 8, v182
	s_set_vgpr_msb 0                        ;  msbs: dst=0 src0=0 src1=0 src2=0
	v_mad_i32_i24 v186, v184, v225, v185
	v_perm_b32 v185, v0, v187, 0xc0c0500
	v_bfe_i32 v187, v194, 0, 8
	v_or_b32_e32 v189, v189, v190
	v_mul_i32_i24_e32 v194, v206, v188
	v_bfe_i32 v188, v195, 0, 8
	v_dot4_i32_iu8 v0, v185, v245, v186 neg_lo:[1,1,0]
	v_bfe_i32 v186, v193, 0, 8
	v_mul_i32_i24_e32 v193, v218, v187
	v_perm_b32 v190, v248, v247, 0xc0c0500
	v_add3_u32 v182, s23, v155, v146
	v_mul_i32_i24_e32 v195, v207, v188
	v_mad_i32_i24 v0, v186, v222, v0
	v_bfe_i32 v196, v255, 8, 8
	ds_load_b32 v182, v182
	v_add_nc_u32_e32 v212, s22, v25
	v_dot4_i32_iu8 v0, v189, v209, v0 neg_lo:[1,1,0]
	s_delay_alu instid0(VALU_DEP_1) | instskip(SKIP_1) | instid1(VALU_DEP_2)
	v_add3_u32 v0, v0, v193, v194
	v_mul_i32_i24_e32 v193, v191, v219
	v_dot4_i32_iu8 v0, v210, v190, v0 neg_lo:[1,1,0]
	s_delay_alu instid0(VALU_DEP_2)
	v_mad_i32_i24 v194, v192, v220, v193
	v_perm_b32 v193, v201, v198, 0xc0c0500
	v_perm_b32 v190, v251, v250, 0xc0c0500
	v_mul_i32_i24_e32 v201, v214, v196
	v_add3_u32 v0, v0, v195, v234
	v_bfe_i32 v196, v213, 0, 8
	v_dot4_i32_iu8 v197, v193, v246, v194 neg_lo:[1,1,0]
	v_bfe_i32 v194, v204, 0, 8
	v_bfe_i32 v195, v205, 0, 8
	v_dot4_i32_iu8 v0, v211, v190, v0 neg_lo:[1,1,0]
	ds_load_u16 v190, v212
	s_set_vgpr_msb 1                        ;  msbs: dst=0 src0=1 src1=0 src2=0
	v_bfe_i32 v204, v2 /*v258*/, 8, 8
	s_set_vgpr_msb 0                        ;  msbs: dst=0 src0=0 src1=0 src2=0
	v_mad_i32_i24 v213, v194, v215, v197
	v_perm_b32 v197, v203, v200, 0xc05000c
	v_perm_b32 v200, v202, v202, 0xc0c0c01
	v_mul_i32_i24_e32 v198, v114, v195
	v_mul_i32_i24_e32 v205, v199, v196
	;; [unrolled: 1-line block ×3, first 2 shown]
	s_delay_alu instid0(VALU_DEP_4) | instskip(NEXT) | instid1(VALU_DEP_1)
	v_or_b32_e32 v197, v197, v200
	v_dot4_i32_iu8 v200, v197, v221, v213 neg_lo:[1,1,0]
	s_delay_alu instid0(VALU_DEP_1) | instskip(SKIP_4) | instid1(VALU_DEP_3)
	v_add3_u32 v198, v200, v198, v201
	v_perm_b32 v200, v254, v253, 0xc0c0500
	s_wait_dscnt 0x0
	v_lshrrev_b16 v212, 8, v190
	v_bfe_i32 v190, v190, 0, 8
	v_dot4_i32_iu8 v198, v232, v200, v198 neg_lo:[1,1,0]
	s_set_vgpr_msb 5                        ;  msbs: dst=0 src0=1 src1=1 src2=0
	v_perm_b32 v200, v1 /*v257*/, v0 /*v256*/, 0xc0c0500
	s_set_vgpr_msb 0                        ;  msbs: dst=0 src0=0 src1=0 src2=0
	v_mul_lo_u32 v0, v0, v190
	v_add3_u32 v198, v198, v205, v204
	s_delay_alu instid0(VALU_DEP_1) | instskip(SKIP_2) | instid1(VALU_DEP_2)
	v_dot4_i32_iu8 v200, v233, v200, v198 neg_lo:[1,1,0]
	v_bfe_i32 v198, v212, 0, 8
	v_add3_u32 v212, s21, v156, v147
	v_mad_u32 v0, v200, v198, v0
	v_mul_f32_e32 v200, v115, v182
	ds_load_2addr_b32 v[202:203], v212 offset1:1
	v_cvt_f32_i32_e32 v0, v0
	s_delay_alu instid0(VALU_DEP_1) | instskip(SKIP_4) | instid1(VALU_DEP_1)
	v_mul_f32_e32 v236, v200, v0
	v_add_nc_u32_e32 v0, 0x2100, v237
	ds_load_2addr_b32 v[200:201], v0 offset1:1
	s_wait_dscnt 0x1
	v_dual_ashrrev_i32 v202, s19, v202 :: v_dual_ashrrev_i32 v203, s19, v203
	v_dual_lshlrev_b32 v202, 2, v202 :: v_dual_lshlrev_b32 v203, 2, v203
	s_delay_alu instid0(VALU_DEP_1) | instskip(NEXT) | instid1(VALU_DEP_2)
	v_and_b32_e32 v202, 0x4040404, v202
	v_and_b32_e32 v203, 0x4040404, v203
	s_delay_alu instid0(VALU_DEP_2) | instskip(SKIP_2) | instid1(VALU_DEP_3)
	v_lshrrev_b16 v213, 8, v202
	v_dual_lshrrev_b32 v234, 24, v202 :: v_dual_lshrrev_b32 v235, 16, v202
	s_wait_dscnt 0x0
	v_dual_lshrrev_b32 v238, 24, v203 :: v_dual_ashrrev_i32 v0, s20, v200
	s_set_vgpr_msb 64                       ;  msbs: dst=1 src0=0 src1=0 src2=0
	v_lshrrev_b32_e32 v3 /*v259*/, 16, v203
	s_set_vgpr_msb 0                        ;  msbs: dst=0 src0=0 src1=0 src2=0
	s_delay_alu instid0(VALU_DEP_2) | instskip(NEXT) | instid1(VALU_DEP_1)
	v_and_b32_e32 v200, 0x3030303, v0
	v_lshrrev_b16 v204, 8, v200
	v_lshrrev_b32_e32 v205, 16, v200
	v_bfe_u32 v0, v0, 24, 2
	s_delay_alu instid0(VALU_DEP_3) | instskip(SKIP_2) | instid1(VALU_DEP_4)
	v_sub_nc_u16 v204, v204, v213
	v_sub_nc_u16 v213, v200, v202
	v_ashrrev_i32_e32 v200, s20, v201
	v_sub_nc_u16 v0, v0, v234
	v_sub_nc_u16 v205, v205, v235
	v_lshrrev_b16 v235, 8, v203
	v_lshlrev_b16 v204, 8, v204
	v_and_b32_e32 v201, 0x3030303, v200
	v_bfe_u32 v200, v200, 24, 2
	v_lshlrev_b16 v0, 8, v0
	s_delay_alu instid0(VALU_DEP_3) | instskip(NEXT) | instid1(VALU_DEP_3)
	v_lshrrev_b32_e32 v234, 16, v201
	v_sub_nc_u16 v200, v200, v238
	v_lshrrev_b16 v202, 8, v201
	s_delay_alu instid0(VALU_DEP_4)
	v_bitop3_b16 v0, v205, v0, 0xff bitop3:0xec
	s_set_vgpr_msb 4                        ;  msbs: dst=0 src0=0 src1=1 src2=0
	v_sub_nc_u16 v234, v234, v3 /*v259*/
	s_set_vgpr_msb 0                        ;  msbs: dst=0 src0=0 src1=0 src2=0
	v_lshlrev_b16 v200, 8, v200
	s_set_vgpr_msb 64                       ;  msbs: dst=1 src0=0 src1=0 src2=0
	v_sub_nc_u16 v3 /*v259*/, v201, v203
	s_set_vgpr_msb 0                        ;  msbs: dst=0 src0=0 src1=0 src2=0
	s_delay_alu instid0(VALU_DEP_2)
	v_bitop3_b16 v238, v234, v200, 0xff bitop3:0xec
	v_sub_nc_u16 v200, v202, v235
	ds_load_2addr_b32 v[202:203], v212 offset0:2 offset1:3
	v_lshlrev_b16 v235, 8, v200
	v_add_nc_u32_e32 v200, 0x2108, v237
	ds_load_2addr_b32 v[200:201], v200 offset1:1
	s_wait_dscnt 0x1
	v_dual_ashrrev_i32 v202, s19, v202 :: v_dual_ashrrev_i32 v203, s19, v203
	s_delay_alu instid0(VALU_DEP_1) | instskip(SKIP_2) | instid1(VALU_DEP_2)
	v_dual_lshlrev_b32 v202, 2, v202 :: v_dual_lshlrev_b32 v203, 2, v203
	s_wait_dscnt 0x0
	v_ashrrev_i32_e32 v200, s20, v200
	v_and_b32_e32 v202, 0x4040404, v202
	s_delay_alu instid0(VALU_DEP_3) | instskip(SKIP_1) | instid1(VALU_DEP_3)
	v_and_b32_e32 v203, 0x4040404, v203
	s_set_vgpr_msb 64                       ;  msbs: dst=1 src0=0 src1=0 src2=0
	v_and_b32_e32 v4 /*v260*/, 0x3030303, v200
	s_set_vgpr_msb 0                        ;  msbs: dst=0 src0=0 src1=0 src2=0
	v_bfe_u32 v200, v200, 24, 2
	s_set_vgpr_msb 64                       ;  msbs: dst=1 src0=0 src1=0 src2=0
	v_dual_lshrrev_b32 v8 /*v264*/, 24, v202 :: v_dual_lshrrev_b32 v9 /*v265*/, 16, v202
	v_lshrrev_b16 v7 /*v263*/, 8, v202
	s_set_vgpr_msb 0x44                     ;  msbs: dst=1 src0=0 src1=1 src2=0
	v_lshrrev_b32_e32 v6 /*v262*/, 16, v4 /*v260*/
	v_lshrrev_b16 v5 /*v261*/, 8, v4 /*v260*/
	s_set_vgpr_msb 4                        ;  msbs: dst=0 src0=0 src1=1 src2=0
	v_sub_nc_u16 v200, v200, v8 /*v264*/
	s_set_vgpr_msb 64                       ;  msbs: dst=1 src0=0 src1=0 src2=0
	v_dual_lshrrev_b32 v10 /*v266*/, 24, v203 :: v_dual_lshrrev_b32 v11 /*v267*/, 16, v203
	s_set_vgpr_msb 0x45                     ;  msbs: dst=1 src0=1 src1=1 src2=0
	v_sub_nc_u16 v6 /*v262*/, v6 /*v262*/, v9 /*v265*/
	s_set_vgpr_msb 0x41                     ;  msbs: dst=1 src0=1 src1=0 src2=0
	v_sub_nc_u16 v4 /*v260*/, v4 /*v260*/, v202
	s_set_vgpr_msb 0                        ;  msbs: dst=0 src0=0 src1=0 src2=0
	v_lshlrev_b16 v200, 8, v200
	s_set_vgpr_msb 0x41                     ;  msbs: dst=1 src0=1 src1=0 src2=0
	v_lshrrev_b16 v9 /*v265*/, 8, v203
	s_delay_alu instid0(VALU_DEP_2) | instskip(SKIP_3) | instid1(VALU_DEP_1)
	v_bitop3_b16 v8 /*v264*/, v6 /*v262*/, v200, 0xff bitop3:0xec
	s_set_vgpr_msb 5                        ;  msbs: dst=0 src0=1 src1=1 src2=0
	v_sub_nc_u16 v200, v5 /*v261*/, v7 /*v263*/
	s_set_vgpr_msb 64                       ;  msbs: dst=1 src0=0 src1=0 src2=0
	v_lshlrev_b16 v5 /*v261*/, 8, v200
	s_set_vgpr_msb 0                        ;  msbs: dst=0 src0=0 src1=0 src2=0
	v_ashrrev_i32_e32 v200, s20, v201
	s_delay_alu instid0(VALU_DEP_1) | instskip(SKIP_2) | instid1(VALU_DEP_2)
	v_and_b32_e32 v201, 0x3030303, v200
	v_bfe_u32 v200, v200, 24, 2
	s_set_vgpr_msb 64                       ;  msbs: dst=1 src0=0 src1=0 src2=0
	v_lshrrev_b32_e32 v7 /*v263*/, 16, v201
	s_set_vgpr_msb 4                        ;  msbs: dst=0 src0=0 src1=1 src2=0
	s_delay_alu instid0(VALU_DEP_2)
	v_sub_nc_u16 v200, v200, v10 /*v266*/
	s_set_vgpr_msb 0                        ;  msbs: dst=0 src0=0 src1=0 src2=0
	v_lshrrev_b16 v202, 8, v201
	s_set_vgpr_msb 0x45                     ;  msbs: dst=1 src0=1 src1=1 src2=0
	v_sub_nc_u16 v7 /*v263*/, v7 /*v263*/, v11 /*v267*/
	s_set_vgpr_msb 0                        ;  msbs: dst=0 src0=0 src1=0 src2=0
	v_lshlrev_b16 v200, 8, v200
	s_set_vgpr_msb 64                       ;  msbs: dst=1 src0=0 src1=0 src2=0
	v_sub_nc_u16 v11 /*v267*/, v201, v203
	s_set_vgpr_msb 0x41                     ;  msbs: dst=1 src0=1 src1=0 src2=0
	s_delay_alu instid0(VALU_DEP_2)
	v_bitop3_b16 v10 /*v266*/, v7 /*v263*/, v200, 0xff bitop3:0xec
	s_set_vgpr_msb 4                        ;  msbs: dst=0 src0=0 src1=1 src2=0
	v_sub_nc_u16 v200, v202, v9 /*v265*/
	ds_load_2addr_b32 v[202:203], v212 offset0:4 offset1:5
	s_set_vgpr_msb 64                       ;  msbs: dst=1 src0=0 src1=0 src2=0
	v_lshlrev_b16 v9 /*v265*/, 8, v200
	s_set_vgpr_msb 0                        ;  msbs: dst=0 src0=0 src1=0 src2=0
	v_add_nc_u32_e32 v200, 0x2110, v237
	ds_load_2addr_b32 v[200:201], v200 offset1:1
	s_wait_dscnt 0x1
	v_dual_ashrrev_i32 v202, s19, v202 :: v_dual_ashrrev_i32 v203, s19, v203
	s_delay_alu instid0(VALU_DEP_1) | instskip(SKIP_2) | instid1(VALU_DEP_2)
	v_dual_lshlrev_b32 v202, 2, v202 :: v_dual_lshlrev_b32 v203, 2, v203
	s_wait_dscnt 0x0
	v_ashrrev_i32_e32 v200, s20, v200
	v_and_b32_e32 v202, 0x4040404, v202
	s_delay_alu instid0(VALU_DEP_3) | instskip(SKIP_1) | instid1(VALU_DEP_3)
	v_and_b32_e32 v203, 0x4040404, v203
	s_set_vgpr_msb 64                       ;  msbs: dst=1 src0=0 src1=0 src2=0
	v_and_b32_e32 v12 /*v268*/, 0x3030303, v200
	s_set_vgpr_msb 0                        ;  msbs: dst=0 src0=0 src1=0 src2=0
	v_bfe_u32 v200, v200, 24, 2
	s_set_vgpr_msb 64                       ;  msbs: dst=1 src0=0 src1=0 src2=0
	v_dual_lshrrev_b32 v16 /*v272*/, 24, v202 :: v_dual_lshrrev_b32 v17 /*v273*/, 16, v202
	v_lshrrev_b16 v15 /*v271*/, 8, v202
	s_set_vgpr_msb 0x44                     ;  msbs: dst=1 src0=0 src1=1 src2=0
	v_lshrrev_b32_e32 v14 /*v270*/, 16, v12 /*v268*/
	v_lshrrev_b16 v13 /*v269*/, 8, v12 /*v268*/
	s_set_vgpr_msb 4                        ;  msbs: dst=0 src0=0 src1=1 src2=0
	v_sub_nc_u16 v200, v200, v16 /*v272*/
	s_set_vgpr_msb 64                       ;  msbs: dst=1 src0=0 src1=0 src2=0
	v_dual_lshrrev_b32 v18 /*v274*/, 24, v203 :: v_dual_lshrrev_b32 v19 /*v275*/, 16, v203
	s_set_vgpr_msb 0x45                     ;  msbs: dst=1 src0=1 src1=1 src2=0
	v_sub_nc_u16 v14 /*v270*/, v14 /*v270*/, v17 /*v273*/
	s_set_vgpr_msb 0x41                     ;  msbs: dst=1 src0=1 src1=0 src2=0
	v_sub_nc_u16 v12 /*v268*/, v12 /*v268*/, v202
	s_set_vgpr_msb 0                        ;  msbs: dst=0 src0=0 src1=0 src2=0
	v_lshlrev_b16 v200, 8, v200
	s_set_vgpr_msb 0x41                     ;  msbs: dst=1 src0=1 src1=0 src2=0
	v_lshrrev_b16 v17 /*v273*/, 8, v203
	s_delay_alu instid0(VALU_DEP_2) | instskip(SKIP_3) | instid1(VALU_DEP_1)
	v_bitop3_b16 v16 /*v272*/, v14 /*v270*/, v200, 0xff bitop3:0xec
	s_set_vgpr_msb 5                        ;  msbs: dst=0 src0=1 src1=1 src2=0
	v_sub_nc_u16 v200, v13 /*v269*/, v15 /*v271*/
	s_set_vgpr_msb 64                       ;  msbs: dst=1 src0=0 src1=0 src2=0
	v_lshlrev_b16 v13 /*v269*/, 8, v200
	s_set_vgpr_msb 0                        ;  msbs: dst=0 src0=0 src1=0 src2=0
	v_ashrrev_i32_e32 v200, s20, v201
	s_delay_alu instid0(VALU_DEP_1) | instskip(SKIP_2) | instid1(VALU_DEP_2)
	v_and_b32_e32 v201, 0x3030303, v200
	v_bfe_u32 v200, v200, 24, 2
	s_set_vgpr_msb 64                       ;  msbs: dst=1 src0=0 src1=0 src2=0
	v_lshrrev_b32_e32 v15 /*v271*/, 16, v201
	s_set_vgpr_msb 4                        ;  msbs: dst=0 src0=0 src1=1 src2=0
	s_delay_alu instid0(VALU_DEP_2)
	v_sub_nc_u16 v200, v200, v18 /*v274*/
	s_set_vgpr_msb 0                        ;  msbs: dst=0 src0=0 src1=0 src2=0
	v_lshrrev_b16 v202, 8, v201
	s_set_vgpr_msb 0x45                     ;  msbs: dst=1 src0=1 src1=1 src2=0
	v_sub_nc_u16 v15 /*v271*/, v15 /*v271*/, v19 /*v275*/
	s_set_vgpr_msb 0                        ;  msbs: dst=0 src0=0 src1=0 src2=0
	v_lshlrev_b16 v200, 8, v200
	s_set_vgpr_msb 64                       ;  msbs: dst=1 src0=0 src1=0 src2=0
	v_sub_nc_u16 v19 /*v275*/, v201, v203
	s_set_vgpr_msb 0x41                     ;  msbs: dst=1 src0=1 src1=0 src2=0
	s_delay_alu instid0(VALU_DEP_2)
	v_bitop3_b16 v18 /*v274*/, v15 /*v271*/, v200, 0xff bitop3:0xec
	s_set_vgpr_msb 4                        ;  msbs: dst=0 src0=0 src1=1 src2=0
	v_sub_nc_u16 v200, v202, v17 /*v273*/
	ds_load_2addr_b32 v[202:203], v212 offset0:6 offset1:7
	s_set_vgpr_msb 64                       ;  msbs: dst=1 src0=0 src1=0 src2=0
	v_lshlrev_b16 v17 /*v273*/, 8, v200
	s_set_vgpr_msb 0                        ;  msbs: dst=0 src0=0 src1=0 src2=0
	v_add_nc_u32_e32 v200, 0x2118, v237
	ds_load_2addr_b32 v[200:201], v200 offset1:1
	s_wait_dscnt 0x1
	v_dual_ashrrev_i32 v202, s19, v202 :: v_dual_ashrrev_i32 v203, s19, v203
	s_delay_alu instid0(VALU_DEP_1) | instskip(SKIP_2) | instid1(VALU_DEP_2)
	v_dual_lshlrev_b32 v202, 2, v202 :: v_dual_lshlrev_b32 v203, 2, v203
	s_wait_dscnt 0x0
	v_ashrrev_i32_e32 v200, s20, v200
	v_and_b32_e32 v202, 0x4040404, v202
	s_delay_alu instid0(VALU_DEP_3) | instskip(SKIP_1) | instid1(VALU_DEP_3)
	v_and_b32_e32 v203, 0x4040404, v203
	s_set_vgpr_msb 64                       ;  msbs: dst=1 src0=0 src1=0 src2=0
	v_and_b32_e32 v20 /*v276*/, 0x3030303, v200
	s_set_vgpr_msb 0                        ;  msbs: dst=0 src0=0 src1=0 src2=0
	v_bfe_u32 v200, v200, 24, 2
	s_set_vgpr_msb 64                       ;  msbs: dst=1 src0=0 src1=0 src2=0
	v_dual_lshrrev_b32 v23 /*v279*/, 24, v202 :: v_dual_lshrrev_b32 v24 /*v280*/, 16, v202
	v_lshrrev_b32_e32 v25 /*v281*/, 24, v203
	s_set_vgpr_msb 0x44                     ;  msbs: dst=1 src0=0 src1=1 src2=0
	v_lshrrev_b32_e32 v22 /*v278*/, 16, v20 /*v276*/
	v_lshrrev_b16 v21 /*v277*/, 8, v20 /*v276*/
	s_set_vgpr_msb 4                        ;  msbs: dst=0 src0=0 src1=1 src2=0
	v_sub_nc_u16 v200, v200, v23 /*v279*/
	s_set_vgpr_msb 0                        ;  msbs: dst=0 src0=0 src1=0 src2=0
	v_lshrrev_b16 v212, 8, v202
	s_set_vgpr_msb 0x41                     ;  msbs: dst=1 src0=1 src1=0 src2=0
	v_sub_nc_u16 v20 /*v276*/, v20 /*v276*/, v202
	s_set_vgpr_msb 0x45                     ;  msbs: dst=1 src0=1 src1=1 src2=0
	v_sub_nc_u16 v22 /*v278*/, v22 /*v278*/, v24 /*v280*/
	s_set_vgpr_msb 64                       ;  msbs: dst=1 src0=0 src1=0 src2=0
	v_lshrrev_b32_e32 v26 /*v282*/, 16, v203
	s_set_vgpr_msb 0                        ;  msbs: dst=0 src0=0 src1=0 src2=0
	v_lshlrev_b16 v200, 8, v200
	s_set_vgpr_msb 0x41                     ;  msbs: dst=1 src0=1 src1=0 src2=0
	v_lshrrev_b16 v24 /*v280*/, 8, v203
	s_delay_alu instid0(VALU_DEP_2) | instskip(SKIP_3) | instid1(VALU_DEP_1)
	v_bitop3_b16 v23 /*v279*/, v22 /*v278*/, v200, 0xff bitop3:0xec
	s_set_vgpr_msb 1                        ;  msbs: dst=0 src0=1 src1=0 src2=0
	v_sub_nc_u16 v200, v21 /*v277*/, v212
	s_set_vgpr_msb 64                       ;  msbs: dst=1 src0=0 src1=0 src2=0
	v_lshlrev_b16 v21 /*v277*/, 8, v200
	s_set_vgpr_msb 0                        ;  msbs: dst=0 src0=0 src1=0 src2=0
	v_ashrrev_i32_e32 v200, s20, v201
	s_delay_alu instid0(VALU_DEP_1) | instskip(SKIP_1) | instid1(VALU_DEP_2)
	v_and_b32_e32 v201, 0x3030303, v200
	v_bfe_u32 v200, v200, 24, 2
	v_lshrrev_b16 v202, 8, v201
	v_lshrrev_b32_e32 v212, 16, v201
	s_set_vgpr_msb 64                       ;  msbs: dst=1 src0=0 src1=0 src2=0
	v_sub_nc_u16 v27 /*v283*/, v201, v203
	s_set_vgpr_msb 0                        ;  msbs: dst=0 src0=0 src1=0 src2=0
	v_bfe_i32 v201, v213, 0, 8
	s_set_vgpr_msb 1                        ;  msbs: dst=0 src0=1 src1=0 src2=0
	v_bfe_i32 v213, v5 /*v261*/, 8, 8
	s_set_vgpr_msb 4                        ;  msbs: dst=0 src0=0 src1=1 src2=0
	v_sub_nc_u16 v200, v200, v25 /*v281*/
	s_set_vgpr_msb 0                        ;  msbs: dst=0 src0=0 src1=0 src2=0
	v_mul_i32_i24_e32 v203, v201, v224
	v_mul_i32_i24_e32 v213, v206, v213
	s_set_vgpr_msb 1                        ;  msbs: dst=0 src0=1 src1=0 src2=0
	v_bfe_i32 v206, v11 /*v267*/, 0, 8
	v_lshlrev_b16 v200, 8, v200
	s_set_vgpr_msb 64                       ;  msbs: dst=1 src0=0 src1=0 src2=0
	s_delay_alu instid0(VALU_DEP_2)
	v_mul_i32_i24_e32 v11 /*v267*/, v207, v206
	s_set_vgpr_msb 0                        ;  msbs: dst=0 src0=0 src1=0 src2=0
	v_perm_b32 v207, v238, v234, 0xc05000c
	v_perm_b32 v234, v235, v235, 0xc0c0c01
	s_set_vgpr_msb 1                        ;  msbs: dst=0 src0=1 src1=0 src2=0
	v_bfe_i32 v238, v21 /*v277*/, 8, 8
	s_set_vgpr_msb 0                        ;  msbs: dst=0 src0=0 src1=0 src2=0
	s_delay_alu instid0(VALU_DEP_2)
	v_or_b32_e32 v207, v207, v234
	s_set_vgpr_msb 0x44                     ;  msbs: dst=1 src0=0 src1=1 src2=0
	v_sub_nc_u16 v26 /*v282*/, v212, v26 /*v282*/
	s_set_vgpr_msb 0                        ;  msbs: dst=0 src0=0 src1=0 src2=0
	v_add_nc_u32_e32 v212, s22, v27
	v_mul_i32_i24_e32 v238, v214, v238
	s_set_vgpr_msb 1                        ;  msbs: dst=0 src0=1 src1=0 src2=0
	v_bfe_i32 v214, v27 /*v283*/, 0, 8
	s_set_vgpr_msb 0x41                     ;  msbs: dst=1 src0=1 src1=0 src2=0
	v_bitop3_b16 v25 /*v281*/, v26 /*v282*/, v200, 0xff bitop3:0xec
	s_set_vgpr_msb 4                        ;  msbs: dst=0 src0=0 src1=1 src2=0
	v_sub_nc_u16 v200, v202, v24 /*v280*/
	v_bfe_i32 v202, v204, 8, 8
	s_set_vgpr_msb 64                       ;  msbs: dst=1 src0=0 src1=0 src2=0
	s_delay_alu instid0(VALU_DEP_2) | instskip(SKIP_1) | instid1(VALU_DEP_2)
	v_lshlrev_b16 v24 /*v280*/, 8, v200
	s_set_vgpr_msb 0                        ;  msbs: dst=0 src0=0 src1=0 src2=0
	v_mad_i32_i24 v204, v202, v225, v203
	v_perm_b32 v203, v0, v205, 0xc0c0500
	s_set_vgpr_msb 1                        ;  msbs: dst=0 src0=1 src1=0 src2=0
	v_bfe_i32 v205, v4 /*v260*/, 0, 8
	s_set_vgpr_msb 0x41                     ;  msbs: dst=1 src0=1 src1=0 src2=0
	v_bfe_i32 v4 /*v260*/, v9 /*v265*/, 8, 8
	s_set_vgpr_msb 0                        ;  msbs: dst=0 src0=0 src1=0 src2=0
	v_add3_u32 v200, s23, v157, v148
	v_dot4_i32_iu8 v0, v203, v245, v204 neg_lo:[1,1,0]
	s_set_vgpr_msb 1                        ;  msbs: dst=0 src0=1 src1=0 src2=0
	v_bfe_i32 v204, v3 /*v259*/, 0, 8
	s_set_vgpr_msb 64                       ;  msbs: dst=1 src0=0 src1=0 src2=0
	v_mul_i32_i24_e32 v3 /*v259*/, v218, v205
	s_set_vgpr_msb 4                        ;  msbs: dst=0 src0=0 src1=1 src2=0
	v_mul_i32_i24_e32 v208, v208, v4 /*v260*/
	ds_load_b32 v200, v200
	s_set_vgpr_msb 0x41                     ;  msbs: dst=1 src0=1 src1=0 src2=0
	v_bfe_i32 v4 /*v260*/, v24 /*v280*/, 8, 8
	s_set_vgpr_msb 0                        ;  msbs: dst=0 src0=0 src1=0 src2=0
	v_mad_i32_i24 v0, v204, v222, v0
	s_set_vgpr_msb 0x44                     ;  msbs: dst=1 src0=0 src1=1 src2=0
	s_delay_alu instid0(VALU_DEP_2) | instskip(SKIP_1) | instid1(VALU_DEP_2)
	v_mul_i32_i24_e32 v4 /*v260*/, v217, v4 /*v260*/
	s_set_vgpr_msb 0                        ;  msbs: dst=0 src0=0 src1=0 src2=0
	v_dot4_i32_iu8 v0, v207, v209, v0 neg_lo:[1,1,0]
	s_set_vgpr_msb 5                        ;  msbs: dst=0 src0=1 src1=1 src2=0
	v_perm_b32 v209, v8 /*v264*/, v6 /*v262*/, 0xc0c0500
	v_perm_b32 v217, v18 /*v274*/, v15 /*v271*/, 0xc05000c
	s_set_vgpr_msb 4                        ;  msbs: dst=0 src0=0 src1=1 src2=0
	v_add3_u32 v0, v0, v3 /*v259*/, v213
	s_set_vgpr_msb 1                        ;  msbs: dst=0 src0=1 src1=0 src2=0
	v_bfe_i32 v213, v20 /*v276*/, 0, 8
	s_set_vgpr_msb 0                        ;  msbs: dst=0 src0=0 src1=0 src2=0
	s_delay_alu instid0(VALU_DEP_2)
	v_dot4_i32_iu8 v0, v210, v209, v0 neg_lo:[1,1,0]
	s_set_vgpr_msb 1                        ;  msbs: dst=0 src0=1 src1=0 src2=0
	v_bfe_i32 v209, v12 /*v268*/, 0, 8
	v_bfe_i32 v210, v13 /*v269*/, 8, 8
	s_set_vgpr_msb 0x45                     ;  msbs: dst=1 src0=1 src1=1 src2=0
	v_perm_b32 v12 /*v268*/, v17 /*v273*/, v17 /*v273*/, 0xc0c0c01
	s_set_vgpr_msb 64                       ;  msbs: dst=1 src0=0 src1=0 src2=0
	v_mul_i32_i24_e32 v3 /*v259*/, v114, v213
	s_set_vgpr_msb 4                        ;  msbs: dst=0 src0=0 src1=1 src2=0
	v_add3_u32 v0, v0, v11 /*v267*/, v208
	s_set_vgpr_msb 5                        ;  msbs: dst=0 src0=1 src1=1 src2=0
	v_perm_b32 v208, v10 /*v266*/, v7 /*v263*/, 0xc0c0500
	s_set_vgpr_msb 64                       ;  msbs: dst=1 src0=0 src1=0 src2=0
	v_mul_i32_i24_e32 v11 /*v267*/, v199, v214
	s_set_vgpr_msb 4                        ;  msbs: dst=0 src0=0 src1=1 src2=0
	v_or_b32_e32 v217, v217, v12 /*v268*/
	s_set_vgpr_msb 0                        ;  msbs: dst=0 src0=0 src1=0 src2=0
	v_dot4_i32_iu8 v0, v211, v208, v0 neg_lo:[1,1,0]
	v_mul_i32_i24_e32 v211, v209, v219
	ds_load_u16 v208, v212
	v_mad_i32_i24 v212, v210, v220, v211
	s_set_vgpr_msb 5                        ;  msbs: dst=0 src0=1 src1=1 src2=0
	v_perm_b32 v211, v16 /*v272*/, v14 /*v270*/, 0xc0c0500
	s_set_vgpr_msb 0                        ;  msbs: dst=0 src0=0 src1=0 src2=0
	s_delay_alu instid0(VALU_DEP_1) | instskip(SKIP_3) | instid1(VALU_DEP_1)
	v_dot4_i32_iu8 v235, v211, v246, v212 neg_lo:[1,1,0]
	s_set_vgpr_msb 1                        ;  msbs: dst=0 src0=1 src1=0 src2=0
	v_bfe_i32 v212, v19 /*v275*/, 0, 8
	s_set_vgpr_msb 0                        ;  msbs: dst=0 src0=0 src1=0 src2=0
	v_mad_i32_i24 v235, v212, v215, v235
	s_wait_dscnt 0x0
	v_lshrrev_b16 v234, 8, v208
	s_delay_alu instid0(VALU_DEP_2)
	v_dot4_i32_iu8 v221, v217, v221, v235 neg_lo:[1,1,0]
	s_set_vgpr_msb 5                        ;  msbs: dst=0 src0=1 src1=1 src2=0
	v_perm_b32 v235, v23 /*v279*/, v22 /*v278*/, 0xc0c0500
	s_set_vgpr_msb 4                        ;  msbs: dst=0 src0=0 src1=1 src2=0
	v_bfe_i32 v208, v208, 0, 8
	v_add3_u32 v221, v221, v3 /*v259*/, v238
	s_set_vgpr_msb 0                        ;  msbs: dst=0 src0=0 src1=0 src2=0
	s_delay_alu instid0(VALU_DEP_2) | instskip(NEXT) | instid1(VALU_DEP_2)
	v_mul_lo_u32 v0, v0, v208
	v_dot4_i32_iu8 v221, v232, v235, v221 neg_lo:[1,1,0]
	s_set_vgpr_msb 5                        ;  msbs: dst=0 src0=1 src1=1 src2=0
	v_perm_b32 v232, v25 /*v281*/, v26 /*v282*/, 0xc0c0500
	s_set_vgpr_msb 20                       ;  msbs: dst=0 src0=0 src1=1 src2=1
	s_delay_alu instid0(VALU_DEP_2) | instskip(SKIP_3) | instid1(VALU_DEP_2)
	v_add3_u32 v221, v221, v11 /*v267*/, v4 /*v260*/
	s_set_vgpr_msb 64                       ;  msbs: dst=1 src0=0 src1=0 src2=0
	v_add3_u32 v11 /*v267*/, s21, v158, v149
	s_set_vgpr_msb 0                        ;  msbs: dst=0 src0=0 src1=0 src2=0
	v_dot4_i32_iu8 v232, v233, v232, v221 neg_lo:[1,1,0]
	v_bfe_i32 v221, v234, 0, 8
	s_set_vgpr_msb 1                        ;  msbs: dst=0 src0=1 src1=0 src2=0
	ds_load_2addr_b32 v[234:235], v11 /*v267*/ offset1:1
	s_set_vgpr_msb 0                        ;  msbs: dst=0 src0=0 src1=0 src2=0
	v_mad_u32 v0, v232, v221, v0
	v_mul_f32_e32 v232, v115, v200
	s_delay_alu instid0(VALU_DEP_2) | instskip(NEXT) | instid1(VALU_DEP_1)
	v_cvt_f32_i32_e32 v0, v0
	v_mul_f32_e32 v238, v232, v0
	v_add_nc_u32_e32 v0, 0x3180, v237
	s_wait_dscnt 0x0
	v_ashrrev_i32_e32 v235, s19, v235
	ds_load_2addr_b32 v[232:233], v0 offset1:1
	v_dual_ashrrev_i32 v234, s19, v234 :: v_dual_lshlrev_b32 v235, 2, v235
	s_delay_alu instid0(VALU_DEP_1) | instskip(NEXT) | instid1(VALU_DEP_2)
	v_lshlrev_b32_e32 v234, 2, v234
	v_and_b32_e32 v235, 0x4040404, v235
	s_delay_alu instid0(VALU_DEP_2) | instskip(SKIP_1) | instid1(VALU_DEP_2)
	v_and_b32_e32 v234, 0x4040404, v234
	s_set_vgpr_msb 64                       ;  msbs: dst=1 src0=0 src1=0 src2=0
	v_dual_lshrrev_b32 v15 /*v271*/, 24, v235 :: v_dual_lshrrev_b32 v16 /*v272*/, 16, v235
	s_delay_alu instid0(VALU_DEP_2) | instskip(SKIP_4) | instid1(VALU_DEP_1)
	v_dual_lshrrev_b32 v13 /*v269*/, 24, v234 :: v_dual_lshrrev_b32 v14 /*v270*/, 16, v234
	v_lshrrev_b16 v12 /*v268*/, 8, v234
	s_wait_dscnt 0x0
	s_set_vgpr_msb 0                        ;  msbs: dst=0 src0=0 src1=0 src2=0
	v_ashrrev_i32_e32 v0, s20, v232
	v_and_b32_e32 v232, 0x3030303, v0
	v_bfe_u32 v0, v0, 24, 2
	s_set_vgpr_msb 64                       ;  msbs: dst=1 src0=0 src1=0 src2=0
	s_delay_alu instid0(VALU_DEP_2) | instskip(SKIP_1) | instid1(VALU_DEP_2)
	v_lshrrev_b32_e32 v4 /*v260*/, 16, v232
	s_set_vgpr_msb 4                        ;  msbs: dst=0 src0=0 src1=1 src2=0
	v_sub_nc_u16 v0, v0, v13 /*v269*/
	s_set_vgpr_msb 64                       ;  msbs: dst=1 src0=0 src1=0 src2=0
	v_lshrrev_b16 v3 /*v259*/, 8, v232
	s_set_vgpr_msb 0x45                     ;  msbs: dst=1 src0=1 src1=1 src2=0
	v_sub_nc_u16 v4 /*v260*/, v4 /*v260*/, v14 /*v270*/
	s_set_vgpr_msb 0                        ;  msbs: dst=0 src0=0 src1=0 src2=0
	v_lshlrev_b16 v0, 8, v0
	s_set_vgpr_msb 64                       ;  msbs: dst=1 src0=0 src1=0 src2=0
	v_sub_nc_u16 v14 /*v270*/, v232, v234
	s_set_vgpr_msb 0x41                     ;  msbs: dst=1 src0=1 src1=0 src2=0
	s_delay_alu instid0(VALU_DEP_2)
	v_bitop3_b16 v13 /*v269*/, v4 /*v260*/, v0, 0xff bitop3:0xec
	s_set_vgpr_msb 5                        ;  msbs: dst=0 src0=1 src1=1 src2=0
	v_sub_nc_u16 v0, v3 /*v259*/, v12 /*v268*/
	s_set_vgpr_msb 0x41                     ;  msbs: dst=1 src0=1 src1=0 src2=0
	v_lshrrev_b16 v12 /*v268*/, 8, v235
	v_bfe_i32 v14 /*v270*/, v14 /*v270*/, 0, 8
	s_set_vgpr_msb 0x45                     ;  msbs: dst=1 src0=1 src1=1 src2=0
	v_perm_b32 v4 /*v260*/, v13 /*v269*/, v4 /*v260*/, 0xc0c0500
	s_set_vgpr_msb 64                       ;  msbs: dst=1 src0=0 src1=0 src2=0
	v_lshlrev_b16 v3 /*v259*/, 8, v0
	s_set_vgpr_msb 0                        ;  msbs: dst=0 src0=0 src1=0 src2=0
	v_ashrrev_i32_e32 v0, s20, v233
	s_set_vgpr_msb 4                        ;  msbs: dst=0 src0=0 src1=1 src2=0
	v_mul_i32_i24_e32 v224, v224, v14 /*v270*/
	s_set_vgpr_msb 0x41                     ;  msbs: dst=1 src0=1 src1=0 src2=0
	v_bfe_i32 v3 /*v259*/, v3 /*v259*/, 8, 8
	s_set_vgpr_msb 0                        ;  msbs: dst=0 src0=0 src1=0 src2=0
	v_and_b32_e32 v232, 0x3030303, v0
	v_bfe_u32 v0, v0, 24, 2
	s_set_vgpr_msb 4                        ;  msbs: dst=0 src0=0 src1=1 src2=0
	v_mad_i32_i24 v224, v225, v3 /*v259*/, v224
	s_set_vgpr_msb 0                        ;  msbs: dst=0 src0=0 src1=0 src2=0
	v_lshrrev_b32_e32 v234, 16, v232
	s_set_vgpr_msb 4                        ;  msbs: dst=0 src0=0 src1=1 src2=0
	v_sub_nc_u16 v0, v0, v15 /*v271*/
	s_set_vgpr_msb 0                        ;  msbs: dst=0 src0=0 src1=0 src2=0
	v_lshrrev_b16 v233, 8, v232
	s_set_vgpr_msb 64                       ;  msbs: dst=1 src0=0 src1=0 src2=0
	v_sub_nc_u16 v17 /*v273*/, v232, v235
	s_set_vgpr_msb 4                        ;  msbs: dst=0 src0=0 src1=1 src2=0
	v_dot4_i32_iu8 v224, v245, v4 /*v260*/, v224 neg_lo:[1,1,0]
	s_set_vgpr_msb 0x44                     ;  msbs: dst=1 src0=0 src1=1 src2=0
	v_sub_nc_u16 v16 /*v272*/, v234, v16 /*v272*/
	s_set_vgpr_msb 1                        ;  msbs: dst=0 src0=1 src1=0 src2=0
	v_lshlrev_b16 v0, 8, v0
	ds_load_2addr_b32 v[234:235], v11 /*v267*/ offset0:2 offset1:3
	v_bfe_i32 v245, v17 /*v273*/, 0, 8
	s_set_vgpr_msb 0x41                     ;  msbs: dst=1 src0=1 src1=0 src2=0
	v_bitop3_b16 v15 /*v271*/, v16 /*v272*/, v0, 0xff bitop3:0xec
	s_set_vgpr_msb 4                        ;  msbs: dst=0 src0=0 src1=1 src2=0
	v_sub_nc_u16 v0, v233, v12 /*v268*/
	s_set_vgpr_msb 0                        ;  msbs: dst=0 src0=0 src1=0 src2=0
	v_mul_i32_i24_e32 v222, v222, v245
	s_set_vgpr_msb 64                       ;  msbs: dst=1 src0=0 src1=0 src2=0
	s_delay_alu instid0(VALU_DEP_2) | instskip(SKIP_2) | instid1(VALU_DEP_2)
	v_lshlrev_b16 v12 /*v268*/, 8, v0
	s_set_vgpr_msb 1                        ;  msbs: dst=0 src0=1 src1=0 src2=0
	v_add_nc_u32_e32 v0, 0x3188, v237
	v_bfe_i32 v225, v12 /*v268*/, 8, 8
	s_set_vgpr_msb 0                        ;  msbs: dst=0 src0=0 src1=0 src2=0
	ds_load_2addr_b32 v[232:233], v0 offset1:1
	s_wait_dscnt 0x1
	v_dual_ashrrev_i32 v234, s19, v234 :: v_dual_ashrrev_i32 v235, s19, v235
	v_mul_i32_i24_e32 v223, v223, v225
	s_delay_alu instid0(VALU_DEP_2) | instskip(NEXT) | instid1(VALU_DEP_2)
	v_dual_lshlrev_b32 v234, 2, v234 :: v_dual_lshlrev_b32 v235, 2, v235
	v_add3_u32 v222, v224, v222, v223
	s_set_vgpr_msb 5                        ;  msbs: dst=0 src0=1 src1=1 src2=0
	v_perm_b32 v223, v15 /*v271*/, v16 /*v272*/, 0xc0c0500
	s_set_vgpr_msb 0                        ;  msbs: dst=0 src0=0 src1=0 src2=0
	v_and_b32_e32 v234, 0x4040404, v234
	v_and_b32_e32 v235, 0x4040404, v235
	s_delay_alu instid0(VALU_DEP_3) | instskip(SKIP_1) | instid1(VALU_DEP_3)
	v_dot4_i32_iu8 v1, v1, v223, v222 neg_lo:[1,1,0]
	s_set_vgpr_msb 64                       ;  msbs: dst=1 src0=0 src1=0 src2=0
	v_lshrrev_b32_e32 v27 /*v283*/, 24, v234
	s_wait_dscnt 0x0
	s_set_vgpr_msb 0                        ;  msbs: dst=0 src0=0 src1=0 src2=0
	v_ashrrev_i32_e32 v0, s20, v232
	s_set_vgpr_msb 64                       ;  msbs: dst=1 src0=0 src1=0 src2=0
	v_dual_lshrrev_b32 v28 /*v284*/, 16, v234 :: v_dual_lshrrev_b32 v29 /*v285*/, 16, v235
	v_lshrrev_b16 v20 /*v276*/, 8, v234
	v_lshrrev_b16 v30 /*v286*/, 8, v235
	s_set_vgpr_msb 0                        ;  msbs: dst=0 src0=0 src1=0 src2=0
	v_and_b32_e32 v232, 0x3030303, v0
	v_bfe_u32 v0, v0, 24, 2
	s_set_vgpr_msb 64                       ;  msbs: dst=1 src0=0 src1=0 src2=0
	s_delay_alu instid0(VALU_DEP_2) | instskip(SKIP_1) | instid1(VALU_DEP_2)
	v_lshrrev_b32_e32 v19 /*v275*/, 16, v232
	s_set_vgpr_msb 4                        ;  msbs: dst=0 src0=0 src1=1 src2=0
	v_sub_nc_u16 v0, v0, v27 /*v283*/
	s_set_vgpr_msb 64                       ;  msbs: dst=1 src0=0 src1=0 src2=0
	v_lshrrev_b16 v18 /*v274*/, 8, v232
	s_set_vgpr_msb 0x45                     ;  msbs: dst=1 src0=1 src1=1 src2=0
	v_sub_nc_u16 v19 /*v275*/, v19 /*v275*/, v28 /*v284*/
	s_set_vgpr_msb 0                        ;  msbs: dst=0 src0=0 src1=0 src2=0
	v_lshlrev_b16 v0, 8, v0
	s_set_vgpr_msb 0x41                     ;  msbs: dst=1 src0=1 src1=0 src2=0
	v_lshrrev_b32_e32 v28 /*v284*/, 24, v235
	s_delay_alu instid0(VALU_DEP_2) | instskip(SKIP_4) | instid1(VALU_DEP_2)
	v_bitop3_b16 v27 /*v283*/, v19 /*v275*/, v0, 0xff bitop3:0xec
	s_set_vgpr_msb 5                        ;  msbs: dst=0 src0=1 src1=1 src2=0
	v_sub_nc_u16 v0, v18 /*v274*/, v20 /*v276*/
	s_set_vgpr_msb 64                       ;  msbs: dst=1 src0=0 src1=0 src2=0
	v_sub_nc_u16 v20 /*v276*/, v232, v234
	v_lshlrev_b16 v18 /*v274*/, 8, v0
	s_set_vgpr_msb 0                        ;  msbs: dst=0 src0=0 src1=0 src2=0
	v_ashrrev_i32_e32 v0, s20, v233
	s_set_vgpr_msb 0x41                     ;  msbs: dst=1 src0=1 src1=0 src2=0
	v_bfe_i32 v13 /*v269*/, v20 /*v276*/, 0, 8
	s_set_vgpr_msb 0                        ;  msbs: dst=0 src0=0 src1=0 src2=0
	s_delay_alu instid0(VALU_DEP_2) | instskip(SKIP_3) | instid1(VALU_DEP_2)
	v_bfe_u32 v232, v0, 24, 2
	v_and_b32_e32 v0, 0x3030303, v0
	s_set_vgpr_msb 1                        ;  msbs: dst=0 src0=1 src1=0 src2=0
	v_mad_i32_i24 v1, v13 /*v269*/, v218, v1
	v_lshrrev_b16 v234, 8, v0
	v_lshrrev_b32_e32 v233, 16, v0
	s_set_vgpr_msb 64                       ;  msbs: dst=1 src0=0 src1=0 src2=0
	v_sub_nc_u16 v31 /*v287*/, v0, v235
	s_set_vgpr_msb 4                        ;  msbs: dst=0 src0=0 src1=1 src2=0
	v_sub_nc_u16 v0, v234, v30 /*v286*/
	s_set_vgpr_msb 0x44                     ;  msbs: dst=1 src0=0 src1=1 src2=0
	v_sub_nc_u16 v29 /*v285*/, v233, v29 /*v285*/
	s_set_vgpr_msb 1                        ;  msbs: dst=0 src0=1 src1=0 src2=0
	ds_load_2addr_b32 v[234:235], v11 /*v267*/ offset0:4 offset1:5
	v_lshlrev_b16 v0, 8, v0
	s_set_vgpr_msb 0x41                     ;  msbs: dst=1 src0=1 src1=0 src2=0
	s_delay_alu instid0(VALU_DEP_1) | instskip(SKIP_3) | instid1(VALU_DEP_1)
	v_bitop3_b16 v30 /*v286*/, v31 /*v287*/, v0, 0xff bitop3:0xec
	s_set_vgpr_msb 4                        ;  msbs: dst=0 src0=0 src1=1 src2=0
	v_sub_nc_u16 v0, v232, v28 /*v284*/
	s_set_vgpr_msb 0                        ;  msbs: dst=0 src0=0 src1=0 src2=0
	v_lshlrev_b16 v0, 8, v0
	s_set_vgpr_msb 0x41                     ;  msbs: dst=1 src0=1 src1=0 src2=0
	s_delay_alu instid0(VALU_DEP_1)
	v_bitop3_b16 v28 /*v284*/, v29 /*v285*/, v0, 0xff bitop3:0xec
	s_set_vgpr_msb 0                        ;  msbs: dst=0 src0=0 src1=0 src2=0
	v_add_nc_u32_e32 v0, 0x3190, v237
	s_wait_dscnt 0x0
	v_dual_ashrrev_i32 v234, s19, v234 :: v_dual_ashrrev_i32 v235, s19, v235
	ds_load_2addr_b32 v[232:233], v0 offset1:1
	v_dual_lshlrev_b32 v234, 2, v234 :: v_dual_lshlrev_b32 v235, 2, v235
	s_delay_alu instid0(VALU_DEP_1) | instskip(NEXT) | instid1(VALU_DEP_2)
	v_and_b32_e32 v234, 0x4040404, v234
	v_and_b32_e32 v235, 0x4040404, v235
	s_set_vgpr_msb 64                       ;  msbs: dst=1 src0=0 src1=0 src2=0
	s_delay_alu instid0(VALU_DEP_2) | instskip(SKIP_1) | instid1(VALU_DEP_3)
	v_dual_lshrrev_b32 v35 /*v291*/, 24, v234 :: v_dual_lshrrev_b32 v36 /*v292*/, 16, v234
	v_lshrrev_b16 v34 /*v290*/, 8, v234
	v_dual_lshrrev_b32 v37 /*v293*/, 24, v235 :: v_dual_lshrrev_b32 v38 /*v294*/, 16, v235
	s_wait_dscnt 0x0
	s_set_vgpr_msb 0                        ;  msbs: dst=0 src0=0 src1=0 src2=0
	v_ashrrev_i32_e32 v0, s20, v232
	s_delay_alu instid0(VALU_DEP_1) | instskip(SKIP_2) | instid1(VALU_DEP_2)
	v_and_b32_e32 v232, 0x3030303, v0
	v_bfe_u32 v0, v0, 24, 2
	s_set_vgpr_msb 64                       ;  msbs: dst=1 src0=0 src1=0 src2=0
	v_lshrrev_b32_e32 v33 /*v289*/, 16, v232
	s_set_vgpr_msb 4                        ;  msbs: dst=0 src0=0 src1=1 src2=0
	s_delay_alu instid0(VALU_DEP_2)
	v_sub_nc_u16 v0, v0, v35 /*v291*/
	s_set_vgpr_msb 64                       ;  msbs: dst=1 src0=0 src1=0 src2=0
	v_lshrrev_b16 v32 /*v288*/, 8, v232
	s_set_vgpr_msb 0x45                     ;  msbs: dst=1 src0=1 src1=1 src2=0
	v_sub_nc_u16 v33 /*v289*/, v33 /*v289*/, v36 /*v292*/
	s_set_vgpr_msb 0                        ;  msbs: dst=0 src0=0 src1=0 src2=0
	v_lshlrev_b16 v0, 8, v0
	s_set_vgpr_msb 64                       ;  msbs: dst=1 src0=0 src1=0 src2=0
	v_sub_nc_u16 v36 /*v292*/, v232, v234
	s_set_vgpr_msb 0x41                     ;  msbs: dst=1 src0=1 src1=0 src2=0
	s_delay_alu instid0(VALU_DEP_2)
	v_bitop3_b16 v35 /*v291*/, v33 /*v289*/, v0, 0xff bitop3:0xec
	s_set_vgpr_msb 5                        ;  msbs: dst=0 src0=1 src1=1 src2=0
	v_sub_nc_u16 v0, v32 /*v288*/, v34 /*v290*/
	s_set_vgpr_msb 0x41                     ;  msbs: dst=1 src0=1 src1=0 src2=0
	v_lshrrev_b16 v34 /*v290*/, 8, v235
	v_bfe_i32 v20 /*v276*/, v36 /*v292*/, 0, 8
	s_delay_alu instid0(VALU_DEP_3)
	v_lshlrev_b16 v32 /*v288*/, 8, v0
	s_set_vgpr_msb 0                        ;  msbs: dst=0 src0=0 src1=0 src2=0
	v_ashrrev_i32_e32 v0, s20, v233
	s_set_vgpr_msb 4                        ;  msbs: dst=0 src0=0 src1=1 src2=0
	v_mul_i32_i24_e32 v218, v219, v20 /*v276*/
	s_set_vgpr_msb 0x41                     ;  msbs: dst=1 src0=1 src1=0 src2=0
	v_bfe_i32 v17 /*v273*/, v32 /*v288*/, 8, 8
	s_set_vgpr_msb 0                        ;  msbs: dst=0 src0=0 src1=0 src2=0
	v_and_b32_e32 v232, 0x3030303, v0
	s_set_vgpr_msb 4                        ;  msbs: dst=0 src0=0 src1=1 src2=0
	s_delay_alu instid0(VALU_DEP_2) | instskip(SKIP_1) | instid1(VALU_DEP_2)
	v_mad_i32_i24 v218, v220, v17 /*v273*/, v218
	s_set_vgpr_msb 0                        ;  msbs: dst=0 src0=0 src1=0 src2=0
	v_lshrrev_b32_e32 v234, 16, v232
	v_bfe_u32 v0, v0, 24, 2
	v_lshrrev_b16 v233, 8, v232
	s_set_vgpr_msb 64                       ;  msbs: dst=1 src0=0 src1=0 src2=0
	v_sub_nc_u16 v39 /*v295*/, v232, v235
	s_set_vgpr_msb 5                        ;  msbs: dst=0 src0=1 src1=1 src2=0
	v_perm_b32 v220, v35 /*v291*/, v33 /*v289*/, 0xc0c0500
	s_set_vgpr_msb 0x44                     ;  msbs: dst=1 src0=0 src1=1 src2=0
	v_sub_nc_u16 v38 /*v294*/, v234, v38 /*v294*/
	s_set_vgpr_msb 4                        ;  msbs: dst=0 src0=0 src1=1 src2=0
	v_sub_nc_u16 v0, v0, v37 /*v293*/
	s_set_vgpr_msb 1                        ;  msbs: dst=0 src0=1 src1=0 src2=0
	ds_load_2addr_b32 v[234:235], v11 /*v267*/ offset0:6 offset1:7
	s_set_vgpr_msb 0                        ;  msbs: dst=0 src0=0 src1=0 src2=0
	v_dot4_i32_iu8 v218, v246, v220, v218 neg_lo:[1,1,0]
	s_set_vgpr_msb 1                        ;  msbs: dst=0 src0=1 src1=0 src2=0
	v_bfe_i32 v246, v39 /*v295*/, 0, 8
	v_lshlrev_b16 v0, 8, v0
	s_set_vgpr_msb 0                        ;  msbs: dst=0 src0=0 src1=0 src2=0
	s_delay_alu instid0(VALU_DEP_2) | instskip(SKIP_1) | instid1(VALU_DEP_2)
	v_mul_i32_i24_e32 v215, v215, v246
	s_set_vgpr_msb 0x41                     ;  msbs: dst=1 src0=1 src1=0 src2=0
	v_bitop3_b16 v37 /*v293*/, v38 /*v294*/, v0, 0xff bitop3:0xec
	s_set_vgpr_msb 4                        ;  msbs: dst=0 src0=0 src1=1 src2=0
	v_sub_nc_u16 v0, v233, v34 /*v290*/
	s_set_vgpr_msb 64                       ;  msbs: dst=1 src0=0 src1=0 src2=0
	s_delay_alu instid0(VALU_DEP_1)
	v_lshlrev_b16 v34 /*v290*/, 8, v0
	s_set_vgpr_msb 0                        ;  msbs: dst=0 src0=0 src1=0 src2=0
	v_add_nc_u32_e32 v0, 0x3198, v237
	s_wait_dscnt 0x0
	v_ashrrev_i32_e32 v234, s19, v234
	ds_load_2addr_b32 v[232:233], v0 offset1:1
	v_ashrrev_i32_e32 v235, s19, v235
	s_set_vgpr_msb 1                        ;  msbs: dst=0 src0=1 src1=0 src2=0
	v_bfe_i32 v219, v34 /*v290*/, 8, 8
	s_delay_alu instid0(VALU_DEP_2) | instskip(SKIP_1) | instid1(VALU_DEP_2)
	v_dual_lshlrev_b32 v234, 2, v234 :: v_dual_lshlrev_b32 v235, 2, v235
	s_set_vgpr_msb 0                        ;  msbs: dst=0 src0=0 src1=0 src2=0
	v_mul_i32_i24_e32 v216, v216, v219
	s_delay_alu instid0(VALU_DEP_2) | instskip(NEXT) | instid1(VALU_DEP_3)
	v_and_b32_e32 v234, 0x4040404, v234
	v_and_b32_e32 v235, 0x4040404, v235
	s_delay_alu instid0(VALU_DEP_3)
	v_add3_u32 v215, v218, v215, v216
	s_set_vgpr_msb 5                        ;  msbs: dst=0 src0=1 src1=1 src2=0
	v_perm_b32 v216, v37 /*v293*/, v38 /*v294*/, 0xc0c0500
	s_set_vgpr_msb 64                       ;  msbs: dst=1 src0=0 src1=0 src2=0
	v_dual_lshrrev_b32 v41 /*v297*/, 24, v234 :: v_dual_lshrrev_b32 v42 /*v298*/, 16, v234
	v_lshrrev_b32_e32 v43 /*v299*/, 24, v235
	v_lshrrev_b16 v11 /*v267*/, 8, v234
	v_lshrrev_b32_e32 v44 /*v300*/, 16, v235
	s_set_vgpr_msb 0                        ;  msbs: dst=0 src0=0 src1=0 src2=0
	v_dot4_i32_iu8 v5, v5, v216, v215 neg_lo:[1,1,0]
	s_wait_dscnt 0x0
	v_ashrrev_i32_e32 v0, s20, v232
	s_delay_alu instid0(VALU_DEP_1) | instskip(SKIP_2) | instid1(VALU_DEP_2)
	v_and_b32_e32 v232, 0x3030303, v0
	v_bfe_u32 v0, v0, 24, 2
	s_set_vgpr_msb 64                       ;  msbs: dst=1 src0=0 src1=0 src2=0
	v_lshrrev_b32_e32 v40 /*v296*/, 16, v232
	s_set_vgpr_msb 0                        ;  msbs: dst=0 src0=0 src1=0 src2=0
	v_lshrrev_b16 v237, 8, v232
	v_sub_nc_u16 v232, v232, v234
	s_set_vgpr_msb 4                        ;  msbs: dst=0 src0=0 src1=1 src2=0
	v_sub_nc_u16 v0, v0, v41 /*v297*/
	s_set_vgpr_msb 0x45                     ;  msbs: dst=1 src0=1 src1=1 src2=0
	v_sub_nc_u16 v40 /*v296*/, v40 /*v296*/, v42 /*v298*/
	s_set_vgpr_msb 64                       ;  msbs: dst=1 src0=0 src1=0 src2=0
	v_lshrrev_b16 v42 /*v298*/, 8, v235
	v_bfe_i32 v32 /*v288*/, v232, 0, 8
	s_set_vgpr_msb 1                        ;  msbs: dst=0 src0=1 src1=0 src2=0
	v_lshlrev_b16 v0, 8, v0
	s_delay_alu instid0(VALU_DEP_2) | instskip(SKIP_1) | instid1(VALU_DEP_2)
	v_mad_i32_i24 v215, v32 /*v288*/, v114, v5
	s_set_vgpr_msb 0x41                     ;  msbs: dst=1 src0=1 src1=0 src2=0
	v_bitop3_b16 v41 /*v297*/, v40 /*v296*/, v0, 0xff bitop3:0xec
	s_set_vgpr_msb 4                        ;  msbs: dst=0 src0=0 src1=1 src2=0
	v_sub_nc_u16 v0, v237, v11 /*v267*/
	s_set_vgpr_msb 0                        ;  msbs: dst=0 src0=0 src1=0 src2=0
	v_or_b32_e32 v5, s18, v138
	s_set_vgpr_msb 64                       ;  msbs: dst=1 src0=0 src1=0 src2=0
	s_delay_alu instid0(VALU_DEP_2) | instskip(SKIP_3) | instid1(VALU_DEP_2)
	v_lshlrev_b16 v11 /*v267*/, 8, v0
	s_set_vgpr_msb 0                        ;  msbs: dst=0 src0=0 src1=0 src2=0
	v_ashrrev_i32_e32 v0, s20, v233
	v_dual_lshlrev_b32 v216, 2, v5 :: v_dual_lshrrev_b32 v5, 1, v5
	v_and_b32_e32 v233, 0x3030303, v0
	v_bfe_u32 v0, v0, 24, 2
	s_delay_alu instid0(VALU_DEP_2) | instskip(SKIP_1) | instid1(VALU_DEP_2)
	v_lshrrev_b32_e32 v237, 16, v233
	s_set_vgpr_msb 4                        ;  msbs: dst=0 src0=0 src1=1 src2=0
	v_sub_nc_u16 v0, v0, v43 /*v299*/
	s_set_vgpr_msb 0                        ;  msbs: dst=0 src0=0 src1=0 src2=0
	v_lshrrev_b16 v234, 8, v233
	s_set_vgpr_msb 64                       ;  msbs: dst=1 src0=0 src1=0 src2=0
	v_sub_nc_u16 v45 /*v301*/, v233, v235
	s_set_vgpr_msb 0x44                     ;  msbs: dst=1 src0=0 src1=1 src2=0
	v_sub_nc_u16 v44 /*v300*/, v237, v44 /*v300*/
	s_set_vgpr_msb 0                        ;  msbs: dst=0 src0=0 src1=0 src2=0
	v_lshlrev_b16 v0, 8, v0
	v_perm_b32 v237, v244, v244, 0xc0c0c01
	s_set_vgpr_msb 0x41                     ;  msbs: dst=1 src0=1 src1=0 src2=0
	s_delay_alu instid0(VALU_DEP_2) | instskip(SKIP_3) | instid1(VALU_DEP_1)
	v_bitop3_b16 v43 /*v299*/, v44 /*v300*/, v0, 0xff bitop3:0xec
	s_set_vgpr_msb 4                        ;  msbs: dst=0 src0=0 src1=1 src2=0
	v_sub_nc_u16 v0, v234, v42 /*v298*/
	s_set_vgpr_msb 64                       ;  msbs: dst=1 src0=0 src1=0 src2=0
	v_lshlrev_b16 v42 /*v298*/, 8, v0
	s_set_vgpr_msb 0                        ;  msbs: dst=0 src0=0 src1=0 src2=0
	v_add3_u32 v0, s23, v159, v150
	ds_load_b32 v0, v0
	ds_load_b32 v114, v5 offset:38816
	ds_load_b128 v[222:225], v216 offset:25344
	ds_load_b128 v[232:235], v216 offset:25360
	s_wait_dscnt 0x1
	v_bfe_i32 v216, v222, 0, 8
	v_bfe_i32 v218, v222, 8, 8
	v_perm_b32 v222, v222, v222, 0xc0c0302
	v_bfe_i32 v219, v223, 0, 8
	v_perm_b32 v223, v223, v223, 0xc030201
	s_set_vgpr_msb 64                       ;  msbs: dst=1 src0=0 src1=0 src2=0
	v_bfe_i32 v33 /*v289*/, v224, 0, 8
	v_perm_b32 v50 /*v306*/, v224, v224, 0xc030201
	v_bfe_i32 v35 /*v291*/, v225, 0, 8
	s_set_vgpr_msb 0                        ;  msbs: dst=0 src0=0 src1=0 src2=0
	v_perm_b32 v226, v225, v225, 0xc030201
	s_wait_dscnt 0x0
	s_set_vgpr_msb 64                       ;  msbs: dst=1 src0=0 src1=0 src2=0
	v_bfe_i32 v36 /*v292*/, v232, 0, 8
	v_bfe_i32 v39 /*v295*/, v232, 8, 8
	s_set_vgpr_msb 0                        ;  msbs: dst=0 src0=0 src1=0 src2=0
	v_perm_b32 v230, v232, v232, 0xc0c0302
	s_set_vgpr_msb 64                       ;  msbs: dst=1 src0=0 src1=0 src2=0
	v_bfe_i32 v47 /*v303*/, v233, 0, 8
	s_set_vgpr_msb 0                        ;  msbs: dst=0 src0=0 src1=0 src2=0
	v_perm_b32 v231, v233, v233, 0xc030201
	s_set_vgpr_msb 64                       ;  msbs: dst=1 src0=0 src1=0 src2=0
	v_bfe_i32 v48 /*v304*/, v234, 0, 8
	s_set_vgpr_msb 0                        ;  msbs: dst=0 src0=0 src1=0 src2=0
	v_perm_b32 v232, v234, v234, 0xc030201
	v_perm_b32 v233, v240, v239, 0xc05000c
	;; [unrolled: 1-line block ×3, first 2 shown]
	s_set_vgpr_msb 64                       ;  msbs: dst=1 src0=0 src1=0 src2=0
	v_bfe_i32 v49 /*v305*/, v235, 0, 8
	s_set_vgpr_msb 5                        ;  msbs: dst=0 src0=1 src1=1 src2=0
	v_perm_b32 v239, v21 /*v277*/, v21 /*v277*/, 0xc0c0c01
	s_set_vgpr_msb 0                        ;  msbs: dst=0 src0=0 src1=0 src2=0
	v_mul_i32_i24_e32 v5, v216, v166
	s_set_vgpr_msb 1                        ;  msbs: dst=0 src0=1 src1=0 src2=0
	v_mul_i32_i24_e32 v227, v36 /*v292*/, v174
	s_set_vgpr_msb 0                        ;  msbs: dst=0 src0=0 src1=0 src2=0
	v_or_b32_e32 v233, v233, v234
	v_perm_b32 v234, v235, v235, 0xc030201
	v_perm_b32 v235, v243, v242, 0xc05000c
	v_mad_i32_i24 v5, v218, v167, v5
	s_set_vgpr_msb 1                        ;  msbs: dst=0 src0=1 src1=0 src2=0
	v_mad_i32_i24 v227, v39 /*v295*/, v175, v227
	s_set_vgpr_msb 0                        ;  msbs: dst=0 src0=0 src1=0 src2=0
	v_or_b32_e32 v235, v235, v237
	v_perm_b32 v237, v255, v255, 0xc0c0c01
	v_dot4_i32_iu8 v5, v222, v168, v5 neg_lo:[1,1,0]
	v_dot4_i32_iu8 v227, v230, v176, v227 neg_lo:[1,1,0]
	s_delay_alu instid0(VALU_DEP_2) | instskip(SKIP_1) | instid1(VALU_DEP_2)
	v_mad_i32_i24 v5, v219, v170, v5
	s_set_vgpr_msb 1                        ;  msbs: dst=0 src0=1 src1=0 src2=0
	v_mad_i32_i24 v227, v47 /*v303*/, v178, v227
	s_set_vgpr_msb 0                        ;  msbs: dst=0 src0=0 src1=0 src2=0
	s_delay_alu instid0(VALU_DEP_2) | instskip(NEXT) | instid1(VALU_DEP_2)
	v_dot4_i32_iu8 v5, v223, v172, v5 neg_lo:[1,1,0]
	v_dot4_i32_iu8 v227, v231, v180, v227 neg_lo:[1,1,0]
	s_set_vgpr_msb 4                        ;  msbs: dst=0 src0=0 src1=1 src2=0
	s_delay_alu instid0(VALU_DEP_2) | instskip(NEXT) | instid1(VALU_DEP_2)
	v_mad_i32_i24 v5, v169, v33 /*v289*/, v5
	v_mad_i32_i24 v227, v177, v48 /*v304*/, v227
	s_delay_alu instid0(VALU_DEP_2) | instskip(SKIP_1) | instid1(VALU_DEP_2)
	v_dot4_i32_iu8 v5, v228, v50 /*v306*/, v5 neg_lo:[1,1,0]
	s_set_vgpr_msb 0                        ;  msbs: dst=0 src0=0 src1=0 src2=0
	v_dot4_i32_iu8 v227, v233, v232, v227 neg_lo:[1,1,0]
	s_set_vgpr_msb 4                        ;  msbs: dst=0 src0=0 src1=1 src2=0
	s_delay_alu instid0(VALU_DEP_2) | instskip(NEXT) | instid1(VALU_DEP_2)
	v_mad_i32_i24 v5, v171, v35 /*v291*/, v5
	v_mad_i32_i24 v227, v179, v49 /*v305*/, v227
	s_set_vgpr_msb 0                        ;  msbs: dst=0 src0=0 src1=0 src2=0
	s_delay_alu instid0(VALU_DEP_2) | instskip(NEXT) | instid1(VALU_DEP_2)
	v_dot4_i32_iu8 v5, v229, v226, v5 neg_lo:[1,1,0]
	v_dot4_i32_iu8 v227, v235, v234, v227 neg_lo:[1,1,0]
	s_delay_alu instid0(VALU_DEP_2) | instskip(NEXT) | instid1(VALU_DEP_1)
	v_mul_lo_u32 v5, v5, v173
	v_mad_u32 v5, v227, v181, v5
	v_mul_f32_e32 v227, v165, v114
	s_delay_alu instid0(VALU_DEP_2) | instskip(NEXT) | instid1(VALU_DEP_1)
	v_cvt_f32_i32_e32 v5, v5
	v_mul_f32_e32 v5, v227, v5
	v_perm_b32 v227, v249, v249, 0xc0c0c01
	s_delay_alu instid0(VALU_DEP_2) | instskip(SKIP_2) | instid1(VALU_DEP_2)
	v_pk_add_f32 v[104:105], v[104:105], v[4:5]
	v_mul_i32_i24_e32 v4, v216, v183
	v_perm_b32 v5, v248, v247, 0xc05000c
	v_mad_i32_i24 v4, v218, v184, v4
	s_delay_alu instid0(VALU_DEP_2) | instskip(SKIP_2) | instid1(VALU_DEP_4)
	v_or_b32_e32 v240, v5, v227
	v_perm_b32 v5, v251, v250, 0xc05000c
	v_perm_b32 v227, v252, v252, 0xc0c0c01
	v_dot4_i32_iu8 v4, v222, v185, v4 neg_lo:[1,1,0]
	s_delay_alu instid0(VALU_DEP_2)
	v_or_b32_e32 v241, v5, v227
	s_set_vgpr_msb 1                        ;  msbs: dst=0 src0=1 src1=0 src2=0
	v_mul_i32_i24_e32 v5, v36 /*v292*/, v191
	s_set_vgpr_msb 0                        ;  msbs: dst=0 src0=0 src1=0 src2=0
	v_perm_b32 v227, v254, v253, 0xc05000c
	v_mad_i32_i24 v4, v219, v186, v4
	s_set_vgpr_msb 1                        ;  msbs: dst=0 src0=1 src1=0 src2=0
	v_mad_i32_i24 v5, v39 /*v295*/, v192, v5
	s_set_vgpr_msb 0                        ;  msbs: dst=0 src0=0 src1=0 src2=0
	v_or_b32_e32 v242, v227, v237
	s_set_vgpr_msb 5                        ;  msbs: dst=0 src0=1 src1=1 src2=0
	v_perm_b32 v227, v1 /*v257*/, v0 /*v256*/, 0xc05000c
	v_perm_b32 v237, v2 /*v258*/, v2 /*v258*/, 0xc0c0c01
	s_set_vgpr_msb 0                        ;  msbs: dst=0 src0=0 src1=0 src2=0
	v_dot4_i32_iu8 v4, v223, v189, v4 neg_lo:[1,1,0]
	v_dot4_i32_iu8 v5, v230, v193, v5 neg_lo:[1,1,0]
	s_delay_alu instid0(VALU_DEP_3)
	v_or_b32_e32 v243, v227, v237
	s_set_vgpr_msb 5                        ;  msbs: dst=0 src0=1 src1=1 src2=0
	v_perm_b32 v227, v5 /*v261*/, v5 /*v261*/, 0xc0c0c01
	s_set_vgpr_msb 4                        ;  msbs: dst=0 src0=0 src1=1 src2=0
	v_mad_i32_i24 v4, v187, v33 /*v289*/, v4
	s_set_vgpr_msb 1                        ;  msbs: dst=0 src0=1 src1=0 src2=0
	v_mad_i32_i24 v5, v47 /*v303*/, v194, v5
	s_set_vgpr_msb 4                        ;  msbs: dst=0 src0=0 src1=1 src2=0
	s_delay_alu instid0(VALU_DEP_2) | instskip(SKIP_1) | instid1(VALU_DEP_2)
	v_dot4_i32_iu8 v4, v240, v50 /*v306*/, v4 neg_lo:[1,1,0]
	s_set_vgpr_msb 0                        ;  msbs: dst=0 src0=0 src1=0 src2=0
	v_dot4_i32_iu8 v5, v231, v197, v5 neg_lo:[1,1,0]
	s_set_vgpr_msb 4                        ;  msbs: dst=0 src0=0 src1=1 src2=0
	s_delay_alu instid0(VALU_DEP_2) | instskip(NEXT) | instid1(VALU_DEP_2)
	v_mad_i32_i24 v4, v188, v35 /*v291*/, v4
	v_mad_i32_i24 v5, v195, v48 /*v304*/, v5
	s_set_vgpr_msb 0                        ;  msbs: dst=0 src0=0 src1=0 src2=0
	s_delay_alu instid0(VALU_DEP_2) | instskip(NEXT) | instid1(VALU_DEP_2)
	v_dot4_i32_iu8 v4, v241, v226, v4 neg_lo:[1,1,0]
	v_dot4_i32_iu8 v5, v242, v232, v5 neg_lo:[1,1,0]
	s_delay_alu instid0(VALU_DEP_2) | instskip(SKIP_1) | instid1(VALU_DEP_2)
	v_mul_lo_u32 v4, v4, v190
	s_set_vgpr_msb 4                        ;  msbs: dst=0 src0=0 src1=1 src2=0
	v_mad_i32_i24 v5, v196, v49 /*v305*/, v5
	s_set_vgpr_msb 0                        ;  msbs: dst=0 src0=0 src1=0 src2=0
	s_delay_alu instid0(VALU_DEP_1) | instskip(NEXT) | instid1(VALU_DEP_1)
	v_dot4_i32_iu8 v5, v243, v234, v5 neg_lo:[1,1,0]
	v_mad_u32 v4, v5, v198, v4
	v_mul_f32_e32 v5, v182, v114
	s_delay_alu instid0(VALU_DEP_2) | instskip(NEXT) | instid1(VALU_DEP_1)
	v_cvt_f32_i32_e32 v4, v4
	v_mul_f32_e32 v237, v5, v4
	v_mul_i32_i24_e32 v4, v216, v201
	s_set_vgpr_msb 5                        ;  msbs: dst=0 src0=1 src1=1 src2=0
	v_perm_b32 v5, v8 /*v264*/, v6 /*v262*/, 0xc05000c
	s_set_vgpr_msb 0                        ;  msbs: dst=0 src0=0 src1=0 src2=0
	v_pk_add_f32 v[106:107], v[106:107], v[236:237]
	v_mad_i32_i24 v4, v218, v202, v4
	s_delay_alu instid0(VALU_DEP_3)
	v_or_b32_e32 v236, v5, v227
	s_set_vgpr_msb 5                        ;  msbs: dst=0 src0=1 src1=1 src2=0
	v_perm_b32 v5, v10 /*v266*/, v7 /*v263*/, 0xc05000c
	v_perm_b32 v227, v9 /*v265*/, v9 /*v265*/, 0xc0c0c01
	s_set_vgpr_msb 0                        ;  msbs: dst=0 src0=0 src1=0 src2=0
	v_dot4_i32_iu8 v4, v222, v203, v4 neg_lo:[1,1,0]
	s_delay_alu instid0(VALU_DEP_2)
	v_or_b32_e32 v237, v5, v227
	s_set_vgpr_msb 1                        ;  msbs: dst=0 src0=1 src1=0 src2=0
	v_mul_i32_i24_e32 v5, v36 /*v292*/, v209
	s_set_vgpr_msb 5                        ;  msbs: dst=0 src0=1 src1=1 src2=0
	v_perm_b32 v227, v23 /*v279*/, v22 /*v278*/, 0xc05000c
	s_set_vgpr_msb 0                        ;  msbs: dst=0 src0=0 src1=0 src2=0
	v_mad_i32_i24 v4, v219, v204, v4
	s_set_vgpr_msb 1                        ;  msbs: dst=0 src0=1 src1=0 src2=0
	v_mad_i32_i24 v5, v39 /*v295*/, v210, v5
	s_set_vgpr_msb 0                        ;  msbs: dst=0 src0=0 src1=0 src2=0
	v_or_b32_e32 v244, v227, v239
	s_set_vgpr_msb 5                        ;  msbs: dst=0 src0=1 src1=1 src2=0
	v_perm_b32 v227, v25 /*v281*/, v26 /*v282*/, 0xc05000c
	v_perm_b32 v239, v24 /*v280*/, v24 /*v280*/, 0xc0c0c01
	s_set_vgpr_msb 0                        ;  msbs: dst=0 src0=0 src1=0 src2=0
	v_dot4_i32_iu8 v4, v223, v207, v4 neg_lo:[1,1,0]
	v_dot4_i32_iu8 v5, v230, v211, v5 neg_lo:[1,1,0]
	s_delay_alu instid0(VALU_DEP_3) | instskip(SKIP_1) | instid1(VALU_DEP_3)
	v_or_b32_e32 v247, v227, v239
	s_set_vgpr_msb 4                        ;  msbs: dst=0 src0=0 src1=1 src2=0
	v_mad_i32_i24 v4, v205, v33 /*v289*/, v4
	s_set_vgpr_msb 1                        ;  msbs: dst=0 src0=1 src1=0 src2=0
	v_mad_i32_i24 v5, v47 /*v303*/, v212, v5
	s_set_vgpr_msb 4                        ;  msbs: dst=0 src0=0 src1=1 src2=0
	s_delay_alu instid0(VALU_DEP_2) | instskip(SKIP_1) | instid1(VALU_DEP_2)
	v_dot4_i32_iu8 v4, v236, v50 /*v306*/, v4 neg_lo:[1,1,0]
	s_set_vgpr_msb 0                        ;  msbs: dst=0 src0=0 src1=0 src2=0
	v_dot4_i32_iu8 v5, v231, v217, v5 neg_lo:[1,1,0]
	s_set_vgpr_msb 4                        ;  msbs: dst=0 src0=0 src1=1 src2=0
	s_delay_alu instid0(VALU_DEP_2) | instskip(NEXT) | instid1(VALU_DEP_2)
	v_mad_i32_i24 v4, v206, v35 /*v291*/, v4
	v_mad_i32_i24 v5, v213, v48 /*v304*/, v5
	s_set_vgpr_msb 0                        ;  msbs: dst=0 src0=0 src1=0 src2=0
	s_delay_alu instid0(VALU_DEP_2) | instskip(NEXT) | instid1(VALU_DEP_2)
	v_dot4_i32_iu8 v4, v237, v226, v4 neg_lo:[1,1,0]
	v_dot4_i32_iu8 v5, v244, v232, v5 neg_lo:[1,1,0]
	s_delay_alu instid0(VALU_DEP_2) | instskip(SKIP_1) | instid1(VALU_DEP_2)
	v_mul_lo_u32 v4, v4, v208
	s_set_vgpr_msb 4                        ;  msbs: dst=0 src0=0 src1=1 src2=0
	v_mad_i32_i24 v5, v214, v49 /*v305*/, v5
	s_set_vgpr_msb 0                        ;  msbs: dst=0 src0=0 src1=0 src2=0
	s_delay_alu instid0(VALU_DEP_1) | instskip(NEXT) | instid1(VALU_DEP_1)
	v_dot4_i32_iu8 v5, v247, v234, v5 neg_lo:[1,1,0]
	v_mad_u32 v4, v5, v221, v4
	v_mul_f32_e32 v5, v200, v114
	s_delay_alu instid0(VALU_DEP_2) | instskip(NEXT) | instid1(VALU_DEP_1)
	v_cvt_f32_i32_e32 v4, v4
	v_mul_f32_e32 v239, v5, v4
	s_set_vgpr_msb 1                        ;  msbs: dst=0 src0=1 src1=0 src2=0
	v_mul_i32_i24_e32 v4, v14 /*v270*/, v216
	s_set_vgpr_msb 5                        ;  msbs: dst=0 src0=1 src1=1 src2=0
	v_perm_b32 v5, v15 /*v271*/, v16 /*v272*/, 0xc05000c
	v_perm_b32 v216, v12 /*v268*/, v12 /*v268*/, 0xc0c0c01
	s_set_vgpr_msb 0                        ;  msbs: dst=0 src0=0 src1=0 src2=0
	v_pk_add_f32 v[108:109], v[108:109], v[238:239]
	s_set_vgpr_msb 1                        ;  msbs: dst=0 src0=1 src1=0 src2=0
	v_mad_i32_i24 v4, v3 /*v259*/, v218, v4
	s_set_vgpr_msb 5                        ;  msbs: dst=0 src0=1 src1=1 src2=0
	v_perm_b32 v218, v34 /*v290*/, v34 /*v290*/, 0xc0c0c01
	s_set_vgpr_msb 0                        ;  msbs: dst=0 src0=0 src1=0 src2=0
	v_or_b32_e32 v238, v5, v216
	s_set_vgpr_msb 5                        ;  msbs: dst=0 src0=1 src1=1 src2=0
	v_mul_i32_i24_e32 v5, v20 /*v276*/, v36 /*v292*/
	v_perm_b32 v216, v37 /*v293*/, v38 /*v294*/, 0xc05000c
	s_set_vgpr_msb 1                        ;  msbs: dst=0 src0=1 src1=0 src2=0
	v_dot4_i32_iu8 v4, v4 /*v260*/, v222, v4 neg_lo:[1,1,0]
	s_set_vgpr_msb 5                        ;  msbs: dst=0 src0=1 src1=1 src2=0
	v_mad_i32_i24 v5, v17 /*v273*/, v39 /*v295*/, v5
	s_set_vgpr_msb 0                        ;  msbs: dst=0 src0=0 src1=0 src2=0
	s_delay_alu instid0(VALU_DEP_2) | instskip(NEXT) | instid1(VALU_DEP_2)
	v_mad_i32_i24 v4, v245, v219, v4
	v_dot4_i32_iu8 v5, v220, v230, v5 neg_lo:[1,1,0]
	v_or_b32_e32 v230, v216, v218
	s_set_vgpr_msb 1                        ;  msbs: dst=0 src0=1 src1=0 src2=0
	ds_load_u16 v216, v46 /*v302*/
	s_set_vgpr_msb 0                        ;  msbs: dst=0 src0=0 src1=0 src2=0
	v_dot4_i32_iu8 v4, v238, v223, v4 neg_lo:[1,1,0]
	s_set_vgpr_msb 4                        ;  msbs: dst=0 src0=0 src1=1 src2=0
	v_mad_i32_i24 v5, v246, v47 /*v303*/, v5
	s_set_vgpr_msb 5                        ;  msbs: dst=0 src0=1 src1=1 src2=0
	s_delay_alu instid0(VALU_DEP_2) | instskip(SKIP_1) | instid1(VALU_DEP_2)
	v_mad_i32_i24 v4, v33 /*v289*/, v13 /*v269*/, v4
	s_set_vgpr_msb 0                        ;  msbs: dst=0 src0=0 src1=0 src2=0
	v_dot4_i32_iu8 v5, v230, v231, v5 neg_lo:[1,1,0]
	s_set_vgpr_msb 5                        ;  msbs: dst=0 src0=1 src1=1 src2=0
	v_bfe_i32 v231, v45 /*v301*/, 0, 8
	s_delay_alu instid0(VALU_DEP_2)
	v_mad_i32_i24 v5, v48 /*v304*/, v32 /*v288*/, v5
	s_wait_dscnt 0x0
	s_set_vgpr_msb 0                        ;  msbs: dst=0 src0=0 src1=0 src2=0
	v_lshrrev_b16 v218, 8, v216
	v_bfe_i32 v248, v216, 0, 8
	s_set_vgpr_msb 5                        ;  msbs: dst=0 src0=1 src1=1 src2=0
	v_perm_b32 v216, v19 /*v275*/, v18 /*v274*/, 0xc0c0401
	s_set_vgpr_msb 0                        ;  msbs: dst=0 src0=0 src1=0 src2=0
	v_bfe_i32 v239, v218, 0, 8
	v_perm_b32 v218, v224, v224, 0xc0c0201
	s_delay_alu instid0(VALU_DEP_1) | instskip(SKIP_4) | instid1(VALU_DEP_1)
	v_dot4_i32_iu8 v4, v218, v216, v4 neg_lo:[1,1,0]
	s_set_vgpr_msb 5                        ;  msbs: dst=0 src0=1 src1=1 src2=0
	v_perm_b32 v216, v41 /*v297*/, v40 /*v296*/, 0xc05000c
	v_perm_b32 v218, v11 /*v267*/, v11 /*v267*/, 0xc0c0c01
	s_set_vgpr_msb 0                        ;  msbs: dst=0 src0=0 src1=0 src2=0
	v_or_b32_e32 v249, v216, v218
	s_delay_alu instid0(VALU_DEP_1) | instskip(SKIP_1) | instid1(VALU_DEP_2)
	v_dot4_i32_iu8 v6, v6, v249, v215 neg_lo:[1,1,0]
	v_perm_b32 v215, v225, v224, 0xc0c0403
	v_mad_i32_i24 v6, v199, v231, v6
	s_set_vgpr_msb 5                        ;  msbs: dst=0 src0=1 src1=1 src2=0
	v_perm_b32 v199, v31 /*v287*/, v27 /*v283*/, 0xc0c0401
	s_set_vgpr_msb 0                        ;  msbs: dst=0 src0=0 src1=0 src2=0
	s_delay_alu instid0(VALU_DEP_1) | instskip(SKIP_4) | instid1(VALU_DEP_1)
	v_dot4_i32_iu8 v4, v215, v199, v4 neg_lo:[1,1,0]
	s_set_vgpr_msb 5                        ;  msbs: dst=0 src0=1 src1=1 src2=0
	v_perm_b32 v199, v28 /*v284*/, v29 /*v285*/, 0xc05000c
	v_perm_b32 v215, v30 /*v286*/, v30 /*v286*/, 0xc0c0c01
	s_set_vgpr_msb 0                        ;  msbs: dst=0 src0=0 src1=0 src2=0
	v_or_b32_e32 v199, v199, v215
	s_set_vgpr_msb 5                        ;  msbs: dst=0 src0=1 src1=1 src2=0
	v_perm_b32 v215, v42 /*v298*/, v42 /*v298*/, 0xc0c0c01
	s_set_vgpr_msb 0                        ;  msbs: dst=0 src0=0 src1=0 src2=0
	s_delay_alu instid0(VALU_DEP_2) | instskip(SKIP_3) | instid1(VALU_DEP_2)
	v_dot4_i32_iu8 v4, v226, v199, v4 neg_lo:[1,1,0]
	s_set_vgpr_msb 5                        ;  msbs: dst=0 src0=1 src1=1 src2=0
	v_perm_b32 v199, v43 /*v299*/, v44 /*v300*/, 0xc05000c
	s_set_vgpr_msb 0                        ;  msbs: dst=0 src0=0 src1=0 src2=0
	v_mul_lo_u32 v4, v4, v248
	s_delay_alu instid0(VALU_DEP_2) | instskip(SKIP_3) | instid1(VALU_DEP_2)
	v_or_b32_e32 v199, v199, v215
	s_set_vgpr_msb 5                        ;  msbs: dst=0 src0=1 src1=1 src2=0
	v_perm_b32 v215, v18 /*v274*/, v18 /*v274*/, 0xc0c0c01
	s_set_vgpr_msb 0                        ;  msbs: dst=0 src0=0 src1=0 src2=0
	v_dot4_i32_iu8 v6, v7, v199, v6 neg_lo:[1,1,0]
	s_set_vgpr_msb 5                        ;  msbs: dst=0 src0=1 src1=1 src2=0
	v_perm_b32 v7, v27 /*v283*/, v19 /*v275*/, 0xc05000c
	s_set_vgpr_msb 0                        ;  msbs: dst=0 src0=0 src1=0 src2=0
	s_delay_alu instid0(VALU_DEP_2) | instskip(NEXT) | instid1(VALU_DEP_2)
	v_mul_lo_u32 v6, v6, v239
	v_or_b32_e32 v215, v7, v215
	s_set_vgpr_msb 5                        ;  msbs: dst=0 src0=1 src1=1 src2=0
	v_perm_b32 v7, v28 /*v284*/, v29 /*v285*/, 0x5000c0c
	s_set_vgpr_msb 0                        ;  msbs: dst=0 src0=0 src1=0 src2=0
	s_delay_alu instid0(VALU_DEP_2) | instskip(SKIP_4) | instid1(VALU_DEP_2)
	v_dot4_i32_iu8 v1, v2, v215, v1 neg_lo:[1,1,0]
	v_dot4_i32_iu8 v2, v232, v249, v5 neg_lo:[1,1,0]
	s_set_vgpr_msb 5                        ;  msbs: dst=0 src0=1 src1=1 src2=0
	v_perm_b32 v5, v30 /*v286*/, v31 /*v287*/, 0xc0c0500
	s_set_vgpr_msb 1                        ;  msbs: dst=0 src0=1 src1=0 src2=0
	v_mad_i32_i24 v2, v49 /*v305*/, v231, v2
	s_set_vgpr_msb 0                        ;  msbs: dst=0 src0=0 src1=0 src2=0
	s_delay_alu instid0(VALU_DEP_2) | instskip(NEXT) | instid1(VALU_DEP_2)
	v_or_b32_e32 v232, v7, v5
	v_dot4_i32_iu8 v2, v234, v199, v2 neg_lo:[1,1,0]
	s_delay_alu instid0(VALU_DEP_2) | instskip(NEXT) | instid1(VALU_DEP_2)
	v_dot4_i32_iu8 v1, v3, v232, v1 neg_lo:[1,1,0]
	v_mad_u32 v4, v2, v239, v4
	s_delay_alu instid0(VALU_DEP_2) | instskip(NEXT) | instid1(VALU_DEP_2)
	v_mad_u32 v1, v1, v248, v6
	v_cvt_f32_i32_e32 v4, v4
	s_delay_alu instid0(VALU_DEP_2) | instskip(SKIP_2) | instid1(VALU_DEP_2)
	v_pk_mul_f32 v[2:3], v[0:1], v[114:115] op_sel_hi:[0,1]
	v_cvt_f32_i32_e32 v5, v1
	v_or_b32_e32 v1, s18, v139
	v_pk_fma_f32 v[86:87], v[2:3], v[4:5], v[86:87]
	s_delay_alu instid0(VALU_DEP_2)
	v_dual_lshlrev_b32 v6, 2, v1 :: v_dual_lshrrev_b32 v1, 1, v1
	ds_load_b32 v1, v1 offset:38816
	ds_load_b128 v[2:5], v6 offset:25344
	ds_load_b128 v[222:225], v6 offset:25360
	s_wait_dscnt 0x1
	v_bfe_i32 v7, v2, 0, 8
	v_bfe_i32 v115, v2, 8, 8
	v_perm_b32 v2, v2, v2, 0xc0c0302
	v_bfe_i32 v216, v3, 0, 8
	v_perm_b32 v3, v3, v3, 0xc030201
	;; [unrolled: 2-line block ×4, first 2 shown]
	s_wait_dscnt 0x0
	v_bfe_i32 v226, v222, 0, 8
	v_bfe_i32 v227, v222, 8, 8
	v_perm_b32 v222, v222, v222, 0xc0c0302
	v_bfe_i32 v234, v223, 0, 8
	v_perm_b32 v223, v223, v223, 0xc030201
	;; [unrolled: 2-line block ×4, first 2 shown]
	v_mul_i32_i24_e32 v6, v7, v166
	v_mul_i32_i24_e32 v114, v226, v174
	;; [unrolled: 1-line block ×3, first 2 shown]
	s_delay_alu instid0(VALU_DEP_3) | instskip(NEXT) | instid1(VALU_DEP_3)
	v_mad_i32_i24 v6, v115, v167, v6
	v_mad_i32_i24 v114, v227, v175, v114
	s_delay_alu instid0(VALU_DEP_3) | instskip(NEXT) | instid1(VALU_DEP_3)
	v_mad_i32_i24 v253, v227, v192, v253
	v_dot4_i32_iu8 v6, v2, v168, v6 neg_lo:[1,1,0]
	s_delay_alu instid0(VALU_DEP_3) | instskip(NEXT) | instid1(VALU_DEP_3)
	v_dot4_i32_iu8 v114, v222, v176, v114 neg_lo:[1,1,0]
	v_dot4_i32_iu8 v253, v222, v193, v253 neg_lo:[1,1,0]
	s_delay_alu instid0(VALU_DEP_3) | instskip(NEXT) | instid1(VALU_DEP_3)
	v_mad_i32_i24 v6, v216, v170, v6
	v_mad_i32_i24 v114, v234, v178, v114
	s_delay_alu instid0(VALU_DEP_3) | instskip(NEXT) | instid1(VALU_DEP_3)
	v_mad_i32_i24 v253, v234, v194, v253
	v_dot4_i32_iu8 v6, v3, v172, v6 neg_lo:[1,1,0]
	s_delay_alu instid0(VALU_DEP_3) | instskip(NEXT) | instid1(VALU_DEP_3)
	v_dot4_i32_iu8 v114, v223, v180, v114 neg_lo:[1,1,0]
	v_dot4_i32_iu8 v253, v223, v197, v253 neg_lo:[1,1,0]
	;; [unrolled: 9-line block ×4, first 2 shown]
	s_delay_alu instid0(VALU_DEP_3) | instskip(NEXT) | instid1(VALU_DEP_1)
	v_mul_lo_u32 v6, v6, v173
	v_mad_u32 v6, v114, v181, v6
	v_mul_f32_e32 v114, v165, v1
	s_delay_alu instid0(VALU_DEP_2) | instskip(NEXT) | instid1(VALU_DEP_1)
	v_cvt_f32_i32_e32 v6, v6
	v_mul_f32_e32 v6, v114, v6
	v_mul_i32_i24_e32 v114, v7, v183
	s_delay_alu instid0(VALU_DEP_1) | instskip(NEXT) | instid1(VALU_DEP_1)
	v_mad_i32_i24 v114, v115, v184, v114
	v_dot4_i32_iu8 v114, v2, v185, v114 neg_lo:[1,1,0]
	s_delay_alu instid0(VALU_DEP_1) | instskip(NEXT) | instid1(VALU_DEP_1)
	v_mad_i32_i24 v114, v216, v186, v114
	v_dot4_i32_iu8 v114, v3, v189, v114 neg_lo:[1,1,0]
	;; [unrolled: 3-line block ×4, first 2 shown]
	s_delay_alu instid0(VALU_DEP_1) | instskip(NEXT) | instid1(VALU_DEP_1)
	v_mul_lo_u32 v114, v114, v190
	v_mad_u32 v114, v253, v198, v114
	v_mul_f32_e32 v253, v182, v1
	s_delay_alu instid0(VALU_DEP_2) | instskip(NEXT) | instid1(VALU_DEP_1)
	v_cvt_f32_i32_e32 v114, v114
	v_mul_f32_e32 v114, v253, v114
	v_mul_i32_i24_e32 v253, v7, v201
	s_set_vgpr_msb 1                        ;  msbs: dst=0 src0=1 src1=0 src2=0
	v_mul_i32_i24_e32 v7, v14 /*v270*/, v7
	s_set_vgpr_msb 0                        ;  msbs: dst=0 src0=0 src1=0 src2=0
	s_delay_alu instid0(VALU_DEP_2) | instskip(SKIP_1) | instid1(VALU_DEP_2)
	v_mad_i32_i24 v253, v115, v202, v253
	s_set_vgpr_msb 1                        ;  msbs: dst=0 src0=1 src1=0 src2=0
	v_mad_i32_i24 v7, v3 /*v259*/, v115, v7
	s_set_vgpr_msb 0                        ;  msbs: dst=0 src0=0 src1=0 src2=0
	s_delay_alu instid0(VALU_DEP_2) | instskip(SKIP_1) | instid1(VALU_DEP_2)
	v_dot4_i32_iu8 v253, v2, v203, v253 neg_lo:[1,1,0]
	s_set_vgpr_msb 1                        ;  msbs: dst=0 src0=1 src1=0 src2=0
	v_dot4_i32_iu8 v2, v4 /*v260*/, v2, v7 neg_lo:[1,1,0]
	s_set_vgpr_msb 0                        ;  msbs: dst=0 src0=0 src1=0 src2=0
	s_delay_alu instid0(VALU_DEP_2) | instskip(NEXT) | instid1(VALU_DEP_2)
	v_mad_i32_i24 v253, v216, v204, v253
	v_mad_i32_i24 v2, v245, v216, v2
	s_delay_alu instid0(VALU_DEP_2) | instskip(NEXT) | instid1(VALU_DEP_2)
	v_dot4_i32_iu8 v253, v3, v207, v253 neg_lo:[1,1,0]
	v_dot4_i32_iu8 v2, v238, v3, v2 neg_lo:[1,1,0]
	s_set_vgpr_msb 1                        ;  msbs: dst=0 src0=1 src1=0 src2=0
	v_mul_i32_i24_e32 v3, v20 /*v276*/, v226
	s_set_vgpr_msb 0                        ;  msbs: dst=0 src0=0 src1=0 src2=0
	v_mad_i32_i24 v253, v205, v219, v253
	s_set_vgpr_msb 4                        ;  msbs: dst=0 src0=0 src1=1 src2=0
	v_mad_i32_i24 v2, v219, v13 /*v269*/, v2
	s_set_vgpr_msb 1                        ;  msbs: dst=0 src0=1 src1=0 src2=0
	v_mad_i32_i24 v3, v17 /*v273*/, v227, v3
	s_set_vgpr_msb 0                        ;  msbs: dst=0 src0=0 src1=0 src2=0
	v_dot4_i32_iu8 v253, v236, v4, v253 neg_lo:[1,1,0]
	v_dot4_i32_iu8 v2, v4, v215, v2 neg_lo:[1,1,0]
	s_delay_alu instid0(VALU_DEP_3) | instskip(NEXT) | instid1(VALU_DEP_3)
	v_dot4_i32_iu8 v3, v220, v222, v3 neg_lo:[1,1,0]
	v_mad_i32_i24 v218, v206, v218, v253
	s_delay_alu instid0(VALU_DEP_3) | instskip(NEXT) | instid1(VALU_DEP_3)
	v_dot4_i32_iu8 v2, v232, v5, v2 neg_lo:[1,1,0]
	v_mad_i32_i24 v3, v246, v234, v3
	s_delay_alu instid0(VALU_DEP_3) | instskip(SKIP_1) | instid1(VALU_DEP_3)
	v_dot4_i32_iu8 v218, v237, v252, v218 neg_lo:[1,1,0]
	v_mul_i32_i24_e32 v252, v226, v209
	v_dot4_i32_iu8 v3, v230, v223, v3 neg_lo:[1,1,0]
	v_mul_lo_u32 v2, v2, v248
	s_delay_alu instid0(VALU_DEP_4) | instskip(NEXT) | instid1(VALU_DEP_4)
	v_mul_lo_u32 v218, v218, v208
	v_mad_i32_i24 v252, v227, v210, v252
	s_set_vgpr_msb 4                        ;  msbs: dst=0 src0=0 src1=1 src2=0
	v_mad_i32_i24 v3, v250, v32 /*v288*/, v3
	s_set_vgpr_msb 0                        ;  msbs: dst=0 src0=0 src1=0 src2=0
	s_delay_alu instid0(VALU_DEP_2) | instskip(NEXT) | instid1(VALU_DEP_2)
	v_dot4_i32_iu8 v252, v222, v211, v252 neg_lo:[1,1,0]
	v_dot4_i32_iu8 v3, v224, v249, v3 neg_lo:[1,1,0]
	s_delay_alu instid0(VALU_DEP_2) | instskip(NEXT) | instid1(VALU_DEP_2)
	v_mad_i32_i24 v252, v234, v212, v252
	v_mad_i32_i24 v3, v231, v251, v3
	s_delay_alu instid0(VALU_DEP_2) | instskip(NEXT) | instid1(VALU_DEP_2)
	v_dot4_i32_iu8 v252, v223, v217, v252 neg_lo:[1,1,0]
	v_dot4_i32_iu8 v3, v199, v225, v3 neg_lo:[1,1,0]
	s_delay_alu instid0(VALU_DEP_2) | instskip(NEXT) | instid1(VALU_DEP_2)
	v_mad_i32_i24 v252, v213, v250, v252
	v_mad_u32 v2, v3, v239, v2
	s_delay_alu instid0(VALU_DEP_2) | instskip(NEXT) | instid1(VALU_DEP_1)
	v_dot4_i32_iu8 v252, v244, v224, v252 neg_lo:[1,1,0]
	v_mad_i32_i24 v252, v214, v251, v252
	s_delay_alu instid0(VALU_DEP_3) | instskip(NEXT) | instid1(VALU_DEP_2)
	v_cvt_f32_i32_e32 v2, v2
	v_dot4_i32_iu8 v252, v247, v225, v252 neg_lo:[1,1,0]
	s_delay_alu instid0(VALU_DEP_1) | instskip(SKIP_2) | instid1(VALU_DEP_1)
	v_mad_u32 v218, v252, v221, v218
	v_mul_f32_e32 v252, v200, v1
	v_mul_f32_e32 v1, v0, v1
	v_dual_mul_f32 v226, v1, v2 :: v_dual_bitop2_b32 v1, s18, v140 bitop3:0x54
	s_delay_alu instid0(VALU_DEP_4) | instskip(NEXT) | instid1(VALU_DEP_2)
	v_cvt_f32_i32_e32 v218, v218
	v_dual_lshlrev_b32 v7, 2, v1 :: v_dual_lshrrev_b32 v1, 1, v1
	ds_load_b32 v1, v1 offset:38816
	ds_load_b128 v[2:5], v7 offset:25344
	ds_load_b128 v[222:225], v7 offset:25360
	v_mul_f32_e32 v218, v252, v218
	s_wait_dscnt 0x1
	v_bfe_i32 v216, v2, 0, 8
	v_bfe_i32 v227, v2, 8, 8
	v_perm_b32 v2, v2, v2, 0xc0c0302
	v_bfe_i32 v234, v3, 0, 8
	v_perm_b32 v3, v3, v3, 0xc030201
	v_bfe_i32 v250, v4, 0, 8
	v_perm_b32 v4, v4, v4, 0xc030201
	v_bfe_i32 v219, v5, 0, 8
	s_set_vgpr_msb 64                       ;  msbs: dst=1 src0=0 src1=0 src2=0
	v_perm_b32 v0 /*v256*/, v5, v5, 0xc030201
	s_wait_dscnt 0x0
	s_set_vgpr_msb 0                        ;  msbs: dst=0 src0=0 src1=0 src2=0
	v_bfe_i32 v251, v222, 0, 8
	v_bfe_i32 v252, v222, 8, 8
	v_perm_b32 v222, v222, v222, 0xc0c0302
	v_bfe_i32 v253, v223, 0, 8
	v_perm_b32 v223, v223, v223, 0xc030201
	;; [unrolled: 2-line block ×4, first 2 shown]
	v_mul_i32_i24_e32 v7, v216, v166
	v_mul_i32_i24_e32 v115, v251, v174
	s_delay_alu instid0(VALU_DEP_2) | instskip(NEXT) | instid1(VALU_DEP_2)
	v_mad_i32_i24 v7, v227, v167, v7
	v_mad_i32_i24 v115, v252, v175, v115
	s_delay_alu instid0(VALU_DEP_2) | instskip(NEXT) | instid1(VALU_DEP_2)
	v_dot4_i32_iu8 v7, v2, v168, v7 neg_lo:[1,1,0]
	v_dot4_i32_iu8 v115, v222, v176, v115 neg_lo:[1,1,0]
	s_delay_alu instid0(VALU_DEP_2) | instskip(NEXT) | instid1(VALU_DEP_2)
	v_mad_i32_i24 v7, v234, v170, v7
	v_mad_i32_i24 v115, v253, v178, v115
	s_delay_alu instid0(VALU_DEP_2) | instskip(NEXT) | instid1(VALU_DEP_2)
	v_dot4_i32_iu8 v7, v3, v172, v7 neg_lo:[1,1,0]
	v_dot4_i32_iu8 v115, v223, v180, v115 neg_lo:[1,1,0]
	;; [unrolled: 6-line block ×3, first 2 shown]
	s_delay_alu instid0(VALU_DEP_2) | instskip(NEXT) | instid1(VALU_DEP_2)
	v_mad_i32_i24 v7, v171, v219, v7
	v_mad_i32_i24 v115, v179, v255, v115
	s_set_vgpr_msb 4                        ;  msbs: dst=0 src0=0 src1=1 src2=0
	s_delay_alu instid0(VALU_DEP_2) | instskip(SKIP_1) | instid1(VALU_DEP_2)
	v_dot4_i32_iu8 v7, v229, v0 /*v256*/, v7 neg_lo:[1,1,0]
	s_set_vgpr_msb 0                        ;  msbs: dst=0 src0=0 src1=0 src2=0
	v_dot4_i32_iu8 v115, v235, v225, v115 neg_lo:[1,1,0]
	s_delay_alu instid0(VALU_DEP_2) | instskip(NEXT) | instid1(VALU_DEP_1)
	v_mul_lo_u32 v7, v7, v173
	v_mad_u32 v7, v115, v181, v7
	v_mul_f32_e32 v115, v165, v1
	s_delay_alu instid0(VALU_DEP_2) | instskip(NEXT) | instid1(VALU_DEP_1)
	v_cvt_f32_i32_e32 v7, v7
	v_mul_f32_e32 v7, v115, v7
	s_delay_alu instid0(VALU_DEP_1) | instskip(SKIP_2) | instid1(VALU_DEP_2)
	v_pk_add_f32 v[92:93], v[92:93], v[6:7]
	v_mul_i32_i24_e32 v6, v216, v183
	v_mul_i32_i24_e32 v7, v251, v191
	v_mad_i32_i24 v6, v227, v184, v6
	s_delay_alu instid0(VALU_DEP_2) | instskip(NEXT) | instid1(VALU_DEP_2)
	v_mad_i32_i24 v7, v252, v192, v7
	v_dot4_i32_iu8 v6, v2, v185, v6 neg_lo:[1,1,0]
	s_delay_alu instid0(VALU_DEP_2) | instskip(NEXT) | instid1(VALU_DEP_2)
	v_dot4_i32_iu8 v7, v222, v193, v7 neg_lo:[1,1,0]
	v_mad_i32_i24 v6, v234, v186, v6
	s_delay_alu instid0(VALU_DEP_2) | instskip(NEXT) | instid1(VALU_DEP_2)
	v_mad_i32_i24 v7, v253, v194, v7
	v_dot4_i32_iu8 v6, v3, v189, v6 neg_lo:[1,1,0]
	s_delay_alu instid0(VALU_DEP_2) | instskip(NEXT) | instid1(VALU_DEP_2)
	v_dot4_i32_iu8 v7, v223, v197, v7 neg_lo:[1,1,0]
	;; [unrolled: 6-line block ×3, first 2 shown]
	v_mad_i32_i24 v6, v188, v219, v6
	s_delay_alu instid0(VALU_DEP_2) | instskip(SKIP_1) | instid1(VALU_DEP_2)
	v_mad_i32_i24 v7, v196, v255, v7
	s_set_vgpr_msb 4                        ;  msbs: dst=0 src0=0 src1=1 src2=0
	v_dot4_i32_iu8 v6, v241, v0 /*v256*/, v6 neg_lo:[1,1,0]
	s_set_vgpr_msb 0                        ;  msbs: dst=0 src0=0 src1=0 src2=0
	s_delay_alu instid0(VALU_DEP_2) | instskip(NEXT) | instid1(VALU_DEP_2)
	v_dot4_i32_iu8 v7, v243, v225, v7 neg_lo:[1,1,0]
	v_mul_lo_u32 v6, v6, v190
	s_delay_alu instid0(VALU_DEP_1) | instskip(SKIP_1) | instid1(VALU_DEP_2)
	v_mad_u32 v6, v7, v198, v6
	v_mul_f32_e32 v7, v182, v1
	v_cvt_f32_i32_e32 v6, v6
	s_delay_alu instid0(VALU_DEP_1) | instskip(SKIP_2) | instid1(VALU_DEP_3)
	v_mul_f32_e32 v115, v7, v6
	v_mul_i32_i24_e32 v6, v216, v201
	v_mul_i32_i24_e32 v7, v251, v209
	v_pk_add_f32 v[100:101], v[100:101], v[114:115]
	s_delay_alu instid0(VALU_DEP_3) | instskip(NEXT) | instid1(VALU_DEP_3)
	v_mad_i32_i24 v6, v227, v202, v6
	v_mad_i32_i24 v7, v252, v210, v7
	s_delay_alu instid0(VALU_DEP_2) | instskip(NEXT) | instid1(VALU_DEP_2)
	v_dot4_i32_iu8 v6, v2, v203, v6 neg_lo:[1,1,0]
	v_dot4_i32_iu8 v7, v222, v211, v7 neg_lo:[1,1,0]
	s_delay_alu instid0(VALU_DEP_2) | instskip(NEXT) | instid1(VALU_DEP_2)
	v_mad_i32_i24 v6, v234, v204, v6
	v_mad_i32_i24 v7, v253, v212, v7
	s_delay_alu instid0(VALU_DEP_2) | instskip(NEXT) | instid1(VALU_DEP_2)
	v_dot4_i32_iu8 v6, v3, v207, v6 neg_lo:[1,1,0]
	v_dot4_i32_iu8 v7, v223, v217, v7 neg_lo:[1,1,0]
	s_delay_alu instid0(VALU_DEP_2) | instskip(NEXT) | instid1(VALU_DEP_2)
	;; [unrolled: 6-line block ×3, first 2 shown]
	v_mad_i32_i24 v6, v206, v219, v6
	v_mad_i32_i24 v7, v214, v255, v7
	s_set_vgpr_msb 4                        ;  msbs: dst=0 src0=0 src1=1 src2=0
	s_delay_alu instid0(VALU_DEP_2) | instskip(SKIP_1) | instid1(VALU_DEP_2)
	v_dot4_i32_iu8 v6, v237, v0 /*v256*/, v6 neg_lo:[1,1,0]
	s_set_vgpr_msb 0                        ;  msbs: dst=0 src0=0 src1=0 src2=0
	v_dot4_i32_iu8 v7, v247, v225, v7 neg_lo:[1,1,0]
	s_delay_alu instid0(VALU_DEP_2) | instskip(NEXT) | instid1(VALU_DEP_1)
	v_mul_lo_u32 v6, v6, v208
	v_mad_u32 v6, v7, v221, v6
	v_mul_f32_e32 v7, v200, v1
	v_mul_f32_e32 v1, v0, v1
	s_delay_alu instid0(VALU_DEP_3) | instskip(NEXT) | instid1(VALU_DEP_1)
	v_cvt_f32_i32_e32 v6, v6
	v_mul_f32_e32 v219, v7, v6
	s_set_vgpr_msb 1                        ;  msbs: dst=0 src0=1 src1=0 src2=0
	v_mul_i32_i24_e32 v6, v14 /*v270*/, v216
	s_set_vgpr_msb 0                        ;  msbs: dst=0 src0=0 src1=0 src2=0
	s_delay_alu instid0(VALU_DEP_2) | instskip(SKIP_1) | instid1(VALU_DEP_2)
	v_pk_add_f32 v[102:103], v[102:103], v[218:219]
	s_set_vgpr_msb 1                        ;  msbs: dst=0 src0=1 src1=0 src2=0
	v_mad_i32_i24 v6, v3 /*v259*/, v227, v6
	s_delay_alu instid0(VALU_DEP_1) | instskip(SKIP_1) | instid1(VALU_DEP_1)
	v_dot4_i32_iu8 v2, v4 /*v260*/, v2, v6 neg_lo:[1,1,0]
	s_set_vgpr_msb 0                        ;  msbs: dst=0 src0=0 src1=0 src2=0
	v_mad_i32_i24 v2, v245, v234, v2
	s_delay_alu instid0(VALU_DEP_1) | instskip(SKIP_3) | instid1(VALU_DEP_2)
	v_dot4_i32_iu8 v2, v238, v3, v2 neg_lo:[1,1,0]
	s_set_vgpr_msb 1                        ;  msbs: dst=0 src0=1 src1=0 src2=0
	v_mul_i32_i24_e32 v3, v20 /*v276*/, v251
	s_set_vgpr_msb 4                        ;  msbs: dst=0 src0=0 src1=1 src2=0
	v_mad_i32_i24 v2, v250, v13 /*v269*/, v2
	s_set_vgpr_msb 1                        ;  msbs: dst=0 src0=1 src1=0 src2=0
	s_delay_alu instid0(VALU_DEP_2) | instskip(SKIP_1) | instid1(VALU_DEP_2)
	v_mad_i32_i24 v3, v17 /*v273*/, v252, v3
	s_set_vgpr_msb 0                        ;  msbs: dst=0 src0=0 src1=0 src2=0
	v_dot4_i32_iu8 v2, v4, v215, v2 neg_lo:[1,1,0]
	s_delay_alu instid0(VALU_DEP_2) | instskip(NEXT) | instid1(VALU_DEP_2)
	v_dot4_i32_iu8 v3, v220, v222, v3 neg_lo:[1,1,0]
	v_dot4_i32_iu8 v2, v232, v5, v2 neg_lo:[1,1,0]
	s_delay_alu instid0(VALU_DEP_2) | instskip(NEXT) | instid1(VALU_DEP_2)
	v_mad_i32_i24 v3, v246, v253, v3
	v_mul_lo_u32 v2, v2, v248
	s_delay_alu instid0(VALU_DEP_2) | instskip(SKIP_1) | instid1(VALU_DEP_1)
	v_dot4_i32_iu8 v3, v230, v223, v3 neg_lo:[1,1,0]
	s_set_vgpr_msb 4                        ;  msbs: dst=0 src0=0 src1=1 src2=0
	v_mad_i32_i24 v3, v254, v32 /*v288*/, v3
	s_set_vgpr_msb 0                        ;  msbs: dst=0 src0=0 src1=0 src2=0
	s_delay_alu instid0(VALU_DEP_1) | instskip(NEXT) | instid1(VALU_DEP_1)
	v_dot4_i32_iu8 v3, v224, v249, v3 neg_lo:[1,1,0]
	v_mad_i32_i24 v3, v231, v255, v3
	s_delay_alu instid0(VALU_DEP_1) | instskip(NEXT) | instid1(VALU_DEP_1)
	v_dot4_i32_iu8 v3, v199, v225, v3 neg_lo:[1,1,0]
	v_mad_u32 v2, v3, v239, v2
	s_delay_alu instid0(VALU_DEP_1) | instskip(NEXT) | instid1(VALU_DEP_1)
	v_cvt_f32_i32_e32 v2, v2
	v_dual_mul_f32 v227, v1, v2 :: v_dual_bitop2_b32 v1, s18, v141 bitop3:0x54
	s_delay_alu instid0(VALU_DEP_1) | instskip(NEXT) | instid1(VALU_DEP_2)
	v_pk_add_f32 v[68:69], v[68:69], v[226:227]
	v_dual_lshlrev_b32 v6, 2, v1 :: v_dual_lshrrev_b32 v1, 1, v1
	ds_load_b32 v1, v1 offset:38816
	ds_load_b128 v[2:5], v6 offset:25344
	ds_load_b128 v[222:225], v6 offset:25360
	s_wait_dscnt 0x1
	v_bfe_i32 v7, v2, 0, 8
	v_bfe_i32 v115, v2, 8, 8
	v_perm_b32 v2, v2, v2, 0xc0c0302
	v_bfe_i32 v216, v3, 0, 8
	v_perm_b32 v3, v3, v3, 0xc030201
	;; [unrolled: 2-line block ×4, first 2 shown]
	s_wait_dscnt 0x0
	v_bfe_i32 v226, v222, 0, 8
	v_bfe_i32 v227, v222, 8, 8
	v_perm_b32 v222, v222, v222, 0xc0c0302
	v_bfe_i32 v234, v223, 0, 8
	v_perm_b32 v223, v223, v223, 0xc030201
	v_bfe_i32 v250, v224, 0, 8
	v_perm_b32 v224, v224, v224, 0xc030201
	v_bfe_i32 v251, v225, 0, 8
	v_perm_b32 v225, v225, v225, 0xc030201
	v_mul_i32_i24_e32 v6, v7, v166
	v_mul_i32_i24_e32 v114, v226, v174
	;; [unrolled: 1-line block ×3, first 2 shown]
	s_delay_alu instid0(VALU_DEP_3) | instskip(NEXT) | instid1(VALU_DEP_3)
	v_mad_i32_i24 v6, v115, v167, v6
	v_mad_i32_i24 v114, v227, v175, v114
	s_delay_alu instid0(VALU_DEP_3) | instskip(NEXT) | instid1(VALU_DEP_3)
	v_mad_i32_i24 v253, v227, v192, v253
	v_dot4_i32_iu8 v6, v2, v168, v6 neg_lo:[1,1,0]
	s_delay_alu instid0(VALU_DEP_3) | instskip(NEXT) | instid1(VALU_DEP_3)
	v_dot4_i32_iu8 v114, v222, v176, v114 neg_lo:[1,1,0]
	v_dot4_i32_iu8 v253, v222, v193, v253 neg_lo:[1,1,0]
	s_delay_alu instid0(VALU_DEP_3) | instskip(NEXT) | instid1(VALU_DEP_3)
	v_mad_i32_i24 v6, v216, v170, v6
	v_mad_i32_i24 v114, v234, v178, v114
	s_delay_alu instid0(VALU_DEP_3) | instskip(NEXT) | instid1(VALU_DEP_3)
	v_mad_i32_i24 v253, v234, v194, v253
	v_dot4_i32_iu8 v6, v3, v172, v6 neg_lo:[1,1,0]
	s_delay_alu instid0(VALU_DEP_3) | instskip(NEXT) | instid1(VALU_DEP_3)
	v_dot4_i32_iu8 v114, v223, v180, v114 neg_lo:[1,1,0]
	v_dot4_i32_iu8 v253, v223, v197, v253 neg_lo:[1,1,0]
	;; [unrolled: 9-line block ×4, first 2 shown]
	s_delay_alu instid0(VALU_DEP_3) | instskip(NEXT) | instid1(VALU_DEP_1)
	v_mul_lo_u32 v6, v6, v173
	v_mad_u32 v6, v114, v181, v6
	v_mul_f32_e32 v114, v165, v1
	s_delay_alu instid0(VALU_DEP_2) | instskip(NEXT) | instid1(VALU_DEP_1)
	v_cvt_f32_i32_e32 v6, v6
	v_mul_f32_e32 v6, v114, v6
	v_mul_i32_i24_e32 v114, v7, v183
	s_delay_alu instid0(VALU_DEP_1) | instskip(NEXT) | instid1(VALU_DEP_1)
	v_mad_i32_i24 v114, v115, v184, v114
	v_dot4_i32_iu8 v114, v2, v185, v114 neg_lo:[1,1,0]
	s_delay_alu instid0(VALU_DEP_1) | instskip(NEXT) | instid1(VALU_DEP_1)
	v_mad_i32_i24 v114, v216, v186, v114
	v_dot4_i32_iu8 v114, v3, v189, v114 neg_lo:[1,1,0]
	;; [unrolled: 3-line block ×4, first 2 shown]
	s_delay_alu instid0(VALU_DEP_1) | instskip(NEXT) | instid1(VALU_DEP_1)
	v_mul_lo_u32 v114, v114, v190
	v_mad_u32 v114, v253, v198, v114
	v_mul_f32_e32 v253, v182, v1
	s_delay_alu instid0(VALU_DEP_2) | instskip(NEXT) | instid1(VALU_DEP_1)
	v_cvt_f32_i32_e32 v114, v114
	v_mul_f32_e32 v114, v253, v114
	v_mul_i32_i24_e32 v253, v7, v201
	s_set_vgpr_msb 1                        ;  msbs: dst=0 src0=1 src1=0 src2=0
	v_mul_i32_i24_e32 v7, v14 /*v270*/, v7
	s_set_vgpr_msb 0                        ;  msbs: dst=0 src0=0 src1=0 src2=0
	s_delay_alu instid0(VALU_DEP_2) | instskip(SKIP_1) | instid1(VALU_DEP_2)
	v_mad_i32_i24 v253, v115, v202, v253
	s_set_vgpr_msb 1                        ;  msbs: dst=0 src0=1 src1=0 src2=0
	v_mad_i32_i24 v7, v3 /*v259*/, v115, v7
	s_set_vgpr_msb 0                        ;  msbs: dst=0 src0=0 src1=0 src2=0
	s_delay_alu instid0(VALU_DEP_2) | instskip(SKIP_1) | instid1(VALU_DEP_2)
	v_dot4_i32_iu8 v253, v2, v203, v253 neg_lo:[1,1,0]
	s_set_vgpr_msb 1                        ;  msbs: dst=0 src0=1 src1=0 src2=0
	v_dot4_i32_iu8 v2, v4 /*v260*/, v2, v7 neg_lo:[1,1,0]
	s_set_vgpr_msb 0                        ;  msbs: dst=0 src0=0 src1=0 src2=0
	s_delay_alu instid0(VALU_DEP_2) | instskip(NEXT) | instid1(VALU_DEP_2)
	v_mad_i32_i24 v253, v216, v204, v253
	v_mad_i32_i24 v2, v245, v216, v2
	s_delay_alu instid0(VALU_DEP_2) | instskip(NEXT) | instid1(VALU_DEP_2)
	v_dot4_i32_iu8 v253, v3, v207, v253 neg_lo:[1,1,0]
	v_dot4_i32_iu8 v2, v238, v3, v2 neg_lo:[1,1,0]
	s_set_vgpr_msb 1                        ;  msbs: dst=0 src0=1 src1=0 src2=0
	v_mul_i32_i24_e32 v3, v20 /*v276*/, v226
	s_set_vgpr_msb 0                        ;  msbs: dst=0 src0=0 src1=0 src2=0
	v_mad_i32_i24 v253, v205, v219, v253
	s_set_vgpr_msb 4                        ;  msbs: dst=0 src0=0 src1=1 src2=0
	v_mad_i32_i24 v2, v219, v13 /*v269*/, v2
	s_set_vgpr_msb 1                        ;  msbs: dst=0 src0=1 src1=0 src2=0
	v_mad_i32_i24 v3, v17 /*v273*/, v227, v3
	s_set_vgpr_msb 0                        ;  msbs: dst=0 src0=0 src1=0 src2=0
	v_dot4_i32_iu8 v253, v236, v4, v253 neg_lo:[1,1,0]
	v_dot4_i32_iu8 v2, v4, v215, v2 neg_lo:[1,1,0]
	s_delay_alu instid0(VALU_DEP_3) | instskip(NEXT) | instid1(VALU_DEP_3)
	v_dot4_i32_iu8 v3, v220, v222, v3 neg_lo:[1,1,0]
	v_mad_i32_i24 v218, v206, v218, v253
	s_delay_alu instid0(VALU_DEP_3) | instskip(NEXT) | instid1(VALU_DEP_3)
	v_dot4_i32_iu8 v2, v232, v5, v2 neg_lo:[1,1,0]
	v_mad_i32_i24 v3, v246, v234, v3
	s_delay_alu instid0(VALU_DEP_3) | instskip(SKIP_1) | instid1(VALU_DEP_3)
	v_dot4_i32_iu8 v218, v237, v252, v218 neg_lo:[1,1,0]
	v_mul_i32_i24_e32 v252, v226, v209
	v_dot4_i32_iu8 v3, v230, v223, v3 neg_lo:[1,1,0]
	v_mul_lo_u32 v2, v2, v248
	s_delay_alu instid0(VALU_DEP_4) | instskip(NEXT) | instid1(VALU_DEP_4)
	v_mul_lo_u32 v218, v218, v208
	v_mad_i32_i24 v252, v227, v210, v252
	s_set_vgpr_msb 4                        ;  msbs: dst=0 src0=0 src1=1 src2=0
	v_mad_i32_i24 v3, v250, v32 /*v288*/, v3
	s_set_vgpr_msb 0                        ;  msbs: dst=0 src0=0 src1=0 src2=0
	s_delay_alu instid0(VALU_DEP_2) | instskip(NEXT) | instid1(VALU_DEP_2)
	v_dot4_i32_iu8 v252, v222, v211, v252 neg_lo:[1,1,0]
	v_dot4_i32_iu8 v3, v224, v249, v3 neg_lo:[1,1,0]
	s_delay_alu instid0(VALU_DEP_2) | instskip(NEXT) | instid1(VALU_DEP_2)
	v_mad_i32_i24 v252, v234, v212, v252
	v_mad_i32_i24 v3, v231, v251, v3
	s_delay_alu instid0(VALU_DEP_2) | instskip(NEXT) | instid1(VALU_DEP_2)
	v_dot4_i32_iu8 v252, v223, v217, v252 neg_lo:[1,1,0]
	v_dot4_i32_iu8 v3, v199, v225, v3 neg_lo:[1,1,0]
	s_delay_alu instid0(VALU_DEP_2) | instskip(NEXT) | instid1(VALU_DEP_2)
	v_mad_i32_i24 v252, v213, v250, v252
	v_mad_u32 v2, v3, v239, v2
	s_delay_alu instid0(VALU_DEP_2) | instskip(NEXT) | instid1(VALU_DEP_1)
	v_dot4_i32_iu8 v252, v244, v224, v252 neg_lo:[1,1,0]
	v_mad_i32_i24 v252, v214, v251, v252
	s_delay_alu instid0(VALU_DEP_3) | instskip(NEXT) | instid1(VALU_DEP_2)
	v_cvt_f32_i32_e32 v2, v2
	v_dot4_i32_iu8 v252, v247, v225, v252 neg_lo:[1,1,0]
	s_delay_alu instid0(VALU_DEP_1) | instskip(SKIP_2) | instid1(VALU_DEP_1)
	v_mad_u32 v218, v252, v221, v218
	v_mul_f32_e32 v252, v200, v1
	v_mul_f32_e32 v1, v0, v1
	;; [unrolled: 1-line block ×3, first 2 shown]
	v_or_b32_e32 v1, s18, v142
	v_cvt_f32_i32_e32 v218, v218
	s_delay_alu instid0(VALU_DEP_2)
	v_dual_lshlrev_b32 v7, 2, v1 :: v_dual_lshrrev_b32 v1, 1, v1
	ds_load_b32 v1, v1 offset:38816
	ds_load_b128 v[2:5], v7 offset:25344
	ds_load_b128 v[222:225], v7 offset:25360
	v_mul_f32_e32 v218, v252, v218
	s_wait_dscnt 0x1
	v_bfe_i32 v216, v2, 0, 8
	v_bfe_i32 v227, v2, 8, 8
	v_perm_b32 v2, v2, v2, 0xc0c0302
	v_bfe_i32 v234, v3, 0, 8
	v_perm_b32 v3, v3, v3, 0xc030201
	;; [unrolled: 2-line block ×3, first 2 shown]
	v_bfe_i32 v219, v5, 0, 8
	s_set_vgpr_msb 64                       ;  msbs: dst=1 src0=0 src1=0 src2=0
	v_perm_b32 v0 /*v256*/, v5, v5, 0xc030201
	s_wait_dscnt 0x0
	s_set_vgpr_msb 0                        ;  msbs: dst=0 src0=0 src1=0 src2=0
	v_bfe_i32 v251, v222, 0, 8
	v_bfe_i32 v252, v222, 8, 8
	v_perm_b32 v222, v222, v222, 0xc0c0302
	v_bfe_i32 v253, v223, 0, 8
	v_perm_b32 v223, v223, v223, 0xc030201
	v_bfe_i32 v254, v224, 0, 8
	v_perm_b32 v224, v224, v224, 0xc030201
	v_bfe_i32 v255, v225, 0, 8
	v_perm_b32 v225, v225, v225, 0xc030201
	v_mul_i32_i24_e32 v7, v216, v166
	v_mul_i32_i24_e32 v115, v251, v174
	s_delay_alu instid0(VALU_DEP_2) | instskip(NEXT) | instid1(VALU_DEP_2)
	v_mad_i32_i24 v7, v227, v167, v7
	v_mad_i32_i24 v115, v252, v175, v115
	s_delay_alu instid0(VALU_DEP_2) | instskip(NEXT) | instid1(VALU_DEP_2)
	v_dot4_i32_iu8 v7, v2, v168, v7 neg_lo:[1,1,0]
	v_dot4_i32_iu8 v115, v222, v176, v115 neg_lo:[1,1,0]
	s_delay_alu instid0(VALU_DEP_2) | instskip(NEXT) | instid1(VALU_DEP_2)
	v_mad_i32_i24 v7, v234, v170, v7
	v_mad_i32_i24 v115, v253, v178, v115
	s_delay_alu instid0(VALU_DEP_2) | instskip(NEXT) | instid1(VALU_DEP_2)
	v_dot4_i32_iu8 v7, v3, v172, v7 neg_lo:[1,1,0]
	v_dot4_i32_iu8 v115, v223, v180, v115 neg_lo:[1,1,0]
	s_delay_alu instid0(VALU_DEP_2) | instskip(NEXT) | instid1(VALU_DEP_2)
	v_mad_i32_i24 v7, v169, v250, v7
	v_mad_i32_i24 v115, v177, v254, v115
	s_delay_alu instid0(VALU_DEP_2) | instskip(NEXT) | instid1(VALU_DEP_2)
	v_dot4_i32_iu8 v7, v228, v4, v7 neg_lo:[1,1,0]
	v_dot4_i32_iu8 v115, v233, v224, v115 neg_lo:[1,1,0]
	s_delay_alu instid0(VALU_DEP_2) | instskip(NEXT) | instid1(VALU_DEP_2)
	v_mad_i32_i24 v7, v171, v219, v7
	v_mad_i32_i24 v115, v179, v255, v115
	s_set_vgpr_msb 4                        ;  msbs: dst=0 src0=0 src1=1 src2=0
	s_delay_alu instid0(VALU_DEP_2) | instskip(SKIP_1) | instid1(VALU_DEP_2)
	v_dot4_i32_iu8 v7, v229, v0 /*v256*/, v7 neg_lo:[1,1,0]
	s_set_vgpr_msb 0                        ;  msbs: dst=0 src0=0 src1=0 src2=0
	v_dot4_i32_iu8 v115, v235, v225, v115 neg_lo:[1,1,0]
	s_delay_alu instid0(VALU_DEP_2) | instskip(NEXT) | instid1(VALU_DEP_1)
	v_mul_lo_u32 v7, v7, v173
	v_mad_u32 v7, v115, v181, v7
	v_mul_f32_e32 v115, v165, v1
	s_delay_alu instid0(VALU_DEP_2) | instskip(NEXT) | instid1(VALU_DEP_1)
	v_cvt_f32_i32_e32 v7, v7
	v_mul_f32_e32 v7, v115, v7
	s_delay_alu instid0(VALU_DEP_1) | instskip(SKIP_2) | instid1(VALU_DEP_2)
	v_pk_add_f32 v[70:71], v[70:71], v[6:7]
	v_mul_i32_i24_e32 v6, v216, v183
	v_mul_i32_i24_e32 v7, v251, v191
	v_mad_i32_i24 v6, v227, v184, v6
	s_delay_alu instid0(VALU_DEP_2) | instskip(NEXT) | instid1(VALU_DEP_2)
	v_mad_i32_i24 v7, v252, v192, v7
	v_dot4_i32_iu8 v6, v2, v185, v6 neg_lo:[1,1,0]
	s_delay_alu instid0(VALU_DEP_2) | instskip(NEXT) | instid1(VALU_DEP_2)
	v_dot4_i32_iu8 v7, v222, v193, v7 neg_lo:[1,1,0]
	v_mad_i32_i24 v6, v234, v186, v6
	s_delay_alu instid0(VALU_DEP_2) | instskip(NEXT) | instid1(VALU_DEP_2)
	v_mad_i32_i24 v7, v253, v194, v7
	v_dot4_i32_iu8 v6, v3, v189, v6 neg_lo:[1,1,0]
	s_delay_alu instid0(VALU_DEP_2) | instskip(NEXT) | instid1(VALU_DEP_2)
	v_dot4_i32_iu8 v7, v223, v197, v7 neg_lo:[1,1,0]
	;; [unrolled: 6-line block ×3, first 2 shown]
	v_mad_i32_i24 v6, v188, v219, v6
	s_delay_alu instid0(VALU_DEP_2) | instskip(SKIP_1) | instid1(VALU_DEP_2)
	v_mad_i32_i24 v7, v196, v255, v7
	s_set_vgpr_msb 4                        ;  msbs: dst=0 src0=0 src1=1 src2=0
	v_dot4_i32_iu8 v6, v241, v0 /*v256*/, v6 neg_lo:[1,1,0]
	s_set_vgpr_msb 0                        ;  msbs: dst=0 src0=0 src1=0 src2=0
	s_delay_alu instid0(VALU_DEP_2) | instskip(NEXT) | instid1(VALU_DEP_2)
	v_dot4_i32_iu8 v7, v243, v225, v7 neg_lo:[1,1,0]
	v_mul_lo_u32 v6, v6, v190
	s_delay_alu instid0(VALU_DEP_1) | instskip(SKIP_1) | instid1(VALU_DEP_2)
	v_mad_u32 v6, v7, v198, v6
	v_mul_f32_e32 v7, v182, v1
	v_cvt_f32_i32_e32 v6, v6
	s_delay_alu instid0(VALU_DEP_1) | instskip(SKIP_2) | instid1(VALU_DEP_3)
	v_mul_f32_e32 v115, v7, v6
	v_mul_i32_i24_e32 v6, v216, v201
	v_mul_i32_i24_e32 v7, v251, v209
	v_pk_add_f32 v[78:79], v[78:79], v[114:115]
	s_delay_alu instid0(VALU_DEP_3) | instskip(NEXT) | instid1(VALU_DEP_3)
	v_mad_i32_i24 v6, v227, v202, v6
	v_mad_i32_i24 v7, v252, v210, v7
	s_delay_alu instid0(VALU_DEP_2) | instskip(NEXT) | instid1(VALU_DEP_2)
	v_dot4_i32_iu8 v6, v2, v203, v6 neg_lo:[1,1,0]
	v_dot4_i32_iu8 v7, v222, v211, v7 neg_lo:[1,1,0]
	s_delay_alu instid0(VALU_DEP_2) | instskip(NEXT) | instid1(VALU_DEP_2)
	v_mad_i32_i24 v6, v234, v204, v6
	v_mad_i32_i24 v7, v253, v212, v7
	s_delay_alu instid0(VALU_DEP_2) | instskip(NEXT) | instid1(VALU_DEP_2)
	v_dot4_i32_iu8 v6, v3, v207, v6 neg_lo:[1,1,0]
	v_dot4_i32_iu8 v7, v223, v217, v7 neg_lo:[1,1,0]
	s_delay_alu instid0(VALU_DEP_2) | instskip(NEXT) | instid1(VALU_DEP_2)
	;; [unrolled: 6-line block ×3, first 2 shown]
	v_mad_i32_i24 v6, v206, v219, v6
	v_mad_i32_i24 v7, v214, v255, v7
	s_set_vgpr_msb 4                        ;  msbs: dst=0 src0=0 src1=1 src2=0
	s_delay_alu instid0(VALU_DEP_2) | instskip(SKIP_1) | instid1(VALU_DEP_2)
	v_dot4_i32_iu8 v6, v237, v0 /*v256*/, v6 neg_lo:[1,1,0]
	s_set_vgpr_msb 0                        ;  msbs: dst=0 src0=0 src1=0 src2=0
	v_dot4_i32_iu8 v7, v247, v225, v7 neg_lo:[1,1,0]
	s_delay_alu instid0(VALU_DEP_2) | instskip(NEXT) | instid1(VALU_DEP_1)
	v_mul_lo_u32 v6, v6, v208
	v_mad_u32 v6, v7, v221, v6
	v_mul_f32_e32 v7, v200, v1
	v_mul_f32_e32 v1, v0, v1
	s_delay_alu instid0(VALU_DEP_3) | instskip(NEXT) | instid1(VALU_DEP_1)
	v_cvt_f32_i32_e32 v6, v6
	v_mul_f32_e32 v219, v7, v6
	s_set_vgpr_msb 1                        ;  msbs: dst=0 src0=1 src1=0 src2=0
	v_mul_i32_i24_e32 v6, v14 /*v270*/, v216
	s_set_vgpr_msb 0                        ;  msbs: dst=0 src0=0 src1=0 src2=0
	s_delay_alu instid0(VALU_DEP_2) | instskip(SKIP_1) | instid1(VALU_DEP_2)
	v_pk_add_f32 v[88:89], v[88:89], v[218:219]
	s_set_vgpr_msb 1                        ;  msbs: dst=0 src0=1 src1=0 src2=0
	v_mad_i32_i24 v6, v3 /*v259*/, v227, v6
	s_delay_alu instid0(VALU_DEP_1) | instskip(SKIP_1) | instid1(VALU_DEP_1)
	v_dot4_i32_iu8 v2, v4 /*v260*/, v2, v6 neg_lo:[1,1,0]
	s_set_vgpr_msb 0                        ;  msbs: dst=0 src0=0 src1=0 src2=0
	v_mad_i32_i24 v2, v245, v234, v2
	s_delay_alu instid0(VALU_DEP_1) | instskip(SKIP_3) | instid1(VALU_DEP_2)
	v_dot4_i32_iu8 v2, v238, v3, v2 neg_lo:[1,1,0]
	s_set_vgpr_msb 1                        ;  msbs: dst=0 src0=1 src1=0 src2=0
	v_mul_i32_i24_e32 v3, v20 /*v276*/, v251
	s_set_vgpr_msb 4                        ;  msbs: dst=0 src0=0 src1=1 src2=0
	v_mad_i32_i24 v2, v250, v13 /*v269*/, v2
	s_set_vgpr_msb 1                        ;  msbs: dst=0 src0=1 src1=0 src2=0
	s_delay_alu instid0(VALU_DEP_2) | instskip(SKIP_1) | instid1(VALU_DEP_2)
	v_mad_i32_i24 v3, v17 /*v273*/, v252, v3
	s_set_vgpr_msb 0                        ;  msbs: dst=0 src0=0 src1=0 src2=0
	v_dot4_i32_iu8 v2, v4, v215, v2 neg_lo:[1,1,0]
	s_delay_alu instid0(VALU_DEP_2) | instskip(NEXT) | instid1(VALU_DEP_2)
	v_dot4_i32_iu8 v3, v220, v222, v3 neg_lo:[1,1,0]
	v_dot4_i32_iu8 v2, v232, v5, v2 neg_lo:[1,1,0]
	s_delay_alu instid0(VALU_DEP_2) | instskip(NEXT) | instid1(VALU_DEP_2)
	v_mad_i32_i24 v3, v246, v253, v3
	v_mul_lo_u32 v2, v2, v248
	s_delay_alu instid0(VALU_DEP_2) | instskip(SKIP_1) | instid1(VALU_DEP_1)
	v_dot4_i32_iu8 v3, v230, v223, v3 neg_lo:[1,1,0]
	s_set_vgpr_msb 4                        ;  msbs: dst=0 src0=0 src1=1 src2=0
	v_mad_i32_i24 v3, v254, v32 /*v288*/, v3
	s_set_vgpr_msb 0                        ;  msbs: dst=0 src0=0 src1=0 src2=0
	s_delay_alu instid0(VALU_DEP_1) | instskip(NEXT) | instid1(VALU_DEP_1)
	v_dot4_i32_iu8 v3, v224, v249, v3 neg_lo:[1,1,0]
	v_mad_i32_i24 v3, v231, v255, v3
	s_delay_alu instid0(VALU_DEP_1) | instskip(NEXT) | instid1(VALU_DEP_1)
	v_dot4_i32_iu8 v3, v199, v225, v3 neg_lo:[1,1,0]
	v_mad_u32 v2, v3, v239, v2
	s_delay_alu instid0(VALU_DEP_1) | instskip(NEXT) | instid1(VALU_DEP_1)
	v_cvt_f32_i32_e32 v2, v2
	v_dual_mul_f32 v227, v1, v2 :: v_dual_bitop2_b32 v1, s18, v143 bitop3:0x54
	s_delay_alu instid0(VALU_DEP_1) | instskip(NEXT) | instid1(VALU_DEP_2)
	v_pk_add_f32 v[46:47], v[46:47], v[226:227]
	v_dual_lshlrev_b32 v6, 2, v1 :: v_dual_lshrrev_b32 v1, 1, v1
	ds_load_b32 v1, v1 offset:38816
	ds_load_b128 v[2:5], v6 offset:25344
	ds_load_b128 v[222:225], v6 offset:25360
	s_wait_dscnt 0x1
	v_bfe_i32 v7, v2, 0, 8
	v_bfe_i32 v115, v2, 8, 8
	v_perm_b32 v2, v2, v2, 0xc0c0302
	v_bfe_i32 v218, v3, 0, 8
	v_perm_b32 v3, v3, v3, 0xc030201
	v_bfe_i32 v219, v4, 0, 8
	v_perm_b32 v4, v4, v4, 0xc030201
	v_bfe_i32 v216, v5, 0, 8
	v_perm_b32 v252, v5, v5, 0xc030201
	s_wait_dscnt 0x0
	v_bfe_i32 v226, v222, 0, 8
	v_bfe_i32 v227, v222, 8, 8
	v_perm_b32 v222, v222, v222, 0xc0c0302
	v_bfe_i32 v234, v223, 0, 8
	v_perm_b32 v223, v223, v223, 0xc030201
	;; [unrolled: 2-line block ×4, first 2 shown]
	v_mul_i32_i24_e32 v6, v7, v166
	v_mul_i32_i24_e32 v114, v226, v174
	;; [unrolled: 1-line block ×3, first 2 shown]
	s_delay_alu instid0(VALU_DEP_3) | instskip(NEXT) | instid1(VALU_DEP_3)
	v_mad_i32_i24 v6, v115, v167, v6
	v_mad_i32_i24 v114, v227, v175, v114
	s_delay_alu instid0(VALU_DEP_3) | instskip(NEXT) | instid1(VALU_DEP_3)
	v_mad_i32_i24 v253, v227, v192, v253
	v_dot4_i32_iu8 v6, v2, v168, v6 neg_lo:[1,1,0]
	s_delay_alu instid0(VALU_DEP_3) | instskip(NEXT) | instid1(VALU_DEP_3)
	v_dot4_i32_iu8 v114, v222, v176, v114 neg_lo:[1,1,0]
	v_dot4_i32_iu8 v253, v222, v193, v253 neg_lo:[1,1,0]
	s_delay_alu instid0(VALU_DEP_3) | instskip(NEXT) | instid1(VALU_DEP_3)
	v_mad_i32_i24 v6, v218, v170, v6
	v_mad_i32_i24 v114, v234, v178, v114
	s_delay_alu instid0(VALU_DEP_3) | instskip(NEXT) | instid1(VALU_DEP_3)
	v_mad_i32_i24 v253, v234, v194, v253
	v_dot4_i32_iu8 v6, v3, v172, v6 neg_lo:[1,1,0]
	s_delay_alu instid0(VALU_DEP_3) | instskip(NEXT) | instid1(VALU_DEP_3)
	v_dot4_i32_iu8 v114, v223, v180, v114 neg_lo:[1,1,0]
	v_dot4_i32_iu8 v253, v223, v197, v253 neg_lo:[1,1,0]
	s_delay_alu instid0(VALU_DEP_3) | instskip(NEXT) | instid1(VALU_DEP_3)
	v_mad_i32_i24 v6, v169, v219, v6
	v_mad_i32_i24 v114, v177, v250, v114
	s_delay_alu instid0(VALU_DEP_3) | instskip(NEXT) | instid1(VALU_DEP_3)
	v_mad_i32_i24 v253, v195, v250, v253
	v_dot4_i32_iu8 v6, v228, v4, v6 neg_lo:[1,1,0]
	s_delay_alu instid0(VALU_DEP_3) | instskip(NEXT) | instid1(VALU_DEP_3)
	v_dot4_i32_iu8 v114, v233, v224, v114 neg_lo:[1,1,0]
	v_dot4_i32_iu8 v253, v242, v224, v253 neg_lo:[1,1,0]
	s_delay_alu instid0(VALU_DEP_3) | instskip(NEXT) | instid1(VALU_DEP_3)
	v_mad_i32_i24 v6, v171, v216, v6
	v_mad_i32_i24 v114, v179, v251, v114
	s_delay_alu instid0(VALU_DEP_3) | instskip(NEXT) | instid1(VALU_DEP_3)
	v_mad_i32_i24 v253, v196, v251, v253
	v_dot4_i32_iu8 v6, v229, v252, v6 neg_lo:[1,1,0]
	s_delay_alu instid0(VALU_DEP_3) | instskip(NEXT) | instid1(VALU_DEP_3)
	v_dot4_i32_iu8 v114, v235, v225, v114 neg_lo:[1,1,0]
	v_dot4_i32_iu8 v253, v243, v225, v253 neg_lo:[1,1,0]
	s_delay_alu instid0(VALU_DEP_3) | instskip(NEXT) | instid1(VALU_DEP_1)
	v_mul_lo_u32 v6, v6, v173
	v_mad_u32 v6, v114, v181, v6
	v_mul_f32_e32 v114, v165, v1
	s_delay_alu instid0(VALU_DEP_2) | instskip(NEXT) | instid1(VALU_DEP_1)
	v_cvt_f32_i32_e32 v6, v6
	v_mul_f32_e32 v6, v114, v6
	v_mul_i32_i24_e32 v114, v7, v183
	s_delay_alu instid0(VALU_DEP_1) | instskip(NEXT) | instid1(VALU_DEP_1)
	v_mad_i32_i24 v114, v115, v184, v114
	v_dot4_i32_iu8 v114, v2, v185, v114 neg_lo:[1,1,0]
	s_delay_alu instid0(VALU_DEP_1) | instskip(NEXT) | instid1(VALU_DEP_1)
	v_mad_i32_i24 v114, v218, v186, v114
	v_dot4_i32_iu8 v114, v3, v189, v114 neg_lo:[1,1,0]
	;; [unrolled: 3-line block ×4, first 2 shown]
	s_delay_alu instid0(VALU_DEP_1) | instskip(NEXT) | instid1(VALU_DEP_1)
	v_mul_lo_u32 v114, v114, v190
	v_mad_u32 v114, v253, v198, v114
	v_mul_f32_e32 v253, v182, v1
	s_delay_alu instid0(VALU_DEP_2) | instskip(NEXT) | instid1(VALU_DEP_1)
	v_cvt_f32_i32_e32 v114, v114
	v_mul_f32_e32 v114, v253, v114
	v_mul_i32_i24_e32 v253, v7, v201
	s_set_vgpr_msb 1                        ;  msbs: dst=0 src0=1 src1=0 src2=0
	v_mul_i32_i24_e32 v7, v14 /*v270*/, v7
	s_set_vgpr_msb 0                        ;  msbs: dst=0 src0=0 src1=0 src2=0
	s_delay_alu instid0(VALU_DEP_2) | instskip(SKIP_1) | instid1(VALU_DEP_2)
	v_mad_i32_i24 v253, v115, v202, v253
	s_set_vgpr_msb 1                        ;  msbs: dst=0 src0=1 src1=0 src2=0
	v_mad_i32_i24 v7, v3 /*v259*/, v115, v7
	s_set_vgpr_msb 0                        ;  msbs: dst=0 src0=0 src1=0 src2=0
	s_delay_alu instid0(VALU_DEP_2) | instskip(SKIP_1) | instid1(VALU_DEP_2)
	v_dot4_i32_iu8 v253, v2, v203, v253 neg_lo:[1,1,0]
	s_set_vgpr_msb 1                        ;  msbs: dst=0 src0=1 src1=0 src2=0
	v_dot4_i32_iu8 v2, v4 /*v260*/, v2, v7 neg_lo:[1,1,0]
	s_set_vgpr_msb 0                        ;  msbs: dst=0 src0=0 src1=0 src2=0
	s_delay_alu instid0(VALU_DEP_2) | instskip(NEXT) | instid1(VALU_DEP_2)
	v_mad_i32_i24 v253, v218, v204, v253
	v_mad_i32_i24 v2, v245, v218, v2
	s_delay_alu instid0(VALU_DEP_2) | instskip(NEXT) | instid1(VALU_DEP_2)
	v_dot4_i32_iu8 v253, v3, v207, v253 neg_lo:[1,1,0]
	v_dot4_i32_iu8 v2, v238, v3, v2 neg_lo:[1,1,0]
	s_set_vgpr_msb 1                        ;  msbs: dst=0 src0=1 src1=0 src2=0
	v_mul_i32_i24_e32 v3, v20 /*v276*/, v226
	s_set_vgpr_msb 0                        ;  msbs: dst=0 src0=0 src1=0 src2=0
	v_mad_i32_i24 v253, v205, v219, v253
	s_set_vgpr_msb 4                        ;  msbs: dst=0 src0=0 src1=1 src2=0
	v_mad_i32_i24 v2, v219, v13 /*v269*/, v2
	s_set_vgpr_msb 1                        ;  msbs: dst=0 src0=1 src1=0 src2=0
	v_mad_i32_i24 v3, v17 /*v273*/, v227, v3
	s_set_vgpr_msb 0                        ;  msbs: dst=0 src0=0 src1=0 src2=0
	v_dot4_i32_iu8 v253, v236, v4, v253 neg_lo:[1,1,0]
	v_dot4_i32_iu8 v2, v4, v215, v2 neg_lo:[1,1,0]
	s_delay_alu instid0(VALU_DEP_3) | instskip(NEXT) | instid1(VALU_DEP_3)
	v_dot4_i32_iu8 v3, v220, v222, v3 neg_lo:[1,1,0]
	v_mad_i32_i24 v216, v206, v216, v253
	s_delay_alu instid0(VALU_DEP_3) | instskip(NEXT) | instid1(VALU_DEP_3)
	v_dot4_i32_iu8 v2, v232, v5, v2 neg_lo:[1,1,0]
	v_mad_i32_i24 v3, v246, v234, v3
	s_delay_alu instid0(VALU_DEP_3) | instskip(SKIP_1) | instid1(VALU_DEP_3)
	v_dot4_i32_iu8 v216, v237, v252, v216 neg_lo:[1,1,0]
	v_mul_i32_i24_e32 v252, v226, v209
	v_dot4_i32_iu8 v3, v230, v223, v3 neg_lo:[1,1,0]
	v_mul_lo_u32 v2, v2, v248
	s_delay_alu instid0(VALU_DEP_4) | instskip(NEXT) | instid1(VALU_DEP_4)
	v_mul_lo_u32 v216, v216, v208
	v_mad_i32_i24 v252, v227, v210, v252
	s_set_vgpr_msb 4                        ;  msbs: dst=0 src0=0 src1=1 src2=0
	v_mad_i32_i24 v3, v250, v32 /*v288*/, v3
	s_set_vgpr_msb 0                        ;  msbs: dst=0 src0=0 src1=0 src2=0
	s_delay_alu instid0(VALU_DEP_2) | instskip(NEXT) | instid1(VALU_DEP_2)
	v_dot4_i32_iu8 v252, v222, v211, v252 neg_lo:[1,1,0]
	v_dot4_i32_iu8 v3, v224, v249, v3 neg_lo:[1,1,0]
	s_delay_alu instid0(VALU_DEP_2) | instskip(NEXT) | instid1(VALU_DEP_2)
	v_mad_i32_i24 v252, v234, v212, v252
	v_mad_i32_i24 v3, v231, v251, v3
	s_delay_alu instid0(VALU_DEP_2) | instskip(NEXT) | instid1(VALU_DEP_2)
	v_dot4_i32_iu8 v252, v223, v217, v252 neg_lo:[1,1,0]
	v_dot4_i32_iu8 v3, v199, v225, v3 neg_lo:[1,1,0]
	s_delay_alu instid0(VALU_DEP_2) | instskip(NEXT) | instid1(VALU_DEP_2)
	v_mad_i32_i24 v252, v213, v250, v252
	v_mad_u32 v2, v3, v239, v2
	s_delay_alu instid0(VALU_DEP_2) | instskip(NEXT) | instid1(VALU_DEP_1)
	v_dot4_i32_iu8 v252, v244, v224, v252 neg_lo:[1,1,0]
	v_mad_i32_i24 v252, v214, v251, v252
	s_delay_alu instid0(VALU_DEP_3) | instskip(NEXT) | instid1(VALU_DEP_2)
	v_cvt_f32_i32_e32 v2, v2
	v_dot4_i32_iu8 v252, v247, v225, v252 neg_lo:[1,1,0]
	s_delay_alu instid0(VALU_DEP_1) | instskip(SKIP_2) | instid1(VALU_DEP_1)
	v_mad_u32 v216, v252, v221, v216
	v_mul_f32_e32 v252, v200, v1
	v_mul_f32_e32 v1, v0, v1
	v_dual_mul_f32 v218, v1, v2 :: v_dual_bitop2_b32 v1, s18, v144 bitop3:0x54
	s_delay_alu instid0(VALU_DEP_4) | instskip(NEXT) | instid1(VALU_DEP_2)
	v_cvt_f32_i32_e32 v216, v216
	v_dual_lshlrev_b32 v7, 2, v1 :: v_dual_lshrrev_b32 v1, 1, v1
	ds_load_b32 v1, v1 offset:38816
	ds_load_b128 v[2:5], v7 offset:25344
	ds_load_b128 v[222:225], v7 offset:25360
	v_mul_f32_e32 v216, v252, v216
	s_wait_dscnt 0x2
	v_mul_f32_e32 v0, v0, v1
	s_wait_dscnt 0x1
	v_bfe_i32 v219, v2, 0, 8
	v_bfe_i32 v226, v2, 8, 8
	v_perm_b32 v2, v2, v2, 0xc0c0302
	v_bfe_i32 v227, v3, 0, 8
	v_perm_b32 v3, v3, v3, 0xc030201
	;; [unrolled: 2-line block ×3, first 2 shown]
	v_bfe_i32 v250, v5, 0, 8
	s_wait_dscnt 0x0
	v_bfe_i32 v251, v222, 0, 8
	v_bfe_i32 v252, v222, 8, 8
	;; [unrolled: 1-line block ×5, first 2 shown]
	v_mul_i32_i24_e32 v7, v219, v166
	v_perm_b32 v166, v5, v5, 0xc030201
	v_mul_i32_i24_e32 v115, v251, v174
	s_delay_alu instid0(VALU_DEP_3) | instskip(SKIP_1) | instid1(VALU_DEP_3)
	v_mad_i32_i24 v7, v226, v167, v7
	v_perm_b32 v167, v222, v222, 0xc0c0302
	v_mad_i32_i24 v115, v252, v175, v115
	s_delay_alu instid0(VALU_DEP_3) | instskip(SKIP_1) | instid1(VALU_DEP_3)
	v_dot4_i32_iu8 v7, v2, v168, v7 neg_lo:[1,1,0]
	v_perm_b32 v168, v223, v223, 0xc030201
	v_dot4_i32_iu8 v115, v167, v176, v115 neg_lo:[1,1,0]
	s_delay_alu instid0(VALU_DEP_3) | instskip(SKIP_1) | instid1(VALU_DEP_3)
	v_mad_i32_i24 v7, v227, v170, v7
	v_perm_b32 v170, v225, v225, 0xc030201
	v_mad_i32_i24 v115, v253, v178, v115
	s_delay_alu instid0(VALU_DEP_3) | instskip(NEXT) | instid1(VALU_DEP_2)
	v_dot4_i32_iu8 v7, v3, v172, v7 neg_lo:[1,1,0]
	v_dot4_i32_iu8 v115, v168, v180, v115 neg_lo:[1,1,0]
	s_delay_alu instid0(VALU_DEP_2) | instskip(SKIP_1) | instid1(VALU_DEP_3)
	v_mad_i32_i24 v7, v169, v234, v7
	v_perm_b32 v169, v224, v224, 0xc030201
	v_mad_i32_i24 v115, v177, v254, v115
	s_delay_alu instid0(VALU_DEP_3) | instskip(NEXT) | instid1(VALU_DEP_2)
	v_dot4_i32_iu8 v7, v228, v4, v7 neg_lo:[1,1,0]
	v_dot4_i32_iu8 v115, v233, v169, v115 neg_lo:[1,1,0]
	s_delay_alu instid0(VALU_DEP_2) | instskip(NEXT) | instid1(VALU_DEP_2)
	v_mad_i32_i24 v7, v171, v250, v7
	v_mad_i32_i24 v115, v179, v255, v115
	s_delay_alu instid0(VALU_DEP_2) | instskip(NEXT) | instid1(VALU_DEP_2)
	v_dot4_i32_iu8 v7, v229, v166, v7 neg_lo:[1,1,0]
	v_dot4_i32_iu8 v115, v235, v170, v115 neg_lo:[1,1,0]
	s_delay_alu instid0(VALU_DEP_2) | instskip(NEXT) | instid1(VALU_DEP_1)
	v_mul_lo_u32 v7, v7, v173
	v_mad_u32 v7, v115, v181, v7
	v_mul_f32_e32 v115, v165, v1
	s_delay_alu instid0(VALU_DEP_2) | instskip(NEXT) | instid1(VALU_DEP_1)
	v_cvt_f32_i32_e32 v7, v7
	v_mul_f32_e32 v7, v115, v7
	s_delay_alu instid0(VALU_DEP_1) | instskip(SKIP_2) | instid1(VALU_DEP_2)
	v_pk_add_f32 v[48:49], v[48:49], v[6:7]
	v_mul_i32_i24_e32 v6, v219, v183
	v_mul_i32_i24_e32 v7, v251, v191
	v_mad_i32_i24 v6, v226, v184, v6
	s_delay_alu instid0(VALU_DEP_2) | instskip(NEXT) | instid1(VALU_DEP_2)
	v_mad_i32_i24 v7, v252, v192, v7
	v_dot4_i32_iu8 v6, v2, v185, v6 neg_lo:[1,1,0]
	s_delay_alu instid0(VALU_DEP_2) | instskip(NEXT) | instid1(VALU_DEP_2)
	v_dot4_i32_iu8 v7, v167, v193, v7 neg_lo:[1,1,0]
	v_mad_i32_i24 v6, v227, v186, v6
	s_delay_alu instid0(VALU_DEP_2) | instskip(NEXT) | instid1(VALU_DEP_2)
	v_mad_i32_i24 v7, v253, v194, v7
	v_dot4_i32_iu8 v6, v3, v189, v6 neg_lo:[1,1,0]
	s_delay_alu instid0(VALU_DEP_2) | instskip(NEXT) | instid1(VALU_DEP_2)
	v_dot4_i32_iu8 v7, v168, v197, v7 neg_lo:[1,1,0]
	;; [unrolled: 6-line block ×4, first 2 shown]
	v_mul_lo_u32 v6, v6, v190
	s_delay_alu instid0(VALU_DEP_1) | instskip(SKIP_1) | instid1(VALU_DEP_2)
	v_mad_u32 v6, v7, v198, v6
	v_mul_f32_e32 v7, v182, v1
	v_cvt_f32_i32_e32 v6, v6
	s_delay_alu instid0(VALU_DEP_1) | instskip(SKIP_2) | instid1(VALU_DEP_3)
	v_mul_f32_e32 v115, v7, v6
	v_mul_i32_i24_e32 v6, v219, v201
	v_mul_i32_i24_e32 v7, v251, v209
	v_pk_add_f32 v[56:57], v[56:57], v[114:115]
	s_delay_alu instid0(VALU_DEP_3) | instskip(NEXT) | instid1(VALU_DEP_3)
	v_mad_i32_i24 v6, v226, v202, v6
	v_mad_i32_i24 v7, v252, v210, v7
	s_delay_alu instid0(VALU_DEP_2) | instskip(NEXT) | instid1(VALU_DEP_2)
	v_dot4_i32_iu8 v6, v2, v203, v6 neg_lo:[1,1,0]
	v_dot4_i32_iu8 v7, v167, v211, v7 neg_lo:[1,1,0]
	s_delay_alu instid0(VALU_DEP_2) | instskip(NEXT) | instid1(VALU_DEP_2)
	v_mad_i32_i24 v6, v227, v204, v6
	v_mad_i32_i24 v7, v253, v212, v7
	s_delay_alu instid0(VALU_DEP_2) | instskip(NEXT) | instid1(VALU_DEP_2)
	v_dot4_i32_iu8 v6, v3, v207, v6 neg_lo:[1,1,0]
	v_dot4_i32_iu8 v7, v168, v217, v7 neg_lo:[1,1,0]
	s_delay_alu instid0(VALU_DEP_2) | instskip(NEXT) | instid1(VALU_DEP_2)
	;; [unrolled: 6-line block ×3, first 2 shown]
	v_mad_i32_i24 v6, v206, v250, v6
	v_mad_i32_i24 v7, v214, v255, v7
	s_delay_alu instid0(VALU_DEP_2) | instskip(NEXT) | instid1(VALU_DEP_2)
	v_dot4_i32_iu8 v6, v237, v166, v6 neg_lo:[1,1,0]
	v_dot4_i32_iu8 v7, v247, v170, v7 neg_lo:[1,1,0]
	s_delay_alu instid0(VALU_DEP_2) | instskip(NEXT) | instid1(VALU_DEP_1)
	v_mul_lo_u32 v6, v6, v208
	v_mad_u32 v6, v7, v221, v6
	v_mul_f32_e32 v7, v200, v1
	s_delay_alu instid0(VALU_DEP_2) | instskip(NEXT) | instid1(VALU_DEP_1)
	v_cvt_f32_i32_e32 v6, v6
	v_mul_f32_e32 v217, v7, v6
	s_set_vgpr_msb 1                        ;  msbs: dst=0 src0=1 src1=0 src2=0
	v_mul_i32_i24_e32 v6, v14 /*v270*/, v219
	s_set_vgpr_msb 0                        ;  msbs: dst=0 src0=0 src1=0 src2=0
	s_delay_alu instid0(VALU_DEP_2) | instskip(SKIP_1) | instid1(VALU_DEP_2)
	v_pk_add_f32 v[64:65], v[64:65], v[216:217]
	s_set_vgpr_msb 1                        ;  msbs: dst=0 src0=1 src1=0 src2=0
	v_mad_i32_i24 v6, v3 /*v259*/, v226, v6
	s_delay_alu instid0(VALU_DEP_1) | instskip(SKIP_1) | instid1(VALU_DEP_1)
	v_dot4_i32_iu8 v2, v4 /*v260*/, v2, v6 neg_lo:[1,1,0]
	s_set_vgpr_msb 0                        ;  msbs: dst=0 src0=0 src1=0 src2=0
	v_mad_i32_i24 v2, v245, v227, v2
	s_delay_alu instid0(VALU_DEP_1) | instskip(SKIP_3) | instid1(VALU_DEP_2)
	v_dot4_i32_iu8 v2, v238, v3, v2 neg_lo:[1,1,0]
	s_set_vgpr_msb 1                        ;  msbs: dst=0 src0=1 src1=0 src2=0
	v_mul_i32_i24_e32 v3, v20 /*v276*/, v251
	s_set_vgpr_msb 4                        ;  msbs: dst=0 src0=0 src1=1 src2=0
	v_mad_i32_i24 v2, v234, v13 /*v269*/, v2
	s_set_vgpr_msb 1                        ;  msbs: dst=0 src0=1 src1=0 src2=0
	s_delay_alu instid0(VALU_DEP_2) | instskip(SKIP_1) | instid1(VALU_DEP_2)
	v_mad_i32_i24 v3, v17 /*v273*/, v252, v3
	s_set_vgpr_msb 0                        ;  msbs: dst=0 src0=0 src1=0 src2=0
	v_dot4_i32_iu8 v2, v4, v215, v2 neg_lo:[1,1,0]
	s_delay_alu instid0(VALU_DEP_2) | instskip(NEXT) | instid1(VALU_DEP_2)
	v_dot4_i32_iu8 v3, v220, v167, v3 neg_lo:[1,1,0]
	v_dot4_i32_iu8 v2, v232, v5, v2 neg_lo:[1,1,0]
	s_delay_alu instid0(VALU_DEP_2) | instskip(NEXT) | instid1(VALU_DEP_2)
	v_mad_i32_i24 v3, v246, v253, v3
	v_mul_lo_u32 v2, v2, v248
	s_delay_alu instid0(VALU_DEP_2) | instskip(SKIP_1) | instid1(VALU_DEP_1)
	v_dot4_i32_iu8 v3, v230, v168, v3 neg_lo:[1,1,0]
	s_set_vgpr_msb 4                        ;  msbs: dst=0 src0=0 src1=1 src2=0
	v_mad_i32_i24 v3, v254, v32 /*v288*/, v3
	s_set_vgpr_msb 0                        ;  msbs: dst=0 src0=0 src1=0 src2=0
	s_delay_alu instid0(VALU_DEP_1) | instskip(NEXT) | instid1(VALU_DEP_1)
	v_dot4_i32_iu8 v3, v169, v249, v3 neg_lo:[1,1,0]
	v_mad_i32_i24 v3, v231, v255, v3
	s_delay_alu instid0(VALU_DEP_1) | instskip(NEXT) | instid1(VALU_DEP_1)
	v_dot4_i32_iu8 v3, v199, v170, v3 neg_lo:[1,1,0]
	v_mad_u32 v2, v3, v239, v2
	s_delay_alu instid0(VALU_DEP_1) | instskip(NEXT) | instid1(VALU_DEP_1)
	v_cvt_f32_i32_e32 v1, v2
	v_mul_f32_e32 v219, v0, v1
	s_delay_alu instid0(VALU_DEP_1)
	v_pk_add_f32 v[30:31], v[30:31], v[218:219]
	s_cbranch_scc1 .LBB150_10
; %bb.11:                               ;   in Loop: Header=BB150_8 Depth=2
	v_lshl_add_u32 v0, s16, 5, v11
	v_lshl_add_u32 v1, s16, 2, v164
	s_barrier_signal -1
	s_barrier_wait -1
	s_delay_alu instid0(VALU_DEP_2) | instskip(SKIP_1) | instid1(SALU_CYCLE_1)
	v_lshrrev_b32_e32 v0, 3, v0
	s_add_co_i32 s10, s10, 2
	s_lshl_b32 s16, s10, 3
	s_delay_alu instid0(VALU_DEP_1) | instskip(SKIP_1) | instid1(VALU_DEP_2)
	v_add_nc_u32_e32 v2, s7, v0
	v_mad_nc_u64_u32 v[0:1], v1, 36, s[2:3]
	v_dual_add_nc_u32 v3, v2, v137 :: v_dual_add_nc_u32 v168, v2, v134
	v_dual_add_nc_u32 v4, v2, v130 :: v_dual_add_nc_u32 v6, v2, v131
	;; [unrolled: 1-line block ×4, first 2 shown]
	s_delay_alu instid0(VALU_DEP_4) | instskip(NEXT) | instid1(VALU_DEP_4)
	v_mad_nc_i64_i32 v[2:3], v3, 36, v[18:19]
	v_mad_nc_i64_i32 v[4:5], v4, 36, v[18:19]
	;; [unrolled: 1-line block ×8, first 2 shown]
	s_clause 0x8
	global_load_b32 v165, v[0:1], off
	global_load_b32 v174, v[2:3], off offset:4
	global_load_b32 v175, v[4:5], off offset:4
	;; [unrolled: 1-line block ×8, first 2 shown]
	s_wait_loadcnt 0x8
	s_wait_xcnt 0x8
	v_cvt_f32_f16_e64 v0, v165
	s_wait_loadcnt 0x7
	ds_store_b32 v91, v174
	s_wait_loadcnt 0x6
	ds_store_b32 v67, v175
	;; [unrolled: 2-line block ×8, first 2 shown]
	ds_store_b32 v129, v0
	s_wait_dscnt 0x0
	s_barrier_signal -1
	s_barrier_wait -1
.LBB150_12:                             ;   Parent Loop BB150_6 Depth=1
                                        ;     Parent Loop BB150_8 Depth=2
                                        ; =>    This Inner Loop Header: Depth=3
	s_lshl_b32 s17, s11, 2
	s_and_b32 s19, s11, 6
	s_and_b32 s17, s17, 24
	;; [unrolled: 1-line block ×3, first 2 shown]
	v_or_b32_e32 v0, s17, v160
	v_lshl_add_u32 v215, s21, 2, v161
	s_lshr_b32 s20, s11, 4
	s_bfe_u32 s18, s11, 0x30001
	s_lshl_b32 s22, s20, 2
	v_dual_lshlrev_b32 v4, 2, v0 :: v_dual_lshrrev_b32 v0, 1, v0
	s_lshl_b32 s20, s20, 5
	s_and_b32 s21, s11, -2
	s_addk_co_i32 s20, 0x4200
	ds_load_b32 v115, v0 offset:38816
	ds_load_b128 v[0:3], v4 offset:25344
	ds_load_b128 v[4:7], v4 offset:25360
	ds_load_2addr_b32 v[166:167], v215 offset1:1
	v_add3_u32 v172, s20, v151, v162
	s_add_co_i32 s22, s22, 0x9380
	s_add_co_i32 s11, s11, 2
	s_delay_alu instid0(SALU_CYCLE_1)
	s_cmp_lt_u32 s11, s16
	ds_load_2addr_b32 v[168:169], v172 offset1:1
	s_wait_dscnt 0x3
	v_bfe_i32 v207, v0, 0, 8
	v_bfe_i32 v208, v0, 8, 8
	s_wait_dscnt 0x1
	v_ashrrev_i32_e32 v165, s19, v166
	v_bfe_i32 v230, v3, 8, 8
	v_perm_b32 v239, v0, v0, 0xc0c0302
	v_bfe_i32 v205, v1, 0, 8
	v_bfe_i32 v202, v2, 0, 8
	v_and_b32_e32 v166, 0x3030303, v165
	v_bfe_u32 v165, v165, 24, 2
	v_bfe_i32 v228, v2, 8, 8
	s_wait_dscnt 0x0
	v_ashrrev_i32_e32 v168, s18, v168
	v_perm_b32 v231, v1, v1, 0xc030201
	v_lshrrev_b32_e32 v171, 16, v166
	v_lshrrev_b16 v170, 8, v166
	v_bfe_i32 v229, v3, 0, 8
	v_lshlrev_b32_e32 v168, 2, v168
	v_perm_b32 v232, v2, v2, 0xc0c0302
	v_bfe_i32 v203, v4, 0, 8
	v_bfe_i32 v204, v4, 8, 8
	v_perm_b32 v233, v3, v3, 0xc0c0302
	v_and_b32_e32 v168, 0x4040404, v168
	v_bfe_i32 v237, v7, 8, 8
	v_perm_b32 v241, v4, v4, 0xc0c0302
	v_bfe_i32 v200, v5, 0, 8
	v_bfe_i32 v114, v6, 0, 8
	v_dual_lshrrev_b32 v174, 24, v168 :: v_dual_lshrrev_b32 v175, 16, v168
	v_lshrrev_b16 v173, 8, v168
	v_bfe_i32 v236, v6, 8, 8
	v_perm_b32 v238, v5, v5, 0xc030201
	s_delay_alu instid0(VALU_DEP_4)
	v_sub_nc_u16 v165, v165, v174
	v_sub_nc_u16 v171, v171, v175
	v_bfe_i32 v182, v7, 0, 8
	v_perm_b32 v242, v6, v6, 0xc0c0302
	v_perm_b32 v243, v7, v7, 0xc0c0302
	v_lshlrev_b16 v165, 8, v165
	v_bfe_i32 v206, v1, 8, 8
	v_perm_b32 v1, v1, v1, 0xc0c0302
	v_bfe_i32 v201, v5, 8, 8
	v_perm_b32 v5, v5, v5, 0xc0c0302
	v_bitop3_b16 v174, v171, v165, 0xff bitop3:0xec
	v_sub_nc_u16 v165, v170, v173
	v_sub_nc_u16 v173, v166, v168
	v_perm_b32 v6, v6, v6, 0xc030201
	v_perm_b32 v7, v7, v7, 0xc030201
	;; [unrolled: 1-line block ×3, first 2 shown]
	v_lshlrev_b16 v170, 8, v165
	v_dual_ashrrev_i32 v165, s19, v167 :: v_dual_ashrrev_i32 v169, s18, v169
	s_delay_alu instid0(VALU_DEP_1) | instskip(SKIP_1) | instid1(VALU_DEP_2)
	v_and_b32_e32 v166, 0x3030303, v165
	v_bfe_u32 v165, v165, 24, 2
	v_dual_lshlrev_b32 v169, 2, v169 :: v_dual_lshrrev_b32 v168, 16, v166
	v_lshrrev_b16 v167, 8, v166
	s_delay_alu instid0(VALU_DEP_2) | instskip(NEXT) | instid1(VALU_DEP_1)
	v_and_b32_e32 v169, 0x4040404, v169
	v_dual_lshrrev_b32 v176, 24, v169 :: v_dual_lshrrev_b32 v177, 16, v169
	v_lshrrev_b16 v175, 8, v169
	v_sub_nc_u16 v178, v166, v169
	s_delay_alu instid0(VALU_DEP_3) | instskip(NEXT) | instid1(VALU_DEP_4)
	v_sub_nc_u16 v165, v165, v176
	v_sub_nc_u16 v177, v168, v177
	ds_load_2addr_b32 v[168:169], v172 offset0:2 offset1:3
	v_lshlrev_b16 v165, 8, v165
	s_delay_alu instid0(VALU_DEP_1) | instskip(SKIP_3) | instid1(VALU_DEP_1)
	v_bitop3_b16 v176, v177, v165, 0xff bitop3:0xec
	v_sub_nc_u16 v165, v167, v175
	ds_load_2addr_b32 v[166:167], v215 offset0:2 offset1:3
	v_lshlrev_b16 v175, 8, v165
	v_perm_b32 v175, v175, v175, 0xc0c0c01
	s_wait_dscnt 0x1
	v_dual_ashrrev_i32 v168, s18, v168 :: v_dual_ashrrev_i32 v169, s18, v169
	s_delay_alu instid0(VALU_DEP_1) | instskip(SKIP_2) | instid1(VALU_DEP_2)
	v_dual_lshlrev_b32 v168, 2, v168 :: v_dual_lshlrev_b32 v169, 2, v169
	s_wait_dscnt 0x0
	v_ashrrev_i32_e32 v165, s19, v166
	v_and_b32_e32 v168, 0x4040404, v168
	s_delay_alu instid0(VALU_DEP_3) | instskip(NEXT) | instid1(VALU_DEP_3)
	v_and_b32_e32 v169, 0x4040404, v169
	v_and_b32_e32 v166, 0x3030303, v165
	v_bfe_u32 v165, v165, 24, 2
	s_delay_alu instid0(VALU_DEP_4) | instskip(SKIP_1) | instid1(VALU_DEP_4)
	v_dual_lshrrev_b32 v183, 24, v168 :: v_dual_lshrrev_b32 v184, 16, v168
	v_lshrrev_b16 v181, 8, v168
	v_lshrrev_b32_e32 v180, 16, v166
	v_lshrrev_b16 v179, 8, v166
	s_delay_alu instid0(VALU_DEP_4) | instskip(SKIP_1) | instid1(VALU_DEP_4)
	v_sub_nc_u16 v165, v165, v183
	v_lshrrev_b32_e32 v183, 16, v169
	v_sub_nc_u16 v209, v180, v184
	v_sub_nc_u16 v180, v166, v168
	s_delay_alu instid0(VALU_DEP_4) | instskip(NEXT) | instid1(VALU_DEP_1)
	v_lshlrev_b16 v165, 8, v165
	v_bitop3_b16 v210, v209, v165, 0xff bitop3:0xec
	v_sub_nc_u16 v165, v179, v181
	v_lshrrev_b32_e32 v181, 24, v169
	v_lshrrev_b16 v179, 8, v169
	s_delay_alu instid0(VALU_DEP_3) | instskip(SKIP_1) | instid1(VALU_DEP_1)
	v_lshlrev_b16 v211, 8, v165
	v_ashrrev_i32_e32 v165, s19, v167
	v_and_b32_e32 v166, 0x3030303, v165
	v_bfe_u32 v165, v165, 24, 2
	s_delay_alu instid0(VALU_DEP_2) | instskip(SKIP_1) | instid1(VALU_DEP_3)
	v_lshrrev_b32_e32 v168, 16, v166
	v_lshrrev_b16 v167, 8, v166
	v_sub_nc_u16 v165, v165, v181
	v_sub_nc_u16 v181, v166, v169
	s_delay_alu instid0(VALU_DEP_4) | instskip(SKIP_2) | instid1(VALU_DEP_1)
	v_sub_nc_u16 v212, v168, v183
	ds_load_2addr_b32 v[168:169], v172 offset0:4 offset1:5
	v_lshlrev_b16 v165, 8, v165
	v_bitop3_b16 v213, v212, v165, 0xff bitop3:0xec
	v_sub_nc_u16 v165, v167, v179
	ds_load_2addr_b32 v[166:167], v215 offset0:4 offset1:5
	v_lshlrev_b16 v214, 8, v165
	s_wait_dscnt 0x1
	v_dual_ashrrev_i32 v168, s18, v168 :: v_dual_ashrrev_i32 v169, s18, v169
	s_delay_alu instid0(VALU_DEP_1) | instskip(SKIP_2) | instid1(VALU_DEP_2)
	v_dual_lshlrev_b32 v168, 2, v168 :: v_dual_lshlrev_b32 v169, 2, v169
	s_wait_dscnt 0x0
	v_ashrrev_i32_e32 v165, s19, v166
	v_and_b32_e32 v168, 0x4040404, v168
	s_delay_alu instid0(VALU_DEP_3) | instskip(NEXT) | instid1(VALU_DEP_3)
	v_and_b32_e32 v169, 0x4040404, v169
	v_and_b32_e32 v166, 0x3030303, v165
	v_bfe_u32 v165, v165, 24, 2
	s_delay_alu instid0(VALU_DEP_4) | instskip(SKIP_1) | instid1(VALU_DEP_4)
	v_dual_lshrrev_b32 v185, 24, v168 :: v_dual_lshrrev_b32 v186, 16, v168
	v_lshrrev_b16 v184, 8, v168
	v_lshrrev_b32_e32 v183, 16, v166
	v_lshrrev_b16 v179, 8, v166
	s_delay_alu instid0(VALU_DEP_4) | instskip(SKIP_1) | instid1(VALU_DEP_4)
	v_sub_nc_u16 v165, v165, v185
	v_dual_lshrrev_b32 v187, 24, v169 :: v_dual_lshrrev_b32 v188, 16, v169
	v_sub_nc_u16 v183, v183, v186
	v_lshrrev_b16 v186, 8, v169
	s_delay_alu instid0(VALU_DEP_4) | instskip(NEXT) | instid1(VALU_DEP_1)
	v_lshlrev_b16 v165, 8, v165
	v_bitop3_b16 v185, v183, v165, 0xff bitop3:0xec
	v_sub_nc_u16 v165, v179, v184
	v_sub_nc_u16 v184, v166, v168
	s_delay_alu instid0(VALU_DEP_2) | instskip(SKIP_1) | instid1(VALU_DEP_1)
	v_lshlrev_b16 v179, 8, v165
	v_ashrrev_i32_e32 v165, s19, v167
	v_and_b32_e32 v166, 0x3030303, v165
	v_bfe_u32 v165, v165, 24, 2
	s_delay_alu instid0(VALU_DEP_2) | instskip(SKIP_2) | instid1(VALU_DEP_4)
	v_lshrrev_b32_e32 v168, 16, v166
	v_lshrrev_b16 v167, 8, v166
	v_sub_nc_u16 v189, v166, v169
	v_sub_nc_u16 v165, v165, v187
	s_delay_alu instid0(VALU_DEP_4) | instskip(SKIP_2) | instid1(VALU_DEP_1)
	v_sub_nc_u16 v188, v168, v188
	ds_load_2addr_b32 v[168:169], v172 offset0:6 offset1:7
	v_lshlrev_b16 v165, 8, v165
	v_bitop3_b16 v187, v188, v165, 0xff bitop3:0xec
	v_sub_nc_u16 v165, v167, v186
	ds_load_2addr_b32 v[166:167], v215 offset0:6 offset1:7
	v_lshlrev_b16 v186, 8, v165
	s_delay_alu instid0(VALU_DEP_1) | instskip(SKIP_2) | instid1(VALU_DEP_1)
	v_perm_b32 v186, v186, v186, 0xc0c0c01
	s_wait_dscnt 0x1
	v_dual_ashrrev_i32 v168, s18, v168 :: v_dual_ashrrev_i32 v169, s18, v169
	v_dual_lshlrev_b32 v168, 2, v168 :: v_dual_lshlrev_b32 v169, 2, v169
	s_wait_dscnt 0x0
	v_ashrrev_i32_e32 v165, s19, v166
	s_delay_alu instid0(VALU_DEP_2) | instskip(NEXT) | instid1(VALU_DEP_3)
	v_and_b32_e32 v168, 0x4040404, v168
	v_and_b32_e32 v169, 0x4040404, v169
	s_delay_alu instid0(VALU_DEP_3) | instskip(SKIP_1) | instid1(VALU_DEP_4)
	v_and_b32_e32 v166, 0x3030303, v165
	v_bfe_u32 v165, v165, 24, 2
	v_dual_lshrrev_b32 v192, 24, v168 :: v_dual_lshrrev_b32 v193, 16, v168
	v_lshrrev_b16 v172, 8, v168
	s_delay_alu instid0(VALU_DEP_4) | instskip(SKIP_1) | instid1(VALU_DEP_4)
	v_lshrrev_b32_e32 v191, 16, v166
	v_lshrrev_b16 v190, 8, v166
	v_sub_nc_u16 v165, v165, v192
	v_lshrrev_b32_e32 v192, 16, v169
	s_delay_alu instid0(VALU_DEP_4) | instskip(SKIP_1) | instid1(VALU_DEP_4)
	v_sub_nc_u16 v216, v191, v193
	v_sub_nc_u16 v191, v166, v168
	v_lshlrev_b16 v165, 8, v165
	s_delay_alu instid0(VALU_DEP_1) | instskip(SKIP_3) | instid1(VALU_DEP_3)
	v_bitop3_b16 v217, v216, v165, 0xff bitop3:0xec
	v_sub_nc_u16 v165, v190, v172
	v_lshrrev_b32_e32 v190, 24, v169
	v_lshrrev_b16 v172, 8, v169
	v_lshlrev_b16 v218, 8, v165
	v_ashrrev_i32_e32 v165, s19, v167
	s_delay_alu instid0(VALU_DEP_1) | instskip(SKIP_1) | instid1(VALU_DEP_2)
	v_and_b32_e32 v166, 0x3030303, v165
	v_bfe_u32 v165, v165, 24, 2
	v_lshrrev_b32_e32 v168, 16, v166
	v_lshrrev_b16 v167, 8, v166
	s_delay_alu instid0(VALU_DEP_3)
	v_sub_nc_u16 v165, v165, v190
	v_sub_nc_u16 v190, v166, v169
	v_bfe_i32 v166, v173, 0, 8
	v_sub_nc_u16 v220, v168, v192
	v_add_nc_u32_e32 v192, s21, v23
	v_lshlrev_b16 v165, 8, v165
	s_delay_alu instid0(VALU_DEP_4) | instskip(NEXT) | instid1(VALU_DEP_2)
	v_mul_i32_i24_e32 v168, v166, v207
	v_bitop3_b16 v221, v220, v165, 0xff bitop3:0xec
	v_sub_nc_u16 v165, v167, v172
	v_bfe_i32 v167, v170, 8, 8
	v_bfe_i32 v172, v214, 8, 8
	;; [unrolled: 1-line block ×3, first 2 shown]
	s_delay_alu instid0(VALU_DEP_4) | instskip(NEXT) | instid1(VALU_DEP_4)
	v_lshlrev_b16 v222, 8, v165
	v_mad_i32_i24 v169, v167, v208, v168
	v_perm_b32 v168, v174, v171, 0xc0c0500
	v_add3_u32 v165, s22, v163, v153
	v_bfe_i32 v171, v211, 8, 8
	s_delay_alu instid0(VALU_DEP_3)
	v_dot4_i32_iu8 v0, v168, v239, v169 neg_lo:[1,1,0]
	v_bfe_i32 v169, v180, 0, 8
	v_mul_i32_i24_e32 v180, v230, v172
	v_perm_b32 v172, v176, v177, 0xc05000c
	ds_load_b32 v165, v165
	v_mul_i32_i24_e32 v174, v228, v171
	v_bfe_i32 v171, v181, 0, 8
	v_mad_i32_i24 v0, v170, v205, v0
	v_or_b32_e32 v172, v172, v175
	v_mul_i32_i24_e32 v173, v202, v169
	v_bfe_i32 v175, v179, 8, 8
	v_mul_i32_i24_e32 v178, v229, v171
	v_bfe_i32 v179, v218, 8, 8
	v_dot4_i32_iu8 v0, v172, v231, v0 neg_lo:[1,1,0]
	s_delay_alu instid0(VALU_DEP_1)
	v_add3_u32 v0, v0, v173, v174
	v_perm_b32 v173, v210, v209, 0xc0c0500
	v_bfe_i32 v174, v184, 0, 8
	v_mul_i32_i24_e32 v184, v236, v179
	v_bfe_i32 v179, v190, 0, 8
	v_perm_b32 v209, v210, v209, 0xc05000c
	v_perm_b32 v210, v211, v211, 0xc0c0c01
	;; [unrolled: 1-line block ×3, first 2 shown]
	v_dot4_i32_iu8 v0, v232, v173, v0 neg_lo:[1,1,0]
	v_mul_i32_i24_e32 v176, v174, v203
	v_perm_b32 v173, v213, v212, 0xc0c0500
	v_perm_b32 v212, v214, v214, 0xc0c0c01
	;; [unrolled: 1-line block ×4, first 2 shown]
	v_add3_u32 v0, v0, v178, v180
	v_mad_i32_i24 v177, v175, v204, v176
	v_perm_b32 v176, v185, v183, 0xc0c0500
	v_bfe_i32 v180, v222, 8, 8
	v_bfe_i32 v178, v189, 0, 8
	v_mul_i32_i24_e32 v185, v182, v179
	v_or_b32_e32 v211, v211, v212
	v_or_b32_e32 v213, v213, v214
	v_perm_b32 v214, v221, v220, 0xc05000c
	v_dot4_i32_iu8 v0, v233, v173, v0 neg_lo:[1,1,0]
	ds_load_u16 v173, v192
	v_dot4_i32_iu8 v4, v176, v241, v177 neg_lo:[1,1,0]
	v_mul_i32_i24_e32 v189, v237, v180
	v_perm_b32 v180, v187, v188, 0xc05000c
	v_bfe_i32 v177, v191, 0, 8
	v_or_b32_e32 v209, v209, v210
	v_mad_i32_i24 v4, v178, v200, v4
	s_delay_alu instid0(VALU_DEP_4) | instskip(NEXT) | instid1(VALU_DEP_4)
	v_or_b32_e32 v180, v180, v186
	v_mul_i32_i24_e32 v183, v114, v177
	s_delay_alu instid0(VALU_DEP_2) | instskip(NEXT) | instid1(VALU_DEP_1)
	v_dot4_i32_iu8 v4, v180, v238, v4 neg_lo:[1,1,0]
	v_add3_u32 v4, v4, v183, v184
	v_perm_b32 v183, v217, v216, 0xc0c0500
	s_wait_dscnt 0x0
	v_lshrrev_b16 v181, 8, v173
	v_bfe_i32 v173, v173, 0, 8
	v_perm_b32 v216, v222, v222, 0xc0c0c01
	v_dot4_i32_iu8 v4, v242, v183, v4 neg_lo:[1,1,0]
	v_perm_b32 v183, v221, v220, 0xc0c0500
	s_delay_alu instid0(VALU_DEP_4) | instskip(SKIP_1) | instid1(VALU_DEP_4)
	v_mul_lo_u32 v0, v0, v173
	v_bfe_i32 v181, v181, 0, 8
	v_add3_u32 v4, v4, v185, v189
	v_add3_u32 v189, s20, v154, v145
	s_delay_alu instid0(VALU_DEP_2) | instskip(SKIP_3) | instid1(VALU_DEP_2)
	v_dot4_i32_iu8 v4, v243, v183, v4 neg_lo:[1,1,0]
	ds_load_2addr_b32 v[186:187], v189 offset1:1
	v_mad_u32 v0, v4, v181, v0
	v_mul_f32_e32 v4, v115, v165
	v_cvt_f32_i32_e32 v0, v0
	s_delay_alu instid0(VALU_DEP_1)
	v_mul_f32_e32 v4, v4, v0
	v_add_nc_u32_e32 v0, 0x1080, v215
	s_wait_dscnt 0x0
	v_ashrrev_i32_e32 v187, s18, v187
	ds_load_2addr_b32 v[184:185], v0 offset1:1
	v_dual_ashrrev_i32 v186, s18, v186 :: v_dual_lshlrev_b32 v187, 2, v187
	s_delay_alu instid0(VALU_DEP_1) | instskip(NEXT) | instid1(VALU_DEP_2)
	v_lshlrev_b32_e32 v186, 2, v186
	v_and_b32_e32 v187, 0x4040404, v187
	s_delay_alu instid0(VALU_DEP_2) | instskip(NEXT) | instid1(VALU_DEP_2)
	v_and_b32_e32 v186, 0x4040404, v186
	v_dual_lshrrev_b32 v193, 24, v187 :: v_dual_lshrrev_b32 v194, 16, v187
	s_delay_alu instid0(VALU_DEP_2) | instskip(SKIP_3) | instid1(VALU_DEP_1)
	v_lshrrev_b16 v190, 8, v186
	v_dual_lshrrev_b32 v191, 24, v186 :: v_dual_lshrrev_b32 v192, 16, v186
	s_wait_dscnt 0x0
	v_ashrrev_i32_e32 v0, s19, v184
	v_and_b32_e32 v183, 0x3030303, v0
	v_bfe_u32 v0, v0, 24, 2
	s_delay_alu instid0(VALU_DEP_2) | instskip(SKIP_1) | instid1(VALU_DEP_3)
	v_lshrrev_b16 v184, 8, v183
	v_lshrrev_b32_e32 v188, 16, v183
	v_sub_nc_u16 v0, v0, v191
	v_sub_nc_u16 v191, v183, v186
	v_ashrrev_i32_e32 v183, s19, v185
	v_sub_nc_u16 v184, v184, v190
	v_sub_nc_u16 v188, v188, v192
	v_lshrrev_b16 v192, 8, v187
	v_lshlrev_b16 v0, 8, v0
	s_delay_alu instid0(VALU_DEP_4) | instskip(SKIP_2) | instid1(VALU_DEP_4)
	v_lshlrev_b16 v190, 8, v184
	v_and_b32_e32 v184, 0x3030303, v183
	v_bfe_u32 v183, v183, 24, 2
	v_bitop3_b16 v0, v188, v0, 0xff bitop3:0xec
	s_delay_alu instid0(VALU_DEP_3) | instskip(NEXT) | instid1(VALU_DEP_3)
	v_lshrrev_b32_e32 v186, 16, v184
	v_sub_nc_u16 v183, v183, v193
	v_lshrrev_b16 v185, 8, v184
	v_sub_nc_u16 v195, v184, v187
	s_delay_alu instid0(VALU_DEP_4) | instskip(NEXT) | instid1(VALU_DEP_4)
	v_sub_nc_u16 v194, v186, v194
	v_lshlrev_b16 v183, 8, v183
	ds_load_2addr_b32 v[186:187], v189 offset0:2 offset1:3
	v_bitop3_b16 v193, v194, v183, 0xff bitop3:0xec
	v_sub_nc_u16 v183, v185, v192
	s_delay_alu instid0(VALU_DEP_1) | instskip(SKIP_1) | instid1(VALU_DEP_2)
	v_lshlrev_b16 v192, 8, v183
	v_add_nc_u32_e32 v183, 0x1088, v215
	v_perm_b32 v192, v192, v192, 0xc0c0c01
	ds_load_2addr_b32 v[184:185], v183 offset1:1
	s_wait_dscnt 0x1
	v_dual_ashrrev_i32 v186, s18, v186 :: v_dual_ashrrev_i32 v187, s18, v187
	s_delay_alu instid0(VALU_DEP_1) | instskip(NEXT) | instid1(VALU_DEP_1)
	v_dual_lshlrev_b32 v186, 2, v186 :: v_dual_lshlrev_b32 v187, 2, v187
	v_and_b32_e32 v186, 0x4040404, v186
	s_delay_alu instid0(VALU_DEP_2) | instskip(NEXT) | instid1(VALU_DEP_2)
	v_and_b32_e32 v187, 0x4040404, v187
	v_dual_lshrrev_b32 v199, 24, v186 :: v_dual_lshrrev_b32 v219, 16, v186
	s_wait_dscnt 0x0
	v_ashrrev_i32_e32 v183, s19, v184
	v_lshrrev_b16 v198, 8, v186
	s_delay_alu instid0(VALU_DEP_2) | instskip(NEXT) | instid1(VALU_DEP_1)
	v_and_b32_e32 v184, 0x3030303, v183
	v_lshrrev_b32_e32 v197, 16, v184
	v_bfe_u32 v183, v183, 24, 2
	v_lshrrev_b16 v196, 8, v184
	s_delay_alu instid0(VALU_DEP_3) | instskip(NEXT) | instid1(VALU_DEP_3)
	v_sub_nc_u16 v248, v197, v219
	v_sub_nc_u16 v183, v183, v199
	;; [unrolled: 1-line block ×3, first 2 shown]
	v_lshrrev_b32_e32 v199, 16, v187
	s_delay_alu instid0(VALU_DEP_3) | instskip(NEXT) | instid1(VALU_DEP_1)
	v_lshlrev_b16 v183, 8, v183
	v_bitop3_b16 v249, v248, v183, 0xff bitop3:0xec
	v_sub_nc_u16 v183, v196, v198
	v_lshrrev_b32_e32 v198, 24, v187
	v_lshrrev_b16 v196, 8, v187
	s_delay_alu instid0(VALU_DEP_3) | instskip(SKIP_1) | instid1(VALU_DEP_1)
	v_lshlrev_b16 v250, 8, v183
	v_ashrrev_i32_e32 v183, s19, v185
	v_and_b32_e32 v184, 0x3030303, v183
	v_bfe_u32 v183, v183, 24, 2
	s_delay_alu instid0(VALU_DEP_2) | instskip(NEXT) | instid1(VALU_DEP_2)
	v_lshrrev_b32_e32 v186, 16, v184
	v_sub_nc_u16 v183, v183, v198
	v_lshrrev_b16 v185, 8, v184
	v_sub_nc_u16 v198, v184, v187
	s_delay_alu instid0(VALU_DEP_4) | instskip(NEXT) | instid1(VALU_DEP_4)
	v_sub_nc_u16 v251, v186, v199
	v_lshlrev_b16 v183, 8, v183
	ds_load_2addr_b32 v[186:187], v189 offset0:4 offset1:5
	v_bitop3_b16 v252, v251, v183, 0xff bitop3:0xec
	v_sub_nc_u16 v183, v185, v196
	s_delay_alu instid0(VALU_DEP_1) | instskip(SKIP_4) | instid1(VALU_DEP_1)
	v_lshlrev_b16 v253, 8, v183
	v_add_nc_u32_e32 v183, 0x1090, v215
	ds_load_2addr_b32 v[184:185], v183 offset1:1
	s_wait_dscnt 0x1
	v_dual_ashrrev_i32 v186, s18, v186 :: v_dual_ashrrev_i32 v187, s18, v187
	v_dual_lshlrev_b32 v186, 2, v186 :: v_dual_lshlrev_b32 v187, 2, v187
	s_delay_alu instid0(VALU_DEP_1) | instskip(NEXT) | instid1(VALU_DEP_2)
	v_and_b32_e32 v186, 0x4040404, v186
	v_and_b32_e32 v187, 0x4040404, v187
	s_delay_alu instid0(VALU_DEP_2) | instskip(SKIP_4) | instid1(VALU_DEP_3)
	v_dual_lshrrev_b32 v223, 24, v186 :: v_dual_lshrrev_b32 v224, 16, v186
	s_wait_dscnt 0x0
	v_ashrrev_i32_e32 v183, s19, v184
	v_lshrrev_b16 v219, 8, v186
	v_dual_lshrrev_b32 v225, 24, v187 :: v_dual_lshrrev_b32 v226, 16, v187
	v_and_b32_e32 v184, 0x3030303, v183
	s_delay_alu instid0(VALU_DEP_1) | instskip(SKIP_2) | instid1(VALU_DEP_3)
	v_lshrrev_b32_e32 v199, 16, v184
	v_bfe_u32 v183, v183, 24, 2
	v_lshrrev_b16 v196, 8, v184
	v_sub_nc_u16 v199, v199, v224
	s_delay_alu instid0(VALU_DEP_3) | instskip(SKIP_1) | instid1(VALU_DEP_2)
	v_sub_nc_u16 v183, v183, v223
	v_lshrrev_b16 v224, 8, v187
	v_lshlrev_b16 v183, 8, v183
	s_delay_alu instid0(VALU_DEP_1) | instskip(SKIP_2) | instid1(VALU_DEP_2)
	v_bitop3_b16 v223, v199, v183, 0xff bitop3:0xec
	v_sub_nc_u16 v183, v196, v219
	v_sub_nc_u16 v219, v184, v186
	v_lshlrev_b16 v196, 8, v183
	v_ashrrev_i32_e32 v183, s19, v185
	s_delay_alu instid0(VALU_DEP_1) | instskip(SKIP_1) | instid1(VALU_DEP_2)
	v_and_b32_e32 v184, 0x3030303, v183
	v_bfe_u32 v183, v183, 24, 2
	v_lshrrev_b32_e32 v186, 16, v184
	s_delay_alu instid0(VALU_DEP_2) | instskip(SKIP_2) | instid1(VALU_DEP_4)
	v_sub_nc_u16 v183, v183, v225
	v_lshrrev_b16 v185, 8, v184
	v_sub_nc_u16 v227, v184, v187
	v_sub_nc_u16 v226, v186, v226
	s_delay_alu instid0(VALU_DEP_4) | instskip(SKIP_3) | instid1(VALU_DEP_1)
	v_lshlrev_b16 v183, 8, v183
	ds_load_2addr_b32 v[186:187], v189 offset0:6 offset1:7
	v_bitop3_b16 v225, v226, v183, 0xff bitop3:0xec
	v_sub_nc_u16 v183, v185, v224
	v_lshlrev_b16 v224, 8, v183
	v_add_nc_u32_e32 v183, 0x1098, v215
	s_delay_alu instid0(VALU_DEP_2) | instskip(SKIP_3) | instid1(VALU_DEP_1)
	v_perm_b32 v224, v224, v224, 0xc0c0c01
	ds_load_2addr_b32 v[184:185], v183 offset1:1
	s_wait_dscnt 0x1
	v_dual_ashrrev_i32 v186, s18, v186 :: v_dual_ashrrev_i32 v187, s18, v187
	v_dual_lshlrev_b32 v186, 2, v186 :: v_dual_lshlrev_b32 v187, 2, v187
	s_delay_alu instid0(VALU_DEP_1) | instskip(NEXT) | instid1(VALU_DEP_2)
	v_and_b32_e32 v186, 0x4040404, v186
	v_and_b32_e32 v187, 0x4040404, v187
	s_delay_alu instid0(VALU_DEP_2) | instskip(SKIP_3) | instid1(VALU_DEP_2)
	v_dual_lshrrev_b32 v240, 24, v186 :: v_dual_lshrrev_b32 v244, 16, v186
	s_wait_dscnt 0x0
	v_ashrrev_i32_e32 v183, s19, v184
	v_lshrrev_b16 v189, 8, v186
	v_and_b32_e32 v184, 0x3030303, v183
	s_delay_alu instid0(VALU_DEP_1) | instskip(SKIP_2) | instid1(VALU_DEP_3)
	v_lshrrev_b32_e32 v235, 16, v184
	v_bfe_u32 v183, v183, 24, 2
	v_lshrrev_b16 v234, 8, v184
	v_sub_nc_u16 v254, v235, v244
	s_delay_alu instid0(VALU_DEP_3) | instskip(SKIP_2) | instid1(VALU_DEP_3)
	v_sub_nc_u16 v183, v183, v240
	v_sub_nc_u16 v235, v184, v186
	v_lshrrev_b32_e32 v240, 16, v187
	v_lshlrev_b16 v183, 8, v183
	s_delay_alu instid0(VALU_DEP_1) | instskip(SKIP_3) | instid1(VALU_DEP_4)
	v_bitop3_b16 v255, v254, v183, 0xff bitop3:0xec
	v_sub_nc_u16 v183, v234, v189
	v_lshrrev_b32_e32 v234, 24, v187
	v_lshrrev_b16 v189, 8, v187
	v_perm_b32 v217, v255, v254, 0xc05000c
	s_set_vgpr_msb 64                       ;  msbs: dst=1 src0=0 src1=0 src2=0
	v_lshlrev_b16 v0 /*v256*/, 8, v183
	s_set_vgpr_msb 0                        ;  msbs: dst=0 src0=0 src1=0 src2=0
	v_ashrrev_i32_e32 v183, s19, v185
	s_set_vgpr_msb 5                        ;  msbs: dst=0 src0=1 src1=1 src2=0
	s_delay_alu instid0(VALU_DEP_2) | instskip(SKIP_1) | instid1(VALU_DEP_2)
	v_perm_b32 v218, v0 /*v256*/, v0 /*v256*/, 0xc0c0c01
	s_set_vgpr_msb 0                        ;  msbs: dst=0 src0=0 src1=0 src2=0
	v_and_b32_e32 v184, 0x3030303, v183
	v_bfe_u32 v183, v183, 24, 2
	s_delay_alu instid0(VALU_DEP_2) | instskip(NEXT) | instid1(VALU_DEP_2)
	v_dual_lshrrev_b32 v186, 16, v184 :: v_dual_bitop2_b32 v217, v217, v218 bitop3:0x54
	v_sub_nc_u16 v183, v183, v234
	v_lshrrev_b16 v185, 8, v184
	v_sub_nc_u16 v234, v184, v187
	v_bfe_i32 v184, v191, 0, 8
	s_set_vgpr_msb 64                       ;  msbs: dst=1 src0=0 src1=0 src2=0
	v_sub_nc_u16 v1 /*v257*/, v186, v240
	s_set_vgpr_msb 0                        ;  msbs: dst=0 src0=0 src1=0 src2=0
	v_lshlrev_b16 v183, 8, v183
	v_mul_i32_i24_e32 v186, v184, v207
	s_set_vgpr_msb 0x41                     ;  msbs: dst=1 src0=1 src1=0 src2=0
	s_delay_alu instid0(VALU_DEP_2)
	v_bitop3_b16 v2 /*v258*/, v1 /*v257*/, v183, 0xff bitop3:0xec
	s_set_vgpr_msb 0                        ;  msbs: dst=0 src0=0 src1=0 src2=0
	v_sub_nc_u16 v183, v185, v189
	v_bfe_i32 v185, v190, 8, 8
	v_bfe_i32 v189, v250, 8, 8
	;; [unrolled: 1-line block ×3, first 2 shown]
	s_set_vgpr_msb 5                        ;  msbs: dst=0 src0=1 src1=1 src2=0
	v_perm_b32 v218, v2 /*v258*/, v1 /*v257*/, 0xc05000c
	s_set_vgpr_msb 64                       ;  msbs: dst=1 src0=0 src1=0 src2=0
	v_lshlrev_b16 v3 /*v259*/, 8, v183
	s_set_vgpr_msb 0                        ;  msbs: dst=0 src0=0 src1=0 src2=0
	v_mad_i32_i24 v187, v185, v208, v186
	v_perm_b32 v186, v0, v188, 0xc0c0500
	v_bfe_i32 v188, v197, 0, 8
	v_add3_u32 v183, s22, v155, v146
	s_set_vgpr_msb 5                        ;  msbs: dst=0 src0=1 src1=1 src2=0
	v_perm_b32 v220, v3 /*v259*/, v3 /*v259*/, 0xc0c0c01
	s_set_vgpr_msb 0                        ;  msbs: dst=0 src0=0 src1=0 src2=0
	v_dot4_i32_iu8 v0, v186, v239, v187 neg_lo:[1,1,0]
	v_bfe_i32 v187, v195, 0, 8
	v_mul_i32_i24_e32 v195, v228, v189
	v_bfe_i32 v189, v198, 0, 8
	v_mul_i32_i24_e32 v198, v230, v190
	v_perm_b32 v190, v193, v194, 0xc05000c
	v_add_nc_u32_e32 v240, s21, v25
	v_mad_i32_i24 v0, v187, v205, v0
	v_mul_i32_i24_e32 v191, v202, v188
	v_bfe_i32 v193, v196, 8, 8
	v_or_b32_e32 v190, v190, v192
	v_bfe_i32 v192, v219, 0, 8
	v_mul_i32_i24_e32 v197, v229, v189
	ds_load_b32 v183, v183
	v_bfe_i32 v196, v235, 0, 8
	v_dot4_i32_iu8 v0, v190, v231, v0 neg_lo:[1,1,0]
	v_mul_i32_i24_e32 v194, v192, v203
	v_or_b32_e32 v218, v218, v220
	s_delay_alu instid0(VALU_DEP_3) | instskip(SKIP_1) | instid1(VALU_DEP_4)
	v_add3_u32 v0, v0, v191, v195
	v_perm_b32 v191, v249, v248, 0xc0c0500
	v_mad_i32_i24 v195, v193, v204, v194
	v_perm_b32 v194, v223, v199, 0xc0c0500
	v_mul_i32_i24_e32 v199, v114, v196
	s_set_vgpr_msb 1                        ;  msbs: dst=0 src0=1 src1=0 src2=0
	v_bfe_i32 v223, v3 /*v259*/, 8, 8
	s_set_vgpr_msb 0                        ;  msbs: dst=0 src0=0 src1=0 src2=0
	v_dot4_i32_iu8 v0, v232, v191, v0 neg_lo:[1,1,0]
	v_perm_b32 v191, v252, v251, 0xc0c0500
	s_delay_alu instid0(VALU_DEP_3) | instskip(NEXT) | instid1(VALU_DEP_3)
	v_mul_i32_i24_e32 v223, v237, v223
	v_add3_u32 v0, v0, v197, v198
	v_dot4_i32_iu8 v198, v194, v241, v195 neg_lo:[1,1,0]
	v_bfe_i32 v195, v227, 0, 8
	s_set_vgpr_msb 1                        ;  msbs: dst=0 src0=1 src1=0 src2=0
	v_bfe_i32 v197, v0 /*v256*/, 8, 8
	s_set_vgpr_msb 0                        ;  msbs: dst=0 src0=0 src1=0 src2=0
	v_dot4_i32_iu8 v0, v233, v191, v0 neg_lo:[1,1,0]
	ds_load_u16 v191, v240
	v_mul_i32_i24_e32 v219, v236, v197
	v_bfe_i32 v197, v234, 0, 8
	v_mad_i32_i24 v234, v195, v200, v198
	v_perm_b32 v198, v225, v226, 0xc05000c
	s_delay_alu instid0(VALU_DEP_3) | instskip(NEXT) | instid1(VALU_DEP_2)
	v_mul_i32_i24_e32 v227, v182, v197
	v_or_b32_e32 v198, v198, v224
	s_delay_alu instid0(VALU_DEP_1) | instskip(SKIP_1) | instid1(VALU_DEP_2)
	v_dot4_i32_iu8 v224, v198, v238, v234 neg_lo:[1,1,0]
	v_add3_u32 v234, s20, v156, v147
	v_add3_u32 v199, v224, v199, v219
	v_perm_b32 v219, v255, v254, 0xc0c0500
	s_wait_dscnt 0x0
	v_lshrrev_b16 v240, 8, v191
	v_bfe_i32 v191, v191, 0, 8
	s_delay_alu instid0(VALU_DEP_3)
	v_dot4_i32_iu8 v199, v242, v219, v199 neg_lo:[1,1,0]
	s_set_vgpr_msb 5                        ;  msbs: dst=0 src0=1 src1=1 src2=0
	v_perm_b32 v219, v2 /*v258*/, v1 /*v257*/, 0xc0c0500
	s_set_vgpr_msb 0                        ;  msbs: dst=0 src0=0 src1=0 src2=0
	v_mul_lo_u32 v0, v0, v191
	v_add3_u32 v199, v199, v227, v223
	ds_load_2addr_b32 v[226:227], v234 offset1:1
	v_dot4_i32_iu8 v219, v243, v219, v199 neg_lo:[1,1,0]
	v_bfe_i32 v199, v240, 0, 8
	s_delay_alu instid0(VALU_DEP_1) | instskip(SKIP_3) | instid1(VALU_DEP_3)
	v_mad_u32 v0, v219, v199, v0
	v_mul_f32_e32 v219, v115, v183
	s_wait_dscnt 0x0
	v_ashrrev_i32_e32 v227, s18, v227
	v_cvt_f32_i32_e32 v0, v0
	s_delay_alu instid0(VALU_DEP_1) | instskip(SKIP_1) | instid1(VALU_DEP_2)
	v_dual_mul_f32 v240, v219, v0 :: v_dual_lshlrev_b32 v227, 2, v227
	v_add_nc_u32_e32 v0, 0x2100, v215
	v_and_b32_e32 v227, 0x4040404, v227
	ds_load_2addr_b32 v[224:225], v0 offset1:1
	v_dual_ashrrev_i32 v226, s18, v226 :: v_dual_lshrrev_b32 v246, 24, v227
	s_delay_alu instid0(VALU_DEP_1) | instskip(NEXT) | instid1(VALU_DEP_1)
	v_dual_lshrrev_b32 v247, 16, v227 :: v_dual_lshlrev_b32 v226, 2, v226
	v_and_b32_e32 v226, 0x4040404, v226
	s_delay_alu instid0(VALU_DEP_1) | instskip(SKIP_3) | instid1(VALU_DEP_1)
	v_lshrrev_b16 v235, 8, v226
	v_dual_lshrrev_b32 v244, 24, v226 :: v_dual_lshrrev_b32 v245, 16, v226
	s_wait_dscnt 0x0
	v_ashrrev_i32_e32 v0, s19, v224
	v_and_b32_e32 v219, 0x3030303, v0
	s_delay_alu instid0(VALU_DEP_1) | instskip(SKIP_2) | instid1(VALU_DEP_3)
	v_lshrrev_b16 v223, 8, v219
	v_lshrrev_b32_e32 v224, 16, v219
	v_bfe_u32 v0, v0, 24, 2
	v_sub_nc_u16 v223, v223, v235
	s_delay_alu instid0(VALU_DEP_3) | instskip(NEXT) | instid1(VALU_DEP_3)
	v_sub_nc_u16 v245, v224, v245
	v_sub_nc_u16 v0, v0, v244
	v_lshrrev_b16 v244, 8, v227
	s_delay_alu instid0(VALU_DEP_4) | instskip(SKIP_3) | instid1(VALU_DEP_3)
	v_lshlrev_b16 v235, 8, v223
	v_sub_nc_u16 v223, v219, v226
	v_ashrrev_i32_e32 v219, s19, v225
	v_lshlrev_b16 v0, 8, v0
	v_bfe_i32 v223, v223, 0, 8
	s_delay_alu instid0(VALU_DEP_3) | instskip(SKIP_1) | instid1(VALU_DEP_4)
	v_and_b32_e32 v224, 0x3030303, v219
	v_bfe_u32 v219, v219, 24, 2
	v_bitop3_b16 v0, v245, v0, 0xff bitop3:0xec
	s_delay_alu instid0(VALU_DEP_3) | instskip(NEXT) | instid1(VALU_DEP_3)
	v_lshrrev_b32_e32 v226, 16, v224
	v_sub_nc_u16 v219, v219, v246
	v_lshrrev_b16 v225, 8, v224
	s_set_vgpr_msb 64                       ;  msbs: dst=1 src0=0 src1=0 src2=0
	v_sub_nc_u16 v4 /*v260*/, v224, v227
	s_set_vgpr_msb 0                        ;  msbs: dst=0 src0=0 src1=0 src2=0
	v_sub_nc_u16 v247, v226, v247
	v_lshlrev_b16 v219, 8, v219
	ds_load_2addr_b32 v[226:227], v234 offset0:2 offset1:3
	v_bitop3_b16 v246, v247, v219, 0xff bitop3:0xec
	v_sub_nc_u16 v219, v225, v244
	s_delay_alu instid0(VALU_DEP_1) | instskip(SKIP_1) | instid1(VALU_DEP_2)
	v_lshlrev_b16 v244, 8, v219
	v_add_nc_u32_e32 v219, 0x2108, v215
	v_perm_b32 v244, v244, v244, 0xc0c0c01
	ds_load_2addr_b32 v[224:225], v219 offset1:1
	s_wait_dscnt 0x1
	v_dual_ashrrev_i32 v226, s18, v226 :: v_dual_ashrrev_i32 v227, s18, v227
	s_delay_alu instid0(VALU_DEP_1) | instskip(NEXT) | instid1(VALU_DEP_1)
	v_dual_lshlrev_b32 v226, 2, v226 :: v_dual_lshlrev_b32 v227, 2, v227
	v_and_b32_e32 v226, 0x4040404, v226
	s_delay_alu instid0(VALU_DEP_2) | instskip(SKIP_1) | instid1(VALU_DEP_2)
	v_and_b32_e32 v227, 0x4040404, v227
	s_set_vgpr_msb 64                       ;  msbs: dst=1 src0=0 src1=0 src2=0
	v_lshrrev_b32_e32 v8 /*v264*/, 24, v226
	s_wait_dscnt 0x0
	s_set_vgpr_msb 0                        ;  msbs: dst=0 src0=0 src1=0 src2=0
	v_ashrrev_i32_e32 v219, s19, v224
	s_set_vgpr_msb 64                       ;  msbs: dst=1 src0=0 src1=0 src2=0
	v_dual_lshrrev_b32 v9 /*v265*/, 16, v226 :: v_dual_lshrrev_b32 v10 /*v266*/, 24, v227
	v_lshrrev_b16 v7 /*v263*/, 8, v226
	v_lshrrev_b32_e32 v11 /*v267*/, 16, v227
	s_set_vgpr_msb 0                        ;  msbs: dst=0 src0=0 src1=0 src2=0
	v_and_b32_e32 v224, 0x3030303, v219
	v_bfe_u32 v219, v219, 24, 2
	s_set_vgpr_msb 64                       ;  msbs: dst=1 src0=0 src1=0 src2=0
	s_delay_alu instid0(VALU_DEP_2) | instskip(SKIP_1) | instid1(VALU_DEP_2)
	v_lshrrev_b32_e32 v6 /*v262*/, 16, v224
	s_set_vgpr_msb 4                        ;  msbs: dst=0 src0=0 src1=1 src2=0
	v_sub_nc_u16 v219, v219, v8 /*v264*/
	s_set_vgpr_msb 64                       ;  msbs: dst=1 src0=0 src1=0 src2=0
	v_lshrrev_b16 v5 /*v261*/, 8, v224
	s_set_vgpr_msb 0x45                     ;  msbs: dst=1 src0=1 src1=1 src2=0
	v_sub_nc_u16 v6 /*v262*/, v6 /*v262*/, v9 /*v265*/
	s_set_vgpr_msb 0                        ;  msbs: dst=0 src0=0 src1=0 src2=0
	v_lshlrev_b16 v219, 8, v219
	s_set_vgpr_msb 64                       ;  msbs: dst=1 src0=0 src1=0 src2=0
	v_sub_nc_u16 v9 /*v265*/, v224, v226
	s_set_vgpr_msb 0x41                     ;  msbs: dst=1 src0=1 src1=0 src2=0
	s_delay_alu instid0(VALU_DEP_2) | instskip(SKIP_4) | instid1(VALU_DEP_2)
	v_bitop3_b16 v8 /*v264*/, v6 /*v262*/, v219, 0xff bitop3:0xec
	s_set_vgpr_msb 5                        ;  msbs: dst=0 src0=1 src1=1 src2=0
	v_sub_nc_u16 v219, v5 /*v261*/, v7 /*v263*/
	s_set_vgpr_msb 64                       ;  msbs: dst=1 src0=0 src1=0 src2=0
	v_lshrrev_b16 v7 /*v263*/, 8, v227
	v_lshlrev_b16 v5 /*v261*/, 8, v219
	s_set_vgpr_msb 0                        ;  msbs: dst=0 src0=0 src1=0 src2=0
	v_ashrrev_i32_e32 v219, s19, v225
	s_set_vgpr_msb 5                        ;  msbs: dst=0 src0=1 src1=1 src2=0
	s_delay_alu instid0(VALU_DEP_2) | instskip(SKIP_1) | instid1(VALU_DEP_2)
	v_perm_b32 v220, v5 /*v261*/, v5 /*v261*/, 0xc0c0c01
	s_set_vgpr_msb 0                        ;  msbs: dst=0 src0=0 src1=0 src2=0
	v_and_b32_e32 v224, 0x3030303, v219
	v_bfe_u32 v219, v219, 24, 2
	s_delay_alu instid0(VALU_DEP_2) | instskip(SKIP_1) | instid1(VALU_DEP_2)
	v_lshrrev_b32_e32 v226, 16, v224
	s_set_vgpr_msb 4                        ;  msbs: dst=0 src0=0 src1=1 src2=0
	v_sub_nc_u16 v219, v219, v10 /*v266*/
	s_set_vgpr_msb 0                        ;  msbs: dst=0 src0=0 src1=0 src2=0
	v_lshrrev_b16 v225, 8, v224
	s_set_vgpr_msb 64                       ;  msbs: dst=1 src0=0 src1=0 src2=0
	v_sub_nc_u16 v12 /*v268*/, v224, v227
	s_set_vgpr_msb 0x44                     ;  msbs: dst=1 src0=0 src1=1 src2=0
	v_sub_nc_u16 v11 /*v267*/, v226, v11 /*v267*/
	s_set_vgpr_msb 0                        ;  msbs: dst=0 src0=0 src1=0 src2=0
	v_lshlrev_b16 v219, 8, v219
	ds_load_2addr_b32 v[226:227], v234 offset0:4 offset1:5
	s_set_vgpr_msb 0x41                     ;  msbs: dst=1 src0=1 src1=0 src2=0
	v_bitop3_b16 v10 /*v266*/, v11 /*v267*/, v219, 0xff bitop3:0xec
	s_set_vgpr_msb 4                        ;  msbs: dst=0 src0=0 src1=1 src2=0
	v_sub_nc_u16 v219, v225, v7 /*v263*/
	s_set_vgpr_msb 64                       ;  msbs: dst=1 src0=0 src1=0 src2=0
	s_delay_alu instid0(VALU_DEP_1) | instskip(SKIP_3) | instid1(VALU_DEP_2)
	v_lshlrev_b16 v7 /*v263*/, 8, v219
	s_set_vgpr_msb 0                        ;  msbs: dst=0 src0=0 src1=0 src2=0
	v_add_nc_u32_e32 v219, 0x2110, v215
	s_set_vgpr_msb 5                        ;  msbs: dst=0 src0=1 src1=1 src2=0
	v_perm_b32 v221, v7 /*v263*/, v7 /*v263*/, 0xc0c0c01
	s_set_vgpr_msb 0                        ;  msbs: dst=0 src0=0 src1=0 src2=0
	ds_load_2addr_b32 v[224:225], v219 offset1:1
	s_wait_dscnt 0x1
	v_dual_ashrrev_i32 v226, s18, v226 :: v_dual_ashrrev_i32 v227, s18, v227
	s_delay_alu instid0(VALU_DEP_1) | instskip(NEXT) | instid1(VALU_DEP_1)
	v_dual_lshlrev_b32 v226, 2, v226 :: v_dual_lshlrev_b32 v227, 2, v227
	v_and_b32_e32 v226, 0x4040404, v226
	s_delay_alu instid0(VALU_DEP_2) | instskip(SKIP_1) | instid1(VALU_DEP_2)
	v_and_b32_e32 v227, 0x4040404, v227
	s_set_vgpr_msb 64                       ;  msbs: dst=1 src0=0 src1=0 src2=0
	v_dual_lshrrev_b32 v16 /*v272*/, 24, v226 :: v_dual_lshrrev_b32 v17 /*v273*/, 16, v226
	s_wait_dscnt 0x0
	s_set_vgpr_msb 0                        ;  msbs: dst=0 src0=0 src1=0 src2=0
	v_ashrrev_i32_e32 v219, s19, v224
	s_set_vgpr_msb 64                       ;  msbs: dst=1 src0=0 src1=0 src2=0
	v_lshrrev_b16 v15 /*v271*/, 8, v226
	v_dual_lshrrev_b32 v18 /*v274*/, 24, v227 :: v_dual_lshrrev_b32 v19 /*v275*/, 16, v227
	s_set_vgpr_msb 0                        ;  msbs: dst=0 src0=0 src1=0 src2=0
	v_and_b32_e32 v224, 0x3030303, v219
	v_bfe_u32 v219, v219, 24, 2
	s_set_vgpr_msb 64                       ;  msbs: dst=1 src0=0 src1=0 src2=0
	s_delay_alu instid0(VALU_DEP_2) | instskip(SKIP_1) | instid1(VALU_DEP_2)
	v_lshrrev_b32_e32 v14 /*v270*/, 16, v224
	s_set_vgpr_msb 4                        ;  msbs: dst=0 src0=0 src1=1 src2=0
	v_sub_nc_u16 v219, v219, v16 /*v272*/
	s_set_vgpr_msb 64                       ;  msbs: dst=1 src0=0 src1=0 src2=0
	v_lshrrev_b16 v13 /*v269*/, 8, v224
	s_set_vgpr_msb 0x45                     ;  msbs: dst=1 src0=1 src1=1 src2=0
	v_sub_nc_u16 v14 /*v270*/, v14 /*v270*/, v17 /*v273*/
	s_set_vgpr_msb 0                        ;  msbs: dst=0 src0=0 src1=0 src2=0
	v_lshlrev_b16 v219, 8, v219
	s_set_vgpr_msb 0x41                     ;  msbs: dst=1 src0=1 src1=0 src2=0
	v_lshrrev_b16 v17 /*v273*/, 8, v227
	s_delay_alu instid0(VALU_DEP_2) | instskip(SKIP_4) | instid1(VALU_DEP_2)
	v_bitop3_b16 v16 /*v272*/, v14 /*v270*/, v219, 0xff bitop3:0xec
	s_set_vgpr_msb 5                        ;  msbs: dst=0 src0=1 src1=1 src2=0
	v_sub_nc_u16 v219, v13 /*v269*/, v15 /*v271*/
	s_set_vgpr_msb 64                       ;  msbs: dst=1 src0=0 src1=0 src2=0
	v_sub_nc_u16 v15 /*v271*/, v224, v226
	v_lshlrev_b16 v13 /*v269*/, 8, v219
	s_set_vgpr_msb 0                        ;  msbs: dst=0 src0=0 src1=0 src2=0
	v_ashrrev_i32_e32 v219, s19, v225
	s_delay_alu instid0(VALU_DEP_1) | instskip(NEXT) | instid1(VALU_DEP_1)
	v_and_b32_e32 v224, 0x3030303, v219
	v_lshrrev_b32_e32 v226, 16, v224
	v_bfe_u32 v219, v219, 24, 2
	v_lshrrev_b16 v225, 8, v224
	s_set_vgpr_msb 64                       ;  msbs: dst=1 src0=0 src1=0 src2=0
	v_sub_nc_u16 v20 /*v276*/, v224, v227
	s_set_vgpr_msb 0x44                     ;  msbs: dst=1 src0=0 src1=1 src2=0
	v_sub_nc_u16 v19 /*v275*/, v226, v19 /*v275*/
	s_set_vgpr_msb 4                        ;  msbs: dst=0 src0=0 src1=1 src2=0
	v_sub_nc_u16 v219, v219, v18 /*v274*/
	ds_load_2addr_b32 v[226:227], v234 offset0:6 offset1:7
	s_set_vgpr_msb 0                        ;  msbs: dst=0 src0=0 src1=0 src2=0
	v_lshlrev_b16 v219, 8, v219
	s_set_vgpr_msb 0x41                     ;  msbs: dst=1 src0=1 src1=0 src2=0
	s_delay_alu instid0(VALU_DEP_1) | instskip(SKIP_3) | instid1(VALU_DEP_1)
	v_bitop3_b16 v18 /*v274*/, v19 /*v275*/, v219, 0xff bitop3:0xec
	s_set_vgpr_msb 4                        ;  msbs: dst=0 src0=0 src1=1 src2=0
	v_sub_nc_u16 v219, v225, v17 /*v273*/
	s_set_vgpr_msb 64                       ;  msbs: dst=1 src0=0 src1=0 src2=0
	v_lshlrev_b16 v17 /*v273*/, 8, v219
	s_set_vgpr_msb 0                        ;  msbs: dst=0 src0=0 src1=0 src2=0
	v_add_nc_u32_e32 v219, 0x2118, v215
	s_wait_dscnt 0x0
	v_ashrrev_i32_e32 v226, s18, v226
	ds_load_2addr_b32 v[224:225], v219 offset1:1
	v_dual_ashrrev_i32 v227, s18, v227 :: v_dual_lshlrev_b32 v226, 2, v226
	s_delay_alu instid0(VALU_DEP_1) | instskip(NEXT) | instid1(VALU_DEP_2)
	v_lshlrev_b32_e32 v227, 2, v227
	v_and_b32_e32 v226, 0x4040404, v226
	s_delay_alu instid0(VALU_DEP_2) | instskip(SKIP_1) | instid1(VALU_DEP_2)
	v_and_b32_e32 v227, 0x4040404, v227
	s_set_vgpr_msb 64                       ;  msbs: dst=1 src0=0 src1=0 src2=0
	v_dual_lshrrev_b32 v23 /*v279*/, 24, v226 :: v_dual_lshrrev_b32 v24 /*v280*/, 16, v226
	s_delay_alu instid0(VALU_DEP_2)
	v_lshrrev_b32_e32 v25 /*v281*/, 24, v227
	s_set_vgpr_msb 0                        ;  msbs: dst=0 src0=0 src1=0 src2=0
	v_lshrrev_b16 v234, 8, v226
	s_set_vgpr_msb 64                       ;  msbs: dst=1 src0=0 src1=0 src2=0
	v_lshrrev_b32_e32 v26 /*v282*/, 16, v227
	s_wait_dscnt 0x0
	s_set_vgpr_msb 0                        ;  msbs: dst=0 src0=0 src1=0 src2=0
	v_ashrrev_i32_e32 v219, s19, v224
	s_delay_alu instid0(VALU_DEP_1) | instskip(SKIP_2) | instid1(VALU_DEP_2)
	v_and_b32_e32 v224, 0x3030303, v219
	v_bfe_u32 v219, v219, 24, 2
	s_set_vgpr_msb 64                       ;  msbs: dst=1 src0=0 src1=0 src2=0
	v_lshrrev_b32_e32 v22 /*v278*/, 16, v224
	s_set_vgpr_msb 4                        ;  msbs: dst=0 src0=0 src1=1 src2=0
	s_delay_alu instid0(VALU_DEP_2)
	v_sub_nc_u16 v219, v219, v23 /*v279*/
	s_set_vgpr_msb 64                       ;  msbs: dst=1 src0=0 src1=0 src2=0
	v_lshrrev_b16 v21 /*v277*/, 8, v224
	s_set_vgpr_msb 0x45                     ;  msbs: dst=1 src0=1 src1=1 src2=0
	v_sub_nc_u16 v22 /*v278*/, v22 /*v278*/, v24 /*v280*/
	s_set_vgpr_msb 0                        ;  msbs: dst=0 src0=0 src1=0 src2=0
	v_lshlrev_b16 v219, 8, v219
	s_set_vgpr_msb 64                       ;  msbs: dst=1 src0=0 src1=0 src2=0
	v_sub_nc_u16 v24 /*v280*/, v224, v226
	s_set_vgpr_msb 0x41                     ;  msbs: dst=1 src0=1 src1=0 src2=0
	s_delay_alu instid0(VALU_DEP_2)
	v_bitop3_b16 v23 /*v279*/, v22 /*v278*/, v219, 0xff bitop3:0xec
	s_set_vgpr_msb 1                        ;  msbs: dst=0 src0=1 src1=0 src2=0
	v_sub_nc_u16 v219, v21 /*v277*/, v234
	v_lshrrev_b16 v234, 8, v227
	s_set_vgpr_msb 5                        ;  msbs: dst=0 src0=1 src1=1 src2=0
	v_perm_b32 v222, v23 /*v279*/, v22 /*v278*/, 0xc05000c
	s_set_vgpr_msb 64                       ;  msbs: dst=1 src0=0 src1=0 src2=0
	v_lshlrev_b16 v21 /*v277*/, 8, v219
	s_set_vgpr_msb 0                        ;  msbs: dst=0 src0=0 src1=0 src2=0
	v_ashrrev_i32_e32 v219, s19, v225
	s_delay_alu instid0(VALU_DEP_1) | instskip(SKIP_1) | instid1(VALU_DEP_2)
	v_and_b32_e32 v224, 0x3030303, v219
	v_bfe_u32 v219, v219, 24, 2
	v_lshrrev_b32_e32 v226, 16, v224
	s_set_vgpr_msb 4                        ;  msbs: dst=0 src0=0 src1=1 src2=0
	s_delay_alu instid0(VALU_DEP_2)
	v_sub_nc_u16 v219, v219, v25 /*v281*/
	s_set_vgpr_msb 0                        ;  msbs: dst=0 src0=0 src1=0 src2=0
	v_lshrrev_b16 v225, 8, v224
	s_set_vgpr_msb 64                       ;  msbs: dst=1 src0=0 src1=0 src2=0
	v_sub_nc_u16 v27 /*v283*/, v224, v227
	s_set_vgpr_msb 0                        ;  msbs: dst=0 src0=0 src1=0 src2=0
	v_bfe_i32 v224, v235, 8, 8
	s_set_vgpr_msb 0x44                     ;  msbs: dst=1 src0=0 src1=1 src2=0
	v_sub_nc_u16 v26 /*v282*/, v226, v26 /*v282*/
	s_set_vgpr_msb 1                        ;  msbs: dst=0 src0=1 src1=0 src2=0
	v_lshlrev_b16 v219, 8, v219
	v_bfe_i32 v235, v5 /*v261*/, 8, 8
	v_bfe_i32 v227, v9 /*v265*/, 0, 8
	s_set_vgpr_msb 0x41                     ;  msbs: dst=1 src0=1 src1=0 src2=0
	s_delay_alu instid0(VALU_DEP_3)
	v_bitop3_b16 v25 /*v281*/, v26 /*v282*/, v219, 0xff bitop3:0xec
	s_set_vgpr_msb 0                        ;  msbs: dst=0 src0=0 src1=0 src2=0
	v_sub_nc_u16 v219, v225, v234
	v_mul_i32_i24_e32 v225, v223, v207
	v_mul_i32_i24_e32 v235, v228, v235
	s_set_vgpr_msb 1                        ;  msbs: dst=0 src0=1 src1=0 src2=0
	v_bfe_i32 v228, v12 /*v268*/, 0, 8
	v_add_nc_u32_e32 v234, s21, v27
	s_set_vgpr_msb 64                       ;  msbs: dst=1 src0=0 src1=0 src2=0
	v_lshlrev_b16 v28 /*v284*/, 8, v219
	s_set_vgpr_msb 0                        ;  msbs: dst=0 src0=0 src1=0 src2=0
	v_mad_i32_i24 v226, v224, v208, v225
	v_perm_b32 v225, v0, v245, 0xc0c0500
	s_set_vgpr_msb 64                       ;  msbs: dst=1 src0=0 src1=0 src2=0
	v_mul_i32_i24_e32 v9 /*v265*/, v229, v228
	s_set_vgpr_msb 0                        ;  msbs: dst=0 src0=0 src1=0 src2=0
	v_perm_b32 v229, v246, v247, 0xc05000c
	v_mul_i32_i24_e32 v245, v202, v227
	v_add3_u32 v219, s22, v157, v148
	v_dot4_i32_iu8 v0, v225, v239, v226 neg_lo:[1,1,0]
	s_set_vgpr_msb 1                        ;  msbs: dst=0 src0=1 src1=0 src2=0
	v_bfe_i32 v226, v4 /*v260*/, 0, 8
	s_set_vgpr_msb 0                        ;  msbs: dst=0 src0=0 src1=0 src2=0
	v_or_b32_e32 v229, v229, v244
	s_set_vgpr_msb 0x41                     ;  msbs: dst=1 src0=1 src1=0 src2=0
	v_bfe_i32 v4 /*v260*/, v7 /*v263*/, 8, 8
	s_set_vgpr_msb 0                        ;  msbs: dst=0 src0=0 src1=0 src2=0
	ds_load_b32 v219, v219
	s_set_vgpr_msb 0x45                     ;  msbs: dst=1 src0=1 src1=1 src2=0
	v_perm_b32 v12 /*v268*/, v17 /*v273*/, v17 /*v273*/, 0xc0c0c01
	s_set_vgpr_msb 0                        ;  msbs: dst=0 src0=0 src1=0 src2=0
	v_mad_i32_i24 v0, v226, v205, v0
	s_set_vgpr_msb 1                        ;  msbs: dst=0 src0=1 src1=0 src2=0
	v_bfe_i32 v246, v21 /*v277*/, 8, 8
	s_set_vgpr_msb 4                        ;  msbs: dst=0 src0=0 src1=1 src2=0
	v_mul_i32_i24_e32 v230, v230, v4 /*v260*/
	s_set_vgpr_msb 0x41                     ;  msbs: dst=1 src0=1 src1=0 src2=0
	v_bfe_i32 v4 /*v260*/, v28 /*v284*/, 8, 8
	s_set_vgpr_msb 0                        ;  msbs: dst=0 src0=0 src1=0 src2=0
	v_dot4_i32_iu8 v0, v229, v231, v0 neg_lo:[1,1,0]
	s_set_vgpr_msb 5                        ;  msbs: dst=0 src0=1 src1=1 src2=0
	v_perm_b32 v231, v8 /*v264*/, v6 /*v262*/, 0xc0c0500
	s_set_vgpr_msb 0                        ;  msbs: dst=0 src0=0 src1=0 src2=0
	v_mul_i32_i24_e32 v246, v236, v246
	s_set_vgpr_msb 0x44                     ;  msbs: dst=1 src0=0 src1=1 src2=0
	v_mul_i32_i24_e32 v4 /*v260*/, v237, v4 /*v260*/
	s_set_vgpr_msb 5                        ;  msbs: dst=0 src0=1 src1=1 src2=0
	v_perm_b32 v237, v18 /*v274*/, v19 /*v275*/, 0xc05000c
	s_set_vgpr_msb 0                        ;  msbs: dst=0 src0=0 src1=0 src2=0
	v_add3_u32 v0, v0, v245, v235
	s_set_vgpr_msb 1                        ;  msbs: dst=0 src0=1 src1=0 src2=0
	v_bfe_i32 v235, v24 /*v280*/, 0, 8
	v_bfe_i32 v236, v27 /*v283*/, 0, 8
	s_set_vgpr_msb 4                        ;  msbs: dst=0 src0=0 src1=1 src2=0
	v_or_b32_e32 v237, v237, v12 /*v268*/
	s_set_vgpr_msb 0                        ;  msbs: dst=0 src0=0 src1=0 src2=0
	v_dot4_i32_iu8 v0, v232, v231, v0 neg_lo:[1,1,0]
	s_set_vgpr_msb 1                        ;  msbs: dst=0 src0=1 src1=0 src2=0
	v_bfe_i32 v231, v15 /*v271*/, 0, 8
	v_bfe_i32 v232, v13 /*v269*/, 8, 8
	s_set_vgpr_msb 0                        ;  msbs: dst=0 src0=0 src1=0 src2=0
	v_mul_i32_i24_e32 v247, v114, v235
	s_set_vgpr_msb 4                        ;  msbs: dst=0 src0=0 src1=1 src2=0
	v_add3_u32 v0, v0, v9 /*v265*/, v230
	s_set_vgpr_msb 5                        ;  msbs: dst=0 src0=1 src1=1 src2=0
	v_perm_b32 v230, v10 /*v266*/, v11 /*v267*/, 0xc0c0500
	s_set_vgpr_msb 64                       ;  msbs: dst=1 src0=0 src1=0 src2=0
	v_mul_i32_i24_e32 v9 /*v265*/, v182, v236
	s_set_vgpr_msb 0                        ;  msbs: dst=0 src0=0 src1=0 src2=0
	s_delay_alu instid0(VALU_DEP_2)
	v_dot4_i32_iu8 v0, v233, v230, v0 neg_lo:[1,1,0]
	v_mul_i32_i24_e32 v233, v231, v203
	ds_load_u16 v230, v234
	v_or_b32_e32 v214, v214, v216
	v_perm_b32 v216, v253, v253, 0xc0c0c01
	v_mad_i32_i24 v234, v232, v204, v233
	s_set_vgpr_msb 5                        ;  msbs: dst=0 src0=1 src1=1 src2=0
	v_perm_b32 v233, v16 /*v272*/, v14 /*v270*/, 0xc0c0500
	s_set_vgpr_msb 0                        ;  msbs: dst=0 src0=0 src1=0 src2=0
	s_delay_alu instid0(VALU_DEP_1) | instskip(SKIP_3) | instid1(VALU_DEP_1)
	v_dot4_i32_iu8 v245, v233, v241, v234 neg_lo:[1,1,0]
	s_set_vgpr_msb 1                        ;  msbs: dst=0 src0=1 src1=0 src2=0
	v_bfe_i32 v234, v20 /*v276*/, 0, 8
	s_set_vgpr_msb 0                        ;  msbs: dst=0 src0=0 src1=0 src2=0
	v_mad_i32_i24 v245, v234, v200, v245
	s_wait_dscnt 0x0
	v_lshrrev_b16 v244, 8, v230
	s_delay_alu instid0(VALU_DEP_2)
	v_dot4_i32_iu8 v238, v237, v238, v245 neg_lo:[1,1,0]
	s_set_vgpr_msb 5                        ;  msbs: dst=0 src0=1 src1=1 src2=0
	v_perm_b32 v245, v23 /*v279*/, v22 /*v278*/, 0xc0c0500
	s_set_vgpr_msb 0                        ;  msbs: dst=0 src0=0 src1=0 src2=0
	v_bfe_i32 v230, v230, 0, 8
	v_add3_u32 v238, v238, v247, v246
	s_delay_alu instid0(VALU_DEP_2) | instskip(NEXT) | instid1(VALU_DEP_2)
	v_mul_lo_u32 v0, v0, v230
	v_dot4_i32_iu8 v238, v242, v245, v238 neg_lo:[1,1,0]
	s_set_vgpr_msb 5                        ;  msbs: dst=0 src0=1 src1=1 src2=0
	v_perm_b32 v242, v25 /*v281*/, v26 /*v282*/, 0xc0c0500
	s_set_vgpr_msb 20                       ;  msbs: dst=0 src0=0 src1=1 src2=1
	s_delay_alu instid0(VALU_DEP_2) | instskip(SKIP_3) | instid1(VALU_DEP_2)
	v_add3_u32 v238, v238, v9 /*v265*/, v4 /*v260*/
	s_set_vgpr_msb 64                       ;  msbs: dst=1 src0=0 src1=0 src2=0
	v_add3_u32 v9 /*v265*/, s20, v158, v149
	s_set_vgpr_msb 0                        ;  msbs: dst=0 src0=0 src1=0 src2=0
	v_dot4_i32_iu8 v242, v243, v242, v238 neg_lo:[1,1,0]
	v_bfe_i32 v238, v244, 0, 8
	s_set_vgpr_msb 1                        ;  msbs: dst=0 src0=1 src1=0 src2=0
	ds_load_2addr_b32 v[246:247], v9 /*v265*/ offset1:1
	s_set_vgpr_msb 0                        ;  msbs: dst=0 src0=0 src1=0 src2=0
	v_mad_u32 v0, v242, v238, v0
	v_mul_f32_e32 v242, v115, v219
	s_delay_alu instid0(VALU_DEP_2) | instskip(NEXT) | instid1(VALU_DEP_1)
	v_cvt_f32_i32_e32 v0, v0
	v_mul_f32_e32 v242, v242, v0
	v_add_nc_u32_e32 v0, 0x3180, v215
	s_wait_dscnt 0x0
	v_dual_ashrrev_i32 v246, s18, v246 :: v_dual_ashrrev_i32 v247, s18, v247
	ds_load_2addr_b32 v[244:245], v0 offset1:1
	v_dual_lshlrev_b32 v246, 2, v246 :: v_dual_lshlrev_b32 v247, 2, v247
	s_delay_alu instid0(VALU_DEP_1) | instskip(NEXT) | instid1(VALU_DEP_2)
	v_and_b32_e32 v246, 0x4040404, v246
	v_and_b32_e32 v247, 0x4040404, v247
	s_set_vgpr_msb 64                       ;  msbs: dst=1 src0=0 src1=0 src2=0
	s_delay_alu instid0(VALU_DEP_2) | instskip(SKIP_1) | instid1(VALU_DEP_3)
	v_dual_lshrrev_b32 v13 /*v269*/, 24, v246 :: v_dual_lshrrev_b32 v14 /*v270*/, 16, v246
	v_lshrrev_b16 v12 /*v268*/, 8, v246
	v_dual_lshrrev_b32 v15 /*v271*/, 24, v247 :: v_dual_lshrrev_b32 v16 /*v272*/, 16, v247
	s_wait_dscnt 0x0
	s_set_vgpr_msb 0                        ;  msbs: dst=0 src0=0 src1=0 src2=0
	v_ashrrev_i32_e32 v0, s19, v244
	s_delay_alu instid0(VALU_DEP_1) | instskip(SKIP_2) | instid1(VALU_DEP_2)
	v_and_b32_e32 v243, 0x3030303, v0
	v_bfe_u32 v0, v0, 24, 2
	s_set_vgpr_msb 64                       ;  msbs: dst=1 src0=0 src1=0 src2=0
	v_lshrrev_b32_e32 v4 /*v260*/, 16, v243
	s_set_vgpr_msb 4                        ;  msbs: dst=0 src0=0 src1=1 src2=0
	s_delay_alu instid0(VALU_DEP_2)
	v_sub_nc_u16 v0, v0, v13 /*v269*/
	s_set_vgpr_msb 0                        ;  msbs: dst=0 src0=0 src1=0 src2=0
	v_lshrrev_b16 v244, 8, v243
	v_sub_nc_u16 v243, v243, v246
	s_set_vgpr_msb 0x45                     ;  msbs: dst=1 src0=1 src1=1 src2=0
	v_sub_nc_u16 v4 /*v260*/, v4 /*v260*/, v14 /*v270*/
	s_set_vgpr_msb 0                        ;  msbs: dst=0 src0=0 src1=0 src2=0
	v_lshlrev_b16 v0, 8, v0
	s_set_vgpr_msb 0x41                     ;  msbs: dst=1 src0=1 src1=0 src2=0
	v_lshrrev_b16 v14 /*v270*/, 8, v247
	s_delay_alu instid0(VALU_DEP_2) | instskip(SKIP_3) | instid1(VALU_DEP_1)
	v_bitop3_b16 v13 /*v269*/, v4 /*v260*/, v0, 0xff bitop3:0xec
	s_set_vgpr_msb 4                        ;  msbs: dst=0 src0=0 src1=1 src2=0
	v_sub_nc_u16 v0, v244, v12 /*v268*/
	s_set_vgpr_msb 64                       ;  msbs: dst=1 src0=0 src1=0 src2=0
	v_lshlrev_b16 v12 /*v268*/, 8, v0
	s_set_vgpr_msb 0                        ;  msbs: dst=0 src0=0 src1=0 src2=0
	v_ashrrev_i32_e32 v0, s19, v245
	s_set_vgpr_msb 0x41                     ;  msbs: dst=1 src0=1 src1=0 src2=0
	s_delay_alu instid0(VALU_DEP_2) | instskip(SKIP_1) | instid1(VALU_DEP_2)
	v_bfe_i32 v12 /*v268*/, v12 /*v268*/, 8, 8
	s_set_vgpr_msb 0                        ;  msbs: dst=0 src0=0 src1=0 src2=0
	v_and_b32_e32 v244, 0x3030303, v0
	v_bfe_u32 v0, v0, 24, 2
	s_delay_alu instid0(VALU_DEP_2) | instskip(SKIP_1) | instid1(VALU_DEP_2)
	v_lshrrev_b32_e32 v246, 16, v244
	s_set_vgpr_msb 4                        ;  msbs: dst=0 src0=0 src1=1 src2=0
	v_sub_nc_u16 v0, v0, v15 /*v271*/
	s_set_vgpr_msb 0                        ;  msbs: dst=0 src0=0 src1=0 src2=0
	v_lshrrev_b16 v245, 8, v244
	s_set_vgpr_msb 64                       ;  msbs: dst=1 src0=0 src1=0 src2=0
	v_sub_nc_u16 v17 /*v273*/, v244, v247
	s_set_vgpr_msb 0x44                     ;  msbs: dst=1 src0=0 src1=1 src2=0
	v_sub_nc_u16 v16 /*v272*/, v246, v16 /*v272*/
	s_set_vgpr_msb 1                        ;  msbs: dst=0 src0=1 src1=0 src2=0
	v_lshlrev_b16 v0, 8, v0
	ds_load_2addr_b32 v[246:247], v9 /*v265*/ offset0:2 offset1:3
	s_set_vgpr_msb 0x41                     ;  msbs: dst=1 src0=1 src1=0 src2=0
	v_bitop3_b16 v15 /*v271*/, v16 /*v272*/, v0, 0xff bitop3:0xec
	s_set_vgpr_msb 4                        ;  msbs: dst=0 src0=0 src1=1 src2=0
	v_sub_nc_u16 v0, v245, v14 /*v270*/
	s_set_vgpr_msb 64                       ;  msbs: dst=1 src0=0 src1=0 src2=0
	s_delay_alu instid0(VALU_DEP_1)
	v_lshlrev_b16 v14 /*v270*/, 8, v0
	s_set_vgpr_msb 0                        ;  msbs: dst=0 src0=0 src1=0 src2=0
	v_add_nc_u32_e32 v0, 0x3188, v215
	ds_load_2addr_b32 v[244:245], v0 offset1:1
	s_wait_dscnt 0x1
	v_dual_ashrrev_i32 v246, s18, v246 :: v_dual_ashrrev_i32 v247, s18, v247
	s_delay_alu instid0(VALU_DEP_1) | instskip(NEXT) | instid1(VALU_DEP_1)
	v_dual_lshlrev_b32 v246, 2, v246 :: v_dual_lshlrev_b32 v247, 2, v247
	v_and_b32_e32 v246, 0x4040404, v246
	s_delay_alu instid0(VALU_DEP_2) | instskip(SKIP_1) | instid1(VALU_DEP_2)
	v_and_b32_e32 v247, 0x4040404, v247
	s_set_vgpr_msb 64                       ;  msbs: dst=1 src0=0 src1=0 src2=0
	v_lshrrev_b32_e32 v24 /*v280*/, 24, v246
	s_wait_dscnt 0x0
	s_set_vgpr_msb 0                        ;  msbs: dst=0 src0=0 src1=0 src2=0
	v_ashrrev_i32_e32 v0, s19, v244
	s_set_vgpr_msb 64                       ;  msbs: dst=1 src0=0 src1=0 src2=0
	v_dual_lshrrev_b32 v27 /*v283*/, 16, v246 :: v_dual_lshrrev_b32 v29 /*v285*/, 16, v247
	v_lshrrev_b16 v20 /*v276*/, 8, v246
	v_lshrrev_b16 v30 /*v286*/, 8, v247
	s_set_vgpr_msb 0                        ;  msbs: dst=0 src0=0 src1=0 src2=0
	v_and_b32_e32 v244, 0x3030303, v0
	v_bfe_u32 v0, v0, 24, 2
	s_set_vgpr_msb 64                       ;  msbs: dst=1 src0=0 src1=0 src2=0
	s_delay_alu instid0(VALU_DEP_2) | instskip(SKIP_1) | instid1(VALU_DEP_2)
	v_lshrrev_b32_e32 v19 /*v275*/, 16, v244
	s_set_vgpr_msb 4                        ;  msbs: dst=0 src0=0 src1=1 src2=0
	v_sub_nc_u16 v0, v0, v24 /*v280*/
	s_set_vgpr_msb 64                       ;  msbs: dst=1 src0=0 src1=0 src2=0
	v_lshrrev_b16 v18 /*v274*/, 8, v244
	s_set_vgpr_msb 0x45                     ;  msbs: dst=1 src0=1 src1=1 src2=0
	v_sub_nc_u16 v19 /*v275*/, v19 /*v275*/, v27 /*v283*/
	s_set_vgpr_msb 0                        ;  msbs: dst=0 src0=0 src1=0 src2=0
	v_lshlrev_b16 v0, 8, v0
	s_set_vgpr_msb 0x41                     ;  msbs: dst=1 src0=1 src1=0 src2=0
	v_lshrrev_b32_e32 v27 /*v283*/, 24, v247
	s_delay_alu instid0(VALU_DEP_2) | instskip(SKIP_4) | instid1(VALU_DEP_2)
	v_bitop3_b16 v24 /*v280*/, v19 /*v275*/, v0, 0xff bitop3:0xec
	s_set_vgpr_msb 5                        ;  msbs: dst=0 src0=1 src1=1 src2=0
	v_sub_nc_u16 v0, v18 /*v274*/, v20 /*v276*/
	s_set_vgpr_msb 64                       ;  msbs: dst=1 src0=0 src1=0 src2=0
	v_sub_nc_u16 v20 /*v276*/, v244, v246
	v_lshlrev_b16 v18 /*v274*/, 8, v0
	s_set_vgpr_msb 0                        ;  msbs: dst=0 src0=0 src1=0 src2=0
	v_ashrrev_i32_e32 v0, s19, v245
	s_delay_alu instid0(VALU_DEP_1) | instskip(SKIP_1) | instid1(VALU_DEP_1)
	v_bfe_u32 v244, v0, 24, 2
	v_and_b32_e32 v0, 0x3030303, v0
	v_lshrrev_b16 v246, 8, v0
	v_lshrrev_b32_e32 v245, 16, v0
	s_set_vgpr_msb 64                       ;  msbs: dst=1 src0=0 src1=0 src2=0
	v_sub_nc_u16 v31 /*v287*/, v0, v247
	s_set_vgpr_msb 4                        ;  msbs: dst=0 src0=0 src1=1 src2=0
	v_sub_nc_u16 v0, v246, v30 /*v286*/
	s_set_vgpr_msb 0x44                     ;  msbs: dst=1 src0=0 src1=1 src2=0
	v_sub_nc_u16 v29 /*v285*/, v245, v29 /*v285*/
	s_set_vgpr_msb 1                        ;  msbs: dst=0 src0=1 src1=0 src2=0
	ds_load_2addr_b32 v[246:247], v9 /*v265*/ offset0:4 offset1:5
	v_lshlrev_b16 v0, 8, v0
	s_set_vgpr_msb 0x41                     ;  msbs: dst=1 src0=1 src1=0 src2=0
	s_delay_alu instid0(VALU_DEP_1) | instskip(SKIP_3) | instid1(VALU_DEP_1)
	v_bitop3_b16 v30 /*v286*/, v31 /*v287*/, v0, 0xff bitop3:0xec
	s_set_vgpr_msb 4                        ;  msbs: dst=0 src0=0 src1=1 src2=0
	v_sub_nc_u16 v0, v244, v27 /*v283*/
	s_set_vgpr_msb 0                        ;  msbs: dst=0 src0=0 src1=0 src2=0
	v_lshlrev_b16 v0, 8, v0
	s_set_vgpr_msb 0x41                     ;  msbs: dst=1 src0=1 src1=0 src2=0
	s_delay_alu instid0(VALU_DEP_1)
	v_bitop3_b16 v27 /*v283*/, v29 /*v285*/, v0, 0xff bitop3:0xec
	s_set_vgpr_msb 0                        ;  msbs: dst=0 src0=0 src1=0 src2=0
	v_add_nc_u32_e32 v0, 0x3190, v215
	s_wait_dscnt 0x0
	v_dual_ashrrev_i32 v246, s18, v246 :: v_dual_ashrrev_i32 v247, s18, v247
	ds_load_2addr_b32 v[244:245], v0 offset1:1
	v_dual_lshlrev_b32 v246, 2, v246 :: v_dual_lshlrev_b32 v247, 2, v247
	s_delay_alu instid0(VALU_DEP_1) | instskip(NEXT) | instid1(VALU_DEP_2)
	v_and_b32_e32 v246, 0x4040404, v246
	v_and_b32_e32 v247, 0x4040404, v247
	s_set_vgpr_msb 64                       ;  msbs: dst=1 src0=0 src1=0 src2=0
	s_delay_alu instid0(VALU_DEP_2) | instskip(SKIP_1) | instid1(VALU_DEP_3)
	v_dual_lshrrev_b32 v35 /*v291*/, 24, v246 :: v_dual_lshrrev_b32 v36 /*v292*/, 16, v246
	v_lshrrev_b16 v34 /*v290*/, 8, v246
	v_dual_lshrrev_b32 v37 /*v293*/, 24, v247 :: v_dual_lshrrev_b32 v38 /*v294*/, 16, v247
	s_wait_dscnt 0x0
	s_set_vgpr_msb 0                        ;  msbs: dst=0 src0=0 src1=0 src2=0
	v_ashrrev_i32_e32 v0, s19, v244
	s_delay_alu instid0(VALU_DEP_1) | instskip(SKIP_2) | instid1(VALU_DEP_2)
	v_and_b32_e32 v244, 0x3030303, v0
	v_bfe_u32 v0, v0, 24, 2
	s_set_vgpr_msb 64                       ;  msbs: dst=1 src0=0 src1=0 src2=0
	v_lshrrev_b32_e32 v33 /*v289*/, 16, v244
	s_set_vgpr_msb 4                        ;  msbs: dst=0 src0=0 src1=1 src2=0
	s_delay_alu instid0(VALU_DEP_2)
	v_sub_nc_u16 v0, v0, v35 /*v291*/
	s_set_vgpr_msb 64                       ;  msbs: dst=1 src0=0 src1=0 src2=0
	v_lshrrev_b16 v32 /*v288*/, 8, v244
	s_set_vgpr_msb 0x45                     ;  msbs: dst=1 src0=1 src1=1 src2=0
	v_sub_nc_u16 v33 /*v289*/, v33 /*v289*/, v36 /*v292*/
	s_set_vgpr_msb 0                        ;  msbs: dst=0 src0=0 src1=0 src2=0
	v_lshlrev_b16 v0, 8, v0
	s_set_vgpr_msb 64                       ;  msbs: dst=1 src0=0 src1=0 src2=0
	v_sub_nc_u16 v36 /*v292*/, v244, v246
	s_set_vgpr_msb 0x41                     ;  msbs: dst=1 src0=1 src1=0 src2=0
	s_delay_alu instid0(VALU_DEP_2) | instskip(SKIP_4) | instid1(VALU_DEP_2)
	v_bitop3_b16 v35 /*v291*/, v33 /*v289*/, v0, 0xff bitop3:0xec
	s_set_vgpr_msb 5                        ;  msbs: dst=0 src0=1 src1=1 src2=0
	v_sub_nc_u16 v0, v32 /*v288*/, v34 /*v290*/
	s_set_vgpr_msb 64                       ;  msbs: dst=1 src0=0 src1=0 src2=0
	v_lshrrev_b16 v34 /*v290*/, 8, v247
	v_lshlrev_b16 v32 /*v288*/, 8, v0
	s_set_vgpr_msb 0                        ;  msbs: dst=0 src0=0 src1=0 src2=0
	v_ashrrev_i32_e32 v0, s19, v245
	s_delay_alu instid0(VALU_DEP_1) | instskip(SKIP_1) | instid1(VALU_DEP_2)
	v_and_b32_e32 v244, 0x3030303, v0
	v_bfe_u32 v0, v0, 24, 2
	v_lshrrev_b32_e32 v246, 16, v244
	s_set_vgpr_msb 4                        ;  msbs: dst=0 src0=0 src1=1 src2=0
	s_delay_alu instid0(VALU_DEP_2)
	v_sub_nc_u16 v0, v0, v37 /*v293*/
	s_set_vgpr_msb 0                        ;  msbs: dst=0 src0=0 src1=0 src2=0
	v_lshrrev_b16 v245, 8, v244
	s_set_vgpr_msb 64                       ;  msbs: dst=1 src0=0 src1=0 src2=0
	v_sub_nc_u16 v39 /*v295*/, v244, v247
	s_set_vgpr_msb 0x44                     ;  msbs: dst=1 src0=0 src1=1 src2=0
	v_sub_nc_u16 v38 /*v294*/, v246, v38 /*v294*/
	s_set_vgpr_msb 1                        ;  msbs: dst=0 src0=1 src1=0 src2=0
	v_lshlrev_b16 v0, 8, v0
	ds_load_2addr_b32 v[246:247], v9 /*v265*/ offset0:6 offset1:7
	s_set_vgpr_msb 0x41                     ;  msbs: dst=1 src0=1 src1=0 src2=0
	v_bitop3_b16 v37 /*v293*/, v38 /*v294*/, v0, 0xff bitop3:0xec
	s_set_vgpr_msb 4                        ;  msbs: dst=0 src0=0 src1=1 src2=0
	v_sub_nc_u16 v0, v245, v34 /*v290*/
	s_set_vgpr_msb 64                       ;  msbs: dst=1 src0=0 src1=0 src2=0
	s_delay_alu instid0(VALU_DEP_1)
	v_lshlrev_b16 v34 /*v290*/, 8, v0
	s_set_vgpr_msb 0                        ;  msbs: dst=0 src0=0 src1=0 src2=0
	v_add_nc_u32_e32 v0, 0x3198, v215
	ds_load_2addr_b32 v[244:245], v0 offset1:1
	s_wait_dscnt 0x1
	v_dual_ashrrev_i32 v246, s18, v246 :: v_dual_ashrrev_i32 v247, s18, v247
	s_delay_alu instid0(VALU_DEP_1) | instskip(NEXT) | instid1(VALU_DEP_1)
	v_dual_lshlrev_b32 v246, 2, v246 :: v_dual_lshlrev_b32 v247, 2, v247
	v_and_b32_e32 v246, 0x4040404, v246
	s_delay_alu instid0(VALU_DEP_2) | instskip(SKIP_1) | instid1(VALU_DEP_2)
	v_and_b32_e32 v247, 0x4040404, v247
	s_set_vgpr_msb 64                       ;  msbs: dst=1 src0=0 src1=0 src2=0
	v_lshrrev_b32_e32 v41 /*v297*/, 24, v246
	s_wait_dscnt 0x0
	s_set_vgpr_msb 0                        ;  msbs: dst=0 src0=0 src1=0 src2=0
	v_ashrrev_i32_e32 v0, s19, v244
	s_set_vgpr_msb 64                       ;  msbs: dst=1 src0=0 src1=0 src2=0
	v_lshrrev_b32_e32 v42 /*v298*/, 16, v246
	v_lshrrev_b16 v9 /*v265*/, 8, v246
	v_dual_lshrrev_b32 v43 /*v299*/, 24, v247 :: v_dual_lshrrev_b32 v44 /*v300*/, 16, v247
	s_set_vgpr_msb 0                        ;  msbs: dst=0 src0=0 src1=0 src2=0
	v_and_b32_e32 v215, 0x3030303, v0
	v_bfe_u32 v0, v0, 24, 2
	s_set_vgpr_msb 64                       ;  msbs: dst=1 src0=0 src1=0 src2=0
	s_delay_alu instid0(VALU_DEP_2) | instskip(SKIP_1) | instid1(VALU_DEP_2)
	v_lshrrev_b32_e32 v40 /*v296*/, 16, v215
	s_set_vgpr_msb 4                        ;  msbs: dst=0 src0=0 src1=1 src2=0
	v_sub_nc_u16 v0, v0, v41 /*v297*/
	s_set_vgpr_msb 0                        ;  msbs: dst=0 src0=0 src1=0 src2=0
	v_lshrrev_b16 v244, 8, v215
	v_sub_nc_u16 v215, v215, v246
	s_set_vgpr_msb 0x45                     ;  msbs: dst=1 src0=1 src1=1 src2=0
	v_sub_nc_u16 v40 /*v296*/, v40 /*v296*/, v42 /*v298*/
	s_set_vgpr_msb 0                        ;  msbs: dst=0 src0=0 src1=0 src2=0
	v_lshlrev_b16 v0, 8, v0
	s_set_vgpr_msb 64                       ;  msbs: dst=1 src0=0 src1=0 src2=0
	v_lshrrev_b16 v42 /*v298*/, 8, v247
	s_set_vgpr_msb 0                        ;  msbs: dst=0 src0=0 src1=0 src2=0
	v_bfe_i32 v215, v215, 0, 8
	s_set_vgpr_msb 0x41                     ;  msbs: dst=1 src0=1 src1=0 src2=0
	v_bitop3_b16 v41 /*v297*/, v40 /*v296*/, v0, 0xff bitop3:0xec
	s_set_vgpr_msb 4                        ;  msbs: dst=0 src0=0 src1=1 src2=0
	v_sub_nc_u16 v0, v244, v9 /*v265*/
	s_set_vgpr_msb 0                        ;  msbs: dst=0 src0=0 src1=0 src2=0
	s_delay_alu instid0(VALU_DEP_1) | instskip(SKIP_1) | instid1(VALU_DEP_1)
	v_lshlrev_b16 v244, 8, v0
	v_ashrrev_i32_e32 v0, s19, v245
	v_and_b32_e32 v245, 0x3030303, v0
	v_bfe_u32 v0, v0, 24, 2
	s_set_vgpr_msb 64                       ;  msbs: dst=1 src0=0 src1=0 src2=0
	s_delay_alu instid0(VALU_DEP_2) | instskip(SKIP_1) | instid1(VALU_DEP_2)
	v_lshrrev_b32_e32 v9 /*v265*/, 16, v245
	s_set_vgpr_msb 4                        ;  msbs: dst=0 src0=0 src1=1 src2=0
	v_sub_nc_u16 v0, v0, v43 /*v299*/
	s_set_vgpr_msb 0                        ;  msbs: dst=0 src0=0 src1=0 src2=0
	v_lshrrev_b16 v246, 8, v245
	v_sub_nc_u16 v245, v245, v247
	v_add_nc_u32_e32 v247, s21, v29
	s_set_vgpr_msb 0x45                     ;  msbs: dst=1 src0=1 src1=1 src2=0
	v_sub_nc_u16 v9 /*v265*/, v9 /*v265*/, v44 /*v300*/
	s_set_vgpr_msb 0                        ;  msbs: dst=0 src0=0 src1=0 src2=0
	v_lshlrev_b16 v0, 8, v0
	s_set_vgpr_msb 0x41                     ;  msbs: dst=1 src0=1 src1=0 src2=0
	s_delay_alu instid0(VALU_DEP_1)
	v_bitop3_b16 v43 /*v299*/, v9 /*v265*/, v0, 0xff bitop3:0xec
	s_set_vgpr_msb 4                        ;  msbs: dst=0 src0=0 src1=1 src2=0
	v_sub_nc_u16 v0, v246, v42 /*v298*/
	s_set_vgpr_msb 64                       ;  msbs: dst=1 src0=0 src1=0 src2=0
	v_bfe_i32 v42 /*v298*/, v243, 0, 8
	s_set_vgpr_msb 0                        ;  msbs: dst=0 src0=0 src1=0 src2=0
	s_delay_alu instid0(VALU_DEP_2) | instskip(SKIP_1) | instid1(VALU_DEP_2)
	v_lshlrev_b16 v246, 8, v0
	s_set_vgpr_msb 4                        ;  msbs: dst=0 src0=0 src1=1 src2=0
	v_mul_i32_i24_e32 v207, v207, v42 /*v298*/
	s_set_vgpr_msb 0                        ;  msbs: dst=0 src0=0 src1=0 src2=0
	v_add3_u32 v0, s22, v159, v150
	s_set_vgpr_msb 4                        ;  msbs: dst=0 src0=0 src1=1 src2=0
	s_delay_alu instid0(VALU_DEP_2)
	v_mad_i32_i24 v207, v208, v12 /*v268*/, v207
	s_set_vgpr_msb 5                        ;  msbs: dst=0 src0=1 src1=1 src2=0
	v_perm_b32 v208, v13 /*v269*/, v4 /*v260*/, 0xc0c0500
	s_set_vgpr_msb 0x41                     ;  msbs: dst=1 src0=1 src1=0 src2=0
	v_bfe_i32 v4 /*v260*/, v17 /*v273*/, 0, 8
	v_bfe_i32 v17 /*v273*/, v36 /*v292*/, 0, 8
	;; [unrolled: 1-line block ×4, first 2 shown]
	s_set_vgpr_msb 0                        ;  msbs: dst=0 src0=0 src1=0 src2=0
	ds_load_b32 v0, v0
	v_dot4_i32_iu8 v207, v239, v208, v207 neg_lo:[1,1,0]
	s_set_vgpr_msb 1                        ;  msbs: dst=0 src0=1 src1=0 src2=0
	v_bfe_i32 v239, v14 /*v270*/, 8, 8
	s_set_vgpr_msb 4                        ;  msbs: dst=0 src0=0 src1=1 src2=0
	v_mul_i32_i24_e32 v205, v205, v4 /*v260*/
	v_mul_i32_i24_e32 v200, v200, v32 /*v288*/
	s_set_vgpr_msb 0                        ;  msbs: dst=0 src0=0 src1=0 src2=0
	v_mul_i32_i24_e32 v206, v206, v239
	s_set_vgpr_msb 1                        ;  msbs: dst=0 src0=1 src1=0 src2=0
	v_bfe_i32 v239, v20 /*v276*/, 0, 8
	s_set_vgpr_msb 0x45                     ;  msbs: dst=1 src0=1 src1=1 src2=0
	v_perm_b32 v20 /*v276*/, v35 /*v291*/, v33 /*v289*/, 0xc0c0500
	s_set_vgpr_msb 0                        ;  msbs: dst=0 src0=0 src1=0 src2=0
	v_add3_u32 v205, v207, v205, v206
	s_set_vgpr_msb 5                        ;  msbs: dst=0 src0=1 src1=1 src2=0
	v_perm_b32 v206, v15 /*v271*/, v16 /*v272*/, 0xc0c0500
	s_set_vgpr_msb 0                        ;  msbs: dst=0 src0=0 src1=0 src2=0
	s_delay_alu instid0(VALU_DEP_1) | instskip(NEXT) | instid1(VALU_DEP_1)
	v_dot4_i32_iu8 v1, v1, v206, v205 neg_lo:[1,1,0]
	v_mad_i32_i24 v1, v239, v202, v1
	s_set_vgpr_msb 4                        ;  msbs: dst=0 src0=0 src1=1 src2=0
	v_mul_i32_i24_e32 v202, v203, v17 /*v273*/
	s_set_vgpr_msb 1                        ;  msbs: dst=0 src0=1 src1=0 src2=0
	v_bfe_i32 v203, v34 /*v290*/, 8, 8
	s_set_vgpr_msb 4                        ;  msbs: dst=0 src0=0 src1=1 src2=0
	s_delay_alu instid0(VALU_DEP_2) | instskip(SKIP_1) | instid1(VALU_DEP_2)
	v_mad_i32_i24 v202, v204, v13 /*v269*/, v202
	s_set_vgpr_msb 0                        ;  msbs: dst=0 src0=0 src1=0 src2=0
	v_mul_i32_i24_e32 v201, v201, v203
	s_set_vgpr_msb 4                        ;  msbs: dst=0 src0=0 src1=1 src2=0
	s_delay_alu instid0(VALU_DEP_2) | instskip(SKIP_1) | instid1(VALU_DEP_1)
	v_dot4_i32_iu8 v202, v241, v20 /*v276*/, v202 neg_lo:[1,1,0]
	s_set_vgpr_msb 0                        ;  msbs: dst=0 src0=0 src1=0 src2=0
	v_add3_u32 v200, v202, v200, v201
	s_set_vgpr_msb 5                        ;  msbs: dst=0 src0=1 src1=1 src2=0
	v_perm_b32 v201, v37 /*v293*/, v38 /*v294*/, 0xc0c0500
	s_set_vgpr_msb 0                        ;  msbs: dst=0 src0=0 src1=0 src2=0
	s_delay_alu instid0(VALU_DEP_1) | instskip(SKIP_1) | instid1(VALU_DEP_1)
	v_dot4_i32_iu8 v5, v5, v201, v200 neg_lo:[1,1,0]
	s_set_vgpr_msb 64                       ;  msbs: dst=1 src0=0 src1=0 src2=0
	v_mad_i32_i24 v33 /*v289*/, v215, v114, v5
	s_set_vgpr_msb 0                        ;  msbs: dst=0 src0=0 src1=0 src2=0
	v_or_b32_e32 v5, s17, v138
	s_delay_alu instid0(VALU_DEP_1)
	v_dual_lshlrev_b32 v204, 2, v5 :: v_dual_lshrrev_b32 v5, 1, v5
	ds_load_b32 v114, v5 offset:38816
	ds_load_b128 v[200:203], v204 offset:25344
	ds_load_b128 v[204:207], v204 offset:25360
	s_wait_dscnt 0x1
	s_set_vgpr_msb 64                       ;  msbs: dst=1 src0=0 src1=0 src2=0
	v_bfe_i32 v35 /*v291*/, v200, 0, 8
	v_bfe_i32 v36 /*v292*/, v200, 8, 8
	s_set_vgpr_msb 0                        ;  msbs: dst=0 src0=0 src1=0 src2=0
	v_perm_b32 v200, v200, v200, 0xc0c0302
	s_set_vgpr_msb 64                       ;  msbs: dst=1 src0=0 src1=0 src2=0
	v_bfe_i32 v39 /*v295*/, v201, 0, 8
	s_set_vgpr_msb 0                        ;  msbs: dst=0 src0=0 src1=0 src2=0
	v_perm_b32 v201, v201, v201, 0xc030201
	s_set_vgpr_msb 64                       ;  msbs: dst=1 src0=0 src1=0 src2=0
	v_bfe_i32 v44 /*v300*/, v202, 0, 8
	v_perm_b32 v50 /*v306*/, v202, v202, 0xc030201
	s_set_vgpr_msb 0                        ;  msbs: dst=0 src0=0 src1=0 src2=0
	v_bfe_i32 v243, v203, 0, 8
	v_perm_b32 v210, v203, v203, 0xc030201
	s_wait_dscnt 0x0
	s_set_vgpr_msb 64                       ;  msbs: dst=1 src0=0 src1=0 src2=0
	v_bfe_i32 v45 /*v301*/, v204, 0, 8
	v_bfe_i32 v46 /*v302*/, v204, 8, 8
	s_set_vgpr_msb 0                        ;  msbs: dst=0 src0=0 src1=0 src2=0
	v_perm_b32 v204, v204, v204, 0xc0c0302
	s_set_vgpr_msb 64                       ;  msbs: dst=1 src0=0 src1=0 src2=0
	v_bfe_i32 v47 /*v303*/, v205, 0, 8
	s_set_vgpr_msb 0                        ;  msbs: dst=0 src0=0 src1=0 src2=0
	v_perm_b32 v205, v205, v205, 0xc030201
	s_set_vgpr_msb 64                       ;  msbs: dst=1 src0=0 src1=0 src2=0
	;; [unrolled: 4-line block ×3, first 2 shown]
	v_bfe_i32 v49 /*v305*/, v207, 0, 8
	s_set_vgpr_msb 0                        ;  msbs: dst=0 src0=0 src1=0 src2=0
	v_perm_b32 v207, v207, v207, 0xc030201
	s_set_vgpr_msb 1                        ;  msbs: dst=0 src0=1 src1=0 src2=0
	v_mul_i32_i24_e32 v5, v35 /*v291*/, v166
	v_mul_i32_i24_e32 v212, v45 /*v301*/, v174
	s_delay_alu instid0(VALU_DEP_2) | instskip(NEXT) | instid1(VALU_DEP_2)
	v_mad_i32_i24 v5, v36 /*v292*/, v167, v5
	v_mad_i32_i24 v212, v46 /*v302*/, v175, v212
	s_set_vgpr_msb 0                        ;  msbs: dst=0 src0=0 src1=0 src2=0
	s_delay_alu instid0(VALU_DEP_2) | instskip(NEXT) | instid1(VALU_DEP_2)
	v_dot4_i32_iu8 v5, v200, v168, v5 neg_lo:[1,1,0]
	v_dot4_i32_iu8 v212, v204, v176, v212 neg_lo:[1,1,0]
	s_set_vgpr_msb 1                        ;  msbs: dst=0 src0=1 src1=0 src2=0
	s_delay_alu instid0(VALU_DEP_2) | instskip(NEXT) | instid1(VALU_DEP_2)
	v_mad_i32_i24 v5, v39 /*v295*/, v170, v5
	v_mad_i32_i24 v212, v47 /*v303*/, v178, v212
	s_set_vgpr_msb 0                        ;  msbs: dst=0 src0=0 src1=0 src2=0
	s_delay_alu instid0(VALU_DEP_2) | instskip(NEXT) | instid1(VALU_DEP_2)
	v_dot4_i32_iu8 v5, v201, v172, v5 neg_lo:[1,1,0]
	v_dot4_i32_iu8 v212, v205, v180, v212 neg_lo:[1,1,0]
	s_set_vgpr_msb 4                        ;  msbs: dst=0 src0=0 src1=1 src2=0
	s_delay_alu instid0(VALU_DEP_2) | instskip(NEXT) | instid1(VALU_DEP_2)
	v_mad_i32_i24 v5, v169, v44 /*v300*/, v5
	v_mad_i32_i24 v212, v177, v48 /*v304*/, v212
	s_delay_alu instid0(VALU_DEP_2) | instskip(SKIP_1) | instid1(VALU_DEP_2)
	v_dot4_i32_iu8 v5, v209, v50 /*v306*/, v5 neg_lo:[1,1,0]
	s_set_vgpr_msb 0                        ;  msbs: dst=0 src0=0 src1=0 src2=0
	v_dot4_i32_iu8 v212, v213, v206, v212 neg_lo:[1,1,0]
	s_delay_alu instid0(VALU_DEP_2) | instskip(SKIP_1) | instid1(VALU_DEP_2)
	v_mad_i32_i24 v5, v171, v243, v5
	s_set_vgpr_msb 4                        ;  msbs: dst=0 src0=0 src1=1 src2=0
	v_mad_i32_i24 v212, v179, v49 /*v305*/, v212
	s_set_vgpr_msb 0                        ;  msbs: dst=0 src0=0 src1=0 src2=0
	s_delay_alu instid0(VALU_DEP_2) | instskip(NEXT) | instid1(VALU_DEP_2)
	v_dot4_i32_iu8 v5, v211, v210, v5 neg_lo:[1,1,0]
	v_dot4_i32_iu8 v212, v214, v207, v212 neg_lo:[1,1,0]
	s_delay_alu instid0(VALU_DEP_2) | instskip(NEXT) | instid1(VALU_DEP_1)
	v_mul_lo_u32 v5, v5, v173
	v_mad_u32 v5, v212, v181, v5
	v_mul_f32_e32 v212, v165, v114
	s_delay_alu instid0(VALU_DEP_2) | instskip(NEXT) | instid1(VALU_DEP_1)
	v_cvt_f32_i32_e32 v5, v5
	v_mul_f32_e32 v5, v212, v5
	v_perm_b32 v212, v250, v250, 0xc0c0c01
	s_delay_alu instid0(VALU_DEP_2)
	v_pk_add_f32 v[104:105], v[104:105], v[4:5]
	s_set_vgpr_msb 1                        ;  msbs: dst=0 src0=1 src1=0 src2=0
	v_mul_i32_i24_e32 v4, v35 /*v291*/, v184
	s_set_vgpr_msb 0                        ;  msbs: dst=0 src0=0 src1=0 src2=0
	v_perm_b32 v5, v249, v248, 0xc05000c
	s_set_vgpr_msb 1                        ;  msbs: dst=0 src0=1 src1=0 src2=0
	s_delay_alu instid0(VALU_DEP_2) | instskip(SKIP_1) | instid1(VALU_DEP_2)
	v_mad_i32_i24 v4, v36 /*v292*/, v185, v4
	s_set_vgpr_msb 0                        ;  msbs: dst=0 src0=0 src1=0 src2=0
	v_or_b32_e32 v212, v5, v212
	v_perm_b32 v5, v252, v251, 0xc05000c
	s_delay_alu instid0(VALU_DEP_3) | instskip(NEXT) | instid1(VALU_DEP_2)
	v_dot4_i32_iu8 v4, v200, v186, v4 neg_lo:[1,1,0]
	v_or_b32_e32 v216, v5, v216
	s_set_vgpr_msb 1                        ;  msbs: dst=0 src0=1 src1=0 src2=0
	v_mul_i32_i24_e32 v5, v45 /*v301*/, v192
	s_delay_alu instid0(VALU_DEP_3) | instskip(NEXT) | instid1(VALU_DEP_2)
	v_mad_i32_i24 v4, v39 /*v295*/, v187, v4
	v_mad_i32_i24 v5, v46 /*v302*/, v193, v5
	s_set_vgpr_msb 0                        ;  msbs: dst=0 src0=0 src1=0 src2=0
	s_delay_alu instid0(VALU_DEP_2) | instskip(NEXT) | instid1(VALU_DEP_2)
	v_dot4_i32_iu8 v4, v201, v190, v4 neg_lo:[1,1,0]
	v_dot4_i32_iu8 v5, v204, v194, v5 neg_lo:[1,1,0]
	s_set_vgpr_msb 4                        ;  msbs: dst=0 src0=0 src1=1 src2=0
	s_delay_alu instid0(VALU_DEP_2) | instskip(SKIP_1) | instid1(VALU_DEP_2)
	v_mad_i32_i24 v4, v188, v44 /*v300*/, v4
	s_set_vgpr_msb 1                        ;  msbs: dst=0 src0=1 src1=0 src2=0
	v_mad_i32_i24 v5, v47 /*v303*/, v195, v5
	s_set_vgpr_msb 4                        ;  msbs: dst=0 src0=0 src1=1 src2=0
	s_delay_alu instid0(VALU_DEP_2) | instskip(SKIP_1) | instid1(VALU_DEP_2)
	v_dot4_i32_iu8 v4, v212, v50 /*v306*/, v4 neg_lo:[1,1,0]
	s_set_vgpr_msb 0                        ;  msbs: dst=0 src0=0 src1=0 src2=0
	v_dot4_i32_iu8 v5, v205, v198, v5 neg_lo:[1,1,0]
	s_delay_alu instid0(VALU_DEP_2) | instskip(SKIP_1) | instid1(VALU_DEP_2)
	v_mad_i32_i24 v4, v189, v243, v4
	s_set_vgpr_msb 4                        ;  msbs: dst=0 src0=0 src1=1 src2=0
	v_mad_i32_i24 v5, v196, v48 /*v304*/, v5
	s_set_vgpr_msb 0                        ;  msbs: dst=0 src0=0 src1=0 src2=0
	s_delay_alu instid0(VALU_DEP_2) | instskip(NEXT) | instid1(VALU_DEP_2)
	v_dot4_i32_iu8 v4, v216, v210, v4 neg_lo:[1,1,0]
	v_dot4_i32_iu8 v5, v217, v206, v5 neg_lo:[1,1,0]
	s_delay_alu instid0(VALU_DEP_2) | instskip(SKIP_1) | instid1(VALU_DEP_2)
	v_mul_lo_u32 v4, v4, v191
	s_set_vgpr_msb 4                        ;  msbs: dst=0 src0=0 src1=1 src2=0
	v_mad_i32_i24 v5, v197, v49 /*v305*/, v5
	s_set_vgpr_msb 0                        ;  msbs: dst=0 src0=0 src1=0 src2=0
	s_delay_alu instid0(VALU_DEP_1) | instskip(NEXT) | instid1(VALU_DEP_1)
	v_dot4_i32_iu8 v5, v218, v207, v5 neg_lo:[1,1,0]
	v_mad_u32 v4, v5, v199, v4
	v_mul_f32_e32 v5, v183, v114
	s_delay_alu instid0(VALU_DEP_2) | instskip(NEXT) | instid1(VALU_DEP_1)
	v_cvt_f32_i32_e32 v4, v4
	v_mul_f32_e32 v241, v5, v4
	s_set_vgpr_msb 1                        ;  msbs: dst=0 src0=1 src1=0 src2=0
	v_mul_i32_i24_e32 v4, v35 /*v291*/, v223
	s_set_vgpr_msb 5                        ;  msbs: dst=0 src0=1 src1=1 src2=0
	v_perm_b32 v5, v8 /*v264*/, v6 /*v262*/, 0xc05000c
	s_set_vgpr_msb 0                        ;  msbs: dst=0 src0=0 src1=0 src2=0
	v_pk_add_f32 v[106:107], v[106:107], v[240:241]
	s_set_vgpr_msb 1                        ;  msbs: dst=0 src0=1 src1=0 src2=0
	v_mad_i32_i24 v4, v36 /*v292*/, v224, v4
	s_set_vgpr_msb 0                        ;  msbs: dst=0 src0=0 src1=0 src2=0
	v_or_b32_e32 v220, v5, v220
	s_set_vgpr_msb 5                        ;  msbs: dst=0 src0=1 src1=1 src2=0
	v_perm_b32 v5, v10 /*v266*/, v11 /*v267*/, 0xc05000c
	v_perm_b32 v240, v21 /*v277*/, v21 /*v277*/, 0xc0c0c01
	;; [unrolled: 1-line block ×3, first 2 shown]
	s_set_vgpr_msb 0                        ;  msbs: dst=0 src0=0 src1=0 src2=0
	v_dot4_i32_iu8 v4, v200, v225, v4 neg_lo:[1,1,0]
	v_or_b32_e32 v221, v5, v221
	s_set_vgpr_msb 1                        ;  msbs: dst=0 src0=1 src1=0 src2=0
	v_mul_i32_i24_e32 v5, v45 /*v301*/, v231
	s_set_vgpr_msb 0                        ;  msbs: dst=0 src0=0 src1=0 src2=0
	v_or_b32_e32 v222, v222, v240
	s_set_vgpr_msb 5                        ;  msbs: dst=0 src0=1 src1=1 src2=0
	v_perm_b32 v240, v25 /*v281*/, v26 /*v282*/, 0xc05000c
	s_set_vgpr_msb 1                        ;  msbs: dst=0 src0=1 src1=0 src2=0
	v_mad_i32_i24 v4, v39 /*v295*/, v226, v4
	v_mad_i32_i24 v5, v46 /*v302*/, v232, v5
	s_set_vgpr_msb 0                        ;  msbs: dst=0 src0=0 src1=0 src2=0
	v_or_b32_e32 v240, v240, v241
	s_delay_alu instid0(VALU_DEP_3) | instskip(NEXT) | instid1(VALU_DEP_3)
	v_dot4_i32_iu8 v4, v201, v229, v4 neg_lo:[1,1,0]
	v_dot4_i32_iu8 v5, v204, v233, v5 neg_lo:[1,1,0]
	s_set_vgpr_msb 4                        ;  msbs: dst=0 src0=0 src1=1 src2=0
	s_delay_alu instid0(VALU_DEP_2) | instskip(SKIP_1) | instid1(VALU_DEP_2)
	v_mad_i32_i24 v4, v227, v44 /*v300*/, v4
	s_set_vgpr_msb 1                        ;  msbs: dst=0 src0=1 src1=0 src2=0
	v_mad_i32_i24 v5, v47 /*v303*/, v234, v5
	s_set_vgpr_msb 4                        ;  msbs: dst=0 src0=0 src1=1 src2=0
	s_delay_alu instid0(VALU_DEP_2) | instskip(SKIP_1) | instid1(VALU_DEP_2)
	v_dot4_i32_iu8 v4, v220, v50 /*v306*/, v4 neg_lo:[1,1,0]
	s_set_vgpr_msb 0                        ;  msbs: dst=0 src0=0 src1=0 src2=0
	v_dot4_i32_iu8 v5, v205, v237, v5 neg_lo:[1,1,0]
	s_delay_alu instid0(VALU_DEP_2) | instskip(SKIP_1) | instid1(VALU_DEP_2)
	v_mad_i32_i24 v4, v228, v243, v4
	s_set_vgpr_msb 4                        ;  msbs: dst=0 src0=0 src1=1 src2=0
	v_mad_i32_i24 v5, v235, v48 /*v304*/, v5
	s_set_vgpr_msb 0                        ;  msbs: dst=0 src0=0 src1=0 src2=0
	s_delay_alu instid0(VALU_DEP_2) | instskip(NEXT) | instid1(VALU_DEP_2)
	v_dot4_i32_iu8 v4, v221, v210, v4 neg_lo:[1,1,0]
	v_dot4_i32_iu8 v5, v222, v206, v5 neg_lo:[1,1,0]
	s_delay_alu instid0(VALU_DEP_2) | instskip(SKIP_1) | instid1(VALU_DEP_2)
	v_mul_lo_u32 v4, v4, v230
	s_set_vgpr_msb 4                        ;  msbs: dst=0 src0=0 src1=1 src2=0
	v_mad_i32_i24 v5, v236, v49 /*v305*/, v5
	s_set_vgpr_msb 0                        ;  msbs: dst=0 src0=0 src1=0 src2=0
	s_delay_alu instid0(VALU_DEP_1) | instskip(NEXT) | instid1(VALU_DEP_1)
	v_dot4_i32_iu8 v5, v240, v207, v5 neg_lo:[1,1,0]
	v_mad_u32 v4, v5, v238, v4
	v_mul_f32_e32 v5, v219, v114
	s_delay_alu instid0(VALU_DEP_2) | instskip(NEXT) | instid1(VALU_DEP_1)
	v_cvt_f32_i32_e32 v4, v4
	v_mul_f32_e32 v243, v5, v4
	s_set_vgpr_msb 5                        ;  msbs: dst=0 src0=1 src1=1 src2=0
	v_mul_i32_i24_e32 v4, v42 /*v298*/, v35 /*v291*/
	v_perm_b32 v5, v15 /*v271*/, v16 /*v272*/, 0xc05000c
	s_set_vgpr_msb 0                        ;  msbs: dst=0 src0=0 src1=0 src2=0
	v_pk_add_f32 v[108:109], v[108:109], v[242:243]
	s_set_vgpr_msb 5                        ;  msbs: dst=0 src0=1 src1=1 src2=0
	v_mad_i32_i24 v4, v12 /*v268*/, v36 /*v292*/, v4
	s_set_vgpr_msb 0                        ;  msbs: dst=0 src0=0 src1=0 src2=0
	v_bfe_i32 v243, v245, 0, 8
	s_delay_alu instid0(VALU_DEP_2) | instskip(SKIP_2) | instid1(VALU_DEP_2)
	v_dot4_i32_iu8 v4, v208, v200, v4 neg_lo:[1,1,0]
	s_set_vgpr_msb 5                        ;  msbs: dst=0 src0=1 src1=1 src2=0
	v_perm_b32 v200, v14 /*v270*/, v14 /*v270*/, 0xc0c0c01
	v_mad_i32_i24 v4, v4 /*v260*/, v39 /*v295*/, v4
	s_set_vgpr_msb 0                        ;  msbs: dst=0 src0=0 src1=0 src2=0
	s_delay_alu instid0(VALU_DEP_2)
	v_or_b32_e32 v241, v5, v200
	s_set_vgpr_msb 5                        ;  msbs: dst=0 src0=1 src1=1 src2=0
	v_perm_b32 v200, v37 /*v293*/, v38 /*v294*/, 0xc05000c
	v_mul_i32_i24_e32 v5, v17 /*v273*/, v45 /*v301*/
	s_set_vgpr_msb 0                        ;  msbs: dst=0 src0=0 src1=0 src2=0
	v_dot4_i32_iu8 v4, v241, v201, v4 neg_lo:[1,1,0]
	s_set_vgpr_msb 5                        ;  msbs: dst=0 src0=1 src1=1 src2=0
	v_perm_b32 v201, v34 /*v290*/, v34 /*v290*/, 0xc0c0c01
	v_mad_i32_i24 v5, v13 /*v269*/, v46 /*v302*/, v5
	s_set_vgpr_msb 1                        ;  msbs: dst=0 src0=1 src1=0 src2=0
	v_mad_i32_i24 v4, v44 /*v300*/, v239, v4
	s_set_vgpr_msb 0                        ;  msbs: dst=0 src0=0 src1=0 src2=0
	v_or_b32_e32 v242, v200, v201
	ds_load_u16 v200, v247
	s_set_vgpr_msb 1                        ;  msbs: dst=0 src0=1 src1=0 src2=0
	v_dot4_i32_iu8 v5, v20 /*v276*/, v204, v5 neg_lo:[1,1,0]
	s_set_vgpr_msb 5                        ;  msbs: dst=0 src0=1 src1=1 src2=0
	s_delay_alu instid0(VALU_DEP_1) | instskip(SKIP_1) | instid1(VALU_DEP_1)
	v_mad_i32_i24 v5, v32 /*v288*/, v47 /*v303*/, v5
	s_set_vgpr_msb 0                        ;  msbs: dst=0 src0=0 src1=0 src2=0
	v_dot4_i32_iu8 v5, v242, v205, v5 neg_lo:[1,1,0]
	s_set_vgpr_msb 1                        ;  msbs: dst=0 src0=1 src1=0 src2=0
	s_delay_alu instid0(VALU_DEP_1)
	v_mad_i32_i24 v5, v48 /*v304*/, v215, v5
	s_wait_dscnt 0x0
	v_lshrrev_b16 v201, 8, v200
	s_set_vgpr_msb 0                        ;  msbs: dst=0 src0=0 src1=0 src2=0
	v_bfe_i32 v247, v200, 0, 8
	s_set_vgpr_msb 5                        ;  msbs: dst=0 src0=1 src1=1 src2=0
	v_perm_b32 v200, v19 /*v275*/, v18 /*v274*/, 0xc0c0401
	s_set_vgpr_msb 0                        ;  msbs: dst=0 src0=0 src1=0 src2=0
	v_bfe_i32 v245, v201, 0, 8
	v_perm_b32 v201, v202, v202, 0xc0c0201
	s_delay_alu instid0(VALU_DEP_1) | instskip(SKIP_4) | instid1(VALU_DEP_1)
	v_dot4_i32_iu8 v4, v201, v200, v4 neg_lo:[1,1,0]
	s_set_vgpr_msb 5                        ;  msbs: dst=0 src0=1 src1=1 src2=0
	v_perm_b32 v200, v41 /*v297*/, v40 /*v296*/, 0xc05000c
	s_set_vgpr_msb 16                       ;  msbs: dst=0 src0=0 src1=0 src2=1
	v_perm_b32 v201, v244, v244, 0xc0c0c01
	v_or_b32_e32 v244, v200, v201
	v_perm_b32 v200, v203, v202, 0xc0c0403
	s_delay_alu instid0(VALU_DEP_2) | instskip(SKIP_1) | instid1(VALU_DEP_1)
	v_dot4_i32_iu8 v6, v6, v244, v33 /*v289*/ neg_lo:[1,1,0]
	s_set_vgpr_msb 0                        ;  msbs: dst=0 src0=0 src1=0 src2=0
	v_mad_i32_i24 v6, v182, v243, v6
	s_set_vgpr_msb 5                        ;  msbs: dst=0 src0=1 src1=1 src2=0
	v_perm_b32 v182, v31 /*v287*/, v24 /*v280*/, 0xc0c0401
	s_set_vgpr_msb 0                        ;  msbs: dst=0 src0=0 src1=0 src2=0
	s_delay_alu instid0(VALU_DEP_1) | instskip(SKIP_4) | instid1(VALU_DEP_1)
	v_dot4_i32_iu8 v4, v200, v182, v4 neg_lo:[1,1,0]
	s_set_vgpr_msb 5                        ;  msbs: dst=0 src0=1 src1=1 src2=0
	v_perm_b32 v182, v27 /*v283*/, v29 /*v285*/, 0xc05000c
	v_perm_b32 v200, v30 /*v286*/, v30 /*v286*/, 0xc0c0c01
	s_set_vgpr_msb 0                        ;  msbs: dst=0 src0=0 src1=0 src2=0
	v_or_b32_e32 v182, v182, v200
	v_perm_b32 v200, v246, v246, 0xc0c0c01
	s_delay_alu instid0(VALU_DEP_2) | instskip(SKIP_3) | instid1(VALU_DEP_2)
	v_dot4_i32_iu8 v4, v210, v182, v4 neg_lo:[1,1,0]
	s_set_vgpr_msb 5                        ;  msbs: dst=0 src0=1 src1=1 src2=0
	v_perm_b32 v182, v43 /*v299*/, v9 /*v265*/, 0xc05000c
	s_set_vgpr_msb 0                        ;  msbs: dst=0 src0=0 src1=0 src2=0
	v_mul_lo_u32 v4, v4, v247
	s_delay_alu instid0(VALU_DEP_2) | instskip(SKIP_3) | instid1(VALU_DEP_2)
	v_or_b32_e32 v210, v182, v200
	s_set_vgpr_msb 5                        ;  msbs: dst=0 src0=1 src1=1 src2=0
	v_perm_b32 v182, v18 /*v274*/, v18 /*v274*/, 0xc0c0c01
	s_set_vgpr_msb 0                        ;  msbs: dst=0 src0=0 src1=0 src2=0
	v_dot4_i32_iu8 v6, v7, v210, v6 neg_lo:[1,1,0]
	s_set_vgpr_msb 5                        ;  msbs: dst=0 src0=1 src1=1 src2=0
	v_perm_b32 v7, v24 /*v280*/, v19 /*v275*/, 0xc05000c
	s_set_vgpr_msb 0                        ;  msbs: dst=0 src0=0 src1=0 src2=0
	s_delay_alu instid0(VALU_DEP_2) | instskip(NEXT) | instid1(VALU_DEP_2)
	v_mul_lo_u32 v6, v6, v245
	v_or_b32_e32 v246, v7, v182
	s_set_vgpr_msb 5                        ;  msbs: dst=0 src0=1 src1=1 src2=0
	v_perm_b32 v7, v27 /*v283*/, v29 /*v285*/, 0x5000c0c
	s_set_vgpr_msb 0                        ;  msbs: dst=0 src0=0 src1=0 src2=0
	s_delay_alu instid0(VALU_DEP_2) | instskip(SKIP_4) | instid1(VALU_DEP_2)
	v_dot4_i32_iu8 v1, v2, v246, v1 neg_lo:[1,1,0]
	v_dot4_i32_iu8 v2, v206, v244, v5 neg_lo:[1,1,0]
	s_set_vgpr_msb 5                        ;  msbs: dst=0 src0=1 src1=1 src2=0
	v_perm_b32 v5, v30 /*v286*/, v31 /*v287*/, 0xc0c0500
	s_set_vgpr_msb 1                        ;  msbs: dst=0 src0=1 src1=0 src2=0
	v_mad_i32_i24 v2, v49 /*v305*/, v243, v2
	s_set_vgpr_msb 0                        ;  msbs: dst=0 src0=0 src1=0 src2=0
	s_delay_alu instid0(VALU_DEP_2) | instskip(NEXT) | instid1(VALU_DEP_2)
	v_or_b32_e32 v248, v7, v5
	v_dot4_i32_iu8 v2, v207, v210, v2 neg_lo:[1,1,0]
	s_delay_alu instid0(VALU_DEP_2) | instskip(NEXT) | instid1(VALU_DEP_2)
	v_dot4_i32_iu8 v1, v3, v248, v1 neg_lo:[1,1,0]
	v_mad_u32 v4, v2, v245, v4
	s_delay_alu instid0(VALU_DEP_2) | instskip(NEXT) | instid1(VALU_DEP_2)
	v_mad_u32 v1, v1, v247, v6
	v_cvt_f32_i32_e32 v4, v4
	s_delay_alu instid0(VALU_DEP_2) | instskip(SKIP_2) | instid1(VALU_DEP_2)
	v_pk_mul_f32 v[2:3], v[0:1], v[114:115] op_sel_hi:[0,1]
	v_cvt_f32_i32_e32 v5, v1
	v_or_b32_e32 v1, s17, v139
	v_pk_fma_f32 v[86:87], v[2:3], v[4:5], v[86:87]
	s_delay_alu instid0(VALU_DEP_2)
	v_dual_lshlrev_b32 v6, 2, v1 :: v_dual_lshrrev_b32 v1, 1, v1
	ds_load_b32 v1, v1 offset:38816
	ds_load_b128 v[2:5], v6 offset:25344
	ds_load_b128 v[200:203], v6 offset:25360
	s_wait_dscnt 0x1
	v_bfe_i32 v7, v2, 0, 8
	v_bfe_i32 v115, v2, 8, 8
	v_perm_b32 v2, v2, v2, 0xc0c0302
	v_bfe_i32 v182, v3, 0, 8
	v_perm_b32 v3, v3, v3, 0xc030201
	;; [unrolled: 2-line block ×4, first 2 shown]
	s_wait_dscnt 0x0
	v_bfe_i32 v206, v200, 0, 8
	v_bfe_i32 v207, v200, 8, 8
	v_perm_b32 v200, v200, v200, 0xc0c0302
	v_bfe_i32 v249, v201, 0, 8
	v_perm_b32 v201, v201, v201, 0xc030201
	;; [unrolled: 2-line block ×4, first 2 shown]
	v_mul_i32_i24_e32 v6, v7, v166
	v_mul_i32_i24_e32 v114, v206, v174
	;; [unrolled: 1-line block ×3, first 2 shown]
	s_delay_alu instid0(VALU_DEP_3) | instskip(NEXT) | instid1(VALU_DEP_3)
	v_mad_i32_i24 v6, v115, v167, v6
	v_mad_i32_i24 v114, v207, v175, v114
	s_delay_alu instid0(VALU_DEP_3) | instskip(NEXT) | instid1(VALU_DEP_3)
	v_mad_i32_i24 v253, v207, v193, v253
	v_dot4_i32_iu8 v6, v2, v168, v6 neg_lo:[1,1,0]
	s_delay_alu instid0(VALU_DEP_3) | instskip(NEXT) | instid1(VALU_DEP_3)
	v_dot4_i32_iu8 v114, v200, v176, v114 neg_lo:[1,1,0]
	v_dot4_i32_iu8 v253, v200, v194, v253 neg_lo:[1,1,0]
	s_delay_alu instid0(VALU_DEP_3) | instskip(NEXT) | instid1(VALU_DEP_3)
	v_mad_i32_i24 v6, v182, v170, v6
	v_mad_i32_i24 v114, v249, v178, v114
	s_delay_alu instid0(VALU_DEP_3) | instskip(NEXT) | instid1(VALU_DEP_3)
	v_mad_i32_i24 v253, v249, v195, v253
	v_dot4_i32_iu8 v6, v3, v172, v6 neg_lo:[1,1,0]
	s_delay_alu instid0(VALU_DEP_3) | instskip(NEXT) | instid1(VALU_DEP_3)
	v_dot4_i32_iu8 v114, v201, v180, v114 neg_lo:[1,1,0]
	v_dot4_i32_iu8 v253, v201, v198, v253 neg_lo:[1,1,0]
	;; [unrolled: 9-line block ×4, first 2 shown]
	s_delay_alu instid0(VALU_DEP_3) | instskip(NEXT) | instid1(VALU_DEP_1)
	v_mul_lo_u32 v6, v6, v173
	v_mad_u32 v6, v114, v181, v6
	v_mul_f32_e32 v114, v165, v1
	s_delay_alu instid0(VALU_DEP_2) | instskip(NEXT) | instid1(VALU_DEP_1)
	v_cvt_f32_i32_e32 v6, v6
	v_mul_f32_e32 v6, v114, v6
	v_mul_i32_i24_e32 v114, v7, v184
	s_delay_alu instid0(VALU_DEP_1) | instskip(NEXT) | instid1(VALU_DEP_1)
	v_mad_i32_i24 v114, v115, v185, v114
	v_dot4_i32_iu8 v114, v2, v186, v114 neg_lo:[1,1,0]
	s_delay_alu instid0(VALU_DEP_1) | instskip(NEXT) | instid1(VALU_DEP_1)
	v_mad_i32_i24 v114, v182, v187, v114
	v_dot4_i32_iu8 v114, v3, v190, v114 neg_lo:[1,1,0]
	;; [unrolled: 3-line block ×4, first 2 shown]
	s_delay_alu instid0(VALU_DEP_1) | instskip(NEXT) | instid1(VALU_DEP_1)
	v_mul_lo_u32 v114, v114, v191
	v_mad_u32 v114, v253, v199, v114
	v_mul_f32_e32 v253, v183, v1
	s_delay_alu instid0(VALU_DEP_2) | instskip(NEXT) | instid1(VALU_DEP_1)
	v_cvt_f32_i32_e32 v114, v114
	v_mul_f32_e32 v114, v253, v114
	v_mul_i32_i24_e32 v253, v7, v223
	s_set_vgpr_msb 1                        ;  msbs: dst=0 src0=1 src1=0 src2=0
	v_mul_i32_i24_e32 v7, v42 /*v298*/, v7
	s_set_vgpr_msb 0                        ;  msbs: dst=0 src0=0 src1=0 src2=0
	s_delay_alu instid0(VALU_DEP_2) | instskip(SKIP_1) | instid1(VALU_DEP_2)
	v_mad_i32_i24 v253, v115, v224, v253
	s_set_vgpr_msb 1                        ;  msbs: dst=0 src0=1 src1=0 src2=0
	v_mad_i32_i24 v7, v12 /*v268*/, v115, v7
	s_set_vgpr_msb 0                        ;  msbs: dst=0 src0=0 src1=0 src2=0
	s_delay_alu instid0(VALU_DEP_2) | instskip(NEXT) | instid1(VALU_DEP_2)
	v_dot4_i32_iu8 v253, v2, v225, v253 neg_lo:[1,1,0]
	v_dot4_i32_iu8 v2, v208, v2, v7 neg_lo:[1,1,0]
	s_delay_alu instid0(VALU_DEP_2) | instskip(SKIP_1) | instid1(VALU_DEP_2)
	v_mad_i32_i24 v253, v182, v226, v253
	s_set_vgpr_msb 1                        ;  msbs: dst=0 src0=1 src1=0 src2=0
	v_mad_i32_i24 v2, v4 /*v260*/, v182, v2
	s_set_vgpr_msb 0                        ;  msbs: dst=0 src0=0 src1=0 src2=0
	s_delay_alu instid0(VALU_DEP_2) | instskip(NEXT) | instid1(VALU_DEP_2)
	v_dot4_i32_iu8 v253, v3, v229, v253 neg_lo:[1,1,0]
	v_dot4_i32_iu8 v2, v241, v3, v2 neg_lo:[1,1,0]
	s_set_vgpr_msb 1                        ;  msbs: dst=0 src0=1 src1=0 src2=0
	v_mul_i32_i24_e32 v3, v17 /*v273*/, v206
	s_set_vgpr_msb 0                        ;  msbs: dst=0 src0=0 src1=0 src2=0
	v_mad_i32_i24 v253, v227, v205, v253
	v_mad_i32_i24 v2, v205, v239, v2
	s_set_vgpr_msb 1                        ;  msbs: dst=0 src0=1 src1=0 src2=0
	v_mad_i32_i24 v3, v13 /*v269*/, v207, v3
	s_set_vgpr_msb 0                        ;  msbs: dst=0 src0=0 src1=0 src2=0
	v_dot4_i32_iu8 v253, v220, v4, v253 neg_lo:[1,1,0]
	v_dot4_i32_iu8 v2, v4, v246, v2 neg_lo:[1,1,0]
	s_set_vgpr_msb 1                        ;  msbs: dst=0 src0=1 src1=0 src2=0
	v_dot4_i32_iu8 v3, v20 /*v276*/, v200, v3 neg_lo:[1,1,0]
	s_set_vgpr_msb 0                        ;  msbs: dst=0 src0=0 src1=0 src2=0
	v_mad_i32_i24 v204, v228, v204, v253
	v_dot4_i32_iu8 v2, v248, v5, v2 neg_lo:[1,1,0]
	s_set_vgpr_msb 1                        ;  msbs: dst=0 src0=1 src1=0 src2=0
	v_mad_i32_i24 v3, v32 /*v288*/, v249, v3
	s_set_vgpr_msb 0                        ;  msbs: dst=0 src0=0 src1=0 src2=0
	v_dot4_i32_iu8 v204, v221, v252, v204 neg_lo:[1,1,0]
	v_mul_i32_i24_e32 v252, v206, v231
	s_delay_alu instid0(VALU_DEP_3) | instskip(SKIP_1) | instid1(VALU_DEP_4)
	v_dot4_i32_iu8 v3, v242, v201, v3 neg_lo:[1,1,0]
	v_mul_lo_u32 v2, v2, v247
	v_mul_lo_u32 v204, v204, v230
	s_delay_alu instid0(VALU_DEP_4) | instskip(NEXT) | instid1(VALU_DEP_4)
	v_mad_i32_i24 v252, v207, v232, v252
	v_mad_i32_i24 v3, v250, v215, v3
	s_delay_alu instid0(VALU_DEP_2) | instskip(NEXT) | instid1(VALU_DEP_2)
	v_dot4_i32_iu8 v252, v200, v233, v252 neg_lo:[1,1,0]
	v_dot4_i32_iu8 v3, v202, v244, v3 neg_lo:[1,1,0]
	s_delay_alu instid0(VALU_DEP_2) | instskip(NEXT) | instid1(VALU_DEP_2)
	v_mad_i32_i24 v252, v249, v234, v252
	v_mad_i32_i24 v3, v243, v251, v3
	s_delay_alu instid0(VALU_DEP_2) | instskip(NEXT) | instid1(VALU_DEP_2)
	v_dot4_i32_iu8 v252, v201, v237, v252 neg_lo:[1,1,0]
	v_dot4_i32_iu8 v3, v210, v203, v3 neg_lo:[1,1,0]
	s_delay_alu instid0(VALU_DEP_2) | instskip(NEXT) | instid1(VALU_DEP_2)
	v_mad_i32_i24 v252, v235, v250, v252
	v_mad_u32 v2, v3, v245, v2
	s_delay_alu instid0(VALU_DEP_2) | instskip(NEXT) | instid1(VALU_DEP_1)
	v_dot4_i32_iu8 v252, v222, v202, v252 neg_lo:[1,1,0]
	v_mad_i32_i24 v252, v236, v251, v252
	s_delay_alu instid0(VALU_DEP_3) | instskip(NEXT) | instid1(VALU_DEP_2)
	v_cvt_f32_i32_e32 v2, v2
	v_dot4_i32_iu8 v252, v240, v203, v252 neg_lo:[1,1,0]
	s_delay_alu instid0(VALU_DEP_1) | instskip(SKIP_1) | instid1(VALU_DEP_1)
	v_mad_u32 v204, v252, v238, v204
	v_dual_mul_f32 v252, v219, v1 :: v_dual_mul_f32 v1, v0, v1
	v_dual_mul_f32 v206, v1, v2 :: v_dual_bitop2_b32 v1, s17, v140 bitop3:0x54
	s_delay_alu instid0(VALU_DEP_3) | instskip(NEXT) | instid1(VALU_DEP_2)
	v_cvt_f32_i32_e32 v204, v204
	v_dual_lshlrev_b32 v7, 2, v1 :: v_dual_lshrrev_b32 v1, 1, v1
	ds_load_b32 v1, v1 offset:38816
	ds_load_b128 v[2:5], v7 offset:25344
	ds_load_b128 v[200:203], v7 offset:25360
	v_mul_f32_e32 v204, v252, v204
	s_wait_dscnt 0x1
	v_bfe_i32 v182, v2, 0, 8
	v_bfe_i32 v207, v2, 8, 8
	v_perm_b32 v2, v2, v2, 0xc0c0302
	v_bfe_i32 v249, v3, 0, 8
	v_perm_b32 v3, v3, v3, 0xc030201
	;; [unrolled: 2-line block ×3, first 2 shown]
	v_bfe_i32 v205, v5, 0, 8
	s_set_vgpr_msb 64                       ;  msbs: dst=1 src0=0 src1=0 src2=0
	v_perm_b32 v0 /*v256*/, v5, v5, 0xc030201
	s_wait_dscnt 0x0
	s_set_vgpr_msb 0                        ;  msbs: dst=0 src0=0 src1=0 src2=0
	v_bfe_i32 v251, v200, 0, 8
	v_bfe_i32 v252, v200, 8, 8
	v_perm_b32 v200, v200, v200, 0xc0c0302
	v_bfe_i32 v253, v201, 0, 8
	v_perm_b32 v201, v201, v201, 0xc030201
	;; [unrolled: 2-line block ×4, first 2 shown]
	v_mul_i32_i24_e32 v7, v182, v166
	v_mul_i32_i24_e32 v115, v251, v174
	s_delay_alu instid0(VALU_DEP_2) | instskip(NEXT) | instid1(VALU_DEP_2)
	v_mad_i32_i24 v7, v207, v167, v7
	v_mad_i32_i24 v115, v252, v175, v115
	s_delay_alu instid0(VALU_DEP_2) | instskip(NEXT) | instid1(VALU_DEP_2)
	v_dot4_i32_iu8 v7, v2, v168, v7 neg_lo:[1,1,0]
	v_dot4_i32_iu8 v115, v200, v176, v115 neg_lo:[1,1,0]
	s_delay_alu instid0(VALU_DEP_2) | instskip(NEXT) | instid1(VALU_DEP_2)
	v_mad_i32_i24 v7, v249, v170, v7
	v_mad_i32_i24 v115, v253, v178, v115
	s_delay_alu instid0(VALU_DEP_2) | instskip(NEXT) | instid1(VALU_DEP_2)
	v_dot4_i32_iu8 v7, v3, v172, v7 neg_lo:[1,1,0]
	v_dot4_i32_iu8 v115, v201, v180, v115 neg_lo:[1,1,0]
	;; [unrolled: 6-line block ×3, first 2 shown]
	s_delay_alu instid0(VALU_DEP_2) | instskip(NEXT) | instid1(VALU_DEP_2)
	v_mad_i32_i24 v7, v171, v205, v7
	v_mad_i32_i24 v115, v179, v255, v115
	s_set_vgpr_msb 4                        ;  msbs: dst=0 src0=0 src1=1 src2=0
	s_delay_alu instid0(VALU_DEP_2) | instskip(SKIP_1) | instid1(VALU_DEP_2)
	v_dot4_i32_iu8 v7, v211, v0 /*v256*/, v7 neg_lo:[1,1,0]
	s_set_vgpr_msb 0                        ;  msbs: dst=0 src0=0 src1=0 src2=0
	v_dot4_i32_iu8 v115, v214, v203, v115 neg_lo:[1,1,0]
	s_delay_alu instid0(VALU_DEP_2) | instskip(NEXT) | instid1(VALU_DEP_1)
	v_mul_lo_u32 v7, v7, v173
	v_mad_u32 v7, v115, v181, v7
	v_mul_f32_e32 v115, v165, v1
	s_delay_alu instid0(VALU_DEP_2) | instskip(NEXT) | instid1(VALU_DEP_1)
	v_cvt_f32_i32_e32 v7, v7
	v_mul_f32_e32 v7, v115, v7
	s_delay_alu instid0(VALU_DEP_1) | instskip(SKIP_2) | instid1(VALU_DEP_2)
	v_pk_add_f32 v[92:93], v[92:93], v[6:7]
	v_mul_i32_i24_e32 v6, v182, v184
	v_mul_i32_i24_e32 v7, v251, v192
	v_mad_i32_i24 v6, v207, v185, v6
	s_delay_alu instid0(VALU_DEP_2) | instskip(NEXT) | instid1(VALU_DEP_2)
	v_mad_i32_i24 v7, v252, v193, v7
	v_dot4_i32_iu8 v6, v2, v186, v6 neg_lo:[1,1,0]
	s_delay_alu instid0(VALU_DEP_2) | instskip(NEXT) | instid1(VALU_DEP_2)
	v_dot4_i32_iu8 v7, v200, v194, v7 neg_lo:[1,1,0]
	v_mad_i32_i24 v6, v249, v187, v6
	s_delay_alu instid0(VALU_DEP_2) | instskip(NEXT) | instid1(VALU_DEP_2)
	v_mad_i32_i24 v7, v253, v195, v7
	v_dot4_i32_iu8 v6, v3, v190, v6 neg_lo:[1,1,0]
	s_delay_alu instid0(VALU_DEP_2) | instskip(NEXT) | instid1(VALU_DEP_2)
	v_dot4_i32_iu8 v7, v201, v198, v7 neg_lo:[1,1,0]
	;; [unrolled: 6-line block ×3, first 2 shown]
	v_mad_i32_i24 v6, v189, v205, v6
	s_delay_alu instid0(VALU_DEP_2) | instskip(SKIP_1) | instid1(VALU_DEP_2)
	v_mad_i32_i24 v7, v197, v255, v7
	s_set_vgpr_msb 4                        ;  msbs: dst=0 src0=0 src1=1 src2=0
	v_dot4_i32_iu8 v6, v216, v0 /*v256*/, v6 neg_lo:[1,1,0]
	s_set_vgpr_msb 0                        ;  msbs: dst=0 src0=0 src1=0 src2=0
	s_delay_alu instid0(VALU_DEP_2) | instskip(NEXT) | instid1(VALU_DEP_2)
	v_dot4_i32_iu8 v7, v218, v203, v7 neg_lo:[1,1,0]
	v_mul_lo_u32 v6, v6, v191
	s_delay_alu instid0(VALU_DEP_1) | instskip(SKIP_1) | instid1(VALU_DEP_2)
	v_mad_u32 v6, v7, v199, v6
	v_mul_f32_e32 v7, v183, v1
	v_cvt_f32_i32_e32 v6, v6
	s_delay_alu instid0(VALU_DEP_1) | instskip(SKIP_2) | instid1(VALU_DEP_3)
	v_mul_f32_e32 v115, v7, v6
	v_mul_i32_i24_e32 v6, v182, v223
	v_mul_i32_i24_e32 v7, v251, v231
	v_pk_add_f32 v[100:101], v[100:101], v[114:115]
	s_delay_alu instid0(VALU_DEP_3) | instskip(NEXT) | instid1(VALU_DEP_3)
	v_mad_i32_i24 v6, v207, v224, v6
	v_mad_i32_i24 v7, v252, v232, v7
	s_delay_alu instid0(VALU_DEP_2) | instskip(NEXT) | instid1(VALU_DEP_2)
	v_dot4_i32_iu8 v6, v2, v225, v6 neg_lo:[1,1,0]
	v_dot4_i32_iu8 v7, v200, v233, v7 neg_lo:[1,1,0]
	s_delay_alu instid0(VALU_DEP_2) | instskip(NEXT) | instid1(VALU_DEP_2)
	v_mad_i32_i24 v6, v249, v226, v6
	v_mad_i32_i24 v7, v253, v234, v7
	s_delay_alu instid0(VALU_DEP_2) | instskip(NEXT) | instid1(VALU_DEP_2)
	v_dot4_i32_iu8 v6, v3, v229, v6 neg_lo:[1,1,0]
	v_dot4_i32_iu8 v7, v201, v237, v7 neg_lo:[1,1,0]
	s_delay_alu instid0(VALU_DEP_2) | instskip(NEXT) | instid1(VALU_DEP_2)
	;; [unrolled: 6-line block ×3, first 2 shown]
	v_mad_i32_i24 v6, v228, v205, v6
	v_mad_i32_i24 v7, v236, v255, v7
	s_set_vgpr_msb 4                        ;  msbs: dst=0 src0=0 src1=1 src2=0
	s_delay_alu instid0(VALU_DEP_2) | instskip(SKIP_1) | instid1(VALU_DEP_2)
	v_dot4_i32_iu8 v6, v221, v0 /*v256*/, v6 neg_lo:[1,1,0]
	s_set_vgpr_msb 0                        ;  msbs: dst=0 src0=0 src1=0 src2=0
	v_dot4_i32_iu8 v7, v240, v203, v7 neg_lo:[1,1,0]
	s_delay_alu instid0(VALU_DEP_2) | instskip(NEXT) | instid1(VALU_DEP_1)
	v_mul_lo_u32 v6, v6, v230
	v_mad_u32 v6, v7, v238, v6
	v_dual_mul_f32 v7, v219, v1 :: v_dual_mul_f32 v1, v0, v1
	s_delay_alu instid0(VALU_DEP_2) | instskip(NEXT) | instid1(VALU_DEP_1)
	v_cvt_f32_i32_e32 v6, v6
	v_mul_f32_e32 v205, v7, v6
	s_set_vgpr_msb 1                        ;  msbs: dst=0 src0=1 src1=0 src2=0
	v_mul_i32_i24_e32 v6, v42 /*v298*/, v182
	s_set_vgpr_msb 0                        ;  msbs: dst=0 src0=0 src1=0 src2=0
	s_delay_alu instid0(VALU_DEP_2) | instskip(SKIP_1) | instid1(VALU_DEP_2)
	v_pk_add_f32 v[102:103], v[102:103], v[204:205]
	s_set_vgpr_msb 1                        ;  msbs: dst=0 src0=1 src1=0 src2=0
	v_mad_i32_i24 v6, v12 /*v268*/, v207, v6
	s_set_vgpr_msb 0                        ;  msbs: dst=0 src0=0 src1=0 src2=0
	s_delay_alu instid0(VALU_DEP_1) | instskip(SKIP_1) | instid1(VALU_DEP_1)
	v_dot4_i32_iu8 v2, v208, v2, v6 neg_lo:[1,1,0]
	s_set_vgpr_msb 1                        ;  msbs: dst=0 src0=1 src1=0 src2=0
	v_mad_i32_i24 v2, v4 /*v260*/, v249, v2
	s_set_vgpr_msb 0                        ;  msbs: dst=0 src0=0 src1=0 src2=0
	s_delay_alu instid0(VALU_DEP_1) | instskip(SKIP_3) | instid1(VALU_DEP_2)
	v_dot4_i32_iu8 v2, v241, v3, v2 neg_lo:[1,1,0]
	s_set_vgpr_msb 1                        ;  msbs: dst=0 src0=1 src1=0 src2=0
	v_mul_i32_i24_e32 v3, v17 /*v273*/, v251
	s_set_vgpr_msb 0                        ;  msbs: dst=0 src0=0 src1=0 src2=0
	v_mad_i32_i24 v2, v250, v239, v2
	s_set_vgpr_msb 1                        ;  msbs: dst=0 src0=1 src1=0 src2=0
	s_delay_alu instid0(VALU_DEP_2) | instskip(SKIP_1) | instid1(VALU_DEP_2)
	v_mad_i32_i24 v3, v13 /*v269*/, v252, v3
	s_set_vgpr_msb 0                        ;  msbs: dst=0 src0=0 src1=0 src2=0
	v_dot4_i32_iu8 v2, v4, v246, v2 neg_lo:[1,1,0]
	s_set_vgpr_msb 1                        ;  msbs: dst=0 src0=1 src1=0 src2=0
	s_delay_alu instid0(VALU_DEP_2) | instskip(SKIP_1) | instid1(VALU_DEP_2)
	v_dot4_i32_iu8 v3, v20 /*v276*/, v200, v3 neg_lo:[1,1,0]
	s_set_vgpr_msb 0                        ;  msbs: dst=0 src0=0 src1=0 src2=0
	v_dot4_i32_iu8 v2, v248, v5, v2 neg_lo:[1,1,0]
	s_set_vgpr_msb 1                        ;  msbs: dst=0 src0=1 src1=0 src2=0
	s_delay_alu instid0(VALU_DEP_2) | instskip(SKIP_1) | instid1(VALU_DEP_2)
	v_mad_i32_i24 v3, v32 /*v288*/, v253, v3
	s_set_vgpr_msb 0                        ;  msbs: dst=0 src0=0 src1=0 src2=0
	v_mul_lo_u32 v2, v2, v247
	s_delay_alu instid0(VALU_DEP_2) | instskip(NEXT) | instid1(VALU_DEP_1)
	v_dot4_i32_iu8 v3, v242, v201, v3 neg_lo:[1,1,0]
	v_mad_i32_i24 v3, v254, v215, v3
	s_delay_alu instid0(VALU_DEP_1) | instskip(NEXT) | instid1(VALU_DEP_1)
	v_dot4_i32_iu8 v3, v202, v244, v3 neg_lo:[1,1,0]
	v_mad_i32_i24 v3, v243, v255, v3
	s_delay_alu instid0(VALU_DEP_1) | instskip(NEXT) | instid1(VALU_DEP_1)
	v_dot4_i32_iu8 v3, v210, v203, v3 neg_lo:[1,1,0]
	v_mad_u32 v2, v3, v245, v2
	s_delay_alu instid0(VALU_DEP_1) | instskip(NEXT) | instid1(VALU_DEP_1)
	v_cvt_f32_i32_e32 v2, v2
	v_dual_mul_f32 v207, v1, v2 :: v_dual_bitop2_b32 v1, s17, v141 bitop3:0x54
	s_delay_alu instid0(VALU_DEP_1) | instskip(NEXT) | instid1(VALU_DEP_2)
	v_pk_add_f32 v[68:69], v[68:69], v[206:207]
	v_dual_lshlrev_b32 v6, 2, v1 :: v_dual_lshrrev_b32 v1, 1, v1
	ds_load_b32 v1, v1 offset:38816
	ds_load_b128 v[2:5], v6 offset:25344
	ds_load_b128 v[200:203], v6 offset:25360
	s_wait_dscnt 0x1
	v_bfe_i32 v7, v2, 0, 8
	v_bfe_i32 v115, v2, 8, 8
	v_perm_b32 v2, v2, v2, 0xc0c0302
	v_bfe_i32 v182, v3, 0, 8
	v_perm_b32 v3, v3, v3, 0xc030201
	;; [unrolled: 2-line block ×4, first 2 shown]
	s_wait_dscnt 0x0
	v_bfe_i32 v206, v200, 0, 8
	v_bfe_i32 v207, v200, 8, 8
	v_perm_b32 v200, v200, v200, 0xc0c0302
	v_bfe_i32 v249, v201, 0, 8
	v_perm_b32 v201, v201, v201, 0xc030201
	;; [unrolled: 2-line block ×4, first 2 shown]
	v_mul_i32_i24_e32 v6, v7, v166
	v_mul_i32_i24_e32 v114, v206, v174
	;; [unrolled: 1-line block ×3, first 2 shown]
	s_delay_alu instid0(VALU_DEP_3) | instskip(NEXT) | instid1(VALU_DEP_3)
	v_mad_i32_i24 v6, v115, v167, v6
	v_mad_i32_i24 v114, v207, v175, v114
	s_delay_alu instid0(VALU_DEP_3) | instskip(NEXT) | instid1(VALU_DEP_3)
	v_mad_i32_i24 v253, v207, v193, v253
	v_dot4_i32_iu8 v6, v2, v168, v6 neg_lo:[1,1,0]
	s_delay_alu instid0(VALU_DEP_3) | instskip(NEXT) | instid1(VALU_DEP_3)
	v_dot4_i32_iu8 v114, v200, v176, v114 neg_lo:[1,1,0]
	v_dot4_i32_iu8 v253, v200, v194, v253 neg_lo:[1,1,0]
	s_delay_alu instid0(VALU_DEP_3) | instskip(NEXT) | instid1(VALU_DEP_3)
	v_mad_i32_i24 v6, v182, v170, v6
	v_mad_i32_i24 v114, v249, v178, v114
	s_delay_alu instid0(VALU_DEP_3) | instskip(NEXT) | instid1(VALU_DEP_3)
	v_mad_i32_i24 v253, v249, v195, v253
	v_dot4_i32_iu8 v6, v3, v172, v6 neg_lo:[1,1,0]
	s_delay_alu instid0(VALU_DEP_3) | instskip(NEXT) | instid1(VALU_DEP_3)
	v_dot4_i32_iu8 v114, v201, v180, v114 neg_lo:[1,1,0]
	v_dot4_i32_iu8 v253, v201, v198, v253 neg_lo:[1,1,0]
	;; [unrolled: 9-line block ×4, first 2 shown]
	s_delay_alu instid0(VALU_DEP_3) | instskip(NEXT) | instid1(VALU_DEP_1)
	v_mul_lo_u32 v6, v6, v173
	v_mad_u32 v6, v114, v181, v6
	v_mul_f32_e32 v114, v165, v1
	s_delay_alu instid0(VALU_DEP_2) | instskip(NEXT) | instid1(VALU_DEP_1)
	v_cvt_f32_i32_e32 v6, v6
	v_mul_f32_e32 v6, v114, v6
	v_mul_i32_i24_e32 v114, v7, v184
	s_delay_alu instid0(VALU_DEP_1) | instskip(NEXT) | instid1(VALU_DEP_1)
	v_mad_i32_i24 v114, v115, v185, v114
	v_dot4_i32_iu8 v114, v2, v186, v114 neg_lo:[1,1,0]
	s_delay_alu instid0(VALU_DEP_1) | instskip(NEXT) | instid1(VALU_DEP_1)
	v_mad_i32_i24 v114, v182, v187, v114
	v_dot4_i32_iu8 v114, v3, v190, v114 neg_lo:[1,1,0]
	;; [unrolled: 3-line block ×4, first 2 shown]
	s_delay_alu instid0(VALU_DEP_1) | instskip(NEXT) | instid1(VALU_DEP_1)
	v_mul_lo_u32 v114, v114, v191
	v_mad_u32 v114, v253, v199, v114
	v_mul_f32_e32 v253, v183, v1
	s_delay_alu instid0(VALU_DEP_2) | instskip(NEXT) | instid1(VALU_DEP_1)
	v_cvt_f32_i32_e32 v114, v114
	v_mul_f32_e32 v114, v253, v114
	v_mul_i32_i24_e32 v253, v7, v223
	s_set_vgpr_msb 1                        ;  msbs: dst=0 src0=1 src1=0 src2=0
	v_mul_i32_i24_e32 v7, v42 /*v298*/, v7
	s_set_vgpr_msb 0                        ;  msbs: dst=0 src0=0 src1=0 src2=0
	s_delay_alu instid0(VALU_DEP_2) | instskip(SKIP_1) | instid1(VALU_DEP_2)
	v_mad_i32_i24 v253, v115, v224, v253
	s_set_vgpr_msb 1                        ;  msbs: dst=0 src0=1 src1=0 src2=0
	v_mad_i32_i24 v7, v12 /*v268*/, v115, v7
	s_set_vgpr_msb 0                        ;  msbs: dst=0 src0=0 src1=0 src2=0
	s_delay_alu instid0(VALU_DEP_2) | instskip(NEXT) | instid1(VALU_DEP_2)
	v_dot4_i32_iu8 v253, v2, v225, v253 neg_lo:[1,1,0]
	v_dot4_i32_iu8 v2, v208, v2, v7 neg_lo:[1,1,0]
	s_delay_alu instid0(VALU_DEP_2) | instskip(SKIP_1) | instid1(VALU_DEP_2)
	v_mad_i32_i24 v253, v182, v226, v253
	s_set_vgpr_msb 1                        ;  msbs: dst=0 src0=1 src1=0 src2=0
	v_mad_i32_i24 v2, v4 /*v260*/, v182, v2
	s_set_vgpr_msb 0                        ;  msbs: dst=0 src0=0 src1=0 src2=0
	s_delay_alu instid0(VALU_DEP_2) | instskip(NEXT) | instid1(VALU_DEP_2)
	v_dot4_i32_iu8 v253, v3, v229, v253 neg_lo:[1,1,0]
	v_dot4_i32_iu8 v2, v241, v3, v2 neg_lo:[1,1,0]
	s_set_vgpr_msb 1                        ;  msbs: dst=0 src0=1 src1=0 src2=0
	v_mul_i32_i24_e32 v3, v17 /*v273*/, v206
	s_set_vgpr_msb 0                        ;  msbs: dst=0 src0=0 src1=0 src2=0
	v_mad_i32_i24 v253, v227, v205, v253
	v_mad_i32_i24 v2, v205, v239, v2
	s_set_vgpr_msb 1                        ;  msbs: dst=0 src0=1 src1=0 src2=0
	v_mad_i32_i24 v3, v13 /*v269*/, v207, v3
	s_set_vgpr_msb 0                        ;  msbs: dst=0 src0=0 src1=0 src2=0
	v_dot4_i32_iu8 v253, v220, v4, v253 neg_lo:[1,1,0]
	v_dot4_i32_iu8 v2, v4, v246, v2 neg_lo:[1,1,0]
	s_set_vgpr_msb 1                        ;  msbs: dst=0 src0=1 src1=0 src2=0
	v_dot4_i32_iu8 v3, v20 /*v276*/, v200, v3 neg_lo:[1,1,0]
	s_set_vgpr_msb 0                        ;  msbs: dst=0 src0=0 src1=0 src2=0
	v_mad_i32_i24 v204, v228, v204, v253
	v_dot4_i32_iu8 v2, v248, v5, v2 neg_lo:[1,1,0]
	s_set_vgpr_msb 1                        ;  msbs: dst=0 src0=1 src1=0 src2=0
	v_mad_i32_i24 v3, v32 /*v288*/, v249, v3
	s_set_vgpr_msb 0                        ;  msbs: dst=0 src0=0 src1=0 src2=0
	v_dot4_i32_iu8 v204, v221, v252, v204 neg_lo:[1,1,0]
	v_mul_i32_i24_e32 v252, v206, v231
	s_delay_alu instid0(VALU_DEP_3) | instskip(SKIP_1) | instid1(VALU_DEP_4)
	v_dot4_i32_iu8 v3, v242, v201, v3 neg_lo:[1,1,0]
	v_mul_lo_u32 v2, v2, v247
	v_mul_lo_u32 v204, v204, v230
	s_delay_alu instid0(VALU_DEP_4) | instskip(NEXT) | instid1(VALU_DEP_4)
	v_mad_i32_i24 v252, v207, v232, v252
	v_mad_i32_i24 v3, v250, v215, v3
	s_delay_alu instid0(VALU_DEP_2) | instskip(NEXT) | instid1(VALU_DEP_2)
	v_dot4_i32_iu8 v252, v200, v233, v252 neg_lo:[1,1,0]
	v_dot4_i32_iu8 v3, v202, v244, v3 neg_lo:[1,1,0]
	s_delay_alu instid0(VALU_DEP_2) | instskip(NEXT) | instid1(VALU_DEP_2)
	v_mad_i32_i24 v252, v249, v234, v252
	v_mad_i32_i24 v3, v243, v251, v3
	s_delay_alu instid0(VALU_DEP_2) | instskip(NEXT) | instid1(VALU_DEP_2)
	v_dot4_i32_iu8 v252, v201, v237, v252 neg_lo:[1,1,0]
	v_dot4_i32_iu8 v3, v210, v203, v3 neg_lo:[1,1,0]
	s_delay_alu instid0(VALU_DEP_2) | instskip(NEXT) | instid1(VALU_DEP_2)
	v_mad_i32_i24 v252, v235, v250, v252
	v_mad_u32 v2, v3, v245, v2
	s_delay_alu instid0(VALU_DEP_2) | instskip(NEXT) | instid1(VALU_DEP_1)
	v_dot4_i32_iu8 v252, v222, v202, v252 neg_lo:[1,1,0]
	v_mad_i32_i24 v252, v236, v251, v252
	s_delay_alu instid0(VALU_DEP_3) | instskip(NEXT) | instid1(VALU_DEP_2)
	v_cvt_f32_i32_e32 v2, v2
	v_dot4_i32_iu8 v252, v240, v203, v252 neg_lo:[1,1,0]
	s_delay_alu instid0(VALU_DEP_1) | instskip(SKIP_1) | instid1(VALU_DEP_1)
	v_mad_u32 v204, v252, v238, v204
	v_dual_mul_f32 v252, v219, v1 :: v_dual_mul_f32 v1, v0, v1
	v_mul_f32_e32 v206, v1, v2
	v_or_b32_e32 v1, s17, v142
	s_delay_alu instid0(VALU_DEP_4) | instskip(NEXT) | instid1(VALU_DEP_2)
	v_cvt_f32_i32_e32 v204, v204
	v_dual_lshlrev_b32 v7, 2, v1 :: v_dual_lshrrev_b32 v1, 1, v1
	ds_load_b32 v1, v1 offset:38816
	ds_load_b128 v[2:5], v7 offset:25344
	ds_load_b128 v[200:203], v7 offset:25360
	v_mul_f32_e32 v204, v252, v204
	s_wait_dscnt 0x1
	v_bfe_i32 v182, v2, 0, 8
	v_bfe_i32 v207, v2, 8, 8
	v_perm_b32 v2, v2, v2, 0xc0c0302
	v_bfe_i32 v249, v3, 0, 8
	v_perm_b32 v3, v3, v3, 0xc030201
	v_bfe_i32 v250, v4, 0, 8
	v_perm_b32 v4, v4, v4, 0xc030201
	v_bfe_i32 v205, v5, 0, 8
	s_set_vgpr_msb 64                       ;  msbs: dst=1 src0=0 src1=0 src2=0
	v_perm_b32 v0 /*v256*/, v5, v5, 0xc030201
	s_wait_dscnt 0x0
	s_set_vgpr_msb 0                        ;  msbs: dst=0 src0=0 src1=0 src2=0
	v_bfe_i32 v251, v200, 0, 8
	v_bfe_i32 v252, v200, 8, 8
	v_perm_b32 v200, v200, v200, 0xc0c0302
	v_bfe_i32 v253, v201, 0, 8
	v_perm_b32 v201, v201, v201, 0xc030201
	;; [unrolled: 2-line block ×4, first 2 shown]
	v_mul_i32_i24_e32 v7, v182, v166
	v_mul_i32_i24_e32 v115, v251, v174
	s_delay_alu instid0(VALU_DEP_2) | instskip(NEXT) | instid1(VALU_DEP_2)
	v_mad_i32_i24 v7, v207, v167, v7
	v_mad_i32_i24 v115, v252, v175, v115
	s_delay_alu instid0(VALU_DEP_2) | instskip(NEXT) | instid1(VALU_DEP_2)
	v_dot4_i32_iu8 v7, v2, v168, v7 neg_lo:[1,1,0]
	v_dot4_i32_iu8 v115, v200, v176, v115 neg_lo:[1,1,0]
	s_delay_alu instid0(VALU_DEP_2) | instskip(NEXT) | instid1(VALU_DEP_2)
	v_mad_i32_i24 v7, v249, v170, v7
	v_mad_i32_i24 v115, v253, v178, v115
	s_delay_alu instid0(VALU_DEP_2) | instskip(NEXT) | instid1(VALU_DEP_2)
	v_dot4_i32_iu8 v7, v3, v172, v7 neg_lo:[1,1,0]
	v_dot4_i32_iu8 v115, v201, v180, v115 neg_lo:[1,1,0]
	;; [unrolled: 6-line block ×3, first 2 shown]
	s_delay_alu instid0(VALU_DEP_2) | instskip(NEXT) | instid1(VALU_DEP_2)
	v_mad_i32_i24 v7, v171, v205, v7
	v_mad_i32_i24 v115, v179, v255, v115
	s_set_vgpr_msb 4                        ;  msbs: dst=0 src0=0 src1=1 src2=0
	s_delay_alu instid0(VALU_DEP_2) | instskip(SKIP_1) | instid1(VALU_DEP_2)
	v_dot4_i32_iu8 v7, v211, v0 /*v256*/, v7 neg_lo:[1,1,0]
	s_set_vgpr_msb 0                        ;  msbs: dst=0 src0=0 src1=0 src2=0
	v_dot4_i32_iu8 v115, v214, v203, v115 neg_lo:[1,1,0]
	s_delay_alu instid0(VALU_DEP_2) | instskip(NEXT) | instid1(VALU_DEP_1)
	v_mul_lo_u32 v7, v7, v173
	v_mad_u32 v7, v115, v181, v7
	v_mul_f32_e32 v115, v165, v1
	s_delay_alu instid0(VALU_DEP_2) | instskip(NEXT) | instid1(VALU_DEP_1)
	v_cvt_f32_i32_e32 v7, v7
	v_mul_f32_e32 v7, v115, v7
	s_delay_alu instid0(VALU_DEP_1) | instskip(SKIP_2) | instid1(VALU_DEP_2)
	v_pk_add_f32 v[70:71], v[70:71], v[6:7]
	v_mul_i32_i24_e32 v6, v182, v184
	v_mul_i32_i24_e32 v7, v251, v192
	v_mad_i32_i24 v6, v207, v185, v6
	s_delay_alu instid0(VALU_DEP_2) | instskip(NEXT) | instid1(VALU_DEP_2)
	v_mad_i32_i24 v7, v252, v193, v7
	v_dot4_i32_iu8 v6, v2, v186, v6 neg_lo:[1,1,0]
	s_delay_alu instid0(VALU_DEP_2) | instskip(NEXT) | instid1(VALU_DEP_2)
	v_dot4_i32_iu8 v7, v200, v194, v7 neg_lo:[1,1,0]
	v_mad_i32_i24 v6, v249, v187, v6
	s_delay_alu instid0(VALU_DEP_2) | instskip(NEXT) | instid1(VALU_DEP_2)
	v_mad_i32_i24 v7, v253, v195, v7
	v_dot4_i32_iu8 v6, v3, v190, v6 neg_lo:[1,1,0]
	s_delay_alu instid0(VALU_DEP_2) | instskip(NEXT) | instid1(VALU_DEP_2)
	v_dot4_i32_iu8 v7, v201, v198, v7 neg_lo:[1,1,0]
	;; [unrolled: 6-line block ×3, first 2 shown]
	v_mad_i32_i24 v6, v189, v205, v6
	s_delay_alu instid0(VALU_DEP_2) | instskip(SKIP_1) | instid1(VALU_DEP_2)
	v_mad_i32_i24 v7, v197, v255, v7
	s_set_vgpr_msb 4                        ;  msbs: dst=0 src0=0 src1=1 src2=0
	v_dot4_i32_iu8 v6, v216, v0 /*v256*/, v6 neg_lo:[1,1,0]
	s_set_vgpr_msb 0                        ;  msbs: dst=0 src0=0 src1=0 src2=0
	s_delay_alu instid0(VALU_DEP_2) | instskip(NEXT) | instid1(VALU_DEP_2)
	v_dot4_i32_iu8 v7, v218, v203, v7 neg_lo:[1,1,0]
	v_mul_lo_u32 v6, v6, v191
	s_delay_alu instid0(VALU_DEP_1) | instskip(SKIP_1) | instid1(VALU_DEP_2)
	v_mad_u32 v6, v7, v199, v6
	v_mul_f32_e32 v7, v183, v1
	v_cvt_f32_i32_e32 v6, v6
	s_delay_alu instid0(VALU_DEP_1) | instskip(SKIP_2) | instid1(VALU_DEP_3)
	v_mul_f32_e32 v115, v7, v6
	v_mul_i32_i24_e32 v6, v182, v223
	v_mul_i32_i24_e32 v7, v251, v231
	v_pk_add_f32 v[78:79], v[78:79], v[114:115]
	s_delay_alu instid0(VALU_DEP_3) | instskip(NEXT) | instid1(VALU_DEP_3)
	v_mad_i32_i24 v6, v207, v224, v6
	v_mad_i32_i24 v7, v252, v232, v7
	s_delay_alu instid0(VALU_DEP_2) | instskip(NEXT) | instid1(VALU_DEP_2)
	v_dot4_i32_iu8 v6, v2, v225, v6 neg_lo:[1,1,0]
	v_dot4_i32_iu8 v7, v200, v233, v7 neg_lo:[1,1,0]
	s_delay_alu instid0(VALU_DEP_2) | instskip(NEXT) | instid1(VALU_DEP_2)
	v_mad_i32_i24 v6, v249, v226, v6
	v_mad_i32_i24 v7, v253, v234, v7
	s_delay_alu instid0(VALU_DEP_2) | instskip(NEXT) | instid1(VALU_DEP_2)
	v_dot4_i32_iu8 v6, v3, v229, v6 neg_lo:[1,1,0]
	v_dot4_i32_iu8 v7, v201, v237, v7 neg_lo:[1,1,0]
	s_delay_alu instid0(VALU_DEP_2) | instskip(NEXT) | instid1(VALU_DEP_2)
	;; [unrolled: 6-line block ×3, first 2 shown]
	v_mad_i32_i24 v6, v228, v205, v6
	v_mad_i32_i24 v7, v236, v255, v7
	s_set_vgpr_msb 4                        ;  msbs: dst=0 src0=0 src1=1 src2=0
	s_delay_alu instid0(VALU_DEP_2) | instskip(SKIP_1) | instid1(VALU_DEP_2)
	v_dot4_i32_iu8 v6, v221, v0 /*v256*/, v6 neg_lo:[1,1,0]
	s_set_vgpr_msb 0                        ;  msbs: dst=0 src0=0 src1=0 src2=0
	v_dot4_i32_iu8 v7, v240, v203, v7 neg_lo:[1,1,0]
	s_delay_alu instid0(VALU_DEP_2) | instskip(NEXT) | instid1(VALU_DEP_1)
	v_mul_lo_u32 v6, v6, v230
	v_mad_u32 v6, v7, v238, v6
	v_dual_mul_f32 v7, v219, v1 :: v_dual_mul_f32 v1, v0, v1
	s_delay_alu instid0(VALU_DEP_2) | instskip(NEXT) | instid1(VALU_DEP_1)
	v_cvt_f32_i32_e32 v6, v6
	v_mul_f32_e32 v205, v7, v6
	s_set_vgpr_msb 1                        ;  msbs: dst=0 src0=1 src1=0 src2=0
	v_mul_i32_i24_e32 v6, v42 /*v298*/, v182
	s_set_vgpr_msb 0                        ;  msbs: dst=0 src0=0 src1=0 src2=0
	s_delay_alu instid0(VALU_DEP_2) | instskip(SKIP_1) | instid1(VALU_DEP_2)
	v_pk_add_f32 v[88:89], v[88:89], v[204:205]
	s_set_vgpr_msb 1                        ;  msbs: dst=0 src0=1 src1=0 src2=0
	v_mad_i32_i24 v6, v12 /*v268*/, v207, v6
	s_set_vgpr_msb 0                        ;  msbs: dst=0 src0=0 src1=0 src2=0
	s_delay_alu instid0(VALU_DEP_1) | instskip(SKIP_1) | instid1(VALU_DEP_1)
	v_dot4_i32_iu8 v2, v208, v2, v6 neg_lo:[1,1,0]
	s_set_vgpr_msb 1                        ;  msbs: dst=0 src0=1 src1=0 src2=0
	v_mad_i32_i24 v2, v4 /*v260*/, v249, v2
	s_set_vgpr_msb 0                        ;  msbs: dst=0 src0=0 src1=0 src2=0
	s_delay_alu instid0(VALU_DEP_1) | instskip(SKIP_3) | instid1(VALU_DEP_2)
	v_dot4_i32_iu8 v2, v241, v3, v2 neg_lo:[1,1,0]
	s_set_vgpr_msb 1                        ;  msbs: dst=0 src0=1 src1=0 src2=0
	v_mul_i32_i24_e32 v3, v17 /*v273*/, v251
	s_set_vgpr_msb 0                        ;  msbs: dst=0 src0=0 src1=0 src2=0
	v_mad_i32_i24 v2, v250, v239, v2
	s_set_vgpr_msb 1                        ;  msbs: dst=0 src0=1 src1=0 src2=0
	s_delay_alu instid0(VALU_DEP_2) | instskip(SKIP_1) | instid1(VALU_DEP_2)
	v_mad_i32_i24 v3, v13 /*v269*/, v252, v3
	s_set_vgpr_msb 0                        ;  msbs: dst=0 src0=0 src1=0 src2=0
	v_dot4_i32_iu8 v2, v4, v246, v2 neg_lo:[1,1,0]
	s_set_vgpr_msb 1                        ;  msbs: dst=0 src0=1 src1=0 src2=0
	s_delay_alu instid0(VALU_DEP_2) | instskip(SKIP_1) | instid1(VALU_DEP_2)
	v_dot4_i32_iu8 v3, v20 /*v276*/, v200, v3 neg_lo:[1,1,0]
	s_set_vgpr_msb 0                        ;  msbs: dst=0 src0=0 src1=0 src2=0
	v_dot4_i32_iu8 v2, v248, v5, v2 neg_lo:[1,1,0]
	s_set_vgpr_msb 1                        ;  msbs: dst=0 src0=1 src1=0 src2=0
	s_delay_alu instid0(VALU_DEP_2) | instskip(SKIP_1) | instid1(VALU_DEP_2)
	v_mad_i32_i24 v3, v32 /*v288*/, v253, v3
	s_set_vgpr_msb 0                        ;  msbs: dst=0 src0=0 src1=0 src2=0
	v_mul_lo_u32 v2, v2, v247
	s_delay_alu instid0(VALU_DEP_2) | instskip(NEXT) | instid1(VALU_DEP_1)
	v_dot4_i32_iu8 v3, v242, v201, v3 neg_lo:[1,1,0]
	v_mad_i32_i24 v3, v254, v215, v3
	s_delay_alu instid0(VALU_DEP_1) | instskip(NEXT) | instid1(VALU_DEP_1)
	v_dot4_i32_iu8 v3, v202, v244, v3 neg_lo:[1,1,0]
	v_mad_i32_i24 v3, v243, v255, v3
	s_delay_alu instid0(VALU_DEP_1) | instskip(NEXT) | instid1(VALU_DEP_1)
	v_dot4_i32_iu8 v3, v210, v203, v3 neg_lo:[1,1,0]
	v_mad_u32 v2, v3, v245, v2
	s_delay_alu instid0(VALU_DEP_1) | instskip(NEXT) | instid1(VALU_DEP_1)
	v_cvt_f32_i32_e32 v2, v2
	v_dual_mul_f32 v207, v1, v2 :: v_dual_bitop2_b32 v1, s17, v143 bitop3:0x54
	s_delay_alu instid0(VALU_DEP_1) | instskip(NEXT) | instid1(VALU_DEP_2)
	v_pk_add_f32 v[46:47], v[46:47], v[206:207]
	v_dual_lshlrev_b32 v6, 2, v1 :: v_dual_lshrrev_b32 v1, 1, v1
	ds_load_b32 v1, v1 offset:38816
	ds_load_b128 v[2:5], v6 offset:25344
	ds_load_b128 v[200:203], v6 offset:25360
	s_wait_dscnt 0x1
	v_bfe_i32 v7, v2, 0, 8
	v_bfe_i32 v115, v2, 8, 8
	v_perm_b32 v2, v2, v2, 0xc0c0302
	v_bfe_i32 v204, v3, 0, 8
	v_perm_b32 v3, v3, v3, 0xc030201
	;; [unrolled: 2-line block ×4, first 2 shown]
	s_wait_dscnt 0x0
	v_bfe_i32 v206, v200, 0, 8
	v_bfe_i32 v207, v200, 8, 8
	v_perm_b32 v200, v200, v200, 0xc0c0302
	v_bfe_i32 v249, v201, 0, 8
	v_perm_b32 v201, v201, v201, 0xc030201
	;; [unrolled: 2-line block ×4, first 2 shown]
	v_mul_i32_i24_e32 v6, v7, v166
	v_mul_i32_i24_e32 v114, v206, v174
	;; [unrolled: 1-line block ×3, first 2 shown]
	s_delay_alu instid0(VALU_DEP_3) | instskip(NEXT) | instid1(VALU_DEP_3)
	v_mad_i32_i24 v6, v115, v167, v6
	v_mad_i32_i24 v114, v207, v175, v114
	s_delay_alu instid0(VALU_DEP_3) | instskip(NEXT) | instid1(VALU_DEP_3)
	v_mad_i32_i24 v253, v207, v193, v253
	v_dot4_i32_iu8 v6, v2, v168, v6 neg_lo:[1,1,0]
	s_delay_alu instid0(VALU_DEP_3) | instskip(NEXT) | instid1(VALU_DEP_3)
	v_dot4_i32_iu8 v114, v200, v176, v114 neg_lo:[1,1,0]
	v_dot4_i32_iu8 v253, v200, v194, v253 neg_lo:[1,1,0]
	s_delay_alu instid0(VALU_DEP_3) | instskip(NEXT) | instid1(VALU_DEP_3)
	v_mad_i32_i24 v6, v204, v170, v6
	v_mad_i32_i24 v114, v249, v178, v114
	s_delay_alu instid0(VALU_DEP_3) | instskip(NEXT) | instid1(VALU_DEP_3)
	v_mad_i32_i24 v253, v249, v195, v253
	v_dot4_i32_iu8 v6, v3, v172, v6 neg_lo:[1,1,0]
	s_delay_alu instid0(VALU_DEP_3) | instskip(NEXT) | instid1(VALU_DEP_3)
	v_dot4_i32_iu8 v114, v201, v180, v114 neg_lo:[1,1,0]
	v_dot4_i32_iu8 v253, v201, v198, v253 neg_lo:[1,1,0]
	;; [unrolled: 9-line block ×4, first 2 shown]
	s_delay_alu instid0(VALU_DEP_3) | instskip(NEXT) | instid1(VALU_DEP_1)
	v_mul_lo_u32 v6, v6, v173
	v_mad_u32 v6, v114, v181, v6
	v_mul_f32_e32 v114, v165, v1
	s_delay_alu instid0(VALU_DEP_2) | instskip(NEXT) | instid1(VALU_DEP_1)
	v_cvt_f32_i32_e32 v6, v6
	v_mul_f32_e32 v6, v114, v6
	v_mul_i32_i24_e32 v114, v7, v184
	s_delay_alu instid0(VALU_DEP_1) | instskip(NEXT) | instid1(VALU_DEP_1)
	v_mad_i32_i24 v114, v115, v185, v114
	v_dot4_i32_iu8 v114, v2, v186, v114 neg_lo:[1,1,0]
	s_delay_alu instid0(VALU_DEP_1) | instskip(NEXT) | instid1(VALU_DEP_1)
	v_mad_i32_i24 v114, v204, v187, v114
	v_dot4_i32_iu8 v114, v3, v190, v114 neg_lo:[1,1,0]
	;; [unrolled: 3-line block ×4, first 2 shown]
	s_delay_alu instid0(VALU_DEP_1) | instskip(NEXT) | instid1(VALU_DEP_1)
	v_mul_lo_u32 v114, v114, v191
	v_mad_u32 v114, v253, v199, v114
	v_mul_f32_e32 v253, v183, v1
	s_delay_alu instid0(VALU_DEP_2) | instskip(NEXT) | instid1(VALU_DEP_1)
	v_cvt_f32_i32_e32 v114, v114
	v_mul_f32_e32 v114, v253, v114
	v_mul_i32_i24_e32 v253, v7, v223
	s_set_vgpr_msb 1                        ;  msbs: dst=0 src0=1 src1=0 src2=0
	v_mul_i32_i24_e32 v7, v42 /*v298*/, v7
	s_set_vgpr_msb 0                        ;  msbs: dst=0 src0=0 src1=0 src2=0
	s_delay_alu instid0(VALU_DEP_2) | instskip(SKIP_1) | instid1(VALU_DEP_2)
	v_mad_i32_i24 v253, v115, v224, v253
	s_set_vgpr_msb 1                        ;  msbs: dst=0 src0=1 src1=0 src2=0
	v_mad_i32_i24 v7, v12 /*v268*/, v115, v7
	s_set_vgpr_msb 0                        ;  msbs: dst=0 src0=0 src1=0 src2=0
	s_delay_alu instid0(VALU_DEP_2) | instskip(NEXT) | instid1(VALU_DEP_2)
	v_dot4_i32_iu8 v253, v2, v225, v253 neg_lo:[1,1,0]
	v_dot4_i32_iu8 v2, v208, v2, v7 neg_lo:[1,1,0]
	s_delay_alu instid0(VALU_DEP_2) | instskip(SKIP_1) | instid1(VALU_DEP_2)
	v_mad_i32_i24 v253, v204, v226, v253
	s_set_vgpr_msb 1                        ;  msbs: dst=0 src0=1 src1=0 src2=0
	v_mad_i32_i24 v2, v4 /*v260*/, v204, v2
	s_set_vgpr_msb 0                        ;  msbs: dst=0 src0=0 src1=0 src2=0
	s_delay_alu instid0(VALU_DEP_2) | instskip(NEXT) | instid1(VALU_DEP_2)
	v_dot4_i32_iu8 v253, v3, v229, v253 neg_lo:[1,1,0]
	v_dot4_i32_iu8 v2, v241, v3, v2 neg_lo:[1,1,0]
	s_set_vgpr_msb 1                        ;  msbs: dst=0 src0=1 src1=0 src2=0
	v_mul_i32_i24_e32 v3, v17 /*v273*/, v206
	s_set_vgpr_msb 0                        ;  msbs: dst=0 src0=0 src1=0 src2=0
	v_mad_i32_i24 v253, v227, v205, v253
	v_mad_i32_i24 v2, v205, v239, v2
	s_set_vgpr_msb 1                        ;  msbs: dst=0 src0=1 src1=0 src2=0
	v_mad_i32_i24 v3, v13 /*v269*/, v207, v3
	s_set_vgpr_msb 0                        ;  msbs: dst=0 src0=0 src1=0 src2=0
	v_dot4_i32_iu8 v253, v220, v4, v253 neg_lo:[1,1,0]
	v_dot4_i32_iu8 v2, v4, v246, v2 neg_lo:[1,1,0]
	s_set_vgpr_msb 1                        ;  msbs: dst=0 src0=1 src1=0 src2=0
	v_dot4_i32_iu8 v3, v20 /*v276*/, v200, v3 neg_lo:[1,1,0]
	s_set_vgpr_msb 0                        ;  msbs: dst=0 src0=0 src1=0 src2=0
	v_mad_i32_i24 v182, v228, v182, v253
	v_dot4_i32_iu8 v2, v248, v5, v2 neg_lo:[1,1,0]
	s_set_vgpr_msb 1                        ;  msbs: dst=0 src0=1 src1=0 src2=0
	v_mad_i32_i24 v3, v32 /*v288*/, v249, v3
	s_set_vgpr_msb 0                        ;  msbs: dst=0 src0=0 src1=0 src2=0
	v_dot4_i32_iu8 v182, v221, v252, v182 neg_lo:[1,1,0]
	v_mul_i32_i24_e32 v252, v206, v231
	s_delay_alu instid0(VALU_DEP_3) | instskip(SKIP_1) | instid1(VALU_DEP_4)
	v_dot4_i32_iu8 v3, v242, v201, v3 neg_lo:[1,1,0]
	v_mul_lo_u32 v2, v2, v247
	v_mul_lo_u32 v182, v182, v230
	s_delay_alu instid0(VALU_DEP_4) | instskip(NEXT) | instid1(VALU_DEP_4)
	v_mad_i32_i24 v252, v207, v232, v252
	v_mad_i32_i24 v3, v250, v215, v3
	s_delay_alu instid0(VALU_DEP_2) | instskip(NEXT) | instid1(VALU_DEP_2)
	v_dot4_i32_iu8 v252, v200, v233, v252 neg_lo:[1,1,0]
	v_dot4_i32_iu8 v3, v202, v244, v3 neg_lo:[1,1,0]
	s_delay_alu instid0(VALU_DEP_2) | instskip(NEXT) | instid1(VALU_DEP_2)
	v_mad_i32_i24 v252, v249, v234, v252
	v_mad_i32_i24 v3, v243, v251, v3
	s_delay_alu instid0(VALU_DEP_2) | instskip(NEXT) | instid1(VALU_DEP_2)
	v_dot4_i32_iu8 v252, v201, v237, v252 neg_lo:[1,1,0]
	v_dot4_i32_iu8 v3, v210, v203, v3 neg_lo:[1,1,0]
	s_delay_alu instid0(VALU_DEP_2) | instskip(NEXT) | instid1(VALU_DEP_2)
	v_mad_i32_i24 v252, v235, v250, v252
	v_mad_u32 v2, v3, v245, v2
	s_delay_alu instid0(VALU_DEP_2) | instskip(NEXT) | instid1(VALU_DEP_1)
	v_dot4_i32_iu8 v252, v222, v202, v252 neg_lo:[1,1,0]
	v_mad_i32_i24 v252, v236, v251, v252
	s_delay_alu instid0(VALU_DEP_3) | instskip(NEXT) | instid1(VALU_DEP_2)
	v_cvt_f32_i32_e32 v2, v2
	v_dot4_i32_iu8 v252, v240, v203, v252 neg_lo:[1,1,0]
	s_delay_alu instid0(VALU_DEP_1) | instskip(SKIP_1) | instid1(VALU_DEP_1)
	v_mad_u32 v182, v252, v238, v182
	v_dual_mul_f32 v252, v219, v1 :: v_dual_mul_f32 v1, v0, v1
	v_dual_mul_f32 v204, v1, v2 :: v_dual_bitop2_b32 v1, s17, v144 bitop3:0x54
	s_delay_alu instid0(VALU_DEP_3) | instskip(NEXT) | instid1(VALU_DEP_2)
	v_cvt_f32_i32_e32 v182, v182
	v_dual_lshlrev_b32 v7, 2, v1 :: v_dual_lshrrev_b32 v1, 1, v1
	ds_load_b32 v1, v1 offset:38816
	ds_load_b128 v[2:5], v7 offset:25344
	ds_load_b128 v[200:203], v7 offset:25360
	v_mul_f32_e32 v182, v252, v182
	s_wait_dscnt 0x2
	v_mul_f32_e32 v0, v0, v1
	s_wait_dscnt 0x1
	v_bfe_i32 v205, v2, 0, 8
	v_bfe_i32 v206, v2, 8, 8
	v_perm_b32 v2, v2, v2, 0xc0c0302
	s_wait_dscnt 0x0
	v_bfe_i32 v251, v200, 0, 8
	v_bfe_i32 v207, v3, 0, 8
	v_mul_i32_i24_e32 v7, v205, v166
	v_bfe_i32 v252, v200, 8, 8
	v_perm_b32 v3, v3, v3, 0xc030201
	v_mul_i32_i24_e32 v115, v251, v174
	v_bfe_i32 v249, v4, 0, 8
	v_mad_i32_i24 v7, v206, v167, v7
	v_perm_b32 v167, v200, v200, 0xc0c0302
	v_bfe_i32 v253, v201, 0, 8
	v_mad_i32_i24 v115, v252, v175, v115
	v_perm_b32 v4, v4, v4, 0xc030201
	v_dot4_i32_iu8 v7, v2, v168, v7 neg_lo:[1,1,0]
	v_perm_b32 v168, v201, v201, 0xc030201
	v_bfe_i32 v250, v5, 0, 8
	v_dot4_i32_iu8 v115, v167, v176, v115 neg_lo:[1,1,0]
	v_bfe_i32 v254, v202, 0, 8
	v_mad_i32_i24 v7, v207, v170, v7
	v_perm_b32 v166, v5, v5, 0xc030201
	v_bfe_i32 v255, v203, 0, 8
	v_mad_i32_i24 v115, v253, v178, v115
	v_perm_b32 v170, v203, v203, 0xc030201
	v_dot4_i32_iu8 v7, v3, v172, v7 neg_lo:[1,1,0]
	s_delay_alu instid0(VALU_DEP_3) | instskip(NEXT) | instid1(VALU_DEP_2)
	v_dot4_i32_iu8 v115, v168, v180, v115 neg_lo:[1,1,0]
	v_mad_i32_i24 v7, v169, v249, v7
	v_perm_b32 v169, v202, v202, 0xc030201
	s_delay_alu instid0(VALU_DEP_3) | instskip(NEXT) | instid1(VALU_DEP_3)
	v_mad_i32_i24 v115, v177, v254, v115
	v_dot4_i32_iu8 v7, v209, v4, v7 neg_lo:[1,1,0]
	s_delay_alu instid0(VALU_DEP_2) | instskip(NEXT) | instid1(VALU_DEP_2)
	v_dot4_i32_iu8 v115, v213, v169, v115 neg_lo:[1,1,0]
	v_mad_i32_i24 v7, v171, v250, v7
	s_delay_alu instid0(VALU_DEP_2) | instskip(NEXT) | instid1(VALU_DEP_2)
	v_mad_i32_i24 v115, v179, v255, v115
	v_dot4_i32_iu8 v7, v211, v166, v7 neg_lo:[1,1,0]
	s_delay_alu instid0(VALU_DEP_2) | instskip(NEXT) | instid1(VALU_DEP_2)
	v_dot4_i32_iu8 v115, v214, v170, v115 neg_lo:[1,1,0]
	v_mul_lo_u32 v7, v7, v173
	s_delay_alu instid0(VALU_DEP_1) | instskip(SKIP_1) | instid1(VALU_DEP_2)
	v_mad_u32 v7, v115, v181, v7
	v_mul_f32_e32 v115, v165, v1
	v_cvt_f32_i32_e32 v7, v7
	s_delay_alu instid0(VALU_DEP_1) | instskip(NEXT) | instid1(VALU_DEP_1)
	v_mul_f32_e32 v7, v115, v7
	v_pk_add_f32 v[48:49], v[48:49], v[6:7]
	v_mul_i32_i24_e32 v6, v205, v184
	v_mul_i32_i24_e32 v7, v251, v192
	s_delay_alu instid0(VALU_DEP_2) | instskip(NEXT) | instid1(VALU_DEP_2)
	v_mad_i32_i24 v6, v206, v185, v6
	v_mad_i32_i24 v7, v252, v193, v7
	s_delay_alu instid0(VALU_DEP_2) | instskip(NEXT) | instid1(VALU_DEP_2)
	v_dot4_i32_iu8 v6, v2, v186, v6 neg_lo:[1,1,0]
	v_dot4_i32_iu8 v7, v167, v194, v7 neg_lo:[1,1,0]
	s_delay_alu instid0(VALU_DEP_2) | instskip(NEXT) | instid1(VALU_DEP_2)
	v_mad_i32_i24 v6, v207, v187, v6
	v_mad_i32_i24 v7, v253, v195, v7
	s_delay_alu instid0(VALU_DEP_2) | instskip(NEXT) | instid1(VALU_DEP_2)
	v_dot4_i32_iu8 v6, v3, v190, v6 neg_lo:[1,1,0]
	v_dot4_i32_iu8 v7, v168, v198, v7 neg_lo:[1,1,0]
	;; [unrolled: 6-line block ×4, first 2 shown]
	s_delay_alu instid0(VALU_DEP_2) | instskip(NEXT) | instid1(VALU_DEP_1)
	v_mul_lo_u32 v6, v6, v191
	v_mad_u32 v6, v7, v199, v6
	v_mul_f32_e32 v7, v183, v1
	s_delay_alu instid0(VALU_DEP_2) | instskip(NEXT) | instid1(VALU_DEP_1)
	v_cvt_f32_i32_e32 v6, v6
	v_mul_f32_e32 v115, v7, v6
	v_mul_i32_i24_e32 v6, v205, v223
	v_mul_i32_i24_e32 v7, v251, v231
	s_delay_alu instid0(VALU_DEP_3) | instskip(NEXT) | instid1(VALU_DEP_3)
	v_pk_add_f32 v[56:57], v[56:57], v[114:115]
	v_mad_i32_i24 v6, v206, v224, v6
	s_delay_alu instid0(VALU_DEP_3) | instskip(NEXT) | instid1(VALU_DEP_2)
	v_mad_i32_i24 v7, v252, v232, v7
	v_dot4_i32_iu8 v6, v2, v225, v6 neg_lo:[1,1,0]
	s_delay_alu instid0(VALU_DEP_2) | instskip(NEXT) | instid1(VALU_DEP_2)
	v_dot4_i32_iu8 v7, v167, v233, v7 neg_lo:[1,1,0]
	v_mad_i32_i24 v6, v207, v226, v6
	s_delay_alu instid0(VALU_DEP_2) | instskip(NEXT) | instid1(VALU_DEP_2)
	v_mad_i32_i24 v7, v253, v234, v7
	v_dot4_i32_iu8 v6, v3, v229, v6 neg_lo:[1,1,0]
	s_delay_alu instid0(VALU_DEP_2) | instskip(NEXT) | instid1(VALU_DEP_2)
	v_dot4_i32_iu8 v7, v168, v237, v7 neg_lo:[1,1,0]
	v_mad_i32_i24 v6, v227, v249, v6
	s_delay_alu instid0(VALU_DEP_2) | instskip(NEXT) | instid1(VALU_DEP_2)
	;; [unrolled: 6-line block ×3, first 2 shown]
	v_mad_i32_i24 v7, v236, v255, v7
	v_dot4_i32_iu8 v6, v221, v166, v6 neg_lo:[1,1,0]
	s_delay_alu instid0(VALU_DEP_2) | instskip(NEXT) | instid1(VALU_DEP_2)
	v_dot4_i32_iu8 v7, v240, v170, v7 neg_lo:[1,1,0]
	v_mul_lo_u32 v6, v6, v230
	s_delay_alu instid0(VALU_DEP_1) | instskip(SKIP_1) | instid1(VALU_DEP_2)
	v_mad_u32 v6, v7, v238, v6
	v_mul_f32_e32 v7, v219, v1
	v_cvt_f32_i32_e32 v6, v6
	s_delay_alu instid0(VALU_DEP_1) | instskip(SKIP_2) | instid1(VALU_DEP_1)
	v_mul_f32_e32 v183, v7, v6
	s_set_vgpr_msb 1                        ;  msbs: dst=0 src0=1 src1=0 src2=0
	v_mul_i32_i24_e32 v6, v42 /*v298*/, v205
	v_mad_i32_i24 v6, v12 /*v268*/, v206, v6
	s_set_vgpr_msb 0                        ;  msbs: dst=0 src0=0 src1=0 src2=0
	s_delay_alu instid0(VALU_DEP_1) | instskip(SKIP_1) | instid1(VALU_DEP_1)
	v_dot4_i32_iu8 v2, v208, v2, v6 neg_lo:[1,1,0]
	s_set_vgpr_msb 1                        ;  msbs: dst=0 src0=1 src1=0 src2=0
	v_mad_i32_i24 v2, v4 /*v260*/, v207, v2
	s_set_vgpr_msb 0                        ;  msbs: dst=0 src0=0 src1=0 src2=0
	s_delay_alu instid0(VALU_DEP_1) | instskip(SKIP_3) | instid1(VALU_DEP_2)
	v_dot4_i32_iu8 v2, v241, v3, v2 neg_lo:[1,1,0]
	s_set_vgpr_msb 1                        ;  msbs: dst=0 src0=1 src1=0 src2=0
	v_mul_i32_i24_e32 v3, v17 /*v273*/, v251
	s_set_vgpr_msb 0                        ;  msbs: dst=0 src0=0 src1=0 src2=0
	v_mad_i32_i24 v2, v249, v239, v2
	s_set_vgpr_msb 1                        ;  msbs: dst=0 src0=1 src1=0 src2=0
	s_delay_alu instid0(VALU_DEP_2) | instskip(SKIP_1) | instid1(VALU_DEP_2)
	v_mad_i32_i24 v3, v13 /*v269*/, v252, v3
	s_set_vgpr_msb 0                        ;  msbs: dst=0 src0=0 src1=0 src2=0
	v_dot4_i32_iu8 v2, v4, v246, v2 neg_lo:[1,1,0]
	s_set_vgpr_msb 1                        ;  msbs: dst=0 src0=1 src1=0 src2=0
	s_delay_alu instid0(VALU_DEP_2) | instskip(SKIP_1) | instid1(VALU_DEP_2)
	v_dot4_i32_iu8 v3, v20 /*v276*/, v167, v3 neg_lo:[1,1,0]
	s_set_vgpr_msb 0                        ;  msbs: dst=0 src0=0 src1=0 src2=0
	v_dot4_i32_iu8 v2, v248, v5, v2 neg_lo:[1,1,0]
	s_set_vgpr_msb 1                        ;  msbs: dst=0 src0=1 src1=0 src2=0
	s_delay_alu instid0(VALU_DEP_2) | instskip(SKIP_1) | instid1(VALU_DEP_2)
	v_mad_i32_i24 v3, v32 /*v288*/, v253, v3
	s_set_vgpr_msb 0                        ;  msbs: dst=0 src0=0 src1=0 src2=0
	v_mul_lo_u32 v2, v2, v247
	s_delay_alu instid0(VALU_DEP_2) | instskip(NEXT) | instid1(VALU_DEP_1)
	v_dot4_i32_iu8 v3, v242, v168, v3 neg_lo:[1,1,0]
	v_mad_i32_i24 v3, v254, v215, v3
	s_delay_alu instid0(VALU_DEP_1) | instskip(NEXT) | instid1(VALU_DEP_1)
	v_dot4_i32_iu8 v3, v169, v244, v3 neg_lo:[1,1,0]
	v_mad_i32_i24 v3, v243, v255, v3
	s_delay_alu instid0(VALU_DEP_1) | instskip(NEXT) | instid1(VALU_DEP_1)
	v_dot4_i32_iu8 v3, v210, v170, v3 neg_lo:[1,1,0]
	v_mad_u32 v2, v3, v245, v2
	s_delay_alu instid0(VALU_DEP_1) | instskip(NEXT) | instid1(VALU_DEP_1)
	v_cvt_f32_i32_e32 v1, v2
	v_mul_f32_e32 v205, v0, v1
	v_pk_add_f32 v[64:65], v[64:65], v[182:183]
	s_delay_alu instid0(VALU_DEP_2)
	v_pk_add_f32 v[30:31], v[30:31], v[204:205]
	s_cbranch_scc1 .LBB150_12
; %bb.13:                               ;   in Loop: Header=BB150_8 Depth=2
	s_cmp_eq_u32 s10, 4
	s_barrier_signal -1
	s_barrier_wait -1
	s_cselect_b32 s11, -1, 0
	s_delay_alu instid0(SALU_CYCLE_1)
	s_and_b32 vcc_lo, exec_lo, s11
	s_cbranch_vccz .LBB150_8
	s_branch .LBB150_5
.LBB150_14:
	v_cvt_f16_f32_e32 v38, v104
	v_cvt_f16_f32_e32 v37, v106
	;; [unrolled: 1-line block ×32, first 2 shown]
	v_dual_mov_b32 v6, v9 :: v_dual_mov_b32 v30, v11
.LBB150_15:
	s_wait_xcnt 0x0
	s_mov_b32 s0, exec_lo
	v_cmpx_gt_u32_e64 s6, v21
	s_cbranch_execz .LBB150_66
; %bb.16:
	v_mul_lo_u32 v21, v21, s12
	v_add_nc_u32_e32 v0, s14, v30
	s_delay_alu instid0(VALU_DEP_1)
	v_cmp_gt_u32_e32 vcc_lo, s12, v0
	s_and_saveexec_b32 s0, vcc_lo
	s_cbranch_execz .LBB150_18
; %bb.17:
	s_delay_alu instid0(VALU_DEP_3)
	v_add_nc_u32_e32 v9, v0, v21
	s_wait_kmcnt 0x0
	global_store_b16 v9, v38, s[8:9] scale_offset
.LBB150_18:
	s_wait_xcnt 0x0
	s_or_b32 exec_lo, exec_lo, s0
	v_add_nc_u32_e32 v9, 32, v0
	s_delay_alu instid0(VALU_DEP_1)
	v_cmp_gt_u32_e64 s0, s12, v9
	s_and_saveexec_b32 s1, s0
	s_cbranch_execz .LBB150_20
; %bb.19:
	v_add_nc_u32_e32 v11, v9, v21
	s_wait_kmcnt 0x0
	global_store_b16 v11, v37, s[8:9] scale_offset
.LBB150_20:
	s_wait_xcnt 0x0
	s_or_b32 exec_lo, exec_lo, s1
	v_add_nc_u32_e32 v11, 64, v0
	s_delay_alu instid0(VALU_DEP_1)
	v_cmp_gt_u32_e64 s1, s12, v11
	s_and_saveexec_b32 s2, s1
	s_cbranch_execz .LBB150_22
; %bb.21:
	v_add_nc_u32_e32 v30, v11, v21
	s_wait_kmcnt 0x0
	global_store_b16 v30, v18, s[8:9] scale_offset
.LBB150_22:
	s_wait_xcnt 0x0
	s_or_b32 exec_lo, exec_lo, s2
	v_add_nc_u32_e32 v18, 0x60, v0
	s_delay_alu instid0(VALU_DEP_1)
	v_cmp_gt_u32_e64 s2, s12, v18
	s_and_saveexec_b32 s3, s2
	s_cbranch_execz .LBB150_24
; %bb.23:
	v_add_nc_u32_e32 v21, v18, v21
	s_wait_kmcnt 0x0
	global_store_b16 v21, v35, s[8:9] scale_offset
.LBB150_24:
	s_wait_xcnt 0x0
	s_or_b32 exec_lo, exec_lo, s3
	v_add3_u32 v21, v6, s13, 8
	s_delay_alu instid0(VALU_DEP_1)
	v_cmp_gt_u32_e64 s3, s6, v21
	s_and_b32 exec_lo, exec_lo, s3
	s_cbranch_execz .LBB150_66
; %bb.25:
	v_mul_lo_u32 v21, v21, s12
	s_and_saveexec_b32 s3, vcc_lo
	s_cbranch_execnz .LBB150_67
; %bb.26:
	s_or_b32 exec_lo, exec_lo, s3
	s_and_saveexec_b32 s3, s0
	s_cbranch_execnz .LBB150_68
.LBB150_27:
	s_or_b32 exec_lo, exec_lo, s3
	s_and_saveexec_b32 s3, s1
	s_cbranch_execnz .LBB150_69
.LBB150_28:
	s_or_b32 exec_lo, exec_lo, s3
	s_and_saveexec_b32 s3, s2
	s_cbranch_execz .LBB150_30
.LBB150_29:
	v_add_nc_u32_e32 v21, v21, v18
	s_wait_kmcnt 0x0
	global_store_b16 v21, v29, s[8:9] scale_offset
.LBB150_30:
	s_wait_xcnt 0x0
	s_or_b32 exec_lo, exec_lo, s3
	v_add3_u32 v21, v6, s13, 16
	s_delay_alu instid0(VALU_DEP_1)
	v_cmp_gt_u32_e64 s3, s6, v21
	s_and_b32 exec_lo, exec_lo, s3
	s_cbranch_execz .LBB150_66
; %bb.31:
	v_mul_lo_u32 v21, v21, s12
	s_and_saveexec_b32 s3, vcc_lo
	s_cbranch_execnz .LBB150_70
; %bb.32:
	s_or_b32 exec_lo, exec_lo, s3
	s_and_saveexec_b32 s3, s0
	s_cbranch_execnz .LBB150_71
.LBB150_33:
	s_or_b32 exec_lo, exec_lo, s3
	s_and_saveexec_b32 s3, s1
	s_cbranch_execnz .LBB150_72
.LBB150_34:
	s_or_b32 exec_lo, exec_lo, s3
	s_and_saveexec_b32 s3, s2
	s_cbranch_execz .LBB150_36
.LBB150_35:
	v_add_nc_u32_e32 v21, v21, v18
	s_wait_kmcnt 0x0
	global_store_b16 v21, v25, s[8:9] scale_offset
.LBB150_36:
	s_wait_xcnt 0x0
	s_or_b32 exec_lo, exec_lo, s3
	v_add3_u32 v21, v6, s13, 24
	s_delay_alu instid0(VALU_DEP_1)
	v_cmp_gt_u32_e64 s3, s6, v21
	s_and_b32 exec_lo, exec_lo, s3
	s_cbranch_execz .LBB150_66
; %bb.37:
	v_mul_lo_u32 v21, v21, s12
	s_and_saveexec_b32 s3, vcc_lo
	s_cbranch_execnz .LBB150_73
; %bb.38:
	s_or_b32 exec_lo, exec_lo, s3
	s_and_saveexec_b32 s3, s0
	s_cbranch_execnz .LBB150_74
.LBB150_39:
	s_or_b32 exec_lo, exec_lo, s3
	s_and_saveexec_b32 s3, s1
	s_cbranch_execnz .LBB150_75
.LBB150_40:
	s_or_b32 exec_lo, exec_lo, s3
	s_and_saveexec_b32 s3, s2
	s_cbranch_execz .LBB150_42
.LBB150_41:
	v_add_nc_u32_e32 v21, v21, v18
	s_wait_kmcnt 0x0
	global_store_b16 v21, v20, s[8:9] scale_offset
.LBB150_42:
	s_wait_xcnt 0x0
	s_or_b32 exec_lo, exec_lo, s3
	v_add3_u32 v20, v6, s13, 32
	s_delay_alu instid0(VALU_DEP_1)
	v_cmp_gt_u32_e64 s3, s6, v20
	s_and_b32 exec_lo, exec_lo, s3
	s_cbranch_execz .LBB150_66
; %bb.43:
	v_mul_lo_u32 v20, v20, s12
	s_and_saveexec_b32 s3, vcc_lo
	s_cbranch_execnz .LBB150_76
; %bb.44:
	s_or_b32 exec_lo, exec_lo, s3
	s_and_saveexec_b32 s3, s0
	s_cbranch_execnz .LBB150_77
.LBB150_45:
	s_or_b32 exec_lo, exec_lo, s3
	s_and_saveexec_b32 s3, s1
	s_cbranch_execnz .LBB150_78
.LBB150_46:
	s_or_b32 exec_lo, exec_lo, s3
	s_and_saveexec_b32 s3, s2
	s_cbranch_execz .LBB150_48
.LBB150_47:
	v_add_nc_u32_e32 v17, v20, v18
	s_wait_kmcnt 0x0
	global_store_b16 v17, v15, s[8:9] scale_offset
.LBB150_48:
	s_wait_xcnt 0x0
	s_or_b32 exec_lo, exec_lo, s3
	v_add3_u32 v15, v6, s13, 40
	s_delay_alu instid0(VALU_DEP_1)
	v_cmp_gt_u32_e64 s3, s6, v15
	s_and_b32 exec_lo, exec_lo, s3
	s_cbranch_execz .LBB150_66
; %bb.49:
	v_mul_lo_u32 v15, v15, s12
	s_and_saveexec_b32 s3, vcc_lo
	s_cbranch_execnz .LBB150_79
; %bb.50:
	s_or_b32 exec_lo, exec_lo, s3
	s_and_saveexec_b32 s3, s0
	s_cbranch_execnz .LBB150_80
.LBB150_51:
	s_or_b32 exec_lo, exec_lo, s3
	s_and_saveexec_b32 s3, s1
	s_cbranch_execnz .LBB150_81
.LBB150_52:
	s_or_b32 exec_lo, exec_lo, s3
	s_and_saveexec_b32 s3, s2
	s_cbranch_execz .LBB150_54
.LBB150_53:
	v_add_nc_u32_e32 v13, v15, v18
	s_wait_kmcnt 0x0
	global_store_b16 v13, v10, s[8:9] scale_offset
.LBB150_54:
	s_wait_xcnt 0x0
	s_or_b32 exec_lo, exec_lo, s3
	v_add3_u32 v10, v6, s13, 48
	s_delay_alu instid0(VALU_DEP_1)
	v_cmp_gt_u32_e64 s3, s6, v10
	s_and_b32 exec_lo, exec_lo, s3
	s_cbranch_execz .LBB150_66
; %bb.55:
	v_mul_lo_u32 v10, v10, s12
	s_and_saveexec_b32 s3, vcc_lo
	s_cbranch_execnz .LBB150_82
; %bb.56:
	s_or_b32 exec_lo, exec_lo, s3
	s_and_saveexec_b32 s3, s0
	s_cbranch_execnz .LBB150_83
.LBB150_57:
	s_or_b32 exec_lo, exec_lo, s3
	s_and_saveexec_b32 s3, s1
	s_cbranch_execnz .LBB150_84
.LBB150_58:
	s_or_b32 exec_lo, exec_lo, s3
	s_and_saveexec_b32 s3, s2
	s_cbranch_execz .LBB150_60
.LBB150_59:
	v_add_nc_u32_e32 v7, v10, v18
	s_wait_kmcnt 0x0
	global_store_b16 v7, v4, s[8:9] scale_offset
.LBB150_60:
	s_wait_xcnt 0x0
	s_or_b32 exec_lo, exec_lo, s3
	v_add3_u32 v4, v6, s13, 56
	s_delay_alu instid0(VALU_DEP_1)
	v_cmp_gt_u32_e64 s3, s6, v4
	s_and_b32 exec_lo, exec_lo, s3
	s_cbranch_execz .LBB150_66
; %bb.61:
	v_mul_lo_u32 v4, v4, s12
	s_and_saveexec_b32 s3, vcc_lo
	s_cbranch_execnz .LBB150_85
; %bb.62:
	s_or_b32 exec_lo, exec_lo, s3
	s_and_saveexec_b32 s3, s0
	s_cbranch_execnz .LBB150_86
.LBB150_63:
	s_or_b32 exec_lo, exec_lo, s3
	s_and_saveexec_b32 s0, s1
	s_cbranch_execnz .LBB150_87
.LBB150_64:
	s_or_b32 exec_lo, exec_lo, s0
	s_delay_alu instid0(SALU_CYCLE_1)
	s_and_b32 exec_lo, exec_lo, s2
	s_cbranch_execz .LBB150_66
.LBB150_65:
	v_add_nc_u32_e32 v0, v4, v18
	s_wait_kmcnt 0x0
	global_store_b16 v0, v1, s[8:9] scale_offset
.LBB150_66:
	s_sendmsg sendmsg(MSG_DEALLOC_VGPRS)
	s_endpgm
.LBB150_67:
	s_delay_alu instid0(VALU_DEP_1)
	v_add_nc_u32_e32 v30, v21, v0
	s_wait_kmcnt 0x0
	global_store_b16 v30, v36, s[8:9] scale_offset
	s_wait_xcnt 0x0
	s_or_b32 exec_lo, exec_lo, s3
	s_and_saveexec_b32 s3, s0
	s_cbranch_execz .LBB150_27
.LBB150_68:
	s_delay_alu instid0(VALU_DEP_1)
	v_add_nc_u32_e32 v30, v21, v9
	s_wait_kmcnt 0x0
	global_store_b16 v30, v34, s[8:9] scale_offset
	s_wait_xcnt 0x0
	s_or_b32 exec_lo, exec_lo, s3
	s_and_saveexec_b32 s3, s1
	s_cbranch_execz .LBB150_28
.LBB150_69:
	s_delay_alu instid0(VALU_DEP_1)
	v_add_nc_u32_e32 v30, v21, v11
	s_wait_kmcnt 0x0
	global_store_b16 v30, v33, s[8:9] scale_offset
	s_wait_xcnt 0x0
	s_or_b32 exec_lo, exec_lo, s3
	s_and_saveexec_b32 s3, s2
	s_cbranch_execnz .LBB150_29
	s_branch .LBB150_30
.LBB150_70:
	s_delay_alu instid0(VALU_DEP_1)
	v_add_nc_u32_e32 v29, v21, v0
	s_wait_kmcnt 0x0
	global_store_b16 v29, v32, s[8:9] scale_offset
	s_wait_xcnt 0x0
	s_or_b32 exec_lo, exec_lo, s3
	s_and_saveexec_b32 s3, s0
	s_cbranch_execz .LBB150_33
.LBB150_71:
	s_delay_alu instid0(VALU_DEP_1)
	v_add_nc_u32_e32 v29, v21, v9
	s_wait_kmcnt 0x0
	global_store_b16 v29, v28, s[8:9] scale_offset
	s_wait_xcnt 0x0
	s_or_b32 exec_lo, exec_lo, s3
	s_and_saveexec_b32 s3, s1
	s_cbranch_execz .LBB150_34
.LBB150_72:
	s_delay_alu instid0(VALU_DEP_1)
	v_add_nc_u32_e32 v28, v21, v11
	s_wait_kmcnt 0x0
	global_store_b16 v28, v27, s[8:9] scale_offset
	s_wait_xcnt 0x0
	s_or_b32 exec_lo, exec_lo, s3
	s_and_saveexec_b32 s3, s2
	s_cbranch_execnz .LBB150_35
	s_branch .LBB150_36
.LBB150_73:
	s_delay_alu instid0(VALU_DEP_1)
	v_add_nc_u32_e32 v25, v21, v0
	s_wait_kmcnt 0x0
	global_store_b16 v25, v26, s[8:9] scale_offset
	s_wait_xcnt 0x0
	s_or_b32 exec_lo, exec_lo, s3
	s_and_saveexec_b32 s3, s0
	s_cbranch_execz .LBB150_39
.LBB150_74:
	s_delay_alu instid0(VALU_DEP_1)
	v_add_nc_u32_e32 v25, v21, v9
	s_wait_kmcnt 0x0
	global_store_b16 v25, v24, s[8:9] scale_offset
	s_wait_xcnt 0x0
	s_or_b32 exec_lo, exec_lo, s3
	s_and_saveexec_b32 s3, s1
	s_cbranch_execz .LBB150_40
.LBB150_75:
	s_delay_alu instid0(VALU_DEP_1)
	v_add_nc_u32_e32 v24, v21, v11
	s_wait_kmcnt 0x0
	global_store_b16 v24, v23, s[8:9] scale_offset
	s_wait_xcnt 0x0
	s_or_b32 exec_lo, exec_lo, s3
	s_and_saveexec_b32 s3, s2
	s_cbranch_execnz .LBB150_41
	s_branch .LBB150_42
.LBB150_76:
	s_delay_alu instid0(VALU_DEP_1)
	v_add_nc_u32_e32 v21, v20, v0
	s_wait_kmcnt 0x0
	global_store_b16 v21, v22, s[8:9] scale_offset
	s_wait_xcnt 0x0
	s_or_b32 exec_lo, exec_lo, s3
	s_and_saveexec_b32 s3, s0
	s_cbranch_execz .LBB150_45
.LBB150_77:
	s_delay_alu instid0(VALU_DEP_1)
	v_add_nc_u32_e32 v21, v20, v9
	s_wait_kmcnt 0x0
	global_store_b16 v21, v19, s[8:9] scale_offset
	s_wait_xcnt 0x0
	s_or_b32 exec_lo, exec_lo, s3
	s_and_saveexec_b32 s3, s1
	s_cbranch_execz .LBB150_46
.LBB150_78:
	s_delay_alu instid0(VALU_DEP_1)
	v_add_nc_u32_e32 v19, v20, v11
	s_wait_kmcnt 0x0
	global_store_b16 v19, v17, s[8:9] scale_offset
	s_wait_xcnt 0x0
	s_or_b32 exec_lo, exec_lo, s3
	s_and_saveexec_b32 s3, s2
	s_cbranch_execnz .LBB150_47
	s_branch .LBB150_48
.LBB150_79:
	s_delay_alu instid0(VALU_DEP_1)
	v_add_nc_u32_e32 v17, v15, v0
	s_wait_kmcnt 0x0
	global_store_b16 v17, v16, s[8:9] scale_offset
	s_wait_xcnt 0x0
	s_or_b32 exec_lo, exec_lo, s3
	s_and_saveexec_b32 s3, s0
	s_cbranch_execz .LBB150_51
.LBB150_80:
	s_delay_alu instid0(VALU_DEP_1)
	v_add_nc_u32_e32 v16, v15, v9
	s_wait_kmcnt 0x0
	global_store_b16 v16, v14, s[8:9] scale_offset
	s_wait_xcnt 0x0
	s_or_b32 exec_lo, exec_lo, s3
	s_and_saveexec_b32 s3, s1
	s_cbranch_execz .LBB150_52
.LBB150_81:
	s_delay_alu instid0(VALU_DEP_1)
	v_add_nc_u32_e32 v14, v15, v11
	s_wait_kmcnt 0x0
	global_store_b16 v14, v13, s[8:9] scale_offset
	s_wait_xcnt 0x0
	s_or_b32 exec_lo, exec_lo, s3
	s_and_saveexec_b32 s3, s2
	s_cbranch_execnz .LBB150_53
	s_branch .LBB150_54
.LBB150_82:
	s_delay_alu instid0(VALU_DEP_1)
	v_add_nc_u32_e32 v13, v10, v0
	s_wait_kmcnt 0x0
	global_store_b16 v13, v12, s[8:9] scale_offset
	s_wait_xcnt 0x0
	s_or_b32 exec_lo, exec_lo, s3
	s_and_saveexec_b32 s3, s0
	s_cbranch_execz .LBB150_57
.LBB150_83:
	s_delay_alu instid0(VALU_DEP_1)
	v_add_nc_u32_e32 v12, v10, v9
	s_wait_kmcnt 0x0
	global_store_b16 v12, v8, s[8:9] scale_offset
	s_wait_xcnt 0x0
	s_or_b32 exec_lo, exec_lo, s3
	s_and_saveexec_b32 s3, s1
	s_cbranch_execz .LBB150_58
.LBB150_84:
	s_delay_alu instid0(VALU_DEP_1)
	v_add_nc_u32_e32 v8, v10, v11
	s_wait_kmcnt 0x0
	global_store_b16 v8, v7, s[8:9] scale_offset
	s_wait_xcnt 0x0
	s_or_b32 exec_lo, exec_lo, s3
	s_and_saveexec_b32 s3, s2
	s_cbranch_execnz .LBB150_59
	s_branch .LBB150_60
.LBB150_85:
	s_delay_alu instid0(VALU_DEP_1)
	v_add_nc_u32_e32 v0, v4, v0
	s_wait_kmcnt 0x0
	global_store_b16 v0, v5, s[8:9] scale_offset
	s_wait_xcnt 0x0
	s_or_b32 exec_lo, exec_lo, s3
	s_and_saveexec_b32 s3, s0
	s_cbranch_execz .LBB150_63
.LBB150_86:
	s_delay_alu instid0(VALU_DEP_1)
	v_add_nc_u32_e32 v0, v4, v9
	s_wait_kmcnt 0x0
	global_store_b16 v0, v3, s[8:9] scale_offset
	s_wait_xcnt 0x0
	s_or_b32 exec_lo, exec_lo, s3
	s_and_saveexec_b32 s0, s1
	s_cbranch_execz .LBB150_64
.LBB150_87:
	s_delay_alu instid0(VALU_DEP_1) | instskip(SKIP_4) | instid1(SALU_CYCLE_1)
	v_add_nc_u32_e32 v0, v4, v11
	s_wait_kmcnt 0x0
	global_store_b16 v0, v2, s[8:9] scale_offset
	s_wait_xcnt 0x0
	s_or_b32 exec_lo, exec_lo, s0
	s_and_b32 exec_lo, exec_lo, s2
	s_cbranch_execnz .LBB150_65
	s_branch .LBB150_66
	.section	.rodata,"a",@progbits
	.p2align	6, 0x0
	.amdhsa_kernel _ZL12mul_mat_q3_KIN3c104HalfELb1EEvPKvS3_PT_iiiii
		.amdhsa_group_segment_fixed_size 39840
		.amdhsa_private_segment_fixed_size 0
		.amdhsa_kernarg_size 44
		.amdhsa_user_sgpr_count 2
		.amdhsa_user_sgpr_dispatch_ptr 0
		.amdhsa_user_sgpr_queue_ptr 0
		.amdhsa_user_sgpr_kernarg_segment_ptr 1
		.amdhsa_user_sgpr_dispatch_id 0
		.amdhsa_user_sgpr_kernarg_preload_length 0
		.amdhsa_user_sgpr_kernarg_preload_offset 0
		.amdhsa_user_sgpr_private_segment_size 0
		.amdhsa_wavefront_size32 1
		.amdhsa_uses_dynamic_stack 0
		.amdhsa_enable_private_segment 0
		.amdhsa_system_sgpr_workgroup_id_x 1
		.amdhsa_system_sgpr_workgroup_id_y 1
		.amdhsa_system_sgpr_workgroup_id_z 0
		.amdhsa_system_sgpr_workgroup_info 0
		.amdhsa_system_vgpr_workitem_id 1
		.amdhsa_next_free_vgpr 307
		.amdhsa_next_free_sgpr 24
		.amdhsa_named_barrier_count 0
		.amdhsa_reserve_vcc 1
		.amdhsa_float_round_mode_32 0
		.amdhsa_float_round_mode_16_64 0
		.amdhsa_float_denorm_mode_32 3
		.amdhsa_float_denorm_mode_16_64 3
		.amdhsa_fp16_overflow 0
		.amdhsa_memory_ordered 1
		.amdhsa_forward_progress 1
		.amdhsa_inst_pref_size 255
		.amdhsa_round_robin_scheduling 0
		.amdhsa_exception_fp_ieee_invalid_op 0
		.amdhsa_exception_fp_denorm_src 0
		.amdhsa_exception_fp_ieee_div_zero 0
		.amdhsa_exception_fp_ieee_overflow 0
		.amdhsa_exception_fp_ieee_underflow 0
		.amdhsa_exception_fp_ieee_inexact 0
		.amdhsa_exception_int_div_zero 0
	.end_amdhsa_kernel
	.section	.text._ZL12mul_mat_q3_KIN3c104HalfELb1EEvPKvS3_PT_iiiii,"axG",@progbits,_ZL12mul_mat_q3_KIN3c104HalfELb1EEvPKvS3_PT_iiiii,comdat
.Lfunc_end150:
	.size	_ZL12mul_mat_q3_KIN3c104HalfELb1EEvPKvS3_PT_iiiii, .Lfunc_end150-_ZL12mul_mat_q3_KIN3c104HalfELb1EEvPKvS3_PT_iiiii
                                        ; -- End function
	.set _ZL12mul_mat_q3_KIN3c104HalfELb1EEvPKvS3_PT_iiiii.num_vgpr, 307
	.set _ZL12mul_mat_q3_KIN3c104HalfELb1EEvPKvS3_PT_iiiii.num_agpr, 0
	.set _ZL12mul_mat_q3_KIN3c104HalfELb1EEvPKvS3_PT_iiiii.numbered_sgpr, 24
	.set _ZL12mul_mat_q3_KIN3c104HalfELb1EEvPKvS3_PT_iiiii.num_named_barrier, 0
	.set _ZL12mul_mat_q3_KIN3c104HalfELb1EEvPKvS3_PT_iiiii.private_seg_size, 0
	.set _ZL12mul_mat_q3_KIN3c104HalfELb1EEvPKvS3_PT_iiiii.uses_vcc, 1
	.set _ZL12mul_mat_q3_KIN3c104HalfELb1EEvPKvS3_PT_iiiii.uses_flat_scratch, 0
	.set _ZL12mul_mat_q3_KIN3c104HalfELb1EEvPKvS3_PT_iiiii.has_dyn_sized_stack, 0
	.set _ZL12mul_mat_q3_KIN3c104HalfELb1EEvPKvS3_PT_iiiii.has_recursion, 0
	.set _ZL12mul_mat_q3_KIN3c104HalfELb1EEvPKvS3_PT_iiiii.has_indirect_call, 0
	.section	.AMDGPU.csdata,"",@progbits
; Kernel info:
; codeLenInByte = 42284
; TotalNumSgprs: 26
; NumVgprs: 307
; ScratchSize: 0
; MemoryBound: 0
; FloatMode: 240
; IeeeMode: 1
; LDSByteSize: 39840 bytes/workgroup (compile time only)
; SGPRBlocks: 0
; VGPRBlocks: 19
; NumSGPRsForWavesPerEU: 26
; NumVGPRsForWavesPerEU: 307
; NamedBarCnt: 0
; Occupancy: 3
; WaveLimiterHint : 0
; COMPUTE_PGM_RSRC2:SCRATCH_EN: 0
; COMPUTE_PGM_RSRC2:USER_SGPR: 2
; COMPUTE_PGM_RSRC2:TRAP_HANDLER: 0
; COMPUTE_PGM_RSRC2:TGID_X_EN: 1
; COMPUTE_PGM_RSRC2:TGID_Y_EN: 1
; COMPUTE_PGM_RSRC2:TGID_Z_EN: 0
; COMPUTE_PGM_RSRC2:TIDIG_COMP_CNT: 1
	.section	.text._ZL12mul_mat_q4_KIN3c104HalfELb0EEvPKvS3_PT_iiiii,"axG",@progbits,_ZL12mul_mat_q4_KIN3c104HalfELb0EEvPKvS3_PT_iiiii,comdat
	.globl	_ZL12mul_mat_q4_KIN3c104HalfELb0EEvPKvS3_PT_iiiii ; -- Begin function _ZL12mul_mat_q4_KIN3c104HalfELb0EEvPKvS3_PT_iiiii
	.p2align	8
	.type	_ZL12mul_mat_q4_KIN3c104HalfELb0EEvPKvS3_PT_iiiii,@function
_ZL12mul_mat_q4_KIN3c104HalfELb0EEvPKvS3_PT_iiiii: ; @_ZL12mul_mat_q4_KIN3c104HalfELb0EEvPKvS3_PT_iiiii
; %bb.0:
	s_clause 0x1
	s_load_b32 s10, s[0:1], 0x18
	s_load_b96 s[4:6], s[0:1], 0x20
	s_bfe_u32 s2, ttmp6, 0x4000c
	s_bfe_u32 s7, ttmp6, 0x40010
	s_add_co_i32 s2, s2, 1
	s_and_b32 s3, ttmp6, 15
	s_mul_i32 s2, ttmp9, s2
	s_add_co_i32 s7, s7, 1
	s_add_co_i32 s3, s3, s2
	s_mul_i32 s2, ttmp7, s7
	s_bfe_u32 s7, ttmp6, 0x40004
	s_getreg_b32 s8, hwreg(HW_REG_IB_STS2, 6, 4)
	s_add_co_i32 s7, s7, s2
	s_cmp_eq_u32 s8, 0
	v_bfe_u32 v9, v0, 10, 10
	s_cselect_b32 s7, ttmp7, s7
	v_and_b32_e32 v13, 0x3ff, v0
	s_cselect_b32 s2, ttmp9, s3
	s_lshl_b32 s7, s7, 6
	s_mov_b32 s3, 0
	s_wait_kmcnt 0x0
	s_cmp_gt_i32 s10, 0xff
	s_cbranch_scc1 .LBB151_2
; %bb.1:
	v_bfe_u32 v4, v0, 10, 10
	v_and_b32_e32 v7, 0x3ff, v0
	s_delay_alu instid0(VALU_DEP_2)
	v_add_nc_u32_e32 v10, s7, v4
	s_branch .LBB151_3
.LBB151_2:
	s_mov_b32 s3, -1
                                        ; implicit-def: $vgpr4
                                        ; implicit-def: $vgpr7
                                        ; implicit-def: $vgpr10
.LBB151_3:
	s_load_b64 s[8:9], s[0:1], 0x10
	v_dual_mov_b32 v1, 0 :: v_dual_mov_b32 v6, 0
	v_dual_mov_b32 v14, 0 :: v_dual_mov_b32 v19, 0
	;; [unrolled: 1-line block ×8, first 2 shown]
	s_lshl_b32 s14, s2, 7
	s_and_not1_b32 vcc_lo, exec_lo, s3
	s_mov_b32 s11, 0
	s_cbranch_vccnz .LBB151_11
; %bb.4:
	v_dual_add_nc_u32 v11, s7, v9 :: v_dual_add_nc_u32 v35, 8, v9
	s_add_co_i32 s18, s4, -1
	v_dual_lshlrev_b32 v19, 5, v9 :: v_dual_add_nc_u32 v40, 40, v9
	s_delay_alu instid0(VALU_DEP_2) | instskip(SKIP_3) | instid1(VALU_DEP_3)
	v_dual_add_nc_u32 v1, 8, v11 :: v_dual_add_nc_u32 v8, 16, v11
	v_cvt_f64_i32_e32 v[2:3], s18
	v_cvt_f64_u32_e32 v[4:5], v11
	s_ashr_i32 s2, s10, 31
	v_cvt_f64_u32_e32 v[6:7], v1
	v_dual_add_nc_u32 v1, 24, v11 :: v_dual_add_nc_u32 v10, 32, v11
	v_cvt_f64_u32_e32 v[20:21], v8
	v_dual_add_nc_u32 v8, 40, v11 :: v_dual_add_nc_u32 v12, v19, v13
	s_delay_alu instid0(VALU_DEP_3) | instskip(NEXT) | instid1(VALU_DEP_4)
	v_cvt_f64_u32_e32 v[22:23], v1
	v_cvt_f64_u32_e32 v[24:25], v10
	v_add_nc_u32_e32 v1, 48, v11
	s_delay_alu instid0(VALU_DEP_4)
	v_cvt_f64_u32_e32 v[26:27], v8
	v_add_nc_u32_e32 v8, 56, v11
	s_lshr_b32 s12, s2, 24
	v_dual_add_nc_u32 v37, 24, v9 :: v_dual_add_nc_u32 v38, 32, v9
	v_cvt_f64_u32_e32 v[28:29], v1
	v_lshlrev_b32_e32 v1, 2, v13
	v_cvt_f64_u32_e32 v[30:31], v8
	s_add_co_i32 s10, s10, s12
	v_bfe_u32 v54, v0, 5, 5
	s_ashr_i32 s15, s10, 8
	s_ashr_i32 s10, s5, 31
	s_wait_xcnt 0x0
	s_load_b128 s[0:3], s[0:1], 0x0
	s_lshr_b32 s10, s10, 27
	s_mul_i32 s12, s15, s14
	s_add_co_i32 s5, s5, s10
	s_movk_i32 s10, 0x1080
	s_ashr_i32 s19, s5, 5
	v_add_nc_u32_e32 v42, 48, v9
	s_lshl_b32 s5, s15, 3
	s_movk_i32 s16, 0x2100
	v_min_num_f64_e32 v[4:5], v[4:5], v[2:3]
	s_movk_i32 s17, 0x3180
	v_dual_min_num_f64 v[6:7], v[6:7], v[2:3] :: v_dual_add_nc_u32 v44, 56, v9
	v_mov_b64_e32 v[62:63], 0
	v_min_num_f64_e32 v[32:33], v[20:21], v[2:3]
	v_and_b32_e32 v46, 0x7f, v12
	v_dual_min_num_f64 v[22:23], v[22:23], v[2:3] :: v_dual_lshrrev_b32 v16, 3, v12
	v_dual_min_num_f64 v[24:25], v[24:25], v[2:3] :: v_dual_bitop2_b32 v14, 3, v0 bitop3:0x40
	s_delay_alu instid0(VALU_DEP_2) | instskip(SKIP_1) | instid1(VALU_DEP_3)
	v_dual_min_num_f64 v[26:27], v[26:27], v[2:3] :: v_dual_bitop2_b32 v16, 12, v16 bitop3:0x40
	v_lshlrev_b32_e32 v20, 3, v9
	v_cmp_gt_u32_e32 vcc_lo, 2, v14
	v_mov_b64_e32 v[72:73], 0
	v_min_num_f64_e32 v[28:29], v[28:29], v[2:3]
	v_mov_b64_e32 v[66:67], 0
	v_min_num_f64_e32 v[2:3], v[30:31], v[2:3]
	v_bfe_u32 v30, v0, 2, 8
	v_lshlrev_b32_e32 v18, 2, v46
	v_mov_b64_e32 v[58:59], 0
	v_mov_b64_e32 v[78:79], 0
	;; [unrolled: 1-line block ×4, first 2 shown]
	v_add3_u32 v8, v18, v16, 0x6e40
	v_add_nc_u32_e32 v16, v30, v20
	v_add_nc_u16 v20, v30, v20
	v_and_b32_e32 v18, 4, v1
	v_mov_b64_e32 v[60:61], 0
	v_mov_b64_e32 v[82:83], 0
	v_and_b32_e32 v48, 0x7f, v16
	v_cvt_i32_f64_e32 v30, v[4:5]
	v_lshrrev_b16 v5, 1, v20
	v_cvt_i32_f64_e32 v6, v[6:7]
	v_lshlrev_b32_e32 v4, 2, v14
	v_bitop3_b32 v49, v16, 64, 0x7f bitop3:0x6c
	v_and_b32_e32 v16, 63, v16
	v_and_b32_e32 v5, 60, v5
	v_cvt_i32_f64_e32 v7, v[32:33]
	v_cvt_i32_f64_e32 v20, v[22:23]
	v_dual_add_nc_u32 v32, 32, v13 :: v_dual_add_nc_u32 v33, 64, v13
	v_cvt_i32_f64_e32 v22, v[24:25]
	v_lshl_or_b32 v24, v48, 4, v4
	v_or_b32_e32 v31, s7, v16
	s_delay_alu instid0(VALU_DEP_4) | instskip(SKIP_1) | instid1(VALU_DEP_4)
	v_dual_lshrrev_b32 v105, 3, v32 :: v_dual_lshlrev_b32 v138, 4, v32
	v_lshlrev_b32_e32 v139, 4, v33
	v_add3_u32 v5, v24, v5, 0x6200
	scratch_store_b32 off, v8, off offset:8 ; 4-byte Folded Spill
	v_cvt_i32_f64_e32 v3, v[2:3]
	v_mov_b64_e32 v[80:81], 0
	v_mov_b64_e32 v[76:77], 0
	v_mov_b64_e32 v[70:71], 0
	s_ashr_i32 s13, s12, 31
	v_and_b32_e32 v10, 0x7c, v1
	v_mad_u32_u24 v17, 0x84, v9, v1
	v_dual_lshlrev_b32 v134, 5, v38 :: v_dual_lshlrev_b32 v135, 5, v40
	v_mul_u32_u24_e32 v144, 0x84, v13
	v_mad_u32_u24 v145, 0x84, v13, s10
	v_mad_u32_u24 v146, 0x84, v13, s16
	;; [unrolled: 1-line block ×3, first 2 shown]
	v_mul_lo_u32 v41, s19, v30
	s_mul_u64 s[12:13], s[12:13], 0x90
	v_mul_lo_u32 v43, s19, v6
	v_lshlrev_b32_e32 v6, 7, v35
	v_min_i32_e32 v24, s18, v31
	s_wait_kmcnt 0x0
	s_add_nc_u64 s[0:1], s[0:1], s[12:13]
	s_mov_b32 s10, s11
	v_add_nc_u32_e32 v36, 16, v9
	v_mul_lo_u32 v47, s19, v20
	s_wait_xcnt 0x0
	v_mad_u32 v8, v24, s19, v14
	s_clause 0x1
	scratch_store_b32 off, v5, off offset:12
	scratch_store_b32 off, v11, off offset:160
	s_wait_xcnt 0x0
	v_dual_mov_b32 v11, 0 :: v_dual_add_nc_u32 v12, 0xfe, v14
	v_lshlrev_b32_e32 v24, 7, v9
	v_lshl_or_b32 v16, v16, 4, v4
	v_add_nc_u32_e32 v50, 0x60, v13
	v_lshrrev_b32_e32 v25, 1, v49
	v_and_b32_e32 v12, 0xff, v12
	v_mul_lo_u32 v103, s19, v3
	scratch_store_b32 off, v8, off offset:20 ; 4-byte Folded Spill
	v_dual_lshrrev_b32 v3, 3, v33 :: v_dual_lshlrev_b32 v131, 5, v35
	v_dual_lshlrev_b32 v132, 5, v36 :: v_dual_cndmask_b32 v12, v12, v14, vcc_lo
	v_cmp_ne_u32_e32 vcc_lo, 0, v14
	v_dual_mov_b32 v35, v11 :: v_dual_lshlrev_b32 v20, 7, v37
	s_delay_alu instid0(VALU_DEP_4) | instskip(NEXT) | instid1(VALU_DEP_4)
	v_dual_lshrrev_b32 v56, 3, v50 :: v_dual_bitop2_b32 v55, 60, v3 bitop3:0x40
	v_add_co_ci_u32_e64 v34, null, 0, v12, vcc_lo
	v_cmp_lt_u32_e32 vcc_lo, 1, v14
	v_mul_lo_u32 v45, s19, v7
	v_lshlrev_b32_e32 v7, 7, v36
	v_mul_lo_u32 v51, s19, v22
	v_dual_lshlrev_b32 v22, 7, v38 :: v_dual_lshlrev_b32 v30, 7, v40
	v_cndmask_b32_e32 v23, 0, v18, vcc_lo
	v_cvt_i32_f64_e32 v18, v[26:27]
	v_cvt_i32_f64_e32 v26, v[28:29]
	v_lshl_or_b32 v28, v49, 4, v4
	v_dual_lshlrev_b32 v25, 1, v12 :: v_dual_bitop2_b32 v29, 60, v25 bitop3:0x40
	v_and_b32_e32 v4, 28, v1
	v_and_b32_e32 v12, 31, v0
	v_cndmask_b32_e64 v2, 0, 1, vcc_lo
	s_delay_alu instid0(VALU_DEP_4)
	v_add3_u32 v5, v28, v29, 0x6200
	v_lshlrev_b32_e32 v53, 2, v54
	v_add3_u32 v129, v1, v55, 0x6e40
	v_lshl_or_b32 v28, v12, 2, 0x4200
	v_mad_i32_i24 v12, s15, v9, s5
	v_add_nc_u32_e32 v39, 0x6a40, v16
	v_dual_lshlrev_b32 v36, 2, v2 :: v_dual_lshlrev_b32 v141, 2, v1
	s_delay_alu instid0(VALU_DEP_4)
	v_dual_add_nc_u32 v107, v28, v24 :: v_dual_add_nc_u32 v120, v28, v7
	s_wait_xcnt 0x0
	v_mov_b32_e32 v8, v12
	v_dual_add_nc_u32 v121, v28, v20 :: v_dual_add_nc_u32 v122, v28, v22
	v_add_nc_u32_e32 v12, s5, v12
	v_lshlrev_b32_e32 v52, 7, v44
	s_clause 0x1
	scratch_store_b64 off, v[8:9], off offset:24
	scratch_store_b32 off, v13, off offset:156
	v_add_nc_u32_e32 v109, v28, v6
	s_wait_xcnt 0x1
	v_dual_mov_b32 v8, v12 :: v_dual_add_nc_u32 v12, s5, v12
	v_dual_add_nc_u32 v123, v28, v30 :: v_dual_add_nc_u32 v125, v28, v52
	v_lshlrev_b32_e32 v133, 5, v37
	scratch_store_b64 off, v[8:9], off offset:32 ; 8-byte Folded Spill
	s_wait_xcnt 0x0
	v_mov_b32_e32 v8, v54
	v_mul_lo_u32 v85, s19, v26
	v_lshlrev_b32_e32 v26, 7, v42
	scratch_store_b32 off, v5, off offset:16 ; 4-byte Folded Spill
	s_wait_xcnt 0x0
	v_mov_b32_e32 v5, v11
	scratch_store_b64 off, v[8:9], off      ; 8-byte Folded Spill
	s_wait_xcnt 0x0
	v_dual_mov_b32 v8, v12 :: v_dual_bitop2_b32 v54, 60, v105 bitop3:0x40
	v_mul_lo_u32 v65, s19, v18
	v_add3_u32 v127, v53, v1, 0x6e40
	v_add_nc_u64_e32 v[32:33], s[2:3], v[4:5]
	scratch_store_b64 off, v[8:9], off offset:40 ; 8-byte Folded Spill
	s_wait_xcnt 0x0
	v_add_nc_u32_e32 v8, s5, v12
	v_add3_u32 v128, v1, v54, 0x6e40
	v_mov_b64_e32 v[52:53], 0
	v_mov_b64_e32 v[54:55], 0
	s_delay_alu instid0(VALU_DEP_4)
	v_dual_mov_b32 v6, v8 :: v_dual_lshlrev_b32 v137, 5, v44
	v_dual_add_nc_u32 v8, s5, v8 :: v_dual_add_nc_u32 v124, v28, v26
	v_dual_mov_b32 v37, v11 :: v_dual_lshlrev_b32 v142, 2, v3
	scratch_store_b64 off, v[6:7], off offset:48 ; 8-byte Folded Spill
	s_wait_xcnt 0x0
	v_dual_mov_b32 v6, v8 :: v_dual_add_nc_u32 v8, s5, v8
	v_lshlrev_b32_e32 v149, 2, v105
	scratch_store_b64 off, v[6:7], off offset:56 ; 8-byte Folded Spill
	s_wait_xcnt 0x0
	v_and_b32_e32 v6, 60, v56
	v_bfe_u32 v7, v0, 3, 7
	v_dual_mov_b32 v0, v8 :: v_dual_add_nc_u32 v8, s5, v8
	s_delay_alu instid0(VALU_DEP_3) | instskip(NEXT) | instid1(VALU_DEP_3)
	v_add3_u32 v130, v1, v6, 0x6e40
	v_lshlrev_b32_e32 v148, 2, v7
	s_clause 0x1
	scratch_store_b64 off, v[0:1], off offset:64
	scratch_store_b32 off, v7, off offset:72
	s_wait_xcnt 0x1
	v_dual_mov_b32 v0, v8 :: v_dual_add_nc_u32 v6, s5, v8
	v_lshlrev_b32_e32 v136, 5, v42
	scratch_store_b64 off, v[0:1], off offset:76 ; 8-byte Folded Spill
	s_wait_xcnt 0x0
	v_dual_mov_b32 v0, v6 :: v_dual_add_nc_u32 v6, s5, v6
	v_lshlrev_b32_e32 v140, 4, v50
	scratch_store_b64 off, v[0:1], off offset:84 ; 8-byte Folded Spill
	;; [unrolled: 4-line block ×3, first 2 shown]
	s_wait_xcnt 0x0
	v_dual_mov_b32 v0, v6 :: v_dual_add_nc_u32 v2, s5, v6
	v_lshlrev_b32_e32 v143, 2, v56
	v_mov_b64_e32 v[56:57], 0
	scratch_store_b64 off, v[0:1], off offset:100 ; 8-byte Folded Spill
	s_wait_xcnt 0x0
	v_dual_mov_b32 v0, v2 :: v_dual_add_nc_u32 v2, s5, v2
	scratch_store_b64 off, v[0:1], off offset:108 ; 8-byte Folded Spill
	s_wait_xcnt 0x0
	v_mul_i32_i24_e32 v0, s15, v46
	v_add_nc_u32_e32 v50, s5, v2
	scratch_store_b64 off, v[0:1], off offset:124 ; 8-byte Folded Spill
	s_wait_xcnt 0x0
	v_mul_i32_i24_e32 v0, s15, v48
	v_add_nc_u32_e32 v64, s5, v50
	scratch_store_b64 off, v[0:1], off offset:132 ; 8-byte Folded Spill
	s_wait_xcnt 0x0
	v_mul_i32_i24_e32 v0, s15, v49
	v_mov_b64_e32 v[48:49], 0
	scratch_store_b64 off, v[0:1], off offset:140 ; 8-byte Folded Spill
	s_wait_xcnt 0x0
	v_mov_b32_e32 v0, v2
	scratch_store_b64 off, v[0:1], off offset:116 ; 8-byte Folded Spill
	s_wait_xcnt 0x0
	v_add_nc_u32_e32 v0, s5, v64
	scratch_store_b64 off, v[0:1], off offset:148 ; 8-byte Folded Spill
.LBB151_5:                              ; =>This Loop Header: Depth=1
                                        ;     Child Loop BB151_6 Depth 2
                                        ;     Child Loop BB151_8 Depth 2
	s_clause 0x3
	scratch_load_b64 v[0:1], off, off
	scratch_load_b64 v[2:3], off, off offset:132
	scratch_load_b64 v[6:7], off, off offset:24
	;; [unrolled: 1-line block ×3, first 2 shown]
	s_mul_u64 s[12:13], s[10:11], 0x90
	v_mul_i32_i24_e32 v4, s15, v9
	s_add_nc_u64 s[12:13], s[0:1], s[12:13]
	s_lshl_b32 s5, s10, 3
	s_mov_b32 s16, 0
	s_wait_loadcnt 0x3
	v_mad_nc_u64_u32 v[0:1], 0x90, v0, s[12:13]
	s_wait_loadcnt 0x2
	v_mad_nc_u64_u32 v[2:3], 0x90, v2, s[12:13]
	s_wait_loadcnt 0x0
	s_delay_alu instid0(VALU_DEP_2)
	v_mad_nc_u64_u32 v[86:87], 0x90, v12, v[0:1]
	scratch_load_b64 v[12:13], off, off offset:40 ; 8-byte Folded Reload
	v_mad_nc_u64_u32 v[4:5], 0x90, v4, v[0:1]
	v_mad_nc_u64_u32 v[6:7], 0x90, v6, v[0:1]
	;; [unrolled: 1-line block ×3, first 2 shown]
	v_add_nc_u64_e32 v[86:87], v[86:87], v[10:11]
	s_delay_alu instid0(VALU_DEP_4) | instskip(NEXT) | instid1(VALU_DEP_4)
	v_add_nc_u64_e32 v[4:5], v[4:5], v[10:11]
	v_add_nc_u64_e32 v[6:7], v[6:7], v[10:11]
	s_wait_loadcnt 0x0
	v_mad_nc_u64_u32 v[88:89], 0x90, v12, v[0:1]
	scratch_load_b64 v[12:13], off, off offset:48 ; 8-byte Folded Reload
	v_add_nc_u64_e32 v[88:89], v[88:89], v[10:11]
	s_wait_loadcnt 0x0
	v_mad_nc_u64_u32 v[90:91], 0x90, v12, v[0:1]
	scratch_load_b64 v[12:13], off, off offset:56 ; 8-byte Folded Reload
	;; [unrolled: 4-line block ×6, first 2 shown]
	s_wait_loadcnt 0x0
	v_mad_nc_u64_u32 v[100:101], 0x90, v12, v[0:1]
	scratch_load_b64 v[12:13], off, off offset:100 ; 8-byte Folded Reload
	s_wait_loadcnt 0x0
	v_mad_nc_u64_u32 v[110:111], 0x90, v12, v[0:1]
	scratch_load_b64 v[12:13], off, off offset:108 ; 8-byte Folded Reload
	;; [unrolled: 3-line block ×3, first 2 shown]
	s_clause 0x7
	global_load_b32 v102, v[4:5], off offset:16
	global_load_b32 v104, v[6:7], off offset:16
	;; [unrolled: 1-line block ×8, first 2 shown]
                                        ; kill: killed $vgpr86_vgpr87
                                        ; kill: killed $vgpr92_vgpr93
                                        ; kill: killed $vgpr6_vgpr7
                                        ; kill: killed $vgpr90_vgpr91
                                        ; kill: killed $vgpr96_vgpr97
                                        ; kill: killed $vgpr4_vgpr5
                                        ; kill: killed $vgpr88_vgpr89
                                        ; kill: killed $vgpr94_vgpr95
	scratch_load_b64 v[4:5], off, off offset:140 ; 8-byte Folded Reload
	s_wait_xcnt 0x7
	v_add_nc_u64_e32 v[6:7], v[98:99], v[10:11]
	s_wait_xcnt 0x6
	v_mad_nc_u64_u32 v[86:87], 0x90, v64, v[0:1]
	v_add_nc_u64_e32 v[98:99], v[2:3], v[34:35]
	v_add_nc_u64_e32 v[2:3], v[2:3], v[36:37]
	s_wait_xcnt 0x5
	v_add_nc_u64_e32 v[88:89], v[100:101], v[10:11]
	s_wait_xcnt 0x4
	;; [unrolled: 2-line block ×3, first 2 shown]
	v_add_nc_u64_e32 v[96:97], v[116:117], v[10:11]
	v_add_nc_u64_e32 v[92:93], v[112:113], v[10:11]
	;; [unrolled: 1-line block ×3, first 2 shown]
	s_wait_loadcnt 0x9
	v_mad_nc_u64_u32 v[114:115], 0x90, v12, v[0:1]
	scratch_load_b64 v[12:13], off, off offset:148 ; 8-byte Folded Reload
	s_wait_loadcnt 0x1
	v_mad_nc_u64_u32 v[4:5], 0x90, v4, s[12:13]
	v_add_nc_u64_e32 v[94:95], v[114:115], v[10:11]
	s_delay_alu instid0(VALU_DEP_2)
	v_add_nc_u64_e32 v[100:101], v[4:5], v[34:35]
	v_add_nc_u64_e32 v[4:5], v[4:5], v[36:37]
	s_clause 0x3
	global_load_b32 v110, v[98:99], off offset:4
	global_load_b32 v111, v[2:3], off offset:4
	;; [unrolled: 1-line block ×4, first 2 shown]
                                        ; kill: killed $vgpr98_vgpr99
                                        ; kill: killed $vgpr4_vgpr5
                                        ; kill: killed $vgpr100_vgpr101
                                        ; kill: killed $vgpr2_vgpr3
	scratch_load_b32 v2, off, off offset:72 ; 4-byte Folded Reload
	s_wait_loadcnt 0x5
	v_mad_nc_u64_u32 v[0:1], 0x90, v12, v[0:1]
	s_delay_alu instid0(VALU_DEP_1)
	v_add_nc_u64_e32 v[0:1], v[0:1], v[10:11]
	s_clause 0x7
	global_load_b32 v100, v[6:7], off offset:16
	global_load_b32 v101, v[88:89], off offset:16
	;; [unrolled: 1-line block ×8, first 2 shown]
	s_clause 0x1
	scratch_load_b64 v[0:1], off, off offset:124
	scratch_load_b32 v3, off, off offset:20
	s_wait_loadcnt 0xa
	v_add_nc_u32_e32 v98, s5, v2
	s_wait_loadcnt 0x1
	v_mad_nc_u64_u32 v[0:1], 0x90, v0, s[12:13]
	s_wait_loadcnt 0x0
	s_delay_alu instid0(VALU_DEP_2) | instskip(SKIP_3) | instid1(VALU_DEP_4)
	v_dual_add_nc_u32 v95, s5, v3 :: v_dual_add_nc_u32 v4, v98, v45
	v_dual_add_nc_u32 v92, v98, v43 :: v_dual_add_nc_u32 v6, v98, v65
	;; [unrolled: 1-line block ×3, first 2 shown]
	v_add_nc_u32_e32 v88, v98, v47
	v_mad_nc_i64_i32 v[4:5], v4, 36, v[32:33]
	s_delay_alu instid0(VALU_DEP_4) | instskip(SKIP_4) | instid1(VALU_DEP_4)
	v_mad_nc_i64_i32 v[6:7], v6, 36, v[32:33]
	v_dual_add_nc_u32 v90, v98, v85 :: v_dual_add_nc_u32 v98, v98, v103
	v_mad_nc_u64_u32 v[86:87], v95, 36, s[2:3]
	v_mad_nc_i64_i32 v[2:3], v2, 36, v[32:33]
	v_mad_nc_i64_i32 v[88:89], v88, 36, v[32:33]
	;; [unrolled: 1-line block ×6, first 2 shown]
	s_clause 0x2
	global_load_b32 v94, v[4:5], off offset:4
	global_load_b32 v154, v[6:7], off offset:4
	global_load_b32 v155, v[86:87], off
	global_load_b32 v156, v[0:1], off
	s_clause 0x5
	global_load_b32 v157, v[2:3], off offset:4
	global_load_b32 v158, v[88:89], off offset:4
	global_load_b32 v159, v[90:91], off offset:4
	global_load_b32 v160, v[92:93], off offset:4
	global_load_b32 v161, v[96:97], off offset:4
	global_load_b32 v162, v[98:99], off offset:4
	s_wait_xcnt 0x6
	v_dual_ashrrev_i32 v0, v23, v110 :: v_dual_ashrrev_i32 v1, v23, v112
	s_wait_xcnt 0x5
	v_dual_ashrrev_i32 v2, v25, v111 :: v_dual_ashrrev_i32 v3, v25, v113
	s_mov_b32 s12, -1
	s_delay_alu instid0(VALU_DEP_2) | instskip(SKIP_1) | instid1(VALU_DEP_2)
	v_and_b32_e32 v0, 0xf0f0f0f, v0
	v_and_b32_e32 v1, 0xf0f0f0f, v1
	v_and_or_b32 v0, 0x30303030, v2, v0
	v_add_nc_u32_e32 v2, 0x420, v17
	ds_store_b32 v17, v102
	v_and_or_b32 v1, 0x30303030, v3, v1
	ds_store_b32 v2, v104
	v_add_nc_u32_e32 v2, 0x840, v17
	ds_store_b32 v2, v106
	v_add_nc_u32_e32 v2, 0xc60, v17
	;; [unrolled: 2-line block ×14, first 2 shown]
	ds_store_b32 v2, v153
	s_wait_loadcnt 0x9
	ds_store_b32 v120, v94
	s_wait_loadcnt 0x8
	;; [unrolled: 2-line block ×3, first 2 shown]
	ds_store_b32 v39, v155
	scratch_load_b32 v2, off, off offset:8  ; 4-byte Folded Reload
	s_wait_loadcnt 0x0
	ds_store_b32 v2, v156
	scratch_load_b32 v2, off, off offset:12 ; 4-byte Folded Reload
	s_wait_loadcnt 0x0
	ds_store_b32 v2, v0
	ds_store_b32 v107, v157
	;; [unrolled: 1-line block ×4, first 2 shown]
	scratch_load_b32 v0, off, off offset:16 ; 4-byte Folded Reload
	s_wait_loadcnt 0x0
	ds_store_b32 v0, v1
	ds_store_b32 v109, v160
	;; [unrolled: 1-line block ×4, first 2 shown]
	s_wait_storecnt_dscnt 0x0
	s_barrier_signal -1
	s_barrier_wait -1
	ds_load_b32 v1, v127
	ds_load_b32 v3, v128 offset:128
	ds_load_b32 v5, v129 offset:256
	;; [unrolled: 1-line block ×3, first 2 shown]
	s_wait_dscnt 0x3
	v_cvt_f32_f16_e32 v0, v1
	v_lshrrev_b32_e32 v1, 16, v1
	s_wait_dscnt 0x2
	v_cvt_f32_f16_e32 v2, v3
	v_lshrrev_b32_e32 v3, 16, v3
	s_wait_dscnt 0x1
	v_cvt_f32_f16_e32 v4, v5
	s_wait_dscnt 0x0
	v_dual_lshrrev_b32 v5, 16, v5 :: v_dual_lshrrev_b32 v7, 16, v6
	v_cvt_f32_f16_e32 v6, v6
	v_cvt_f32_f16_e32 v86, v1
	s_wait_xcnt 0x7
	v_cvt_f32_f16_e32 v88, v3
	s_wait_xcnt 0x6
	;; [unrolled: 2-line block ×3, first 2 shown]
	v_cvt_f32_f16_e32 v92, v7
	v_dual_mov_b32 v1, v0 :: v_dual_mov_b32 v3, v2
	v_dual_mov_b32 v5, v4 :: v_dual_mov_b32 v7, v6
	;; [unrolled: 1-line block ×3, first 2 shown]
	s_delay_alu instid0(VALU_DEP_4)
	v_dual_mov_b32 v91, v90 :: v_dual_mov_b32 v93, v92
.LBB151_6:                              ;   Parent Loop BB151_5 Depth=1
                                        ; =>  This Inner Loop Header: Depth=2
	s_lshl_b32 s13, s16, 1
	s_lshr_b32 s17, s16, 2
	v_or_b32_e32 v94, s13, v19
	s_lshl_b32 s16, s16, 2
	s_addk_co_i32 s17, 0x6200
	s_and_b32 vcc_lo, exec_lo, s12
	s_mov_b32 s12, 0
	v_lshlrev_b32_e32 v100, 2, v94
	s_wait_xcnt 0x3
	ds_load_b128 v[96:99], v100 offset:16896
	ds_load_b128 v[150:153], v100 offset:16912
	;; [unrolled: 1-line block ×4, first 2 shown]
	s_wait_dscnt 0x3
	s_set_vgpr_msb 64                       ;  msbs: dst=1 src0=0 src1=0 src2=0
	v_dual_ashrrev_i32 v52 /*v308*/, 24, v96 :: v_dual_ashrrev_i32 v63 /*v319*/, 24, v98
	s_set_vgpr_msb 0                        ;  msbs: dst=0 src0=0 src1=0 src2=0
	v_dual_ashrrev_i32 v116, 24, v97 :: v_dual_lshrrev_b32 v94, 1, v94
	s_set_vgpr_msb 64                       ;  msbs: dst=1 src0=0 src1=0 src2=0
	v_bfe_i32 v57 /*v313*/, v98, 0, 8
	v_bfe_i32 v60 /*v316*/, v98, 8, 8
	;; [unrolled: 1-line block ×3, first 2 shown]
	s_wait_dscnt 0x2
	s_set_vgpr_msb 0                        ;  msbs: dst=0 src0=0 src1=0 src2=0
	v_dual_ashrrev_i32 v113, 24, v151 :: v_dual_add_nc_u32 v98, s16, v144
	s_set_vgpr_msb 64                       ;  msbs: dst=1 src0=0 src1=0 src2=0
	v_bfe_i32 v40 /*v296*/, v96, 0, 8
	v_bfe_i32 v47 /*v303*/, v96, 8, 8
	;; [unrolled: 1-line block ×5, first 2 shown]
	s_set_vgpr_msb 0                        ;  msbs: dst=0 src0=0 src1=0 src2=0
	v_bfe_i32 v117, v97, 16, 8
	ds_load_b64 v[110:111], v94 offset:27200
	ds_load_2addr_b32 v[96:97], v98 offset1:1
	ds_load_2addr_b32 v[118:119], v98 offset0:2 offset1:3
	s_set_vgpr_msb 64                       ;  msbs: dst=1 src0=0 src1=0 src2=0
	v_bfe_i32 v78 /*v334*/, v150, 0, 8
	v_bfe_i32 v81 /*v337*/, v150, 8, 8
	;; [unrolled: 1-line block ×3, first 2 shown]
	v_dual_ashrrev_i32 v88 /*v344*/, 24, v150 :: v_dual_ashrrev_i32 v104 /*v360*/, 24, v152
	v_bfe_i32 v91 /*v347*/, v151, 0, 8
	v_bfe_i32 v95 /*v351*/, v151, 8, 8
	s_set_vgpr_msb 0                        ;  msbs: dst=0 src0=0 src1=0 src2=0
	v_bfe_i32 v112, v151, 16, 8
	ds_load_2addr_b32 v[150:151], v98 offset0:4 offset1:5
	s_set_vgpr_msb 64                       ;  msbs: dst=1 src0=0 src1=0 src2=0
	v_bfe_i32 v65 /*v321*/, v99, 0, 8
	v_bfe_i32 v66 /*v322*/, v99, 8, 8
	s_set_vgpr_msb 0                        ;  msbs: dst=0 src0=0 src1=0 src2=0
	v_bfe_i32 v115, v99, 16, 8
	s_wait_dscnt 0x4
	v_dual_ashrrev_i32 v114, 24, v99 :: v_dual_ashrrev_i32 v106, 24, v161
	s_set_vgpr_msb 64                       ;  msbs: dst=1 src0=0 src1=0 src2=0
	v_bfe_i32 v105 /*v361*/, v152, 0, 8
	v_bfe_i32 v106 /*v362*/, v152, 8, 8
	;; [unrolled: 1-line block ×4, first 2 shown]
	s_wait_dscnt 0x2
	v_dual_lshrrev_b32 v77 /*v333*/, 28, v96 :: v_dual_bitop2_b32 v27 /*v283*/, 15, v96 bitop3:0x40
	v_bfe_u32 v26 /*v282*/, v96, 8, 4
	v_bfe_u32 v28 /*v284*/, v96, 16, 4
	;; [unrolled: 1-line block ×3, first 2 shown]
	s_set_vgpr_msb 5                        ;  msbs: dst=0 src0=1 src1=1 src2=0
	v_mul_i32_i24_e32 v99, v27 /*v283*/, v40 /*v296*/
	s_set_vgpr_msb 64                       ;  msbs: dst=1 src0=0 src1=0 src2=0
	v_dual_lshrrev_b32 v87 /*v343*/, 28, v97 :: v_dual_bitop2_b32 v30 /*v286*/, 15, v97 bitop3:0x40
	s_set_vgpr_msb 5                        ;  msbs: dst=0 src0=1 src1=1 src2=0
	v_mul_i32_i24_e32 v100, v28 /*v284*/, v46 /*v302*/
	v_mul_i32_i24_e32 v101, v29 /*v285*/, v52 /*v308*/
	v_mad_i32_i24 v99, v26 /*v282*/, v47 /*v303*/, v99
	s_set_vgpr_msb 64                       ;  msbs: dst=1 src0=0 src1=0 src2=0
	v_bfe_u32 v31 /*v287*/, v97, 8, 4
	v_bfe_u32 v32 /*v288*/, v97, 16, 4
	;; [unrolled: 1-line block ×3, first 2 shown]
	s_wait_dscnt 0x1
	v_dual_lshrrev_b32 v94 /*v350*/, 28, v118 :: v_dual_bitop2_b32 v35 /*v291*/, 15, v118 bitop3:0x40
	s_set_vgpr_msb 0                        ;  msbs: dst=0 src0=0 src1=0 src2=0
	v_add3_u32 v99, v99, v100, v101
	s_set_vgpr_msb 5                        ;  msbs: dst=0 src0=1 src1=1 src2=0
	v_mul_i32_i24_e32 v100, v30 /*v286*/, v48 /*v304*/
	v_mul_i32_i24_e32 v101, v31 /*v287*/, v50 /*v306*/
	s_set_vgpr_msb 1                        ;  msbs: dst=0 src0=1 src1=0 src2=0
	v_mul_i32_i24_e32 v102, v32 /*v288*/, v117
	v_mul_i32_i24_e32 v104, v33 /*v289*/, v116
	s_set_vgpr_msb 64                       ;  msbs: dst=1 src0=0 src1=0 src2=0
	v_bfe_u32 v36 /*v292*/, v118, 8, 4
	v_bfe_u32 v37 /*v293*/, v118, 16, 4
	s_set_vgpr_msb 0                        ;  msbs: dst=0 src0=0 src1=0 src2=0
	v_add3_u32 v99, v99, v101, v100
	s_set_vgpr_msb 5                        ;  msbs: dst=0 src0=1 src1=1 src2=0
	v_mul_i32_i24_e32 v100, v35 /*v291*/, v57 /*v313*/
	s_set_vgpr_msb 64                       ;  msbs: dst=1 src0=0 src1=0 src2=0
	v_bfe_u32 v38 /*v294*/, v118, 24, 4
	s_set_vgpr_msb 5                        ;  msbs: dst=0 src0=1 src1=1 src2=0
	v_mul_i32_i24_e32 v101, v36 /*v292*/, v60 /*v316*/
	s_set_vgpr_msb 64                       ;  msbs: dst=1 src0=0 src1=0 src2=0
	v_dual_lshrrev_b32 v100 /*v356*/, 28, v119 :: v_dual_bitop2_b32 v39 /*v295*/, 15, v119 bitop3:0x40
	s_set_vgpr_msb 0                        ;  msbs: dst=0 src0=0 src1=0 src2=0
	v_add3_u32 v99, v99, v102, v104
	s_set_vgpr_msb 5                        ;  msbs: dst=0 src0=1 src1=1 src2=0
	v_mul_i32_i24_e32 v102, v37 /*v293*/, v61 /*v317*/
	v_mul_i32_i24_e32 v104, v38 /*v294*/, v63 /*v319*/
	s_set_vgpr_msb 64                       ;  msbs: dst=1 src0=0 src1=0 src2=0
	v_bfe_u32 v41 /*v297*/, v119, 8, 4
	v_bfe_u32 v43 /*v299*/, v119, 16, 4
	s_set_vgpr_msb 0                        ;  msbs: dst=0 src0=0 src1=0 src2=0
	v_add3_u32 v99, v99, v101, v100
	s_set_vgpr_msb 5                        ;  msbs: dst=0 src0=1 src1=1 src2=0
	v_mul_i32_i24_e32 v100, v39 /*v295*/, v65 /*v321*/
	s_set_vgpr_msb 64                       ;  msbs: dst=1 src0=0 src1=0 src2=0
	v_bfe_u32 v44 /*v300*/, v119, 24, 4
	s_set_vgpr_msb 5                        ;  msbs: dst=0 src0=1 src1=1 src2=0
	v_mul_i32_i24_e32 v101, v41 /*v297*/, v66 /*v322*/
	s_set_vgpr_msb 64                       ;  msbs: dst=1 src0=0 src1=0 src2=0
	v_bfe_i32 v102 /*v358*/, v153, 8, 8
	s_set_vgpr_msb 0                        ;  msbs: dst=0 src0=0 src1=0 src2=0
	v_add3_u32 v99, v99, v102, v104
	v_bfe_i32 v108, v153, 16, 8
	s_set_vgpr_msb 64                       ;  msbs: dst=1 src0=0 src1=0 src2=0
	v_dual_ashrrev_i32 v34 /*v290*/, 24, v153 :: v_dual_lshrrev_b32 v134 /*v390*/, 16, v110
	s_set_vgpr_msb 1                        ;  msbs: dst=0 src0=1 src1=0 src2=0
	v_mul_i32_i24_e32 v102, v43 /*v299*/, v115
	v_mul_i32_i24_e32 v104, v44 /*v300*/, v114
	s_set_vgpr_msb 0                        ;  msbs: dst=0 src0=0 src1=0 src2=0
	v_add3_u32 v99, v99, v101, v100
	s_wait_dscnt 0x0
	s_set_vgpr_msb 64                       ;  msbs: dst=1 src0=0 src1=0 src2=0
	v_dual_lshrrev_b32 v115 /*v371*/, 28, v150 :: v_dual_bitop2_b32 v49 /*v305*/, 15, v150 bitop3:0x40
	v_bfe_u32 v51 /*v307*/, v150, 8, 4
	s_set_vgpr_msb 0                        ;  msbs: dst=0 src0=0 src1=0 src2=0
	ds_load_2addr_b32 v[152:153], v98 offset0:6 offset1:7
	v_add3_u32 v99, v99, v102, v104
	s_set_vgpr_msb 5                        ;  msbs: dst=0 src0=1 src1=1 src2=0
	v_mul_i32_i24_e32 v100, v49 /*v305*/, v78 /*v334*/
	s_set_vgpr_msb 64                       ;  msbs: dst=1 src0=0 src1=0 src2=0
	v_bfe_u32 v53 /*v309*/, v150, 16, 4
	s_set_vgpr_msb 5                        ;  msbs: dst=0 src0=1 src1=1 src2=0
	v_mul_i32_i24_e32 v101, v51 /*v307*/, v81 /*v337*/
	s_set_vgpr_msb 64                       ;  msbs: dst=1 src0=0 src1=0 src2=0
	v_bfe_u32 v54 /*v310*/, v150, 24, 4
	v_bfe_u32 v55 /*v311*/, v151, 8, 4
	v_dual_lshrrev_b32 v121 /*v377*/, 28, v151 :: v_dual_bitop2_b32 v58 /*v314*/, 15, v151 bitop3:0x40
	s_set_vgpr_msb 5                        ;  msbs: dst=0 src0=1 src1=1 src2=0
	v_mul_i32_i24_e32 v102, v53 /*v309*/, v83 /*v339*/
	v_mul_i32_i24_e32 v104, v54 /*v310*/, v88 /*v344*/
	s_set_vgpr_msb 0                        ;  msbs: dst=0 src0=0 src1=0 src2=0
	v_add3_u32 v99, v99, v101, v100
	s_set_vgpr_msb 5                        ;  msbs: dst=0 src0=1 src1=1 src2=0
	v_mul_i32_i24_e32 v100, v91 /*v347*/, v58 /*v314*/
	v_mul_i32_i24_e32 v101, v95 /*v351*/, v55 /*v311*/
	s_set_vgpr_msb 64                       ;  msbs: dst=1 src0=0 src1=0 src2=0
	v_bfe_u32 v59 /*v315*/, v151, 24, 4
	v_bfe_u32 v62 /*v318*/, v151, 16, 4
	s_set_vgpr_msb 0                        ;  msbs: dst=0 src0=0 src1=0 src2=0
	v_add3_u32 v99, v99, v102, v104
	s_set_vgpr_msb 64                       ;  msbs: dst=1 src0=0 src1=0 src2=0
	v_bfe_i32 v137 /*v393*/, v154, 0, 8
	v_bfe_u32 v73 /*v329*/, v96, 4, 4
	s_set_vgpr_msb 4                        ;  msbs: dst=0 src0=0 src1=1 src2=0
	v_mul_i32_i24_e32 v102, v113, v59 /*v315*/
	v_mul_i32_i24_e32 v104, v112, v62 /*v318*/
	s_set_vgpr_msb 0                        ;  msbs: dst=0 src0=0 src1=0 src2=0
	v_add3_u32 v99, v99, v101, v100
	s_wait_dscnt 0x0
	s_set_vgpr_msb 64                       ;  msbs: dst=1 src0=0 src1=0 src2=0
	v_bfe_u32 v64 /*v320*/, v152, 8, 4
	v_dual_lshrrev_b32 v128 /*v384*/, 28, v152 :: v_dual_bitop2_b32 v67 /*v323*/, 15, v152 bitop3:0x40
	v_bfe_u32 v68 /*v324*/, v152, 24, 4
	s_set_vgpr_msb 0                        ;  msbs: dst=0 src0=0 src1=0 src2=0
	v_add3_u32 v99, v99, v104, v102
	s_set_vgpr_msb 5                        ;  msbs: dst=0 src0=1 src1=1 src2=0
	v_mul_i32_i24_e32 v100, v106 /*v362*/, v64 /*v320*/
	v_mul_i32_i24_e32 v98, v105 /*v361*/, v67 /*v323*/
	s_set_vgpr_msb 64                       ;  msbs: dst=1 src0=0 src1=0 src2=0
	v_bfe_u32 v71 /*v327*/, v152, 16, 4
	s_set_vgpr_msb 5                        ;  msbs: dst=0 src0=1 src1=1 src2=0
	v_mul_i32_i24_e32 v101, v104 /*v360*/, v68 /*v324*/
	s_set_vgpr_msb 64                       ;  msbs: dst=1 src0=0 src1=0 src2=0
	v_bfe_u32 v74 /*v330*/, v153, 8, 4
	v_dual_lshrrev_b32 v133 /*v389*/, 28, v153 :: v_dual_bitop2_b32 v79 /*v335*/, 15, v153 bitop3:0x40
	s_set_vgpr_msb 5                        ;  msbs: dst=0 src0=1 src1=1 src2=0
	v_mul_i32_i24_e32 v102, v103 /*v359*/, v71 /*v327*/
	s_set_vgpr_msb 0                        ;  msbs: dst=0 src0=0 src1=0 src2=0
	v_add3_u32 v98, v99, v100, v98
	s_set_vgpr_msb 5                        ;  msbs: dst=0 src0=1 src1=1 src2=0
	v_mul_i32_i24_e32 v100, v102 /*v358*/, v74 /*v330*/
	v_mul_i32_i24_e32 v99, v101 /*v357*/, v79 /*v335*/
	s_set_vgpr_msb 64                       ;  msbs: dst=1 src0=0 src1=0 src2=0
	v_bfe_u32 v80 /*v336*/, v153, 24, 4
	v_bfe_u32 v84 /*v340*/, v153, 16, 4
	s_set_vgpr_msb 0                        ;  msbs: dst=0 src0=0 src1=0 src2=0
	v_add3_u32 v98, v98, v102, v101
	s_set_vgpr_msb 64                       ;  msbs: dst=1 src0=0 src1=0 src2=0
	v_bfe_i32 v136 /*v392*/, v154, 8, 8
	v_bfe_i32 v162 /*v418*/, v154, 16, 8
	v_dual_ashrrev_i32 v163 /*v419*/, 24, v154 :: v_dual_ashrrev_i32 v161 /*v417*/, 24, v155
	s_set_vgpr_msb 5                        ;  msbs: dst=0 src0=1 src1=1 src2=0
	v_mul_i32_i24_e32 v101, v34 /*v290*/, v80 /*v336*/
	s_set_vgpr_msb 4                        ;  msbs: dst=0 src0=0 src1=1 src2=0
	v_mul_i32_i24_e32 v102, v108, v84 /*v340*/
	s_set_vgpr_msb 0                        ;  msbs: dst=0 src0=0 src1=0 src2=0
	v_add3_u32 v98, v98, v100, v99
	s_set_vgpr_msb 64                       ;  msbs: dst=1 src0=0 src1=0 src2=0
	v_bfe_u32 v70 /*v326*/, v96, 20, 4
	s_set_vgpr_msb 5                        ;  msbs: dst=0 src0=1 src1=1 src2=0
	v_mul_i32_i24_e32 v100, v73 /*v329*/, v137 /*v393*/
	s_set_vgpr_msb 64                       ;  msbs: dst=1 src0=0 src1=0 src2=0
	v_bfe_u32 v72 /*v328*/, v96, 12, 4
	v_bfe_i32 v138 /*v394*/, v155, 0, 8
	v_bfe_i32 v139 /*v395*/, v155, 8, 8
	v_add3_u32 v167 /*v423*/, v98, v102, v101
	s_set_vgpr_msb 5                        ;  msbs: dst=0 src0=1 src1=1 src2=0
	v_mul_i32_i24_e32 v102, v70 /*v326*/, v162 /*v418*/
	v_mul_i32_i24_e32 v96, v77 /*v333*/, v163 /*v419*/
	v_mad_i32_i24 v100, v72 /*v328*/, v136 /*v392*/, v100
	s_set_vgpr_msb 64                       ;  msbs: dst=1 src0=0 src1=0 src2=0
	v_bfe_u32 v82 /*v338*/, v97, 4, 4
	v_bfe_u32 v85 /*v341*/, v97, 12, 4
	v_bfe_i32 v140 /*v396*/, v155, 16, 8
	v_bfe_u32 v75 /*v331*/, v97, 20, 4
	s_set_vgpr_msb 0                        ;  msbs: dst=0 src0=0 src1=0 src2=0
	v_add3_u32 v96, v100, v102, v96
	s_set_vgpr_msb 5                        ;  msbs: dst=0 src0=1 src1=1 src2=0
	v_mul_i32_i24_e32 v100, v82 /*v338*/, v138 /*v394*/
	v_mul_i32_i24_e32 v102, v85 /*v341*/, v139 /*v395*/
	s_set_vgpr_msb 64                       ;  msbs: dst=1 src0=0 src1=0 src2=0
	v_bfe_i32 v141 /*v397*/, v156, 0, 8
	v_bfe_i32 v142 /*v398*/, v156, 8, 8
	s_set_vgpr_msb 5                        ;  msbs: dst=0 src0=1 src1=1 src2=0
	v_mul_i32_i24_e32 v104, v75 /*v331*/, v140 /*v396*/
	v_mul_i32_i24_e32 v97, v87 /*v343*/, v161 /*v417*/
	s_set_vgpr_msb 64                       ;  msbs: dst=1 src0=0 src1=0 src2=0
	v_bfe_u32 v89 /*v345*/, v118, 4, 4
	v_bfe_u32 v92 /*v348*/, v118, 12, 4
	s_set_vgpr_msb 0                        ;  msbs: dst=0 src0=0 src1=0 src2=0
	v_add3_u32 v96, v96, v100, v102
	s_set_vgpr_msb 64                       ;  msbs: dst=1 src0=0 src1=0 src2=0
	v_bfe_i32 v143 /*v399*/, v156, 16, 8
	v_dual_ashrrev_i32 v160 /*v416*/, 24, v156 :: v_dual_ashrrev_i32 v159 /*v415*/, 24, v157
	v_bfe_u32 v86 /*v342*/, v118, 20, 4
	s_set_vgpr_msb 5                        ;  msbs: dst=0 src0=1 src1=1 src2=0
	v_mul_i32_i24_e32 v154, v89 /*v345*/, v141 /*v397*/
	v_mul_i32_i24_e32 v155, v92 /*v348*/, v142 /*v398*/
	s_set_vgpr_msb 0                        ;  msbs: dst=0 src0=0 src1=0 src2=0
	v_add3_u32 v96, v96, v104, v97
	s_set_vgpr_msb 64                       ;  msbs: dst=1 src0=0 src1=0 src2=0
	v_bfe_i32 v144 /*v400*/, v157, 0, 8
	v_bfe_i32 v145 /*v401*/, v157, 8, 8
	s_set_vgpr_msb 5                        ;  msbs: dst=0 src0=1 src1=1 src2=0
	v_mul_i32_i24_e32 v156, v86 /*v342*/, v143 /*v399*/
	v_mul_i32_i24_e32 v118, v94 /*v350*/, v160 /*v416*/
	s_set_vgpr_msb 64                       ;  msbs: dst=1 src0=0 src1=0 src2=0
	v_bfe_u32 v96 /*v352*/, v119, 4, 4
	v_bfe_u32 v97 /*v353*/, v119, 12, 4
	s_set_vgpr_msb 0                        ;  msbs: dst=0 src0=0 src1=0 src2=0
	v_add3_u32 v96, v96, v154, v155
	s_set_vgpr_msb 64                       ;  msbs: dst=1 src0=0 src1=0 src2=0
	v_bfe_i32 v146 /*v402*/, v157, 16, 8
	v_bfe_i32 v147 /*v403*/, v158, 0, 8
	;; [unrolled: 1-line block ×4, first 2 shown]
	v_dual_ashrrev_i32 v158 /*v414*/, 24, v158 :: v_dual_ashrrev_i32 v157 /*v413*/, 24, v159
	v_bfe_u32 v93 /*v349*/, v119, 20, 4
	s_set_vgpr_msb 5                        ;  msbs: dst=0 src0=1 src1=1 src2=0
	v_mul_i32_i24_e32 v157, v96 /*v352*/, v144 /*v400*/
	v_mul_i32_i24_e32 v158, v97 /*v353*/, v145 /*v401*/
	s_set_vgpr_msb 0                        ;  msbs: dst=0 src0=0 src1=0 src2=0
	v_add3_u32 v96, v96, v156, v118
	s_set_vgpr_msb 64                       ;  msbs: dst=1 src0=0 src1=0 src2=0
	v_bfe_i32 v150 /*v406*/, v159, 0, 8
	v_bfe_i32 v151 /*v407*/, v159, 8, 8
	;; [unrolled: 1-line block ×3, first 2 shown]
	s_set_vgpr_msb 5                        ;  msbs: dst=0 src0=1 src1=1 src2=0
	v_mul_i32_i24_e32 v159, v93 /*v349*/, v146 /*v402*/
	v_mul_i32_i24_e32 v119, v100 /*v356*/, v159 /*v415*/
	s_set_vgpr_msb 64                       ;  msbs: dst=1 src0=0 src1=0 src2=0
	v_bfe_u32 v110 /*v366*/, v150, 4, 4
	v_bfe_u32 v112 /*v368*/, v150, 12, 4
	s_set_vgpr_msb 0                        ;  msbs: dst=0 src0=0 src1=0 src2=0
	v_add3_u32 v96, v96, v157, v158
	s_set_vgpr_msb 64                       ;  msbs: dst=1 src0=0 src1=0 src2=0
	v_bfe_i32 v153 /*v409*/, v160, 0, 8
	v_bfe_i32 v154 /*v410*/, v160, 8, 8
	;; [unrolled: 1-line block ×3, first 2 shown]
	v_dual_ashrrev_i32 v156 /*v412*/, 24, v160 :: v_dual_lshrrev_b32 v135 /*v391*/, 16, v111
	v_bfe_i32 v116 /*v372*/, v161, 0, 8
	v_bfe_i32 v25 /*v281*/, v161, 8, 8
	;; [unrolled: 1-line block ×3, first 2 shown]
	v_bfe_u32 v98 /*v354*/, v150, 20, 4
	s_set_vgpr_msb 5                        ;  msbs: dst=0 src0=1 src1=1 src2=0
	v_mul_i32_i24_e32 v160, v110 /*v366*/, v147 /*v403*/
	v_mul_i32_i24_e32 v161, v112 /*v368*/, v148 /*v404*/
	s_set_vgpr_msb 0                        ;  msbs: dst=0 src0=0 src1=0 src2=0
	v_add3_u32 v96, v96, v159, v119
	s_set_vgpr_msb 5                        ;  msbs: dst=0 src0=1 src1=1 src2=0
	v_mul_i32_i24_e32 v150, v115 /*v371*/, v158 /*v414*/
	v_mul_i32_i24_e32 v162, v98 /*v354*/, v149 /*v405*/
	s_set_vgpr_msb 64                       ;  msbs: dst=1 src0=0 src1=0 src2=0
	v_bfe_u32 v117 /*v373*/, v151, 4, 4
	v_bfe_u32 v118 /*v374*/, v151, 12, 4
	s_set_vgpr_msb 0                        ;  msbs: dst=0 src0=0 src1=0 src2=0
	v_add3_u32 v96, v96, v160, v161
	s_set_vgpr_msb 64                       ;  msbs: dst=1 src0=0 src1=0 src2=0
	v_bfe_u32 v124 /*v380*/, v151, 20, 4
	s_set_vgpr_msb 5                        ;  msbs: dst=0 src0=1 src1=1 src2=0
	v_mul_i32_i24_e32 v151, v157 /*v413*/, v121 /*v377*/
	v_mul_i32_i24_e32 v164, v150 /*v406*/, v117 /*v373*/
	;; [unrolled: 1-line block ×3, first 2 shown]
	s_set_vgpr_msb 0                        ;  msbs: dst=0 src0=0 src1=0 src2=0
	v_add3_u32 v96, v96, v162, v150
	s_set_vgpr_msb 5                        ;  msbs: dst=0 src0=1 src1=1 src2=0
	v_mul_i32_i24_e32 v165, v152 /*v408*/, v124 /*v380*/
	s_set_vgpr_msb 64                       ;  msbs: dst=1 src0=0 src1=0 src2=0
	v_bfe_u32 v125 /*v381*/, v152, 4, 4
	v_bfe_u32 v126 /*v382*/, v152, 12, 4
	;; [unrolled: 1-line block ×3, first 2 shown]
	s_set_vgpr_msb 0                        ;  msbs: dst=0 src0=0 src1=0 src2=0
	v_add3_u32 v96, v96, v164, v163
	s_set_vgpr_msb 5                        ;  msbs: dst=0 src0=1 src1=1 src2=0
	v_mul_i32_i24_e32 v152, v156 /*v412*/, v128 /*v384*/
	v_mul_i32_i24_e32 v167, v153 /*v409*/, v125 /*v381*/
	;; [unrolled: 1-line block ×4, first 2 shown]
	s_set_vgpr_msb 0                        ;  msbs: dst=0 src0=0 src1=0 src2=0
	v_add3_u32 v96, v96, v165, v151
	s_set_vgpr_msb 64                       ;  msbs: dst=1 src0=0 src1=0 src2=0
	v_bfe_u32 v131 /*v387*/, v153, 4, 4
	v_bfe_u32 v132 /*v388*/, v153, 12, 4
	s_set_vgpr_msb 0                        ;  msbs: dst=0 src0=0 src1=0 src2=0
	v_add3_u32 v94, s17, v148, v141
	v_add_nc_u32_e32 v102, s16, v145
	v_add3_u32 v96, v96, v167, v166
	s_set_vgpr_msb 5                        ;  msbs: dst=0 src0=1 src1=1 src2=0
	v_mul_i32_i24_e32 v169, v131 /*v387*/, v116 /*v372*/
	v_mul_i32_i24_e32 v170, v132 /*v388*/, v25 /*v281*/
	s_set_vgpr_msb 0                        ;  msbs: dst=0 src0=0 src1=0 src2=0
	ds_load_u16 v98, v94
	ds_load_u16 v94, v94 offset:8
	s_set_vgpr_msb 64                       ;  msbs: dst=1 src0=0 src1=0 src2=0
	v_bfe_u32 v129 /*v385*/, v153, 20, 4
	s_set_vgpr_msb 0                        ;  msbs: dst=0 src0=0 src1=0 src2=0
	v_add3_u32 v96, v96, v168, v152
	s_set_vgpr_msb 0x41                     ;  msbs: dst=1 src0=1 src1=0 src2=0
	v_mul_i32_i24_e32 v165 /*v421*/, v133 /*v389*/, v106
	s_set_vgpr_msb 0x45                     ;  msbs: dst=1 src0=1 src1=1 src2=0
	v_mul_i32_i24_e32 v164 /*v420*/, v129 /*v385*/, v120 /*v376*/
	s_set_vgpr_msb 64                       ;  msbs: dst=1 src0=0 src1=0 src2=0
	v_add3_u32 v166 /*v422*/, v96, v169, v170
	s_set_vgpr_msb 0                        ;  msbs: dst=0 src0=0 src1=0 src2=0
	ds_load_2addr_b32 v[96:97], v102 offset1:1
	s_wait_dscnt 0x2
	v_lshrrev_b16 v99, 8, v98
	v_and_b32_e32 v101, 0xff, v98
	s_wait_dscnt 0x1
	v_cvt_f32_ubyte0_e32 v98, v94
	v_cvt_f32_ubyte1_e32 v100, v94
	v_add3_u32 v94, s17, v149, v138
	v_and_b32_e32 v99, 0xffff, v99
	s_wait_dscnt 0x0
	v_and_b32_e32 v218, 15, v96
	v_bfe_u32 v217, v96, 8, 4
	v_bfe_u32 v219, v96, 16, 4
	;; [unrolled: 1-line block ×3, first 2 shown]
	v_dual_lshrrev_b32 v250, 28, v96 :: v_dual_bitop2_b32 v221, 15, v97 bitop3:0x40
	s_set_vgpr_msb 4                        ;  msbs: dst=0 src0=0 src1=1 src2=0
	v_mul_i32_i24_e32 v104, v218, v40 /*v296*/
	v_mul_i32_i24_e32 v118, v219, v46 /*v302*/
	;; [unrolled: 1-line block ×3, first 2 shown]
	v_bfe_u32 v222, v97, 8, 4
	v_bfe_u32 v223, v97, 16, 4
	v_mad_i32_i24 v104, v217, v47 /*v303*/, v104
	v_bfe_u32 v224, v97, 24, 4
	v_bfe_u32 v247, v96, 4, 4
	v_bfe_u32 v244, v96, 20, 4
	s_set_vgpr_msb 0                        ;  msbs: dst=0 src0=0 src1=0 src2=0
	v_mul_i32_i24_e32 v150, v223, v117
	v_add3_u32 v104, v104, v118, v119
	s_set_vgpr_msb 4                        ;  msbs: dst=0 src0=0 src1=1 src2=0
	v_mul_i32_i24_e32 v118, v221, v48 /*v304*/
	v_mul_i32_i24_e32 v119, v222, v50 /*v306*/
	s_set_vgpr_msb 0                        ;  msbs: dst=0 src0=0 src1=0 src2=0
	v_mul_i32_i24_e32 v151, v224, v116
	v_bfe_u32 v246, v96, 12, 4
	s_set_vgpr_msb 4                        ;  msbs: dst=0 src0=0 src1=1 src2=0
	v_mul_i32_i24_e32 v96, v250, v163 /*v419*/
	v_bfe_u32 v253, v97, 4, 4
	s_set_vgpr_msb 0                        ;  msbs: dst=0 src0=0 src1=0 src2=0
	v_add3_u32 v104, v104, v119, v118
	ds_load_2addr_b32 v[118:119], v102 offset0:2 offset1:3
	v_bfe_u32 v255, v97, 12, 4
	v_bfe_u32 v249, v97, 20, 4
	s_set_vgpr_msb 64                       ;  msbs: dst=1 src0=0 src1=0 src2=0
	v_lshrrev_b32_e32 v1 /*v257*/, 28, v97
	s_set_vgpr_msb 0                        ;  msbs: dst=0 src0=0 src1=0 src2=0
	v_add3_u32 v104, v104, v150, v151
	s_wait_dscnt 0x0
	v_and_b32_e32 v225, 15, v118
	v_bfe_u32 v226, v118, 8, 4
	v_bfe_u32 v227, v118, 16, 4
	;; [unrolled: 1-line block ×3, first 2 shown]
	v_and_b32_e32 v229, 15, v119
	s_set_vgpr_msb 4                        ;  msbs: dst=0 src0=0 src1=1 src2=0
	v_mul_i32_i24_e32 v150, v225, v57 /*v313*/
	v_mul_i32_i24_e32 v151, v226, v60 /*v316*/
	;; [unrolled: 1-line block ×4, first 2 shown]
	v_bfe_u32 v230, v119, 8, 4
	v_bfe_u32 v231, v119, 16, 4
	s_set_vgpr_msb 0                        ;  msbs: dst=0 src0=0 src1=0 src2=0
	v_add3_u32 v104, v104, v151, v150
	s_set_vgpr_msb 4                        ;  msbs: dst=0 src0=0 src1=1 src2=0
	v_mul_i32_i24_e32 v150, v229, v65 /*v321*/
	v_bfe_u32 v232, v119, 24, 4
	v_mul_i32_i24_e32 v151, v230, v66 /*v322*/
	s_set_vgpr_msb 64                       ;  msbs: dst=1 src0=0 src1=0 src2=0
	v_bfe_u32 v2 /*v258*/, v118, 4, 4
	s_set_vgpr_msb 0                        ;  msbs: dst=0 src0=0 src1=0 src2=0
	v_add3_u32 v104, v104, v152, v153
	v_mul_i32_i24_e32 v152, v231, v115
	v_mul_i32_i24_e32 v153, v232, v114
	s_set_vgpr_msb 64                       ;  msbs: dst=1 src0=0 src1=0 src2=0
	v_bfe_u32 v3 /*v259*/, v118, 12, 4
	v_lshrrev_b32_e32 v5 /*v261*/, 28, v118
	s_set_vgpr_msb 0                        ;  msbs: dst=0 src0=0 src1=0 src2=0
	v_add3_u32 v104, v104, v151, v150
	ds_load_2addr_b32 v[150:151], v102 offset0:4 offset1:5
	s_set_vgpr_msb 5                        ;  msbs: dst=0 src0=1 src1=1 src2=0
	v_mul_i32_i24_e32 v97, v1 /*v257*/, v161 /*v417*/
	s_set_vgpr_msb 64                       ;  msbs: dst=1 src0=0 src1=0 src2=0
	v_bfe_u32 v0 /*v256*/, v118, 20, 4
	s_set_vgpr_msb 5                        ;  msbs: dst=0 src0=1 src1=1 src2=0
	v_mul_i32_i24_e32 v157, v2 /*v258*/, v141 /*v397*/
	s_set_vgpr_msb 0                        ;  msbs: dst=0 src0=0 src1=0 src2=0
	v_add3_u32 v104, v104, v152, v153
	s_set_vgpr_msb 5                        ;  msbs: dst=0 src0=1 src1=1 src2=0
	v_mul_i32_i24_e32 v158, v3 /*v259*/, v142 /*v398*/
	v_mul_i32_i24_e32 v118, v5 /*v261*/, v160 /*v416*/
	;; [unrolled: 1-line block ×3, first 2 shown]
	s_set_vgpr_msb 64                       ;  msbs: dst=1 src0=0 src1=0 src2=0
	v_bfe_u32 v6 /*v262*/, v119, 4, 4
	v_bfe_u32 v7 /*v263*/, v119, 12, 4
	;; [unrolled: 1-line block ×3, first 2 shown]
	v_lshrrev_b32_e32 v9 /*v265*/, 28, v119
	s_set_vgpr_msb 5                        ;  msbs: dst=0 src0=1 src1=1 src2=0
	v_mul_i32_i24_e32 v160, v6 /*v262*/, v144 /*v400*/
	v_mul_i32_i24_e32 v161, v7 /*v263*/, v145 /*v401*/
	;; [unrolled: 1-line block ×3, first 2 shown]
	s_wait_dscnt 0x0
	s_set_vgpr_msb 0                        ;  msbs: dst=0 src0=0 src1=0 src2=0
	v_and_b32_e32 v233, 15, v150
	v_bfe_u32 v234, v150, 8, 4
	v_bfe_u32 v235, v150, 16, 4
	;; [unrolled: 1-line block ×4, first 2 shown]
	s_set_vgpr_msb 4                        ;  msbs: dst=0 src0=0 src1=1 src2=0
	v_mul_i32_i24_e32 v152, v233, v78 /*v334*/
	v_mul_i32_i24_e32 v153, v234, v81 /*v337*/
	;; [unrolled: 1-line block ×4, first 2 shown]
	s_set_vgpr_msb 0                        ;  msbs: dst=0 src0=0 src1=0 src2=0
	v_and_b32_e32 v238, 15, v151
	v_bfe_u32 v239, v151, 24, 4
	v_add3_u32 v104, v104, v153, v152
	s_set_vgpr_msb 1                        ;  msbs: dst=0 src0=1 src1=0 src2=0
	v_mul_i32_i24_e32 v153, v95 /*v351*/, v237
	s_set_vgpr_msb 0                        ;  msbs: dst=0 src0=0 src1=0 src2=0
	v_bfe_u32 v240, v151, 16, 4
	s_set_vgpr_msb 1                        ;  msbs: dst=0 src0=1 src1=0 src2=0
	v_mul_i32_i24_e32 v152, v91 /*v347*/, v238
	s_set_vgpr_msb 64                       ;  msbs: dst=1 src0=0 src1=0 src2=0
	v_bfe_u32 v10 /*v266*/, v150, 4, 4
	s_set_vgpr_msb 0                        ;  msbs: dst=0 src0=0 src1=0 src2=0
	v_add3_u32 v104, v104, v154, v155
	v_mul_i32_i24_e32 v154, v113, v239
	v_mul_i32_i24_e32 v155, v112, v240
	s_set_vgpr_msb 64                       ;  msbs: dst=1 src0=0 src1=0 src2=0
	v_bfe_u32 v11 /*v267*/, v150, 12, 4
	v_lshrrev_b32_e32 v12 /*v268*/, 28, v150
	s_set_vgpr_msb 0                        ;  msbs: dst=0 src0=0 src1=0 src2=0
	v_add3_u32 v104, v104, v153, v152
	ds_load_2addr_b32 v[152:153], v102 offset0:6 offset1:7
	s_set_vgpr_msb 5                        ;  msbs: dst=0 src0=1 src1=1 src2=0
	v_mul_i32_i24_e32 v119, v9 /*v265*/, v159 /*v415*/
	s_set_vgpr_msb 64                       ;  msbs: dst=1 src0=0 src1=0 src2=0
	v_bfe_u32 v8 /*v264*/, v150, 20, 4
	s_set_vgpr_msb 5                        ;  msbs: dst=0 src0=1 src1=1 src2=0
	v_mul_i32_i24_e32 v163, v10 /*v266*/, v147 /*v403*/
	s_set_vgpr_msb 0                        ;  msbs: dst=0 src0=0 src1=0 src2=0
	v_add3_u32 v104, v104, v155, v154
	s_set_vgpr_msb 5                        ;  msbs: dst=0 src0=1 src1=1 src2=0
	v_mul_i32_i24_e32 v164, v11 /*v267*/, v148 /*v404*/
	v_mul_i32_i24_e32 v150, v12 /*v268*/, v158 /*v414*/
	;; [unrolled: 1-line block ×3, first 2 shown]
	s_set_vgpr_msb 64                       ;  msbs: dst=1 src0=0 src1=0 src2=0
	v_bfe_u32 v13 /*v269*/, v151, 4, 4
	v_bfe_u32 v14 /*v270*/, v151, 12, 4
	v_lshrrev_b32_e32 v15 /*v271*/, 28, v151
	v_bfe_u32 v16 /*v272*/, v151, 20, 4
	s_set_vgpr_msb 5                        ;  msbs: dst=0 src0=1 src1=1 src2=0
	v_mul_i32_i24_e32 v167, v150 /*v406*/, v13 /*v269*/
	v_mul_i32_i24_e32 v166, v151 /*v407*/, v14 /*v270*/
	s_delay_alu instid0(VALU_DEP_3)
	v_mul_i32_i24_e32 v168, v152 /*v408*/, v16 /*v272*/
	s_wait_dscnt 0x0
	s_set_vgpr_msb 0                        ;  msbs: dst=0 src0=0 src1=0 src2=0
	v_bfe_u32 v241, v152, 8, 4
	v_and_b32_e32 v242, 15, v152
	v_bfe_u32 v243, v152, 24, 4
	v_bfe_u32 v245, v152, 16, 4
	;; [unrolled: 1-line block ×3, first 2 shown]
	s_set_vgpr_msb 1                        ;  msbs: dst=0 src0=1 src1=0 src2=0
	v_mul_i32_i24_e32 v154, v106 /*v362*/, v241
	v_mul_i32_i24_e32 v102, v105 /*v361*/, v242
	;; [unrolled: 1-line block ×4, first 2 shown]
	v_and_b32_e32 v251, 15, v153
	s_set_vgpr_msb 0                        ;  msbs: dst=0 src0=0 src1=0 src2=0
	v_bfe_u32 v252, v153, 24, 4
	v_add3_u32 v102, v104, v154, v102
	s_set_vgpr_msb 1                        ;  msbs: dst=0 src0=1 src1=0 src2=0
	v_mul_i32_i24_e32 v154, v102 /*v358*/, v248
	s_set_vgpr_msb 0                        ;  msbs: dst=0 src0=0 src1=0 src2=0
	v_bfe_u32 v254, v153, 16, 4
	s_set_vgpr_msb 1                        ;  msbs: dst=0 src0=1 src1=0 src2=0
	v_mul_i32_i24_e32 v104, v101 /*v357*/, v251
	s_set_vgpr_msb 64                       ;  msbs: dst=1 src0=0 src1=0 src2=0
	v_bfe_u32 v17 /*v273*/, v152, 4, 4
	s_set_vgpr_msb 0                        ;  msbs: dst=0 src0=0 src1=0 src2=0
	v_add3_u32 v102, v102, v156, v155
	s_set_vgpr_msb 1                        ;  msbs: dst=0 src0=1 src1=0 src2=0
	v_mul_i32_i24_e32 v155, v34 /*v290*/, v252
	s_set_vgpr_msb 0                        ;  msbs: dst=0 src0=0 src1=0 src2=0
	v_mul_i32_i24_e32 v156, v108, v254
	s_set_vgpr_msb 64                       ;  msbs: dst=1 src0=0 src1=0 src2=0
	v_bfe_u32 v18 /*v274*/, v152, 12, 4
	v_lshrrev_b32_e32 v19 /*v275*/, 28, v152
	s_set_vgpr_msb 0                        ;  msbs: dst=0 src0=0 src1=0 src2=0
	v_add3_u32 v102, v102, v154, v104
	s_set_vgpr_msb 4                        ;  msbs: dst=0 src0=0 src1=1 src2=0
	v_mul_i32_i24_e32 v154, v247, v137 /*v393*/
	s_set_vgpr_msb 5                        ;  msbs: dst=0 src0=1 src1=1 src2=0
	v_mul_i32_i24_e32 v151, v157 /*v413*/, v15 /*v271*/
	v_mul_i32_i24_e32 v169, v154 /*v410*/, v18 /*v274*/
	;; [unrolled: 1-line block ×3, first 2 shown]
	s_set_vgpr_msb 64                       ;  msbs: dst=1 src0=0 src1=0 src2=0
	v_add3_u32 v174 /*v430*/, v102, v156, v155
	s_set_vgpr_msb 4                        ;  msbs: dst=0 src0=0 src1=1 src2=0
	v_mul_i32_i24_e32 v155, v244, v162 /*v418*/
	v_mad_i32_i24 v154, v246, v136 /*v392*/, v154
	v_mul_i32_i24_e32 v156, v249, v140 /*v396*/
	s_set_vgpr_msb 64                       ;  msbs: dst=1 src0=0 src1=0 src2=0
	v_bfe_u32 v21 /*v277*/, v152, 20, 4
	s_set_vgpr_msb 5                        ;  msbs: dst=0 src0=1 src1=1 src2=0
	v_mul_i32_i24_e32 v152, v156 /*v412*/, v19 /*v275*/
	s_set_vgpr_msb 64                       ;  msbs: dst=1 src0=0 src1=0 src2=0
	v_bfe_u32 v22 /*v278*/, v153, 4, 4
	s_set_vgpr_msb 0                        ;  msbs: dst=0 src0=0 src1=0 src2=0
	v_add3_u32 v96, v154, v155, v96
	s_set_vgpr_msb 4                        ;  msbs: dst=0 src0=0 src1=1 src2=0
	v_mul_i32_i24_e32 v154, v253, v138 /*v394*/
	v_mul_i32_i24_e32 v155, v255, v139 /*v395*/
	s_set_vgpr_msb 5                        ;  msbs: dst=0 src0=1 src1=1 src2=0
	v_mul_i32_i24_e32 v171, v155 /*v411*/, v21 /*v277*/
	s_set_vgpr_msb 64                       ;  msbs: dst=1 src0=0 src1=0 src2=0
	v_bfe_u32 v23 /*v279*/, v153, 12, 4
	s_set_vgpr_msb 5                        ;  msbs: dst=0 src0=1 src1=1 src2=0
	v_mul_i32_i24_e32 v172, v22 /*v278*/, v116 /*v372*/
	s_set_vgpr_msb 0                        ;  msbs: dst=0 src0=0 src1=0 src2=0
	ds_load_u16 v102, v94
	ds_load_u16 v94, v94 offset:8
	v_add3_u32 v96, v96, v154, v155
	s_set_vgpr_msb 64                       ;  msbs: dst=1 src0=0 src1=0 src2=0
	v_bfe_u32 v20 /*v276*/, v153, 20, 4
	s_set_vgpr_msb 5                        ;  msbs: dst=0 src0=1 src1=1 src2=0
	v_mul_i32_i24_e32 v173, v23 /*v279*/, v25 /*v281*/
	s_set_vgpr_msb 64                       ;  msbs: dst=1 src0=0 src1=0 src2=0
	v_lshrrev_b32_e32 v24 /*v280*/, 28, v153
	s_set_vgpr_msb 0                        ;  msbs: dst=0 src0=0 src1=0 src2=0
	v_add3_u32 v96, v96, v156, v97
	s_set_vgpr_msb 0x45                     ;  msbs: dst=1 src0=1 src1=1 src2=0
	v_mul_i32_i24_e32 v168 /*v424*/, v20 /*v276*/, v120 /*v376*/
	s_set_vgpr_msb 0                        ;  msbs: dst=0 src0=0 src1=0 src2=0
	s_delay_alu instid0(VALU_DEP_2) | instskip(NEXT) | instid1(VALU_DEP_1)
	v_add3_u32 v96, v96, v157, v158
	v_add3_u32 v96, v96, v159, v118
	s_wait_dscnt 0x1
	v_lshrrev_b16 v104, 8, v102
	v_and_b32_e32 v216, 0xff, v102
	s_delay_alu instid0(VALU_DEP_3)
	v_add3_u32 v96, v96, v160, v161
	s_wait_dscnt 0x0
	v_cvt_f32_ubyte0_e32 v102, v94
	v_and_b32_e32 v154, 0xffff, v104
	v_cvt_f32_ubyte1_e32 v104, v94
	v_add3_u32 v96, v96, v162, v119
	v_add3_u32 v94, s17, v142, v139
	s_delay_alu instid0(VALU_DEP_2) | instskip(NEXT) | instid1(VALU_DEP_1)
	v_add3_u32 v96, v96, v163, v164
	v_add3_u32 v96, v96, v165, v150
	v_add_nc_u32_e32 v150, s16, v146
	s_delay_alu instid0(VALU_DEP_2) | instskip(SKIP_3) | instid1(VALU_DEP_1)
	v_add3_u32 v96, v96, v167, v166
	ds_load_2addr_b32 v[206:207], v150 offset0:4 offset1:5
	ds_load_2addr_b32 v[214:215], v150 offset0:6 offset1:7
	v_add3_u32 v96, v96, v168, v151
	v_add3_u32 v96, v96, v170, v169
	s_delay_alu instid0(VALU_DEP_1) | instskip(SKIP_1) | instid1(VALU_DEP_1)
	v_add3_u32 v96, v96, v171, v152
	s_set_vgpr_msb 64                       ;  msbs: dst=1 src0=0 src1=0 src2=0
	v_add3_u32 v170 /*v426*/, v96, v172, v173
	s_set_vgpr_msb 0                        ;  msbs: dst=0 src0=0 src1=0 src2=0
	ds_load_2addr_b32 v[96:97], v150 offset1:1
	s_wait_dscnt 0x2
	v_bfe_u32 v201, v206, 4, 4
	s_wait_dscnt 0x1
	v_and_b32_e32 v186, 15, v215
	v_bfe_u32 v187, v215, 24, 4
	v_bfe_u32 v189, v215, 16, 4
	;; [unrolled: 1-line block ×4, first 2 shown]
	s_set_vgpr_msb 0x44                     ;  msbs: dst=1 src0=0 src1=1 src2=0
	v_mul_i32_i24_e32 v113 /*v369*/, v201, v147 /*v403*/
	s_set_vgpr_msb 0                        ;  msbs: dst=0 src0=0 src1=0 src2=0
	v_lshrrev_b32_e32 v203, 28, v206
	v_mul_i32_i24_e32 v184, v108, v189
	s_set_vgpr_msb 0x44                     ;  msbs: dst=1 src0=0 src1=1 src2=0
	v_mul_i32_i24_e32 v114 /*v370*/, v202, v148 /*v404*/
	v_mul_i32_i24_e32 v119 /*v375*/, v199, v149 /*v405*/
	s_set_vgpr_msb 0                        ;  msbs: dst=0 src0=0 src1=0 src2=0
	v_bfe_u32 v204, v207, 4, 4
	s_set_vgpr_msb 0x44                     ;  msbs: dst=1 src0=0 src1=1 src2=0
	v_mul_i32_i24_e32 v122 /*v378*/, v203, v158 /*v414*/
	s_set_vgpr_msb 0                        ;  msbs: dst=0 src0=0 src1=0 src2=0
	v_bfe_u32 v205, v207, 12, 4
	v_bfe_u32 v208, v214, 4, 4
	;; [unrolled: 1-line block ×3, first 2 shown]
	s_set_vgpr_msb 0x41                     ;  msbs: dst=1 src0=1 src1=0 src2=0
	v_mul_i32_i24_e32 v127 /*v383*/, v150 /*v406*/, v204
	s_set_vgpr_msb 0                        ;  msbs: dst=0 src0=0 src1=0 src2=0
	v_lshrrev_b32_e32 v210, 28, v214
	s_set_vgpr_msb 0x41                     ;  msbs: dst=1 src0=1 src1=0 src2=0
	v_mul_i32_i24_e32 v123 /*v379*/, v151 /*v407*/, v205
	s_wait_dscnt 0x0
	s_set_vgpr_msb 0                        ;  msbs: dst=0 src0=0 src1=0 src2=0
	v_and_b32_e32 v152, 15, v96
	v_bfe_u32 v151, v96, 8, 4
	v_bfe_u32 v153, v96, 16, 4
	;; [unrolled: 1-line block ×4, first 2 shown]
	s_set_vgpr_msb 4                        ;  msbs: dst=0 src0=0 src1=1 src2=0
	v_mul_i32_i24_e32 v118, v152, v40 /*v296*/
	v_bfe_u32 v158, v97, 16, 4
	v_mul_i32_i24_e32 v119, v153, v46 /*v302*/
	v_mul_i32_i24_e32 v156, v155, v52 /*v308*/
	;; [unrolled: 1-line block ×3, first 2 shown]
	v_mad_i32_i24 v118, v151, v47 /*v303*/, v118
	v_bfe_u32 v159, v97, 24, 4
	s_set_vgpr_msb 0                        ;  msbs: dst=0 src0=0 src1=0 src2=0
	v_mul_i32_i24_e32 v161, v158, v117
	v_lshrrev_b32_e32 v185, 28, v96
	v_bfe_u32 v190, v97, 12, 4
	v_add3_u32 v118, v118, v119, v156
	v_and_b32_e32 v156, 15, v97
	v_mul_i32_i24_e32 v162, v159, v116
	v_lshrrev_b32_e32 v192, 28, v97
	s_set_vgpr_msb 0x44                     ;  msbs: dst=1 src0=0 src1=1 src2=0
	v_mul_i32_i24_e32 v69 /*v325*/, v190, v139 /*v395*/
	s_set_vgpr_msb 0x41                     ;  msbs: dst=1 src0=1 src1=0 src2=0
	v_mul_i32_i24_e32 v177 /*v433*/, v154 /*v410*/, v209
	s_set_vgpr_msb 4                        ;  msbs: dst=0 src0=0 src1=1 src2=0
	v_mul_i32_i24_e32 v119, v156, v48 /*v304*/
	s_set_vgpr_msb 0x41                     ;  msbs: dst=1 src0=1 src1=0 src2=0
	v_mul_i32_i24_e32 v178 /*v434*/, v153 /*v409*/, v208
	s_set_vgpr_msb 0                        ;  msbs: dst=0 src0=0 src1=0 src2=0
	v_bfe_u32 v212, v214, 20, 4
	s_set_vgpr_msb 0x41                     ;  msbs: dst=1 src0=1 src1=0 src2=0
	v_mul_i32_i24_e32 v179 /*v435*/, v156 /*v412*/, v210
	s_set_vgpr_msb 0                        ;  msbs: dst=0 src0=0 src1=0 src2=0
	v_bfe_u32 v213, v215, 4, 4
	v_add3_u32 v118, v118, v160, v119
	v_bfe_u32 v211, v215, 20, 4
	s_set_vgpr_msb 0x41                     ;  msbs: dst=1 src0=1 src1=0 src2=0
	v_mul_i32_i24_e32 v180 /*v436*/, v155 /*v411*/, v212
	s_set_vgpr_msb 0x44                     ;  msbs: dst=1 src0=0 src1=1 src2=0
	v_mul_i32_i24_e32 v181 /*v437*/, v213, v116 /*v372*/
	s_set_vgpr_msb 0                        ;  msbs: dst=0 src0=0 src1=0 src2=0
	v_add3_u32 v164, v118, v161, v162
	ds_load_2addr_b32 v[118:119], v150 offset0:2 offset1:3
	s_set_vgpr_msb 0x44                     ;  msbs: dst=1 src0=0 src1=1 src2=0
	v_mul_i32_i24_e32 v171 /*v427*/, v211, v120 /*v376*/
	s_wait_dscnt 0x0
	s_set_vgpr_msb 0                        ;  msbs: dst=0 src0=0 src1=0 src2=0
	v_and_b32_e32 v160, 15, v118
	v_bfe_u32 v161, v118, 8, 4
	v_bfe_u32 v162, v118, 16, 4
	;; [unrolled: 1-line block ×4, first 2 shown]
	s_set_vgpr_msb 4                        ;  msbs: dst=0 src0=0 src1=1 src2=0
	v_mul_i32_i24_e32 v165, v160, v57 /*v313*/
	v_mul_i32_i24_e32 v166, v161, v60 /*v316*/
	;; [unrolled: 1-line block ×4, first 2 shown]
	v_bfe_u32 v194, v118, 12, 4
	v_bfe_u32 v191, v118, 20, 4
	s_set_vgpr_msb 0                        ;  msbs: dst=0 src0=0 src1=0 src2=0
	v_add3_u32 v164, v164, v166, v165
	v_bfe_u32 v165, v119, 8, 4
	v_bfe_u32 v166, v119, 16, 4
	s_set_vgpr_msb 0x44                     ;  msbs: dst=1 src0=0 src1=1 src2=0
	v_mul_i32_i24_e32 v90 /*v346*/, v193, v141 /*v397*/
	v_mul_i32_i24_e32 v99 /*v355*/, v194, v142 /*v398*/
	s_set_vgpr_msb 0                        ;  msbs: dst=0 src0=0 src1=0 src2=0
	v_add3_u32 v168, v164, v167, v168
	v_and_b32_e32 v164, 15, v119
	s_set_vgpr_msb 4                        ;  msbs: dst=0 src0=0 src1=1 src2=0
	v_mul_i32_i24_e32 v170, v165, v66 /*v322*/
	v_bfe_u32 v167, v119, 24, 4
	s_set_vgpr_msb 0                        ;  msbs: dst=0 src0=0 src1=0 src2=0
	v_mul_i32_i24_e32 v171, v166, v115
	v_lshrrev_b32_e32 v196, 28, v118
	s_set_vgpr_msb 4                        ;  msbs: dst=0 src0=0 src1=1 src2=0
	v_mul_i32_i24_e32 v169, v164, v65 /*v321*/
	s_set_vgpr_msb 0x44                     ;  msbs: dst=1 src0=0 src1=1 src2=0
	v_mul_i32_i24_e32 v107 /*v363*/, v191, v143 /*v399*/
	s_set_vgpr_msb 0                        ;  msbs: dst=0 src0=0 src1=0 src2=0
	v_mul_i32_i24_e32 v172, v167, v114
	v_bfe_u32 v197, v119, 4, 4
	s_set_vgpr_msb 4                        ;  msbs: dst=0 src0=0 src1=1 src2=0
	v_mul_i32_i24_e32 v118, v196, v160 /*v416*/
	s_set_vgpr_msb 0                        ;  msbs: dst=0 src0=0 src1=0 src2=0
	v_add3_u32 v168, v168, v170, v169
	v_bfe_u32 v169, v206, 8, 4
	v_bfe_u32 v170, v206, 16, 4
	;; [unrolled: 1-line block ×4, first 2 shown]
	v_add3_u32 v172, v168, v171, v172
	v_and_b32_e32 v168, 15, v206
	s_set_vgpr_msb 4                        ;  msbs: dst=0 src0=0 src1=1 src2=0
	v_mul_i32_i24_e32 v174, v169, v81 /*v337*/
	v_bfe_u32 v171, v206, 24, 4
	v_mul_i32_i24_e32 v175, v170, v83 /*v339*/
	s_set_vgpr_msb 0x44                     ;  msbs: dst=1 src0=0 src1=1 src2=0
	v_mul_i32_i24_e32 v108 /*v364*/, v197, v144 /*v400*/
	s_set_vgpr_msb 4                        ;  msbs: dst=0 src0=0 src1=1 src2=0
	v_mul_i32_i24_e32 v173, v168, v78 /*v334*/
	s_set_vgpr_msb 0x44                     ;  msbs: dst=1 src0=0 src1=1 src2=0
	v_mul_i32_i24_e32 v109 /*v365*/, v198, v145 /*v401*/
	s_set_vgpr_msb 4                        ;  msbs: dst=0 src0=0 src1=1 src2=0
	v_mul_i32_i24_e32 v176, v171, v88 /*v344*/
	s_set_vgpr_msb 0                        ;  msbs: dst=0 src0=0 src1=0 src2=0
	v_lshrrev_b32_e32 v200, 28, v119
	s_set_vgpr_msb 0x44                     ;  msbs: dst=1 src0=0 src1=1 src2=0
	v_mul_i32_i24_e32 v111 /*v367*/, v195, v146 /*v402*/
	s_set_vgpr_msb 0                        ;  msbs: dst=0 src0=0 src1=0 src2=0
	v_add3_u32 v172, v172, v174, v173
	v_and_b32_e32 v173, 15, v207
	v_bfe_u32 v174, v207, 24, 4
	s_set_vgpr_msb 4                        ;  msbs: dst=0 src0=0 src1=1 src2=0
	v_mul_i32_i24_e32 v119, v200, v159 /*v415*/
	s_set_vgpr_msb 0                        ;  msbs: dst=0 src0=0 src1=0 src2=0
	v_lshrrev_b32_e32 v206, 28, v207
	v_add3_u32 v176, v172, v175, v176
	v_bfe_u32 v172, v207, 8, 4
	s_set_vgpr_msb 1                        ;  msbs: dst=0 src0=1 src1=0 src2=0
	v_mul_i32_i24_e32 v177, v91 /*v347*/, v173
	s_set_vgpr_msb 0                        ;  msbs: dst=0 src0=0 src1=0 src2=0
	v_bfe_u32 v175, v207, 16, 4
	v_mul_i32_i24_e32 v179, v113, v174
	v_bfe_u32 v207, v207, 20, 4
	s_set_vgpr_msb 1                        ;  msbs: dst=0 src0=1 src1=0 src2=0
	v_mul_i32_i24_e32 v178, v95 /*v351*/, v172
	s_set_vgpr_msb 0x41                     ;  msbs: dst=1 src0=1 src1=0 src2=0
	v_mul_i32_i24_e32 v173 /*v429*/, v157 /*v413*/, v206
	s_set_vgpr_msb 0                        ;  msbs: dst=0 src0=0 src1=0 src2=0
	v_mul_i32_i24_e32 v180, v112, v175
	s_set_vgpr_msb 0x41                     ;  msbs: dst=1 src0=1 src1=0 src2=0
	v_mul_i32_i24_e32 v176 /*v432*/, v152 /*v408*/, v207
	s_set_vgpr_msb 0                        ;  msbs: dst=0 src0=0 src1=0 src2=0
	v_add3_u32 v176, v176, v178, v177
	v_and_b32_e32 v177, 15, v214
	v_bfe_u32 v178, v214, 24, 4
	s_delay_alu instid0(VALU_DEP_3)
	v_add3_u32 v179, v176, v180, v179
	v_bfe_u32 v176, v214, 8, 4
	s_set_vgpr_msb 1                        ;  msbs: dst=0 src0=1 src1=0 src2=0
	v_mul_i32_i24_e32 v150, v105 /*v361*/, v177
	s_set_vgpr_msb 0                        ;  msbs: dst=0 src0=0 src1=0 src2=0
	v_bfe_u32 v180, v214, 16, 4
	s_set_vgpr_msb 1                        ;  msbs: dst=0 src0=1 src1=0 src2=0
	v_mul_i32_i24_e32 v182, v104 /*v360*/, v178
	s_set_vgpr_msb 0                        ;  msbs: dst=0 src0=0 src1=0 src2=0
	v_bfe_u32 v214, v215, 12, 4
	s_set_vgpr_msb 1                        ;  msbs: dst=0 src0=1 src1=0 src2=0
	v_mul_i32_i24_e32 v181, v106 /*v362*/, v176
	v_mul_i32_i24_e32 v183, v103 /*v359*/, v180
	s_set_vgpr_msb 0x44                     ;  msbs: dst=1 src0=0 src1=1 src2=0
	v_mul_i32_i24_e32 v182 /*v438*/, v214, v25 /*v281*/
	s_set_vgpr_msb 0                        ;  msbs: dst=0 src0=0 src1=0 src2=0
	v_add3_u32 v150, v179, v181, v150
	s_set_vgpr_msb 1                        ;  msbs: dst=0 src0=1 src1=0 src2=0
	v_mul_i32_i24_e32 v179, v101 /*v357*/, v186
	s_set_vgpr_msb 0                        ;  msbs: dst=0 src0=0 src1=0 src2=0
	s_delay_alu instid0(VALU_DEP_2) | instskip(SKIP_4) | instid1(VALU_DEP_3)
	v_add3_u32 v150, v150, v183, v182
	v_bfe_u32 v183, v215, 8, 4
	s_set_vgpr_msb 1                        ;  msbs: dst=0 src0=1 src1=0 src2=0
	v_mul_i32_i24_e32 v182, v34 /*v290*/, v187
	v_lshrrev_b32_e32 v215, 28, v215
	v_mul_i32_i24_e32 v181, v102 /*v358*/, v183
	s_set_vgpr_msb 64                       ;  msbs: dst=1 src0=0 src1=0 src2=0
	s_delay_alu instid0(VALU_DEP_2) | instskip(SKIP_1) | instid1(VALU_DEP_2)
	v_mul_i32_i24_e32 v172 /*v428*/, v215, v106
	s_set_vgpr_msb 0                        ;  msbs: dst=0 src0=0 src1=0 src2=0
	v_add3_u32 v150, v150, v181, v179
	v_bfe_u32 v179, v96, 20, 4
	v_bfe_u32 v181, v96, 12, 4
	s_set_vgpr_msb 64                       ;  msbs: dst=1 src0=0 src1=0 src2=0
	s_delay_alu instid0(VALU_DEP_3)
	v_add3_u32 v175 /*v431*/, v150, v184, v182
	s_set_vgpr_msb 4                        ;  msbs: dst=0 src0=0 src1=1 src2=0
	v_bfe_u32 v182, v96, 4, 4
	v_mul_i32_i24_e32 v188, v179, v162 /*v418*/
	v_mul_i32_i24_e32 v96, v185, v163 /*v419*/
	ds_load_u16 v150, v94
	s_set_vgpr_msb 64                       ;  msbs: dst=1 src0=0 src1=0 src2=0
	ds_load_u16 v42 /*v298*/, v94 offset:8
	s_set_vgpr_msb 4                        ;  msbs: dst=0 src0=0 src1=1 src2=0
	v_mul_i32_i24_e32 v184, v182, v137 /*v393*/
	s_delay_alu instid0(VALU_DEP_1) | instskip(SKIP_1) | instid1(VALU_DEP_1)
	v_mad_i32_i24 v184, v181, v136 /*v392*/, v184
	s_set_vgpr_msb 0                        ;  msbs: dst=0 src0=0 src1=0 src2=0
	v_add3_u32 v96, v184, v188, v96
	v_bfe_u32 v188, v97, 4, 4
	v_bfe_u32 v184, v97, 20, 4
	s_set_vgpr_msb 4                        ;  msbs: dst=0 src0=0 src1=1 src2=0
	v_mul_i32_i24_e32 v97, v192, v161 /*v417*/
	s_set_vgpr_msb 0x44                     ;  msbs: dst=1 src0=0 src1=1 src2=0
	v_mul_i32_i24_e32 v56 /*v312*/, v188, v138 /*v394*/
	v_mul_i32_i24_e32 v76 /*v332*/, v184, v140 /*v396*/
	s_wait_dscnt 0x1
	s_set_vgpr_msb 64                       ;  msbs: dst=1 src0=0 src1=0 src2=0
	v_lshrrev_b16 v45 /*v301*/, 8, v150
	s_wait_dscnt 0x0
	s_set_vgpr_msb 1                        ;  msbs: dst=0 src0=1 src1=0 src2=0
	v_cvt_f32_ubyte0_e32 v94, v42 /*v298*/
	v_and_b32_e32 v150, 0xff, v150
	s_set_vgpr_msb 20                       ;  msbs: dst=0 src0=0 src1=1 src2=1
	v_add3_u32 v96, v96, v56 /*v312*/, v69 /*v325*/
	s_set_vgpr_msb 4                        ;  msbs: dst=0 src0=0 src1=1 src2=0
	s_delay_alu instid0(VALU_DEP_1) | instskip(SKIP_2) | instid1(VALU_DEP_2)
	v_add3_u32 v96, v96, v76 /*v332*/, v97
	v_and_b32_e32 v97, 0xffff, v45 /*v301*/
	s_set_vgpr_msb 20                       ;  msbs: dst=0 src0=0 src1=1 src2=1
	v_add3_u32 v96, v96, v90 /*v346*/, v99 /*v355*/
	s_set_vgpr_msb 0x41                     ;  msbs: dst=1 src0=1 src1=0 src2=0
	v_add_nc_u32_e32 v99 /*v355*/, s16, v147
	v_mul_i32_i24_e32 v169 /*v425*/, v24 /*v280*/, v106
	s_mov_b32 s16, 8
	s_set_vgpr_msb 4                        ;  msbs: dst=0 src0=0 src1=1 src2=0
	v_add3_u32 v96, v96, v107 /*v363*/, v118
	s_set_vgpr_msb 64                       ;  msbs: dst=1 src0=0 src1=0 src2=0
	v_add3_u32 v107 /*v363*/, s17, v143, v140
	s_set_vgpr_msb 20                       ;  msbs: dst=0 src0=0 src1=1 src2=1
	s_delay_alu instid0(VALU_DEP_2) | instskip(SKIP_1) | instid1(VALU_DEP_1)
	v_add3_u32 v96, v96, v108 /*v364*/, v109 /*v365*/
	s_set_vgpr_msb 4                        ;  msbs: dst=0 src0=0 src1=1 src2=0
	v_add3_u32 v96, v96, v111 /*v367*/, v119
	s_set_vgpr_msb 1                        ;  msbs: dst=0 src0=1 src1=0 src2=0
	ds_load_2addr_b32 v[118:119], v99 /*v355*/ offset1:1
	s_set_vgpr_msb 20                       ;  msbs: dst=0 src0=0 src1=1 src2=1
	v_add3_u32 v96, v96, v113 /*v369*/, v114 /*v370*/
	s_delay_alu instid0(VALU_DEP_1) | instskip(NEXT) | instid1(VALU_DEP_1)
	v_add3_u32 v96, v96, v119 /*v375*/, v122 /*v378*/
	v_add3_u32 v96, v96, v127 /*v383*/, v123 /*v379*/
	s_delay_alu instid0(VALU_DEP_1)
	v_add3_u32 v96, v96, v176 /*v432*/, v173 /*v429*/
	s_wait_dscnt 0x0
	s_set_vgpr_msb 64                       ;  msbs: dst=1 src0=0 src1=0 src2=0
	v_bfe_u32 v45 /*v301*/, v118, 16, 4
	s_set_vgpr_msb 20                       ;  msbs: dst=0 src0=0 src1=1 src2=1
	v_add3_u32 v96, v96, v178 /*v434*/, v177 /*v433*/
	s_set_vgpr_msb 0x45                     ;  msbs: dst=1 src0=1 src1=1 src2=0
	s_delay_alu instid0(VALU_DEP_2)
	v_mul_i32_i24_e32 v69 /*v325*/, v45 /*v301*/, v46 /*v302*/
	s_set_vgpr_msb 64                       ;  msbs: dst=1 src0=0 src1=0 src2=0
	v_bfe_u32 v46 /*v302*/, v118, 24, 4
	s_set_vgpr_msb 20                       ;  msbs: dst=0 src0=0 src1=1 src2=1
	v_add3_u32 v96, v96, v180 /*v436*/, v179 /*v435*/
	s_set_vgpr_msb 0x45                     ;  msbs: dst=1 src0=1 src1=1 src2=0
	s_delay_alu instid0(VALU_DEP_2) | instskip(SKIP_1) | instid1(VALU_DEP_2)
	v_mul_i32_i24_e32 v52 /*v308*/, v46 /*v302*/, v52 /*v308*/
	s_set_vgpr_msb 0x54                     ;  msbs: dst=1 src0=0 src1=1 src2=1
	v_add3_u32 v173 /*v429*/, v96, v181 /*v437*/, v182 /*v438*/
	s_set_vgpr_msb 1                        ;  msbs: dst=0 src0=1 src1=0 src2=0
	v_cvt_f32_ubyte1_e32 v96, v42 /*v298*/
	s_set_vgpr_msb 64                       ;  msbs: dst=1 src0=0 src1=0 src2=0
	v_and_b32_e32 v42 /*v298*/, 15, v118
	s_set_vgpr_msb 0x45                     ;  msbs: dst=1 src0=1 src1=1 src2=0
	s_delay_alu instid0(VALU_DEP_1) | instskip(SKIP_3) | instid1(VALU_DEP_1)
	v_mul_i32_i24_e32 v56 /*v312*/, v42 /*v298*/, v40 /*v296*/
	s_set_vgpr_msb 64                       ;  msbs: dst=1 src0=0 src1=0 src2=0
	v_bfe_u32 v40 /*v296*/, v118, 8, 4
	s_set_vgpr_msb 0x55                     ;  msbs: dst=1 src0=1 src1=1 src2=1
	v_mad_i32_i24 v47 /*v303*/, v40 /*v296*/, v47 /*v303*/, v56 /*v312*/
	s_delay_alu instid0(VALU_DEP_1) | instskip(SKIP_4) | instid1(VALU_DEP_2)
	v_add3_u32 v56 /*v312*/, v47 /*v303*/, v69 /*v325*/, v52 /*v308*/
	s_set_vgpr_msb 64                       ;  msbs: dst=1 src0=0 src1=0 src2=0
	v_and_b32_e32 v47 /*v303*/, 15, v119
	v_bfe_u32 v52 /*v308*/, v119, 24, 4
	s_set_vgpr_msb 0x45                     ;  msbs: dst=1 src0=1 src1=1 src2=0
	v_mul_i32_i24_e32 v69 /*v325*/, v47 /*v303*/, v48 /*v304*/
	s_set_vgpr_msb 64                       ;  msbs: dst=1 src0=0 src1=0 src2=0
	v_bfe_u32 v48 /*v304*/, v119, 8, 4
	s_set_vgpr_msb 1                        ;  msbs: dst=0 src0=1 src1=0 src2=0
	v_mul_i32_i24_e32 v116, v52 /*v308*/, v116
	s_set_vgpr_msb 0x45                     ;  msbs: dst=1 src0=1 src1=1 src2=0
	s_delay_alu instid0(VALU_DEP_2) | instskip(SKIP_3) | instid1(VALU_DEP_2)
	v_mul_i32_i24_e32 v76 /*v332*/, v48 /*v304*/, v50 /*v306*/
	s_set_vgpr_msb 64                       ;  msbs: dst=1 src0=0 src1=0 src2=0
	v_bfe_u32 v50 /*v306*/, v119, 16, 4
	s_set_vgpr_msb 0x55                     ;  msbs: dst=1 src0=1 src1=1 src2=1
	v_add3_u32 v56 /*v312*/, v56 /*v312*/, v76 /*v332*/, v69 /*v325*/
	s_set_vgpr_msb 1                        ;  msbs: dst=0 src0=1 src1=0 src2=0
	s_delay_alu instid0(VALU_DEP_2) | instskip(SKIP_1) | instid1(VALU_DEP_1)
	v_mul_i32_i24_e32 v117, v50 /*v306*/, v117
	s_set_vgpr_msb 0x41                     ;  msbs: dst=1 src0=1 src1=0 src2=0
	v_add3_u32 v69 /*v325*/, v56 /*v312*/, v117, v116
	s_set_vgpr_msb 1                        ;  msbs: dst=0 src0=1 src1=0 src2=0
	ds_load_2addr_b32 v[116:117], v99 /*v355*/ offset0:2 offset1:3
	s_wait_dscnt 0x0
	s_set_vgpr_msb 64                       ;  msbs: dst=1 src0=0 src1=0 src2=0
	v_and_b32_e32 v56 /*v312*/, 15, v116
	s_set_vgpr_msb 0x45                     ;  msbs: dst=1 src0=1 src1=1 src2=0
	s_delay_alu instid0(VALU_DEP_1) | instskip(SKIP_3) | instid1(VALU_DEP_1)
	v_mul_i32_i24_e32 v76 /*v332*/, v56 /*v312*/, v57 /*v313*/
	s_set_vgpr_msb 64                       ;  msbs: dst=1 src0=0 src1=0 src2=0
	v_bfe_u32 v57 /*v313*/, v116, 8, 4
	s_set_vgpr_msb 0x45                     ;  msbs: dst=1 src0=1 src1=1 src2=0
	v_mul_i32_i24_e32 v90 /*v346*/, v57 /*v313*/, v60 /*v316*/
	s_set_vgpr_msb 64                       ;  msbs: dst=1 src0=0 src1=0 src2=0
	v_bfe_u32 v60 /*v316*/, v116, 16, 4
	s_set_vgpr_msb 0x55                     ;  msbs: dst=1 src0=1 src1=1 src2=1
	s_delay_alu instid0(VALU_DEP_2) | instskip(NEXT) | instid1(VALU_DEP_2)
	v_add3_u32 v69 /*v325*/, v69 /*v325*/, v90 /*v346*/, v76 /*v332*/
	v_mul_i32_i24_e32 v108 /*v364*/, v60 /*v316*/, v61 /*v317*/
	s_set_vgpr_msb 64                       ;  msbs: dst=1 src0=0 src1=0 src2=0
	v_bfe_u32 v61 /*v317*/, v116, 24, 4
	s_set_vgpr_msb 0x55                     ;  msbs: dst=1 src0=1 src1=1 src2=1
	s_delay_alu instid0(VALU_DEP_1) | instskip(NEXT) | instid1(VALU_DEP_1)
	v_mul_i32_i24_e32 v63 /*v319*/, v61 /*v317*/, v63 /*v319*/
	v_add3_u32 v76 /*v332*/, v69 /*v325*/, v108 /*v364*/, v63 /*v319*/
	s_set_vgpr_msb 64                       ;  msbs: dst=1 src0=0 src1=0 src2=0
	v_and_b32_e32 v63 /*v319*/, 15, v117
	v_bfe_u32 v69 /*v325*/, v117, 24, 4
	s_set_vgpr_msb 0x45                     ;  msbs: dst=1 src0=1 src1=1 src2=0
	s_delay_alu instid0(VALU_DEP_2)
	v_mul_i32_i24_e32 v90 /*v346*/, v63 /*v319*/, v65 /*v321*/
	s_set_vgpr_msb 64                       ;  msbs: dst=1 src0=0 src1=0 src2=0
	v_bfe_u32 v65 /*v321*/, v117, 8, 4
	s_set_vgpr_msb 1                        ;  msbs: dst=0 src0=1 src1=0 src2=0
	v_mul_i32_i24_e32 v114, v69 /*v325*/, v114
	s_set_vgpr_msb 0x45                     ;  msbs: dst=1 src0=1 src1=1 src2=0
	s_delay_alu instid0(VALU_DEP_2) | instskip(SKIP_3) | instid1(VALU_DEP_2)
	v_mul_i32_i24_e32 v108 /*v364*/, v65 /*v321*/, v66 /*v322*/
	s_set_vgpr_msb 64                       ;  msbs: dst=1 src0=0 src1=0 src2=0
	v_bfe_u32 v66 /*v322*/, v117, 16, 4
	s_set_vgpr_msb 0x55                     ;  msbs: dst=1 src0=1 src1=1 src2=1
	v_add3_u32 v76 /*v332*/, v76 /*v332*/, v108 /*v364*/, v90 /*v346*/
	s_set_vgpr_msb 1                        ;  msbs: dst=0 src0=1 src1=0 src2=0
	s_delay_alu instid0(VALU_DEP_2) | instskip(SKIP_1) | instid1(VALU_DEP_1)
	v_mul_i32_i24_e32 v115, v66 /*v322*/, v115
	s_set_vgpr_msb 0x41                     ;  msbs: dst=1 src0=1 src1=0 src2=0
	v_add3_u32 v90 /*v346*/, v76 /*v332*/, v115, v114
	s_set_vgpr_msb 1                        ;  msbs: dst=0 src0=1 src1=0 src2=0
	ds_load_2addr_b32 v[114:115], v99 /*v355*/ offset0:4 offset1:5
	s_wait_dscnt 0x0
	s_set_vgpr_msb 64                       ;  msbs: dst=1 src0=0 src1=0 src2=0
	v_and_b32_e32 v76 /*v332*/, 15, v114
	s_set_vgpr_msb 0x45                     ;  msbs: dst=1 src0=1 src1=1 src2=0
	s_delay_alu instid0(VALU_DEP_1) | instskip(SKIP_3) | instid1(VALU_DEP_1)
	v_mul_i32_i24_e32 v108 /*v364*/, v76 /*v332*/, v78 /*v334*/
	s_set_vgpr_msb 64                       ;  msbs: dst=1 src0=0 src1=0 src2=0
	v_bfe_u32 v78 /*v334*/, v114, 8, 4
	s_set_vgpr_msb 0x45                     ;  msbs: dst=1 src0=1 src1=1 src2=0
	v_mul_i32_i24_e32 v109 /*v365*/, v78 /*v334*/, v81 /*v337*/
	s_set_vgpr_msb 64                       ;  msbs: dst=1 src0=0 src1=0 src2=0
	v_bfe_u32 v81 /*v337*/, v114, 16, 4
	s_set_vgpr_msb 0x55                     ;  msbs: dst=1 src0=1 src1=1 src2=1
	s_delay_alu instid0(VALU_DEP_2) | instskip(NEXT) | instid1(VALU_DEP_2)
	v_add3_u32 v90 /*v346*/, v90 /*v346*/, v109 /*v365*/, v108 /*v364*/
	v_mul_i32_i24_e32 v111 /*v367*/, v81 /*v337*/, v83 /*v339*/
	s_set_vgpr_msb 64                       ;  msbs: dst=1 src0=0 src1=0 src2=0
	v_bfe_u32 v83 /*v339*/, v114, 24, 4
	s_set_vgpr_msb 0x55                     ;  msbs: dst=1 src0=1 src1=1 src2=1
	s_delay_alu instid0(VALU_DEP_1) | instskip(NEXT) | instid1(VALU_DEP_1)
	v_mul_i32_i24_e32 v88 /*v344*/, v83 /*v339*/, v88 /*v344*/
	v_add3_u32 v108 /*v364*/, v90 /*v346*/, v111 /*v367*/, v88 /*v344*/
	s_set_vgpr_msb 64                       ;  msbs: dst=1 src0=0 src1=0 src2=0
	v_bfe_u32 v88 /*v344*/, v115, 8, 4
	v_and_b32_e32 v90 /*v346*/, 15, v115
	s_set_vgpr_msb 0x45                     ;  msbs: dst=1 src0=1 src1=1 src2=0
	s_delay_alu instid0(VALU_DEP_2) | instskip(NEXT) | instid1(VALU_DEP_2)
	v_mul_i32_i24_e32 v111 /*v367*/, v95 /*v351*/, v88 /*v344*/
	v_mul_i32_i24_e32 v109 /*v365*/, v91 /*v347*/, v90 /*v346*/
	s_set_vgpr_msb 64                       ;  msbs: dst=1 src0=0 src1=0 src2=0
	v_bfe_u32 v91 /*v347*/, v115, 24, 4
	v_bfe_u32 v95 /*v351*/, v115, 16, 4
	s_set_vgpr_msb 0x55                     ;  msbs: dst=1 src0=1 src1=1 src2=1
	v_add3_u32 v108 /*v364*/, v108 /*v364*/, v111 /*v367*/, v109 /*v365*/
	s_set_vgpr_msb 4                        ;  msbs: dst=0 src0=0 src1=1 src2=0
	v_mul_i32_i24_e32 v113, v113, v91 /*v347*/
	v_mul_i32_i24_e32 v112, v112, v95 /*v351*/
	s_set_vgpr_msb 0x41                     ;  msbs: dst=1 src0=1 src1=0 src2=0
	s_delay_alu instid0(VALU_DEP_1)
	v_add3_u32 v111 /*v367*/, v108 /*v364*/, v112, v113
	s_set_vgpr_msb 1                        ;  msbs: dst=0 src0=1 src1=0 src2=0
	ds_load_2addr_b32 v[112:113], v99 /*v355*/ offset0:6 offset1:7
	s_wait_dscnt 0x0
	s_set_vgpr_msb 64                       ;  msbs: dst=1 src0=0 src1=0 src2=0
	v_bfe_u32 v99 /*v355*/, v112, 8, 4
	v_and_b32_e32 v108 /*v364*/, 15, v112
	v_bfe_u32 v109 /*v365*/, v112, 24, 4
	v_bfe_u32 v113 /*v369*/, v112, 16, 4
	;; [unrolled: 1-line block ×3, first 2 shown]
	s_set_vgpr_msb 0x45                     ;  msbs: dst=1 src0=1 src1=1 src2=0
	v_mul_i32_i24_e32 v106 /*v362*/, v106 /*v362*/, v99 /*v355*/
	v_mul_i32_i24_e32 v105 /*v361*/, v105 /*v361*/, v108 /*v364*/
	;; [unrolled: 1-line block ×4, first 2 shown]
	s_set_vgpr_msb 64                       ;  msbs: dst=1 src0=0 src1=0 src2=0
	v_and_b32_e32 v122 /*v378*/, 15, v113
	s_set_vgpr_msb 0x55                     ;  msbs: dst=1 src0=1 src1=1 src2=1
	v_mul_i32_i24_e32 v102 /*v358*/, v102 /*v358*/, v119 /*v375*/
	v_add3_u32 v105 /*v361*/, v111 /*v367*/, v106 /*v362*/, v105 /*v361*/
	s_set_vgpr_msb 64                       ;  msbs: dst=1 src0=0 src1=0 src2=0
	v_bfe_u32 v123 /*v379*/, v113, 24, 4
	v_bfe_u32 v127 /*v383*/, v113, 16, 4
	;; [unrolled: 1-line block ×3, first 2 shown]
	v_lshrrev_b32_e32 v106 /*v362*/, 4, v115
	s_set_vgpr_msb 0x55                     ;  msbs: dst=1 src0=1 src1=1 src2=1
	v_add3_u32 v103 /*v359*/, v105 /*v361*/, v103 /*v359*/, v104 /*v360*/
	s_set_vgpr_msb 64                       ;  msbs: dst=1 src0=0 src1=0 src2=0
	v_lshrrev_b32_e32 v105 /*v361*/, 4, v114
	s_set_vgpr_msb 0x45                     ;  msbs: dst=1 src0=1 src1=1 src2=0
	v_mul_i32_i24_e32 v101 /*v357*/, v101 /*v357*/, v122 /*v378*/
	v_mul_i32_i24_e32 v34 /*v290*/, v34 /*v290*/, v123 /*v379*/
	s_set_vgpr_msb 4                        ;  msbs: dst=0 src0=0 src1=1 src2=0
	v_mul_i32_i24_e32 v108, v108, v127 /*v383*/
	s_set_vgpr_msb 0x45                     ;  msbs: dst=1 src0=1 src1=1 src2=0
	v_mul_i32_i24_e32 v178 /*v434*/, v114 /*v370*/, v116 /*v372*/
	s_set_vgpr_msb 64                       ;  msbs: dst=1 src0=0 src1=0 src2=0
	v_bfe_u32 v116 /*v372*/, v113, 12, 4
	s_set_vgpr_msb 0x55                     ;  msbs: dst=1 src0=1 src1=1 src2=1
	v_add3_u32 v101 /*v357*/, v103 /*v359*/, v102 /*v358*/, v101 /*v357*/
	s_set_vgpr_msb 64                       ;  msbs: dst=1 src0=0 src1=0 src2=0
	v_lshrrev_b32_e32 v103 /*v359*/, 4, v116
	s_set_vgpr_msb 0x44                     ;  msbs: dst=1 src0=0 src1=1 src2=0
	v_lshrrev_b16 v105 /*v361*/, 8, v105 /*v361*/
	s_set_vgpr_msb 64                       ;  msbs: dst=1 src0=0 src1=0 src2=0
	v_lshrrev_b32_e32 v102 /*v358*/, 4, v119
	s_set_vgpr_msb 0x45                     ;  msbs: dst=1 src0=1 src1=1 src2=0
	v_mul_i32_i24_e32 v211 /*v467*/, v116 /*v372*/, v25 /*v281*/
	s_set_vgpr_msb 0x51                     ;  msbs: dst=1 src0=1 src1=0 src2=1
	v_add3_u32 v176 /*v432*/, v101 /*v357*/, v108, v34 /*v290*/
	s_set_vgpr_msb 1                        ;  msbs: dst=0 src0=1 src1=0 src2=0
	ds_load_u16 v108, v107 /*v363*/
	s_set_vgpr_msb 0x41                     ;  msbs: dst=1 src0=1 src1=0 src2=0
	ds_load_u16 v179 /*v435*/, v107 /*v363*/ offset:8
	v_dual_lshrrev_b32 v107 /*v363*/, 4, v112 :: v_dual_lshrrev_b32 v101 /*v357*/, 4, v118
	s_set_vgpr_msb 0x44                     ;  msbs: dst=1 src0=0 src1=1 src2=0
	v_lshrrev_b16 v103 /*v359*/, 8, v103 /*v359*/
	s_set_vgpr_msb 64                       ;  msbs: dst=1 src0=0 src1=0 src2=0
	v_lshrrev_b32_e32 v104 /*v360*/, 4, v117
	s_set_vgpr_msb 0x44                     ;  msbs: dst=1 src0=0 src1=1 src2=0
	v_lshrrev_b16 v102 /*v358*/, 8, v102 /*v358*/
	v_lshrrev_b16 v107 /*v363*/, 8, v107 /*v363*/
	;; [unrolled: 1-line block ×3, first 2 shown]
	s_set_vgpr_msb 64                       ;  msbs: dst=1 src0=0 src1=0 src2=0
	v_lshrrev_b32_e32 v111 /*v367*/, 28, v118
	s_set_vgpr_msb 0x44                     ;  msbs: dst=1 src0=0 src1=1 src2=0
	v_lshrrev_b16 v104 /*v360*/, 8, v104 /*v360*/
	v_and_b32_e32 v210 /*v466*/, 15, v107 /*v363*/
	v_bfe_u32 v107 /*v363*/, v113, 20, 4
	s_set_vgpr_msb 0x45                     ;  msbs: dst=1 src0=1 src1=1 src2=0
	s_delay_alu instid0(VALU_DEP_1)
	v_mul_i32_i24_e32 v177 /*v433*/, v107 /*v363*/, v120 /*v376*/
	s_set_vgpr_msb 64                       ;  msbs: dst=1 src0=0 src1=0 src2=0
	v_lshrrev_b32_e32 v120 /*v376*/, 28, v113
	s_wait_dscnt 0x1
	v_lshrrev_b16 v180 /*v436*/, 8, v108
	v_and_b32_e32 v34 /*v290*/, 0xff, v108
	s_wait_dscnt 0x0
	s_set_vgpr_msb 1                        ;  msbs: dst=0 src0=1 src1=0 src2=0
	v_cvt_f32_ubyte0_e32 v108, v179 /*v435*/
	v_mul_i32_i24_e32 v113, v120 /*v376*/, v106
	v_cvt_f32_ubyte1_e32 v106, v179 /*v435*/
	s_set_vgpr_msb 64                       ;  msbs: dst=1 src0=0 src1=0 src2=0
	v_or_b32_e32 v179 /*v435*/, s13, v131
	s_set_vgpr_msb 0x44                     ;  msbs: dst=1 src0=0 src1=1 src2=0
	v_and_b32_e32 v204 /*v460*/, 15, v101 /*v357*/
	v_and_b32_e32 v25 /*v281*/, 0xffff, v180 /*v436*/
	;; [unrolled: 1-line block ×3, first 2 shown]
	s_set_vgpr_msb 64                       ;  msbs: dst=1 src0=0 src1=0 src2=0
	v_lshrrev_b32_e32 v101 /*v357*/, 28, v119
	s_set_vgpr_msb 0x44                     ;  msbs: dst=1 src0=0 src1=1 src2=0
	v_lshlrev_b32_e32 v192 /*v448*/, 2, v179 /*v435*/
	s_set_vgpr_msb 0x41                     ;  msbs: dst=1 src0=1 src1=0 src2=0
	ds_load_b128 v[180:183] /*v[436:439]*/, v192 /*v448*/ offset:16896
	ds_load_b128 v[184:187] /*v[440:443]*/, v192 /*v448*/ offset:16912
	;; [unrolled: 1-line block ×4, first 2 shown]
	s_set_vgpr_msb 0x44                     ;  msbs: dst=1 src0=0 src1=1 src2=0
	v_and_b32_e32 v206 /*v462*/, 15, v103 /*v359*/
	v_and_b32_e32 v208 /*v464*/, 15, v105 /*v361*/
	s_set_vgpr_msb 64                       ;  msbs: dst=1 src0=0 src1=0 src2=0
	v_lshrrev_b32_e32 v105 /*v361*/, 28, v115
	s_set_vgpr_msb 0x45                     ;  msbs: dst=1 src0=1 src1=1 src2=0
	v_lshrrev_b16 v106 /*v362*/, 8, v106 /*v362*/
	v_dual_lshrrev_b32 v179 /*v435*/, 1, v179 /*v435*/ :: v_dual_bitop2_b32 v207 /*v463*/, 15, v104 /*v360*/ bitop3:0x40
	v_mul_i32_i24_e32 v161 /*v417*/, v101 /*v357*/, v161 /*v417*/
	s_set_vgpr_msb 64                       ;  msbs: dst=1 src0=0 src1=0 src2=0
	v_lshrrev_b32_e32 v102 /*v358*/, 28, v116
	s_set_vgpr_msb 0x44                     ;  msbs: dst=1 src0=0 src1=1 src2=0
	v_and_b32_e32 v209 /*v465*/, 15, v106 /*v362*/
	s_set_vgpr_msb 0x41                     ;  msbs: dst=1 src0=1 src1=0 src2=0
	v_dual_lshrrev_b32 v103 /*v359*/, 28, v117 :: v_dual_lshrrev_b32 v104 /*v360*/, 28, v114
	v_lshrrev_b32_e32 v106 /*v362*/, 28, v112
	s_wait_dscnt 0x3
	v_bfe_i32 v212 /*v468*/, v180 /*v436*/, 0, 8
	v_bfe_i32 v213 /*v469*/, v180 /*v436*/, 8, 8
	;; [unrolled: 1-line block ×3, first 2 shown]
	s_set_vgpr_msb 0x44                     ;  msbs: dst=1 src0=0 src1=1 src2=0
	v_ashrrev_i32_e32 v215 /*v471*/, 24, v180 /*v436*/
	s_set_vgpr_msb 0x41                     ;  msbs: dst=1 src0=1 src1=0 src2=0
	v_bfe_i32 v220 /*v476*/, v182 /*v438*/, 0, 8
	v_bfe_i32 v221 /*v477*/, v182 /*v438*/, 8, 8
	;; [unrolled: 1-line block ×3, first 2 shown]
	s_set_vgpr_msb 0x55                     ;  msbs: dst=1 src0=1 src1=1 src2=1
	v_ashrrev_i32_e32 v223 /*v479*/, 24, v182 /*v438*/
	v_mul_i32_i24_e32 v182 /*v438*/, v212 /*v468*/, v27 /*v283*/
	v_bfe_i32 v216 /*v472*/, v181 /*v437*/, 0, 8
	v_bfe_i32 v217 /*v473*/, v181 /*v437*/, 8, 8
	;; [unrolled: 1-line block ×5, first 2 shown]
	v_ashrrev_i32_e32 v227 /*v483*/, 24, v183 /*v439*/
	s_wait_dscnt 0x2
	v_bfe_i32 v228 /*v484*/, v184 /*v440*/, 0, 8
	v_bfe_i32 v229 /*v485*/, v184 /*v440*/, 8, 8
	;; [unrolled: 1-line block ×3, first 2 shown]
	v_ashrrev_i32_e32 v231 /*v487*/, 24, v184 /*v440*/
	v_mul_i32_i24_e32 v183 /*v439*/, v214 /*v470*/, v28 /*v284*/
	v_mul_i32_i24_e32 v184 /*v440*/, v215 /*v471*/, v29 /*v285*/
	v_mad_i32_i24 v182 /*v438*/, v213 /*v469*/, v26 /*v282*/, v182 /*v438*/
	v_bfe_i32 v218 /*v474*/, v181 /*v437*/, 16, 8
	v_ashrrev_i32_e32 v219 /*v475*/, 24, v181 /*v437*/
	v_bfe_i32 v232 /*v488*/, v185 /*v441*/, 0, 8
	v_bfe_i32 v233 /*v489*/, v185 /*v441*/, 8, 8
	v_add3_u32 v182 /*v438*/, v182 /*v438*/, v183 /*v439*/, v184 /*v440*/
	v_mul_i32_i24_e32 v183 /*v439*/, v216 /*v472*/, v30 /*v286*/
	v_mul_i32_i24_e32 v184 /*v440*/, v217 /*v473*/, v31 /*v287*/
	v_bfe_i32 v234 /*v490*/, v185 /*v441*/, 16, 8
	v_dual_ashrrev_i32 v235 /*v491*/, 24, v185 /*v441*/ :: v_dual_ashrrev_i32 v239 /*v495*/, 24, v186 /*v442*/
	v_bfe_i32 v240 /*v496*/, v187 /*v443*/, 0, 8
	v_bfe_i32 v241 /*v497*/, v187 /*v443*/, 8, 8
	;; [unrolled: 1-line block ×3, first 2 shown]
	ds_load_b64 v[180:181] /*v[436:437]*/, v179 /*v435*/ offset:27200
	v_ashrrev_i32_e32 v243 /*v499*/, 24, v187 /*v443*/
	v_mul_i32_i24_e32 v185 /*v441*/, v218 /*v474*/, v32 /*v288*/
	v_mul_i32_i24_e32 v187 /*v443*/, v219 /*v475*/, v33 /*v289*/
	v_add3_u32 v182 /*v438*/, v182 /*v438*/, v183 /*v439*/, v184 /*v440*/
	v_mul_i32_i24_e32 v196 /*v452*/, v220 /*v476*/, v35 /*v291*/
	v_mul_i32_i24_e32 v197 /*v453*/, v221 /*v477*/, v36 /*v292*/
	v_mul_i32_i24_e32 v198 /*v454*/, v222 /*v478*/, v37 /*v293*/
	v_mul_i32_i24_e32 v199 /*v455*/, v223 /*v479*/, v38 /*v294*/
	v_add3_u32 v182 /*v438*/, v182 /*v438*/, v185 /*v441*/, v187 /*v443*/
	v_mul_i32_i24_e32 v200 /*v456*/, v224 /*v480*/, v39 /*v295*/
	v_mul_i32_i24_e32 v201 /*v457*/, v225 /*v481*/, v41 /*v297*/
	;; [unrolled: 5-line block ×4, first 2 shown]
	v_bfe_i32 v236 /*v492*/, v186 /*v442*/, 0, 8
	v_bfe_i32 v237 /*v493*/, v186 /*v442*/, 8, 8
	v_add3_u32 v182 /*v438*/, v182 /*v438*/, v200 /*v456*/, v201 /*v457*/
	s_set_vgpr_msb 5                        ;  msbs: dst=0 src0=1 src1=1 src2=0
	v_mul_i32_i24_e32 v13, v62 /*v318*/, v234 /*v490*/
	v_mul_i32_i24_e32 v15, v59 /*v315*/, v235 /*v491*/
	s_set_vgpr_msb 0x41                     ;  msbs: dst=1 src0=1 src1=0 src2=0
	v_bfe_i32 v238 /*v494*/, v186 /*v442*/, 16, 8
	s_set_vgpr_msb 5                        ;  msbs: dst=0 src0=1 src1=1 src2=0
	v_mul_i32_i24_e32 v21, v67 /*v323*/, v236 /*v492*/
	s_set_vgpr_msb 0x55                     ;  msbs: dst=1 src0=1 src1=1 src2=1
	v_add3_u32 v182 /*v438*/, v182 /*v438*/, v202 /*v458*/, v203 /*v459*/
	s_set_vgpr_msb 5                        ;  msbs: dst=0 src0=1 src1=1 src2=0
	v_mul_i32_i24_e32 v27, v64 /*v320*/, v237 /*v493*/
	v_mul_i32_i24_e32 v31, v68 /*v324*/, v239 /*v495*/
	v_mul_i32_i24_e32 v29, v71 /*v327*/, v238 /*v494*/
	v_mul_i32_i24_e32 v42, v79 /*v335*/, v240 /*v496*/
	s_set_vgpr_msb 0x55                     ;  msbs: dst=1 src0=1 src1=1 src2=1
	v_add3_u32 v182 /*v438*/, v182 /*v438*/, v250 /*v506*/, v251 /*v507*/
	s_set_vgpr_msb 5                        ;  msbs: dst=0 src0=1 src1=1 src2=0
	v_mul_i32_i24_e32 v44, v74 /*v330*/, v241 /*v497*/
	s_wait_dscnt 0x0
	s_set_vgpr_msb 0x44                     ;  msbs: dst=1 src0=0 src1=1 src2=0
	v_lshrrev_b32_e32 v179 /*v435*/, 16, v180 /*v436*/
	s_set_vgpr_msb 5                        ;  msbs: dst=0 src0=1 src1=1 src2=0
	v_mul_i32_i24_e32 v46, v84 /*v340*/, v242 /*v498*/
	v_mul_i32_i24_e32 v84, v80 /*v336*/, v243 /*v499*/
	s_set_vgpr_msb 0x55                     ;  msbs: dst=1 src0=1 src1=1 src2=1
	v_add3_u32 v182 /*v438*/, v182 /*v438*/, v252 /*v508*/, v253 /*v509*/
	v_bfe_i32 v247 /*v503*/, v195 /*v451*/, 0, 8
	v_bfe_i32 v248 /*v504*/, v195 /*v451*/, 8, 8
	;; [unrolled: 1-line block ×3, first 2 shown]
	v_dual_ashrrev_i32 v195 /*v451*/, 24, v195 /*v451*/ :: v_dual_lshrrev_b32 v186 /*v442*/, 16, v181 /*v437*/
	v_add3_u32 v182 /*v438*/, v182 /*v438*/, v254 /*v510*/, v255 /*v511*/
	v_cvt_f32_f16_e64 v183 /*v439*/, v180 /*v436*/
	v_cvt_f32_f16_e64 v185 /*v441*/, v179 /*v435*/
	;; [unrolled: 1-line block ×3, first 2 shown]
	s_set_vgpr_msb 64                       ;  msbs: dst=1 src0=0 src1=0 src2=0
	v_cvt_f32_f16_e64 v180 /*v436*/, v111
	s_set_vgpr_msb 1                        ;  msbs: dst=0 src0=1 src1=0 src2=0
	v_add3_u32 v13, v182 /*v438*/, v13, v15
	s_set_vgpr_msb 64                       ;  msbs: dst=1 src0=0 src1=0 src2=0
	v_cvt_f32_f16_e64 v182 /*v438*/, v110
	s_set_vgpr_msb 1                        ;  msbs: dst=0 src0=1 src1=0 src2=0
	v_cvt_f32_f16_e64 v110, v135 /*v391*/
	v_cvt_f32_f16_e64 v111, v186 /*v442*/
	s_set_vgpr_msb 0x41                     ;  msbs: dst=1 src0=1 src1=0 src2=0
	v_mul_i32_i24_e32 v179 /*v435*/, v224 /*v480*/, v229
	s_set_vgpr_msb 0                        ;  msbs: dst=0 src0=0 src1=0 src2=0
	v_add3_u32 v13, v13, v21, v27
	s_set_vgpr_msb 0x41                     ;  msbs: dst=1 src0=1 src1=0 src2=0
	v_mul_i32_i24_e32 v198 /*v454*/, v225 /*v481*/, v230
	v_mul_i32_i24_e32 v199 /*v455*/, v226 /*v482*/, v231
	v_mul_i32_i24_e32 v200 /*v456*/, v227 /*v483*/, v232
	v_mul_i32_i24_e32 v201 /*v457*/, v228 /*v484*/, v233
	s_set_vgpr_msb 0                        ;  msbs: dst=0 src0=0 src1=0 src2=0
	v_add3_u32 v13, v13, v29, v31
	s_set_vgpr_msb 1                        ;  msbs: dst=0 src0=1 src1=0 src2=0
	v_mul_lo_u32 v31, v167 /*v423*/, v101
	s_set_vgpr_msb 0x41                     ;  msbs: dst=1 src0=1 src1=0 src2=0
	v_mul_i32_i24_e32 v167 /*v423*/, v223 /*v479*/, v228
	v_mul_i32_i24_e32 v202 /*v458*/, v229 /*v485*/, v234
	;; [unrolled: 1-line block ×3, first 2 shown]
	s_set_vgpr_msb 0                        ;  msbs: dst=0 src0=0 src1=0 src2=0
	v_add3_u32 v13, v13, v42, v44
	s_set_vgpr_msb 1                        ;  msbs: dst=0 src0=1 src1=0 src2=0
	v_mul_i32_i24_e32 v42, v215 /*v471*/, v220
	v_mul_i32_i24_e32 v44, v218 /*v474*/, v223
	s_set_vgpr_msb 0x41                     ;  msbs: dst=1 src0=1 src1=0 src2=0
	v_mul_i32_i24_e32 v250 /*v506*/, v231 /*v487*/, v236
	s_set_vgpr_msb 0x44                     ;  msbs: dst=1 src0=0 src1=1 src2=0
	v_mul_i32_i24_e32 v251 /*v507*/, v238, v232 /*v488*/
	s_set_vgpr_msb 0                        ;  msbs: dst=0 src0=0 src1=0 src2=0
	v_add3_u32 v13, v13, v46, v84
	s_set_vgpr_msb 1                        ;  msbs: dst=0 src0=1 src1=0 src2=0
	v_mul_i32_i24_e32 v46, v219 /*v475*/, v224
	s_set_vgpr_msb 64                       ;  msbs: dst=1 src0=0 src1=0 src2=0
	v_cvt_f32_i32_e32 v134 /*v390*/, v31
	s_set_vgpr_msb 1                        ;  msbs: dst=0 src0=1 src1=0 src2=0
	v_mul_i32_i24_e32 v31, v214 /*v470*/, v219
	v_mul_i32_i24_e32 v84, v220 /*v476*/, v225
	s_set_vgpr_msb 0                        ;  msbs: dst=0 src0=0 src1=0 src2=0
	v_mul_lo_u32 v13, v13, v101
	s_set_vgpr_msb 0x44                     ;  msbs: dst=1 src0=0 src1=1 src2=0
	v_mul_i32_i24_e32 v252 /*v508*/, v237, v233 /*v489*/
	v_mul_i32_i24_e32 v253 /*v509*/, v240, v234 /*v490*/
	;; [unrolled: 1-line block ×4, first 2 shown]
	s_set_vgpr_msb 4                        ;  msbs: dst=0 src0=0 src1=1 src2=0
	v_mul_i32_i24_e32 v8, v241, v237 /*v493*/
	v_mul_i32_i24_e32 v12, v245, v238 /*v494*/
	;; [unrolled: 1-line block ×6, first 2 shown]
	s_set_vgpr_msb 64                       ;  msbs: dst=1 src0=0 src1=0 src2=0
	v_cvt_f32_i32_e32 v135 /*v391*/, v13
	s_set_vgpr_msb 1                        ;  msbs: dst=0 src0=1 src1=0 src2=0
	v_mul_i32_i24_e32 v13, v212 /*v468*/, v218
	s_set_vgpr_msb 4                        ;  msbs: dst=0 src0=0 src1=1 src2=0
	v_mul_i32_i24_e32 v22, v252, v243 /*v499*/
	v_mul_i32_i24_e32 v126, v176, v237 /*v493*/
	;; [unrolled: 1-line block ×3, first 2 shown]
	s_set_vgpr_msb 0x45                     ;  msbs: dst=1 src0=1 src1=1 src2=0
	v_pk_fma_f32 v[186:187] /*v[442:443]*/, v[182:183] /*v[438:439]*/, v[134:135] /*v[390:391]*/, 0 op_sel_hi:[1,1,0]
	s_set_vgpr_msb 1                        ;  msbs: dst=0 src0=1 src1=0 src2=0
	v_mad_i32_i24 v13, v213 /*v469*/, v217, v13
	s_set_vgpr_msb 0x44                     ;  msbs: dst=1 src0=0 src1=1 src2=0
	v_pk_fma_f32 v[134:135] /*v[390:391]*/, v[98:99], v[184:185] /*v[440:441]*/, 0 op_sel_hi:[0,1,0]
	s_set_vgpr_msb 4                        ;  msbs: dst=0 src0=0 src1=1 src2=0
	v_mul_i32_i24_e32 v26, v178, v239 /*v495*/
	v_mul_i32_i24_e32 v28, v186, v240 /*v496*/
	;; [unrolled: 1-line block ×3, first 2 shown]
	s_set_vgpr_msb 0                        ;  msbs: dst=0 src0=0 src1=0 src2=0
	v_add3_u32 v13, v13, v31, v42
	s_set_vgpr_msb 1                        ;  msbs: dst=0 src0=1 src1=0 src2=0
	v_mul_i32_i24_e32 v31, v216 /*v472*/, v221
	v_mul_i32_i24_e32 v42, v217 /*v473*/, v222
	s_set_vgpr_msb 0x50                     ;  msbs: dst=1 src0=0 src1=0 src2=1
	v_pk_fma_f32 v[134:135] /*v[390:391]*/, v[100:101], v[110:111], v[134:135] /*v[390:391]*/ op_sel_hi:[0,1,1]
	s_set_vgpr_msb 4                        ;  msbs: dst=0 src0=0 src1=1 src2=0
	v_mul_i32_i24_e32 v38, v189, v242 /*v498*/
	v_mul_i32_i24_e32 v40, v187, v243 /*v499*/
	s_set_vgpr_msb 0x44                     ;  msbs: dst=1 src0=0 src1=1 src2=0
	v_lshrrev_b16 v244 /*v500*/, 8, v192 /*v448*/
	s_set_vgpr_msb 0                        ;  msbs: dst=0 src0=0 src1=0 src2=0
	v_add3_u32 v13, v13, v31, v42
	s_set_vgpr_msb 0x41                     ;  msbs: dst=1 src0=1 src1=0 src2=0
	v_pk_mul_f32 v[196:197] /*v[452:453]*/, v[134:135] /*v[390:391]*/, v[86:87]
	v_mul_i32_i24_e32 v134 /*v390*/, v221 /*v477*/, v226
	v_mul_i32_i24_e32 v135 /*v391*/, v222 /*v478*/, v227
	s_set_vgpr_msb 1                        ;  msbs: dst=0 src0=1 src1=0 src2=0
	v_mul_i32_i24_e32 v31, v219 /*v475*/, v159
	s_set_vgpr_msb 0                        ;  msbs: dst=0 src0=0 src1=0 src2=0
	v_add3_u32 v13, v13, v44, v46
	s_set_vgpr_msb 1                        ;  msbs: dst=0 src0=1 src1=0 src2=0
	v_mul_i32_i24_e32 v42, v220 /*v476*/, v160
	v_mul_i32_i24_e32 v44, v221 /*v477*/, v161
	v_mul_i32_i24_e32 v46, v222 /*v478*/, v162
	s_set_vgpr_msb 0x44                     ;  msbs: dst=1 src0=0 src1=1 src2=0
	v_lshrrev_b16 v245 /*v501*/, 8, v193 /*v449*/
	s_set_vgpr_msb 16                       ;  msbs: dst=0 src0=0 src1=0 src2=1
	v_add3_u32 v13, v13, v84, v134 /*v390*/
	s_set_vgpr_msb 1                        ;  msbs: dst=0 src0=1 src1=0 src2=0
	v_mul_i32_i24_e32 v84, v223 /*v479*/, v163
	s_set_vgpr_msb 0x44                     ;  msbs: dst=1 src0=0 src1=1 src2=0
	v_lshrrev_b16 v246 /*v502*/, 8, v194 /*v450*/
	s_set_vgpr_msb 5                        ;  msbs: dst=0 src0=1 src1=1 src2=0
	v_mul_i32_i24_e32 v15, v247 /*v503*/, v131 /*v387*/
	v_mul_i32_i24_e32 v21, v248 /*v504*/, v132 /*v388*/
	s_set_vgpr_msb 20                       ;  msbs: dst=0 src0=0 src1=1 src2=1
	v_add3_u32 v13, v13, v135 /*v391*/, v167 /*v423*/
	s_set_vgpr_msb 0x41                     ;  msbs: dst=1 src0=1 src1=0 src2=0
	v_mul_i32_i24_e32 v167 /*v423*/, v226 /*v482*/, v166
	s_set_vgpr_msb 5                        ;  msbs: dst=0 src0=1 src1=1 src2=0
	v_mul_i32_i24_e32 v27, v249 /*v505*/, v129 /*v385*/
	v_mul_i32_i24_e32 v29, v195 /*v451*/, v133 /*v389*/
	s_set_vgpr_msb 0x41                     ;  msbs: dst=1 src0=1 src1=0 src2=0
	v_cvt_f32_f16_e64 v181 /*v437*/, v181 /*v437*/
	s_set_vgpr_msb 20                       ;  msbs: dst=0 src0=0 src1=1 src2=1
	v_add3_u32 v13, v13, v179 /*v435*/, v198 /*v454*/
	s_set_vgpr_msb 0x41                     ;  msbs: dst=1 src0=1 src1=0 src2=0
	v_mul_i32_i24_e32 v179 /*v435*/, v228 /*v484*/, v168
	s_set_vgpr_msb 20                       ;  msbs: dst=0 src0=0 src1=1 src2=1
	s_delay_alu instid0(VALU_DEP_2) | instskip(NEXT) | instid1(VALU_DEP_1)
	v_add3_u32 v13, v13, v199 /*v455*/, v200 /*v456*/
	v_add3_u32 v13, v13, v201 /*v457*/, v202 /*v458*/
	s_set_vgpr_msb 0x41                     ;  msbs: dst=1 src0=1 src1=0 src2=0
	v_mul_i32_i24_e32 v202 /*v458*/, v229 /*v485*/, v169
	s_set_vgpr_msb 20                       ;  msbs: dst=0 src0=0 src1=1 src2=1
	s_delay_alu instid0(VALU_DEP_2)
	v_add3_u32 v13, v13, v203 /*v459*/, v250 /*v506*/
	s_set_vgpr_msb 0x41                     ;  msbs: dst=1 src0=1 src1=0 src2=0
	v_mul_i32_i24_e32 v203 /*v459*/, v230 /*v486*/, v170
	v_mul_i32_i24_e32 v250 /*v506*/, v231 /*v487*/, v171
	s_set_vgpr_msb 20                       ;  msbs: dst=0 src0=0 src1=1 src2=1
	v_add3_u32 v13, v13, v251 /*v507*/, v252 /*v508*/
	s_set_vgpr_msb 0x44                     ;  msbs: dst=1 src0=0 src1=1 src2=0
	v_mul_i32_i24_e32 v251 /*v507*/, v173, v232 /*v488*/
	v_mul_i32_i24_e32 v252 /*v508*/, v172, v233 /*v489*/
	s_set_vgpr_msb 20                       ;  msbs: dst=0 src0=0 src1=1 src2=1
	v_add3_u32 v13, v13, v253 /*v509*/, v254 /*v510*/
	s_set_vgpr_msb 0x44                     ;  msbs: dst=1 src0=0 src1=1 src2=0
	v_mul_i32_i24_e32 v253 /*v509*/, v175, v234 /*v490*/
	v_mul_i32_i24_e32 v254 /*v510*/, v174, v235 /*v491*/
	s_set_vgpr_msb 4                        ;  msbs: dst=0 src0=0 src1=1 src2=0
	v_add3_u32 v8, v13, v255 /*v511*/, v8
	s_set_vgpr_msb 0x44                     ;  msbs: dst=1 src0=0 src1=1 src2=0
	v_mul_i32_i24_e32 v255 /*v511*/, v177, v236 /*v492*/
	s_set_vgpr_msb 5                        ;  msbs: dst=0 src0=1 src1=1 src2=0
	v_mul_i32_i24_e32 v13, v248 /*v504*/, v23 /*v279*/
	s_set_vgpr_msb 0                        ;  msbs: dst=0 src0=0 src1=0 src2=0
	v_add3_u32 v8, v8, v12, v14
	s_set_vgpr_msb 5                        ;  msbs: dst=0 src0=1 src1=1 src2=0
	v_mul_i32_i24_e32 v12, v247 /*v503*/, v22 /*v278*/
	v_mul_i32_i24_e32 v14, v249 /*v505*/, v20 /*v276*/
	s_set_vgpr_msb 0                        ;  msbs: dst=0 src0=0 src1=0 src2=0
	v_add3_u32 v8, v8, v16, v18
	s_set_vgpr_msb 1                        ;  msbs: dst=0 src0=1 src1=0 src2=0
	v_mul_lo_u32 v18, v174 /*v430*/, v216
	s_set_vgpr_msb 0x41                     ;  msbs: dst=1 src0=1 src1=0 src2=0
	v_mul_i32_i24_e32 v174 /*v430*/, v227 /*v483*/, v167
	s_set_vgpr_msb 5                        ;  msbs: dst=0 src0=1 src1=1 src2=0
	v_mul_i32_i24_e32 v16, v195 /*v451*/, v24 /*v280*/
	s_set_vgpr_msb 0                        ;  msbs: dst=0 src0=0 src1=0 src2=0
	v_add3_u32 v8, v8, v20, v22
	s_set_vgpr_msb 1                        ;  msbs: dst=0 src0=1 src1=0 src2=0
	v_mul_i32_i24_e32 v20, v215 /*v471*/, v155
	v_mul_i32_i24_e32 v22, v218 /*v474*/, v158
	s_set_vgpr_msb 0                        ;  msbs: dst=0 src0=0 src1=0 src2=0
	v_mul_lo_u32 v8, v8, v216
	s_set_vgpr_msb 64                       ;  msbs: dst=1 src0=0 src1=0 src2=0
	v_cvt_f32_i32_e32 v134 /*v390*/, v18
	s_set_vgpr_msb 1                        ;  msbs: dst=0 src0=1 src1=0 src2=0
	v_mul_i32_i24_e32 v18, v214 /*v470*/, v153
	s_set_vgpr_msb 64                       ;  msbs: dst=1 src0=0 src1=0 src2=0
	s_delay_alu instid0(VALU_DEP_3) | instskip(SKIP_3) | instid1(VALU_DEP_2)
	v_cvt_f32_i32_e32 v135 /*v391*/, v8
	s_set_vgpr_msb 1                        ;  msbs: dst=0 src0=1 src1=0 src2=0
	v_mul_i32_i24_e32 v8, v212 /*v468*/, v152
	s_set_vgpr_msb 0x45                     ;  msbs: dst=1 src0=1 src1=1 src2=0
	v_pk_fma_f32 v[198:199] /*v[454:455]*/, v[182:183] /*v[438:439]*/, v[134:135] /*v[390:391]*/, 0 op_sel_hi:[1,1,0]
	s_set_vgpr_msb 1                        ;  msbs: dst=0 src0=1 src1=0 src2=0
	s_delay_alu instid0(VALU_DEP_2) | instskip(SKIP_3) | instid1(VALU_DEP_2)
	v_mad_i32_i24 v8, v213 /*v469*/, v151, v8
	s_set_vgpr_msb 0x44                     ;  msbs: dst=1 src0=0 src1=1 src2=0
	v_pk_fma_f32 v[134:135] /*v[390:391]*/, v[102:103], v[184:185] /*v[440:441]*/, 0 op_sel_hi:[0,1,0]
	s_set_vgpr_msb 0                        ;  msbs: dst=0 src0=0 src1=0 src2=0
	v_add3_u32 v8, v8, v18, v20
	s_set_vgpr_msb 1                        ;  msbs: dst=0 src0=1 src1=0 src2=0
	v_mul_i32_i24_e32 v18, v216 /*v472*/, v156
	v_mul_i32_i24_e32 v20, v217 /*v473*/, v157
	s_set_vgpr_msb 0x50                     ;  msbs: dst=1 src0=0 src1=0 src2=1
	v_pk_fma_f32 v[134:135] /*v[390:391]*/, v[104:105], v[110:111], v[134:135] /*v[390:391]*/ op_sel_hi:[0,1,1]
	s_set_vgpr_msb 0                        ;  msbs: dst=0 src0=0 src1=0 src2=0
	s_delay_alu instid0(VALU_DEP_2) | instskip(SKIP_1) | instid1(VALU_DEP_2)
	v_add3_u32 v8, v8, v18, v20
	s_set_vgpr_msb 0x41                     ;  msbs: dst=1 src0=1 src1=0 src2=0
	v_pk_mul_f32 v[200:201] /*v[456:457]*/, v[134:135] /*v[390:391]*/, v[88:89]
	v_mul_i32_i24_e32 v134 /*v390*/, v224 /*v480*/, v164
	v_mul_i32_i24_e32 v135 /*v391*/, v225 /*v481*/, v165
	s_set_vgpr_msb 1                        ;  msbs: dst=0 src0=1 src1=0 src2=0
	v_mul_i32_i24_e32 v18, v247 /*v503*/, v213
	s_set_vgpr_msb 0                        ;  msbs: dst=0 src0=0 src1=0 src2=0
	v_add3_u32 v8, v8, v22, v31
	s_set_vgpr_msb 5                        ;  msbs: dst=0 src0=1 src1=1 src2=0
	v_mul_i32_i24_e32 v31, v219 /*v475*/, v52 /*v308*/
	s_set_vgpr_msb 1                        ;  msbs: dst=0 src0=1 src1=0 src2=0
	v_mul_i32_i24_e32 v20, v248 /*v504*/, v214
	v_mul_i32_i24_e32 v22, v249 /*v505*/, v211
	s_set_vgpr_msb 0x45                     ;  msbs: dst=1 src0=1 src1=1 src2=0
	v_mul_i32_i24_e32 v219 /*v475*/, v113 /*v369*/, v238 /*v494*/
	s_set_vgpr_msb 0                        ;  msbs: dst=0 src0=0 src1=0 src2=0
	v_add3_u32 v8, v8, v42, v44
	s_set_vgpr_msb 5                        ;  msbs: dst=0 src0=1 src1=1 src2=0
	v_mul_i32_i24_e32 v42, v222 /*v478*/, v60 /*v316*/
	v_mul_i32_i24_e32 v44, v223 /*v479*/, v61 /*v317*/
	s_set_vgpr_msb 0x45                     ;  msbs: dst=1 src0=1 src1=1 src2=0
	v_mul_i32_i24_e32 v222 /*v478*/, v119 /*v375*/, v241 /*v497*/
	v_mul_i32_i24_e32 v223 /*v479*/, v127 /*v383*/, v242 /*v498*/
	s_set_vgpr_msb 0                        ;  msbs: dst=0 src0=0 src1=0 src2=0
	v_add3_u32 v8, v8, v46, v84
	s_set_vgpr_msb 5                        ;  msbs: dst=0 src0=1 src1=1 src2=0
	v_mul_i32_i24_e32 v46, v224 /*v480*/, v63 /*v319*/
	v_mul_i32_i24_e32 v84, v225 /*v481*/, v65 /*v321*/
	s_set_vgpr_msb 0x45                     ;  msbs: dst=1 src0=1 src1=1 src2=0
	v_mul_i32_i24_e32 v224 /*v480*/, v123 /*v379*/, v243 /*v499*/
	s_set_vgpr_msb 20                       ;  msbs: dst=0 src0=0 src1=1 src2=1
	v_add3_u32 v8, v8, v134 /*v390*/, v135 /*v391*/
	s_delay_alu instid0(VALU_DEP_1) | instskip(SKIP_3) | instid1(VALU_DEP_2)
	v_add3_u32 v8, v8, v167 /*v423*/, v174 /*v430*/
	s_set_vgpr_msb 0x45                     ;  msbs: dst=1 src0=1 src1=1 src2=0
	v_mul_i32_i24_e32 v167 /*v423*/, v229 /*v485*/, v78 /*v334*/
	s_set_vgpr_msb 20                       ;  msbs: dst=0 src0=0 src1=1 src2=1
	v_add3_u32 v8, v8, v179 /*v435*/, v202 /*v458*/
	s_set_vgpr_msb 0x45                     ;  msbs: dst=1 src0=1 src1=1 src2=0
	v_mul_i32_i24_e32 v179 /*v435*/, v230 /*v486*/, v81 /*v337*/
	s_set_vgpr_msb 20                       ;  msbs: dst=0 src0=0 src1=1 src2=1
	s_delay_alu instid0(VALU_DEP_2) | instskip(NEXT) | instid1(VALU_DEP_1)
	v_add3_u32 v8, v8, v203 /*v459*/, v250 /*v506*/
	v_add3_u32 v8, v8, v251 /*v507*/, v252 /*v508*/
	s_delay_alu instid0(VALU_DEP_1) | instskip(SKIP_1) | instid1(VALU_DEP_1)
	v_add3_u32 v8, v8, v253 /*v509*/, v254 /*v510*/
	s_set_vgpr_msb 4                        ;  msbs: dst=0 src0=0 src1=1 src2=0
	v_add3_u32 v8, v8, v255 /*v511*/, v126
	s_set_vgpr_msb 5                        ;  msbs: dst=0 src0=1 src1=1 src2=0
	v_mul_i32_i24_e32 v126, v226 /*v482*/, v66 /*v322*/
	s_set_vgpr_msb 0                        ;  msbs: dst=0 src0=0 src1=0 src2=0
	s_delay_alu instid0(VALU_DEP_2)
	v_add3_u32 v8, v8, v24, v26
	s_set_vgpr_msb 1                        ;  msbs: dst=0 src0=1 src1=0 src2=0
	v_mul_lo_u32 v26, v175 /*v431*/, v150
	v_mul_i32_i24_e32 v24, v195 /*v451*/, v215
	s_set_vgpr_msb 0                        ;  msbs: dst=0 src0=0 src1=0 src2=0
	v_add3_u32 v8, v8, v28, v30
	s_set_vgpr_msb 5                        ;  msbs: dst=0 src0=1 src1=1 src2=0
	v_mul_i32_i24_e32 v28, v215 /*v471*/, v46 /*v302*/
	v_mul_i32_i24_e32 v30, v218 /*v474*/, v50 /*v306*/
	s_set_vgpr_msb 0x45                     ;  msbs: dst=1 src0=1 src1=1 src2=0
	v_mul_i32_i24_e32 v215 /*v471*/, v95 /*v351*/, v234 /*v490*/
	v_mul_i32_i24_e32 v218 /*v474*/, v99 /*v355*/, v237 /*v493*/
	s_set_vgpr_msb 0                        ;  msbs: dst=0 src0=0 src1=0 src2=0
	v_add3_u32 v8, v8, v38, v40
	s_set_vgpr_msb 5                        ;  msbs: dst=0 src0=1 src1=1 src2=0
	v_mul_i32_i24_e32 v38, v220 /*v476*/, v56 /*v312*/
	s_set_vgpr_msb 64                       ;  msbs: dst=1 src0=0 src1=0 src2=0
	v_cvt_f32_i32_e32 v134 /*v390*/, v26
	s_set_vgpr_msb 5                        ;  msbs: dst=0 src0=1 src1=1 src2=0
	v_mul_i32_i24_e32 v26, v214 /*v470*/, v45 /*v301*/
	v_mul_i32_i24_e32 v40, v221 /*v477*/, v57 /*v313*/
	s_set_vgpr_msb 0                        ;  msbs: dst=0 src0=0 src1=0 src2=0
	v_mul_lo_u32 v8, v8, v150
	s_set_vgpr_msb 0x45                     ;  msbs: dst=1 src0=1 src1=1 src2=0
	v_mul_i32_i24_e32 v214 /*v470*/, v88 /*v344*/, v233 /*v489*/
	v_mul_i32_i24_e32 v220 /*v476*/, v109 /*v365*/, v239 /*v495*/
	;; [unrolled: 1-line block ×3, first 2 shown]
	s_set_vgpr_msb 64                       ;  msbs: dst=1 src0=0 src1=0 src2=0
	s_delay_alu instid0(VALU_DEP_4)
	v_cvt_f32_i32_e32 v135 /*v391*/, v8
	s_set_vgpr_msb 5                        ;  msbs: dst=0 src0=1 src1=1 src2=0
	v_mul_i32_i24_e32 v8, v212 /*v468*/, v42 /*v298*/
	s_set_vgpr_msb 0x45                     ;  msbs: dst=1 src0=1 src1=1 src2=0
	v_mul_i32_i24_e32 v212 /*v468*/, v231 /*v487*/, v83 /*v339*/
	v_pk_fma_f32 v[174:175] /*v[430:431]*/, v[182:183] /*v[438:439]*/, v[134:135] /*v[390:391]*/, 0 op_sel_hi:[1,1,0]
	s_set_vgpr_msb 5                        ;  msbs: dst=0 src0=1 src1=1 src2=0
	v_mad_i32_i24 v8, v213 /*v469*/, v40 /*v296*/, v8
	s_set_vgpr_msb 0x44                     ;  msbs: dst=1 src0=0 src1=1 src2=0
	v_pk_fma_f32 v[134:135] /*v[390:391]*/, v[94:95], v[184:185] /*v[440:441]*/, 0 op_sel_hi:[0,1,0]
	s_set_vgpr_msb 0x45                     ;  msbs: dst=1 src0=1 src1=1 src2=0
	v_mul_i32_i24_e32 v213 /*v469*/, v90 /*v346*/, v232 /*v488*/
	s_set_vgpr_msb 0                        ;  msbs: dst=0 src0=0 src1=0 src2=0
	v_add3_u32 v8, v8, v26, v28
	s_set_vgpr_msb 5                        ;  msbs: dst=0 src0=1 src1=1 src2=0
	v_mul_i32_i24_e32 v26, v216 /*v472*/, v47 /*v303*/
	v_mul_i32_i24_e32 v28, v217 /*v473*/, v48 /*v304*/
	s_set_vgpr_msb 0x50                     ;  msbs: dst=1 src0=0 src1=0 src2=1
	v_pk_fma_f32 v[134:135] /*v[390:391]*/, v[96:97], v[110:111], v[134:135] /*v[390:391]*/ op_sel_hi:[0,1,1]
	s_set_vgpr_msb 0x45                     ;  msbs: dst=1 src0=1 src1=1 src2=0
	v_mul_i32_i24_e32 v216 /*v472*/, v91 /*v347*/, v235 /*v491*/
	v_mul_i32_i24_e32 v217 /*v473*/, v108 /*v364*/, v236 /*v492*/
	s_set_vgpr_msb 0                        ;  msbs: dst=0 src0=0 src1=0 src2=0
	v_add3_u32 v8, v8, v26, v28
	s_set_vgpr_msb 0x41                     ;  msbs: dst=1 src0=1 src1=0 src2=0
	v_pk_mul_f32 v[202:203] /*v[458:459]*/, v[134:135] /*v[390:391]*/, v[90:91]
	s_set_vgpr_msb 0x45                     ;  msbs: dst=1 src0=1 src1=1 src2=0
	v_mul_i32_i24_e32 v134 /*v390*/, v227 /*v483*/, v69 /*v325*/
	v_mul_i32_i24_e32 v135 /*v391*/, v228 /*v484*/, v76 /*v332*/
	s_set_vgpr_msb 0                        ;  msbs: dst=0 src0=0 src1=0 src2=0
	v_add3_u32 v8, v8, v30, v31
	s_set_vgpr_msb 5                        ;  msbs: dst=0 src0=1 src1=1 src2=0
	v_mul_i32_i24_e32 v30, v111 /*v367*/, v163 /*v419*/
	v_lshrrev_b16 v31, 8, v190 /*v446*/
	s_set_vgpr_msb 0x41                     ;  msbs: dst=1 src0=1 src1=0 src2=0
	v_bfe_i32 v163 /*v419*/, v189 /*v445*/, 16, 8
	s_set_vgpr_msb 0                        ;  msbs: dst=0 src0=0 src1=0 src2=0
	v_add3_u32 v8, v8, v38, v40
	s_set_vgpr_msb 4                        ;  msbs: dst=0 src0=0 src1=1 src2=0
	v_ashrrev_i32_e32 v40, 24, v188 /*v444*/
	v_bfe_i32 v31, v31, 0, 8
	v_lshrrev_b16 v38, 8, v191 /*v447*/
	s_set_vgpr_msb 0                        ;  msbs: dst=0 src0=0 src1=0 src2=0
	v_add3_u32 v8, v8, v42, v44
	s_set_vgpr_msb 1                        ;  msbs: dst=0 src0=1 src1=0 src2=0
	v_bfe_i32 v44, v188 /*v444*/, 0, 8
	v_bfe_i32 v42, v188 /*v444*/, 16, 8
	s_set_vgpr_msb 0                        ;  msbs: dst=0 src0=0 src1=0 src2=0
	v_bfe_i32 v38, v38, 0, 8
	v_add3_u32 v8, v8, v46, v84
	s_set_vgpr_msb 4                        ;  msbs: dst=0 src0=0 src1=1 src2=0
	v_mul_i32_i24_e32 v46, v44, v73 /*v329*/
	v_mul_i32_i24_e32 v84, v42, v70 /*v326*/
	s_set_vgpr_msb 16                       ;  msbs: dst=0 src0=0 src1=0 src2=1
	v_add3_u32 v8, v8, v126, v134 /*v390*/
	s_set_vgpr_msb 0x44                     ;  msbs: dst=1 src0=0 src1=1 src2=0
	v_and_b32_e32 v134 /*v390*/, 0xffff, v204 /*v460*/
	s_set_vgpr_msb 20                       ;  msbs: dst=0 src0=0 src1=1 src2=1
	v_mul_i32_i24_e32 v126, v40, v77 /*v333*/
	v_add3_u32 v8, v8, v135 /*v391*/, v167 /*v423*/
	s_set_vgpr_msb 64                       ;  msbs: dst=1 src0=0 src1=0 src2=0
	v_bfe_u32 v135 /*v391*/, v118, 20, 4
	s_set_vgpr_msb 0                        ;  msbs: dst=0 src0=0 src1=0 src2=0
	v_bfe_u32 v118, v118, 4, 4
	s_set_vgpr_msb 0x41                     ;  msbs: dst=1 src0=1 src1=0 src2=0
	v_bfe_i32 v167 /*v423*/, v189 /*v445*/, 0, 8
	s_set_vgpr_msb 20                       ;  msbs: dst=0 src0=0 src1=1 src2=1
	v_add3_u32 v8, v8, v179 /*v435*/, v212 /*v468*/
	s_set_vgpr_msb 5                        ;  msbs: dst=0 src0=1 src1=1 src2=0
	v_mul_i32_i24_e32 v28, v135 /*v391*/, v162 /*v418*/
	s_set_vgpr_msb 4                        ;  msbs: dst=0 src0=0 src1=1 src2=0
	v_mul_i32_i24_e32 v26, v118, v137 /*v393*/
	s_set_vgpr_msb 64                       ;  msbs: dst=1 src0=0 src1=0 src2=0
	v_mul_i32_i24_e32 v137 /*v393*/, v40, v185
	s_set_vgpr_msb 0x44                     ;  msbs: dst=1 src0=0 src1=1 src2=0
	v_ashrrev_i32_e32 v162 /*v418*/, 24, v189 /*v445*/
	s_set_vgpr_msb 20                       ;  msbs: dst=0 src0=0 src1=1 src2=1
	v_add3_u32 v8, v8, v213 /*v469*/, v214 /*v470*/
	s_set_vgpr_msb 0x45                     ;  msbs: dst=1 src0=1 src1=1 src2=0
	v_mul_i32_i24_e32 v179 /*v435*/, v167 /*v423*/, v82 /*v338*/
	s_set_vgpr_msb 5                        ;  msbs: dst=0 src0=1 src1=1 src2=0
	v_mad_i32_i24 v26, v134 /*v390*/, v136 /*v392*/, v26
	s_set_vgpr_msb 64                       ;  msbs: dst=1 src0=0 src1=0 src2=0
	v_mul_i32_i24_e32 v136 /*v392*/, v40, v250
	s_set_vgpr_msb 0x41                     ;  msbs: dst=1 src0=1 src1=0 src2=0
	v_mul_i32_i24_e32 v213 /*v469*/, v163 /*v419*/, v249
	s_set_vgpr_msb 20                       ;  msbs: dst=0 src0=0 src1=1 src2=1
	v_add3_u32 v8, v8, v215 /*v471*/, v216 /*v472*/
	s_set_vgpr_msb 0x41                     ;  msbs: dst=1 src0=1 src1=0 src2=0
	v_mul_i32_i24_e32 v215 /*v471*/, v167 /*v423*/, v188
	s_set_vgpr_msb 0                        ;  msbs: dst=0 src0=0 src1=0 src2=0
	v_add3_u32 v26, v26, v28, v30
	s_set_vgpr_msb 20                       ;  msbs: dst=0 src0=0 src1=1 src2=1
	v_lshrrev_b16 v28, 8, v188 /*v444*/
	v_lshrrev_b16 v30, 8, v189 /*v445*/
	v_add3_u32 v8, v8, v217 /*v473*/, v218 /*v474*/
	s_set_vgpr_msb 0x45                     ;  msbs: dst=1 src0=1 src1=1 src2=0
	v_mul_i32_i24_e32 v189 /*v445*/, v163 /*v419*/, v75 /*v331*/
	s_set_vgpr_msb 0x41                     ;  msbs: dst=1 src0=1 src1=0 src2=0
	v_mul_i32_i24_e32 v217 /*v473*/, v163 /*v419*/, v184
	s_set_vgpr_msb 20                       ;  msbs: dst=0 src0=0 src1=1 src2=1
	v_bfe_i32 v28, v28, 0, 8
	v_bfe_i32 v30, v30, 0, 8
	v_mul_i32_i24_e32 v40, v40, v111 /*v367*/
	v_add3_u32 v8, v8, v219 /*v475*/, v220 /*v476*/
	s_set_vgpr_msb 4                        ;  msbs: dst=0 src0=0 src1=1 src2=0
	v_mad_i32_i24 v46, v28, v72 /*v328*/, v46
	s_set_vgpr_msb 0x44                     ;  msbs: dst=1 src0=0 src1=1 src2=0
	v_mul_i32_i24_e32 v188 /*v444*/, v30, v85 /*v341*/
	s_set_vgpr_msb 64                       ;  msbs: dst=1 src0=0 src1=0 src2=0
	v_mul_i32_i24_e32 v212 /*v468*/, v30, v255
	v_mul_i32_i24_e32 v216 /*v472*/, v30, v190
	s_set_vgpr_msb 20                       ;  msbs: dst=0 src0=0 src1=1 src2=1
	v_add3_u32 v8, v8, v221 /*v477*/, v222 /*v478*/
	s_set_vgpr_msb 0                        ;  msbs: dst=0 src0=0 src1=0 src2=0
	v_add3_u32 v46, v46, v84, v126
	v_mul_i32_i24_e32 v84, v44, v247
	v_mul_i32_i24_e32 v126, v42, v244
	s_set_vgpr_msb 20                       ;  msbs: dst=0 src0=0 src1=1 src2=1
	v_add3_u32 v8, v8, v223 /*v479*/, v224 /*v480*/
	v_add3_u32 v46, v46, v179 /*v435*/, v188 /*v444*/
	s_set_vgpr_msb 0                        ;  msbs: dst=0 src0=0 src1=0 src2=0
	v_mad_i32_i24 v84, v28, v246, v84
	s_set_vgpr_msb 0x41                     ;  msbs: dst=1 src0=1 src1=0 src2=0
	v_bfe_i32 v179 /*v435*/, v190 /*v446*/, 0, 8
	s_set_vgpr_msb 4                        ;  msbs: dst=0 src0=0 src1=1 src2=0
	v_mul_lo_u32 v8, v8, v34 /*v290*/
	s_set_vgpr_msb 16                       ;  msbs: dst=0 src0=0 src1=0 src2=1
	v_add3_u32 v84, v84, v126, v136 /*v392*/
	v_mul_i32_i24_e32 v126, v44, v182
	s_set_vgpr_msb 64                       ;  msbs: dst=1 src0=0 src1=0 src2=0
	v_mul_i32_i24_e32 v136 /*v392*/, v42, v179
	s_set_vgpr_msb 0x45                     ;  msbs: dst=1 src0=1 src1=1 src2=0
	v_mul_i32_i24_e32 v188 /*v444*/, v179 /*v435*/, v89 /*v345*/
	s_set_vgpr_msb 4                        ;  msbs: dst=0 src0=0 src1=1 src2=0
	v_mul_i32_i24_e32 v42, v42, v135 /*v391*/
	s_set_vgpr_msb 0                        ;  msbs: dst=0 src0=0 src1=0 src2=0
	v_mad_i32_i24 v126, v28, v181, v126
	s_set_vgpr_msb 20                       ;  msbs: dst=0 src0=0 src1=1 src2=1
	s_delay_alu instid0(VALU_DEP_1)
	v_add3_u32 v126, v126, v136 /*v392*/, v137 /*v393*/
	s_set_vgpr_msb 0x44                     ;  msbs: dst=1 src0=0 src1=1 src2=0
	v_bfe_u32 v136 /*v392*/, v119, 20, 4
	v_and_b32_e32 v137 /*v393*/, 0xffff, v205 /*v461*/
	s_set_vgpr_msb 0                        ;  msbs: dst=0 src0=0 src1=0 src2=0
	v_bfe_u32 v119, v119, 4, 4
	s_set_vgpr_msb 0x41                     ;  msbs: dst=1 src0=1 src1=0 src2=0
	v_mul_i32_i24_e32 v205 /*v461*/, v167 /*v423*/, v253
	s_set_vgpr_msb 20                       ;  msbs: dst=0 src0=0 src1=1 src2=1
	v_add3_u32 v126, v126, v215 /*v471*/, v216 /*v472*/
	s_set_vgpr_msb 0x45                     ;  msbs: dst=1 src0=1 src1=1 src2=0
	v_mul_i32_i24_e32 v140 /*v396*/, v136 /*v392*/, v140 /*v396*/
	v_mul_i32_i24_e32 v139 /*v395*/, v137 /*v393*/, v139 /*v395*/
	s_set_vgpr_msb 0x44                     ;  msbs: dst=1 src0=0 src1=1 src2=0
	v_mul_i32_i24_e32 v138 /*v394*/, v119, v138 /*v394*/
	s_set_vgpr_msb 20                       ;  msbs: dst=0 src0=0 src1=1 src2=1
	v_add3_u32 v84, v84, v205 /*v461*/, v212 /*v468*/
	s_set_vgpr_msb 0x45                     ;  msbs: dst=1 src0=1 src1=1 src2=0
	v_mul_i32_i24_e32 v205 /*v461*/, v179 /*v435*/, v2 /*v258*/
	s_set_vgpr_msb 64                       ;  msbs: dst=1 src0=0 src1=0 src2=0
	v_mul_i32_i24_e32 v215 /*v471*/, v31, v194
	s_set_vgpr_msb 20                       ;  msbs: dst=0 src0=0 src1=1 src2=1
	v_mul_i32_i24_e32 v30, v30, v137 /*v393*/
	v_add3_u32 v26, v26, v138 /*v394*/, v139 /*v395*/
	s_set_vgpr_msb 0x44                     ;  msbs: dst=1 src0=0 src1=1 src2=0
	v_and_b32_e32 v139 /*v395*/, 0xffff, v206 /*v462*/
	v_bfe_u32 v138 /*v394*/, v116, 20, 4
	v_mul_i32_i24_e32 v206 /*v462*/, v31, v3 /*v259*/
	s_set_vgpr_msb 0x45                     ;  msbs: dst=1 src0=1 src1=1 src2=0
	v_mul_i32_i24_e32 v163 /*v419*/, v163 /*v419*/, v136 /*v392*/
	s_set_vgpr_msb 20                       ;  msbs: dst=0 src0=0 src1=1 src2=1
	v_add3_u32 v26, v26, v140 /*v396*/, v161 /*v417*/
	s_set_vgpr_msb 64                       ;  msbs: dst=1 src0=0 src1=0 src2=0
	v_bfe_u32 v140 /*v396*/, v116, 4, 4
	s_set_vgpr_msb 0x41                     ;  msbs: dst=1 src0=1 src1=0 src2=0
	v_mul_i32_i24_e32 v161 /*v417*/, v167 /*v423*/, v119
	v_bfe_i32 v167 /*v423*/, v190 /*v446*/, 16, 8
	s_set_vgpr_msb 5                        ;  msbs: dst=0 src0=1 src1=1 src2=0
	v_mul_i32_i24_e32 v116, v140 /*v396*/, v141 /*v397*/
	s_set_vgpr_msb 0x45                     ;  msbs: dst=1 src0=1 src1=1 src2=0
	v_mul_i32_i24_e32 v141 /*v397*/, v139 /*v395*/, v142 /*v398*/
	v_mul_i32_i24_e32 v142 /*v398*/, v138 /*v394*/, v143 /*v399*/
	v_mul_i32_i24_e32 v143 /*v399*/, v102 /*v358*/, v160 /*v416*/
	v_ashrrev_i32_e32 v160 /*v416*/, 24, v190 /*v446*/
	v_mul_i32_i24_e32 v204 /*v460*/, v162 /*v418*/, v87 /*v343*/
	s_set_vgpr_msb 16                       ;  msbs: dst=0 src0=0 src1=0 src2=1
	v_add3_u32 v26, v26, v116, v141 /*v397*/
	s_set_vgpr_msb 0x45                     ;  msbs: dst=1 src0=1 src1=1 src2=0
	v_mul_i32_i24_e32 v214 /*v470*/, v162 /*v418*/, v1 /*v257*/
	s_set_vgpr_msb 0x41                     ;  msbs: dst=1 src0=1 src1=0 src2=0
	v_mul_i32_i24_e32 v218 /*v474*/, v162 /*v418*/, v192
	s_set_vgpr_msb 64                       ;  msbs: dst=1 src0=0 src1=0 src2=0
	v_bfe_u32 v141 /*v397*/, v117, 20, 4
	s_set_vgpr_msb 20                       ;  msbs: dst=0 src0=0 src1=1 src2=1
	v_add3_u32 v46, v46, v189 /*v445*/, v204 /*v460*/
	v_add3_u32 v26, v26, v142 /*v398*/, v143 /*v399*/
	s_set_vgpr_msb 0x44                     ;  msbs: dst=1 src0=0 src1=1 src2=0
	v_and_b32_e32 v142 /*v398*/, 0xffff, v207 /*v463*/
	v_bfe_u32 v143 /*v399*/, v117, 4, 4
	s_set_vgpr_msb 20                       ;  msbs: dst=0 src0=0 src1=1 src2=1
	v_add3_u32 v84, v84, v213 /*v469*/, v214 /*v470*/
	v_add3_u32 v126, v126, v217 /*v473*/, v218 /*v474*/
	s_set_vgpr_msb 0x44                     ;  msbs: dst=1 src0=0 src1=1 src2=0
	v_mul_i32_i24_e32 v189 /*v445*/, v31, v92 /*v348*/
	s_set_vgpr_msb 0x41                     ;  msbs: dst=1 src0=1 src1=0 src2=0
	v_mul_i32_i24_e32 v214 /*v470*/, v179 /*v435*/, v193
	s_set_vgpr_msb 5                        ;  msbs: dst=0 src0=1 src1=1 src2=0
	v_mul_i32_i24_e32 v117, v143 /*v399*/, v144 /*v400*/
	s_set_vgpr_msb 0x45                     ;  msbs: dst=1 src0=1 src1=1 src2=0
	v_mul_i32_i24_e32 v144 /*v400*/, v142 /*v398*/, v145 /*v401*/
	v_mul_i32_i24_e32 v145 /*v401*/, v141 /*v397*/, v146 /*v402*/
	;; [unrolled: 1-line block ×5, first 2 shown]
	s_set_vgpr_msb 16                       ;  msbs: dst=0 src0=0 src1=0 src2=1
	v_add3_u32 v26, v26, v117, v144 /*v400*/
	s_set_vgpr_msb 0x45                     ;  msbs: dst=1 src0=1 src1=1 src2=0
	v_mul_i32_i24_e32 v212 /*v468*/, v167 /*v423*/, v0 /*v256*/
	v_mul_i32_i24_e32 v213 /*v469*/, v160 /*v416*/, v5 /*v261*/
	s_set_vgpr_msb 0x41                     ;  msbs: dst=1 src0=1 src1=0 src2=0
	v_mul_i32_i24_e32 v216 /*v472*/, v167 /*v423*/, v191
	v_mul_i32_i24_e32 v217 /*v473*/, v160 /*v416*/, v196
	s_set_vgpr_msb 20                       ;  msbs: dst=0 src0=0 src1=1 src2=1
	v_add3_u32 v46, v46, v188 /*v444*/, v189 /*v445*/
	v_add3_u32 v84, v84, v205 /*v461*/, v206 /*v462*/
	;; [unrolled: 1-line block ×3, first 2 shown]
	s_set_vgpr_msb 0x41                     ;  msbs: dst=1 src0=1 src1=0 src2=0
	v_bfe_i32 v188 /*v444*/, v191 /*v447*/, 0, 8
	s_set_vgpr_msb 20                       ;  msbs: dst=0 src0=0 src1=1 src2=1
	v_add3_u32 v26, v26, v145 /*v401*/, v146 /*v402*/
	s_set_vgpr_msb 0x44                     ;  msbs: dst=1 src0=0 src1=1 src2=0
	v_and_b32_e32 v145 /*v401*/, 0xffff, v208 /*v464*/
	v_bfe_u32 v146 /*v402*/, v114, 4, 4
	s_set_vgpr_msb 20                       ;  msbs: dst=0 src0=0 src1=1 src2=1
	v_add3_u32 v46, v46, v190 /*v446*/, v204 /*v460*/
	v_add3_u32 v84, v84, v212 /*v468*/, v213 /*v469*/
	;; [unrolled: 1-line block ×3, first 2 shown]
	s_set_vgpr_msb 5                        ;  msbs: dst=0 src0=1 src1=1 src2=0
	v_mul_i32_i24_e32 v126, v179 /*v435*/, v140 /*v396*/
	s_set_vgpr_msb 0x44                     ;  msbs: dst=1 src0=0 src1=1 src2=0
	v_ashrrev_i32_e32 v159 /*v415*/, 24, v191 /*v447*/
	s_set_vgpr_msb 0x45                     ;  msbs: dst=1 src0=1 src1=1 src2=0
	v_bfe_i32 v179 /*v435*/, v191 /*v447*/, 16, 8
	v_mul_i32_i24_e32 v189 /*v445*/, v188 /*v444*/, v96 /*v352*/
	s_set_vgpr_msb 0x44                     ;  msbs: dst=1 src0=0 src1=1 src2=0
	v_mul_i32_i24_e32 v190 /*v446*/, v38, v97 /*v353*/
	s_set_vgpr_msb 0x41                     ;  msbs: dst=1 src0=1 src1=0 src2=0
	v_mul_i32_i24_e32 v213 /*v469*/, v188 /*v444*/, v197
	s_set_vgpr_msb 64                       ;  msbs: dst=1 src0=0 src1=0 src2=0
	v_mul_i32_i24_e32 v214 /*v470*/, v38, v198
	v_bfe_u32 v144 /*v400*/, v114, 20, 4
	s_set_vgpr_msb 5                        ;  msbs: dst=0 src0=1 src1=1 src2=0
	v_mul_i32_i24_e32 v114, v146 /*v402*/, v147 /*v403*/
	s_set_vgpr_msb 0x45                     ;  msbs: dst=1 src0=1 src1=1 src2=0
	v_mul_i32_i24_e32 v147 /*v403*/, v145 /*v401*/, v148 /*v404*/
	v_mul_i32_i24_e32 v191 /*v447*/, v179 /*v435*/, v93 /*v349*/
	s_set_vgpr_msb 0x41                     ;  msbs: dst=1 src0=1 src1=0 src2=0
	v_mul_i32_i24_e32 v215 /*v471*/, v179 /*v435*/, v195
	s_set_vgpr_msb 20                       ;  msbs: dst=0 src0=0 src1=1 src2=1
	v_add3_u32 v46, v46, v189 /*v445*/, v190 /*v446*/
	v_add3_u32 v116, v116, v213 /*v469*/, v214 /*v470*/
	s_set_vgpr_msb 0x45                     ;  msbs: dst=1 src0=1 src1=1 src2=0
	v_mul_i32_i24_e32 v148 /*v404*/, v144 /*v400*/, v149 /*v405*/
	v_mul_i32_i24_e32 v149 /*v405*/, v104 /*v360*/, v158 /*v414*/
	v_ashrrev_i32_e32 v158 /*v414*/, 24, v192 /*v448*/
	v_mul_i32_i24_e32 v204 /*v460*/, v159 /*v415*/, v100 /*v356*/
	s_set_vgpr_msb 0x41                     ;  msbs: dst=1 src0=1 src1=0 src2=0
	v_mul_i32_i24_e32 v216 /*v472*/, v159 /*v415*/, v200
	v_bfe_i32 v189 /*v445*/, v244 /*v500*/, 0, 8
	v_bfe_i32 v190 /*v446*/, v192 /*v448*/, 0, 8
	s_set_vgpr_msb 16                       ;  msbs: dst=0 src0=0 src1=0 src2=1
	v_add3_u32 v26, v26, v114, v147 /*v403*/
	s_set_vgpr_msb 0x45                     ;  msbs: dst=1 src0=1 src1=1 src2=0
	v_mul_i32_i24_e32 v205 /*v461*/, v188 /*v444*/, v6 /*v262*/
	s_set_vgpr_msb 20                       ;  msbs: dst=0 src0=0 src1=1 src2=1
	v_add3_u32 v46, v46, v191 /*v447*/, v204 /*v460*/
	v_add3_u32 v116, v116, v215 /*v471*/, v216 /*v472*/
	s_set_vgpr_msb 5                        ;  msbs: dst=0 src0=1 src1=1 src2=0
	v_mul_i32_i24_e32 v117, v188 /*v444*/, v143 /*v399*/
	s_set_vgpr_msb 0x45                     ;  msbs: dst=1 src0=1 src1=1 src2=0
	v_bfe_i32 v188 /*v444*/, v192 /*v448*/, 16, 8
	v_mul_i32_i24_e32 v191 /*v447*/, v190 /*v446*/, v110 /*v366*/
	v_mul_i32_i24_e32 v192 /*v448*/, v189 /*v445*/, v112 /*v368*/
	s_set_vgpr_msb 0x41                     ;  msbs: dst=1 src0=1 src1=0 src2=0
	v_mul_i32_i24_e32 v213 /*v469*/, v190 /*v446*/, v201
	v_mul_i32_i24_e32 v214 /*v470*/, v189 /*v445*/, v202
	s_set_vgpr_msb 20                       ;  msbs: dst=0 src0=0 src1=1 src2=1
	v_add3_u32 v26, v26, v148 /*v404*/, v149 /*v405*/
	s_set_vgpr_msb 0x44                     ;  msbs: dst=1 src0=0 src1=1 src2=0
	v_and_b32_e32 v148 /*v404*/, 0xffff, v209 /*v465*/
	v_bfe_u32 v149 /*v405*/, v115, 4, 4
	v_mul_i32_i24_e32 v206 /*v462*/, v38, v7 /*v263*/
	s_set_vgpr_msb 0x41                     ;  msbs: dst=1 src0=1 src1=0 src2=0
	v_mul_i32_i24_e32 v215 /*v471*/, v188 /*v444*/, v199
	v_mul_i32_i24_e32 v216 /*v472*/, v158 /*v414*/, v203
	s_set_vgpr_msb 20                       ;  msbs: dst=0 src0=0 src1=1 src2=1
	v_add3_u32 v46, v46, v191 /*v447*/, v192 /*v448*/
	v_add3_u32 v114, v116, v213 /*v469*/, v214 /*v470*/
	s_set_vgpr_msb 64                       ;  msbs: dst=1 src0=0 src1=0 src2=0
	v_bfe_u32 v147 /*v403*/, v115, 20, 4
	s_set_vgpr_msb 5                        ;  msbs: dst=0 src0=1 src1=1 src2=0
	v_mul_i32_i24_e32 v115, v149 /*v405*/, v150 /*v406*/
	s_set_vgpr_msb 0x45                     ;  msbs: dst=1 src0=1 src1=1 src2=0
	v_mul_i32_i24_e32 v150 /*v406*/, v148 /*v404*/, v151 /*v407*/
	v_bfe_i32 v191 /*v447*/, v245 /*v501*/, 0, 8
	v_bfe_i32 v192 /*v448*/, v193 /*v449*/, 0, 8
	v_mul_i32_i24_e32 v207 /*v463*/, v179 /*v435*/, v4 /*v260*/
	v_mul_i32_i24_e32 v212 /*v468*/, v159 /*v415*/, v9 /*v265*/
	s_set_vgpr_msb 20                       ;  msbs: dst=0 src0=0 src1=1 src2=1
	v_add3_u32 v84, v84, v205 /*v461*/, v206 /*v462*/
	s_set_vgpr_msb 0x45                     ;  msbs: dst=1 src0=1 src1=1 src2=0
	v_mul_i32_i24_e32 v204 /*v460*/, v188 /*v444*/, v98 /*v354*/
	v_mul_i32_i24_e32 v205 /*v461*/, v158 /*v414*/, v115 /*v371*/
	;; [unrolled: 1-line block ×3, first 2 shown]
	s_set_vgpr_msb 20                       ;  msbs: dst=0 src0=0 src1=1 src2=1
	v_add3_u32 v114, v114, v215 /*v471*/, v216 /*v472*/
	s_set_vgpr_msb 5                        ;  msbs: dst=0 src0=1 src1=1 src2=0
	v_mul_i32_i24_e32 v116, v190 /*v446*/, v146 /*v402*/
	s_set_vgpr_msb 0x45                     ;  msbs: dst=1 src0=1 src1=1 src2=0
	v_mul_i32_i24_e32 v151 /*v407*/, v147 /*v403*/, v152 /*v408*/
	v_mul_i32_i24_e32 v152 /*v408*/, v105 /*v361*/, v157 /*v413*/
	v_ashrrev_i32_e32 v157 /*v413*/, 24, v193 /*v449*/
	v_bfe_i32 v190 /*v446*/, v193 /*v449*/, 16, 8
	s_set_vgpr_msb 0x41                     ;  msbs: dst=1 src0=1 src1=0 src2=0
	v_mul_i32_i24_e32 v213 /*v469*/, v192 /*v448*/, v204
	v_mul_i32_i24_e32 v214 /*v470*/, v191 /*v447*/, v205
	s_set_vgpr_msb 16                       ;  msbs: dst=0 src0=0 src1=0 src2=1
	v_add3_u32 v26, v26, v115, v150 /*v406*/
	s_set_vgpr_msb 20                       ;  msbs: dst=0 src0=0 src1=1 src2=1
	v_add3_u32 v84, v84, v207 /*v463*/, v212 /*v468*/
	s_set_vgpr_msb 0x45                     ;  msbs: dst=1 src0=1 src1=1 src2=0
	v_mul_i32_i24_e32 v207 /*v463*/, v189 /*v445*/, v11 /*v267*/
	s_set_vgpr_msb 20                       ;  msbs: dst=0 src0=0 src1=1 src2=1
	v_add3_u32 v46, v46, v204 /*v460*/, v205 /*v461*/
	s_set_vgpr_msb 0x45                     ;  msbs: dst=1 src0=1 src1=1 src2=0
	v_mul_i32_i24_e32 v193 /*v449*/, v192 /*v448*/, v117 /*v373*/
	v_mul_i32_i24_e32 v204 /*v460*/, v191 /*v447*/, v118 /*v374*/
	s_set_vgpr_msb 0x41                     ;  msbs: dst=1 src0=1 src1=0 src2=0
	v_mul_i32_i24_e32 v215 /*v471*/, v190 /*v446*/, v207
	v_mul_i32_i24_e32 v216 /*v472*/, v157 /*v413*/, v206
	s_set_vgpr_msb 20                       ;  msbs: dst=0 src0=0 src1=1 src2=1
	v_add3_u32 v26, v26, v151 /*v407*/, v152 /*v408*/
	v_add3_u32 v114, v114, v213 /*v469*/, v214 /*v470*/
	s_set_vgpr_msb 0x44                     ;  msbs: dst=1 src0=0 src1=1 src2=0
	v_bfe_u32 v150 /*v406*/, v112, 20, 4
	v_and_b32_e32 v151 /*v407*/, 0xffff, v210 /*v466*/
	v_bfe_u32 v152 /*v408*/, v112, 4, 4
	s_set_vgpr_msb 0x45                     ;  msbs: dst=1 src0=1 src1=1 src2=0
	v_mul_i32_i24_e32 v208 /*v464*/, v188 /*v444*/, v8 /*v264*/
	v_mul_i32_i24_e32 v212 /*v468*/, v158 /*v414*/, v12 /*v268*/
	s_set_vgpr_msb 20                       ;  msbs: dst=0 src0=0 src1=1 src2=1
	v_add3_u32 v84, v84, v206 /*v462*/, v207 /*v463*/
	s_set_vgpr_msb 0x45                     ;  msbs: dst=1 src0=1 src1=1 src2=0
	v_mul_i32_i24_e32 v205 /*v461*/, v190 /*v446*/, v124 /*v380*/
	s_set_vgpr_msb 20                       ;  msbs: dst=0 src0=0 src1=1 src2=1
	v_add3_u32 v46, v46, v193 /*v449*/, v204 /*v460*/
	s_set_vgpr_msb 0x54                     ;  msbs: dst=1 src0=0 src1=1 src2=1
	v_add3_u32 v193 /*v449*/, v114, v215 /*v471*/, v216 /*v472*/
	s_set_vgpr_msb 5                        ;  msbs: dst=0 src0=1 src1=1 src2=0
	v_mul_i32_i24_e32 v112, v152 /*v408*/, v153 /*v409*/
	v_mul_i32_i24_e32 v114, v151 /*v407*/, v154 /*v410*/
	;; [unrolled: 1-line block ×3, first 2 shown]
	s_set_vgpr_msb 0x45                     ;  msbs: dst=1 src0=1 src1=1 src2=0
	v_mul_i32_i24_e32 v153 /*v409*/, v106 /*v362*/, v156 /*v412*/
	v_ashrrev_i32_e32 v154 /*v410*/, 24, v194 /*v450*/
	v_mul_i32_i24_e32 v206 /*v462*/, v157 /*v413*/, v121 /*v377*/
	v_bfe_i32 v155 /*v411*/, v194 /*v450*/, 16, 8
	v_bfe_i32 v156 /*v412*/, v246 /*v502*/, 0, 8
	;; [unrolled: 1-line block ×3, first 2 shown]
	s_set_vgpr_msb 20                       ;  msbs: dst=0 src0=0 src1=1 src2=1
	v_add3_u32 v84, v84, v208 /*v464*/, v212 /*v468*/
	s_set_vgpr_msb 0x45                     ;  msbs: dst=1 src0=1 src1=1 src2=0
	v_mul_i32_i24_e32 v207 /*v463*/, v192 /*v448*/, v13 /*v269*/
	v_mul_i32_i24_e32 v208 /*v464*/, v191 /*v447*/, v14 /*v270*/
	s_set_vgpr_msb 20                       ;  msbs: dst=0 src0=0 src1=1 src2=1
	v_add3_u32 v46, v46, v205 /*v461*/, v206 /*v462*/
	s_set_vgpr_msb 0x45                     ;  msbs: dst=1 src0=1 src1=1 src2=0
	v_mul_i32_i24_e32 v204 /*v460*/, v194 /*v450*/, v125 /*v381*/
	v_mul_i32_i24_e32 v205 /*v461*/, v156 /*v412*/, v126 /*v382*/
	;; [unrolled: 1-line block ×3, first 2 shown]
	s_set_vgpr_msb 20                       ;  msbs: dst=0 src0=0 src1=1 src2=1
	v_add3_u32 v84, v84, v207 /*v463*/, v208 /*v464*/
	s_set_vgpr_msb 0x45                     ;  msbs: dst=1 src0=1 src1=1 src2=0
	v_mul_i32_i24_e32 v207 /*v463*/, v154 /*v410*/, v128 /*v384*/
	v_mul_i32_i24_e32 v209 /*v465*/, v190 /*v446*/, v16 /*v272*/
	s_set_vgpr_msb 20                       ;  msbs: dst=0 src0=0 src1=1 src2=1
	v_add3_u32 v46, v46, v204 /*v460*/, v205 /*v461*/
	s_set_vgpr_msb 0x45                     ;  msbs: dst=1 src0=1 src1=1 src2=0
	v_mul_i32_i24_e32 v212 /*v468*/, v157 /*v413*/, v15 /*v271*/
	v_mul_i32_i24_e32 v208 /*v464*/, v194 /*v450*/, v17 /*v273*/
	s_set_vgpr_msb 0                        ;  msbs: dst=0 src0=0 src1=0 src2=0
	v_add3_u32 v26, v26, v112, v114
	s_set_vgpr_msb 0x45                     ;  msbs: dst=1 src0=1 src1=1 src2=0
	v_mul_i32_i24_e32 v210 /*v466*/, v155 /*v411*/, v21 /*v277*/
	s_set_vgpr_msb 20                       ;  msbs: dst=0 src0=0 src1=1 src2=1
	v_add3_u32 v46, v46, v206 /*v462*/, v207 /*v463*/
	v_add3_u32 v84, v84, v209 /*v465*/, v212 /*v468*/
	s_set_vgpr_msb 0x45                     ;  msbs: dst=1 src0=1 src1=1 src2=0
	v_mul_i32_i24_e32 v209 /*v465*/, v156 /*v412*/, v18 /*v274*/
	v_mul_i32_i24_e32 v212 /*v468*/, v154 /*v410*/, v19 /*v275*/
	s_set_vgpr_msb 16                       ;  msbs: dst=0 src0=0 src1=0 src2=1
	v_add3_u32 v26, v26, v115, v153 /*v409*/
	s_set_vgpr_msb 0                        ;  msbs: dst=0 src0=0 src1=0 src2=0
	v_add3_u32 v15, v46, v15, v21
	s_set_vgpr_msb 21                       ;  msbs: dst=0 src0=1 src1=1 src2=1
	v_add3_u32 v21, v166 /*v422*/, v164 /*v420*/, v165 /*v421*/
	s_set_vgpr_msb 0x41                     ;  msbs: dst=1 src0=1 src1=0 src2=0
	v_mul_i32_i24_e32 v213 /*v469*/, v194 /*v450*/, v208
	v_mul_i32_i24_e32 v214 /*v470*/, v156 /*v412*/, v209
	;; [unrolled: 1-line block ×3, first 2 shown]
	s_set_vgpr_msb 0                        ;  msbs: dst=0 src0=0 src1=0 src2=0
	v_add3_u32 v15, v15, v27, v29
	v_mul_lo_u32 v21, v21, v99
	s_set_vgpr_msb 0x41                     ;  msbs: dst=1 src0=1 src1=0 src2=0
	v_mul_i32_i24_e32 v216 /*v472*/, v154 /*v410*/, v210
	s_set_vgpr_msb 0x45                     ;  msbs: dst=1 src0=1 src1=1 src2=0
	v_mul_i32_i24_e32 v162 /*v418*/, v162 /*v418*/, v101 /*v357*/
	v_mul_i32_i24_e32 v167 /*v423*/, v167 /*v423*/, v138 /*v394*/
	s_set_vgpr_msb 0                        ;  msbs: dst=0 src0=0 src1=0 src2=0
	v_mul_lo_u32 v15, v15, v99
	s_set_vgpr_msb 0x45                     ;  msbs: dst=1 src0=1 src1=1 src2=0
	v_mul_i32_i24_e32 v160 /*v416*/, v160 /*v416*/, v102 /*v358*/
	s_set_vgpr_msb 4                        ;  msbs: dst=0 src0=0 src1=1 src2=0
	v_mul_i32_i24_e32 v31, v31, v139 /*v395*/
	v_mul_i32_i24_e32 v38, v38, v142 /*v398*/
	s_set_vgpr_msb 0x45                     ;  msbs: dst=1 src0=1 src1=1 src2=0
	v_mul_i32_i24_e32 v179 /*v435*/, v179 /*v435*/, v141 /*v397*/
	v_mul_i32_i24_e32 v159 /*v415*/, v159 /*v415*/, v103 /*v359*/
	;; [unrolled: 1-line block ×3, first 2 shown]
	s_set_vgpr_msb 0                        ;  msbs: dst=0 src0=0 src1=0 src2=0
	v_cvt_f32_i32_e32 v114, v21
	s_set_vgpr_msb 0x45                     ;  msbs: dst=1 src0=1 src1=1 src2=0
	v_mul_i32_i24_e32 v158 /*v414*/, v158 /*v414*/, v104 /*v360*/
	s_set_vgpr_msb 4                        ;  msbs: dst=0 src0=0 src1=1 src2=0
	v_mad_i32_i24 v21, v28, v134 /*v390*/, v30
	s_set_vgpr_msb 20                       ;  msbs: dst=0 src0=0 src1=1 src2=1
	v_add3_u32 v27, v42, v163 /*v419*/, v167 /*v423*/
	v_cvt_f32_i32_e32 v115, v15
	v_add3_u32 v15, v84, v208 /*v464*/, v209 /*v465*/
	s_set_vgpr_msb 0x45                     ;  msbs: dst=1 src0=1 src1=1 src2=0
	v_mul_i32_i24_e32 v189 /*v445*/, v189 /*v445*/, v145 /*v401*/
	v_mul_i32_i24_e32 v192 /*v448*/, v192 /*v448*/, v149 /*v405*/
	v_mul_i32_i24_e32 v191 /*v447*/, v191 /*v447*/, v148 /*v404*/
	s_set_vgpr_msb 17                       ;  msbs: dst=0 src0=1 src1=0 src2=1
	v_pk_fma_f32 v[114:115], v[180:181] /*v[436:437]*/, v[114:115], v[186:187] /*v[442:443]*/
	s_set_vgpr_msb 20                       ;  msbs: dst=0 src0=0 src1=1 src2=1
	v_add3_u32 v15, v15, v210 /*v466*/, v212 /*v468*/
	s_set_vgpr_msb 0x45                     ;  msbs: dst=1 src0=1 src1=1 src2=0
	v_mul_i32_i24_e32 v190 /*v446*/, v190 /*v446*/, v147 /*v403*/
	v_mul_i32_i24_e32 v157 /*v413*/, v157 /*v413*/, v105 /*v361*/
	s_set_vgpr_msb 0                        ;  msbs: dst=0 src0=0 src1=0 src2=0
	v_add3_u32 v21, v21, v31, v38
	s_set_vgpr_msb 16                       ;  msbs: dst=0 src0=0 src1=0 src2=1
	v_pk_fma_f32 v[114:115], v[114:115], v[0:1], v[196:197] /*v[452:453]*/ neg_lo:[0,0,1] neg_hi:[0,0,1]
	s_set_vgpr_msb 0                        ;  msbs: dst=0 src0=0 src1=0 src2=0
	v_add3_u32 v12, v15, v12, v13
	s_set_vgpr_msb 21                       ;  msbs: dst=0 src0=1 src1=1 src2=1
	v_add3_u32 v13, v170 /*v426*/, v168 /*v424*/, v169 /*v425*/
	v_mul_i32_i24_e32 v15, v154 /*v410*/, v106 /*v362*/
	s_set_vgpr_msb 20                       ;  msbs: dst=0 src0=0 src1=1 src2=1
	v_add3_u32 v27, v27, v179 /*v435*/, v188 /*v444*/
	s_set_vgpr_msb 0                        ;  msbs: dst=0 src0=0 src1=0 src2=0
	v_pk_add_f32 v[62:63], v[62:63], v[114:115]
	v_add3_u32 v12, v12, v14, v16
	v_mul_lo_u32 v13, v13, v154
	s_set_vgpr_msb 5                        ;  msbs: dst=0 src0=1 src1=1 src2=0
	v_mul_i32_i24_e32 v14, v155 /*v411*/, v150 /*v406*/
	s_set_vgpr_msb 20                       ;  msbs: dst=0 src0=0 src1=1 src2=1
	v_add3_u32 v21, v21, v189 /*v445*/, v191 /*v447*/
	s_set_vgpr_msb 5                        ;  msbs: dst=0 src0=1 src1=1 src2=0
	v_mul_i32_i24_e32 v16, v247 /*v503*/, v114 /*v370*/
	s_set_vgpr_msb 0                        ;  msbs: dst=0 src0=0 src1=0 src2=0
	v_mul_lo_u32 v12, v12, v154
	s_set_vgpr_msb 20                       ;  msbs: dst=0 src0=0 src1=1 src2=1
	v_add3_u32 v26, v26, v178 /*v434*/, v211 /*v467*/
	s_set_vgpr_msb 4                        ;  msbs: dst=0 src0=0 src1=1 src2=0
	v_add3_u32 v14, v27, v190 /*v446*/, v14
	v_cvt_f32_i32_e32 v114, v13
	s_set_vgpr_msb 21                       ;  msbs: dst=0 src0=1 src1=1 src2=1
	v_add3_u32 v13, v173 /*v429*/, v171 /*v427*/, v172 /*v428*/
	s_set_vgpr_msb 0                        ;  msbs: dst=0 src0=0 src1=0 src2=0
	v_cvt_f32_i32_e32 v115, v12
	s_set_vgpr_msb 21                       ;  msbs: dst=0 src0=1 src1=1 src2=1
	v_add3_u32 v12, v193 /*v449*/, v213 /*v469*/, v214 /*v470*/
	s_set_vgpr_msb 0                        ;  msbs: dst=0 src0=0 src1=0 src2=0
	v_mul_lo_u32 v13, v13, v97
	s_set_vgpr_msb 17                       ;  msbs: dst=0 src0=1 src1=0 src2=1
	v_pk_fma_f32 v[114:115], v[180:181] /*v[436:437]*/, v[114:115], v[198:199] /*v[454:455]*/
	s_set_vgpr_msb 20                       ;  msbs: dst=0 src0=0 src1=1 src2=1
	v_add3_u32 v12, v12, v215 /*v471*/, v216 /*v472*/
	s_set_vgpr_msb 16                       ;  msbs: dst=0 src0=0 src1=0 src2=1
	s_delay_alu instid0(VALU_DEP_2) | instskip(SKIP_1) | instid1(VALU_DEP_2)
	v_pk_fma_f32 v[114:115], v[114:115], v[2:3], v[200:201] /*v[456:457]*/ neg_lo:[0,0,1] neg_hi:[0,0,1]
	s_set_vgpr_msb 0                        ;  msbs: dst=0 src0=0 src1=0 src2=0
	v_add3_u32 v12, v12, v18, v20
	s_set_vgpr_msb 5                        ;  msbs: dst=0 src0=1 src1=1 src2=0
	v_mul_i32_i24_e32 v18, v249 /*v505*/, v107 /*v363*/
	v_mul_i32_i24_e32 v20, v195 /*v451*/, v120 /*v376*/
	s_set_vgpr_msb 0                        ;  msbs: dst=0 src0=0 src1=0 src2=0
	v_pk_add_f32 v[72:73], v[72:73], v[114:115]
	v_add3_u32 v12, v12, v22, v24
	s_set_vgpr_msb 16                       ;  msbs: dst=0 src0=0 src1=0 src2=1
	v_mad_i32_i24 v22, v44, v118, v161 /*v417*/
	s_set_vgpr_msb 20                       ;  msbs: dst=0 src0=0 src1=1 src2=1
	v_add3_u32 v24, v40, v162 /*v418*/, v160 /*v416*/
	v_cvt_f32_i32_e32 v114, v13
	s_set_vgpr_msb 5                        ;  msbs: dst=0 src0=1 src1=1 src2=0
	v_mul_i32_i24_e32 v13, v156 /*v412*/, v151 /*v407*/
	s_set_vgpr_msb 0                        ;  msbs: dst=0 src0=0 src1=0 src2=0
	v_mul_lo_u32 v12, v12, v97
	v_add3_u32 v22, v22, v126, v117
	s_set_vgpr_msb 20                       ;  msbs: dst=0 src0=0 src1=1 src2=1
	v_add3_u32 v24, v24, v159 /*v415*/, v158 /*v414*/
	s_set_vgpr_msb 16                       ;  msbs: dst=0 src0=0 src1=0 src2=1
	s_delay_alu instid0(VALU_DEP_2) | instskip(SKIP_1) | instid1(VALU_DEP_2)
	v_add3_u32 v22, v22, v116, v192 /*v448*/
	s_set_vgpr_msb 4                        ;  msbs: dst=0 src0=0 src1=1 src2=0
	v_add3_u32 v15, v24, v157 /*v413*/, v15
	v_pk_fma_f32 v[116:117], v[108:109], v[184:185] /*v[440:441]*/, 0 op_sel_hi:[0,1,0]
	v_cvt_f32_i32_e32 v115, v12
	s_set_vgpr_msb 5                        ;  msbs: dst=0 src0=1 src1=1 src2=0
	v_mul_i32_i24_e32 v12, v194 /*v450*/, v152 /*v408*/
	s_set_vgpr_msb 0                        ;  msbs: dst=0 src0=0 src1=0 src2=0
	v_add3_u32 v13, v21, v13, v15
	v_pk_fma_f32 v[110:111], v[106:107], v[110:111], v[116:117] op_sel_hi:[0,1,1]
	s_set_vgpr_msb 17                       ;  msbs: dst=0 src0=1 src1=0 src2=1
	v_pk_fma_f32 v[114:115], v[180:181] /*v[436:437]*/, v[114:115], v[174:175] /*v[430:431]*/
	s_set_vgpr_msb 0                        ;  msbs: dst=0 src0=0 src1=0 src2=0
	v_add3_u32 v12, v22, v12, v14
	s_set_vgpr_msb 5                        ;  msbs: dst=0 src0=1 src1=1 src2=0
	v_mul_lo_u32 v14, v176 /*v432*/, v34 /*v290*/
	s_set_vgpr_msb 16                       ;  msbs: dst=0 src0=0 src1=0 src2=1
	v_pk_mul_f32 v[110:111], v[110:111], v[92:93]
	v_pk_fma_f32 v[114:115], v[114:115], v[4:5], v[202:203] /*v[458:459]*/ neg_lo:[0,0,1] neg_hi:[0,0,1]
	s_set_vgpr_msb 0                        ;  msbs: dst=0 src0=0 src1=0 src2=0
	v_add3_u32 v12, v12, v13, v16
	s_set_vgpr_msb 5                        ;  msbs: dst=0 src0=1 src1=1 src2=0
	v_mad_i32_i24 v13, v248 /*v504*/, v116 /*v372*/, v18
	s_set_vgpr_msb 0                        ;  msbs: dst=0 src0=0 src1=0 src2=0
	v_pk_add_f32 v[78:79], v[78:79], v[114:115]
	v_cvt_f32_i32_e32 v115, v8
	s_delay_alu instid0(VALU_DEP_3) | instskip(SKIP_3) | instid1(VALU_DEP_3)
	v_add3_u32 v8, v12, v13, v20
	s_set_vgpr_msb 4                        ;  msbs: dst=0 src0=0 src1=1 src2=0
	v_add3_u32 v12, v26, v177 /*v433*/, v113
	v_cvt_f32_i32_e32 v114, v14
	v_mul_lo_u32 v8, v8, v25 /*v281*/
	s_delay_alu instid0(VALU_DEP_3) | instskip(SKIP_1) | instid1(VALU_DEP_3)
	v_mul_lo_u32 v12, v12, v25 /*v281*/
	s_set_vgpr_msb 1                        ;  msbs: dst=0 src0=1 src1=0 src2=0
	v_pk_fma_f32 v[114:115], v[182:183] /*v[438:439]*/, v[114:115], 0 op_sel_hi:[1,1,0]
	s_set_vgpr_msb 0                        ;  msbs: dst=0 src0=0 src1=0 src2=0
	s_delay_alu instid0(VALU_DEP_3) | instskip(NEXT) | instid1(VALU_DEP_3)
	v_cvt_f32_i32_e32 v113, v8
	v_cvt_f32_i32_e32 v112, v12
	v_or_b32_e32 v8, s13, v132
	s_set_vgpr_msb 1                        ;  msbs: dst=0 src0=1 src1=0 src2=0
	s_delay_alu instid0(VALU_DEP_2) | instskip(NEXT) | instid1(VALU_DEP_2)
	v_pk_fma_f32 v[112:113], v[180:181] /*v[436:437]*/, v[112:113], v[114:115]
	v_lshlrev_b32_e32 v12, 2, v8
	s_set_vgpr_msb 0                        ;  msbs: dst=0 src0=0 src1=0 src2=0
	s_delay_alu instid0(VALU_DEP_2) | instskip(NEXT) | instid1(VALU_DEP_1)
	v_pk_fma_f32 v[110:111], v[112:113], v[6:7], v[110:111] neg_lo:[0,0,1] neg_hi:[0,0,1]
	v_pk_add_f32 v[82:83], v[82:83], v[110:111]
	ds_load_b128 v[110:113], v12 offset:16896
	ds_load_b128 v[114:117], v12 offset:16912
	s_set_vgpr_msb 64                       ;  msbs: dst=1 src0=0 src1=0 src2=0
	ds_load_b128 v[154:157] /*v[410:413]*/, v12 offset:16928
	ds_load_b128 v[158:161] /*v[414:417]*/, v12 offset:16944
	s_wait_dscnt 0x3
	s_set_vgpr_msb 0                        ;  msbs: dst=0 src0=0 src1=0 src2=0
	v_bfe_i32 v12, v110, 0, 8
	v_bfe_i32 v13, v110, 8, 8
	;; [unrolled: 1-line block ×3, first 2 shown]
	v_ashrrev_i32_e32 v15, 24, v110
	v_bfe_i32 v28, v113, 0, 8
	v_bfe_i32 v29, v113, 8, 8
	;; [unrolled: 1-line block ×3, first 2 shown]
	v_dual_ashrrev_i32 v31, 24, v113 :: v_dual_lshrrev_b32 v8, 1, v8
	s_wait_dscnt 0x2
	v_dual_ashrrev_i32 v44, 24, v114 :: v_dual_ashrrev_i32 v126, 24, v115
	v_bfe_i32 v46, v115, 0, 8
	v_bfe_i32 v84, v115, 8, 8
	;; [unrolled: 1-line block ×3, first 2 shown]
	s_set_vgpr_msb 4                        ;  msbs: dst=0 src0=0 src1=1 src2=0
	v_mul_i32_i24_e32 v115, v12, v27 /*v283*/
	v_bfe_i32 v16, v111, 0, 8
	v_bfe_i32 v18, v111, 8, 8
	;; [unrolled: 1-line block ×3, first 2 shown]
	s_set_vgpr_msb 0                        ;  msbs: dst=0 src0=0 src1=0 src2=0
	v_ashrrev_i32_e32 v21, 24, v111
	ds_load_b64 v[110:111], v8 offset:27200
	s_wait_dscnt 0x2
	s_set_vgpr_msb 1                        ;  msbs: dst=0 src0=1 src1=0 src2=0
	v_bfe_i32 v8, v154 /*v410*/, 0, 8
	s_set_vgpr_msb 0x41                     ;  msbs: dst=1 src0=1 src1=0 src2=0
	v_bfe_i32 v171 /*v427*/, v154 /*v410*/, 8, 8
	v_bfe_i32 v172 /*v428*/, v154 /*v410*/, 16, 8
	s_set_vgpr_msb 0x44                     ;  msbs: dst=1 src0=0 src1=1 src2=0
	v_dual_ashrrev_i32 v154 /*v410*/, 24, v154 /*v410*/ :: v_dual_ashrrev_i32 v176 /*v432*/, 24, v155 /*v411*/
	s_set_vgpr_msb 0x41                     ;  msbs: dst=1 src0=1 src1=0 src2=0
	v_bfe_i32 v173 /*v429*/, v155 /*v411*/, 0, 8
	v_bfe_i32 v174 /*v430*/, v155 /*v411*/, 8, 8
	;; [unrolled: 1-line block ×3, first 2 shown]
	s_set_vgpr_msb 0x44                     ;  msbs: dst=1 src0=0 src1=1 src2=0
	v_mul_i32_i24_e32 v153 /*v409*/, v14, v28 /*v284*/
	v_mul_i32_i24_e32 v155 /*v411*/, v15, v29 /*v285*/
	s_set_vgpr_msb 4                        ;  msbs: dst=0 src0=0 src1=1 src2=0
	v_mad_i32_i24 v115, v13, v26 /*v282*/, v115
	v_bfe_i32 v22, v112, 0, 8
	v_bfe_i32 v24, v112, 8, 8
	s_set_vgpr_msb 0x41                     ;  msbs: dst=1 src0=1 src1=0 src2=0
	v_bfe_i32 v177 /*v433*/, v156 /*v412*/, 0, 8
	v_bfe_i32 v178 /*v434*/, v156 /*v412*/, 8, 8
	s_set_vgpr_msb 20                       ;  msbs: dst=0 src0=0 src1=1 src2=1
	v_add3_u32 v115, v115, v153 /*v409*/, v155 /*v411*/
	s_set_vgpr_msb 0x44                     ;  msbs: dst=1 src0=0 src1=1 src2=0
	v_mul_i32_i24_e32 v153 /*v409*/, v16, v30 /*v286*/
	v_mul_i32_i24_e32 v155 /*v411*/, v18, v31 /*v287*/
	s_set_vgpr_msb 0x41                     ;  msbs: dst=1 src0=1 src1=0 src2=0
	v_bfe_i32 v179 /*v435*/, v156 /*v412*/, 16, 8
	s_set_vgpr_msb 0x44                     ;  msbs: dst=1 src0=0 src1=1 src2=0
	v_dual_ashrrev_i32 v180 /*v436*/, 24, v156 /*v412*/ :: v_dual_ashrrev_i32 v184 /*v440*/, 24, v157 /*v413*/
	s_set_vgpr_msb 0x41                     ;  msbs: dst=1 src0=1 src1=0 src2=0
	v_bfe_i32 v181 /*v437*/, v157 /*v413*/, 0, 8
	v_bfe_i32 v182 /*v438*/, v157 /*v413*/, 8, 8
	;; [unrolled: 1-line block ×3, first 2 shown]
	s_set_vgpr_msb 0x44                     ;  msbs: dst=1 src0=0 src1=1 src2=0
	v_mul_i32_i24_e32 v156 /*v412*/, v20, v32 /*v288*/
	v_mul_i32_i24_e32 v157 /*v413*/, v21, v33 /*v289*/
	s_set_vgpr_msb 20                       ;  msbs: dst=0 src0=0 src1=1 src2=1
	v_add3_u32 v115, v115, v153 /*v409*/, v155 /*v411*/
	v_bfe_i32 v26, v112, 16, 8
	s_set_vgpr_msb 0                        ;  msbs: dst=0 src0=0 src1=0 src2=0
	v_ashrrev_i32_e32 v27, 24, v112
	s_wait_dscnt 0x1
	s_set_vgpr_msb 0x41                     ;  msbs: dst=1 src0=1 src1=0 src2=0
	v_bfe_i32 v185 /*v441*/, v158 /*v414*/, 0, 8
	v_bfe_i32 v186 /*v442*/, v158 /*v414*/, 8, 8
	;; [unrolled: 1-line block ×3, first 2 shown]
	s_set_vgpr_msb 0x44                     ;  msbs: dst=1 src0=0 src1=1 src2=0
	v_dual_ashrrev_i32 v188 /*v444*/, 24, v158 /*v414*/ :: v_dual_ashrrev_i32 v192 /*v448*/, 24, v159 /*v415*/
	s_set_vgpr_msb 0x41                     ;  msbs: dst=1 src0=1 src1=0 src2=0
	v_bfe_i32 v189 /*v445*/, v159 /*v415*/, 0, 8
	v_bfe_i32 v190 /*v446*/, v159 /*v415*/, 8, 8
	;; [unrolled: 1-line block ×3, first 2 shown]
	s_set_vgpr_msb 0x44                     ;  msbs: dst=1 src0=0 src1=1 src2=0
	v_mul_i32_i24_e32 v158 /*v414*/, v22, v35 /*v291*/
	v_mul_i32_i24_e32 v159 /*v415*/, v24, v36 /*v292*/
	s_set_vgpr_msb 20                       ;  msbs: dst=0 src0=0 src1=1 src2=1
	v_add3_u32 v115, v115, v156 /*v412*/, v157 /*v413*/
	s_set_vgpr_msb 0x41                     ;  msbs: dst=1 src0=1 src1=0 src2=0
	v_bfe_i32 v193 /*v449*/, v160 /*v416*/, 0, 8
	v_bfe_i32 v194 /*v450*/, v160 /*v416*/, 8, 8
	;; [unrolled: 1-line block ×3, first 2 shown]
	s_set_vgpr_msb 0x44                     ;  msbs: dst=1 src0=0 src1=1 src2=0
	v_dual_ashrrev_i32 v196 /*v452*/, 24, v160 /*v416*/ :: v_dual_ashrrev_i32 v200 /*v456*/, 24, v161 /*v417*/
	s_set_vgpr_msb 0x41                     ;  msbs: dst=1 src0=1 src1=0 src2=0
	v_bfe_i32 v197 /*v453*/, v161 /*v417*/, 0, 8
	v_bfe_i32 v198 /*v454*/, v161 /*v417*/, 8, 8
	;; [unrolled: 1-line block ×3, first 2 shown]
	s_set_vgpr_msb 0x44                     ;  msbs: dst=1 src0=0 src1=1 src2=0
	v_mul_i32_i24_e32 v160 /*v416*/, v26, v37 /*v293*/
	v_mul_i32_i24_e32 v161 /*v417*/, v27, v38 /*v294*/
	s_set_vgpr_msb 20                       ;  msbs: dst=0 src0=0 src1=1 src2=1
	v_add3_u32 v115, v115, v158 /*v414*/, v159 /*v415*/
	s_set_vgpr_msb 0x44                     ;  msbs: dst=1 src0=0 src1=1 src2=0
	v_mul_i32_i24_e32 v162 /*v418*/, v28, v39 /*v295*/
	v_mul_i32_i24_e32 v163 /*v419*/, v29, v41 /*v297*/
	s_set_vgpr_msb 20                       ;  msbs: dst=0 src0=0 src1=1 src2=1
	v_bfe_i32 v38, v114, 0, 8
	v_bfe_i32 v40, v114, 8, 8
	v_add3_u32 v115, v115, v160 /*v416*/, v161 /*v417*/
	s_set_vgpr_msb 0x44                     ;  msbs: dst=1 src0=0 src1=1 src2=0
	v_mul_i32_i24_e32 v164 /*v420*/, v30, v43 /*v299*/
	v_mul_i32_i24_e32 v201 /*v457*/, v31, v44 /*v300*/
	s_set_vgpr_msb 0                        ;  msbs: dst=0 src0=0 src1=0 src2=0
	v_bfe_i32 v42, v114, 16, 8
	s_set_vgpr_msb 0x44                     ;  msbs: dst=1 src0=0 src1=1 src2=0
	v_mul_i32_i24_e32 v202 /*v458*/, v38, v49 /*v305*/
	s_set_vgpr_msb 20                       ;  msbs: dst=0 src0=0 src1=1 src2=1
	v_add3_u32 v115, v115, v162 /*v418*/, v163 /*v419*/
	s_set_vgpr_msb 0x44                     ;  msbs: dst=1 src0=0 src1=1 src2=0
	v_mul_i32_i24_e32 v203 /*v459*/, v40, v51 /*v307*/
	v_mul_i32_i24_e32 v205 /*v461*/, v44, v54 /*v310*/
	v_mul_i32_i24_e32 v204 /*v460*/, v42, v53 /*v309*/
	s_set_vgpr_msb 0x41                     ;  msbs: dst=1 src0=1 src1=0 src2=0
	v_mul_i32_i24_e32 v206 /*v462*/, v58 /*v314*/, v46
	s_set_vgpr_msb 20                       ;  msbs: dst=0 src0=0 src1=1 src2=1
	v_add3_u32 v115, v115, v164 /*v420*/, v201 /*v457*/
	s_set_vgpr_msb 0x41                     ;  msbs: dst=1 src0=1 src1=0 src2=0
	v_mul_i32_i24_e32 v207 /*v463*/, v55 /*v311*/, v84
	s_set_vgpr_msb 64                       ;  msbs: dst=1 src0=0 src1=0 src2=0
	v_bfe_i32 v165 /*v421*/, v116, 0, 8
	v_bfe_i32 v166 /*v422*/, v116, 8, 8
	s_set_vgpr_msb 0x41                     ;  msbs: dst=1 src0=1 src1=0 src2=0
	v_mul_i32_i24_e32 v208 /*v464*/, v62 /*v318*/, v113
	s_set_vgpr_msb 20                       ;  msbs: dst=0 src0=0 src1=1 src2=1
	v_add3_u32 v115, v115, v202 /*v458*/, v203 /*v459*/
	s_set_vgpr_msb 0x41                     ;  msbs: dst=1 src0=1 src1=0 src2=0
	v_mul_i32_i24_e32 v209 /*v465*/, v59 /*v315*/, v126
	s_set_vgpr_msb 64                       ;  msbs: dst=1 src0=0 src1=0 src2=0
	v_bfe_i32 v167 /*v423*/, v116, 16, 8
	s_set_vgpr_msb 0                        ;  msbs: dst=0 src0=0 src1=0 src2=0
	v_ashrrev_i32_e32 v116, 24, v116
	s_set_vgpr_msb 0x45                     ;  msbs: dst=1 src0=1 src1=1 src2=0
	v_mul_i32_i24_e32 v210 /*v466*/, v67 /*v323*/, v165 /*v421*/
	s_set_vgpr_msb 20                       ;  msbs: dst=0 src0=0 src1=1 src2=1
	v_add3_u32 v115, v115, v204 /*v460*/, v205 /*v461*/
	s_set_vgpr_msb 0x45                     ;  msbs: dst=1 src0=1 src1=1 src2=0
	v_mul_i32_i24_e32 v211 /*v467*/, v64 /*v320*/, v166 /*v422*/
	s_set_vgpr_msb 64                       ;  msbs: dst=1 src0=0 src1=0 src2=0
	v_bfe_i32 v168 /*v424*/, v117, 0, 8
	v_bfe_i32 v169 /*v425*/, v117, 8, 8
	;; [unrolled: 1-line block ×3, first 2 shown]
	s_set_vgpr_msb 20                       ;  msbs: dst=0 src0=0 src1=1 src2=1
	v_add3_u32 v115, v115, v206 /*v462*/, v207 /*v463*/
	s_set_vgpr_msb 0                        ;  msbs: dst=0 src0=0 src1=0 src2=0
	v_ashrrev_i32_e32 v117, 24, v117
	s_set_vgpr_msb 0x45                     ;  msbs: dst=1 src0=1 src1=1 src2=0
	v_mul_i32_i24_e32 v212 /*v468*/, v71 /*v327*/, v167 /*v423*/
	s_set_vgpr_msb 0x41                     ;  msbs: dst=1 src0=1 src1=0 src2=0
	v_mul_i32_i24_e32 v213 /*v469*/, v68 /*v324*/, v116
	s_set_vgpr_msb 0x45                     ;  msbs: dst=1 src0=1 src1=1 src2=0
	v_mul_i32_i24_e32 v214 /*v470*/, v79 /*v335*/, v168 /*v424*/
	s_set_vgpr_msb 20                       ;  msbs: dst=0 src0=0 src1=1 src2=1
	v_add3_u32 v115, v115, v208 /*v464*/, v209 /*v465*/
	s_set_vgpr_msb 0x45                     ;  msbs: dst=1 src0=1 src1=1 src2=0
	v_mul_i32_i24_e32 v215 /*v471*/, v74 /*v330*/, v169 /*v425*/
	v_mul_i32_i24_e32 v216 /*v472*/, v84 /*v340*/, v170 /*v426*/
	s_set_vgpr_msb 0x41                     ;  msbs: dst=1 src0=1 src1=0 src2=0
	v_mul_i32_i24_e32 v217 /*v473*/, v80 /*v336*/, v117
	s_set_vgpr_msb 0x45                     ;  msbs: dst=1 src0=1 src1=1 src2=0
	v_mul_i32_i24_e32 v153 /*v409*/, v172 /*v428*/, v70 /*v326*/
	s_set_vgpr_msb 20                       ;  msbs: dst=0 src0=0 src1=1 src2=1
	v_add3_u32 v115, v115, v210 /*v466*/, v211 /*v467*/
	s_set_vgpr_msb 0x45                     ;  msbs: dst=1 src0=1 src1=1 src2=0
	v_mul_i32_i24_e32 v155 /*v411*/, v154 /*v410*/, v77 /*v333*/
	v_mul_i32_i24_e32 v156 /*v412*/, v175 /*v431*/, v75 /*v331*/
	v_mul_i32_i24_e32 v158 /*v414*/, v176 /*v432*/, v87 /*v343*/
	v_mul_i32_i24_e32 v159 /*v415*/, v177 /*v433*/, v89 /*v345*/
	s_set_vgpr_msb 20                       ;  msbs: dst=0 src0=0 src1=1 src2=1
	v_add3_u32 v115, v115, v212 /*v468*/, v213 /*v469*/
	s_set_vgpr_msb 0x45                     ;  msbs: dst=1 src0=1 src1=1 src2=0
	v_mul_i32_i24_e32 v160 /*v416*/, v178 /*v434*/, v92 /*v348*/
	v_mul_i32_i24_e32 v161 /*v417*/, v179 /*v435*/, v86 /*v342*/
	v_mul_i32_i24_e32 v164 /*v420*/, v180 /*v436*/, v94 /*v350*/
	;; [unrolled: 7-line block ×3, first 2 shown]
	v_mul_i32_i24_e32 v205 /*v461*/, v185 /*v441*/, v110 /*v366*/
	s_set_vgpr_msb 0x54                     ;  msbs: dst=1 src0=0 src1=1 src2=1
	v_add3_u32 v157 /*v413*/, v115, v216 /*v472*/, v217 /*v473*/
	s_set_vgpr_msb 4                        ;  msbs: dst=0 src0=0 src1=1 src2=0
	v_mul_i32_i24_e32 v115, v8, v73 /*v329*/
	s_set_vgpr_msb 0x45                     ;  msbs: dst=1 src0=1 src1=1 src2=0
	v_mul_i32_i24_e32 v206 /*v462*/, v186 /*v442*/, v112 /*v368*/
	v_mul_i32_i24_e32 v207 /*v463*/, v187 /*v443*/, v98 /*v354*/
	;; [unrolled: 1-line block ×4, first 2 shown]
	s_set_vgpr_msb 5                        ;  msbs: dst=0 src0=1 src1=1 src2=0
	v_mad_i32_i24 v115, v171 /*v427*/, v72 /*v328*/, v115
	s_set_vgpr_msb 0x45                     ;  msbs: dst=1 src0=1 src1=1 src2=0
	v_mul_i32_i24_e32 v210 /*v466*/, v118 /*v374*/, v190 /*v446*/
	v_mul_i32_i24_e32 v211 /*v467*/, v124 /*v380*/, v191 /*v447*/
	;; [unrolled: 1-line block ×4, first 2 shown]
	s_set_vgpr_msb 20                       ;  msbs: dst=0 src0=0 src1=1 src2=1
	v_add3_u32 v115, v115, v153 /*v409*/, v155 /*v411*/
	s_set_vgpr_msb 0x45                     ;  msbs: dst=1 src0=1 src1=1 src2=0
	v_mul_i32_i24_e32 v153 /*v409*/, v173 /*v429*/, v82 /*v338*/
	v_mul_i32_i24_e32 v155 /*v411*/, v174 /*v430*/, v85 /*v341*/
	v_mul_i32_i24_e32 v214 /*v470*/, v126 /*v382*/, v194 /*v450*/
	v_mul_i32_i24_e32 v215 /*v471*/, v130 /*v386*/, v195 /*v451*/
	v_mul_i32_i24_e32 v216 /*v472*/, v128 /*v384*/, v196 /*v452*/
	v_mul_i32_i24_e32 v217 /*v473*/, v197 /*v453*/, v131 /*v387*/
	s_set_vgpr_msb 20                       ;  msbs: dst=0 src0=0 src1=1 src2=1
	v_add3_u32 v115, v115, v153 /*v409*/, v155 /*v411*/
	s_set_vgpr_msb 0x45                     ;  msbs: dst=1 src0=1 src1=1 src2=0
	v_mul_i32_i24_e32 v218 /*v474*/, v198 /*v454*/, v132 /*v388*/
	s_set_vgpr_msb 64                       ;  msbs: dst=1 src0=0 src1=0 src2=0
	v_mul_i32_i24_e32 v153 /*v409*/, v14, v219
	v_mul_i32_i24_e32 v155 /*v411*/, v15, v220
	s_set_vgpr_msb 0x44                     ;  msbs: dst=1 src0=0 src1=1 src2=0
	v_mul_i32_i24_e32 v219 /*v475*/, v248, v169 /*v425*/
	s_set_vgpr_msb 20                       ;  msbs: dst=0 src0=0 src1=1 src2=1
	v_add3_u32 v115, v115, v156 /*v412*/, v158 /*v414*/
	s_set_vgpr_msb 64                       ;  msbs: dst=1 src0=0 src1=0 src2=0
	v_mul_i32_i24_e32 v156 /*v412*/, v20, v223
	v_mul_i32_i24_e32 v158 /*v414*/, v21, v224
	s_set_vgpr_msb 0x44                     ;  msbs: dst=1 src0=0 src1=1 src2=0
	v_mul_i32_i24_e32 v220 /*v476*/, v254, v170 /*v426*/
	s_set_vgpr_msb 64                       ;  msbs: dst=1 src0=0 src1=0 src2=0
	v_mul_i32_i24_e32 v221 /*v477*/, v252, v117
	s_set_vgpr_msb 20                       ;  msbs: dst=0 src0=0 src1=1 src2=1
	v_add3_u32 v115, v115, v159 /*v415*/, v160 /*v416*/
	s_set_vgpr_msb 64                       ;  msbs: dst=1 src0=0 src1=0 src2=0
	v_mul_i32_i24_e32 v159 /*v415*/, v22, v225
	v_mul_i32_i24_e32 v160 /*v416*/, v24, v226
	s_set_vgpr_msb 0x45                     ;  msbs: dst=1 src0=1 src1=1 src2=0
	v_mul_i32_i24_e32 v222 /*v478*/, v198 /*v454*/, v23 /*v279*/
	s_set_vgpr_msb 64                       ;  msbs: dst=1 src0=0 src1=0 src2=0
	v_mul_i32_i24_e32 v225 /*v481*/, v187, v117
	s_set_vgpr_msb 20                       ;  msbs: dst=0 src0=0 src1=1 src2=1
	v_add3_u32 v115, v115, v161 /*v417*/, v164 /*v420*/
	s_set_vgpr_msb 64                       ;  msbs: dst=1 src0=0 src1=0 src2=0
	v_mul_i32_i24_e32 v161 /*v417*/, v26, v227
	s_set_vgpr_msb 1                        ;  msbs: dst=0 src0=1 src1=0 src2=0
	v_mul_i32_i24_e32 v117, v123 /*v379*/, v117
	s_set_vgpr_msb 0x44                     ;  msbs: dst=1 src0=0 src1=1 src2=0
	v_mul_i32_i24_e32 v223 /*v479*/, v183, v169 /*v425*/
	v_mul_i32_i24_e32 v224 /*v480*/, v189, v170 /*v426*/
	s_set_vgpr_msb 20                       ;  msbs: dst=0 src0=0 src1=1 src2=1
	v_add3_u32 v115, v115, v201 /*v457*/, v202 /*v458*/
	s_set_vgpr_msb 64                       ;  msbs: dst=1 src0=0 src1=0 src2=0
	v_mul_i32_i24_e32 v201 /*v457*/, v27, v228
	v_mul_i32_i24_e32 v202 /*v458*/, v28, v229
	s_set_vgpr_msb 0x41                     ;  msbs: dst=1 src0=1 src1=0 src2=0
	v_mul_i32_i24_e32 v226 /*v482*/, v198 /*v454*/, v214
	s_set_vgpr_msb 0x45                     ;  msbs: dst=1 src0=1 src1=1 src2=0
	v_mul_i32_i24_e32 v162 /*v418*/, v199 /*v455*/, v129 /*v385*/
	s_set_vgpr_msb 20                       ;  msbs: dst=0 src0=0 src1=1 src2=1
	v_add3_u32 v115, v115, v203 /*v459*/, v204 /*v460*/
	s_set_vgpr_msb 64                       ;  msbs: dst=1 src0=0 src1=0 src2=0
	v_mul_i32_i24_e32 v203 /*v459*/, v29, v230
	v_mul_i32_i24_e32 v204 /*v460*/, v30, v231
	s_set_vgpr_msb 0x45                     ;  msbs: dst=1 src0=1 src1=1 src2=0
	v_mul_i32_i24_e32 v163 /*v419*/, v200 /*v456*/, v133 /*v389*/
	s_wait_dscnt 0x0
	s_set_vgpr_msb 0                        ;  msbs: dst=0 src0=0 src1=0 src2=0
	v_dual_lshrrev_b32 v112, 16, v110 :: v_dual_lshrrev_b32 v114, 16, v111
	s_set_vgpr_msb 20                       ;  msbs: dst=0 src0=0 src1=1 src2=1
	v_add3_u32 v115, v115, v205 /*v461*/, v206 /*v462*/
	s_set_vgpr_msb 64                       ;  msbs: dst=1 src0=0 src1=0 src2=0
	v_mul_i32_i24_e32 v205 /*v461*/, v31, v232
	v_mul_i32_i24_e32 v206 /*v462*/, v38, v233
	s_set_vgpr_msb 20                       ;  msbs: dst=0 src0=0 src1=1 src2=1
	v_add3_u32 v115, v115, v207 /*v463*/, v208 /*v464*/
	s_set_vgpr_msb 64                       ;  msbs: dst=1 src0=0 src1=0 src2=0
	v_mul_i32_i24_e32 v207 /*v463*/, v40, v234
	v_mul_i32_i24_e32 v208 /*v464*/, v42, v235
	;; [unrolled: 5-line block ×4, first 2 shown]
	s_set_vgpr_msb 20                       ;  msbs: dst=0 src0=0 src1=1 src2=1
	v_add3_u32 v115, v115, v213 /*v469*/, v214 /*v470*/
	s_set_vgpr_msb 64                       ;  msbs: dst=1 src0=0 src1=0 src2=0
	v_mul_i32_i24_e32 v213 /*v469*/, v239, v126
	s_set_vgpr_msb 0x44                     ;  msbs: dst=1 src0=0 src1=1 src2=0
	v_mul_i32_i24_e32 v214 /*v470*/, v242, v165 /*v421*/
	s_set_vgpr_msb 20                       ;  msbs: dst=0 src0=0 src1=1 src2=1
	v_add3_u32 v115, v115, v215 /*v471*/, v216 /*v472*/
	s_set_vgpr_msb 0x54                     ;  msbs: dst=1 src0=0 src1=1 src2=1
	v_mul_i32_i24_e32 v215 /*v471*/, v241, v166 /*v422*/
	v_mul_i32_i24_e32 v216 /*v472*/, v245, v167 /*v423*/
	s_delay_alu instid0(VALU_DEP_3)
	v_add3_u32 v164 /*v420*/, v115, v217 /*v473*/, v218 /*v474*/
	s_set_vgpr_msb 0                        ;  msbs: dst=0 src0=0 src1=0 src2=0
	v_mul_i32_i24_e32 v115, v12, v218
	s_set_vgpr_msb 64                       ;  msbs: dst=1 src0=0 src1=0 src2=0
	v_mul_i32_i24_e32 v217 /*v473*/, v243, v116
	s_set_vgpr_msb 0x44                     ;  msbs: dst=1 src0=0 src1=1 src2=0
	v_mul_i32_i24_e32 v218 /*v474*/, v251, v168 /*v424*/
	s_set_vgpr_msb 0                        ;  msbs: dst=0 src0=0 src1=0 src2=0
	v_mad_i32_i24 v115, v13, v217, v115
	s_set_vgpr_msb 20                       ;  msbs: dst=0 src0=0 src1=1 src2=1
	s_delay_alu instid0(VALU_DEP_1) | instskip(SKIP_4) | instid1(VALU_DEP_1)
	v_add3_u32 v115, v115, v153 /*v409*/, v155 /*v411*/
	s_set_vgpr_msb 64                       ;  msbs: dst=1 src0=0 src1=0 src2=0
	v_mul_i32_i24_e32 v153 /*v409*/, v16, v221
	v_mul_i32_i24_e32 v155 /*v411*/, v18, v222
	s_set_vgpr_msb 20                       ;  msbs: dst=0 src0=0 src1=1 src2=1
	v_add3_u32 v115, v115, v153 /*v409*/, v155 /*v411*/
	s_set_vgpr_msb 0x41                     ;  msbs: dst=1 src0=1 src1=0 src2=0
	v_mul_i32_i24_e32 v155 /*v411*/, v172 /*v428*/, v244
	s_set_vgpr_msb 20                       ;  msbs: dst=0 src0=0 src1=1 src2=1
	s_delay_alu instid0(VALU_DEP_2)
	v_add3_u32 v115, v115, v156 /*v412*/, v158 /*v414*/
	s_set_vgpr_msb 0x41                     ;  msbs: dst=1 src0=1 src1=0 src2=0
	v_mul_i32_i24_e32 v156 /*v412*/, v154 /*v410*/, v250
	v_mul_i32_i24_e32 v158 /*v414*/, v175 /*v431*/, v249
	s_set_vgpr_msb 20                       ;  msbs: dst=0 src0=0 src1=1 src2=1
	v_add3_u32 v115, v115, v159 /*v415*/, v160 /*v416*/
	s_set_vgpr_msb 0x45                     ;  msbs: dst=1 src0=1 src1=1 src2=0
	v_mul_i32_i24_e32 v159 /*v415*/, v199 /*v455*/, v20 /*v276*/
	v_mul_i32_i24_e32 v160 /*v416*/, v200 /*v456*/, v24 /*v280*/
	s_set_vgpr_msb 20                       ;  msbs: dst=0 src0=0 src1=1 src2=1
	v_add3_u32 v115, v115, v161 /*v417*/, v201 /*v457*/
	s_set_vgpr_msb 0x45                     ;  msbs: dst=1 src0=1 src1=1 src2=0
	v_mul_i32_i24_e32 v161 /*v417*/, v176 /*v432*/, v1 /*v257*/
	v_mul_i32_i24_e32 v201 /*v457*/, v177 /*v433*/, v2 /*v258*/
	;; [unrolled: 5-line block ×11, first 2 shown]
	s_set_vgpr_msb 0x54                     ;  msbs: dst=1 src0=0 src1=1 src2=1
	v_add3_u32 v153 /*v409*/, v115, v220 /*v476*/, v221 /*v477*/
	s_set_vgpr_msb 0                        ;  msbs: dst=0 src0=0 src1=0 src2=0
	v_mul_i32_i24_e32 v115, v8, v247
	s_set_vgpr_msb 0x45                     ;  msbs: dst=1 src0=1 src1=1 src2=0
	v_mul_i32_i24_e32 v220 /*v476*/, v19 /*v275*/, v196 /*v452*/
	v_mul_i32_i24_e32 v221 /*v477*/, v197 /*v453*/, v22 /*v278*/
	s_set_vgpr_msb 1                        ;  msbs: dst=0 src0=1 src1=0 src2=0
	v_mad_i32_i24 v115, v171 /*v427*/, v246, v115
	s_set_vgpr_msb 20                       ;  msbs: dst=0 src0=0 src1=1 src2=1
	s_delay_alu instid0(VALU_DEP_1) | instskip(SKIP_4) | instid1(VALU_DEP_1)
	v_add3_u32 v115, v115, v155 /*v411*/, v156 /*v412*/
	s_set_vgpr_msb 0x41                     ;  msbs: dst=1 src0=1 src1=0 src2=0
	v_mul_i32_i24_e32 v155 /*v411*/, v173 /*v429*/, v253
	v_mul_i32_i24_e32 v156 /*v412*/, v174 /*v430*/, v255
	s_set_vgpr_msb 20                       ;  msbs: dst=0 src0=0 src1=1 src2=1
	v_add3_u32 v115, v115, v155 /*v411*/, v156 /*v412*/
	s_set_vgpr_msb 64                       ;  msbs: dst=1 src0=0 src1=0 src2=0
	v_mul_i32_i24_e32 v155 /*v411*/, v14, v153
	v_mul_i32_i24_e32 v156 /*v412*/, v15, v155
	s_set_vgpr_msb 20                       ;  msbs: dst=0 src0=0 src1=1 src2=1
	v_mul_i32_i24_e32 v14, v14, v45 /*v301*/
	v_mul_i32_i24_e32 v15, v15, v46 /*v302*/
	v_add3_u32 v115, v115, v158 /*v414*/, v161 /*v417*/
	s_set_vgpr_msb 64                       ;  msbs: dst=1 src0=0 src1=0 src2=0
	v_mul_i32_i24_e32 v158 /*v414*/, v20, v158
	s_set_vgpr_msb 20                       ;  msbs: dst=0 src0=0 src1=1 src2=1
	s_delay_alu instid0(VALU_DEP_2)
	v_add3_u32 v115, v115, v201 /*v457*/, v202 /*v458*/
	s_set_vgpr_msb 64                       ;  msbs: dst=1 src0=0 src1=0 src2=0
	v_mul_i32_i24_e32 v201 /*v457*/, v21, v159
	v_mul_i32_i24_e32 v202 /*v458*/, v22, v160
	s_set_vgpr_msb 20                       ;  msbs: dst=0 src0=0 src1=1 src2=1
	v_add3_u32 v115, v115, v203 /*v459*/, v204 /*v460*/
	s_set_vgpr_msb 64                       ;  msbs: dst=1 src0=0 src1=0 src2=0
	v_mul_i32_i24_e32 v203 /*v459*/, v24, v161
	v_mul_i32_i24_e32 v204 /*v460*/, v26, v162
	s_set_vgpr_msb 20                       ;  msbs: dst=0 src0=0 src1=1 src2=1
	;; [unrolled: 5-line block ×8, first 2 shown]
	v_add3_u32 v115, v115, v217 /*v473*/, v218 /*v474*/
	s_set_vgpr_msb 64                       ;  msbs: dst=1 src0=0 src1=0 src2=0
	v_mul_i32_i24_e32 v217 /*v473*/, v174, v126
	s_set_vgpr_msb 0x44                     ;  msbs: dst=1 src0=0 src1=1 src2=0
	v_mul_i32_i24_e32 v218 /*v474*/, v177, v165 /*v421*/
	s_set_vgpr_msb 20                       ;  msbs: dst=0 src0=0 src1=1 src2=1
	v_add3_u32 v115, v115, v219 /*v475*/, v220 /*v476*/
	s_set_vgpr_msb 0x54                     ;  msbs: dst=1 src0=0 src1=1 src2=1
	v_mul_i32_i24_e32 v219 /*v475*/, v176, v166 /*v422*/
	v_mul_i32_i24_e32 v220 /*v476*/, v180, v167 /*v423*/
	s_delay_alu instid0(VALU_DEP_3)
	v_add3_u32 v161 /*v417*/, v115, v221 /*v477*/, v222 /*v478*/
	s_set_vgpr_msb 0                        ;  msbs: dst=0 src0=0 src1=0 src2=0
	v_mul_i32_i24_e32 v115, v12, v152
	s_set_vgpr_msb 4                        ;  msbs: dst=0 src0=0 src1=1 src2=0
	v_mul_i32_i24_e32 v12, v12, v42 /*v298*/
	s_set_vgpr_msb 64                       ;  msbs: dst=1 src0=0 src1=0 src2=0
	v_mul_i32_i24_e32 v221 /*v477*/, v178, v116
	s_set_vgpr_msb 1                        ;  msbs: dst=0 src0=1 src1=0 src2=0
	v_mul_i32_i24_e32 v116, v109 /*v365*/, v116
	s_set_vgpr_msb 0x44                     ;  msbs: dst=1 src0=0 src1=1 src2=0
	v_mul_i32_i24_e32 v222 /*v478*/, v186, v168 /*v424*/
	s_set_vgpr_msb 0                        ;  msbs: dst=0 src0=0 src1=0 src2=0
	v_mad_i32_i24 v115, v13, v151, v115
	s_set_vgpr_msb 4                        ;  msbs: dst=0 src0=0 src1=1 src2=0
	v_mad_i32_i24 v12, v13, v40 /*v296*/, v12
	v_mul_i32_i24_e32 v13, v16, v47 /*v303*/
	s_set_vgpr_msb 20                       ;  msbs: dst=0 src0=0 src1=1 src2=1
	v_add3_u32 v115, v115, v155 /*v411*/, v156 /*v412*/
	s_set_vgpr_msb 0                        ;  msbs: dst=0 src0=0 src1=0 src2=0
	v_add3_u32 v12, v12, v14, v15
	s_set_vgpr_msb 4                        ;  msbs: dst=0 src0=0 src1=1 src2=0
	v_mul_i32_i24_e32 v14, v18, v48 /*v304*/
	s_set_vgpr_msb 64                       ;  msbs: dst=1 src0=0 src1=0 src2=0
	v_mul_i32_i24_e32 v155 /*v411*/, v16, v156
	s_set_vgpr_msb 4                        ;  msbs: dst=0 src0=0 src1=1 src2=0
	v_mul_i32_i24_e32 v15, v20, v50 /*v306*/
	v_mul_i32_i24_e32 v16, v21, v52 /*v308*/
	s_set_vgpr_msb 64                       ;  msbs: dst=1 src0=0 src1=0 src2=0
	v_mul_i32_i24_e32 v156 /*v412*/, v18, v157
	s_set_vgpr_msb 0                        ;  msbs: dst=0 src0=0 src1=0 src2=0
	v_add3_u32 v12, v12, v13, v14
	s_set_vgpr_msb 4                        ;  msbs: dst=0 src0=0 src1=1 src2=0
	v_mul_i32_i24_e32 v18, v22, v56 /*v312*/
	v_mul_i32_i24_e32 v20, v24, v57 /*v313*/
	v_mul_i32_i24_e32 v21, v26, v60 /*v316*/
	v_mul_i32_i24_e32 v22, v27, v61 /*v317*/
	s_set_vgpr_msb 0                        ;  msbs: dst=0 src0=0 src1=0 src2=0
	v_add3_u32 v12, v12, v15, v16
	s_set_vgpr_msb 4                        ;  msbs: dst=0 src0=0 src1=1 src2=0
	v_mul_i32_i24_e32 v24, v28, v63 /*v319*/
	v_mul_i32_i24_e32 v26, v29, v65 /*v321*/
	v_mul_i32_i24_e32 v27, v30, v66 /*v322*/
	v_mul_i32_i24_e32 v28, v31, v69 /*v325*/
	;; [unrolled: 7-line block ×3, first 2 shown]
	s_set_vgpr_msb 0                        ;  msbs: dst=0 src0=0 src1=0 src2=0
	v_add3_u32 v12, v12, v21, v22
	s_set_vgpr_msb 1                        ;  msbs: dst=0 src0=1 src1=0 src2=0
	v_mul_i32_i24_e32 v40, v90 /*v346*/, v46
	v_mul_i32_i24_e32 v42, v88 /*v344*/, v84
	v_mul_i32_i24_e32 v44, v95 /*v351*/, v113
	v_mul_i32_i24_e32 v46, v91 /*v347*/, v126
	s_set_vgpr_msb 0                        ;  msbs: dst=0 src0=0 src1=0 src2=0
	v_add3_u32 v12, v12, v24, v26
	s_set_vgpr_msb 5                        ;  msbs: dst=0 src0=1 src1=1 src2=0
	v_mul_i32_i24_e32 v84, v108 /*v364*/, v165 /*v421*/
	v_mul_i32_i24_e32 v113, v99 /*v355*/, v166 /*v422*/
	;; [unrolled: 1-line block ×3, first 2 shown]
	s_set_vgpr_msb 0x45                     ;  msbs: dst=1 src0=1 src1=1 src2=0
	v_mul_i32_i24_e32 v165 /*v421*/, v122 /*v378*/, v168 /*v424*/
	s_set_vgpr_msb 0                        ;  msbs: dst=0 src0=0 src1=0 src2=0
	v_add3_u32 v12, v12, v27, v28
	s_set_vgpr_msb 0x45                     ;  msbs: dst=1 src0=1 src1=1 src2=0
	v_mul_i32_i24_e32 v166 /*v422*/, v119 /*v375*/, v169 /*v425*/
	s_set_vgpr_msb 20                       ;  msbs: dst=0 src0=0 src1=1 src2=1
	v_add3_u32 v115, v115, v155 /*v411*/, v156 /*v412*/
	s_set_vgpr_msb 64                       ;  msbs: dst=1 src0=0 src1=0 src2=0
	v_mul_i32_i24_e32 v155 /*v411*/, v8, v182
	s_set_vgpr_msb 0x45                     ;  msbs: dst=1 src0=1 src1=1 src2=0
	v_mul_i32_i24_e32 v167 /*v423*/, v127 /*v383*/, v170 /*v426*/
	s_set_vgpr_msb 0                        ;  msbs: dst=0 src0=0 src1=0 src2=0
	v_add3_u32 v12, v12, v29, v30
	v_mul_i32_i24_e32 v8, v118, v8
	s_set_vgpr_msb 5                        ;  msbs: dst=0 src0=1 src1=1 src2=0
	v_mul_i32_i24_e32 v13, v111 /*v367*/, v154 /*v410*/
	v_mul_i32_i24_e32 v14, v136 /*v392*/, v175 /*v431*/
	;; [unrolled: 1-line block ×3, first 2 shown]
	s_set_vgpr_msb 0                        ;  msbs: dst=0 src0=0 src1=0 src2=0
	v_add3_u32 v12, v12, v31, v38
	s_set_vgpr_msb 5                        ;  msbs: dst=0 src0=1 src1=1 src2=0
	v_mad_i32_i24 v8, v134 /*v390*/, v171 /*v427*/, v8
	v_mul_i32_i24_e32 v16, v140 /*v396*/, v177 /*v433*/
	v_mul_i32_i24_e32 v18, v139 /*v395*/, v178 /*v434*/
	v_mul_i32_i24_e32 v20, v138 /*v394*/, v179 /*v435*/
	s_set_vgpr_msb 0                        ;  msbs: dst=0 src0=0 src1=0 src2=0
	v_add3_u32 v12, v12, v40, v42
	s_set_vgpr_msb 5                        ;  msbs: dst=0 src0=1 src1=1 src2=0
	v_mul_i32_i24_e32 v21, v102 /*v358*/, v180 /*v436*/
	v_mul_i32_i24_e32 v22, v143 /*v399*/, v181 /*v437*/
	v_mul_i32_i24_e32 v24, v142 /*v398*/, v182 /*v438*/
	v_mul_i32_i24_e32 v26, v141 /*v397*/, v183 /*v439*/
	s_set_vgpr_msb 0                        ;  msbs: dst=0 src0=0 src1=0 src2=0
	v_add3_u32 v12, v12, v44, v46
	s_set_vgpr_msb 5                        ;  msbs: dst=0 src0=1 src1=1 src2=0
	v_mul_i32_i24_e32 v27, v103 /*v359*/, v184 /*v440*/
	;; [unrolled: 7-line block ×4, first 2 shown]
	v_mul_i32_i24_e32 v46, v152 /*v408*/, v193 /*v449*/
	v_mul_i32_i24_e32 v84, v151 /*v407*/, v194 /*v450*/
	s_set_vgpr_msb 20                       ;  msbs: dst=0 src0=0 src1=1 src2=1
	v_add3_u32 v115, v115, v158 /*v414*/, v201 /*v457*/
	v_add3_u32 v12, v12, v165 /*v421*/, v166 /*v422*/
	s_set_vgpr_msb 0x41                     ;  msbs: dst=1 src0=1 src1=0 src2=0
	v_mul_i32_i24_e32 v158 /*v414*/, v154 /*v410*/, v185
	s_set_vgpr_msb 5                        ;  msbs: dst=0 src0=1 src1=1 src2=0
	v_mul_i32_i24_e32 v126, v150 /*v406*/, v195 /*v451*/
	s_set_vgpr_msb 0x45                     ;  msbs: dst=1 src0=1 src1=1 src2=0
	v_mul_i32_i24_e32 v154 /*v410*/, v106 /*v362*/, v196 /*v452*/
	s_set_vgpr_msb 20                       ;  msbs: dst=0 src0=0 src1=1 src2=1
	v_add3_u32 v115, v115, v202 /*v458*/, v203 /*v459*/
	s_set_vgpr_msb 4                        ;  msbs: dst=0 src0=0 src1=1 src2=0
	v_add3_u32 v113, v12, v167 /*v423*/, v117
	s_set_vgpr_msb 5                        ;  msbs: dst=0 src0=1 src1=1 src2=0
	v_mul_i32_i24_e32 v12, v135 /*v391*/, v172 /*v428*/
	s_set_vgpr_msb 0x45                     ;  msbs: dst=1 src0=1 src1=1 src2=0
	v_mul_i32_i24_e32 v165 /*v421*/, v197 /*v453*/, v114 /*v370*/
	v_mul_i32_i24_e32 v166 /*v422*/, v198 /*v454*/, v116 /*v372*/
	s_set_vgpr_msb 20                       ;  msbs: dst=0 src0=0 src1=1 src2=1
	v_add3_u32 v115, v115, v204 /*v460*/, v205 /*v461*/
	s_set_vgpr_msb 0x41                     ;  msbs: dst=1 src0=1 src1=0 src2=0
	v_mul_i32_i24_e32 v156 /*v412*/, v172 /*v428*/, v179
	s_set_vgpr_msb 0                        ;  msbs: dst=0 src0=0 src1=0 src2=0
	v_add3_u32 v8, v8, v12, v13
	s_set_vgpr_msb 4                        ;  msbs: dst=0 src0=0 src1=1 src2=0
	v_mul_i32_i24_e32 v12, v119, v173 /*v429*/
	s_set_vgpr_msb 5                        ;  msbs: dst=0 src0=1 src1=1 src2=0
	v_mul_i32_i24_e32 v13, v137 /*v393*/, v174 /*v430*/
	s_set_vgpr_msb 20                       ;  msbs: dst=0 src0=0 src1=1 src2=1
	v_add3_u32 v115, v115, v206 /*v462*/, v207 /*v463*/
	s_set_vgpr_msb 0x51                     ;  msbs: dst=1 src0=1 src1=0 src2=1
	v_mad_i32_i24 v155 /*v411*/, v171 /*v427*/, v181, v155 /*v411*/
	v_mul_i32_i24_e32 v201 /*v457*/, v173 /*v429*/, v188
	v_mul_i32_i24_e32 v202 /*v458*/, v174 /*v430*/, v190
	s_set_vgpr_msb 0                        ;  msbs: dst=0 src0=0 src1=0 src2=0
	v_add3_u32 v8, v8, v12, v13
	s_set_vgpr_msb 20                       ;  msbs: dst=0 src0=0 src1=1 src2=1
	v_add3_u32 v115, v115, v208 /*v464*/, v209 /*v465*/
	s_set_vgpr_msb 0x41                     ;  msbs: dst=1 src0=1 src1=0 src2=0
	v_mul_i32_i24_e32 v203 /*v459*/, v175 /*v431*/, v184
	v_mul_i32_i24_e32 v204 /*v460*/, v176 /*v432*/, v192
	;; [unrolled: 1-line block ×3, first 2 shown]
	s_set_vgpr_msb 0                        ;  msbs: dst=0 src0=0 src1=0 src2=0
	v_add3_u32 v8, v8, v14, v15
	s_set_vgpr_msb 0x41                     ;  msbs: dst=1 src0=1 src1=0 src2=0
	v_mul_i32_i24_e32 v206 /*v462*/, v178 /*v434*/, v194
	v_mul_i32_i24_e32 v207 /*v463*/, v179 /*v435*/, v191
	v_mul_i32_i24_e32 v208 /*v464*/, v180 /*v436*/, v196
	v_mul_i32_i24_e32 v209 /*v465*/, v181 /*v437*/, v197
	s_set_vgpr_msb 0                        ;  msbs: dst=0 src0=0 src1=0 src2=0
	v_add3_u32 v8, v8, v16, v18
	s_set_vgpr_msb 0x55                     ;  msbs: dst=1 src0=1 src1=1 src2=1
	v_add3_u32 v158 /*v414*/, v155 /*v411*/, v156 /*v412*/, v158 /*v414*/
	s_set_vgpr_msb 20                       ;  msbs: dst=0 src0=0 src1=1 src2=1
	v_add3_u32 v115, v115, v210 /*v466*/, v211 /*v467*/
	s_set_vgpr_msb 0x41                     ;  msbs: dst=1 src0=1 src1=0 src2=0
	v_mul_i32_i24_e32 v210 /*v466*/, v182 /*v438*/, v198
	v_mul_i32_i24_e32 v211 /*v467*/, v183 /*v439*/, v195
	s_set_vgpr_msb 0                        ;  msbs: dst=0 src0=0 src1=0 src2=0
	v_add3_u32 v8, v8, v20, v21
	s_set_vgpr_msb 0x55                     ;  msbs: dst=1 src0=1 src1=1 src2=1
	v_add3_u32 v158 /*v414*/, v158 /*v414*/, v201 /*v457*/, v202 /*v458*/
	s_set_vgpr_msb 20                       ;  msbs: dst=0 src0=0 src1=1 src2=1
	v_add3_u32 v115, v115, v212 /*v468*/, v213 /*v469*/
	s_set_vgpr_msb 0x41                     ;  msbs: dst=1 src0=1 src1=0 src2=0
	v_mul_i32_i24_e32 v212 /*v468*/, v184 /*v440*/, v200
	v_mul_i32_i24_e32 v213 /*v469*/, v185 /*v441*/, v201
	;; [unrolled: 9-line block ×3, first 2 shown]
	s_set_vgpr_msb 0                        ;  msbs: dst=0 src0=0 src1=0 src2=0
	v_add3_u32 v8, v8, v26, v27
	s_set_vgpr_msb 0x55                     ;  msbs: dst=1 src0=1 src1=1 src2=1
	v_add3_u32 v158 /*v414*/, v158 /*v414*/, v205 /*v461*/, v206 /*v462*/
	s_set_vgpr_msb 20                       ;  msbs: dst=0 src0=0 src1=1 src2=1
	v_add3_u32 v115, v115, v216 /*v472*/, v217 /*v473*/
	s_set_vgpr_msb 0x41                     ;  msbs: dst=1 src0=1 src1=0 src2=0
	v_mul_i32_i24_e32 v216 /*v472*/, v188 /*v444*/, v203
	s_set_vgpr_msb 0x44                     ;  msbs: dst=1 src0=0 src1=1 src2=0
	v_mul_i32_i24_e32 v217 /*v473*/, v204, v189 /*v445*/
	s_set_vgpr_msb 0                        ;  msbs: dst=0 src0=0 src1=0 src2=0
	v_add3_u32 v8, v8, v28, v29
	s_set_vgpr_msb 0x55                     ;  msbs: dst=1 src0=1 src1=1 src2=1
	v_add3_u32 v158 /*v414*/, v158 /*v414*/, v207 /*v463*/, v208 /*v464*/
	s_set_vgpr_msb 20                       ;  msbs: dst=0 src0=0 src1=1 src2=1
	v_add3_u32 v115, v115, v218 /*v474*/, v219 /*v475*/
	s_set_vgpr_msb 0x44                     ;  msbs: dst=1 src0=0 src1=1 src2=0
	v_mul_i32_i24_e32 v218 /*v474*/, v205, v190 /*v446*/
	v_mul_i32_i24_e32 v219 /*v475*/, v207, v191 /*v447*/
	s_set_vgpr_msb 0                        ;  msbs: dst=0 src0=0 src1=0 src2=0
	v_add3_u32 v8, v8, v30, v31
	s_set_vgpr_msb 0x55                     ;  msbs: dst=1 src0=1 src1=1 src2=1
	v_add3_u32 v158 /*v414*/, v158 /*v414*/, v209 /*v465*/, v210 /*v466*/
	s_set_vgpr_msb 20                       ;  msbs: dst=0 src0=0 src1=1 src2=1
	v_add3_u32 v115, v115, v220 /*v476*/, v221 /*v477*/
	s_set_vgpr_msb 0x44                     ;  msbs: dst=1 src0=0 src1=1 src2=0
	v_mul_i32_i24_e32 v220 /*v476*/, v206, v192 /*v448*/
	;; [unrolled: 9-line block ×4, first 2 shown]
	s_set_vgpr_msb 0x41                     ;  msbs: dst=1 src0=1 src1=0 src2=0
	v_mul_i32_i24_e32 v225 /*v481*/, v197 /*v453*/, v213
	s_set_vgpr_msb 0                        ;  msbs: dst=0 src0=0 src1=0 src2=0
	v_add3_u32 v8, v8, v46, v84
	s_set_vgpr_msb 0x55                     ;  msbs: dst=1 src0=1 src1=1 src2=1
	v_add3_u32 v158 /*v414*/, v158 /*v414*/, v215 /*v471*/, v216 /*v472*/
	s_set_vgpr_msb 0x41                     ;  msbs: dst=1 src0=1 src1=0 src2=0
	v_mul_i32_i24_e32 v155 /*v411*/, v199 /*v455*/, v211
	v_mul_i32_i24_e32 v156 /*v412*/, v200 /*v456*/, v215
	s_set_vgpr_msb 5                        ;  msbs: dst=0 src0=1 src1=1 src2=0
	v_mul_i32_i24_e32 v116, v199 /*v455*/, v107 /*v363*/
	s_set_vgpr_msb 16                       ;  msbs: dst=0 src0=0 src1=0 src2=1
	v_add3_u32 v8, v8, v126, v154 /*v410*/
	s_set_vgpr_msb 0x55                     ;  msbs: dst=1 src0=1 src1=1 src2=1
	v_add3_u32 v158 /*v414*/, v158 /*v414*/, v217 /*v473*/, v218 /*v474*/
	s_set_vgpr_msb 5                        ;  msbs: dst=0 src0=1 src1=1 src2=0
	v_mul_i32_i24_e32 v117, v200 /*v456*/, v120 /*v376*/
	s_set_vgpr_msb 0x54                     ;  msbs: dst=1 src0=0 src1=1 src2=1
	v_add3_u32 v154 /*v410*/, v8, v165 /*v421*/, v166 /*v422*/
	s_set_vgpr_msb 0                        ;  msbs: dst=0 src0=0 src1=0 src2=0
	v_or_b32_e32 v8, s13, v133
	s_set_vgpr_msb 0x55                     ;  msbs: dst=1 src0=1 src1=1 src2=1
	v_add3_u32 v158 /*v414*/, v158 /*v414*/, v219 /*v475*/, v220 /*v476*/
	s_set_vgpr_msb 0                        ;  msbs: dst=0 src0=0 src1=0 src2=0
	s_delay_alu instid0(VALU_DEP_2)
	v_dual_lshlrev_b32 v12, 2, v8 :: v_dual_lshrrev_b32 v8, 1, v8
	s_set_vgpr_msb 64                       ;  msbs: dst=1 src0=0 src1=0 src2=0
	ds_load_b128 v[166:169] /*v[422:425]*/, v12 offset:16896
	ds_load_b128 v[170:173] /*v[426:429]*/, v12 offset:16912
	;; [unrolled: 1-line block ×4, first 2 shown]
	s_set_vgpr_msb 0x55                     ;  msbs: dst=1 src0=1 src1=1 src2=1
	v_add3_u32 v158 /*v414*/, v158 /*v414*/, v221 /*v477*/, v222 /*v478*/
	s_delay_alu instid0(VALU_DEP_1) | instskip(NEXT) | instid1(VALU_DEP_1)
	v_add3_u32 v158 /*v414*/, v158 /*v414*/, v223 /*v479*/, v224 /*v480*/
	v_add3_u32 v158 /*v414*/, v158 /*v414*/, v225 /*v481*/, v226 /*v482*/
	s_wait_dscnt 0x3
	s_set_vgpr_msb 1                        ;  msbs: dst=0 src0=1 src1=0 src2=0
	v_bfe_i32 v12, v166 /*v422*/, 0, 8
	v_bfe_i32 v13, v166 /*v422*/, 8, 8
	;; [unrolled: 1-line block ×3, first 2 shown]
	s_set_vgpr_msb 4                        ;  msbs: dst=0 src0=0 src1=1 src2=0
	v_dual_ashrrev_i32 v15, 24, v166 /*v422*/ :: v_dual_ashrrev_i32 v21, 24, v167 /*v423*/
	v_ashrrev_i32_e32 v27, 24, v168 /*v424*/
	s_set_vgpr_msb 1                        ;  msbs: dst=0 src0=1 src1=0 src2=0
	v_bfe_i32 v22, v168 /*v424*/, 0, 8
	v_bfe_i32 v24, v168 /*v424*/, 8, 8
	;; [unrolled: 1-line block ×3, first 2 shown]
	s_set_vgpr_msb 0x44                     ;  msbs: dst=1 src0=0 src1=1 src2=0
	v_mul_i32_i24_e32 v168 /*v424*/, v12, v27 /*v283*/
	s_set_vgpr_msb 1                        ;  msbs: dst=0 src0=1 src1=0 src2=0
	v_bfe_i32 v16, v167 /*v423*/, 0, 8
	v_bfe_i32 v18, v167 /*v423*/, 8, 8
	;; [unrolled: 1-line block ×5, first 2 shown]
	s_wait_dscnt 0x2
	s_set_vgpr_msb 4                        ;  msbs: dst=0 src0=0 src1=1 src2=0
	v_dual_ashrrev_i32 v31, 24, v169 /*v425*/ :: v_dual_ashrrev_i32 v44, 24, v170 /*v426*/
	s_set_vgpr_msb 1                        ;  msbs: dst=0 src0=1 src1=0 src2=0
	v_bfe_i32 v38, v170 /*v426*/, 0, 8
	v_bfe_i32 v40, v170 /*v426*/, 8, 8
	;; [unrolled: 1-line block ×3, first 2 shown]
	s_set_vgpr_msb 0x54                     ;  msbs: dst=1 src0=0 src1=1 src2=1
	v_mul_i32_i24_e32 v169 /*v425*/, v14, v28 /*v284*/
	v_mul_i32_i24_e32 v170 /*v426*/, v15, v29 /*v285*/
	v_mad_i32_i24 v168 /*v424*/, v13, v26 /*v282*/, v168 /*v424*/
	s_set_vgpr_msb 1                        ;  msbs: dst=0 src0=1 src1=0 src2=0
	v_bfe_i32 v20, v167 /*v423*/, 16, 8
	v_bfe_i32 v46, v171 /*v427*/, 0, 8
	;; [unrolled: 1-line block ×4, first 2 shown]
	s_set_vgpr_msb 0x55                     ;  msbs: dst=1 src0=1 src1=1 src2=1
	v_add3_u32 v168 /*v424*/, v168 /*v424*/, v169 /*v425*/, v170 /*v426*/
	s_set_vgpr_msb 0x44                     ;  msbs: dst=1 src0=0 src1=1 src2=0
	v_mul_i32_i24_e32 v169 /*v425*/, v16, v30 /*v286*/
	v_mul_i32_i24_e32 v170 /*v426*/, v18, v31 /*v287*/
	v_dual_ashrrev_i32 v182 /*v438*/, 24, v171 /*v427*/ :: v_dual_ashrrev_i32 v186 /*v442*/, 24, v172 /*v428*/
	s_set_vgpr_msb 0x41                     ;  msbs: dst=1 src0=1 src1=0 src2=0
	v_bfe_i32 v183 /*v439*/, v172 /*v428*/, 0, 8
	v_bfe_i32 v184 /*v440*/, v172 /*v428*/, 8, 8
	;; [unrolled: 1-line block ×3, first 2 shown]
	s_set_vgpr_msb 0x44                     ;  msbs: dst=1 src0=0 src1=1 src2=0
	v_mul_i32_i24_e32 v171 /*v427*/, v20, v32 /*v288*/
	v_mul_i32_i24_e32 v172 /*v428*/, v21, v33 /*v289*/
	s_set_vgpr_msb 0x55                     ;  msbs: dst=1 src0=1 src1=1 src2=1
	v_add3_u32 v168 /*v424*/, v168 /*v424*/, v169 /*v425*/, v170 /*v426*/
	v_bfe_i32 v187 /*v443*/, v173 /*v429*/, 0, 8
	v_bfe_i32 v188 /*v444*/, v173 /*v429*/, 8, 8
	;; [unrolled: 1-line block ×3, first 2 shown]
	s_wait_dscnt 0x1
	v_dual_ashrrev_i32 v190 /*v446*/, 24, v173 /*v429*/ :: v_dual_ashrrev_i32 v194 /*v450*/, 24, v174 /*v430*/
	v_bfe_i32 v191 /*v447*/, v174 /*v430*/, 0, 8
	v_bfe_i32 v192 /*v448*/, v174 /*v430*/, 8, 8
	;; [unrolled: 1-line block ×3, first 2 shown]
	s_set_vgpr_msb 0x44                     ;  msbs: dst=1 src0=0 src1=1 src2=0
	v_mul_i32_i24_e32 v173 /*v429*/, v22, v35 /*v291*/
	v_mul_i32_i24_e32 v174 /*v430*/, v24, v36 /*v292*/
	s_set_vgpr_msb 0x55                     ;  msbs: dst=1 src0=1 src1=1 src2=1
	v_add3_u32 v168 /*v424*/, v168 /*v424*/, v171 /*v427*/, v172 /*v428*/
	v_bfe_i32 v195 /*v451*/, v175 /*v431*/, 0, 8
	v_bfe_i32 v196 /*v452*/, v175 /*v431*/, 8, 8
	;; [unrolled: 1-line block ×3, first 2 shown]
	v_ashrrev_i32_e32 v198 /*v454*/, 24, v175 /*v431*/
	s_set_vgpr_msb 0x44                     ;  msbs: dst=1 src0=0 src1=1 src2=0
	v_mul_i32_i24_e32 v175 /*v431*/, v26, v37 /*v293*/
	v_mul_i32_i24_e32 v217 /*v473*/, v27, v38 /*v294*/
	s_set_vgpr_msb 0x55                     ;  msbs: dst=1 src0=1 src1=1 src2=1
	v_add3_u32 v168 /*v424*/, v168 /*v424*/, v173 /*v429*/, v174 /*v430*/
	s_set_vgpr_msb 0x44                     ;  msbs: dst=1 src0=0 src1=1 src2=0
	v_mul_i32_i24_e32 v218 /*v474*/, v28, v39 /*v295*/
	v_mul_i32_i24_e32 v219 /*v475*/, v29, v41 /*v297*/
	;; [unrolled: 1-line block ×4, first 2 shown]
	s_set_vgpr_msb 0x55                     ;  msbs: dst=1 src0=1 src1=1 src2=1
	v_add3_u32 v168 /*v424*/, v168 /*v424*/, v175 /*v431*/, v217 /*v473*/
	s_set_vgpr_msb 0x44                     ;  msbs: dst=1 src0=0 src1=1 src2=0
	v_mul_i32_i24_e32 v222 /*v478*/, v38, v49 /*v305*/
	v_mul_i32_i24_e32 v223 /*v479*/, v40, v51 /*v307*/
	;; [unrolled: 1-line block ×4, first 2 shown]
	s_set_vgpr_msb 0x55                     ;  msbs: dst=1 src0=1 src1=1 src2=1
	v_add3_u32 v168 /*v424*/, v168 /*v424*/, v218 /*v474*/, v219 /*v475*/
	s_set_vgpr_msb 0x41                     ;  msbs: dst=1 src0=1 src1=0 src2=0
	v_mul_i32_i24_e32 v226 /*v482*/, v58 /*v314*/, v46
	v_mul_i32_i24_e32 v227 /*v483*/, v55 /*v311*/, v84
	;; [unrolled: 1-line block ×3, first 2 shown]
	s_set_vgpr_msb 0x55                     ;  msbs: dst=1 src0=1 src1=1 src2=1
	v_mul_i32_i24_e32 v229 /*v485*/, v59 /*v315*/, v182 /*v438*/
	v_add3_u32 v168 /*v424*/, v168 /*v424*/, v220 /*v476*/, v221 /*v477*/
	v_mul_i32_i24_e32 v230 /*v486*/, v67 /*v323*/, v183 /*v439*/
	v_mul_i32_i24_e32 v231 /*v487*/, v64 /*v320*/, v184 /*v440*/
	;; [unrolled: 1-line block ×4, first 2 shown]
	v_add3_u32 v168 /*v424*/, v168 /*v424*/, v222 /*v478*/, v223 /*v479*/
	v_mul_i32_i24_e32 v234 /*v490*/, v79 /*v335*/, v187 /*v443*/
	v_mul_i32_i24_e32 v235 /*v491*/, v74 /*v330*/, v188 /*v444*/
	;; [unrolled: 1-line block ×4, first 2 shown]
	v_add3_u32 v168 /*v424*/, v168 /*v424*/, v224 /*v480*/, v225 /*v481*/
	v_mul_i32_i24_e32 v169 /*v425*/, v193 /*v449*/, v70 /*v326*/
	v_mul_i32_i24_e32 v170 /*v426*/, v194 /*v450*/, v77 /*v333*/
	v_bfe_i32 v199 /*v455*/, v176 /*v432*/, 0, 8
	v_bfe_i32 v200 /*v456*/, v176 /*v432*/, 8, 8
	v_add3_u32 v168 /*v424*/, v168 /*v424*/, v226 /*v482*/, v227 /*v483*/
	v_bfe_i32 v201 /*v457*/, v176 /*v432*/, 16, 8
	v_ashrrev_i32_e32 v176 /*v432*/, 24, v176 /*v432*/
	v_mul_i32_i24_e32 v171 /*v427*/, v197 /*v453*/, v75 /*v331*/
	v_mul_i32_i24_e32 v173 /*v429*/, v198 /*v454*/, v87 /*v343*/
	v_add3_u32 v168 /*v424*/, v168 /*v424*/, v228 /*v484*/, v229 /*v485*/
	v_mul_i32_i24_e32 v174 /*v430*/, v199 /*v455*/, v89 /*v345*/
	v_mul_i32_i24_e32 v175 /*v431*/, v200 /*v456*/, v92 /*v348*/
	v_bfe_i32 v202 /*v458*/, v177 /*v433*/, 0, 8
	v_bfe_i32 v203 /*v459*/, v177 /*v433*/, 8, 8
	v_add3_u32 v168 /*v424*/, v168 /*v424*/, v230 /*v486*/, v231 /*v487*/
	v_mul_i32_i24_e32 v217 /*v473*/, v201 /*v457*/, v86 /*v342*/
	v_mul_i32_i24_e32 v218 /*v474*/, v176 /*v432*/, v94 /*v350*/
	v_bfe_i32 v204 /*v460*/, v177 /*v433*/, 16, 8
	v_ashrrev_i32_e32 v177 /*v433*/, 24, v177 /*v433*/
	v_add3_u32 v168 /*v424*/, v168 /*v424*/, v232 /*v488*/, v233 /*v489*/
	v_mul_i32_i24_e32 v219 /*v475*/, v202 /*v458*/, v96 /*v352*/
	v_mul_i32_i24_e32 v220 /*v476*/, v203 /*v459*/, v97 /*v353*/
	s_wait_dscnt 0x0
	v_bfe_i32 v205 /*v461*/, v178 /*v434*/, 0, 8
	v_bfe_i32 v206 /*v462*/, v178 /*v434*/, 8, 8
	v_add3_u32 v168 /*v424*/, v168 /*v424*/, v234 /*v490*/, v235 /*v491*/
	v_bfe_i32 v207 /*v463*/, v178 /*v434*/, 16, 8
	v_ashrrev_i32_e32 v178 /*v434*/, 24, v178 /*v434*/
	v_mul_i32_i24_e32 v221 /*v477*/, v204 /*v460*/, v93 /*v349*/
	v_mul_i32_i24_e32 v222 /*v478*/, v177 /*v433*/, v100 /*v356*/
	v_add3_u32 v172 /*v428*/, v168 /*v424*/, v236 /*v492*/, v237 /*v493*/
	v_mul_i32_i24_e32 v168 /*v424*/, v191 /*v447*/, v73 /*v329*/
	v_mul_i32_i24_e32 v223 /*v479*/, v205 /*v461*/, v110 /*v366*/
	v_mul_i32_i24_e32 v224 /*v480*/, v206 /*v462*/, v112 /*v368*/
	s_set_vgpr_msb 64                       ;  msbs: dst=1 src0=0 src1=0 src2=0
	ds_load_b64 v[166:167] /*v[422:423]*/, v8 offset:27200
	s_set_vgpr_msb 0x55                     ;  msbs: dst=1 src0=1 src1=1 src2=1
	v_bfe_i32 v208 /*v464*/, v179 /*v435*/, 0, 8
	v_mad_i32_i24 v168 /*v424*/, v192 /*v448*/, v72 /*v328*/, v168 /*v424*/
	v_bfe_i32 v209 /*v465*/, v179 /*v435*/, 8, 8
	v_mul_i32_i24_e32 v225 /*v481*/, v207 /*v463*/, v98 /*v354*/
	v_mul_i32_i24_e32 v226 /*v482*/, v178 /*v434*/, v115 /*v371*/
	v_bfe_i32 v210 /*v466*/, v179 /*v435*/, 16, 8
	v_add3_u32 v168 /*v424*/, v168 /*v424*/, v169 /*v425*/, v170 /*v426*/
	v_mul_i32_i24_e32 v169 /*v425*/, v195 /*v451*/, v82 /*v338*/
	v_mul_i32_i24_e32 v170 /*v426*/, v196 /*v452*/, v85 /*v341*/
	v_ashrrev_i32_e32 v179 /*v435*/, 24, v179 /*v435*/
	v_mul_i32_i24_e32 v227 /*v483*/, v117 /*v373*/, v208 /*v464*/
	v_mul_i32_i24_e32 v228 /*v484*/, v118 /*v374*/, v209 /*v465*/
	v_bfe_i32 v211 /*v467*/, v180 /*v436*/, 0, 8
	v_add3_u32 v168 /*v424*/, v168 /*v424*/, v169 /*v425*/, v170 /*v426*/
	v_bfe_i32 v212 /*v468*/, v180 /*v436*/, 8, 8
	v_bfe_i32 v213 /*v469*/, v180 /*v436*/, 16, 8
	v_ashrrev_i32_e32 v180 /*v436*/, 24, v180 /*v436*/
	v_mul_i32_i24_e32 v229 /*v485*/, v124 /*v380*/, v210 /*v466*/
	v_add3_u32 v168 /*v424*/, v168 /*v424*/, v171 /*v427*/, v173 /*v429*/
	v_mul_i32_i24_e32 v230 /*v486*/, v121 /*v377*/, v179 /*v435*/
	v_mul_i32_i24_e32 v231 /*v487*/, v125 /*v381*/, v211 /*v467*/
	;; [unrolled: 1-line block ×3, first 2 shown]
	s_wait_dscnt 0x0
	s_set_vgpr_msb 4                        ;  msbs: dst=0 src0=0 src1=1 src2=0
	v_lshrrev_b32_e32 v8, 16, v166 /*v422*/
	s_set_vgpr_msb 0x55                     ;  msbs: dst=1 src0=1 src1=1 src2=1
	v_add3_u32 v168 /*v424*/, v168 /*v424*/, v174 /*v430*/, v175 /*v431*/
	v_bfe_i32 v214 /*v470*/, v181 /*v437*/, 0, 8
	v_bfe_i32 v215 /*v471*/, v181 /*v437*/, 8, 8
	v_mul_i32_i24_e32 v233 /*v489*/, v130 /*v386*/, v213 /*v469*/
	v_mul_i32_i24_e32 v234 /*v490*/, v128 /*v384*/, v180 /*v436*/
	v_add3_u32 v168 /*v424*/, v168 /*v424*/, v217 /*v473*/, v218 /*v474*/
	s_set_vgpr_msb 64                       ;  msbs: dst=1 src0=0 src1=0 src2=0
	v_cvt_f32_f16_e64 v171 /*v427*/, v8
	v_cvt_f32_f16_e64 v170 /*v426*/, v112
	s_set_vgpr_msb 1                        ;  msbs: dst=0 src0=1 src1=0 src2=0
	v_mul_lo_u32 v8, v157 /*v413*/, v101
	v_mul_lo_u32 v112, v172 /*v428*/, v101
	s_set_vgpr_msb 0x55                     ;  msbs: dst=1 src0=1 src1=1 src2=1
	v_add3_u32 v168 /*v424*/, v168 /*v424*/, v219 /*v475*/, v220 /*v476*/
	v_bfe_i32 v216 /*v472*/, v181 /*v437*/, 16, 8
	v_dual_ashrrev_i32 v181 /*v437*/, 24, v181 /*v437*/ :: v_dual_lshrrev_b32 v165 /*v421*/, 16, v167 /*v423*/
	v_mul_i32_i24_e32 v235 /*v491*/, v214 /*v470*/, v131 /*v387*/
	s_delay_alu instid0(VALU_DEP_4)
	v_add3_u32 v168 /*v424*/, v168 /*v424*/, v221 /*v477*/, v222 /*v478*/
	v_mul_i32_i24_e32 v236 /*v492*/, v215 /*v471*/, v132 /*v388*/
	v_mul_i32_i24_e32 v237 /*v493*/, v216 /*v472*/, v129 /*v385*/
	;; [unrolled: 1-line block ×3, first 2 shown]
	s_set_vgpr_msb 64                       ;  msbs: dst=1 src0=0 src1=0 src2=0
	v_cvt_f32_i32_e32 v172 /*v428*/, v8
	s_set_vgpr_msb 0x55                     ;  msbs: dst=1 src0=1 src1=1 src2=1
	v_add3_u32 v168 /*v424*/, v168 /*v424*/, v223 /*v479*/, v224 /*v480*/
	s_set_vgpr_msb 64                       ;  msbs: dst=1 src0=0 src1=0 src2=0
	v_cvt_f32_i32_e32 v173 /*v429*/, v112
	s_set_vgpr_msb 21                       ;  msbs: dst=0 src0=1 src1=1 src2=1
	v_add3_u32 v112, v164 /*v420*/, v162 /*v418*/, v163 /*v419*/
	s_set_vgpr_msb 0x41                     ;  msbs: dst=1 src0=1 src1=0 src2=0
	v_cvt_f32_f16_e64 v169 /*v425*/, v166 /*v422*/
	s_set_vgpr_msb 64                       ;  msbs: dst=1 src0=0 src1=0 src2=0
	v_cvt_f32_f16_e64 v166 /*v422*/, v111
	s_set_vgpr_msb 0x55                     ;  msbs: dst=1 src0=1 src1=1 src2=1
	v_add3_u32 v168 /*v424*/, v168 /*v424*/, v225 /*v481*/, v226 /*v482*/
	s_set_vgpr_msb 1                        ;  msbs: dst=0 src0=1 src1=0 src2=0
	v_cvt_f32_f16_e64 v111, v165 /*v421*/
	s_set_vgpr_msb 0                        ;  msbs: dst=0 src0=0 src1=0 src2=0
	v_mul_lo_u32 v112, v112, v99
	s_set_vgpr_msb 0x44                     ;  msbs: dst=1 src0=0 src1=1 src2=0
	v_pk_fma_f32 v[174:175] /*v[430:431]*/, v[98:99], v[170:171] /*v[426:427]*/, 0 op_sel_hi:[0,1,0]
	s_set_vgpr_msb 0x55                     ;  msbs: dst=1 src0=1 src1=1 src2=1
	v_cvt_f32_f16_e64 v167 /*v423*/, v167 /*v423*/
	v_add3_u32 v168 /*v424*/, v168 /*v424*/, v227 /*v483*/, v228 /*v484*/
	s_set_vgpr_msb 64                       ;  msbs: dst=1 src0=0 src1=0 src2=0
	v_mul_i32_i24_e32 v157 /*v413*/, v20, v223
	v_mul_i32_i24_e32 v218 /*v474*/, v38, v233
	;; [unrolled: 1-line block ×4, first 2 shown]
	s_set_vgpr_msb 0x55                     ;  msbs: dst=1 src0=1 src1=1 src2=1
	v_add3_u32 v168 /*v424*/, v168 /*v424*/, v229 /*v485*/, v230 /*v486*/
	s_set_vgpr_msb 64                       ;  msbs: dst=1 src0=0 src1=0 src2=0
	v_mul_i32_i24_e32 v221 /*v477*/, v44, v236
	v_mul_i32_i24_e32 v222 /*v478*/, v238, v46
	v_cvt_f32_i32_e32 v162 /*v418*/, v112
	s_set_vgpr_msb 0                        ;  msbs: dst=0 src0=0 src1=0 src2=0
	v_mul_i32_i24_e32 v112, v14, v219
	s_set_vgpr_msb 0x55                     ;  msbs: dst=1 src0=1 src1=1 src2=1
	v_add3_u32 v168 /*v424*/, v168 /*v424*/, v231 /*v487*/, v232 /*v488*/
	s_set_vgpr_msb 64                       ;  msbs: dst=1 src0=0 src1=0 src2=0
	v_mul_i32_i24_e32 v223 /*v479*/, v237, v84
	v_mul_i32_i24_e32 v224 /*v480*/, v240, v126
	s_set_vgpr_msb 0x44                     ;  msbs: dst=1 src0=0 src1=1 src2=0
	v_mul_i32_i24_e32 v225 /*v481*/, v239, v182 /*v438*/
	v_mul_i32_i24_e32 v226 /*v482*/, v242, v183 /*v439*/
	s_set_vgpr_msb 0x55                     ;  msbs: dst=1 src0=1 src1=1 src2=1
	v_add3_u32 v168 /*v424*/, v168 /*v424*/, v233 /*v489*/, v234 /*v490*/
	s_set_vgpr_msb 0x44                     ;  msbs: dst=1 src0=0 src1=1 src2=0
	v_mul_i32_i24_e32 v227 /*v483*/, v241, v184 /*v440*/
	v_mul_i32_i24_e32 v228 /*v484*/, v245, v185 /*v441*/
	;; [unrolled: 1-line block ×4, first 2 shown]
	s_set_vgpr_msb 0x55                     ;  msbs: dst=1 src0=1 src1=1 src2=1
	v_add3_u32 v217 /*v473*/, v168 /*v424*/, v235 /*v491*/, v236 /*v492*/
	s_set_vgpr_msb 64                       ;  msbs: dst=1 src0=0 src1=0 src2=0
	v_cvt_f32_f16_e64 v168 /*v424*/, v110
	s_set_vgpr_msb 0                        ;  msbs: dst=0 src0=0 src1=0 src2=0
	v_cvt_f32_f16_e32 v110, v114
	v_mul_i32_i24_e32 v114, v15, v220
	s_set_vgpr_msb 0x44                     ;  msbs: dst=1 src0=0 src1=1 src2=0
	v_mul_i32_i24_e32 v231 /*v487*/, v248, v188 /*v444*/
	s_set_vgpr_msb 21                       ;  msbs: dst=0 src0=1 src1=1 src2=1
	v_add3_u32 v8, v217 /*v473*/, v237 /*v493*/, v238 /*v494*/
	s_set_vgpr_msb 0x45                     ;  msbs: dst=1 src0=1 src1=1 src2=0
	v_pk_fma_f32 v[172:173] /*v[428:429]*/, v[168:169] /*v[424:425]*/, v[172:173] /*v[428:429]*/, 0 op_sel_hi:[1,1,0]
	s_set_vgpr_msb 0x50                     ;  msbs: dst=1 src0=0 src1=0 src2=1
	v_pk_fma_f32 v[164:165] /*v[420:421]*/, v[100:101], v[110:111], v[174:175] /*v[430:431]*/ op_sel_hi:[0,1,1]
	v_mul_i32_i24_e32 v174 /*v430*/, v29, v230
	v_mul_i32_i24_e32 v175 /*v431*/, v30, v231
	s_set_vgpr_msb 0                        ;  msbs: dst=0 src0=0 src1=0 src2=0
	v_mul_lo_u32 v8, v8, v99
	s_set_vgpr_msb 64                       ;  msbs: dst=1 src0=0 src1=0 src2=0
	v_mul_i32_i24_e32 v217 /*v473*/, v31, v232
	s_set_vgpr_msb 0x41                     ;  msbs: dst=1 src0=1 src1=0 src2=0
	v_pk_mul_f32 v[164:165] /*v[420:421]*/, v[164:165] /*v[420:421]*/, v[86:87]
	s_set_vgpr_msb 0x44                     ;  msbs: dst=1 src0=0 src1=1 src2=0
	v_mul_i32_i24_e32 v232 /*v488*/, v254, v189 /*v445*/
	v_mul_i32_i24_e32 v233 /*v489*/, v252, v190 /*v446*/
	s_set_vgpr_msb 0x45                     ;  msbs: dst=1 src0=1 src1=1 src2=0
	v_mul_i32_i24_e32 v234 /*v490*/, v181 /*v437*/, v24 /*v280*/
	s_set_vgpr_msb 64                       ;  msbs: dst=1 src0=0 src1=0 src2=0
	v_cvt_f32_i32_e32 v163 /*v419*/, v8
	s_set_vgpr_msb 0                        ;  msbs: dst=0 src0=0 src1=0 src2=0
	v_mul_i32_i24_e32 v8, v12, v218
	s_set_vgpr_msb 0x55                     ;  msbs: dst=1 src0=1 src1=1 src2=1
	s_delay_alu instid0(VALU_DEP_2) | instskip(SKIP_1) | instid1(VALU_DEP_2)
	v_pk_fma_f32 v[162:163] /*v[418:419]*/, v[166:167] /*v[422:423]*/, v[162:163] /*v[418:419]*/, v[172:173] /*v[428:429]*/
	s_set_vgpr_msb 0                        ;  msbs: dst=0 src0=0 src1=0 src2=0
	v_mad_i32_i24 v8, v13, v217, v8
	s_set_vgpr_msb 64                       ;  msbs: dst=1 src0=0 src1=0 src2=0
	v_mul_i32_i24_e32 v172 /*v428*/, v27, v228
	v_mul_i32_i24_e32 v173 /*v429*/, v28, v229
	s_set_vgpr_msb 0x51                     ;  msbs: dst=1 src0=1 src1=0 src2=1
	v_pk_fma_f32 v[162:163] /*v[418:419]*/, v[162:163] /*v[418:419]*/, v[0:1], v[164:165] /*v[420:421]*/ neg_lo:[0,0,1] neg_hi:[0,0,1]
	s_set_vgpr_msb 0                        ;  msbs: dst=0 src0=0 src1=0 src2=0
	v_add3_u32 v8, v8, v112, v114
	v_mul_i32_i24_e32 v112, v16, v221
	v_mul_i32_i24_e32 v114, v18, v222
	s_set_vgpr_msb 64                       ;  msbs: dst=1 src0=0 src1=0 src2=0
	v_mul_i32_i24_e32 v164 /*v420*/, v24, v226
	s_set_vgpr_msb 4                        ;  msbs: dst=0 src0=0 src1=1 src2=0
	v_pk_add_f32 v[56:57], v[56:57], v[162:163] /*v[418:419]*/
	s_set_vgpr_msb 64                       ;  msbs: dst=1 src0=0 src1=0 src2=0
	v_mul_i32_i24_e32 v162 /*v418*/, v21, v224
	v_mul_i32_i24_e32 v163 /*v419*/, v22, v225
	s_set_vgpr_msb 0                        ;  msbs: dst=0 src0=0 src1=0 src2=0
	v_add3_u32 v8, v8, v112, v114
	s_set_vgpr_msb 1                        ;  msbs: dst=0 src0=1 src1=0 src2=0
	v_mul_i32_i24_e32 v112, v191 /*v447*/, v247
	v_mul_i32_i24_e32 v114, v193 /*v449*/, v244
	s_set_vgpr_msb 64                       ;  msbs: dst=1 src0=0 src1=0 src2=0
	v_mul_i32_i24_e32 v165 /*v421*/, v26, v227
	s_set_vgpr_msb 20                       ;  msbs: dst=0 src0=0 src1=1 src2=1
	v_add3_u32 v8, v8, v157 /*v413*/, v162 /*v418*/
	s_set_vgpr_msb 0x41                     ;  msbs: dst=1 src0=1 src1=0 src2=0
	v_mul_i32_i24_e32 v157 /*v413*/, v194 /*v450*/, v250
	s_set_vgpr_msb 1                        ;  msbs: dst=0 src0=1 src1=0 src2=0
	v_mad_i32_i24 v112, v192 /*v448*/, v246, v112
	s_set_vgpr_msb 0x41                     ;  msbs: dst=1 src0=1 src1=0 src2=0
	v_mul_i32_i24_e32 v162 /*v418*/, v197 /*v453*/, v249
	s_set_vgpr_msb 20                       ;  msbs: dst=0 src0=0 src1=1 src2=1
	v_add3_u32 v8, v8, v163 /*v419*/, v164 /*v420*/
	s_set_vgpr_msb 0x45                     ;  msbs: dst=1 src0=1 src1=1 src2=0
	v_mul_i32_i24_e32 v163 /*v419*/, v198 /*v454*/, v1 /*v257*/
	s_set_vgpr_msb 16                       ;  msbs: dst=0 src0=0 src1=0 src2=1
	v_add3_u32 v112, v112, v114, v157 /*v413*/
	s_set_vgpr_msb 1                        ;  msbs: dst=0 src0=1 src1=0 src2=0
	v_mul_i32_i24_e32 v114, v195 /*v451*/, v253
	s_set_vgpr_msb 0x41                     ;  msbs: dst=1 src0=1 src1=0 src2=0
	v_mul_i32_i24_e32 v157 /*v413*/, v196 /*v452*/, v255
	s_set_vgpr_msb 20                       ;  msbs: dst=0 src0=0 src1=1 src2=1
	v_add3_u32 v8, v8, v165 /*v421*/, v172 /*v428*/
	s_set_vgpr_msb 0x45                     ;  msbs: dst=1 src0=1 src1=1 src2=0
	v_mul_i32_i24_e32 v164 /*v420*/, v199 /*v455*/, v2 /*v258*/
	v_mul_i32_i24_e32 v165 /*v421*/, v200 /*v456*/, v3 /*v259*/
	;; [unrolled: 1-line block ×3, first 2 shown]
	s_set_vgpr_msb 16                       ;  msbs: dst=0 src0=0 src1=0 src2=1
	v_add3_u32 v112, v112, v114, v157 /*v413*/
	s_set_vgpr_msb 20                       ;  msbs: dst=0 src0=0 src1=1 src2=1
	v_add3_u32 v8, v8, v173 /*v429*/, v174 /*v430*/
	s_set_vgpr_msb 0x45                     ;  msbs: dst=1 src0=1 src1=1 src2=0
	v_mul_i32_i24_e32 v173 /*v429*/, v176 /*v432*/, v5 /*v261*/
	v_mul_i32_i24_e32 v174 /*v430*/, v202 /*v458*/, v6 /*v262*/
	s_set_vgpr_msb 1                        ;  msbs: dst=0 src0=1 src1=0 src2=0
	v_mul_lo_u32 v114, v153 /*v409*/, v216
	s_set_vgpr_msb 20                       ;  msbs: dst=0 src0=0 src1=1 src2=1
	v_add3_u32 v112, v112, v162 /*v418*/, v163 /*v419*/
	v_add3_u32 v8, v8, v175 /*v431*/, v217 /*v473*/
	s_set_vgpr_msb 0x45                     ;  msbs: dst=1 src0=1 src1=1 src2=0
	v_mul_i32_i24_e32 v175 /*v431*/, v203 /*v459*/, v7 /*v263*/
	v_mul_i32_i24_e32 v217 /*v473*/, v204 /*v460*/, v4 /*v260*/
	s_set_vgpr_msb 64                       ;  msbs: dst=1 src0=0 src1=0 src2=0
	v_mul_i32_i24_e32 v153 /*v409*/, v20, v158
	s_set_vgpr_msb 20                       ;  msbs: dst=0 src0=0 src1=1 src2=1
	v_add3_u32 v112, v112, v164 /*v420*/, v165 /*v421*/
	v_add3_u32 v8, v8, v218 /*v474*/, v219 /*v475*/
	s_set_vgpr_msb 0x45                     ;  msbs: dst=1 src0=1 src1=1 src2=0
	v_mul_i32_i24_e32 v218 /*v474*/, v177 /*v433*/, v9 /*v265*/
	v_mul_i32_i24_e32 v219 /*v475*/, v205 /*v461*/, v10 /*v266*/
	s_set_vgpr_msb 0x44                     ;  msbs: dst=1 src0=0 src1=1 src2=0
	v_pk_fma_f32 v[164:165] /*v[420:421]*/, v[102:103], v[170:171] /*v[426:427]*/, 0 op_sel_hi:[0,1,0]
	s_set_vgpr_msb 20                       ;  msbs: dst=0 src0=0 src1=1 src2=1
	v_add3_u32 v112, v112, v172 /*v428*/, v173 /*v429*/
	v_add3_u32 v8, v8, v220 /*v476*/, v221 /*v477*/
	s_set_vgpr_msb 0x45                     ;  msbs: dst=1 src0=1 src1=1 src2=0
	v_mul_i32_i24_e32 v220 /*v476*/, v206 /*v462*/, v11 /*v267*/
	v_mul_i32_i24_e32 v221 /*v477*/, v207 /*v463*/, v8 /*v264*/
	s_set_vgpr_msb 64                       ;  msbs: dst=1 src0=0 src1=0 src2=0
	v_cvt_f32_i32_e32 v162 /*v418*/, v114
	s_set_vgpr_msb 20                       ;  msbs: dst=0 src0=0 src1=1 src2=1
	v_add3_u32 v112, v112, v174 /*v430*/, v175 /*v431*/
	v_add3_u32 v8, v8, v222 /*v478*/, v223 /*v479*/
	s_set_vgpr_msb 0x45                     ;  msbs: dst=1 src0=1 src1=1 src2=0
	v_mul_i32_i24_e32 v222 /*v478*/, v178 /*v434*/, v12 /*v268*/
	v_mul_i32_i24_e32 v223 /*v479*/, v13 /*v269*/, v208 /*v464*/
	s_set_vgpr_msb 0                        ;  msbs: dst=0 src0=0 src1=0 src2=0
	v_mul_i32_i24_e32 v114, v15, v155
	s_set_vgpr_msb 20                       ;  msbs: dst=0 src0=0 src1=1 src2=1
	v_add3_u32 v112, v112, v217 /*v473*/, v218 /*v474*/
	v_add3_u32 v8, v8, v224 /*v480*/, v225 /*v481*/
	s_set_vgpr_msb 0x45                     ;  msbs: dst=1 src0=1 src1=1 src2=0
	v_mul_i32_i24_e32 v224 /*v480*/, v14 /*v270*/, v209 /*v465*/
	v_mul_i32_i24_e32 v225 /*v481*/, v16 /*v272*/, v210 /*v466*/
	s_set_vgpr_msb 64                       ;  msbs: dst=1 src0=0 src1=0 src2=0
	v_mul_i32_i24_e32 v157 /*v413*/, v21, v159
	s_set_vgpr_msb 20                       ;  msbs: dst=0 src0=0 src1=1 src2=1
	v_add3_u32 v112, v112, v219 /*v475*/, v220 /*v476*/
	v_add3_u32 v8, v8, v226 /*v482*/, v227 /*v483*/
	s_set_vgpr_msb 0x45                     ;  msbs: dst=1 src0=1 src1=1 src2=0
	v_mul_i32_i24_e32 v226 /*v482*/, v15 /*v271*/, v179 /*v435*/
	v_mul_i32_i24_e32 v227 /*v483*/, v17 /*v273*/, v211 /*v467*/
	s_set_vgpr_msb 64                       ;  msbs: dst=1 src0=0 src1=0 src2=0
	v_mul_i32_i24_e32 v172 /*v428*/, v31, v167
	;; [unrolled: 8-line block ×5, first 2 shown]
	s_set_vgpr_msb 20                       ;  msbs: dst=0 src0=0 src1=1 src2=1
	v_add3_u32 v112, v112, v227 /*v483*/, v228 /*v484*/
	s_set_vgpr_msb 0                        ;  msbs: dst=0 src0=0 src1=0 src2=0
	v_mul_lo_u32 v8, v8, v216
	s_set_vgpr_msb 64                       ;  msbs: dst=1 src0=0 src1=0 src2=0
	v_mul_i32_i24_e32 v217 /*v473*/, v44, v171
	v_mul_i32_i24_e32 v218 /*v474*/, v173, v46
	;; [unrolled: 1-line block ×3, first 2 shown]
	s_set_vgpr_msb 20                       ;  msbs: dst=0 src0=0 src1=1 src2=1
	v_add3_u32 v112, v112, v229 /*v485*/, v230 /*v486*/
	s_set_vgpr_msb 64                       ;  msbs: dst=1 src0=0 src1=0 src2=0
	v_mul_i32_i24_e32 v220 /*v476*/, v175, v126
	s_set_vgpr_msb 0x44                     ;  msbs: dst=1 src0=0 src1=1 src2=0
	v_mul_i32_i24_e32 v221 /*v477*/, v174, v182 /*v438*/
	v_mul_i32_i24_e32 v222 /*v478*/, v177, v183 /*v439*/
	;; [unrolled: 1-line block ×3, first 2 shown]
	s_set_vgpr_msb 20                       ;  msbs: dst=0 src0=0 src1=1 src2=1
	v_add3_u32 v112, v112, v231 /*v487*/, v232 /*v488*/
	s_set_vgpr_msb 0x44                     ;  msbs: dst=1 src0=0 src1=1 src2=0
	v_mul_i32_i24_e32 v224 /*v480*/, v180, v185 /*v441*/
	v_cvt_f32_i32_e32 v163 /*v419*/, v8
	v_mul_i32_i24_e32 v225 /*v481*/, v178, v186 /*v442*/
	v_mul_i32_i24_e32 v226 /*v482*/, v186, v187 /*v443*/
	s_set_vgpr_msb 20                       ;  msbs: dst=0 src0=0 src1=1 src2=1
	v_add3_u32 v8, v112, v233 /*v489*/, v234 /*v490*/
	s_set_vgpr_msb 21                       ;  msbs: dst=0 src0=1 src1=1 src2=1
	v_add3_u32 v112, v161 /*v417*/, v159 /*v415*/, v160 /*v416*/
	s_set_vgpr_msb 0x45                     ;  msbs: dst=1 src0=1 src1=1 src2=0
	v_pk_fma_f32 v[162:163] /*v[418:419]*/, v[168:169] /*v[424:425]*/, v[162:163] /*v[418:419]*/, 0 op_sel_hi:[1,1,0]
	s_set_vgpr_msb 64                       ;  msbs: dst=1 src0=0 src1=0 src2=0
	v_mul_i32_i24_e32 v159 /*v415*/, v22, v160
	s_set_vgpr_msb 0x44                     ;  msbs: dst=1 src0=0 src1=1 src2=0
	v_mul_i32_i24_e32 v227 /*v483*/, v183, v188 /*v444*/
	s_set_vgpr_msb 0                        ;  msbs: dst=0 src0=0 src1=0 src2=0
	v_mul_lo_u32 v8, v8, v154
	v_mul_lo_u32 v112, v112, v154
	s_set_vgpr_msb 0x44                     ;  msbs: dst=1 src0=0 src1=1 src2=0
	v_mul_i32_i24_e32 v228 /*v484*/, v189, v189 /*v445*/
	v_mul_i32_i24_e32 v229 /*v485*/, v187, v190 /*v446*/
	s_set_vgpr_msb 0x41                     ;  msbs: dst=1 src0=1 src1=0 src2=0
	v_mul_i32_i24_e32 v230 /*v486*/, v181 /*v437*/, v215
	s_set_vgpr_msb 64                       ;  msbs: dst=1 src0=0 src1=0 src2=0
	v_cvt_f32_i32_e32 v161 /*v417*/, v8
	v_cvt_f32_i32_e32 v160 /*v416*/, v112
	s_set_vgpr_msb 0                        ;  msbs: dst=0 src0=0 src1=0 src2=0
	v_mul_i32_i24_e32 v8, v12, v152
	v_mul_i32_i24_e32 v112, v14, v153
	s_set_vgpr_msb 0x55                     ;  msbs: dst=1 src0=1 src1=1 src2=1
	v_pk_fma_f32 v[160:161] /*v[416:417]*/, v[166:167] /*v[422:423]*/, v[160:161] /*v[416:417]*/, v[162:163] /*v[418:419]*/
	s_set_vgpr_msb 0x50                     ;  msbs: dst=1 src0=0 src1=0 src2=1
	v_pk_fma_f32 v[162:163] /*v[418:419]*/, v[104:105], v[110:111], v[164:165] /*v[420:421]*/ op_sel_hi:[0,1,1]
	s_set_vgpr_msb 0                        ;  msbs: dst=0 src0=0 src1=0 src2=0
	v_mad_i32_i24 v8, v13, v151, v8
	s_set_vgpr_msb 64                       ;  msbs: dst=1 src0=0 src1=0 src2=0
	v_mul_i32_i24_e32 v164 /*v420*/, v29, v165
	v_mul_i32_i24_e32 v165 /*v421*/, v30, v166
	s_set_vgpr_msb 0x41                     ;  msbs: dst=1 src0=1 src1=0 src2=0
	v_pk_mul_f32 v[162:163] /*v[418:419]*/, v[162:163] /*v[418:419]*/, v[88:89]
	s_set_vgpr_msb 0                        ;  msbs: dst=0 src0=0 src1=0 src2=0
	v_add3_u32 v8, v8, v112, v114
	v_mul_i32_i24_e32 v112, v16, v156
	v_mul_i32_i24_e32 v114, v18, v157
	s_set_vgpr_msb 0x51                     ;  msbs: dst=1 src0=1 src1=0 src2=1
	v_pk_fma_f32 v[160:161] /*v[416:417]*/, v[160:161] /*v[416:417]*/, v[2:3], v[162:163] /*v[418:419]*/ neg_lo:[0,0,1] neg_hi:[0,0,1]
	s_set_vgpr_msb 64                       ;  msbs: dst=1 src0=0 src1=0 src2=0
	v_mul_i32_i24_e32 v162 /*v418*/, v27, v163
	v_mul_i32_i24_e32 v163 /*v419*/, v28, v164
	s_set_vgpr_msb 0                        ;  msbs: dst=0 src0=0 src1=0 src2=0
	v_add3_u32 v8, v8, v112, v114
	s_set_vgpr_msb 1                        ;  msbs: dst=0 src0=1 src1=0 src2=0
	v_mul_i32_i24_e32 v112, v191 /*v447*/, v182
	s_set_vgpr_msb 4                        ;  msbs: dst=0 src0=0 src1=1 src2=0
	v_pk_add_f32 v[66:67], v[66:67], v[160:161] /*v[416:417]*/
	s_set_vgpr_msb 64                       ;  msbs: dst=1 src0=0 src1=0 src2=0
	v_mul_i32_i24_e32 v160 /*v416*/, v24, v161
	s_set_vgpr_msb 1                        ;  msbs: dst=0 src0=1 src1=0 src2=0
	v_mul_i32_i24_e32 v114, v193 /*v449*/, v179
	s_set_vgpr_msb 20                       ;  msbs: dst=0 src0=0 src1=1 src2=1
	v_add3_u32 v8, v8, v153 /*v409*/, v157 /*v413*/
	s_set_vgpr_msb 0x41                     ;  msbs: dst=1 src0=1 src1=0 src2=0
	v_mul_i32_i24_e32 v153 /*v409*/, v194 /*v450*/, v185
	s_set_vgpr_msb 1                        ;  msbs: dst=0 src0=1 src1=0 src2=0
	v_mad_i32_i24 v112, v192 /*v448*/, v181, v112
	s_set_vgpr_msb 64                       ;  msbs: dst=1 src0=0 src1=0 src2=0
	v_mul_i32_i24_e32 v161 /*v417*/, v26, v162
	s_set_vgpr_msb 0x41                     ;  msbs: dst=1 src0=1 src1=0 src2=0
	v_mul_i32_i24_e32 v157 /*v413*/, v197 /*v453*/, v184
	s_set_vgpr_msb 20                       ;  msbs: dst=0 src0=0 src1=1 src2=1
	v_add3_u32 v8, v8, v159 /*v415*/, v160 /*v416*/
	s_set_vgpr_msb 0x41                     ;  msbs: dst=1 src0=1 src1=0 src2=0
	v_mul_i32_i24_e32 v159 /*v415*/, v198 /*v454*/, v192
	s_set_vgpr_msb 16                       ;  msbs: dst=0 src0=0 src1=0 src2=1
	v_add3_u32 v112, v112, v114, v153 /*v409*/
	s_set_vgpr_msb 1                        ;  msbs: dst=0 src0=1 src1=0 src2=0
	v_mul_i32_i24_e32 v114, v195 /*v451*/, v188
	s_set_vgpr_msb 0x41                     ;  msbs: dst=1 src0=1 src1=0 src2=0
	v_mul_i32_i24_e32 v153 /*v409*/, v196 /*v452*/, v190
	s_set_vgpr_msb 20                       ;  msbs: dst=0 src0=0 src1=1 src2=1
	v_add3_u32 v8, v8, v161 /*v417*/, v162 /*v418*/
	s_set_vgpr_msb 0x41                     ;  msbs: dst=1 src0=1 src1=0 src2=0
	v_mul_i32_i24_e32 v160 /*v416*/, v199 /*v455*/, v193
	v_mul_i32_i24_e32 v161 /*v417*/, v200 /*v456*/, v194
	;; [unrolled: 1-line block ×3, first 2 shown]
	s_set_vgpr_msb 16                       ;  msbs: dst=0 src0=0 src1=0 src2=1
	v_add3_u32 v112, v112, v114, v153 /*v409*/
	s_set_vgpr_msb 20                       ;  msbs: dst=0 src0=0 src1=1 src2=1
	v_add3_u32 v8, v8, v163 /*v419*/, v164 /*v420*/
	s_set_vgpr_msb 0x41                     ;  msbs: dst=1 src0=1 src1=0 src2=0
	v_mul_i32_i24_e32 v163 /*v419*/, v176 /*v432*/, v196
	v_mul_i32_i24_e32 v164 /*v420*/, v202 /*v458*/, v197
	s_set_vgpr_msb 0                        ;  msbs: dst=0 src0=0 src1=0 src2=0
	v_mul_lo_u32 v114, v115, v150
	s_set_vgpr_msb 20                       ;  msbs: dst=0 src0=0 src1=1 src2=1
	v_add3_u32 v112, v112, v157 /*v413*/, v159 /*v415*/
	v_add3_u32 v8, v8, v165 /*v421*/, v172 /*v428*/
	s_set_vgpr_msb 0x41                     ;  msbs: dst=1 src0=1 src1=0 src2=0
	v_mul_i32_i24_e32 v165 /*v421*/, v203 /*v459*/, v198
	v_mul_i32_i24_e32 v172 /*v428*/, v204 /*v460*/, v195
	s_set_vgpr_msb 0x45                     ;  msbs: dst=1 src0=1 src1=1 src2=0
	v_mul_i32_i24_e32 v153 /*v409*/, v127 /*v383*/, v189 /*v445*/
	s_set_vgpr_msb 20                       ;  msbs: dst=0 src0=0 src1=1 src2=1
	v_add3_u32 v112, v112, v160 /*v416*/, v161 /*v417*/
	v_add3_u32 v8, v8, v173 /*v429*/, v174 /*v430*/
	s_set_vgpr_msb 0x41                     ;  msbs: dst=1 src0=1 src1=0 src2=0
	v_mul_i32_i24_e32 v173 /*v429*/, v177 /*v433*/, v200
	v_mul_i32_i24_e32 v174 /*v430*/, v205 /*v461*/, v201
	s_set_vgpr_msb 0x44                     ;  msbs: dst=1 src0=0 src1=1 src2=0
	v_pk_fma_f32 v[160:161] /*v[416:417]*/, v[94:95], v[170:171] /*v[426:427]*/, 0 op_sel_hi:[0,1,0]
	s_set_vgpr_msb 20                       ;  msbs: dst=0 src0=0 src1=1 src2=1
	v_add3_u32 v112, v112, v162 /*v418*/, v163 /*v419*/
	v_add3_u32 v8, v8, v175 /*v431*/, v217 /*v473*/
	s_set_vgpr_msb 0x41                     ;  msbs: dst=1 src0=1 src1=0 src2=0
	v_mul_i32_i24_e32 v175 /*v431*/, v206 /*v462*/, v202
	v_mul_i32_i24_e32 v217 /*v473*/, v207 /*v463*/, v199
	s_set_vgpr_msb 20                       ;  msbs: dst=0 src0=0 src1=1 src2=1
	v_cvt_f32_i32_e32 v114, v114
	v_add3_u32 v112, v112, v164 /*v420*/, v165 /*v421*/
	v_add3_u32 v8, v8, v218 /*v474*/, v219 /*v475*/
	s_set_vgpr_msb 0x41                     ;  msbs: dst=1 src0=1 src1=0 src2=0
	v_mul_i32_i24_e32 v218 /*v474*/, v178 /*v434*/, v203
	s_set_vgpr_msb 0x44                     ;  msbs: dst=1 src0=0 src1=1 src2=0
	v_mul_i32_i24_e32 v219 /*v475*/, v204, v208 /*v464*/
	s_set_vgpr_msb 20                       ;  msbs: dst=0 src0=0 src1=1 src2=1
	v_add3_u32 v112, v112, v172 /*v428*/, v173 /*v429*/
	v_add3_u32 v8, v8, v220 /*v476*/, v221 /*v477*/
	s_set_vgpr_msb 0x44                     ;  msbs: dst=1 src0=0 src1=1 src2=0
	v_mul_i32_i24_e32 v220 /*v476*/, v205, v209 /*v465*/
	v_mul_i32_i24_e32 v221 /*v477*/, v207, v210 /*v466*/
	s_set_vgpr_msb 20                       ;  msbs: dst=0 src0=0 src1=1 src2=1
	v_add3_u32 v112, v112, v174 /*v430*/, v175 /*v431*/
	v_add3_u32 v8, v8, v222 /*v478*/, v223 /*v479*/
	s_set_vgpr_msb 0x44                     ;  msbs: dst=1 src0=0 src1=1 src2=0
	v_mul_i32_i24_e32 v222 /*v478*/, v206, v179 /*v435*/
	;; [unrolled: 6-line block ×4, first 2 shown]
	s_set_vgpr_msb 0x41                     ;  msbs: dst=1 src0=1 src1=0 src2=0
	v_mul_i32_i24_e32 v227 /*v483*/, v214 /*v470*/, v213
	s_set_vgpr_msb 20                       ;  msbs: dst=0 src0=0 src1=1 src2=1
	v_add3_u32 v112, v112, v221 /*v477*/, v222 /*v478*/
	v_add3_u32 v8, v8, v228 /*v484*/, v229 /*v485*/
	s_set_vgpr_msb 0x41                     ;  msbs: dst=1 src0=1 src1=0 src2=0
	v_mul_i32_i24_e32 v228 /*v484*/, v215 /*v471*/, v214
	v_mul_i32_i24_e32 v229 /*v485*/, v216 /*v472*/, v211
	s_set_vgpr_msb 20                       ;  msbs: dst=0 src0=0 src1=1 src2=1
	v_add3_u32 v112, v112, v223 /*v479*/, v224 /*v480*/
	s_set_vgpr_msb 0                        ;  msbs: dst=0 src0=0 src1=0 src2=0
	v_mul_lo_u32 v8, v8, v150
	s_set_vgpr_msb 20                       ;  msbs: dst=0 src0=0 src1=1 src2=1
	s_delay_alu instid0(VALU_DEP_2) | instskip(NEXT) | instid1(VALU_DEP_1)
	v_add3_u32 v112, v112, v225 /*v481*/, v226 /*v482*/
	v_add3_u32 v112, v112, v227 /*v483*/, v228 /*v484*/
	s_delay_alu instid0(VALU_DEP_3) | instskip(NEXT) | instid1(VALU_DEP_2)
	v_cvt_f32_i32_e32 v115, v8
	v_add3_u32 v8, v112, v229 /*v485*/, v230 /*v486*/
	s_set_vgpr_msb 21                       ;  msbs: dst=0 src0=1 src1=1 src2=1
	v_add3_u32 v112, v158 /*v414*/, v155 /*v411*/, v156 /*v412*/
	s_set_vgpr_msb 1                        ;  msbs: dst=0 src0=1 src1=0 src2=0
	v_pk_fma_f32 v[114:115], v[168:169] /*v[424:425]*/, v[114:115], 0 op_sel_hi:[1,1,0]
	s_set_vgpr_msb 0x45                     ;  msbs: dst=1 src0=1 src1=1 src2=0
	v_mul_i32_i24_e32 v155 /*v411*/, v123 /*v379*/, v190 /*v446*/
	s_set_vgpr_msb 0                        ;  msbs: dst=0 src0=0 src1=0 src2=0
	v_mul_lo_u32 v8, v8, v97
	v_mul_lo_u32 v112, v112, v97
	s_set_vgpr_msb 64                       ;  msbs: dst=1 src0=0 src1=0 src2=0
	s_delay_alu instid0(VALU_DEP_2)
	v_cvt_f32_i32_e32 v157 /*v413*/, v8
	s_set_vgpr_msb 4                        ;  msbs: dst=0 src0=0 src1=1 src2=0
	v_mul_i32_i24_e32 v8, v12, v42 /*v298*/
	v_mul_i32_i24_e32 v12, v14, v45 /*v301*/
	;; [unrolled: 1-line block ×5, first 2 shown]
	v_mad_i32_i24 v8, v13, v40 /*v296*/, v8
	v_mul_i32_i24_e32 v13, v18, v48 /*v304*/
	v_mul_i32_i24_e32 v18, v24, v57 /*v313*/
	;; [unrolled: 1-line block ×4, first 2 shown]
	s_set_vgpr_msb 0                        ;  msbs: dst=0 src0=0 src1=0 src2=0
	v_add3_u32 v8, v8, v12, v14
	s_set_vgpr_msb 4                        ;  msbs: dst=0 src0=0 src1=1 src2=0
	v_mul_i32_i24_e32 v12, v16, v47 /*v303*/
	v_mul_i32_i24_e32 v14, v20, v50 /*v306*/
	;; [unrolled: 1-line block ×5, first 2 shown]
	s_set_vgpr_msb 0                        ;  msbs: dst=0 src0=0 src1=0 src2=0
	v_add3_u32 v8, v8, v12, v13
	s_set_vgpr_msb 4                        ;  msbs: dst=0 src0=0 src1=1 src2=0
	v_mul_i32_i24_e32 v12, v118, v191 /*v447*/
	s_set_vgpr_msb 5                        ;  msbs: dst=0 src0=1 src1=1 src2=0
	v_mul_i32_i24_e32 v13, v135 /*v391*/, v193 /*v449*/
	s_set_vgpr_msb 4                        ;  msbs: dst=0 src0=0 src1=1 src2=0
	v_mul_i32_i24_e32 v26, v30, v66 /*v322*/
	v_mul_i32_i24_e32 v28, v38, v76 /*v332*/
	s_set_vgpr_msb 0                        ;  msbs: dst=0 src0=0 src1=0 src2=0
	v_add3_u32 v8, v8, v14, v15
	s_set_vgpr_msb 5                        ;  msbs: dst=0 src0=1 src1=1 src2=0
	v_mul_i32_i24_e32 v14, v111 /*v367*/, v194 /*v450*/
	v_mad_i32_i24 v12, v134 /*v390*/, v192 /*v448*/, v12
	v_mul_i32_i24_e32 v15, v136 /*v392*/, v197 /*v453*/
	s_set_vgpr_msb 4                        ;  msbs: dst=0 src0=0 src1=1 src2=0
	v_mul_i32_i24_e32 v29, v40, v78 /*v334*/
	s_set_vgpr_msb 0                        ;  msbs: dst=0 src0=0 src1=0 src2=0
	v_add3_u32 v8, v8, v16, v18
	s_set_vgpr_msb 5                        ;  msbs: dst=0 src0=1 src1=1 src2=0
	v_mul_i32_i24_e32 v16, v101 /*v357*/, v198 /*v454*/
	s_set_vgpr_msb 0                        ;  msbs: dst=0 src0=0 src1=0 src2=0
	v_add3_u32 v12, v12, v13, v14
	s_set_vgpr_msb 4                        ;  msbs: dst=0 src0=0 src1=1 src2=0
	v_mul_i32_i24_e32 v13, v119, v195 /*v451*/
	s_set_vgpr_msb 5                        ;  msbs: dst=0 src0=1 src1=1 src2=0
	v_mul_i32_i24_e32 v14, v137 /*v393*/, v196 /*v452*/
	s_set_vgpr_msb 0                        ;  msbs: dst=0 src0=0 src1=0 src2=0
	v_add3_u32 v8, v8, v20, v21
	s_set_vgpr_msb 5                        ;  msbs: dst=0 src0=1 src1=1 src2=0
	v_mul_i32_i24_e32 v18, v140 /*v396*/, v199 /*v455*/
	v_mul_i32_i24_e32 v20, v139 /*v395*/, v200 /*v456*/
	;; [unrolled: 1-line block ×3, first 2 shown]
	s_set_vgpr_msb 0                        ;  msbs: dst=0 src0=0 src1=0 src2=0
	v_add3_u32 v12, v12, v13, v14
	v_add3_u32 v8, v8, v22, v24
	s_set_vgpr_msb 5                        ;  msbs: dst=0 src0=1 src1=1 src2=0
	v_mul_i32_i24_e32 v22, v102 /*v358*/, v176 /*v432*/
	s_set_vgpr_msb 64                       ;  msbs: dst=1 src0=0 src1=0 src2=0
	v_cvt_f32_i32_e32 v156 /*v412*/, v112
	s_set_vgpr_msb 4                        ;  msbs: dst=0 src0=0 src1=1 src2=0
	v_mul_i32_i24_e32 v30, v42, v81 /*v337*/
	s_set_vgpr_msb 0                        ;  msbs: dst=0 src0=0 src1=0 src2=0
	v_add3_u32 v12, v12, v15, v16
	v_add3_u32 v8, v8, v26, v27
	s_set_vgpr_msb 4                        ;  msbs: dst=0 src0=0 src1=1 src2=0
	v_mul_i32_i24_e32 v31, v44, v83 /*v339*/
	s_set_vgpr_msb 5                        ;  msbs: dst=0 src0=1 src1=1 src2=0
	v_mul_i32_i24_e32 v24, v143 /*v399*/, v202 /*v458*/
	v_mul_i32_i24_e32 v26, v142 /*v398*/, v203 /*v459*/
	s_set_vgpr_msb 0                        ;  msbs: dst=0 src0=0 src1=0 src2=0
	v_add3_u32 v12, v12, v18, v20
	v_add3_u32 v8, v8, v28, v29
	s_set_vgpr_msb 5                        ;  msbs: dst=0 src0=1 src1=1 src2=0
	v_pk_fma_f32 v[114:115], v[166:167] /*v[422:423]*/, v[156:157] /*v[412:413]*/, v[114:115]
	s_set_vgpr_msb 0x50                     ;  msbs: dst=1 src0=0 src1=0 src2=1
	v_pk_fma_f32 v[156:157] /*v[412:413]*/, v[96:97], v[110:111], v[160:161] /*v[416:417]*/ op_sel_hi:[0,1,1]
	s_set_vgpr_msb 1                        ;  msbs: dst=0 src0=1 src1=0 src2=0
	v_mul_i32_i24_e32 v38, v90 /*v346*/, v46
	s_set_vgpr_msb 0                        ;  msbs: dst=0 src0=0 src1=0 src2=0
	v_add3_u32 v12, v12, v21, v22
	s_set_vgpr_msb 1                        ;  msbs: dst=0 src0=1 src1=0 src2=0
	v_mul_i32_i24_e32 v40, v88 /*v344*/, v84
	s_set_vgpr_msb 0                        ;  msbs: dst=0 src0=0 src1=0 src2=0
	v_add3_u32 v8, v8, v30, v31
	s_set_vgpr_msb 5                        ;  msbs: dst=0 src0=1 src1=1 src2=0
	v_mul_i32_i24_e32 v27, v141 /*v397*/, v204 /*v460*/
	v_mul_i32_i24_e32 v28, v103 /*v359*/, v177 /*v433*/
	s_set_vgpr_msb 0                        ;  msbs: dst=0 src0=0 src1=0 src2=0
	v_add3_u32 v12, v12, v24, v26
	s_set_vgpr_msb 0x41                     ;  msbs: dst=1 src0=1 src1=0 src2=0
	v_pk_mul_f32 v[156:157] /*v[412:413]*/, v[156:157] /*v[412:413]*/, v[90:91]
	s_set_vgpr_msb 1                        ;  msbs: dst=0 src0=1 src1=0 src2=0
	v_mul_i32_i24_e32 v42, v95 /*v351*/, v126
	s_set_vgpr_msb 5                        ;  msbs: dst=0 src0=1 src1=1 src2=0
	v_mul_i32_i24_e32 v44, v91 /*v347*/, v182 /*v438*/
	s_set_vgpr_msb 0                        ;  msbs: dst=0 src0=0 src1=0 src2=0
	v_add3_u32 v8, v8, v38, v40
	s_set_vgpr_msb 5                        ;  msbs: dst=0 src0=1 src1=1 src2=0
	v_mul_i32_i24_e32 v29, v146 /*v402*/, v205 /*v461*/
	v_mul_i32_i24_e32 v30, v145 /*v401*/, v206 /*v462*/
	s_set_vgpr_msb 0                        ;  msbs: dst=0 src0=0 src1=0 src2=0
	v_add3_u32 v12, v12, v27, v28
	s_set_vgpr_msb 16                       ;  msbs: dst=0 src0=0 src1=0 src2=1
	v_pk_fma_f32 v[114:115], v[114:115], v[4:5], v[156:157] /*v[412:413]*/ neg_lo:[0,0,1] neg_hi:[0,0,1]
	s_set_vgpr_msb 5                        ;  msbs: dst=0 src0=1 src1=1 src2=0
	v_mul_i32_i24_e32 v46, v108 /*v364*/, v183 /*v439*/
	v_mul_i32_i24_e32 v84, v99 /*v355*/, v184 /*v440*/
	s_set_vgpr_msb 0                        ;  msbs: dst=0 src0=0 src1=0 src2=0
	v_add3_u32 v8, v8, v42, v44
	s_set_vgpr_msb 5                        ;  msbs: dst=0 src0=1 src1=1 src2=0
	v_mul_i32_i24_e32 v31, v144 /*v400*/, v207 /*v463*/
	v_mul_i32_i24_e32 v38, v104 /*v360*/, v178 /*v434*/
	s_set_vgpr_msb 0                        ;  msbs: dst=0 src0=0 src1=0 src2=0
	v_add3_u32 v12, v12, v29, v30
	v_pk_add_f32 v[74:75], v[74:75], v[114:115]
	s_set_vgpr_msb 5                        ;  msbs: dst=0 src0=1 src1=1 src2=0
	v_mul_i32_i24_e32 v112, v113 /*v369*/, v185 /*v441*/
	v_mul_i32_i24_e32 v114, v109 /*v365*/, v186 /*v442*/
	s_set_vgpr_msb 0                        ;  msbs: dst=0 src0=0 src1=0 src2=0
	v_add3_u32 v8, v8, v46, v84
	s_set_vgpr_msb 5                        ;  msbs: dst=0 src0=1 src1=1 src2=0
	v_mul_i32_i24_e32 v40, v149 /*v405*/, v208 /*v464*/
	v_mul_i32_i24_e32 v42, v148 /*v404*/, v209 /*v465*/
	s_set_vgpr_msb 0                        ;  msbs: dst=0 src0=0 src1=0 src2=0
	v_add3_u32 v12, v12, v31, v38
	;; [unrolled: 5-line block ×4, first 2 shown]
	s_set_vgpr_msb 5                        ;  msbs: dst=0 src0=1 src1=1 src2=0
	v_mul_i32_i24_e32 v84, v152 /*v408*/, v211 /*v467*/
	s_set_vgpr_msb 0                        ;  msbs: dst=0 src0=0 src1=0 src2=0
	v_add3_u32 v8, v8, v115, v126
	s_set_vgpr_msb 5                        ;  msbs: dst=0 src0=1 src1=1 src2=0
	v_mul_i32_i24_e32 v112, v151 /*v407*/, v212 /*v468*/
	v_mul_i32_i24_e32 v114, v150 /*v406*/, v213 /*v469*/
	s_set_vgpr_msb 0                        ;  msbs: dst=0 src0=0 src1=0 src2=0
	v_add3_u32 v12, v12, v44, v46
	s_set_vgpr_msb 5                        ;  msbs: dst=0 src0=1 src1=1 src2=0
	v_mul_i32_i24_e32 v115, v106 /*v362*/, v180 /*v436*/
	s_set_vgpr_msb 20                       ;  msbs: dst=0 src0=0 src1=1 src2=1
	v_add3_u32 v8, v8, v153 /*v409*/, v155 /*v411*/
	s_set_vgpr_msb 5                        ;  msbs: dst=0 src0=1 src1=1 src2=0
	v_mul_i32_i24_e32 v126, v214 /*v470*/, v114 /*v370*/
	s_set_vgpr_msb 0x45                     ;  msbs: dst=1 src0=1 src1=1 src2=0
	v_mul_i32_i24_e32 v153 /*v409*/, v215 /*v471*/, v116 /*v372*/
	s_set_vgpr_msb 0                        ;  msbs: dst=0 src0=0 src1=0 src2=0
	v_add3_u32 v12, v12, v84, v112
	s_set_vgpr_msb 0x45                     ;  msbs: dst=1 src0=1 src1=1 src2=0
	v_mul_i32_i24_e32 v155 /*v411*/, v216 /*v472*/, v107 /*v363*/
	s_set_vgpr_msb 4                        ;  msbs: dst=0 src0=0 src1=1 src2=0
	v_mul_lo_u32 v8, v8, v34 /*v290*/
	s_set_vgpr_msb 0x45                     ;  msbs: dst=1 src0=1 src1=1 src2=0
	v_mul_i32_i24_e32 v156 /*v412*/, v181 /*v437*/, v120 /*v376*/
	s_set_vgpr_msb 4                        ;  msbs: dst=0 src0=0 src1=1 src2=0
	v_mul_lo_u32 v13, v113, v34 /*v290*/
	s_set_vgpr_msb 0                        ;  msbs: dst=0 src0=0 src1=0 src2=0
	v_add3_u32 v12, v12, v114, v115
	s_set_vgpr_msb 4                        ;  msbs: dst=0 src0=0 src1=1 src2=0
	v_pk_fma_f32 v[114:115], v[108:109], v[170:171] /*v[426:427]*/, 0 op_sel_hi:[0,1,0]
	s_set_vgpr_msb 16                       ;  msbs: dst=0 src0=0 src1=0 src2=1
	s_delay_alu instid0(VALU_DEP_2) | instskip(SKIP_1) | instid1(VALU_DEP_2)
	v_add3_u32 v12, v12, v126, v153 /*v409*/
	s_set_vgpr_msb 0                        ;  msbs: dst=0 src0=0 src1=0 src2=0
	v_pk_fma_f32 v[110:111], v[106:107], v[110:111], v[114:115] op_sel_hi:[0,1,1]
	v_cvt_f32_i32_e32 v113, v8
	s_set_vgpr_msb 20                       ;  msbs: dst=0 src0=0 src1=1 src2=1
	v_add3_u32 v8, v12, v155 /*v411*/, v156 /*v412*/
	s_set_vgpr_msb 1                        ;  msbs: dst=0 src0=1 src1=0 src2=0
	v_add3_u32 v12, v154 /*v410*/, v116, v117
	s_set_vgpr_msb 0                        ;  msbs: dst=0 src0=0 src1=0 src2=0
	v_cvt_f32_i32_e32 v112, v13
	v_pk_mul_f32 v[110:111], v[110:111], v[92:93]
	s_set_vgpr_msb 4                        ;  msbs: dst=0 src0=0 src1=1 src2=0
	v_mul_lo_u32 v8, v8, v25 /*v281*/
	v_mul_lo_u32 v12, v12, v25 /*v281*/
	s_set_vgpr_msb 1                        ;  msbs: dst=0 src0=1 src1=0 src2=0
	v_pk_fma_f32 v[112:113], v[168:169] /*v[424:425]*/, v[112:113], 0 op_sel_hi:[1,1,0]
	s_set_vgpr_msb 0                        ;  msbs: dst=0 src0=0 src1=0 src2=0
	s_delay_alu instid0(VALU_DEP_3) | instskip(NEXT) | instid1(VALU_DEP_3)
	v_cvt_f32_i32_e32 v117, v8
	v_cvt_f32_i32_e32 v116, v12
	v_or_b32_e32 v8, s13, v134
	s_set_vgpr_msb 1                        ;  msbs: dst=0 src0=1 src1=0 src2=0
	s_delay_alu instid0(VALU_DEP_2) | instskip(NEXT) | instid1(VALU_DEP_2)
	v_pk_fma_f32 v[112:113], v[166:167] /*v[422:423]*/, v[116:117], v[112:113]
	v_lshlrev_b32_e32 v12, 2, v8
	s_set_vgpr_msb 0                        ;  msbs: dst=0 src0=0 src1=0 src2=0
	s_delay_alu instid0(VALU_DEP_2) | instskip(NEXT) | instid1(VALU_DEP_1)
	v_pk_fma_f32 v[110:111], v[112:113], v[6:7], v[110:111] neg_lo:[0,0,1] neg_hi:[0,0,1]
	v_pk_add_f32 v[80:81], v[80:81], v[110:111]
	ds_load_b128 v[110:113], v12 offset:16896
	ds_load_b128 v[114:117], v12 offset:16912
	s_set_vgpr_msb 64                       ;  msbs: dst=1 src0=0 src1=0 src2=0
	ds_load_b128 v[154:157] /*v[410:413]*/, v12 offset:16928
	ds_load_b128 v[158:161] /*v[414:417]*/, v12 offset:16944
	s_wait_dscnt 0x3
	s_set_vgpr_msb 0                        ;  msbs: dst=0 src0=0 src1=0 src2=0
	v_bfe_i32 v12, v110, 0, 8
	v_bfe_i32 v13, v110, 8, 8
	;; [unrolled: 1-line block ×3, first 2 shown]
	v_dual_ashrrev_i32 v15, 24, v110 :: v_dual_ashrrev_i32 v21, 24, v111
	v_lshrrev_b32_e32 v8, 1, v8
	v_dual_ashrrev_i32 v27, 24, v112 :: v_dual_ashrrev_i32 v31, 24, v113
	v_bfe_i32 v28, v113, 0, 8
	v_bfe_i32 v29, v113, 8, 8
	;; [unrolled: 1-line block ×3, first 2 shown]
	s_wait_dscnt 0x2
	v_dual_ashrrev_i32 v44, 24, v114 :: v_dual_ashrrev_i32 v126, 24, v115
	v_bfe_i32 v46, v115, 0, 8
	v_bfe_i32 v84, v115, 8, 8
	;; [unrolled: 1-line block ×3, first 2 shown]
	s_set_vgpr_msb 4                        ;  msbs: dst=0 src0=0 src1=1 src2=0
	v_mul_i32_i24_e32 v115, v12, v27 /*v283*/
	v_bfe_i32 v16, v111, 0, 8
	v_bfe_i32 v18, v111, 8, 8
	v_bfe_i32 v20, v111, 16, 8
	ds_load_b64 v[110:111], v8 offset:27200
	s_wait_dscnt 0x2
	s_set_vgpr_msb 1                        ;  msbs: dst=0 src0=1 src1=0 src2=0
	v_bfe_i32 v8, v154 /*v410*/, 0, 8
	s_set_vgpr_msb 0x41                     ;  msbs: dst=1 src0=1 src1=0 src2=0
	v_bfe_i32 v171 /*v427*/, v154 /*v410*/, 8, 8
	v_bfe_i32 v172 /*v428*/, v154 /*v410*/, 16, 8
	s_set_vgpr_msb 0x44                     ;  msbs: dst=1 src0=0 src1=1 src2=0
	v_dual_ashrrev_i32 v154 /*v410*/, 24, v154 /*v410*/ :: v_dual_ashrrev_i32 v176 /*v432*/, 24, v155 /*v411*/
	s_set_vgpr_msb 0x41                     ;  msbs: dst=1 src0=1 src1=0 src2=0
	v_bfe_i32 v173 /*v429*/, v155 /*v411*/, 0, 8
	v_bfe_i32 v174 /*v430*/, v155 /*v411*/, 8, 8
	;; [unrolled: 1-line block ×3, first 2 shown]
	s_set_vgpr_msb 0x44                     ;  msbs: dst=1 src0=0 src1=1 src2=0
	v_mul_i32_i24_e32 v153 /*v409*/, v14, v28 /*v284*/
	v_mul_i32_i24_e32 v155 /*v411*/, v15, v29 /*v285*/
	s_set_vgpr_msb 4                        ;  msbs: dst=0 src0=0 src1=1 src2=0
	v_mad_i32_i24 v115, v13, v26 /*v282*/, v115
	v_bfe_i32 v22, v112, 0, 8
	v_bfe_i32 v24, v112, 8, 8
	s_set_vgpr_msb 0x41                     ;  msbs: dst=1 src0=1 src1=0 src2=0
	v_bfe_i32 v177 /*v433*/, v156 /*v412*/, 0, 8
	v_bfe_i32 v178 /*v434*/, v156 /*v412*/, 8, 8
	s_set_vgpr_msb 20                       ;  msbs: dst=0 src0=0 src1=1 src2=1
	v_add3_u32 v115, v115, v153 /*v409*/, v155 /*v411*/
	s_set_vgpr_msb 0x44                     ;  msbs: dst=1 src0=0 src1=1 src2=0
	v_mul_i32_i24_e32 v153 /*v409*/, v16, v30 /*v286*/
	v_mul_i32_i24_e32 v155 /*v411*/, v18, v31 /*v287*/
	s_set_vgpr_msb 0x41                     ;  msbs: dst=1 src0=1 src1=0 src2=0
	v_bfe_i32 v179 /*v435*/, v156 /*v412*/, 16, 8
	s_set_vgpr_msb 0x44                     ;  msbs: dst=1 src0=0 src1=1 src2=0
	v_dual_ashrrev_i32 v180 /*v436*/, 24, v156 /*v412*/ :: v_dual_ashrrev_i32 v184 /*v440*/, 24, v157 /*v413*/
	s_set_vgpr_msb 0x41                     ;  msbs: dst=1 src0=1 src1=0 src2=0
	v_bfe_i32 v181 /*v437*/, v157 /*v413*/, 0, 8
	v_bfe_i32 v182 /*v438*/, v157 /*v413*/, 8, 8
	v_bfe_i32 v183 /*v439*/, v157 /*v413*/, 16, 8
	s_set_vgpr_msb 0x44                     ;  msbs: dst=1 src0=0 src1=1 src2=0
	v_mul_i32_i24_e32 v156 /*v412*/, v20, v32 /*v288*/
	v_mul_i32_i24_e32 v157 /*v413*/, v21, v33 /*v289*/
	s_set_vgpr_msb 20                       ;  msbs: dst=0 src0=0 src1=1 src2=1
	v_add3_u32 v115, v115, v153 /*v409*/, v155 /*v411*/
	v_bfe_i32 v26, v112, 16, 8
	s_wait_dscnt 0x1
	s_set_vgpr_msb 0x41                     ;  msbs: dst=1 src0=1 src1=0 src2=0
	v_bfe_i32 v185 /*v441*/, v158 /*v414*/, 0, 8
	v_bfe_i32 v186 /*v442*/, v158 /*v414*/, 8, 8
	;; [unrolled: 1-line block ×3, first 2 shown]
	s_set_vgpr_msb 0x44                     ;  msbs: dst=1 src0=0 src1=1 src2=0
	v_dual_ashrrev_i32 v188 /*v444*/, 24, v158 /*v414*/ :: v_dual_ashrrev_i32 v192 /*v448*/, 24, v159 /*v415*/
	s_set_vgpr_msb 0x41                     ;  msbs: dst=1 src0=1 src1=0 src2=0
	v_bfe_i32 v189 /*v445*/, v159 /*v415*/, 0, 8
	v_bfe_i32 v190 /*v446*/, v159 /*v415*/, 8, 8
	v_bfe_i32 v191 /*v447*/, v159 /*v415*/, 16, 8
	s_set_vgpr_msb 0x44                     ;  msbs: dst=1 src0=0 src1=1 src2=0
	v_mul_i32_i24_e32 v158 /*v414*/, v22, v35 /*v291*/
	v_mul_i32_i24_e32 v159 /*v415*/, v24, v36 /*v292*/
	s_set_vgpr_msb 20                       ;  msbs: dst=0 src0=0 src1=1 src2=1
	v_add3_u32 v115, v115, v156 /*v412*/, v157 /*v413*/
	s_set_vgpr_msb 0x41                     ;  msbs: dst=1 src0=1 src1=0 src2=0
	v_bfe_i32 v193 /*v449*/, v160 /*v416*/, 0, 8
	v_bfe_i32 v194 /*v450*/, v160 /*v416*/, 8, 8
	;; [unrolled: 1-line block ×3, first 2 shown]
	s_set_vgpr_msb 0x44                     ;  msbs: dst=1 src0=0 src1=1 src2=0
	v_dual_ashrrev_i32 v196 /*v452*/, 24, v160 /*v416*/ :: v_dual_ashrrev_i32 v200 /*v456*/, 24, v161 /*v417*/
	s_set_vgpr_msb 0x41                     ;  msbs: dst=1 src0=1 src1=0 src2=0
	v_bfe_i32 v197 /*v453*/, v161 /*v417*/, 0, 8
	v_bfe_i32 v198 /*v454*/, v161 /*v417*/, 8, 8
	;; [unrolled: 1-line block ×3, first 2 shown]
	s_set_vgpr_msb 0x44                     ;  msbs: dst=1 src0=0 src1=1 src2=0
	v_mul_i32_i24_e32 v160 /*v416*/, v26, v37 /*v293*/
	v_mul_i32_i24_e32 v161 /*v417*/, v27, v38 /*v294*/
	s_set_vgpr_msb 20                       ;  msbs: dst=0 src0=0 src1=1 src2=1
	v_add3_u32 v115, v115, v158 /*v414*/, v159 /*v415*/
	s_set_vgpr_msb 0x44                     ;  msbs: dst=1 src0=0 src1=1 src2=0
	v_mul_i32_i24_e32 v162 /*v418*/, v28, v39 /*v295*/
	v_mul_i32_i24_e32 v163 /*v419*/, v29, v41 /*v297*/
	s_set_vgpr_msb 20                       ;  msbs: dst=0 src0=0 src1=1 src2=1
	v_bfe_i32 v38, v114, 0, 8
	v_bfe_i32 v40, v114, 8, 8
	v_add3_u32 v115, v115, v160 /*v416*/, v161 /*v417*/
	s_set_vgpr_msb 0x44                     ;  msbs: dst=1 src0=0 src1=1 src2=0
	v_mul_i32_i24_e32 v164 /*v420*/, v30, v43 /*v299*/
	v_mul_i32_i24_e32 v201 /*v457*/, v31, v44 /*v300*/
	s_set_vgpr_msb 0                        ;  msbs: dst=0 src0=0 src1=0 src2=0
	v_bfe_i32 v42, v114, 16, 8
	s_set_vgpr_msb 0x44                     ;  msbs: dst=1 src0=0 src1=1 src2=0
	v_mul_i32_i24_e32 v202 /*v458*/, v38, v49 /*v305*/
	s_set_vgpr_msb 20                       ;  msbs: dst=0 src0=0 src1=1 src2=1
	v_add3_u32 v115, v115, v162 /*v418*/, v163 /*v419*/
	s_set_vgpr_msb 0x44                     ;  msbs: dst=1 src0=0 src1=1 src2=0
	v_mul_i32_i24_e32 v203 /*v459*/, v40, v51 /*v307*/
	v_mul_i32_i24_e32 v205 /*v461*/, v44, v54 /*v310*/
	;; [unrolled: 1-line block ×3, first 2 shown]
	s_set_vgpr_msb 0x41                     ;  msbs: dst=1 src0=1 src1=0 src2=0
	v_mul_i32_i24_e32 v206 /*v462*/, v58 /*v314*/, v46
	s_set_vgpr_msb 20                       ;  msbs: dst=0 src0=0 src1=1 src2=1
	v_add3_u32 v115, v115, v164 /*v420*/, v201 /*v457*/
	s_set_vgpr_msb 0x41                     ;  msbs: dst=1 src0=1 src1=0 src2=0
	v_mul_i32_i24_e32 v207 /*v463*/, v55 /*v311*/, v84
	s_set_vgpr_msb 64                       ;  msbs: dst=1 src0=0 src1=0 src2=0
	v_bfe_i32 v165 /*v421*/, v116, 0, 8
	v_bfe_i32 v166 /*v422*/, v116, 8, 8
	s_set_vgpr_msb 0x41                     ;  msbs: dst=1 src0=1 src1=0 src2=0
	v_mul_i32_i24_e32 v208 /*v464*/, v62 /*v318*/, v113
	s_set_vgpr_msb 20                       ;  msbs: dst=0 src0=0 src1=1 src2=1
	v_add3_u32 v115, v115, v202 /*v458*/, v203 /*v459*/
	s_set_vgpr_msb 0x41                     ;  msbs: dst=1 src0=1 src1=0 src2=0
	v_mul_i32_i24_e32 v209 /*v465*/, v59 /*v315*/, v126
	s_set_vgpr_msb 64                       ;  msbs: dst=1 src0=0 src1=0 src2=0
	v_bfe_i32 v167 /*v423*/, v116, 16, 8
	s_set_vgpr_msb 0                        ;  msbs: dst=0 src0=0 src1=0 src2=0
	v_ashrrev_i32_e32 v116, 24, v116
	s_set_vgpr_msb 0x45                     ;  msbs: dst=1 src0=1 src1=1 src2=0
	v_mul_i32_i24_e32 v210 /*v466*/, v67 /*v323*/, v165 /*v421*/
	s_set_vgpr_msb 20                       ;  msbs: dst=0 src0=0 src1=1 src2=1
	v_add3_u32 v115, v115, v204 /*v460*/, v205 /*v461*/
	s_set_vgpr_msb 0x45                     ;  msbs: dst=1 src0=1 src1=1 src2=0
	v_mul_i32_i24_e32 v211 /*v467*/, v64 /*v320*/, v166 /*v422*/
	s_set_vgpr_msb 64                       ;  msbs: dst=1 src0=0 src1=0 src2=0
	v_bfe_i32 v168 /*v424*/, v117, 0, 8
	v_bfe_i32 v169 /*v425*/, v117, 8, 8
	;; [unrolled: 1-line block ×3, first 2 shown]
	s_set_vgpr_msb 20                       ;  msbs: dst=0 src0=0 src1=1 src2=1
	v_add3_u32 v115, v115, v206 /*v462*/, v207 /*v463*/
	s_set_vgpr_msb 0                        ;  msbs: dst=0 src0=0 src1=0 src2=0
	v_ashrrev_i32_e32 v117, 24, v117
	s_set_vgpr_msb 0x45                     ;  msbs: dst=1 src0=1 src1=1 src2=0
	v_mul_i32_i24_e32 v212 /*v468*/, v71 /*v327*/, v167 /*v423*/
	s_set_vgpr_msb 0x41                     ;  msbs: dst=1 src0=1 src1=0 src2=0
	v_mul_i32_i24_e32 v213 /*v469*/, v68 /*v324*/, v116
	s_set_vgpr_msb 0x45                     ;  msbs: dst=1 src0=1 src1=1 src2=0
	v_mul_i32_i24_e32 v214 /*v470*/, v79 /*v335*/, v168 /*v424*/
	s_set_vgpr_msb 20                       ;  msbs: dst=0 src0=0 src1=1 src2=1
	v_add3_u32 v115, v115, v208 /*v464*/, v209 /*v465*/
	s_set_vgpr_msb 0x45                     ;  msbs: dst=1 src0=1 src1=1 src2=0
	v_mul_i32_i24_e32 v215 /*v471*/, v74 /*v330*/, v169 /*v425*/
	v_mul_i32_i24_e32 v216 /*v472*/, v84 /*v340*/, v170 /*v426*/
	s_set_vgpr_msb 0x41                     ;  msbs: dst=1 src0=1 src1=0 src2=0
	v_mul_i32_i24_e32 v217 /*v473*/, v80 /*v336*/, v117
	s_set_vgpr_msb 0x45                     ;  msbs: dst=1 src0=1 src1=1 src2=0
	v_mul_i32_i24_e32 v153 /*v409*/, v172 /*v428*/, v70 /*v326*/
	s_set_vgpr_msb 20                       ;  msbs: dst=0 src0=0 src1=1 src2=1
	v_add3_u32 v115, v115, v210 /*v466*/, v211 /*v467*/
	s_set_vgpr_msb 0x45                     ;  msbs: dst=1 src0=1 src1=1 src2=0
	v_mul_i32_i24_e32 v155 /*v411*/, v154 /*v410*/, v77 /*v333*/
	v_mul_i32_i24_e32 v156 /*v412*/, v175 /*v431*/, v75 /*v331*/
	v_mul_i32_i24_e32 v158 /*v414*/, v176 /*v432*/, v87 /*v343*/
	v_mul_i32_i24_e32 v159 /*v415*/, v177 /*v433*/, v89 /*v345*/
	s_set_vgpr_msb 20                       ;  msbs: dst=0 src0=0 src1=1 src2=1
	v_add3_u32 v115, v115, v212 /*v468*/, v213 /*v469*/
	s_set_vgpr_msb 0x45                     ;  msbs: dst=1 src0=1 src1=1 src2=0
	v_mul_i32_i24_e32 v160 /*v416*/, v178 /*v434*/, v92 /*v348*/
	v_mul_i32_i24_e32 v161 /*v417*/, v179 /*v435*/, v86 /*v342*/
	v_mul_i32_i24_e32 v164 /*v420*/, v180 /*v436*/, v94 /*v350*/
	;; [unrolled: 7-line block ×3, first 2 shown]
	v_mul_i32_i24_e32 v205 /*v461*/, v185 /*v441*/, v110 /*v366*/
	s_set_vgpr_msb 0x54                     ;  msbs: dst=1 src0=0 src1=1 src2=1
	v_add3_u32 v157 /*v413*/, v115, v216 /*v472*/, v217 /*v473*/
	s_set_vgpr_msb 4                        ;  msbs: dst=0 src0=0 src1=1 src2=0
	v_mul_i32_i24_e32 v115, v8, v73 /*v329*/
	s_set_vgpr_msb 0x45                     ;  msbs: dst=1 src0=1 src1=1 src2=0
	v_mul_i32_i24_e32 v206 /*v462*/, v186 /*v442*/, v112 /*v368*/
	v_mul_i32_i24_e32 v207 /*v463*/, v187 /*v443*/, v98 /*v354*/
	;; [unrolled: 1-line block ×4, first 2 shown]
	s_set_vgpr_msb 5                        ;  msbs: dst=0 src0=1 src1=1 src2=0
	v_mad_i32_i24 v115, v171 /*v427*/, v72 /*v328*/, v115
	s_set_vgpr_msb 0x45                     ;  msbs: dst=1 src0=1 src1=1 src2=0
	v_mul_i32_i24_e32 v210 /*v466*/, v118 /*v374*/, v190 /*v446*/
	v_mul_i32_i24_e32 v211 /*v467*/, v124 /*v380*/, v191 /*v447*/
	v_mul_i32_i24_e32 v212 /*v468*/, v121 /*v377*/, v192 /*v448*/
	v_mul_i32_i24_e32 v213 /*v469*/, v125 /*v381*/, v193 /*v449*/
	s_set_vgpr_msb 20                       ;  msbs: dst=0 src0=0 src1=1 src2=1
	v_add3_u32 v115, v115, v153 /*v409*/, v155 /*v411*/
	s_set_vgpr_msb 0x45                     ;  msbs: dst=1 src0=1 src1=1 src2=0
	v_mul_i32_i24_e32 v153 /*v409*/, v173 /*v429*/, v82 /*v338*/
	v_mul_i32_i24_e32 v155 /*v411*/, v174 /*v430*/, v85 /*v341*/
	;; [unrolled: 1-line block ×6, first 2 shown]
	s_set_vgpr_msb 20                       ;  msbs: dst=0 src0=0 src1=1 src2=1
	v_add3_u32 v115, v115, v153 /*v409*/, v155 /*v411*/
	s_set_vgpr_msb 0x45                     ;  msbs: dst=1 src0=1 src1=1 src2=0
	v_mul_i32_i24_e32 v218 /*v474*/, v198 /*v454*/, v132 /*v388*/
	s_set_vgpr_msb 64                       ;  msbs: dst=1 src0=0 src1=0 src2=0
	v_mul_i32_i24_e32 v153 /*v409*/, v14, v219
	v_mul_i32_i24_e32 v155 /*v411*/, v15, v220
	s_set_vgpr_msb 0x44                     ;  msbs: dst=1 src0=0 src1=1 src2=0
	v_mul_i32_i24_e32 v219 /*v475*/, v248, v169 /*v425*/
	s_set_vgpr_msb 20                       ;  msbs: dst=0 src0=0 src1=1 src2=1
	v_add3_u32 v115, v115, v156 /*v412*/, v158 /*v414*/
	s_set_vgpr_msb 64                       ;  msbs: dst=1 src0=0 src1=0 src2=0
	v_mul_i32_i24_e32 v156 /*v412*/, v20, v223
	v_mul_i32_i24_e32 v158 /*v414*/, v21, v224
	s_set_vgpr_msb 0x44                     ;  msbs: dst=1 src0=0 src1=1 src2=0
	v_mul_i32_i24_e32 v220 /*v476*/, v254, v170 /*v426*/
	s_set_vgpr_msb 64                       ;  msbs: dst=1 src0=0 src1=0 src2=0
	v_mul_i32_i24_e32 v221 /*v477*/, v252, v117
	s_set_vgpr_msb 20                       ;  msbs: dst=0 src0=0 src1=1 src2=1
	v_add3_u32 v115, v115, v159 /*v415*/, v160 /*v416*/
	s_set_vgpr_msb 64                       ;  msbs: dst=1 src0=0 src1=0 src2=0
	v_mul_i32_i24_e32 v159 /*v415*/, v22, v225
	v_mul_i32_i24_e32 v160 /*v416*/, v24, v226
	s_set_vgpr_msb 0x45                     ;  msbs: dst=1 src0=1 src1=1 src2=0
	v_mul_i32_i24_e32 v222 /*v478*/, v198 /*v454*/, v23 /*v279*/
	s_set_vgpr_msb 64                       ;  msbs: dst=1 src0=0 src1=0 src2=0
	v_mul_i32_i24_e32 v225 /*v481*/, v187, v117
	s_set_vgpr_msb 20                       ;  msbs: dst=0 src0=0 src1=1 src2=1
	v_add3_u32 v115, v115, v161 /*v417*/, v164 /*v420*/
	s_set_vgpr_msb 64                       ;  msbs: dst=1 src0=0 src1=0 src2=0
	v_mul_i32_i24_e32 v161 /*v417*/, v26, v227
	s_set_vgpr_msb 1                        ;  msbs: dst=0 src0=1 src1=0 src2=0
	v_mul_i32_i24_e32 v117, v123 /*v379*/, v117
	s_set_vgpr_msb 0x44                     ;  msbs: dst=1 src0=0 src1=1 src2=0
	v_mul_i32_i24_e32 v223 /*v479*/, v183, v169 /*v425*/
	v_mul_i32_i24_e32 v224 /*v480*/, v189, v170 /*v426*/
	s_set_vgpr_msb 20                       ;  msbs: dst=0 src0=0 src1=1 src2=1
	v_add3_u32 v115, v115, v201 /*v457*/, v202 /*v458*/
	s_set_vgpr_msb 64                       ;  msbs: dst=1 src0=0 src1=0 src2=0
	v_mul_i32_i24_e32 v201 /*v457*/, v27, v228
	v_mul_i32_i24_e32 v202 /*v458*/, v28, v229
	s_set_vgpr_msb 0x41                     ;  msbs: dst=1 src0=1 src1=0 src2=0
	v_mul_i32_i24_e32 v226 /*v482*/, v198 /*v454*/, v214
	s_set_vgpr_msb 0x45                     ;  msbs: dst=1 src0=1 src1=1 src2=0
	v_mul_i32_i24_e32 v162 /*v418*/, v199 /*v455*/, v129 /*v385*/
	s_set_vgpr_msb 20                       ;  msbs: dst=0 src0=0 src1=1 src2=1
	v_add3_u32 v115, v115, v203 /*v459*/, v204 /*v460*/
	s_set_vgpr_msb 64                       ;  msbs: dst=1 src0=0 src1=0 src2=0
	v_mul_i32_i24_e32 v203 /*v459*/, v29, v230
	v_mul_i32_i24_e32 v204 /*v460*/, v30, v231
	s_set_vgpr_msb 0x45                     ;  msbs: dst=1 src0=1 src1=1 src2=0
	v_mul_i32_i24_e32 v163 /*v419*/, v200 /*v456*/, v133 /*v389*/
	s_wait_dscnt 0x0
	s_set_vgpr_msb 0                        ;  msbs: dst=0 src0=0 src1=0 src2=0
	v_dual_lshrrev_b32 v112, 16, v110 :: v_dual_lshrrev_b32 v114, 16, v111
	s_set_vgpr_msb 20                       ;  msbs: dst=0 src0=0 src1=1 src2=1
	v_add3_u32 v115, v115, v205 /*v461*/, v206 /*v462*/
	s_set_vgpr_msb 64                       ;  msbs: dst=1 src0=0 src1=0 src2=0
	v_mul_i32_i24_e32 v205 /*v461*/, v31, v232
	v_mul_i32_i24_e32 v206 /*v462*/, v38, v233
	s_set_vgpr_msb 20                       ;  msbs: dst=0 src0=0 src1=1 src2=1
	v_add3_u32 v115, v115, v207 /*v463*/, v208 /*v464*/
	s_set_vgpr_msb 64                       ;  msbs: dst=1 src0=0 src1=0 src2=0
	v_mul_i32_i24_e32 v207 /*v463*/, v40, v234
	v_mul_i32_i24_e32 v208 /*v464*/, v42, v235
	;; [unrolled: 5-line block ×4, first 2 shown]
	s_set_vgpr_msb 20                       ;  msbs: dst=0 src0=0 src1=1 src2=1
	v_add3_u32 v115, v115, v213 /*v469*/, v214 /*v470*/
	s_set_vgpr_msb 64                       ;  msbs: dst=1 src0=0 src1=0 src2=0
	v_mul_i32_i24_e32 v213 /*v469*/, v239, v126
	s_set_vgpr_msb 0x44                     ;  msbs: dst=1 src0=0 src1=1 src2=0
	v_mul_i32_i24_e32 v214 /*v470*/, v242, v165 /*v421*/
	s_set_vgpr_msb 20                       ;  msbs: dst=0 src0=0 src1=1 src2=1
	v_add3_u32 v115, v115, v215 /*v471*/, v216 /*v472*/
	s_set_vgpr_msb 0x54                     ;  msbs: dst=1 src0=0 src1=1 src2=1
	v_mul_i32_i24_e32 v215 /*v471*/, v241, v166 /*v422*/
	v_mul_i32_i24_e32 v216 /*v472*/, v245, v167 /*v423*/
	s_delay_alu instid0(VALU_DEP_3)
	v_add3_u32 v164 /*v420*/, v115, v217 /*v473*/, v218 /*v474*/
	s_set_vgpr_msb 0                        ;  msbs: dst=0 src0=0 src1=0 src2=0
	v_mul_i32_i24_e32 v115, v12, v218
	s_set_vgpr_msb 64                       ;  msbs: dst=1 src0=0 src1=0 src2=0
	v_mul_i32_i24_e32 v217 /*v473*/, v243, v116
	s_set_vgpr_msb 0x44                     ;  msbs: dst=1 src0=0 src1=1 src2=0
	v_mul_i32_i24_e32 v218 /*v474*/, v251, v168 /*v424*/
	s_set_vgpr_msb 0                        ;  msbs: dst=0 src0=0 src1=0 src2=0
	v_mad_i32_i24 v115, v13, v217, v115
	s_set_vgpr_msb 20                       ;  msbs: dst=0 src0=0 src1=1 src2=1
	s_delay_alu instid0(VALU_DEP_1) | instskip(SKIP_4) | instid1(VALU_DEP_1)
	v_add3_u32 v115, v115, v153 /*v409*/, v155 /*v411*/
	s_set_vgpr_msb 64                       ;  msbs: dst=1 src0=0 src1=0 src2=0
	v_mul_i32_i24_e32 v153 /*v409*/, v16, v221
	v_mul_i32_i24_e32 v155 /*v411*/, v18, v222
	s_set_vgpr_msb 20                       ;  msbs: dst=0 src0=0 src1=1 src2=1
	v_add3_u32 v115, v115, v153 /*v409*/, v155 /*v411*/
	s_set_vgpr_msb 0x41                     ;  msbs: dst=1 src0=1 src1=0 src2=0
	v_mul_i32_i24_e32 v155 /*v411*/, v172 /*v428*/, v244
	s_set_vgpr_msb 20                       ;  msbs: dst=0 src0=0 src1=1 src2=1
	s_delay_alu instid0(VALU_DEP_2)
	v_add3_u32 v115, v115, v156 /*v412*/, v158 /*v414*/
	s_set_vgpr_msb 0x41                     ;  msbs: dst=1 src0=1 src1=0 src2=0
	v_mul_i32_i24_e32 v156 /*v412*/, v154 /*v410*/, v250
	v_mul_i32_i24_e32 v158 /*v414*/, v175 /*v431*/, v249
	s_set_vgpr_msb 20                       ;  msbs: dst=0 src0=0 src1=1 src2=1
	v_add3_u32 v115, v115, v159 /*v415*/, v160 /*v416*/
	s_set_vgpr_msb 0x45                     ;  msbs: dst=1 src0=1 src1=1 src2=0
	v_mul_i32_i24_e32 v159 /*v415*/, v199 /*v455*/, v20 /*v276*/
	v_mul_i32_i24_e32 v160 /*v416*/, v200 /*v456*/, v24 /*v280*/
	s_set_vgpr_msb 20                       ;  msbs: dst=0 src0=0 src1=1 src2=1
	v_add3_u32 v115, v115, v161 /*v417*/, v201 /*v457*/
	s_set_vgpr_msb 0x45                     ;  msbs: dst=1 src0=1 src1=1 src2=0
	v_mul_i32_i24_e32 v161 /*v417*/, v176 /*v432*/, v1 /*v257*/
	v_mul_i32_i24_e32 v201 /*v457*/, v177 /*v433*/, v2 /*v258*/
	;; [unrolled: 5-line block ×11, first 2 shown]
	s_set_vgpr_msb 0x54                     ;  msbs: dst=1 src0=0 src1=1 src2=1
	v_add3_u32 v153 /*v409*/, v115, v220 /*v476*/, v221 /*v477*/
	s_set_vgpr_msb 0                        ;  msbs: dst=0 src0=0 src1=0 src2=0
	v_mul_i32_i24_e32 v115, v8, v247
	s_set_vgpr_msb 0x45                     ;  msbs: dst=1 src0=1 src1=1 src2=0
	v_mul_i32_i24_e32 v220 /*v476*/, v19 /*v275*/, v196 /*v452*/
	v_mul_i32_i24_e32 v221 /*v477*/, v197 /*v453*/, v22 /*v278*/
	s_set_vgpr_msb 1                        ;  msbs: dst=0 src0=1 src1=0 src2=0
	v_mad_i32_i24 v115, v171 /*v427*/, v246, v115
	s_set_vgpr_msb 20                       ;  msbs: dst=0 src0=0 src1=1 src2=1
	s_delay_alu instid0(VALU_DEP_1) | instskip(SKIP_4) | instid1(VALU_DEP_1)
	v_add3_u32 v115, v115, v155 /*v411*/, v156 /*v412*/
	s_set_vgpr_msb 0x41                     ;  msbs: dst=1 src0=1 src1=0 src2=0
	v_mul_i32_i24_e32 v155 /*v411*/, v173 /*v429*/, v253
	v_mul_i32_i24_e32 v156 /*v412*/, v174 /*v430*/, v255
	s_set_vgpr_msb 20                       ;  msbs: dst=0 src0=0 src1=1 src2=1
	v_add3_u32 v115, v115, v155 /*v411*/, v156 /*v412*/
	s_set_vgpr_msb 64                       ;  msbs: dst=1 src0=0 src1=0 src2=0
	v_mul_i32_i24_e32 v155 /*v411*/, v14, v153
	v_mul_i32_i24_e32 v156 /*v412*/, v15, v155
	s_set_vgpr_msb 20                       ;  msbs: dst=0 src0=0 src1=1 src2=1
	v_mul_i32_i24_e32 v14, v14, v45 /*v301*/
	v_mul_i32_i24_e32 v15, v15, v46 /*v302*/
	v_add3_u32 v115, v115, v158 /*v414*/, v161 /*v417*/
	s_set_vgpr_msb 64                       ;  msbs: dst=1 src0=0 src1=0 src2=0
	v_mul_i32_i24_e32 v158 /*v414*/, v20, v158
	s_set_vgpr_msb 20                       ;  msbs: dst=0 src0=0 src1=1 src2=1
	s_delay_alu instid0(VALU_DEP_2)
	v_add3_u32 v115, v115, v201 /*v457*/, v202 /*v458*/
	s_set_vgpr_msb 64                       ;  msbs: dst=1 src0=0 src1=0 src2=0
	v_mul_i32_i24_e32 v201 /*v457*/, v21, v159
	v_mul_i32_i24_e32 v202 /*v458*/, v22, v160
	s_set_vgpr_msb 20                       ;  msbs: dst=0 src0=0 src1=1 src2=1
	v_add3_u32 v115, v115, v203 /*v459*/, v204 /*v460*/
	s_set_vgpr_msb 64                       ;  msbs: dst=1 src0=0 src1=0 src2=0
	v_mul_i32_i24_e32 v203 /*v459*/, v24, v161
	v_mul_i32_i24_e32 v204 /*v460*/, v26, v162
	s_set_vgpr_msb 20                       ;  msbs: dst=0 src0=0 src1=1 src2=1
	;; [unrolled: 5-line block ×8, first 2 shown]
	v_add3_u32 v115, v115, v217 /*v473*/, v218 /*v474*/
	s_set_vgpr_msb 64                       ;  msbs: dst=1 src0=0 src1=0 src2=0
	v_mul_i32_i24_e32 v217 /*v473*/, v174, v126
	s_set_vgpr_msb 0x44                     ;  msbs: dst=1 src0=0 src1=1 src2=0
	v_mul_i32_i24_e32 v218 /*v474*/, v177, v165 /*v421*/
	s_set_vgpr_msb 20                       ;  msbs: dst=0 src0=0 src1=1 src2=1
	v_add3_u32 v115, v115, v219 /*v475*/, v220 /*v476*/
	s_set_vgpr_msb 0x54                     ;  msbs: dst=1 src0=0 src1=1 src2=1
	v_mul_i32_i24_e32 v219 /*v475*/, v176, v166 /*v422*/
	v_mul_i32_i24_e32 v220 /*v476*/, v180, v167 /*v423*/
	s_delay_alu instid0(VALU_DEP_3)
	v_add3_u32 v161 /*v417*/, v115, v221 /*v477*/, v222 /*v478*/
	s_set_vgpr_msb 0                        ;  msbs: dst=0 src0=0 src1=0 src2=0
	v_mul_i32_i24_e32 v115, v12, v152
	s_set_vgpr_msb 4                        ;  msbs: dst=0 src0=0 src1=1 src2=0
	v_mul_i32_i24_e32 v12, v12, v42 /*v298*/
	s_set_vgpr_msb 64                       ;  msbs: dst=1 src0=0 src1=0 src2=0
	v_mul_i32_i24_e32 v221 /*v477*/, v178, v116
	s_set_vgpr_msb 1                        ;  msbs: dst=0 src0=1 src1=0 src2=0
	v_mul_i32_i24_e32 v116, v109 /*v365*/, v116
	s_set_vgpr_msb 0x44                     ;  msbs: dst=1 src0=0 src1=1 src2=0
	v_mul_i32_i24_e32 v222 /*v478*/, v186, v168 /*v424*/
	s_set_vgpr_msb 0                        ;  msbs: dst=0 src0=0 src1=0 src2=0
	v_mad_i32_i24 v115, v13, v151, v115
	s_set_vgpr_msb 4                        ;  msbs: dst=0 src0=0 src1=1 src2=0
	v_mad_i32_i24 v12, v13, v40 /*v296*/, v12
	v_mul_i32_i24_e32 v13, v16, v47 /*v303*/
	s_set_vgpr_msb 20                       ;  msbs: dst=0 src0=0 src1=1 src2=1
	v_add3_u32 v115, v115, v155 /*v411*/, v156 /*v412*/
	s_set_vgpr_msb 0                        ;  msbs: dst=0 src0=0 src1=0 src2=0
	v_add3_u32 v12, v12, v14, v15
	s_set_vgpr_msb 4                        ;  msbs: dst=0 src0=0 src1=1 src2=0
	v_mul_i32_i24_e32 v14, v18, v48 /*v304*/
	s_set_vgpr_msb 64                       ;  msbs: dst=1 src0=0 src1=0 src2=0
	v_mul_i32_i24_e32 v155 /*v411*/, v16, v156
	s_set_vgpr_msb 4                        ;  msbs: dst=0 src0=0 src1=1 src2=0
	v_mul_i32_i24_e32 v15, v20, v50 /*v306*/
	v_mul_i32_i24_e32 v16, v21, v52 /*v308*/
	s_set_vgpr_msb 64                       ;  msbs: dst=1 src0=0 src1=0 src2=0
	v_mul_i32_i24_e32 v156 /*v412*/, v18, v157
	s_set_vgpr_msb 0                        ;  msbs: dst=0 src0=0 src1=0 src2=0
	v_add3_u32 v12, v12, v13, v14
	s_set_vgpr_msb 4                        ;  msbs: dst=0 src0=0 src1=1 src2=0
	v_mul_i32_i24_e32 v18, v22, v56 /*v312*/
	v_mul_i32_i24_e32 v20, v24, v57 /*v313*/
	v_mul_i32_i24_e32 v21, v26, v60 /*v316*/
	v_mul_i32_i24_e32 v22, v27, v61 /*v317*/
	s_set_vgpr_msb 0                        ;  msbs: dst=0 src0=0 src1=0 src2=0
	v_add3_u32 v12, v12, v15, v16
	s_set_vgpr_msb 4                        ;  msbs: dst=0 src0=0 src1=1 src2=0
	v_mul_i32_i24_e32 v24, v28, v63 /*v319*/
	v_mul_i32_i24_e32 v26, v29, v65 /*v321*/
	v_mul_i32_i24_e32 v27, v30, v66 /*v322*/
	v_mul_i32_i24_e32 v28, v31, v69 /*v325*/
	;; [unrolled: 7-line block ×3, first 2 shown]
	s_set_vgpr_msb 0                        ;  msbs: dst=0 src0=0 src1=0 src2=0
	v_add3_u32 v12, v12, v21, v22
	s_set_vgpr_msb 1                        ;  msbs: dst=0 src0=1 src1=0 src2=0
	v_mul_i32_i24_e32 v40, v90 /*v346*/, v46
	v_mul_i32_i24_e32 v42, v88 /*v344*/, v84
	;; [unrolled: 1-line block ×4, first 2 shown]
	s_set_vgpr_msb 0                        ;  msbs: dst=0 src0=0 src1=0 src2=0
	v_add3_u32 v12, v12, v24, v26
	s_set_vgpr_msb 5                        ;  msbs: dst=0 src0=1 src1=1 src2=0
	v_mul_i32_i24_e32 v84, v108 /*v364*/, v165 /*v421*/
	v_mul_i32_i24_e32 v113, v99 /*v355*/, v166 /*v422*/
	;; [unrolled: 1-line block ×3, first 2 shown]
	s_set_vgpr_msb 0x45                     ;  msbs: dst=1 src0=1 src1=1 src2=0
	v_mul_i32_i24_e32 v165 /*v421*/, v122 /*v378*/, v168 /*v424*/
	s_set_vgpr_msb 0                        ;  msbs: dst=0 src0=0 src1=0 src2=0
	v_add3_u32 v12, v12, v27, v28
	s_set_vgpr_msb 0x45                     ;  msbs: dst=1 src0=1 src1=1 src2=0
	v_mul_i32_i24_e32 v166 /*v422*/, v119 /*v375*/, v169 /*v425*/
	s_set_vgpr_msb 20                       ;  msbs: dst=0 src0=0 src1=1 src2=1
	v_add3_u32 v115, v115, v155 /*v411*/, v156 /*v412*/
	s_set_vgpr_msb 64                       ;  msbs: dst=1 src0=0 src1=0 src2=0
	v_mul_i32_i24_e32 v155 /*v411*/, v8, v182
	s_set_vgpr_msb 0x45                     ;  msbs: dst=1 src0=1 src1=1 src2=0
	v_mul_i32_i24_e32 v167 /*v423*/, v127 /*v383*/, v170 /*v426*/
	s_set_vgpr_msb 0                        ;  msbs: dst=0 src0=0 src1=0 src2=0
	v_add3_u32 v12, v12, v29, v30
	v_mul_i32_i24_e32 v8, v118, v8
	s_set_vgpr_msb 5                        ;  msbs: dst=0 src0=1 src1=1 src2=0
	v_mul_i32_i24_e32 v13, v111 /*v367*/, v154 /*v410*/
	v_mul_i32_i24_e32 v14, v136 /*v392*/, v175 /*v431*/
	v_mul_i32_i24_e32 v15, v101 /*v357*/, v176 /*v432*/
	s_set_vgpr_msb 0                        ;  msbs: dst=0 src0=0 src1=0 src2=0
	v_add3_u32 v12, v12, v31, v38
	s_set_vgpr_msb 5                        ;  msbs: dst=0 src0=1 src1=1 src2=0
	v_mad_i32_i24 v8, v134 /*v390*/, v171 /*v427*/, v8
	v_mul_i32_i24_e32 v16, v140 /*v396*/, v177 /*v433*/
	v_mul_i32_i24_e32 v18, v139 /*v395*/, v178 /*v434*/
	v_mul_i32_i24_e32 v20, v138 /*v394*/, v179 /*v435*/
	s_set_vgpr_msb 0                        ;  msbs: dst=0 src0=0 src1=0 src2=0
	v_add3_u32 v12, v12, v40, v42
	s_set_vgpr_msb 5                        ;  msbs: dst=0 src0=1 src1=1 src2=0
	v_mul_i32_i24_e32 v21, v102 /*v358*/, v180 /*v436*/
	v_mul_i32_i24_e32 v22, v143 /*v399*/, v181 /*v437*/
	v_mul_i32_i24_e32 v24, v142 /*v398*/, v182 /*v438*/
	v_mul_i32_i24_e32 v26, v141 /*v397*/, v183 /*v439*/
	s_set_vgpr_msb 0                        ;  msbs: dst=0 src0=0 src1=0 src2=0
	v_add3_u32 v12, v12, v44, v46
	s_set_vgpr_msb 5                        ;  msbs: dst=0 src0=1 src1=1 src2=0
	v_mul_i32_i24_e32 v27, v103 /*v359*/, v184 /*v440*/
	;; [unrolled: 7-line block ×4, first 2 shown]
	v_mul_i32_i24_e32 v46, v152 /*v408*/, v193 /*v449*/
	v_mul_i32_i24_e32 v84, v151 /*v407*/, v194 /*v450*/
	s_set_vgpr_msb 20                       ;  msbs: dst=0 src0=0 src1=1 src2=1
	v_add3_u32 v115, v115, v158 /*v414*/, v201 /*v457*/
	v_add3_u32 v12, v12, v165 /*v421*/, v166 /*v422*/
	s_set_vgpr_msb 0x41                     ;  msbs: dst=1 src0=1 src1=0 src2=0
	v_mul_i32_i24_e32 v158 /*v414*/, v154 /*v410*/, v185
	s_set_vgpr_msb 5                        ;  msbs: dst=0 src0=1 src1=1 src2=0
	v_mul_i32_i24_e32 v126, v150 /*v406*/, v195 /*v451*/
	s_set_vgpr_msb 0x45                     ;  msbs: dst=1 src0=1 src1=1 src2=0
	v_mul_i32_i24_e32 v154 /*v410*/, v106 /*v362*/, v196 /*v452*/
	s_set_vgpr_msb 20                       ;  msbs: dst=0 src0=0 src1=1 src2=1
	v_add3_u32 v115, v115, v202 /*v458*/, v203 /*v459*/
	s_set_vgpr_msb 4                        ;  msbs: dst=0 src0=0 src1=1 src2=0
	v_add3_u32 v113, v12, v167 /*v423*/, v117
	s_set_vgpr_msb 5                        ;  msbs: dst=0 src0=1 src1=1 src2=0
	v_mul_i32_i24_e32 v12, v135 /*v391*/, v172 /*v428*/
	s_set_vgpr_msb 0x45                     ;  msbs: dst=1 src0=1 src1=1 src2=0
	v_mul_i32_i24_e32 v165 /*v421*/, v197 /*v453*/, v114 /*v370*/
	v_mul_i32_i24_e32 v166 /*v422*/, v198 /*v454*/, v116 /*v372*/
	s_set_vgpr_msb 20                       ;  msbs: dst=0 src0=0 src1=1 src2=1
	v_add3_u32 v115, v115, v204 /*v460*/, v205 /*v461*/
	s_set_vgpr_msb 0x41                     ;  msbs: dst=1 src0=1 src1=0 src2=0
	v_mul_i32_i24_e32 v156 /*v412*/, v172 /*v428*/, v179
	s_set_vgpr_msb 0                        ;  msbs: dst=0 src0=0 src1=0 src2=0
	v_add3_u32 v8, v8, v12, v13
	s_set_vgpr_msb 4                        ;  msbs: dst=0 src0=0 src1=1 src2=0
	v_mul_i32_i24_e32 v12, v119, v173 /*v429*/
	s_set_vgpr_msb 5                        ;  msbs: dst=0 src0=1 src1=1 src2=0
	v_mul_i32_i24_e32 v13, v137 /*v393*/, v174 /*v430*/
	s_set_vgpr_msb 20                       ;  msbs: dst=0 src0=0 src1=1 src2=1
	v_add3_u32 v115, v115, v206 /*v462*/, v207 /*v463*/
	s_set_vgpr_msb 0x51                     ;  msbs: dst=1 src0=1 src1=0 src2=1
	v_mad_i32_i24 v155 /*v411*/, v171 /*v427*/, v181, v155 /*v411*/
	v_mul_i32_i24_e32 v201 /*v457*/, v173 /*v429*/, v188
	v_mul_i32_i24_e32 v202 /*v458*/, v174 /*v430*/, v190
	s_set_vgpr_msb 0                        ;  msbs: dst=0 src0=0 src1=0 src2=0
	v_add3_u32 v8, v8, v12, v13
	s_set_vgpr_msb 20                       ;  msbs: dst=0 src0=0 src1=1 src2=1
	v_add3_u32 v115, v115, v208 /*v464*/, v209 /*v465*/
	s_set_vgpr_msb 0x41                     ;  msbs: dst=1 src0=1 src1=0 src2=0
	v_mul_i32_i24_e32 v203 /*v459*/, v175 /*v431*/, v184
	v_mul_i32_i24_e32 v204 /*v460*/, v176 /*v432*/, v192
	;; [unrolled: 1-line block ×3, first 2 shown]
	s_set_vgpr_msb 0                        ;  msbs: dst=0 src0=0 src1=0 src2=0
	v_add3_u32 v8, v8, v14, v15
	s_set_vgpr_msb 0x41                     ;  msbs: dst=1 src0=1 src1=0 src2=0
	v_mul_i32_i24_e32 v206 /*v462*/, v178 /*v434*/, v194
	v_mul_i32_i24_e32 v207 /*v463*/, v179 /*v435*/, v191
	;; [unrolled: 1-line block ×4, first 2 shown]
	s_set_vgpr_msb 0                        ;  msbs: dst=0 src0=0 src1=0 src2=0
	v_add3_u32 v8, v8, v16, v18
	s_set_vgpr_msb 0x55                     ;  msbs: dst=1 src0=1 src1=1 src2=1
	v_add3_u32 v158 /*v414*/, v155 /*v411*/, v156 /*v412*/, v158 /*v414*/
	s_set_vgpr_msb 20                       ;  msbs: dst=0 src0=0 src1=1 src2=1
	v_add3_u32 v115, v115, v210 /*v466*/, v211 /*v467*/
	s_set_vgpr_msb 0x41                     ;  msbs: dst=1 src0=1 src1=0 src2=0
	v_mul_i32_i24_e32 v210 /*v466*/, v182 /*v438*/, v198
	v_mul_i32_i24_e32 v211 /*v467*/, v183 /*v439*/, v195
	s_set_vgpr_msb 0                        ;  msbs: dst=0 src0=0 src1=0 src2=0
	v_add3_u32 v8, v8, v20, v21
	s_set_vgpr_msb 0x55                     ;  msbs: dst=1 src0=1 src1=1 src2=1
	v_add3_u32 v158 /*v414*/, v158 /*v414*/, v201 /*v457*/, v202 /*v458*/
	s_set_vgpr_msb 20                       ;  msbs: dst=0 src0=0 src1=1 src2=1
	v_add3_u32 v115, v115, v212 /*v468*/, v213 /*v469*/
	s_set_vgpr_msb 0x41                     ;  msbs: dst=1 src0=1 src1=0 src2=0
	v_mul_i32_i24_e32 v212 /*v468*/, v184 /*v440*/, v200
	v_mul_i32_i24_e32 v213 /*v469*/, v185 /*v441*/, v201
	;; [unrolled: 9-line block ×3, first 2 shown]
	s_set_vgpr_msb 0                        ;  msbs: dst=0 src0=0 src1=0 src2=0
	v_add3_u32 v8, v8, v26, v27
	s_set_vgpr_msb 0x55                     ;  msbs: dst=1 src0=1 src1=1 src2=1
	v_add3_u32 v158 /*v414*/, v158 /*v414*/, v205 /*v461*/, v206 /*v462*/
	s_set_vgpr_msb 20                       ;  msbs: dst=0 src0=0 src1=1 src2=1
	v_add3_u32 v115, v115, v216 /*v472*/, v217 /*v473*/
	s_set_vgpr_msb 0x41                     ;  msbs: dst=1 src0=1 src1=0 src2=0
	v_mul_i32_i24_e32 v216 /*v472*/, v188 /*v444*/, v203
	s_set_vgpr_msb 0x44                     ;  msbs: dst=1 src0=0 src1=1 src2=0
	v_mul_i32_i24_e32 v217 /*v473*/, v204, v189 /*v445*/
	s_set_vgpr_msb 0                        ;  msbs: dst=0 src0=0 src1=0 src2=0
	v_add3_u32 v8, v8, v28, v29
	s_set_vgpr_msb 0x55                     ;  msbs: dst=1 src0=1 src1=1 src2=1
	v_add3_u32 v158 /*v414*/, v158 /*v414*/, v207 /*v463*/, v208 /*v464*/
	s_set_vgpr_msb 20                       ;  msbs: dst=0 src0=0 src1=1 src2=1
	v_add3_u32 v115, v115, v218 /*v474*/, v219 /*v475*/
	s_set_vgpr_msb 0x44                     ;  msbs: dst=1 src0=0 src1=1 src2=0
	v_mul_i32_i24_e32 v218 /*v474*/, v205, v190 /*v446*/
	v_mul_i32_i24_e32 v219 /*v475*/, v207, v191 /*v447*/
	s_set_vgpr_msb 0                        ;  msbs: dst=0 src0=0 src1=0 src2=0
	v_add3_u32 v8, v8, v30, v31
	s_set_vgpr_msb 0x55                     ;  msbs: dst=1 src0=1 src1=1 src2=1
	v_add3_u32 v158 /*v414*/, v158 /*v414*/, v209 /*v465*/, v210 /*v466*/
	s_set_vgpr_msb 20                       ;  msbs: dst=0 src0=0 src1=1 src2=1
	v_add3_u32 v115, v115, v220 /*v476*/, v221 /*v477*/
	s_set_vgpr_msb 0x44                     ;  msbs: dst=1 src0=0 src1=1 src2=0
	v_mul_i32_i24_e32 v220 /*v476*/, v206, v192 /*v448*/
	;; [unrolled: 9-line block ×4, first 2 shown]
	s_set_vgpr_msb 0x41                     ;  msbs: dst=1 src0=1 src1=0 src2=0
	v_mul_i32_i24_e32 v225 /*v481*/, v197 /*v453*/, v213
	s_set_vgpr_msb 0                        ;  msbs: dst=0 src0=0 src1=0 src2=0
	v_add3_u32 v8, v8, v46, v84
	s_set_vgpr_msb 0x55                     ;  msbs: dst=1 src0=1 src1=1 src2=1
	v_add3_u32 v158 /*v414*/, v158 /*v414*/, v215 /*v471*/, v216 /*v472*/
	s_set_vgpr_msb 0x41                     ;  msbs: dst=1 src0=1 src1=0 src2=0
	v_mul_i32_i24_e32 v155 /*v411*/, v199 /*v455*/, v211
	v_mul_i32_i24_e32 v156 /*v412*/, v200 /*v456*/, v215
	s_set_vgpr_msb 5                        ;  msbs: dst=0 src0=1 src1=1 src2=0
	v_mul_i32_i24_e32 v116, v199 /*v455*/, v107 /*v363*/
	s_set_vgpr_msb 16                       ;  msbs: dst=0 src0=0 src1=0 src2=1
	v_add3_u32 v8, v8, v126, v154 /*v410*/
	s_set_vgpr_msb 0x55                     ;  msbs: dst=1 src0=1 src1=1 src2=1
	v_add3_u32 v158 /*v414*/, v158 /*v414*/, v217 /*v473*/, v218 /*v474*/
	s_set_vgpr_msb 5                        ;  msbs: dst=0 src0=1 src1=1 src2=0
	v_mul_i32_i24_e32 v117, v200 /*v456*/, v120 /*v376*/
	s_set_vgpr_msb 0x54                     ;  msbs: dst=1 src0=0 src1=1 src2=1
	v_add3_u32 v154 /*v410*/, v8, v165 /*v421*/, v166 /*v422*/
	s_set_vgpr_msb 0                        ;  msbs: dst=0 src0=0 src1=0 src2=0
	v_or_b32_e32 v8, s13, v135
	s_set_vgpr_msb 0x55                     ;  msbs: dst=1 src0=1 src1=1 src2=1
	v_add3_u32 v158 /*v414*/, v158 /*v414*/, v219 /*v475*/, v220 /*v476*/
	s_set_vgpr_msb 0                        ;  msbs: dst=0 src0=0 src1=0 src2=0
	s_delay_alu instid0(VALU_DEP_2)
	v_dual_lshlrev_b32 v12, 2, v8 :: v_dual_lshrrev_b32 v8, 1, v8
	s_set_vgpr_msb 64                       ;  msbs: dst=1 src0=0 src1=0 src2=0
	ds_load_b128 v[166:169] /*v[422:425]*/, v12 offset:16896
	ds_load_b128 v[170:173] /*v[426:429]*/, v12 offset:16912
	;; [unrolled: 1-line block ×4, first 2 shown]
	s_set_vgpr_msb 0x55                     ;  msbs: dst=1 src0=1 src1=1 src2=1
	v_add3_u32 v158 /*v414*/, v158 /*v414*/, v221 /*v477*/, v222 /*v478*/
	s_delay_alu instid0(VALU_DEP_1) | instskip(NEXT) | instid1(VALU_DEP_1)
	v_add3_u32 v158 /*v414*/, v158 /*v414*/, v223 /*v479*/, v224 /*v480*/
	v_add3_u32 v158 /*v414*/, v158 /*v414*/, v225 /*v481*/, v226 /*v482*/
	s_wait_dscnt 0x3
	s_set_vgpr_msb 1                        ;  msbs: dst=0 src0=1 src1=0 src2=0
	v_bfe_i32 v12, v166 /*v422*/, 0, 8
	v_bfe_i32 v13, v166 /*v422*/, 8, 8
	;; [unrolled: 1-line block ×3, first 2 shown]
	s_set_vgpr_msb 4                        ;  msbs: dst=0 src0=0 src1=1 src2=0
	v_dual_ashrrev_i32 v15, 24, v166 /*v422*/ :: v_dual_ashrrev_i32 v21, 24, v167 /*v423*/
	v_ashrrev_i32_e32 v27, 24, v168 /*v424*/
	s_set_vgpr_msb 1                        ;  msbs: dst=0 src0=1 src1=0 src2=0
	v_bfe_i32 v22, v168 /*v424*/, 0, 8
	v_bfe_i32 v24, v168 /*v424*/, 8, 8
	;; [unrolled: 1-line block ×3, first 2 shown]
	s_set_vgpr_msb 0x44                     ;  msbs: dst=1 src0=0 src1=1 src2=0
	v_mul_i32_i24_e32 v168 /*v424*/, v12, v27 /*v283*/
	s_set_vgpr_msb 1                        ;  msbs: dst=0 src0=1 src1=0 src2=0
	v_bfe_i32 v16, v167 /*v423*/, 0, 8
	v_bfe_i32 v18, v167 /*v423*/, 8, 8
	;; [unrolled: 1-line block ×5, first 2 shown]
	s_wait_dscnt 0x2
	s_set_vgpr_msb 4                        ;  msbs: dst=0 src0=0 src1=1 src2=0
	v_dual_ashrrev_i32 v31, 24, v169 /*v425*/ :: v_dual_ashrrev_i32 v44, 24, v170 /*v426*/
	s_set_vgpr_msb 1                        ;  msbs: dst=0 src0=1 src1=0 src2=0
	v_bfe_i32 v38, v170 /*v426*/, 0, 8
	v_bfe_i32 v40, v170 /*v426*/, 8, 8
	;; [unrolled: 1-line block ×3, first 2 shown]
	s_set_vgpr_msb 0x54                     ;  msbs: dst=1 src0=0 src1=1 src2=1
	v_mul_i32_i24_e32 v169 /*v425*/, v14, v28 /*v284*/
	v_mul_i32_i24_e32 v170 /*v426*/, v15, v29 /*v285*/
	v_mad_i32_i24 v168 /*v424*/, v13, v26 /*v282*/, v168 /*v424*/
	s_set_vgpr_msb 1                        ;  msbs: dst=0 src0=1 src1=0 src2=0
	v_bfe_i32 v20, v167 /*v423*/, 16, 8
	v_bfe_i32 v46, v171 /*v427*/, 0, 8
	;; [unrolled: 1-line block ×4, first 2 shown]
	s_set_vgpr_msb 0x55                     ;  msbs: dst=1 src0=1 src1=1 src2=1
	v_add3_u32 v168 /*v424*/, v168 /*v424*/, v169 /*v425*/, v170 /*v426*/
	s_set_vgpr_msb 0x44                     ;  msbs: dst=1 src0=0 src1=1 src2=0
	v_mul_i32_i24_e32 v169 /*v425*/, v16, v30 /*v286*/
	v_mul_i32_i24_e32 v170 /*v426*/, v18, v31 /*v287*/
	v_dual_ashrrev_i32 v182 /*v438*/, 24, v171 /*v427*/ :: v_dual_ashrrev_i32 v186 /*v442*/, 24, v172 /*v428*/
	s_set_vgpr_msb 0x41                     ;  msbs: dst=1 src0=1 src1=0 src2=0
	v_bfe_i32 v183 /*v439*/, v172 /*v428*/, 0, 8
	v_bfe_i32 v184 /*v440*/, v172 /*v428*/, 8, 8
	;; [unrolled: 1-line block ×3, first 2 shown]
	s_set_vgpr_msb 0x44                     ;  msbs: dst=1 src0=0 src1=1 src2=0
	v_mul_i32_i24_e32 v171 /*v427*/, v20, v32 /*v288*/
	v_mul_i32_i24_e32 v172 /*v428*/, v21, v33 /*v289*/
	s_set_vgpr_msb 0x55                     ;  msbs: dst=1 src0=1 src1=1 src2=1
	v_add3_u32 v168 /*v424*/, v168 /*v424*/, v169 /*v425*/, v170 /*v426*/
	v_bfe_i32 v187 /*v443*/, v173 /*v429*/, 0, 8
	v_bfe_i32 v188 /*v444*/, v173 /*v429*/, 8, 8
	;; [unrolled: 1-line block ×3, first 2 shown]
	s_wait_dscnt 0x1
	v_dual_ashrrev_i32 v190 /*v446*/, 24, v173 /*v429*/ :: v_dual_ashrrev_i32 v194 /*v450*/, 24, v174 /*v430*/
	v_bfe_i32 v191 /*v447*/, v174 /*v430*/, 0, 8
	v_bfe_i32 v192 /*v448*/, v174 /*v430*/, 8, 8
	;; [unrolled: 1-line block ×3, first 2 shown]
	s_set_vgpr_msb 0x44                     ;  msbs: dst=1 src0=0 src1=1 src2=0
	v_mul_i32_i24_e32 v173 /*v429*/, v22, v35 /*v291*/
	v_mul_i32_i24_e32 v174 /*v430*/, v24, v36 /*v292*/
	s_set_vgpr_msb 0x55                     ;  msbs: dst=1 src0=1 src1=1 src2=1
	v_add3_u32 v168 /*v424*/, v168 /*v424*/, v171 /*v427*/, v172 /*v428*/
	v_bfe_i32 v195 /*v451*/, v175 /*v431*/, 0, 8
	v_bfe_i32 v196 /*v452*/, v175 /*v431*/, 8, 8
	;; [unrolled: 1-line block ×3, first 2 shown]
	v_ashrrev_i32_e32 v198 /*v454*/, 24, v175 /*v431*/
	s_set_vgpr_msb 0x44                     ;  msbs: dst=1 src0=0 src1=1 src2=0
	v_mul_i32_i24_e32 v175 /*v431*/, v26, v37 /*v293*/
	v_mul_i32_i24_e32 v217 /*v473*/, v27, v38 /*v294*/
	s_set_vgpr_msb 0x55                     ;  msbs: dst=1 src0=1 src1=1 src2=1
	v_add3_u32 v168 /*v424*/, v168 /*v424*/, v173 /*v429*/, v174 /*v430*/
	s_set_vgpr_msb 0x44                     ;  msbs: dst=1 src0=0 src1=1 src2=0
	v_mul_i32_i24_e32 v218 /*v474*/, v28, v39 /*v295*/
	v_mul_i32_i24_e32 v219 /*v475*/, v29, v41 /*v297*/
	;; [unrolled: 1-line block ×4, first 2 shown]
	s_set_vgpr_msb 0x55                     ;  msbs: dst=1 src0=1 src1=1 src2=1
	v_add3_u32 v168 /*v424*/, v168 /*v424*/, v175 /*v431*/, v217 /*v473*/
	s_set_vgpr_msb 0x44                     ;  msbs: dst=1 src0=0 src1=1 src2=0
	v_mul_i32_i24_e32 v222 /*v478*/, v38, v49 /*v305*/
	v_mul_i32_i24_e32 v223 /*v479*/, v40, v51 /*v307*/
	;; [unrolled: 1-line block ×4, first 2 shown]
	s_set_vgpr_msb 0x55                     ;  msbs: dst=1 src0=1 src1=1 src2=1
	v_add3_u32 v168 /*v424*/, v168 /*v424*/, v218 /*v474*/, v219 /*v475*/
	s_set_vgpr_msb 0x41                     ;  msbs: dst=1 src0=1 src1=0 src2=0
	v_mul_i32_i24_e32 v226 /*v482*/, v58 /*v314*/, v46
	v_mul_i32_i24_e32 v227 /*v483*/, v55 /*v311*/, v84
	v_mul_i32_i24_e32 v228 /*v484*/, v62 /*v318*/, v126
	s_set_vgpr_msb 0x55                     ;  msbs: dst=1 src0=1 src1=1 src2=1
	v_mul_i32_i24_e32 v229 /*v485*/, v59 /*v315*/, v182 /*v438*/
	v_add3_u32 v168 /*v424*/, v168 /*v424*/, v220 /*v476*/, v221 /*v477*/
	v_mul_i32_i24_e32 v230 /*v486*/, v67 /*v323*/, v183 /*v439*/
	v_mul_i32_i24_e32 v231 /*v487*/, v64 /*v320*/, v184 /*v440*/
	;; [unrolled: 1-line block ×4, first 2 shown]
	v_add3_u32 v168 /*v424*/, v168 /*v424*/, v222 /*v478*/, v223 /*v479*/
	v_mul_i32_i24_e32 v234 /*v490*/, v79 /*v335*/, v187 /*v443*/
	v_mul_i32_i24_e32 v235 /*v491*/, v74 /*v330*/, v188 /*v444*/
	;; [unrolled: 1-line block ×4, first 2 shown]
	v_add3_u32 v168 /*v424*/, v168 /*v424*/, v224 /*v480*/, v225 /*v481*/
	v_mul_i32_i24_e32 v169 /*v425*/, v193 /*v449*/, v70 /*v326*/
	v_mul_i32_i24_e32 v170 /*v426*/, v194 /*v450*/, v77 /*v333*/
	v_bfe_i32 v199 /*v455*/, v176 /*v432*/, 0, 8
	v_bfe_i32 v200 /*v456*/, v176 /*v432*/, 8, 8
	v_add3_u32 v168 /*v424*/, v168 /*v424*/, v226 /*v482*/, v227 /*v483*/
	v_bfe_i32 v201 /*v457*/, v176 /*v432*/, 16, 8
	v_ashrrev_i32_e32 v176 /*v432*/, 24, v176 /*v432*/
	v_mul_i32_i24_e32 v171 /*v427*/, v197 /*v453*/, v75 /*v331*/
	v_mul_i32_i24_e32 v173 /*v429*/, v198 /*v454*/, v87 /*v343*/
	v_add3_u32 v168 /*v424*/, v168 /*v424*/, v228 /*v484*/, v229 /*v485*/
	v_mul_i32_i24_e32 v174 /*v430*/, v199 /*v455*/, v89 /*v345*/
	v_mul_i32_i24_e32 v175 /*v431*/, v200 /*v456*/, v92 /*v348*/
	v_bfe_i32 v202 /*v458*/, v177 /*v433*/, 0, 8
	v_bfe_i32 v203 /*v459*/, v177 /*v433*/, 8, 8
	v_add3_u32 v168 /*v424*/, v168 /*v424*/, v230 /*v486*/, v231 /*v487*/
	v_mul_i32_i24_e32 v217 /*v473*/, v201 /*v457*/, v86 /*v342*/
	v_mul_i32_i24_e32 v218 /*v474*/, v176 /*v432*/, v94 /*v350*/
	v_bfe_i32 v204 /*v460*/, v177 /*v433*/, 16, 8
	v_ashrrev_i32_e32 v177 /*v433*/, 24, v177 /*v433*/
	v_add3_u32 v168 /*v424*/, v168 /*v424*/, v232 /*v488*/, v233 /*v489*/
	v_mul_i32_i24_e32 v219 /*v475*/, v202 /*v458*/, v96 /*v352*/
	v_mul_i32_i24_e32 v220 /*v476*/, v203 /*v459*/, v97 /*v353*/
	s_wait_dscnt 0x0
	v_bfe_i32 v205 /*v461*/, v178 /*v434*/, 0, 8
	v_bfe_i32 v206 /*v462*/, v178 /*v434*/, 8, 8
	v_add3_u32 v168 /*v424*/, v168 /*v424*/, v234 /*v490*/, v235 /*v491*/
	v_bfe_i32 v207 /*v463*/, v178 /*v434*/, 16, 8
	v_ashrrev_i32_e32 v178 /*v434*/, 24, v178 /*v434*/
	v_mul_i32_i24_e32 v221 /*v477*/, v204 /*v460*/, v93 /*v349*/
	v_mul_i32_i24_e32 v222 /*v478*/, v177 /*v433*/, v100 /*v356*/
	v_add3_u32 v172 /*v428*/, v168 /*v424*/, v236 /*v492*/, v237 /*v493*/
	v_mul_i32_i24_e32 v168 /*v424*/, v191 /*v447*/, v73 /*v329*/
	v_mul_i32_i24_e32 v223 /*v479*/, v205 /*v461*/, v110 /*v366*/
	;; [unrolled: 1-line block ×3, first 2 shown]
	s_set_vgpr_msb 64                       ;  msbs: dst=1 src0=0 src1=0 src2=0
	ds_load_b64 v[166:167] /*v[422:423]*/, v8 offset:27200
	s_set_vgpr_msb 0x55                     ;  msbs: dst=1 src0=1 src1=1 src2=1
	v_bfe_i32 v208 /*v464*/, v179 /*v435*/, 0, 8
	v_mad_i32_i24 v168 /*v424*/, v192 /*v448*/, v72 /*v328*/, v168 /*v424*/
	v_bfe_i32 v209 /*v465*/, v179 /*v435*/, 8, 8
	v_mul_i32_i24_e32 v225 /*v481*/, v207 /*v463*/, v98 /*v354*/
	v_mul_i32_i24_e32 v226 /*v482*/, v178 /*v434*/, v115 /*v371*/
	v_bfe_i32 v210 /*v466*/, v179 /*v435*/, 16, 8
	v_add3_u32 v168 /*v424*/, v168 /*v424*/, v169 /*v425*/, v170 /*v426*/
	v_mul_i32_i24_e32 v169 /*v425*/, v195 /*v451*/, v82 /*v338*/
	v_mul_i32_i24_e32 v170 /*v426*/, v196 /*v452*/, v85 /*v341*/
	v_ashrrev_i32_e32 v179 /*v435*/, 24, v179 /*v435*/
	v_mul_i32_i24_e32 v227 /*v483*/, v117 /*v373*/, v208 /*v464*/
	v_mul_i32_i24_e32 v228 /*v484*/, v118 /*v374*/, v209 /*v465*/
	v_bfe_i32 v211 /*v467*/, v180 /*v436*/, 0, 8
	v_add3_u32 v168 /*v424*/, v168 /*v424*/, v169 /*v425*/, v170 /*v426*/
	v_bfe_i32 v212 /*v468*/, v180 /*v436*/, 8, 8
	v_bfe_i32 v213 /*v469*/, v180 /*v436*/, 16, 8
	v_ashrrev_i32_e32 v180 /*v436*/, 24, v180 /*v436*/
	v_mul_i32_i24_e32 v229 /*v485*/, v124 /*v380*/, v210 /*v466*/
	v_add3_u32 v168 /*v424*/, v168 /*v424*/, v171 /*v427*/, v173 /*v429*/
	v_mul_i32_i24_e32 v230 /*v486*/, v121 /*v377*/, v179 /*v435*/
	v_mul_i32_i24_e32 v231 /*v487*/, v125 /*v381*/, v211 /*v467*/
	;; [unrolled: 1-line block ×3, first 2 shown]
	s_wait_dscnt 0x0
	s_set_vgpr_msb 4                        ;  msbs: dst=0 src0=0 src1=1 src2=0
	v_lshrrev_b32_e32 v8, 16, v166 /*v422*/
	s_set_vgpr_msb 0x55                     ;  msbs: dst=1 src0=1 src1=1 src2=1
	v_add3_u32 v168 /*v424*/, v168 /*v424*/, v174 /*v430*/, v175 /*v431*/
	v_bfe_i32 v214 /*v470*/, v181 /*v437*/, 0, 8
	v_bfe_i32 v215 /*v471*/, v181 /*v437*/, 8, 8
	v_mul_i32_i24_e32 v233 /*v489*/, v130 /*v386*/, v213 /*v469*/
	v_mul_i32_i24_e32 v234 /*v490*/, v128 /*v384*/, v180 /*v436*/
	v_add3_u32 v168 /*v424*/, v168 /*v424*/, v217 /*v473*/, v218 /*v474*/
	s_set_vgpr_msb 64                       ;  msbs: dst=1 src0=0 src1=0 src2=0
	v_cvt_f32_f16_e64 v171 /*v427*/, v8
	v_cvt_f32_f16_e64 v170 /*v426*/, v112
	s_set_vgpr_msb 1                        ;  msbs: dst=0 src0=1 src1=0 src2=0
	v_mul_lo_u32 v8, v157 /*v413*/, v101
	v_mul_lo_u32 v112, v172 /*v428*/, v101
	s_set_vgpr_msb 0x55                     ;  msbs: dst=1 src0=1 src1=1 src2=1
	v_add3_u32 v168 /*v424*/, v168 /*v424*/, v219 /*v475*/, v220 /*v476*/
	v_bfe_i32 v216 /*v472*/, v181 /*v437*/, 16, 8
	v_dual_ashrrev_i32 v181 /*v437*/, 24, v181 /*v437*/ :: v_dual_lshrrev_b32 v165 /*v421*/, 16, v167 /*v423*/
	v_mul_i32_i24_e32 v235 /*v491*/, v214 /*v470*/, v131 /*v387*/
	s_delay_alu instid0(VALU_DEP_4)
	v_add3_u32 v168 /*v424*/, v168 /*v424*/, v221 /*v477*/, v222 /*v478*/
	v_mul_i32_i24_e32 v236 /*v492*/, v215 /*v471*/, v132 /*v388*/
	v_mul_i32_i24_e32 v237 /*v493*/, v216 /*v472*/, v129 /*v385*/
	v_mul_i32_i24_e32 v238 /*v494*/, v181 /*v437*/, v133 /*v389*/
	s_set_vgpr_msb 64                       ;  msbs: dst=1 src0=0 src1=0 src2=0
	v_cvt_f32_i32_e32 v172 /*v428*/, v8
	s_set_vgpr_msb 0x55                     ;  msbs: dst=1 src0=1 src1=1 src2=1
	v_add3_u32 v168 /*v424*/, v168 /*v424*/, v223 /*v479*/, v224 /*v480*/
	s_set_vgpr_msb 64                       ;  msbs: dst=1 src0=0 src1=0 src2=0
	v_cvt_f32_i32_e32 v173 /*v429*/, v112
	s_set_vgpr_msb 21                       ;  msbs: dst=0 src0=1 src1=1 src2=1
	v_add3_u32 v112, v164 /*v420*/, v162 /*v418*/, v163 /*v419*/
	s_set_vgpr_msb 0x41                     ;  msbs: dst=1 src0=1 src1=0 src2=0
	v_cvt_f32_f16_e64 v169 /*v425*/, v166 /*v422*/
	s_set_vgpr_msb 64                       ;  msbs: dst=1 src0=0 src1=0 src2=0
	v_cvt_f32_f16_e64 v166 /*v422*/, v111
	s_set_vgpr_msb 0x55                     ;  msbs: dst=1 src0=1 src1=1 src2=1
	v_add3_u32 v168 /*v424*/, v168 /*v424*/, v225 /*v481*/, v226 /*v482*/
	s_set_vgpr_msb 1                        ;  msbs: dst=0 src0=1 src1=0 src2=0
	v_cvt_f32_f16_e64 v111, v165 /*v421*/
	s_set_vgpr_msb 0                        ;  msbs: dst=0 src0=0 src1=0 src2=0
	v_mul_lo_u32 v112, v112, v99
	s_set_vgpr_msb 0x44                     ;  msbs: dst=1 src0=0 src1=1 src2=0
	v_pk_fma_f32 v[174:175] /*v[430:431]*/, v[98:99], v[170:171] /*v[426:427]*/, 0 op_sel_hi:[0,1,0]
	s_set_vgpr_msb 0x55                     ;  msbs: dst=1 src0=1 src1=1 src2=1
	v_cvt_f32_f16_e64 v167 /*v423*/, v167 /*v423*/
	v_add3_u32 v168 /*v424*/, v168 /*v424*/, v227 /*v483*/, v228 /*v484*/
	s_set_vgpr_msb 64                       ;  msbs: dst=1 src0=0 src1=0 src2=0
	v_mul_i32_i24_e32 v157 /*v413*/, v20, v223
	v_mul_i32_i24_e32 v218 /*v474*/, v38, v233
	;; [unrolled: 1-line block ×4, first 2 shown]
	s_set_vgpr_msb 0x55                     ;  msbs: dst=1 src0=1 src1=1 src2=1
	v_add3_u32 v168 /*v424*/, v168 /*v424*/, v229 /*v485*/, v230 /*v486*/
	s_set_vgpr_msb 64                       ;  msbs: dst=1 src0=0 src1=0 src2=0
	v_mul_i32_i24_e32 v221 /*v477*/, v44, v236
	v_mul_i32_i24_e32 v222 /*v478*/, v238, v46
	v_cvt_f32_i32_e32 v162 /*v418*/, v112
	s_set_vgpr_msb 0                        ;  msbs: dst=0 src0=0 src1=0 src2=0
	v_mul_i32_i24_e32 v112, v14, v219
	s_set_vgpr_msb 0x55                     ;  msbs: dst=1 src0=1 src1=1 src2=1
	v_add3_u32 v168 /*v424*/, v168 /*v424*/, v231 /*v487*/, v232 /*v488*/
	s_set_vgpr_msb 64                       ;  msbs: dst=1 src0=0 src1=0 src2=0
	v_mul_i32_i24_e32 v223 /*v479*/, v237, v84
	v_mul_i32_i24_e32 v224 /*v480*/, v240, v126
	s_set_vgpr_msb 0x44                     ;  msbs: dst=1 src0=0 src1=1 src2=0
	v_mul_i32_i24_e32 v225 /*v481*/, v239, v182 /*v438*/
	v_mul_i32_i24_e32 v226 /*v482*/, v242, v183 /*v439*/
	s_set_vgpr_msb 0x55                     ;  msbs: dst=1 src0=1 src1=1 src2=1
	v_add3_u32 v168 /*v424*/, v168 /*v424*/, v233 /*v489*/, v234 /*v490*/
	s_set_vgpr_msb 0x44                     ;  msbs: dst=1 src0=0 src1=1 src2=0
	v_mul_i32_i24_e32 v227 /*v483*/, v241, v184 /*v440*/
	v_mul_i32_i24_e32 v228 /*v484*/, v245, v185 /*v441*/
	;; [unrolled: 1-line block ×4, first 2 shown]
	s_set_vgpr_msb 0x55                     ;  msbs: dst=1 src0=1 src1=1 src2=1
	v_add3_u32 v217 /*v473*/, v168 /*v424*/, v235 /*v491*/, v236 /*v492*/
	s_set_vgpr_msb 64                       ;  msbs: dst=1 src0=0 src1=0 src2=0
	v_cvt_f32_f16_e64 v168 /*v424*/, v110
	s_set_vgpr_msb 0                        ;  msbs: dst=0 src0=0 src1=0 src2=0
	v_cvt_f32_f16_e32 v110, v114
	v_mul_i32_i24_e32 v114, v15, v220
	s_set_vgpr_msb 0x44                     ;  msbs: dst=1 src0=0 src1=1 src2=0
	v_mul_i32_i24_e32 v231 /*v487*/, v248, v188 /*v444*/
	s_set_vgpr_msb 21                       ;  msbs: dst=0 src0=1 src1=1 src2=1
	v_add3_u32 v8, v217 /*v473*/, v237 /*v493*/, v238 /*v494*/
	s_set_vgpr_msb 0x45                     ;  msbs: dst=1 src0=1 src1=1 src2=0
	v_pk_fma_f32 v[172:173] /*v[428:429]*/, v[168:169] /*v[424:425]*/, v[172:173] /*v[428:429]*/, 0 op_sel_hi:[1,1,0]
	s_set_vgpr_msb 0x50                     ;  msbs: dst=1 src0=0 src1=0 src2=1
	v_pk_fma_f32 v[164:165] /*v[420:421]*/, v[100:101], v[110:111], v[174:175] /*v[430:431]*/ op_sel_hi:[0,1,1]
	v_mul_i32_i24_e32 v174 /*v430*/, v29, v230
	v_mul_i32_i24_e32 v175 /*v431*/, v30, v231
	s_set_vgpr_msb 0                        ;  msbs: dst=0 src0=0 src1=0 src2=0
	v_mul_lo_u32 v8, v8, v99
	s_set_vgpr_msb 64                       ;  msbs: dst=1 src0=0 src1=0 src2=0
	v_mul_i32_i24_e32 v217 /*v473*/, v31, v232
	s_set_vgpr_msb 0x41                     ;  msbs: dst=1 src0=1 src1=0 src2=0
	v_pk_mul_f32 v[164:165] /*v[420:421]*/, v[164:165] /*v[420:421]*/, v[86:87]
	s_set_vgpr_msb 0x44                     ;  msbs: dst=1 src0=0 src1=1 src2=0
	v_mul_i32_i24_e32 v232 /*v488*/, v254, v189 /*v445*/
	v_mul_i32_i24_e32 v233 /*v489*/, v252, v190 /*v446*/
	s_set_vgpr_msb 0x45                     ;  msbs: dst=1 src0=1 src1=1 src2=0
	v_mul_i32_i24_e32 v234 /*v490*/, v181 /*v437*/, v24 /*v280*/
	s_set_vgpr_msb 64                       ;  msbs: dst=1 src0=0 src1=0 src2=0
	v_cvt_f32_i32_e32 v163 /*v419*/, v8
	s_set_vgpr_msb 0                        ;  msbs: dst=0 src0=0 src1=0 src2=0
	v_mul_i32_i24_e32 v8, v12, v218
	s_set_vgpr_msb 0x55                     ;  msbs: dst=1 src0=1 src1=1 src2=1
	s_delay_alu instid0(VALU_DEP_2) | instskip(SKIP_1) | instid1(VALU_DEP_2)
	v_pk_fma_f32 v[162:163] /*v[418:419]*/, v[166:167] /*v[422:423]*/, v[162:163] /*v[418:419]*/, v[172:173] /*v[428:429]*/
	s_set_vgpr_msb 0                        ;  msbs: dst=0 src0=0 src1=0 src2=0
	v_mad_i32_i24 v8, v13, v217, v8
	s_set_vgpr_msb 64                       ;  msbs: dst=1 src0=0 src1=0 src2=0
	v_mul_i32_i24_e32 v172 /*v428*/, v27, v228
	v_mul_i32_i24_e32 v173 /*v429*/, v28, v229
	s_set_vgpr_msb 0x51                     ;  msbs: dst=1 src0=1 src1=0 src2=1
	v_pk_fma_f32 v[162:163] /*v[418:419]*/, v[162:163] /*v[418:419]*/, v[0:1], v[164:165] /*v[420:421]*/ neg_lo:[0,0,1] neg_hi:[0,0,1]
	s_set_vgpr_msb 0                        ;  msbs: dst=0 src0=0 src1=0 src2=0
	v_add3_u32 v8, v8, v112, v114
	v_mul_i32_i24_e32 v112, v16, v221
	v_mul_i32_i24_e32 v114, v18, v222
	s_set_vgpr_msb 64                       ;  msbs: dst=1 src0=0 src1=0 src2=0
	v_mul_i32_i24_e32 v164 /*v420*/, v24, v226
	s_set_vgpr_msb 4                        ;  msbs: dst=0 src0=0 src1=1 src2=0
	v_pk_add_f32 v[52:53], v[52:53], v[162:163] /*v[418:419]*/
	s_set_vgpr_msb 64                       ;  msbs: dst=1 src0=0 src1=0 src2=0
	v_mul_i32_i24_e32 v162 /*v418*/, v21, v224
	v_mul_i32_i24_e32 v163 /*v419*/, v22, v225
	s_set_vgpr_msb 0                        ;  msbs: dst=0 src0=0 src1=0 src2=0
	v_add3_u32 v8, v8, v112, v114
	s_set_vgpr_msb 1                        ;  msbs: dst=0 src0=1 src1=0 src2=0
	v_mul_i32_i24_e32 v112, v191 /*v447*/, v247
	v_mul_i32_i24_e32 v114, v193 /*v449*/, v244
	s_set_vgpr_msb 64                       ;  msbs: dst=1 src0=0 src1=0 src2=0
	v_mul_i32_i24_e32 v165 /*v421*/, v26, v227
	s_set_vgpr_msb 20                       ;  msbs: dst=0 src0=0 src1=1 src2=1
	v_add3_u32 v8, v8, v157 /*v413*/, v162 /*v418*/
	s_set_vgpr_msb 0x41                     ;  msbs: dst=1 src0=1 src1=0 src2=0
	v_mul_i32_i24_e32 v157 /*v413*/, v194 /*v450*/, v250
	s_set_vgpr_msb 1                        ;  msbs: dst=0 src0=1 src1=0 src2=0
	v_mad_i32_i24 v112, v192 /*v448*/, v246, v112
	s_set_vgpr_msb 0x41                     ;  msbs: dst=1 src0=1 src1=0 src2=0
	v_mul_i32_i24_e32 v162 /*v418*/, v197 /*v453*/, v249
	s_set_vgpr_msb 20                       ;  msbs: dst=0 src0=0 src1=1 src2=1
	v_add3_u32 v8, v8, v163 /*v419*/, v164 /*v420*/
	s_set_vgpr_msb 0x45                     ;  msbs: dst=1 src0=1 src1=1 src2=0
	v_mul_i32_i24_e32 v163 /*v419*/, v198 /*v454*/, v1 /*v257*/
	s_set_vgpr_msb 16                       ;  msbs: dst=0 src0=0 src1=0 src2=1
	v_add3_u32 v112, v112, v114, v157 /*v413*/
	s_set_vgpr_msb 1                        ;  msbs: dst=0 src0=1 src1=0 src2=0
	v_mul_i32_i24_e32 v114, v195 /*v451*/, v253
	s_set_vgpr_msb 0x41                     ;  msbs: dst=1 src0=1 src1=0 src2=0
	v_mul_i32_i24_e32 v157 /*v413*/, v196 /*v452*/, v255
	s_set_vgpr_msb 20                       ;  msbs: dst=0 src0=0 src1=1 src2=1
	v_add3_u32 v8, v8, v165 /*v421*/, v172 /*v428*/
	s_set_vgpr_msb 0x45                     ;  msbs: dst=1 src0=1 src1=1 src2=0
	v_mul_i32_i24_e32 v164 /*v420*/, v199 /*v455*/, v2 /*v258*/
	v_mul_i32_i24_e32 v165 /*v421*/, v200 /*v456*/, v3 /*v259*/
	;; [unrolled: 1-line block ×3, first 2 shown]
	s_set_vgpr_msb 16                       ;  msbs: dst=0 src0=0 src1=0 src2=1
	v_add3_u32 v112, v112, v114, v157 /*v413*/
	s_set_vgpr_msb 20                       ;  msbs: dst=0 src0=0 src1=1 src2=1
	v_add3_u32 v8, v8, v173 /*v429*/, v174 /*v430*/
	s_set_vgpr_msb 0x45                     ;  msbs: dst=1 src0=1 src1=1 src2=0
	v_mul_i32_i24_e32 v173 /*v429*/, v176 /*v432*/, v5 /*v261*/
	v_mul_i32_i24_e32 v174 /*v430*/, v202 /*v458*/, v6 /*v262*/
	s_set_vgpr_msb 1                        ;  msbs: dst=0 src0=1 src1=0 src2=0
	v_mul_lo_u32 v114, v153 /*v409*/, v216
	s_set_vgpr_msb 20                       ;  msbs: dst=0 src0=0 src1=1 src2=1
	v_add3_u32 v112, v112, v162 /*v418*/, v163 /*v419*/
	v_add3_u32 v8, v8, v175 /*v431*/, v217 /*v473*/
	s_set_vgpr_msb 0x45                     ;  msbs: dst=1 src0=1 src1=1 src2=0
	v_mul_i32_i24_e32 v175 /*v431*/, v203 /*v459*/, v7 /*v263*/
	v_mul_i32_i24_e32 v217 /*v473*/, v204 /*v460*/, v4 /*v260*/
	s_set_vgpr_msb 64                       ;  msbs: dst=1 src0=0 src1=0 src2=0
	v_mul_i32_i24_e32 v153 /*v409*/, v20, v158
	s_set_vgpr_msb 20                       ;  msbs: dst=0 src0=0 src1=1 src2=1
	v_add3_u32 v112, v112, v164 /*v420*/, v165 /*v421*/
	v_add3_u32 v8, v8, v218 /*v474*/, v219 /*v475*/
	s_set_vgpr_msb 0x45                     ;  msbs: dst=1 src0=1 src1=1 src2=0
	v_mul_i32_i24_e32 v218 /*v474*/, v177 /*v433*/, v9 /*v265*/
	v_mul_i32_i24_e32 v219 /*v475*/, v205 /*v461*/, v10 /*v266*/
	s_set_vgpr_msb 0x44                     ;  msbs: dst=1 src0=0 src1=1 src2=0
	v_pk_fma_f32 v[164:165] /*v[420:421]*/, v[102:103], v[170:171] /*v[426:427]*/, 0 op_sel_hi:[0,1,0]
	s_set_vgpr_msb 20                       ;  msbs: dst=0 src0=0 src1=1 src2=1
	v_add3_u32 v112, v112, v172 /*v428*/, v173 /*v429*/
	v_add3_u32 v8, v8, v220 /*v476*/, v221 /*v477*/
	s_set_vgpr_msb 0x45                     ;  msbs: dst=1 src0=1 src1=1 src2=0
	v_mul_i32_i24_e32 v220 /*v476*/, v206 /*v462*/, v11 /*v267*/
	v_mul_i32_i24_e32 v221 /*v477*/, v207 /*v463*/, v8 /*v264*/
	s_set_vgpr_msb 64                       ;  msbs: dst=1 src0=0 src1=0 src2=0
	v_cvt_f32_i32_e32 v162 /*v418*/, v114
	s_set_vgpr_msb 20                       ;  msbs: dst=0 src0=0 src1=1 src2=1
	v_add3_u32 v112, v112, v174 /*v430*/, v175 /*v431*/
	v_add3_u32 v8, v8, v222 /*v478*/, v223 /*v479*/
	s_set_vgpr_msb 0x45                     ;  msbs: dst=1 src0=1 src1=1 src2=0
	v_mul_i32_i24_e32 v222 /*v478*/, v178 /*v434*/, v12 /*v268*/
	v_mul_i32_i24_e32 v223 /*v479*/, v13 /*v269*/, v208 /*v464*/
	s_set_vgpr_msb 0                        ;  msbs: dst=0 src0=0 src1=0 src2=0
	v_mul_i32_i24_e32 v114, v15, v155
	s_set_vgpr_msb 20                       ;  msbs: dst=0 src0=0 src1=1 src2=1
	v_add3_u32 v112, v112, v217 /*v473*/, v218 /*v474*/
	v_add3_u32 v8, v8, v224 /*v480*/, v225 /*v481*/
	s_set_vgpr_msb 0x45                     ;  msbs: dst=1 src0=1 src1=1 src2=0
	v_mul_i32_i24_e32 v224 /*v480*/, v14 /*v270*/, v209 /*v465*/
	v_mul_i32_i24_e32 v225 /*v481*/, v16 /*v272*/, v210 /*v466*/
	s_set_vgpr_msb 64                       ;  msbs: dst=1 src0=0 src1=0 src2=0
	v_mul_i32_i24_e32 v157 /*v413*/, v21, v159
	s_set_vgpr_msb 20                       ;  msbs: dst=0 src0=0 src1=1 src2=1
	v_add3_u32 v112, v112, v219 /*v475*/, v220 /*v476*/
	v_add3_u32 v8, v8, v226 /*v482*/, v227 /*v483*/
	s_set_vgpr_msb 0x45                     ;  msbs: dst=1 src0=1 src1=1 src2=0
	v_mul_i32_i24_e32 v226 /*v482*/, v15 /*v271*/, v179 /*v435*/
	v_mul_i32_i24_e32 v227 /*v483*/, v17 /*v273*/, v211 /*v467*/
	s_set_vgpr_msb 64                       ;  msbs: dst=1 src0=0 src1=0 src2=0
	v_mul_i32_i24_e32 v172 /*v428*/, v31, v167
	;; [unrolled: 8-line block ×5, first 2 shown]
	s_set_vgpr_msb 20                       ;  msbs: dst=0 src0=0 src1=1 src2=1
	v_add3_u32 v112, v112, v227 /*v483*/, v228 /*v484*/
	s_set_vgpr_msb 0                        ;  msbs: dst=0 src0=0 src1=0 src2=0
	v_mul_lo_u32 v8, v8, v216
	s_set_vgpr_msb 64                       ;  msbs: dst=1 src0=0 src1=0 src2=0
	v_mul_i32_i24_e32 v217 /*v473*/, v44, v171
	v_mul_i32_i24_e32 v218 /*v474*/, v173, v46
	;; [unrolled: 1-line block ×3, first 2 shown]
	s_set_vgpr_msb 20                       ;  msbs: dst=0 src0=0 src1=1 src2=1
	v_add3_u32 v112, v112, v229 /*v485*/, v230 /*v486*/
	s_set_vgpr_msb 64                       ;  msbs: dst=1 src0=0 src1=0 src2=0
	v_mul_i32_i24_e32 v220 /*v476*/, v175, v126
	s_set_vgpr_msb 0x44                     ;  msbs: dst=1 src0=0 src1=1 src2=0
	v_mul_i32_i24_e32 v221 /*v477*/, v174, v182 /*v438*/
	v_mul_i32_i24_e32 v222 /*v478*/, v177, v183 /*v439*/
	;; [unrolled: 1-line block ×3, first 2 shown]
	s_set_vgpr_msb 20                       ;  msbs: dst=0 src0=0 src1=1 src2=1
	v_add3_u32 v112, v112, v231 /*v487*/, v232 /*v488*/
	s_set_vgpr_msb 0x44                     ;  msbs: dst=1 src0=0 src1=1 src2=0
	v_mul_i32_i24_e32 v224 /*v480*/, v180, v185 /*v441*/
	v_cvt_f32_i32_e32 v163 /*v419*/, v8
	v_mul_i32_i24_e32 v225 /*v481*/, v178, v186 /*v442*/
	v_mul_i32_i24_e32 v226 /*v482*/, v186, v187 /*v443*/
	s_set_vgpr_msb 20                       ;  msbs: dst=0 src0=0 src1=1 src2=1
	v_add3_u32 v8, v112, v233 /*v489*/, v234 /*v490*/
	s_set_vgpr_msb 21                       ;  msbs: dst=0 src0=1 src1=1 src2=1
	v_add3_u32 v112, v161 /*v417*/, v159 /*v415*/, v160 /*v416*/
	s_set_vgpr_msb 0x45                     ;  msbs: dst=1 src0=1 src1=1 src2=0
	v_pk_fma_f32 v[162:163] /*v[418:419]*/, v[168:169] /*v[424:425]*/, v[162:163] /*v[418:419]*/, 0 op_sel_hi:[1,1,0]
	s_set_vgpr_msb 64                       ;  msbs: dst=1 src0=0 src1=0 src2=0
	v_mul_i32_i24_e32 v159 /*v415*/, v22, v160
	s_set_vgpr_msb 0x44                     ;  msbs: dst=1 src0=0 src1=1 src2=0
	v_mul_i32_i24_e32 v227 /*v483*/, v183, v188 /*v444*/
	s_set_vgpr_msb 0                        ;  msbs: dst=0 src0=0 src1=0 src2=0
	v_mul_lo_u32 v8, v8, v154
	v_mul_lo_u32 v112, v112, v154
	s_set_vgpr_msb 0x44                     ;  msbs: dst=1 src0=0 src1=1 src2=0
	v_mul_i32_i24_e32 v228 /*v484*/, v189, v189 /*v445*/
	v_mul_i32_i24_e32 v229 /*v485*/, v187, v190 /*v446*/
	s_set_vgpr_msb 0x41                     ;  msbs: dst=1 src0=1 src1=0 src2=0
	v_mul_i32_i24_e32 v230 /*v486*/, v181 /*v437*/, v215
	s_set_vgpr_msb 64                       ;  msbs: dst=1 src0=0 src1=0 src2=0
	v_cvt_f32_i32_e32 v161 /*v417*/, v8
	v_cvt_f32_i32_e32 v160 /*v416*/, v112
	s_set_vgpr_msb 0                        ;  msbs: dst=0 src0=0 src1=0 src2=0
	v_mul_i32_i24_e32 v8, v12, v152
	v_mul_i32_i24_e32 v112, v14, v153
	s_set_vgpr_msb 0x55                     ;  msbs: dst=1 src0=1 src1=1 src2=1
	v_pk_fma_f32 v[160:161] /*v[416:417]*/, v[166:167] /*v[422:423]*/, v[160:161] /*v[416:417]*/, v[162:163] /*v[418:419]*/
	s_set_vgpr_msb 0x50                     ;  msbs: dst=1 src0=0 src1=0 src2=1
	v_pk_fma_f32 v[162:163] /*v[418:419]*/, v[104:105], v[110:111], v[164:165] /*v[420:421]*/ op_sel_hi:[0,1,1]
	s_set_vgpr_msb 0                        ;  msbs: dst=0 src0=0 src1=0 src2=0
	v_mad_i32_i24 v8, v13, v151, v8
	s_set_vgpr_msb 64                       ;  msbs: dst=1 src0=0 src1=0 src2=0
	v_mul_i32_i24_e32 v164 /*v420*/, v29, v165
	v_mul_i32_i24_e32 v165 /*v421*/, v30, v166
	s_set_vgpr_msb 0x41                     ;  msbs: dst=1 src0=1 src1=0 src2=0
	v_pk_mul_f32 v[162:163] /*v[418:419]*/, v[162:163] /*v[418:419]*/, v[88:89]
	s_set_vgpr_msb 0                        ;  msbs: dst=0 src0=0 src1=0 src2=0
	v_add3_u32 v8, v8, v112, v114
	v_mul_i32_i24_e32 v112, v16, v156
	v_mul_i32_i24_e32 v114, v18, v157
	s_set_vgpr_msb 0x51                     ;  msbs: dst=1 src0=1 src1=0 src2=1
	v_pk_fma_f32 v[160:161] /*v[416:417]*/, v[160:161] /*v[416:417]*/, v[2:3], v[162:163] /*v[418:419]*/ neg_lo:[0,0,1] neg_hi:[0,0,1]
	s_set_vgpr_msb 64                       ;  msbs: dst=1 src0=0 src1=0 src2=0
	v_mul_i32_i24_e32 v162 /*v418*/, v27, v163
	v_mul_i32_i24_e32 v163 /*v419*/, v28, v164
	s_set_vgpr_msb 0                        ;  msbs: dst=0 src0=0 src1=0 src2=0
	v_add3_u32 v8, v8, v112, v114
	s_set_vgpr_msb 1                        ;  msbs: dst=0 src0=1 src1=0 src2=0
	v_mul_i32_i24_e32 v112, v191 /*v447*/, v182
	s_set_vgpr_msb 4                        ;  msbs: dst=0 src0=0 src1=1 src2=0
	v_pk_add_f32 v[58:59], v[58:59], v[160:161] /*v[416:417]*/
	s_set_vgpr_msb 64                       ;  msbs: dst=1 src0=0 src1=0 src2=0
	v_mul_i32_i24_e32 v160 /*v416*/, v24, v161
	s_set_vgpr_msb 1                        ;  msbs: dst=0 src0=1 src1=0 src2=0
	v_mul_i32_i24_e32 v114, v193 /*v449*/, v179
	s_set_vgpr_msb 20                       ;  msbs: dst=0 src0=0 src1=1 src2=1
	v_add3_u32 v8, v8, v153 /*v409*/, v157 /*v413*/
	s_set_vgpr_msb 0x41                     ;  msbs: dst=1 src0=1 src1=0 src2=0
	v_mul_i32_i24_e32 v153 /*v409*/, v194 /*v450*/, v185
	s_set_vgpr_msb 1                        ;  msbs: dst=0 src0=1 src1=0 src2=0
	v_mad_i32_i24 v112, v192 /*v448*/, v181, v112
	s_set_vgpr_msb 64                       ;  msbs: dst=1 src0=0 src1=0 src2=0
	v_mul_i32_i24_e32 v161 /*v417*/, v26, v162
	s_set_vgpr_msb 0x41                     ;  msbs: dst=1 src0=1 src1=0 src2=0
	v_mul_i32_i24_e32 v157 /*v413*/, v197 /*v453*/, v184
	s_set_vgpr_msb 20                       ;  msbs: dst=0 src0=0 src1=1 src2=1
	v_add3_u32 v8, v8, v159 /*v415*/, v160 /*v416*/
	s_set_vgpr_msb 0x41                     ;  msbs: dst=1 src0=1 src1=0 src2=0
	v_mul_i32_i24_e32 v159 /*v415*/, v198 /*v454*/, v192
	s_set_vgpr_msb 16                       ;  msbs: dst=0 src0=0 src1=0 src2=1
	v_add3_u32 v112, v112, v114, v153 /*v409*/
	s_set_vgpr_msb 1                        ;  msbs: dst=0 src0=1 src1=0 src2=0
	v_mul_i32_i24_e32 v114, v195 /*v451*/, v188
	s_set_vgpr_msb 0x41                     ;  msbs: dst=1 src0=1 src1=0 src2=0
	v_mul_i32_i24_e32 v153 /*v409*/, v196 /*v452*/, v190
	s_set_vgpr_msb 20                       ;  msbs: dst=0 src0=0 src1=1 src2=1
	v_add3_u32 v8, v8, v161 /*v417*/, v162 /*v418*/
	s_set_vgpr_msb 0x41                     ;  msbs: dst=1 src0=1 src1=0 src2=0
	v_mul_i32_i24_e32 v160 /*v416*/, v199 /*v455*/, v193
	v_mul_i32_i24_e32 v161 /*v417*/, v200 /*v456*/, v194
	;; [unrolled: 1-line block ×3, first 2 shown]
	s_set_vgpr_msb 16                       ;  msbs: dst=0 src0=0 src1=0 src2=1
	v_add3_u32 v112, v112, v114, v153 /*v409*/
	s_set_vgpr_msb 20                       ;  msbs: dst=0 src0=0 src1=1 src2=1
	v_add3_u32 v8, v8, v163 /*v419*/, v164 /*v420*/
	s_set_vgpr_msb 0x41                     ;  msbs: dst=1 src0=1 src1=0 src2=0
	v_mul_i32_i24_e32 v163 /*v419*/, v176 /*v432*/, v196
	v_mul_i32_i24_e32 v164 /*v420*/, v202 /*v458*/, v197
	s_set_vgpr_msb 0                        ;  msbs: dst=0 src0=0 src1=0 src2=0
	v_mul_lo_u32 v114, v115, v150
	s_set_vgpr_msb 20                       ;  msbs: dst=0 src0=0 src1=1 src2=1
	v_add3_u32 v112, v112, v157 /*v413*/, v159 /*v415*/
	v_add3_u32 v8, v8, v165 /*v421*/, v172 /*v428*/
	s_set_vgpr_msb 0x41                     ;  msbs: dst=1 src0=1 src1=0 src2=0
	v_mul_i32_i24_e32 v165 /*v421*/, v203 /*v459*/, v198
	v_mul_i32_i24_e32 v172 /*v428*/, v204 /*v460*/, v195
	s_set_vgpr_msb 0x45                     ;  msbs: dst=1 src0=1 src1=1 src2=0
	v_mul_i32_i24_e32 v153 /*v409*/, v127 /*v383*/, v189 /*v445*/
	s_set_vgpr_msb 20                       ;  msbs: dst=0 src0=0 src1=1 src2=1
	v_add3_u32 v112, v112, v160 /*v416*/, v161 /*v417*/
	v_add3_u32 v8, v8, v173 /*v429*/, v174 /*v430*/
	s_set_vgpr_msb 0x41                     ;  msbs: dst=1 src0=1 src1=0 src2=0
	v_mul_i32_i24_e32 v173 /*v429*/, v177 /*v433*/, v200
	v_mul_i32_i24_e32 v174 /*v430*/, v205 /*v461*/, v201
	s_set_vgpr_msb 0x44                     ;  msbs: dst=1 src0=0 src1=1 src2=0
	v_pk_fma_f32 v[160:161] /*v[416:417]*/, v[94:95], v[170:171] /*v[426:427]*/, 0 op_sel_hi:[0,1,0]
	s_set_vgpr_msb 20                       ;  msbs: dst=0 src0=0 src1=1 src2=1
	v_add3_u32 v112, v112, v162 /*v418*/, v163 /*v419*/
	v_add3_u32 v8, v8, v175 /*v431*/, v217 /*v473*/
	s_set_vgpr_msb 0x41                     ;  msbs: dst=1 src0=1 src1=0 src2=0
	v_mul_i32_i24_e32 v175 /*v431*/, v206 /*v462*/, v202
	v_mul_i32_i24_e32 v217 /*v473*/, v207 /*v463*/, v199
	s_set_vgpr_msb 20                       ;  msbs: dst=0 src0=0 src1=1 src2=1
	v_cvt_f32_i32_e32 v114, v114
	v_add3_u32 v112, v112, v164 /*v420*/, v165 /*v421*/
	v_add3_u32 v8, v8, v218 /*v474*/, v219 /*v475*/
	s_set_vgpr_msb 0x41                     ;  msbs: dst=1 src0=1 src1=0 src2=0
	v_mul_i32_i24_e32 v218 /*v474*/, v178 /*v434*/, v203
	s_set_vgpr_msb 0x44                     ;  msbs: dst=1 src0=0 src1=1 src2=0
	v_mul_i32_i24_e32 v219 /*v475*/, v204, v208 /*v464*/
	s_set_vgpr_msb 20                       ;  msbs: dst=0 src0=0 src1=1 src2=1
	v_add3_u32 v112, v112, v172 /*v428*/, v173 /*v429*/
	v_add3_u32 v8, v8, v220 /*v476*/, v221 /*v477*/
	s_set_vgpr_msb 0x44                     ;  msbs: dst=1 src0=0 src1=1 src2=0
	v_mul_i32_i24_e32 v220 /*v476*/, v205, v209 /*v465*/
	v_mul_i32_i24_e32 v221 /*v477*/, v207, v210 /*v466*/
	s_set_vgpr_msb 20                       ;  msbs: dst=0 src0=0 src1=1 src2=1
	v_add3_u32 v112, v112, v174 /*v430*/, v175 /*v431*/
	v_add3_u32 v8, v8, v222 /*v478*/, v223 /*v479*/
	s_set_vgpr_msb 0x44                     ;  msbs: dst=1 src0=0 src1=1 src2=0
	v_mul_i32_i24_e32 v222 /*v478*/, v206, v179 /*v435*/
	;; [unrolled: 6-line block ×4, first 2 shown]
	s_set_vgpr_msb 0x41                     ;  msbs: dst=1 src0=1 src1=0 src2=0
	v_mul_i32_i24_e32 v227 /*v483*/, v214 /*v470*/, v213
	s_set_vgpr_msb 20                       ;  msbs: dst=0 src0=0 src1=1 src2=1
	v_add3_u32 v112, v112, v221 /*v477*/, v222 /*v478*/
	v_add3_u32 v8, v8, v228 /*v484*/, v229 /*v485*/
	s_set_vgpr_msb 0x41                     ;  msbs: dst=1 src0=1 src1=0 src2=0
	v_mul_i32_i24_e32 v228 /*v484*/, v215 /*v471*/, v214
	v_mul_i32_i24_e32 v229 /*v485*/, v216 /*v472*/, v211
	s_set_vgpr_msb 20                       ;  msbs: dst=0 src0=0 src1=1 src2=1
	v_add3_u32 v112, v112, v223 /*v479*/, v224 /*v480*/
	s_set_vgpr_msb 0                        ;  msbs: dst=0 src0=0 src1=0 src2=0
	v_mul_lo_u32 v8, v8, v150
	s_set_vgpr_msb 20                       ;  msbs: dst=0 src0=0 src1=1 src2=1
	s_delay_alu instid0(VALU_DEP_2) | instskip(NEXT) | instid1(VALU_DEP_1)
	v_add3_u32 v112, v112, v225 /*v481*/, v226 /*v482*/
	v_add3_u32 v112, v112, v227 /*v483*/, v228 /*v484*/
	s_delay_alu instid0(VALU_DEP_3) | instskip(NEXT) | instid1(VALU_DEP_2)
	v_cvt_f32_i32_e32 v115, v8
	v_add3_u32 v8, v112, v229 /*v485*/, v230 /*v486*/
	s_set_vgpr_msb 21                       ;  msbs: dst=0 src0=1 src1=1 src2=1
	v_add3_u32 v112, v158 /*v414*/, v155 /*v411*/, v156 /*v412*/
	s_set_vgpr_msb 1                        ;  msbs: dst=0 src0=1 src1=0 src2=0
	v_pk_fma_f32 v[114:115], v[168:169] /*v[424:425]*/, v[114:115], 0 op_sel_hi:[1,1,0]
	s_set_vgpr_msb 0x45                     ;  msbs: dst=1 src0=1 src1=1 src2=0
	v_mul_i32_i24_e32 v155 /*v411*/, v123 /*v379*/, v190 /*v446*/
	s_set_vgpr_msb 0                        ;  msbs: dst=0 src0=0 src1=0 src2=0
	v_mul_lo_u32 v8, v8, v97
	v_mul_lo_u32 v112, v112, v97
	s_set_vgpr_msb 64                       ;  msbs: dst=1 src0=0 src1=0 src2=0
	s_delay_alu instid0(VALU_DEP_2)
	v_cvt_f32_i32_e32 v157 /*v413*/, v8
	s_set_vgpr_msb 4                        ;  msbs: dst=0 src0=0 src1=1 src2=0
	v_mul_i32_i24_e32 v8, v12, v42 /*v298*/
	v_mul_i32_i24_e32 v12, v14, v45 /*v301*/
	;; [unrolled: 1-line block ×5, first 2 shown]
	v_mad_i32_i24 v8, v13, v40 /*v296*/, v8
	v_mul_i32_i24_e32 v13, v18, v48 /*v304*/
	v_mul_i32_i24_e32 v18, v24, v57 /*v313*/
	;; [unrolled: 1-line block ×4, first 2 shown]
	s_set_vgpr_msb 0                        ;  msbs: dst=0 src0=0 src1=0 src2=0
	v_add3_u32 v8, v8, v12, v14
	s_set_vgpr_msb 4                        ;  msbs: dst=0 src0=0 src1=1 src2=0
	v_mul_i32_i24_e32 v12, v16, v47 /*v303*/
	v_mul_i32_i24_e32 v14, v20, v50 /*v306*/
	;; [unrolled: 1-line block ×5, first 2 shown]
	s_set_vgpr_msb 0                        ;  msbs: dst=0 src0=0 src1=0 src2=0
	v_add3_u32 v8, v8, v12, v13
	s_set_vgpr_msb 4                        ;  msbs: dst=0 src0=0 src1=1 src2=0
	v_mul_i32_i24_e32 v12, v118, v191 /*v447*/
	s_set_vgpr_msb 5                        ;  msbs: dst=0 src0=1 src1=1 src2=0
	v_mul_i32_i24_e32 v13, v135 /*v391*/, v193 /*v449*/
	s_set_vgpr_msb 4                        ;  msbs: dst=0 src0=0 src1=1 src2=0
	v_mul_i32_i24_e32 v26, v30, v66 /*v322*/
	v_mul_i32_i24_e32 v28, v38, v76 /*v332*/
	s_set_vgpr_msb 0                        ;  msbs: dst=0 src0=0 src1=0 src2=0
	v_add3_u32 v8, v8, v14, v15
	s_set_vgpr_msb 5                        ;  msbs: dst=0 src0=1 src1=1 src2=0
	v_mul_i32_i24_e32 v14, v111 /*v367*/, v194 /*v450*/
	v_mad_i32_i24 v12, v134 /*v390*/, v192 /*v448*/, v12
	v_mul_i32_i24_e32 v15, v136 /*v392*/, v197 /*v453*/
	s_set_vgpr_msb 4                        ;  msbs: dst=0 src0=0 src1=1 src2=0
	v_mul_i32_i24_e32 v29, v40, v78 /*v334*/
	s_set_vgpr_msb 0                        ;  msbs: dst=0 src0=0 src1=0 src2=0
	v_add3_u32 v8, v8, v16, v18
	s_set_vgpr_msb 5                        ;  msbs: dst=0 src0=1 src1=1 src2=0
	v_mul_i32_i24_e32 v16, v101 /*v357*/, v198 /*v454*/
	s_set_vgpr_msb 0                        ;  msbs: dst=0 src0=0 src1=0 src2=0
	v_add3_u32 v12, v12, v13, v14
	s_set_vgpr_msb 4                        ;  msbs: dst=0 src0=0 src1=1 src2=0
	v_mul_i32_i24_e32 v13, v119, v195 /*v451*/
	s_set_vgpr_msb 5                        ;  msbs: dst=0 src0=1 src1=1 src2=0
	v_mul_i32_i24_e32 v14, v137 /*v393*/, v196 /*v452*/
	s_set_vgpr_msb 0                        ;  msbs: dst=0 src0=0 src1=0 src2=0
	v_add3_u32 v8, v8, v20, v21
	s_set_vgpr_msb 5                        ;  msbs: dst=0 src0=1 src1=1 src2=0
	v_mul_i32_i24_e32 v18, v140 /*v396*/, v199 /*v455*/
	v_mul_i32_i24_e32 v20, v139 /*v395*/, v200 /*v456*/
	;; [unrolled: 1-line block ×3, first 2 shown]
	s_set_vgpr_msb 0                        ;  msbs: dst=0 src0=0 src1=0 src2=0
	v_add3_u32 v12, v12, v13, v14
	v_add3_u32 v8, v8, v22, v24
	s_set_vgpr_msb 5                        ;  msbs: dst=0 src0=1 src1=1 src2=0
	v_mul_i32_i24_e32 v22, v102 /*v358*/, v176 /*v432*/
	s_set_vgpr_msb 64                       ;  msbs: dst=1 src0=0 src1=0 src2=0
	v_cvt_f32_i32_e32 v156 /*v412*/, v112
	s_set_vgpr_msb 4                        ;  msbs: dst=0 src0=0 src1=1 src2=0
	v_mul_i32_i24_e32 v30, v42, v81 /*v337*/
	s_set_vgpr_msb 0                        ;  msbs: dst=0 src0=0 src1=0 src2=0
	v_add3_u32 v12, v12, v15, v16
	v_add3_u32 v8, v8, v26, v27
	s_set_vgpr_msb 4                        ;  msbs: dst=0 src0=0 src1=1 src2=0
	v_mul_i32_i24_e32 v31, v44, v83 /*v339*/
	s_set_vgpr_msb 5                        ;  msbs: dst=0 src0=1 src1=1 src2=0
	v_mul_i32_i24_e32 v24, v143 /*v399*/, v202 /*v458*/
	v_mul_i32_i24_e32 v26, v142 /*v398*/, v203 /*v459*/
	s_set_vgpr_msb 0                        ;  msbs: dst=0 src0=0 src1=0 src2=0
	v_add3_u32 v12, v12, v18, v20
	v_add3_u32 v8, v8, v28, v29
	s_set_vgpr_msb 5                        ;  msbs: dst=0 src0=1 src1=1 src2=0
	v_pk_fma_f32 v[114:115], v[166:167] /*v[422:423]*/, v[156:157] /*v[412:413]*/, v[114:115]
	s_set_vgpr_msb 0x50                     ;  msbs: dst=1 src0=0 src1=0 src2=1
	v_pk_fma_f32 v[156:157] /*v[412:413]*/, v[96:97], v[110:111], v[160:161] /*v[416:417]*/ op_sel_hi:[0,1,1]
	s_set_vgpr_msb 1                        ;  msbs: dst=0 src0=1 src1=0 src2=0
	v_mul_i32_i24_e32 v38, v90 /*v346*/, v46
	s_set_vgpr_msb 0                        ;  msbs: dst=0 src0=0 src1=0 src2=0
	v_add3_u32 v12, v12, v21, v22
	s_set_vgpr_msb 1                        ;  msbs: dst=0 src0=1 src1=0 src2=0
	v_mul_i32_i24_e32 v40, v88 /*v344*/, v84
	s_set_vgpr_msb 0                        ;  msbs: dst=0 src0=0 src1=0 src2=0
	v_add3_u32 v8, v8, v30, v31
	s_set_vgpr_msb 5                        ;  msbs: dst=0 src0=1 src1=1 src2=0
	v_mul_i32_i24_e32 v27, v141 /*v397*/, v204 /*v460*/
	v_mul_i32_i24_e32 v28, v103 /*v359*/, v177 /*v433*/
	s_set_vgpr_msb 0                        ;  msbs: dst=0 src0=0 src1=0 src2=0
	v_add3_u32 v12, v12, v24, v26
	s_set_vgpr_msb 0x41                     ;  msbs: dst=1 src0=1 src1=0 src2=0
	v_pk_mul_f32 v[156:157] /*v[412:413]*/, v[156:157] /*v[412:413]*/, v[90:91]
	s_set_vgpr_msb 1                        ;  msbs: dst=0 src0=1 src1=0 src2=0
	v_mul_i32_i24_e32 v42, v95 /*v351*/, v126
	s_set_vgpr_msb 5                        ;  msbs: dst=0 src0=1 src1=1 src2=0
	v_mul_i32_i24_e32 v44, v91 /*v347*/, v182 /*v438*/
	s_set_vgpr_msb 0                        ;  msbs: dst=0 src0=0 src1=0 src2=0
	v_add3_u32 v8, v8, v38, v40
	s_set_vgpr_msb 5                        ;  msbs: dst=0 src0=1 src1=1 src2=0
	v_mul_i32_i24_e32 v29, v146 /*v402*/, v205 /*v461*/
	v_mul_i32_i24_e32 v30, v145 /*v401*/, v206 /*v462*/
	s_set_vgpr_msb 0                        ;  msbs: dst=0 src0=0 src1=0 src2=0
	v_add3_u32 v12, v12, v27, v28
	s_set_vgpr_msb 16                       ;  msbs: dst=0 src0=0 src1=0 src2=1
	v_pk_fma_f32 v[114:115], v[114:115], v[4:5], v[156:157] /*v[412:413]*/ neg_lo:[0,0,1] neg_hi:[0,0,1]
	s_set_vgpr_msb 5                        ;  msbs: dst=0 src0=1 src1=1 src2=0
	v_mul_i32_i24_e32 v46, v108 /*v364*/, v183 /*v439*/
	v_mul_i32_i24_e32 v84, v99 /*v355*/, v184 /*v440*/
	s_set_vgpr_msb 0                        ;  msbs: dst=0 src0=0 src1=0 src2=0
	v_add3_u32 v8, v8, v42, v44
	s_set_vgpr_msb 5                        ;  msbs: dst=0 src0=1 src1=1 src2=0
	v_mul_i32_i24_e32 v31, v144 /*v400*/, v207 /*v463*/
	v_mul_i32_i24_e32 v38, v104 /*v360*/, v178 /*v434*/
	s_set_vgpr_msb 0                        ;  msbs: dst=0 src0=0 src1=0 src2=0
	v_add3_u32 v12, v12, v29, v30
	v_pk_add_f32 v[68:69], v[68:69], v[114:115]
	s_set_vgpr_msb 5                        ;  msbs: dst=0 src0=1 src1=1 src2=0
	v_mul_i32_i24_e32 v112, v113 /*v369*/, v185 /*v441*/
	v_mul_i32_i24_e32 v114, v109 /*v365*/, v186 /*v442*/
	s_set_vgpr_msb 0                        ;  msbs: dst=0 src0=0 src1=0 src2=0
	v_add3_u32 v8, v8, v46, v84
	s_set_vgpr_msb 5                        ;  msbs: dst=0 src0=1 src1=1 src2=0
	v_mul_i32_i24_e32 v40, v149 /*v405*/, v208 /*v464*/
	v_mul_i32_i24_e32 v42, v148 /*v404*/, v209 /*v465*/
	s_set_vgpr_msb 0                        ;  msbs: dst=0 src0=0 src1=0 src2=0
	v_add3_u32 v12, v12, v31, v38
	;; [unrolled: 5-line block ×4, first 2 shown]
	s_set_vgpr_msb 5                        ;  msbs: dst=0 src0=1 src1=1 src2=0
	v_mul_i32_i24_e32 v84, v152 /*v408*/, v211 /*v467*/
	s_set_vgpr_msb 0                        ;  msbs: dst=0 src0=0 src1=0 src2=0
	v_add3_u32 v8, v8, v115, v126
	s_set_vgpr_msb 5                        ;  msbs: dst=0 src0=1 src1=1 src2=0
	v_mul_i32_i24_e32 v112, v151 /*v407*/, v212 /*v468*/
	v_mul_i32_i24_e32 v114, v150 /*v406*/, v213 /*v469*/
	s_set_vgpr_msb 0                        ;  msbs: dst=0 src0=0 src1=0 src2=0
	v_add3_u32 v12, v12, v44, v46
	s_set_vgpr_msb 5                        ;  msbs: dst=0 src0=1 src1=1 src2=0
	v_mul_i32_i24_e32 v115, v106 /*v362*/, v180 /*v436*/
	s_set_vgpr_msb 20                       ;  msbs: dst=0 src0=0 src1=1 src2=1
	v_add3_u32 v8, v8, v153 /*v409*/, v155 /*v411*/
	s_set_vgpr_msb 5                        ;  msbs: dst=0 src0=1 src1=1 src2=0
	v_mul_i32_i24_e32 v126, v214 /*v470*/, v114 /*v370*/
	s_set_vgpr_msb 0x45                     ;  msbs: dst=1 src0=1 src1=1 src2=0
	v_mul_i32_i24_e32 v153 /*v409*/, v215 /*v471*/, v116 /*v372*/
	s_set_vgpr_msb 0                        ;  msbs: dst=0 src0=0 src1=0 src2=0
	v_add3_u32 v12, v12, v84, v112
	s_set_vgpr_msb 0x45                     ;  msbs: dst=1 src0=1 src1=1 src2=0
	v_mul_i32_i24_e32 v155 /*v411*/, v216 /*v472*/, v107 /*v363*/
	s_set_vgpr_msb 4                        ;  msbs: dst=0 src0=0 src1=1 src2=0
	v_mul_lo_u32 v8, v8, v34 /*v290*/
	s_set_vgpr_msb 0x45                     ;  msbs: dst=1 src0=1 src1=1 src2=0
	v_mul_i32_i24_e32 v156 /*v412*/, v181 /*v437*/, v120 /*v376*/
	s_set_vgpr_msb 4                        ;  msbs: dst=0 src0=0 src1=1 src2=0
	v_mul_lo_u32 v13, v113, v34 /*v290*/
	s_set_vgpr_msb 0                        ;  msbs: dst=0 src0=0 src1=0 src2=0
	v_add3_u32 v12, v12, v114, v115
	s_set_vgpr_msb 4                        ;  msbs: dst=0 src0=0 src1=1 src2=0
	v_pk_fma_f32 v[114:115], v[108:109], v[170:171] /*v[426:427]*/, 0 op_sel_hi:[0,1,0]
	s_set_vgpr_msb 16                       ;  msbs: dst=0 src0=0 src1=0 src2=1
	s_delay_alu instid0(VALU_DEP_2) | instskip(SKIP_1) | instid1(VALU_DEP_2)
	v_add3_u32 v12, v12, v126, v153 /*v409*/
	s_set_vgpr_msb 0                        ;  msbs: dst=0 src0=0 src1=0 src2=0
	v_pk_fma_f32 v[110:111], v[106:107], v[110:111], v[114:115] op_sel_hi:[0,1,1]
	v_cvt_f32_i32_e32 v113, v8
	s_set_vgpr_msb 20                       ;  msbs: dst=0 src0=0 src1=1 src2=1
	v_add3_u32 v8, v12, v155 /*v411*/, v156 /*v412*/
	s_set_vgpr_msb 1                        ;  msbs: dst=0 src0=1 src1=0 src2=0
	v_add3_u32 v12, v154 /*v410*/, v116, v117
	s_set_vgpr_msb 0                        ;  msbs: dst=0 src0=0 src1=0 src2=0
	v_cvt_f32_i32_e32 v112, v13
	v_pk_mul_f32 v[110:111], v[110:111], v[92:93]
	s_set_vgpr_msb 4                        ;  msbs: dst=0 src0=0 src1=1 src2=0
	v_mul_lo_u32 v8, v8, v25 /*v281*/
	v_mul_lo_u32 v12, v12, v25 /*v281*/
	s_set_vgpr_msb 1                        ;  msbs: dst=0 src0=1 src1=0 src2=0
	v_pk_fma_f32 v[112:113], v[168:169] /*v[424:425]*/, v[112:113], 0 op_sel_hi:[1,1,0]
	s_set_vgpr_msb 0                        ;  msbs: dst=0 src0=0 src1=0 src2=0
	s_delay_alu instid0(VALU_DEP_3) | instskip(NEXT) | instid1(VALU_DEP_3)
	v_cvt_f32_i32_e32 v117, v8
	v_cvt_f32_i32_e32 v116, v12
	v_or_b32_e32 v8, s13, v136
	s_set_vgpr_msb 1                        ;  msbs: dst=0 src0=1 src1=0 src2=0
	s_delay_alu instid0(VALU_DEP_2) | instskip(NEXT) | instid1(VALU_DEP_2)
	v_pk_fma_f32 v[112:113], v[166:167] /*v[422:423]*/, v[116:117], v[112:113]
	v_lshlrev_b32_e32 v12, 2, v8
	s_set_vgpr_msb 0                        ;  msbs: dst=0 src0=0 src1=0 src2=0
	s_delay_alu instid0(VALU_DEP_2) | instskip(NEXT) | instid1(VALU_DEP_1)
	v_pk_fma_f32 v[110:111], v[112:113], v[6:7], v[110:111] neg_lo:[0,0,1] neg_hi:[0,0,1]
	v_pk_add_f32 v[76:77], v[76:77], v[110:111]
	ds_load_b128 v[110:113], v12 offset:16896
	ds_load_b128 v[114:117], v12 offset:16912
	s_set_vgpr_msb 64                       ;  msbs: dst=1 src0=0 src1=0 src2=0
	ds_load_b128 v[154:157] /*v[410:413]*/, v12 offset:16928
	ds_load_b128 v[158:161] /*v[414:417]*/, v12 offset:16944
	s_wait_dscnt 0x3
	s_set_vgpr_msb 0                        ;  msbs: dst=0 src0=0 src1=0 src2=0
	v_bfe_i32 v12, v110, 0, 8
	v_bfe_i32 v13, v110, 8, 8
	;; [unrolled: 1-line block ×3, first 2 shown]
	v_ashrrev_i32_e32 v15, 24, v110
	s_wait_dscnt 0x1
	s_set_vgpr_msb 0x41                     ;  msbs: dst=1 src0=1 src1=0 src2=0
	v_bfe_i32 v178 /*v434*/, v156 /*v412*/, 0, 8
	v_bfe_i32 v179 /*v435*/, v156 /*v412*/, 8, 8
	;; [unrolled: 1-line block ×3, first 2 shown]
	s_set_vgpr_msb 0x44                     ;  msbs: dst=1 src0=0 src1=1 src2=0
	v_dual_ashrrev_i32 v181 /*v437*/, 24, v156 /*v412*/ :: v_dual_ashrrev_i32 v185 /*v441*/, 24, v157 /*v413*/
	v_mul_i32_i24_e32 v156 /*v412*/, v12, v27 /*v283*/
	s_set_vgpr_msb 0                        ;  msbs: dst=0 src0=0 src1=0 src2=0
	v_bfe_i32 v16, v111, 0, 8
	v_bfe_i32 v18, v111, 8, 8
	s_set_vgpr_msb 0x41                     ;  msbs: dst=1 src0=1 src1=0 src2=0
	v_bfe_i32 v182 /*v438*/, v157 /*v413*/, 0, 8
	v_bfe_i32 v183 /*v439*/, v157 /*v413*/, 8, 8
	;; [unrolled: 1-line block ×3, first 2 shown]
	s_wait_dscnt 0x0
	v_bfe_i32 v186 /*v442*/, v158 /*v414*/, 0, 8
	v_bfe_i32 v187 /*v443*/, v158 /*v414*/, 8, 8
	;; [unrolled: 1-line block ×3, first 2 shown]
	s_set_vgpr_msb 0x54                     ;  msbs: dst=1 src0=0 src1=1 src2=1
	v_dual_ashrrev_i32 v189 /*v445*/, 24, v158 /*v414*/ :: v_dual_ashrrev_i32 v193 /*v449*/, 24, v159 /*v415*/
	v_mul_i32_i24_e32 v157 /*v413*/, v14, v28 /*v284*/
	v_mul_i32_i24_e32 v158 /*v414*/, v15, v29 /*v285*/
	v_mad_i32_i24 v156 /*v412*/, v13, v26 /*v282*/, v156 /*v412*/
	s_set_vgpr_msb 0                        ;  msbs: dst=0 src0=0 src1=0 src2=0
	v_bfe_i32 v20, v111, 16, 8
	v_ashrrev_i32_e32 v21, 24, v111
	v_bfe_i32 v22, v112, 0, 8
	v_bfe_i32 v24, v112, 8, 8
	s_set_vgpr_msb 0x55                     ;  msbs: dst=1 src0=1 src1=1 src2=1
	v_add3_u32 v156 /*v412*/, v156 /*v412*/, v157 /*v413*/, v158 /*v414*/
	s_set_vgpr_msb 0x44                     ;  msbs: dst=1 src0=0 src1=1 src2=0
	v_mul_i32_i24_e32 v157 /*v413*/, v16, v30 /*v286*/
	v_mul_i32_i24_e32 v158 /*v414*/, v18, v31 /*v287*/
	s_set_vgpr_msb 0x41                     ;  msbs: dst=1 src0=1 src1=0 src2=0
	v_bfe_i32 v190 /*v446*/, v159 /*v415*/, 0, 8
	v_bfe_i32 v191 /*v447*/, v159 /*v415*/, 8, 8
	;; [unrolled: 1-line block ×6, first 2 shown]
	s_set_vgpr_msb 0x44                     ;  msbs: dst=1 src0=0 src1=1 src2=0
	v_dual_ashrrev_i32 v197 /*v453*/, 24, v160 /*v416*/ :: v_dual_ashrrev_i32 v201 /*v457*/, 24, v161 /*v417*/
	v_mul_i32_i24_e32 v159 /*v415*/, v20, v32 /*v288*/
	v_mul_i32_i24_e32 v160 /*v416*/, v21, v33 /*v289*/
	s_set_vgpr_msb 0x55                     ;  msbs: dst=1 src0=1 src1=1 src2=1
	v_add3_u32 v156 /*v412*/, v156 /*v412*/, v157 /*v413*/, v158 /*v414*/
	s_set_vgpr_msb 0                        ;  msbs: dst=0 src0=0 src1=0 src2=0
	v_bfe_i32 v26, v112, 16, 8
	v_dual_ashrrev_i32 v27, 24, v112 :: v_dual_ashrrev_i32 v31, 24, v113
	s_set_vgpr_msb 0x41                     ;  msbs: dst=1 src0=1 src1=0 src2=0
	v_bfe_i32 v198 /*v454*/, v161 /*v417*/, 0, 8
	v_bfe_i32 v199 /*v455*/, v161 /*v417*/, 8, 8
	;; [unrolled: 1-line block ×3, first 2 shown]
	s_set_vgpr_msb 0x44                     ;  msbs: dst=1 src0=0 src1=1 src2=0
	v_mul_i32_i24_e32 v161 /*v417*/, v22, v35 /*v291*/
	v_mul_i32_i24_e32 v162 /*v418*/, v24, v36 /*v292*/
	s_set_vgpr_msb 0x55                     ;  msbs: dst=1 src0=1 src1=1 src2=1
	v_add3_u32 v156 /*v412*/, v156 /*v412*/, v159 /*v415*/, v160 /*v416*/
	s_set_vgpr_msb 0                        ;  msbs: dst=0 src0=0 src1=0 src2=0
	v_bfe_i32 v28, v113, 0, 8
	v_bfe_i32 v29, v113, 8, 8
	s_set_vgpr_msb 0x44                     ;  msbs: dst=1 src0=0 src1=1 src2=0
	v_mul_i32_i24_e32 v163 /*v419*/, v26, v37 /*v293*/
	v_mul_i32_i24_e32 v164 /*v420*/, v27, v38 /*v294*/
	s_set_vgpr_msb 0x55                     ;  msbs: dst=1 src0=1 src1=1 src2=1
	v_add3_u32 v156 /*v412*/, v156 /*v412*/, v161 /*v417*/, v162 /*v418*/
	s_set_vgpr_msb 0                        ;  msbs: dst=0 src0=0 src1=0 src2=0
	v_bfe_i32 v30, v113, 16, 8
	s_set_vgpr_msb 0x44                     ;  msbs: dst=1 src0=0 src1=1 src2=0
	v_mul_i32_i24_e32 v165 /*v421*/, v28, v39 /*v295*/
	v_mul_i32_i24_e32 v166 /*v422*/, v29, v41 /*v297*/
	s_set_vgpr_msb 0                        ;  msbs: dst=0 src0=0 src1=0 src2=0
	v_bfe_i32 v38, v114, 0, 8
	s_set_vgpr_msb 0x55                     ;  msbs: dst=1 src0=1 src1=1 src2=1
	v_add3_u32 v156 /*v412*/, v156 /*v412*/, v163 /*v419*/, v164 /*v420*/
	s_set_vgpr_msb 0                        ;  msbs: dst=0 src0=0 src1=0 src2=0
	v_bfe_i32 v40, v114, 8, 8
	s_set_vgpr_msb 0x44                     ;  msbs: dst=1 src0=0 src1=1 src2=0
	v_mul_i32_i24_e32 v167 /*v423*/, v30, v43 /*v299*/
	v_mul_i32_i24_e32 v169 /*v425*/, v31, v44 /*v300*/
	s_set_vgpr_msb 0                        ;  msbs: dst=0 src0=0 src1=0 src2=0
	v_lshrrev_b32_e32 v8, 1, v8
	s_set_vgpr_msb 0x55                     ;  msbs: dst=1 src0=1 src1=1 src2=1
	v_add3_u32 v156 /*v412*/, v156 /*v412*/, v165 /*v421*/, v166 /*v422*/
	s_set_vgpr_msb 0                        ;  msbs: dst=0 src0=0 src1=0 src2=0
	v_bfe_i32 v42, v114, 16, 8
	v_dual_ashrrev_i32 v44, 24, v114 :: v_dual_ashrrev_i32 v113, 24, v115
	s_set_vgpr_msb 0x44                     ;  msbs: dst=1 src0=0 src1=1 src2=0
	v_mul_i32_i24_e32 v202 /*v458*/, v38, v49 /*v305*/
	v_mul_i32_i24_e32 v203 /*v459*/, v40, v51 /*v307*/
	s_set_vgpr_msb 0x55                     ;  msbs: dst=1 src0=1 src1=1 src2=1
	v_add3_u32 v156 /*v412*/, v156 /*v412*/, v167 /*v423*/, v169 /*v425*/
	s_set_vgpr_msb 0                        ;  msbs: dst=0 src0=0 src1=0 src2=0
	v_bfe_i32 v46, v115, 0, 8
	v_bfe_i32 v84, v115, 8, 8
	ds_load_b64 v[110:111], v8 offset:27200
	s_set_vgpr_msb 0x44                     ;  msbs: dst=1 src0=0 src1=1 src2=0
	v_mul_i32_i24_e32 v204 /*v460*/, v42, v53 /*v309*/
	v_mul_i32_i24_e32 v205 /*v461*/, v44, v54 /*v310*/
	s_set_vgpr_msb 0x55                     ;  msbs: dst=1 src0=1 src1=1 src2=1
	v_add3_u32 v156 /*v412*/, v156 /*v412*/, v202 /*v458*/, v203 /*v459*/
	s_set_vgpr_msb 0                        ;  msbs: dst=0 src0=0 src1=0 src2=0
	v_bfe_i32 v112, v115, 16, 8
	s_set_vgpr_msb 0x41                     ;  msbs: dst=1 src0=1 src1=0 src2=0
	v_mul_i32_i24_e32 v206 /*v462*/, v58 /*v314*/, v46
	v_mul_i32_i24_e32 v207 /*v463*/, v55 /*v311*/, v84
	s_set_vgpr_msb 0                        ;  msbs: dst=0 src0=0 src1=0 src2=0
	v_bfe_i32 v114, v116, 0, 8
	s_set_vgpr_msb 0x55                     ;  msbs: dst=1 src0=1 src1=1 src2=1
	v_add3_u32 v156 /*v412*/, v156 /*v412*/, v204 /*v460*/, v205 /*v461*/
	s_set_vgpr_msb 0                        ;  msbs: dst=0 src0=0 src1=0 src2=0
	v_bfe_i32 v115, v116, 8, 8
	s_set_vgpr_msb 0x41                     ;  msbs: dst=1 src0=1 src1=0 src2=0
	v_mul_i32_i24_e32 v208 /*v464*/, v62 /*v318*/, v112
	v_mul_i32_i24_e32 v209 /*v465*/, v59 /*v315*/, v113
	s_set_vgpr_msb 0                        ;  msbs: dst=0 src0=0 src1=0 src2=0
	v_bfe_i32 v126, v116, 16, 8
	s_set_vgpr_msb 0x55                     ;  msbs: dst=1 src0=1 src1=1 src2=1
	v_add3_u32 v156 /*v412*/, v156 /*v412*/, v206 /*v462*/, v207 /*v463*/
	s_set_vgpr_msb 0x41                     ;  msbs: dst=1 src0=1 src1=0 src2=0
	v_ashrrev_i32_e32 v153 /*v409*/, 24, v116
	v_mul_i32_i24_e32 v210 /*v466*/, v67 /*v323*/, v114
	v_mul_i32_i24_e32 v211 /*v467*/, v64 /*v320*/, v115
	s_set_vgpr_msb 64                       ;  msbs: dst=1 src0=0 src1=0 src2=0
	v_bfe_i32 v170 /*v426*/, v117, 0, 8
	s_set_vgpr_msb 0x55                     ;  msbs: dst=1 src0=1 src1=1 src2=1
	v_add3_u32 v156 /*v412*/, v156 /*v412*/, v208 /*v464*/, v209 /*v465*/
	s_set_vgpr_msb 64                       ;  msbs: dst=1 src0=0 src1=0 src2=0
	v_bfe_i32 v171 /*v427*/, v117, 8, 8
	s_wait_dscnt 0x0
	v_lshrrev_b32_e32 v168 /*v424*/, 16, v111
	s_set_vgpr_msb 0x41                     ;  msbs: dst=1 src0=1 src1=0 src2=0
	v_mul_i32_i24_e32 v212 /*v468*/, v71 /*v327*/, v126
	s_set_vgpr_msb 0x55                     ;  msbs: dst=1 src0=1 src1=1 src2=1
	v_mul_i32_i24_e32 v213 /*v469*/, v68 /*v324*/, v153 /*v409*/
	v_add3_u32 v156 /*v412*/, v156 /*v412*/, v210 /*v466*/, v211 /*v467*/
	s_set_vgpr_msb 64                       ;  msbs: dst=1 src0=0 src1=0 src2=0
	v_bfe_i32 v172 /*v428*/, v117, 16, 8
	s_set_vgpr_msb 0                        ;  msbs: dst=0 src0=0 src1=0 src2=0
	v_dual_ashrrev_i32 v117, 24, v117 :: v_dual_lshrrev_b32 v116, 16, v110
	s_set_vgpr_msb 0x55                     ;  msbs: dst=1 src0=1 src1=1 src2=1
	v_mul_i32_i24_e32 v214 /*v470*/, v79 /*v335*/, v170 /*v426*/
	v_mul_i32_i24_e32 v215 /*v471*/, v74 /*v330*/, v171 /*v427*/
	v_add3_u32 v156 /*v412*/, v156 /*v412*/, v212 /*v468*/, v213 /*v469*/
	s_set_vgpr_msb 1                        ;  msbs: dst=0 src0=1 src1=0 src2=0
	v_bfe_i32 v8, v154 /*v410*/, 0, 8
	s_set_vgpr_msb 0x45                     ;  msbs: dst=1 src0=1 src1=1 src2=0
	v_mul_i32_i24_e32 v216 /*v472*/, v84 /*v340*/, v172 /*v428*/
	s_set_vgpr_msb 0x41                     ;  msbs: dst=1 src0=1 src1=0 src2=0
	v_mul_i32_i24_e32 v217 /*v473*/, v80 /*v336*/, v117
	v_bfe_i32 v173 /*v429*/, v154 /*v410*/, 8, 8
	s_set_vgpr_msb 0x55                     ;  msbs: dst=1 src0=1 src1=1 src2=1
	v_add3_u32 v156 /*v412*/, v156 /*v412*/, v214 /*v470*/, v215 /*v471*/
	v_bfe_i32 v174 /*v430*/, v154 /*v410*/, 16, 8
	v_ashrrev_i32_e32 v154 /*v410*/, 24, v154 /*v410*/
	v_bfe_i32 v175 /*v431*/, v155 /*v411*/, 0, 8
	v_bfe_i32 v176 /*v432*/, v155 /*v411*/, 8, 8
	v_add3_u32 v169 /*v425*/, v156 /*v412*/, v216 /*v472*/, v217 /*v473*/
	s_set_vgpr_msb 0x44                     ;  msbs: dst=1 src0=0 src1=1 src2=0
	v_mul_i32_i24_e32 v156 /*v412*/, v8, v73 /*v329*/
	s_set_vgpr_msb 0x41                     ;  msbs: dst=1 src0=1 src1=0 src2=0
	v_bfe_i32 v177 /*v433*/, v155 /*v411*/, 16, 8
	s_set_vgpr_msb 0x55                     ;  msbs: dst=1 src0=1 src1=1 src2=1
	v_ashrrev_i32_e32 v155 /*v411*/, 24, v155 /*v411*/
	v_mul_i32_i24_e32 v157 /*v413*/, v174 /*v430*/, v70 /*v326*/
	v_mul_i32_i24_e32 v158 /*v414*/, v154 /*v410*/, v77 /*v333*/
	v_mad_i32_i24 v156 /*v412*/, v173 /*v429*/, v72 /*v328*/, v156 /*v412*/
	v_mul_i32_i24_e32 v159 /*v415*/, v177 /*v433*/, v75 /*v331*/
	v_mul_i32_i24_e32 v160 /*v416*/, v155 /*v411*/, v87 /*v343*/
	;; [unrolled: 1-line block ×4, first 2 shown]
	v_add3_u32 v156 /*v412*/, v156 /*v412*/, v157 /*v413*/, v158 /*v414*/
	v_mul_i32_i24_e32 v157 /*v413*/, v175 /*v431*/, v82 /*v338*/
	v_mul_i32_i24_e32 v158 /*v414*/, v176 /*v432*/, v85 /*v341*/
	;; [unrolled: 1-line block ×6, first 2 shown]
	v_add3_u32 v156 /*v412*/, v156 /*v412*/, v157 /*v413*/, v158 /*v414*/
	v_mul_i32_i24_e32 v203 /*v459*/, v184 /*v440*/, v93 /*v349*/
	v_mul_i32_i24_e32 v204 /*v460*/, v185 /*v441*/, v100 /*v356*/
	v_mul_i32_i24_e32 v205 /*v461*/, v186 /*v442*/, v110 /*v366*/
	v_mul_i32_i24_e32 v206 /*v462*/, v187 /*v443*/, v112 /*v368*/
	v_add3_u32 v156 /*v412*/, v156 /*v412*/, v159 /*v415*/, v160 /*v416*/
	v_mul_i32_i24_e32 v207 /*v463*/, v188 /*v444*/, v98 /*v354*/
	v_mul_i32_i24_e32 v208 /*v464*/, v189 /*v445*/, v115 /*v371*/
	v_mul_i32_i24_e32 v209 /*v465*/, v117 /*v373*/, v190 /*v446*/
	v_mul_i32_i24_e32 v210 /*v466*/, v118 /*v374*/, v191 /*v447*/
	;; [unrolled: 5-line block ×4, first 2 shown]
	v_add3_u32 v156 /*v412*/, v156 /*v412*/, v167 /*v423*/, v202 /*v458*/
	s_set_vgpr_msb 64                       ;  msbs: dst=1 src0=0 src1=0 src2=0
	v_mul_i32_i24_e32 v157 /*v413*/, v14, v219
	v_mul_i32_i24_e32 v158 /*v414*/, v15, v220
	v_mul_i32_i24_e32 v159 /*v415*/, v20, v223
	v_mul_i32_i24_e32 v160 /*v416*/, v21, v224
	s_set_vgpr_msb 0x55                     ;  msbs: dst=1 src0=1 src1=1 src2=1
	v_add3_u32 v156 /*v412*/, v156 /*v412*/, v203 /*v459*/, v204 /*v460*/
	s_set_vgpr_msb 64                       ;  msbs: dst=1 src0=0 src1=0 src2=0
	v_mul_i32_i24_e32 v161 /*v417*/, v22, v225
	v_mul_i32_i24_e32 v162 /*v418*/, v24, v226
	v_mul_i32_i24_e32 v163 /*v419*/, v26, v227
	v_mul_i32_i24_e32 v164 /*v420*/, v27, v228
	s_set_vgpr_msb 0x55                     ;  msbs: dst=1 src0=1 src1=1 src2=1
	;; [unrolled: 7-line block ×3, first 2 shown]
	v_add3_u32 v156 /*v412*/, v156 /*v412*/, v207 /*v463*/, v208 /*v464*/
	s_set_vgpr_msb 64                       ;  msbs: dst=1 src0=0 src1=0 src2=0
	v_mul_i32_i24_e32 v206 /*v462*/, v38, v233
	v_mul_i32_i24_e32 v207 /*v463*/, v40, v234
	;; [unrolled: 1-line block ×3, first 2 shown]
	s_set_vgpr_msb 0x44                     ;  msbs: dst=1 src0=0 src1=1 src2=0
	v_mul_i32_i24_e32 v219 /*v475*/, v248, v171 /*v427*/
	s_set_vgpr_msb 0x55                     ;  msbs: dst=1 src0=1 src1=1 src2=1
	v_add3_u32 v156 /*v412*/, v156 /*v412*/, v209 /*v465*/, v210 /*v466*/
	s_set_vgpr_msb 64                       ;  msbs: dst=1 src0=0 src1=0 src2=0
	v_mul_i32_i24_e32 v209 /*v465*/, v44, v236
	v_mul_i32_i24_e32 v210 /*v466*/, v238, v46
	s_set_vgpr_msb 0x44                     ;  msbs: dst=1 src0=0 src1=1 src2=0
	v_mul_i32_i24_e32 v220 /*v476*/, v254, v172 /*v428*/
	s_set_vgpr_msb 64                       ;  msbs: dst=1 src0=0 src1=0 src2=0
	v_mul_i32_i24_e32 v221 /*v477*/, v252, v117
	s_set_vgpr_msb 0x55                     ;  msbs: dst=1 src0=1 src1=1 src2=1
	v_add3_u32 v156 /*v412*/, v156 /*v412*/, v211 /*v467*/, v212 /*v468*/
	s_set_vgpr_msb 64                       ;  msbs: dst=1 src0=0 src1=0 src2=0
	v_mul_i32_i24_e32 v211 /*v467*/, v237, v84
	v_mul_i32_i24_e32 v212 /*v468*/, v240, v112
	s_set_vgpr_msb 0x45                     ;  msbs: dst=1 src0=1 src1=1 src2=0
	v_mul_i32_i24_e32 v222 /*v478*/, v199 /*v455*/, v23 /*v279*/
	s_set_vgpr_msb 0x44                     ;  msbs: dst=1 src0=0 src1=1 src2=0
	v_mul_i32_i24_e32 v223 /*v479*/, v183, v171 /*v427*/
	s_set_vgpr_msb 0x55                     ;  msbs: dst=1 src0=1 src1=1 src2=1
	v_add3_u32 v156 /*v412*/, v156 /*v412*/, v213 /*v469*/, v214 /*v470*/
	s_set_vgpr_msb 64                       ;  msbs: dst=1 src0=0 src1=0 src2=0
	v_mul_i32_i24_e32 v213 /*v469*/, v239, v113
	v_mul_i32_i24_e32 v214 /*v470*/, v242, v114
	s_set_vgpr_msb 0x44                     ;  msbs: dst=1 src0=0 src1=1 src2=0
	v_mul_i32_i24_e32 v224 /*v480*/, v189, v172 /*v428*/
	s_set_vgpr_msb 64                       ;  msbs: dst=1 src0=0 src1=0 src2=0
	v_mul_i32_i24_e32 v225 /*v481*/, v187, v117
	s_set_vgpr_msb 0x55                     ;  msbs: dst=1 src0=1 src1=1 src2=1
	v_add3_u32 v156 /*v412*/, v156 /*v412*/, v215 /*v471*/, v216 /*v472*/
	s_set_vgpr_msb 64                       ;  msbs: dst=1 src0=0 src1=0 src2=0
	v_mul_i32_i24_e32 v215 /*v471*/, v241, v115
	v_mul_i32_i24_e32 v216 /*v472*/, v245, v126
	s_set_vgpr_msb 0x41                     ;  msbs: dst=1 src0=1 src1=0 src2=0
	v_mul_i32_i24_e32 v226 /*v482*/, v199 /*v455*/, v214
	s_set_vgpr_msb 1                        ;  msbs: dst=0 src0=1 src1=0 src2=0
	v_mul_i32_i24_e32 v117, v123 /*v379*/, v117
	s_set_vgpr_msb 0x55                     ;  msbs: dst=1 src0=1 src1=1 src2=1
	v_add3_u32 v167 /*v423*/, v156 /*v412*/, v217 /*v473*/, v218 /*v474*/
	s_set_vgpr_msb 64                       ;  msbs: dst=1 src0=0 src1=0 src2=0
	v_mul_i32_i24_e32 v156 /*v412*/, v12, v218
	s_set_vgpr_msb 0x44                     ;  msbs: dst=1 src0=0 src1=1 src2=0
	v_mul_i32_i24_e32 v217 /*v473*/, v243, v153 /*v409*/
	v_mul_i32_i24_e32 v218 /*v474*/, v251, v170 /*v426*/
	s_set_vgpr_msb 0x45                     ;  msbs: dst=1 src0=1 src1=1 src2=0
	v_mul_i32_i24_e32 v165 /*v421*/, v200 /*v456*/, v129 /*v385*/
	v_mul_i32_i24_e32 v166 /*v422*/, v201 /*v457*/, v133 /*v389*/
	s_set_vgpr_msb 0x50                     ;  msbs: dst=1 src0=0 src1=0 src2=1
	v_mad_i32_i24 v156 /*v412*/, v13, v217, v156 /*v412*/
	s_set_vgpr_msb 0                        ;  msbs: dst=0 src0=0 src1=0 src2=0
	v_cvt_f32_f16_e32 v116, v116
	s_set_vgpr_msb 0x55                     ;  msbs: dst=1 src0=1 src1=1 src2=1
	s_delay_alu instid0(VALU_DEP_2) | instskip(SKIP_4) | instid1(VALU_DEP_1)
	v_add3_u32 v156 /*v412*/, v156 /*v412*/, v157 /*v413*/, v158 /*v414*/
	s_set_vgpr_msb 64                       ;  msbs: dst=1 src0=0 src1=0 src2=0
	v_mul_i32_i24_e32 v157 /*v413*/, v16, v221
	v_mul_i32_i24_e32 v158 /*v414*/, v18, v222
	s_set_vgpr_msb 0x55                     ;  msbs: dst=1 src0=1 src1=1 src2=1
	v_add3_u32 v156 /*v412*/, v156 /*v412*/, v157 /*v413*/, v158 /*v414*/
	s_set_vgpr_msb 0x41                     ;  msbs: dst=1 src0=1 src1=0 src2=0
	v_mul_i32_i24_e32 v157 /*v413*/, v174 /*v430*/, v244
	v_mul_i32_i24_e32 v158 /*v414*/, v154 /*v410*/, v250
	s_set_vgpr_msb 0x55                     ;  msbs: dst=1 src0=1 src1=1 src2=1
	v_add3_u32 v156 /*v412*/, v156 /*v412*/, v159 /*v415*/, v160 /*v416*/
	s_set_vgpr_msb 0x41                     ;  msbs: dst=1 src0=1 src1=0 src2=0
	v_mul_i32_i24_e32 v159 /*v415*/, v177 /*v433*/, v249
	s_set_vgpr_msb 0x55                     ;  msbs: dst=1 src0=1 src1=1 src2=1
	v_mul_i32_i24_e32 v160 /*v416*/, v155 /*v411*/, v1 /*v257*/
	v_add3_u32 v156 /*v412*/, v156 /*v412*/, v161 /*v417*/, v162 /*v418*/
	v_mul_i32_i24_e32 v161 /*v417*/, v200 /*v456*/, v20 /*v276*/
	v_mul_i32_i24_e32 v162 /*v418*/, v201 /*v457*/, v24 /*v280*/
	s_delay_alu instid0(VALU_DEP_3) | instskip(SKIP_1) | instid1(VALU_DEP_2)
	v_add3_u32 v156 /*v412*/, v156 /*v412*/, v163 /*v419*/, v164 /*v420*/
	v_mul_i32_i24_e32 v163 /*v419*/, v178 /*v434*/, v2 /*v258*/
	v_add3_u32 v156 /*v412*/, v156 /*v412*/, v202 /*v458*/, v203 /*v459*/
	v_mul_i32_i24_e32 v202 /*v458*/, v179 /*v435*/, v3 /*v259*/
	v_mul_i32_i24_e32 v203 /*v459*/, v180 /*v436*/, v0 /*v256*/
	s_delay_alu instid0(VALU_DEP_3) | instskip(SKIP_2) | instid1(VALU_DEP_3)
	v_add3_u32 v156 /*v412*/, v156 /*v412*/, v204 /*v460*/, v205 /*v461*/
	v_mul_i32_i24_e32 v204 /*v460*/, v181 /*v437*/, v5 /*v261*/
	v_mul_i32_i24_e32 v205 /*v461*/, v182 /*v438*/, v6 /*v262*/
	v_add3_u32 v156 /*v412*/, v156 /*v412*/, v206 /*v462*/, v207 /*v463*/
	v_mul_i32_i24_e32 v206 /*v462*/, v183 /*v439*/, v7 /*v263*/
	v_mul_i32_i24_e32 v207 /*v463*/, v184 /*v440*/, v4 /*v260*/
	s_delay_alu instid0(VALU_DEP_3) | instskip(SKIP_2) | instid1(VALU_DEP_3)
	v_add3_u32 v156 /*v412*/, v156 /*v412*/, v208 /*v464*/, v209 /*v465*/
	v_mul_i32_i24_e32 v208 /*v464*/, v185 /*v441*/, v9 /*v265*/
	;; [unrolled: 7-line block ×4, first 2 shown]
	v_mul_i32_i24_e32 v217 /*v473*/, v17 /*v273*/, v194 /*v450*/
	v_add3_u32 v156 /*v412*/, v156 /*v412*/, v218 /*v474*/, v219 /*v475*/
	v_mul_i32_i24_e32 v218 /*v474*/, v18 /*v274*/, v195 /*v451*/
	v_mul_i32_i24_e32 v219 /*v475*/, v21 /*v277*/, v196 /*v452*/
	s_delay_alu instid0(VALU_DEP_3)
	v_add3_u32 v164 /*v420*/, v156 /*v412*/, v220 /*v476*/, v221 /*v477*/
	s_set_vgpr_msb 64                       ;  msbs: dst=1 src0=0 src1=0 src2=0
	v_mul_i32_i24_e32 v156 /*v412*/, v8, v247
	s_set_vgpr_msb 0x45                     ;  msbs: dst=1 src0=1 src1=1 src2=0
	v_mul_i32_i24_e32 v220 /*v476*/, v19 /*v275*/, v197 /*v453*/
	v_mul_i32_i24_e32 v221 /*v477*/, v198 /*v454*/, v22 /*v278*/
	s_set_vgpr_msb 0x51                     ;  msbs: dst=1 src0=1 src1=0 src2=1
	v_mad_i32_i24 v156 /*v412*/, v173 /*v429*/, v246, v156 /*v412*/
	s_set_vgpr_msb 0x55                     ;  msbs: dst=1 src0=1 src1=1 src2=1
	s_delay_alu instid0(VALU_DEP_1) | instskip(SKIP_4) | instid1(VALU_DEP_1)
	v_add3_u32 v156 /*v412*/, v156 /*v412*/, v157 /*v413*/, v158 /*v414*/
	s_set_vgpr_msb 0x41                     ;  msbs: dst=1 src0=1 src1=0 src2=0
	v_mul_i32_i24_e32 v157 /*v413*/, v175 /*v431*/, v253
	v_mul_i32_i24_e32 v158 /*v414*/, v176 /*v432*/, v255
	s_set_vgpr_msb 0x55                     ;  msbs: dst=1 src0=1 src1=1 src2=1
	v_add3_u32 v156 /*v412*/, v156 /*v412*/, v157 /*v413*/, v158 /*v414*/
	s_set_vgpr_msb 64                       ;  msbs: dst=1 src0=0 src1=0 src2=0
	v_mul_i32_i24_e32 v157 /*v413*/, v14, v153
	v_mul_i32_i24_e32 v158 /*v414*/, v15, v155
	s_set_vgpr_msb 4                        ;  msbs: dst=0 src0=0 src1=1 src2=0
	v_mul_i32_i24_e32 v14, v14, v45 /*v301*/
	v_mul_i32_i24_e32 v15, v15, v46 /*v302*/
	s_set_vgpr_msb 0x55                     ;  msbs: dst=1 src0=1 src1=1 src2=1
	v_add3_u32 v156 /*v412*/, v156 /*v412*/, v159 /*v415*/, v160 /*v416*/
	s_set_vgpr_msb 64                       ;  msbs: dst=1 src0=0 src1=0 src2=0
	v_mul_i32_i24_e32 v159 /*v415*/, v20, v158
	v_mul_i32_i24_e32 v160 /*v416*/, v21, v159
	s_set_vgpr_msb 0x55                     ;  msbs: dst=1 src0=1 src1=1 src2=1
	v_add3_u32 v156 /*v412*/, v156 /*v412*/, v163 /*v419*/, v202 /*v458*/
	s_set_vgpr_msb 64                       ;  msbs: dst=1 src0=0 src1=0 src2=0
	v_mul_i32_i24_e32 v202 /*v458*/, v22, v160
	s_set_vgpr_msb 0x55                     ;  msbs: dst=1 src0=1 src1=1 src2=1
	s_delay_alu instid0(VALU_DEP_2)
	v_add3_u32 v156 /*v412*/, v156 /*v412*/, v203 /*v459*/, v204 /*v460*/
	s_set_vgpr_msb 64                       ;  msbs: dst=1 src0=0 src1=0 src2=0
	v_mul_i32_i24_e32 v203 /*v459*/, v24, v161
	v_mul_i32_i24_e32 v204 /*v460*/, v26, v162
	s_set_vgpr_msb 0x55                     ;  msbs: dst=1 src0=1 src1=1 src2=1
	v_add3_u32 v156 /*v412*/, v156 /*v412*/, v205 /*v461*/, v206 /*v462*/
	s_set_vgpr_msb 64                       ;  msbs: dst=1 src0=0 src1=0 src2=0
	v_mul_i32_i24_e32 v205 /*v461*/, v27, v163
	v_mul_i32_i24_e32 v206 /*v462*/, v28, v164
	s_set_vgpr_msb 0x55                     ;  msbs: dst=1 src0=1 src1=1 src2=1
	;; [unrolled: 5-line block ×9, first 2 shown]
	v_add3_u32 v163 /*v419*/, v156 /*v412*/, v221 /*v477*/, v222 /*v478*/
	s_set_vgpr_msb 64                       ;  msbs: dst=1 src0=0 src1=0 src2=0
	v_mul_i32_i24_e32 v156 /*v412*/, v12, v152
	s_set_vgpr_msb 0x44                     ;  msbs: dst=1 src0=0 src1=1 src2=0
	v_mul_i32_i24_e32 v221 /*v477*/, v178, v153 /*v409*/
	v_mul_i32_i24_e32 v222 /*v478*/, v186, v170 /*v426*/
	s_set_vgpr_msb 4                        ;  msbs: dst=0 src0=0 src1=1 src2=0
	v_mul_i32_i24_e32 v12, v12, v42 /*v298*/
	s_set_vgpr_msb 0x50                     ;  msbs: dst=1 src0=0 src1=0 src2=1
	v_mad_i32_i24 v156 /*v412*/, v13, v151, v156 /*v412*/
	s_set_vgpr_msb 4                        ;  msbs: dst=0 src0=0 src1=1 src2=0
	s_delay_alu instid0(VALU_DEP_2)
	v_mad_i32_i24 v12, v13, v40 /*v296*/, v12
	v_mul_i32_i24_e32 v13, v16, v47 /*v303*/
	s_set_vgpr_msb 0x55                     ;  msbs: dst=1 src0=1 src1=1 src2=1
	v_add3_u32 v156 /*v412*/, v156 /*v412*/, v157 /*v413*/, v158 /*v414*/
	s_set_vgpr_msb 64                       ;  msbs: dst=1 src0=0 src1=0 src2=0
	v_mul_i32_i24_e32 v157 /*v413*/, v16, v156
	v_mul_i32_i24_e32 v158 /*v414*/, v18, v157
	s_set_vgpr_msb 0                        ;  msbs: dst=0 src0=0 src1=0 src2=0
	v_add3_u32 v12, v12, v14, v15
	s_set_vgpr_msb 4                        ;  msbs: dst=0 src0=0 src1=1 src2=0
	v_mul_i32_i24_e32 v14, v18, v48 /*v304*/
	v_mul_i32_i24_e32 v15, v20, v50 /*v306*/
	;; [unrolled: 1-line block ×3, first 2 shown]
	s_set_vgpr_msb 0x55                     ;  msbs: dst=1 src0=1 src1=1 src2=1
	v_add3_u32 v156 /*v412*/, v156 /*v412*/, v157 /*v413*/, v158 /*v414*/
	s_set_vgpr_msb 0x41                     ;  msbs: dst=1 src0=1 src1=0 src2=0
	v_mul_i32_i24_e32 v157 /*v413*/, v174 /*v430*/, v179
	v_mul_i32_i24_e32 v158 /*v414*/, v154 /*v410*/, v185
	s_set_vgpr_msb 0                        ;  msbs: dst=0 src0=0 src1=0 src2=0
	v_add3_u32 v12, v12, v13, v14
	s_set_vgpr_msb 4                        ;  msbs: dst=0 src0=0 src1=1 src2=0
	v_mul_i32_i24_e32 v18, v22, v56 /*v312*/
	s_set_vgpr_msb 0x55                     ;  msbs: dst=1 src0=1 src1=1 src2=1
	v_add3_u32 v156 /*v412*/, v156 /*v412*/, v159 /*v415*/, v160 /*v416*/
	s_set_vgpr_msb 0x41                     ;  msbs: dst=1 src0=1 src1=0 src2=0
	v_mul_i32_i24_e32 v159 /*v415*/, v175 /*v431*/, v188
	s_set_vgpr_msb 4                        ;  msbs: dst=0 src0=0 src1=1 src2=0
	v_mul_i32_i24_e32 v20, v24, v57 /*v313*/
	s_set_vgpr_msb 0                        ;  msbs: dst=0 src0=0 src1=0 src2=0
	v_add3_u32 v12, v12, v15, v16
	s_set_vgpr_msb 4                        ;  msbs: dst=0 src0=0 src1=1 src2=0
	v_mul_i32_i24_e32 v21, v26, v60 /*v316*/
	s_set_vgpr_msb 0x55                     ;  msbs: dst=1 src0=1 src1=1 src2=1
	v_add3_u32 v156 /*v412*/, v156 /*v412*/, v202 /*v458*/, v203 /*v459*/
	s_set_vgpr_msb 0x41                     ;  msbs: dst=1 src0=1 src1=0 src2=0
	v_mul_i32_i24_e32 v202 /*v458*/, v176 /*v432*/, v190
	v_mul_i32_i24_e32 v203 /*v459*/, v177 /*v433*/, v184
	s_set_vgpr_msb 4                        ;  msbs: dst=0 src0=0 src1=1 src2=0
	v_mul_i32_i24_e32 v22, v27, v61 /*v317*/
	s_set_vgpr_msb 0                        ;  msbs: dst=0 src0=0 src1=0 src2=0
	v_add3_u32 v12, v12, v18, v20
	s_set_vgpr_msb 0x55                     ;  msbs: dst=1 src0=1 src1=1 src2=1
	v_add3_u32 v156 /*v412*/, v156 /*v412*/, v204 /*v460*/, v205 /*v461*/
	s_set_vgpr_msb 0x41                     ;  msbs: dst=1 src0=1 src1=0 src2=0
	v_mul_i32_i24_e32 v204 /*v460*/, v155 /*v411*/, v192
	v_mul_i32_i24_e32 v205 /*v461*/, v178 /*v434*/, v193
	s_set_vgpr_msb 4                        ;  msbs: dst=0 src0=0 src1=1 src2=0
	v_mul_i32_i24_e32 v24, v28, v63 /*v319*/
	v_mul_i32_i24_e32 v26, v29, v65 /*v321*/
	s_set_vgpr_msb 0x55                     ;  msbs: dst=1 src0=1 src1=1 src2=1
	v_add3_u32 v156 /*v412*/, v156 /*v412*/, v206 /*v462*/, v207 /*v463*/
	s_set_vgpr_msb 0x41                     ;  msbs: dst=1 src0=1 src1=0 src2=0
	v_mul_i32_i24_e32 v206 /*v462*/, v179 /*v435*/, v194
	v_mul_i32_i24_e32 v207 /*v463*/, v180 /*v436*/, v191
	s_set_vgpr_msb 0                        ;  msbs: dst=0 src0=0 src1=0 src2=0
	v_add3_u32 v12, v12, v21, v22
	s_set_vgpr_msb 4                        ;  msbs: dst=0 src0=0 src1=1 src2=0
	v_mul_i32_i24_e32 v27, v30, v66 /*v322*/
	s_set_vgpr_msb 0x55                     ;  msbs: dst=1 src0=1 src1=1 src2=1
	v_add3_u32 v156 /*v412*/, v156 /*v412*/, v208 /*v464*/, v209 /*v465*/
	s_set_vgpr_msb 0x41                     ;  msbs: dst=1 src0=1 src1=0 src2=0
	v_mul_i32_i24_e32 v208 /*v464*/, v181 /*v437*/, v196
	v_mul_i32_i24_e32 v209 /*v465*/, v182 /*v438*/, v197
	s_set_vgpr_msb 4                        ;  msbs: dst=0 src0=0 src1=1 src2=0
	v_mul_i32_i24_e32 v28, v31, v69 /*v325*/
	s_set_vgpr_msb 0                        ;  msbs: dst=0 src0=0 src1=0 src2=0
	v_add3_u32 v12, v12, v24, v26
	s_set_vgpr_msb 0x55                     ;  msbs: dst=1 src0=1 src1=1 src2=1
	v_add3_u32 v156 /*v412*/, v156 /*v412*/, v210 /*v466*/, v211 /*v467*/
	s_set_vgpr_msb 0x41                     ;  msbs: dst=1 src0=1 src1=0 src2=0
	v_mul_i32_i24_e32 v210 /*v466*/, v183 /*v439*/, v198
	v_mul_i32_i24_e32 v211 /*v467*/, v184 /*v440*/, v195
	s_set_vgpr_msb 4                        ;  msbs: dst=0 src0=0 src1=1 src2=0
	v_mul_i32_i24_e32 v29, v38, v76 /*v332*/
	v_mul_i32_i24_e32 v30, v40, v78 /*v334*/
	s_set_vgpr_msb 0x55                     ;  msbs: dst=1 src0=1 src1=1 src2=1
	v_add3_u32 v156 /*v412*/, v156 /*v412*/, v212 /*v468*/, v213 /*v469*/
	s_set_vgpr_msb 0x41                     ;  msbs: dst=1 src0=1 src1=0 src2=0
	v_mul_i32_i24_e32 v212 /*v468*/, v185 /*v441*/, v200
	s_set_vgpr_msb 0                        ;  msbs: dst=0 src0=0 src1=0 src2=0
	v_add3_u32 v12, v12, v27, v28
	s_set_vgpr_msb 0x41                     ;  msbs: dst=1 src0=1 src1=0 src2=0
	v_mul_i32_i24_e32 v213 /*v469*/, v186 /*v442*/, v201
	s_set_vgpr_msb 4                        ;  msbs: dst=0 src0=0 src1=1 src2=0
	v_mul_i32_i24_e32 v31, v42, v81 /*v337*/
	s_set_vgpr_msb 0x55                     ;  msbs: dst=1 src0=1 src1=1 src2=1
	v_add3_u32 v156 /*v412*/, v156 /*v412*/, v214 /*v470*/, v215 /*v471*/
	s_set_vgpr_msb 0x41                     ;  msbs: dst=1 src0=1 src1=0 src2=0
	v_mul_i32_i24_e32 v214 /*v470*/, v187 /*v443*/, v202
	s_set_vgpr_msb 4                        ;  msbs: dst=0 src0=0 src1=1 src2=0
	v_mul_i32_i24_e32 v38, v44, v83 /*v339*/
	s_set_vgpr_msb 0                        ;  msbs: dst=0 src0=0 src1=0 src2=0
	v_add3_u32 v12, v12, v29, v30
	s_set_vgpr_msb 0x41                     ;  msbs: dst=1 src0=1 src1=0 src2=0
	v_mul_i32_i24_e32 v215 /*v471*/, v188 /*v444*/, v199
	s_set_vgpr_msb 0x55                     ;  msbs: dst=1 src0=1 src1=1 src2=1
	v_add3_u32 v156 /*v412*/, v156 /*v412*/, v216 /*v472*/, v217 /*v473*/
	s_set_vgpr_msb 0x41                     ;  msbs: dst=1 src0=1 src1=0 src2=0
	v_mul_i32_i24_e32 v216 /*v472*/, v189 /*v445*/, v203
	s_set_vgpr_msb 1                        ;  msbs: dst=0 src0=1 src1=0 src2=0
	v_mul_i32_i24_e32 v40, v90 /*v346*/, v46
	v_mul_i32_i24_e32 v42, v88 /*v344*/, v84
	s_set_vgpr_msb 0                        ;  msbs: dst=0 src0=0 src1=0 src2=0
	v_add3_u32 v12, v12, v31, v38
	s_set_vgpr_msb 0x55                     ;  msbs: dst=1 src0=1 src1=1 src2=1
	v_add3_u32 v156 /*v412*/, v156 /*v412*/, v218 /*v474*/, v219 /*v475*/
	s_set_vgpr_msb 0x44                     ;  msbs: dst=1 src0=0 src1=1 src2=0
	v_mul_i32_i24_e32 v217 /*v473*/, v204, v190 /*v446*/
	v_mul_i32_i24_e32 v218 /*v474*/, v205, v191 /*v447*/
	s_set_vgpr_msb 1                        ;  msbs: dst=0 src0=1 src1=0 src2=0
	v_mul_i32_i24_e32 v44, v95 /*v351*/, v112
	v_mul_i32_i24_e32 v46, v91 /*v347*/, v113
	s_set_vgpr_msb 0x55                     ;  msbs: dst=1 src0=1 src1=1 src2=1
	v_add3_u32 v156 /*v412*/, v156 /*v412*/, v220 /*v476*/, v221 /*v477*/
	s_set_vgpr_msb 0                        ;  msbs: dst=0 src0=0 src1=0 src2=0
	v_add3_u32 v12, v12, v40, v42
	s_set_vgpr_msb 0x44                     ;  msbs: dst=1 src0=0 src1=1 src2=0
	v_mul_i32_i24_e32 v219 /*v475*/, v207, v192 /*v448*/
	v_mul_i32_i24_e32 v220 /*v476*/, v206, v193 /*v449*/
	s_set_vgpr_msb 1                        ;  msbs: dst=0 src0=1 src1=0 src2=0
	v_mul_i32_i24_e32 v84, v108 /*v364*/, v114
	s_set_vgpr_msb 0x55                     ;  msbs: dst=1 src0=1 src1=1 src2=1
	v_add3_u32 v156 /*v412*/, v156 /*v412*/, v222 /*v478*/, v223 /*v479*/
	s_set_vgpr_msb 1                        ;  msbs: dst=0 src0=1 src1=0 src2=0
	v_mul_i32_i24_e32 v112, v99 /*v355*/, v115
	s_set_vgpr_msb 0                        ;  msbs: dst=0 src0=0 src1=0 src2=0
	v_add3_u32 v12, v12, v44, v46
	s_set_vgpr_msb 0x44                     ;  msbs: dst=1 src0=0 src1=1 src2=0
	v_mul_i32_i24_e32 v221 /*v477*/, v208, v194 /*v450*/
	v_mul_i32_i24_e32 v222 /*v478*/, v209, v195 /*v451*/
	s_set_vgpr_msb 0x55                     ;  msbs: dst=1 src0=1 src1=1 src2=1
	v_add3_u32 v160 /*v416*/, v156 /*v412*/, v224 /*v480*/, v225 /*v481*/
	s_set_vgpr_msb 64                       ;  msbs: dst=1 src0=0 src1=0 src2=0
	v_mul_i32_i24_e32 v156 /*v412*/, v8, v182
	s_set_vgpr_msb 1                        ;  msbs: dst=0 src0=1 src1=0 src2=0
	v_mul_i32_i24_e32 v113, v113 /*v369*/, v126
	s_set_vgpr_msb 5                        ;  msbs: dst=0 src0=1 src1=1 src2=0
	v_mul_i32_i24_e32 v114, v109 /*v365*/, v153 /*v409*/
	s_set_vgpr_msb 0                        ;  msbs: dst=0 src0=0 src1=0 src2=0
	v_add3_u32 v12, v12, v84, v112
	s_set_vgpr_msb 0x44                     ;  msbs: dst=1 src0=0 src1=1 src2=0
	v_mul_i32_i24_e32 v223 /*v479*/, v212, v196 /*v452*/
	s_set_vgpr_msb 0x51                     ;  msbs: dst=1 src0=1 src1=0 src2=1
	v_mad_i32_i24 v156 /*v412*/, v173 /*v429*/, v181, v156 /*v412*/
	s_set_vgpr_msb 0x44                     ;  msbs: dst=1 src0=0 src1=1 src2=0
	v_mul_i32_i24_e32 v224 /*v480*/, v210, v197 /*v453*/
	s_set_vgpr_msb 5                        ;  msbs: dst=0 src0=1 src1=1 src2=0
	v_mul_i32_i24_e32 v115, v122 /*v378*/, v170 /*v426*/
	v_mul_i32_i24_e32 v126, v119 /*v375*/, v171 /*v427*/
	s_set_vgpr_msb 0                        ;  msbs: dst=0 src0=0 src1=0 src2=0
	v_add3_u32 v12, v12, v113, v114
	s_set_vgpr_msb 0x55                     ;  msbs: dst=1 src0=1 src1=1 src2=1
	v_add3_u32 v156 /*v412*/, v156 /*v412*/, v157 /*v413*/, v158 /*v414*/
	s_set_vgpr_msb 0x41                     ;  msbs: dst=1 src0=1 src1=0 src2=0
	v_mul_i32_i24_e32 v225 /*v481*/, v198 /*v454*/, v213
	s_set_vgpr_msb 0x45                     ;  msbs: dst=1 src0=1 src1=1 src2=0
	v_mul_i32_i24_e32 v153 /*v409*/, v127 /*v383*/, v172 /*v428*/
	s_set_vgpr_msb 0                        ;  msbs: dst=0 src0=0 src1=0 src2=0
	v_mul_i32_i24_e32 v8, v118, v8
	v_add3_u32 v12, v12, v115, v126
	s_set_vgpr_msb 0x55                     ;  msbs: dst=1 src0=1 src1=1 src2=1
	v_add3_u32 v156 /*v412*/, v156 /*v412*/, v159 /*v415*/, v202 /*v458*/
	s_set_vgpr_msb 5                        ;  msbs: dst=0 src0=1 src1=1 src2=0
	v_mul_i32_i24_e32 v13, v111 /*v367*/, v154 /*v410*/
	v_mul_i32_i24_e32 v14, v136 /*v392*/, v177 /*v433*/
	v_mad_i32_i24 v8, v134 /*v390*/, v173 /*v429*/, v8
	v_mul_i32_i24_e32 v15, v101 /*v357*/, v155 /*v411*/
	s_set_vgpr_msb 0x55                     ;  msbs: dst=1 src0=1 src1=1 src2=1
	v_add3_u32 v156 /*v412*/, v156 /*v412*/, v203 /*v459*/, v204 /*v460*/
	s_set_vgpr_msb 5                        ;  msbs: dst=0 src0=1 src1=1 src2=0
	v_mul_i32_i24_e32 v16, v140 /*v396*/, v178 /*v434*/
	v_mul_i32_i24_e32 v18, v139 /*v395*/, v179 /*v435*/
	v_mul_i32_i24_e32 v20, v138 /*v394*/, v180 /*v436*/
	v_mul_i32_i24_e32 v21, v102 /*v358*/, v181 /*v437*/
	s_set_vgpr_msb 0x55                     ;  msbs: dst=1 src0=1 src1=1 src2=1
	v_add3_u32 v156 /*v412*/, v156 /*v412*/, v205 /*v461*/, v206 /*v462*/
	s_set_vgpr_msb 5                        ;  msbs: dst=0 src0=1 src1=1 src2=0
	v_mul_i32_i24_e32 v22, v143 /*v399*/, v182 /*v438*/
	v_mul_i32_i24_e32 v24, v142 /*v398*/, v183 /*v439*/
	v_mul_i32_i24_e32 v26, v141 /*v397*/, v184 /*v440*/
	;; [unrolled: 7-line block ×5, first 2 shown]
	v_mul_i32_i24_e32 v113, v106 /*v362*/, v197 /*v453*/
	s_set_vgpr_msb 0x55                     ;  msbs: dst=1 src0=1 src1=1 src2=1
	v_add3_u32 v156 /*v412*/, v156 /*v412*/, v213 /*v469*/, v214 /*v470*/
	s_set_vgpr_msb 5                        ;  msbs: dst=0 src0=1 src1=1 src2=0
	v_mul_i32_i24_e32 v114, v198 /*v454*/, v114 /*v370*/
	v_mul_i32_i24_e32 v115, v199 /*v455*/, v116 /*v372*/
	s_set_vgpr_msb 0x41                     ;  msbs: dst=1 src0=1 src1=0 src2=0
	v_mul_i32_i24_e32 v157 /*v413*/, v200 /*v456*/, v211
	v_mul_i32_i24_e32 v158 /*v414*/, v201 /*v457*/, v215
	s_set_vgpr_msb 0x55                     ;  msbs: dst=1 src0=1 src1=1 src2=1
	v_add3_u32 v156 /*v412*/, v156 /*v412*/, v215 /*v471*/, v216 /*v472*/
	v_mul_i32_i24_e32 v154 /*v410*/, v201 /*v457*/, v120 /*v376*/
	s_delay_alu instid0(VALU_DEP_2) | instskip(NEXT) | instid1(VALU_DEP_1)
	v_add3_u32 v156 /*v412*/, v156 /*v412*/, v217 /*v473*/, v218 /*v474*/
	v_add3_u32 v156 /*v412*/, v156 /*v412*/, v219 /*v475*/, v220 /*v476*/
	s_delay_alu instid0(VALU_DEP_1) | instskip(NEXT) | instid1(VALU_DEP_1)
	v_add3_u32 v156 /*v412*/, v156 /*v412*/, v221 /*v477*/, v222 /*v478*/
	v_add3_u32 v156 /*v412*/, v156 /*v412*/, v223 /*v479*/, v224 /*v480*/
	s_delay_alu instid0(VALU_DEP_1)
	v_add3_u32 v159 /*v415*/, v156 /*v412*/, v225 /*v481*/, v226 /*v482*/
	s_set_vgpr_msb 0x44                     ;  msbs: dst=1 src0=0 src1=1 src2=0
	v_add3_u32 v156 /*v412*/, v12, v153 /*v409*/, v117
	s_set_vgpr_msb 5                        ;  msbs: dst=0 src0=1 src1=1 src2=0
	v_mul_i32_i24_e32 v12, v135 /*v391*/, v174 /*v430*/
	s_set_vgpr_msb 0x45                     ;  msbs: dst=1 src0=1 src1=1 src2=0
	v_mul_i32_i24_e32 v153 /*v409*/, v200 /*v456*/, v107 /*v363*/
	s_set_vgpr_msb 0                        ;  msbs: dst=0 src0=0 src1=0 src2=0
	s_delay_alu instid0(VALU_DEP_2)
	v_add3_u32 v8, v8, v12, v13
	s_set_vgpr_msb 4                        ;  msbs: dst=0 src0=0 src1=1 src2=0
	v_mul_i32_i24_e32 v12, v119, v175 /*v431*/
	s_set_vgpr_msb 5                        ;  msbs: dst=0 src0=1 src1=1 src2=0
	v_mul_i32_i24_e32 v13, v137 /*v393*/, v176 /*v432*/
	s_set_vgpr_msb 0                        ;  msbs: dst=0 src0=0 src1=0 src2=0
	s_delay_alu instid0(VALU_DEP_1) | instskip(NEXT) | instid1(VALU_DEP_1)
	v_add3_u32 v8, v8, v12, v13
	v_add3_u32 v8, v8, v14, v15
	s_delay_alu instid0(VALU_DEP_1) | instskip(NEXT) | instid1(VALU_DEP_1)
	v_add3_u32 v8, v8, v16, v18
	v_add3_u32 v8, v8, v20, v21
	;; [unrolled: 3-line block ×6, first 2 shown]
	s_set_vgpr_msb 64                       ;  msbs: dst=1 src0=0 src1=0 src2=0
	s_delay_alu instid0(VALU_DEP_1) | instskip(SKIP_2) | instid1(VALU_DEP_1)
	v_add3_u32 v155 /*v411*/, v8, v114, v115
	s_set_vgpr_msb 0                        ;  msbs: dst=0 src0=0 src1=0 src2=0
	v_or_b32_e32 v8, s13, v137
	v_dual_lshlrev_b32 v12, 2, v8 :: v_dual_lshrrev_b32 v8, 1, v8
	ds_load_b128 v[112:115], v12 offset:16896
	s_set_vgpr_msb 64                       ;  msbs: dst=1 src0=0 src1=0 src2=0
	ds_load_b128 v[202:205] /*v[458:461]*/, v12 offset:16912
	ds_load_b128 v[212:215] /*v[468:471]*/, v12 offset:16928
	;; [unrolled: 1-line block ×3, first 2 shown]
	s_wait_dscnt 0x3
	v_bfe_i32 v199 /*v455*/, v112, 0, 8
	v_bfe_i32 v170 /*v426*/, v112, 8, 8
	;; [unrolled: 1-line block ×3, first 2 shown]
	v_dual_ashrrev_i32 v201 /*v457*/, 24, v112 :: v_dual_ashrrev_i32 v174 /*v430*/, 24, v113
	v_bfe_i32 v175 /*v431*/, v114, 0, 8
	v_bfe_i32 v176 /*v432*/, v114, 8, 8
	;; [unrolled: 1-line block ×3, first 2 shown]
	v_dual_ashrrev_i32 v178 /*v434*/, 24, v114 :: v_dual_ashrrev_i32 v182 /*v438*/, 24, v115
	v_bfe_i32 v179 /*v435*/, v115, 0, 8
	v_bfe_i32 v180 /*v436*/, v115, 8, 8
	;; [unrolled: 1-line block ×3, first 2 shown]
	s_set_vgpr_msb 0                        ;  msbs: dst=0 src0=0 src1=0 src2=0
	ds_load_b64 v[114:115], v8 offset:27200
	s_set_vgpr_msb 5                        ;  msbs: dst=0 src0=1 src1=1 src2=0
	v_mul_i32_i24_e32 v8, v199 /*v455*/, v27 /*v283*/
	s_set_vgpr_msb 64                       ;  msbs: dst=1 src0=0 src1=0 src2=0
	v_bfe_i32 v171 /*v427*/, v113, 0, 8
	v_bfe_i32 v172 /*v428*/, v113, 8, 8
	s_set_vgpr_msb 5                        ;  msbs: dst=0 src0=1 src1=1 src2=0
	v_mul_i32_i24_e32 v12, v200 /*v456*/, v28 /*v284*/
	v_mul_i32_i24_e32 v13, v201 /*v457*/, v29 /*v285*/
	v_mad_i32_i24 v8, v170 /*v426*/, v26 /*v282*/, v8
	s_set_vgpr_msb 64                       ;  msbs: dst=1 src0=0 src1=0 src2=0
	v_bfe_i32 v173 /*v429*/, v113, 16, 8
	s_wait_dscnt 0x2
	s_set_vgpr_msb 0x41                     ;  msbs: dst=1 src0=1 src1=0 src2=0
	v_bfe_i32 v231 /*v487*/, v212 /*v468*/, 0, 8
	v_bfe_i32 v183 /*v439*/, v202 /*v458*/, 0, 8
	;; [unrolled: 1-line block ×3, first 2 shown]
	s_set_vgpr_msb 0                        ;  msbs: dst=0 src0=0 src1=0 src2=0
	v_add3_u32 v8, v8, v12, v13
	s_set_vgpr_msb 5                        ;  msbs: dst=0 src0=1 src1=1 src2=0
	v_mul_i32_i24_e32 v12, v171 /*v427*/, v30 /*v286*/
	v_mul_i32_i24_e32 v13, v172 /*v428*/, v31 /*v287*/
	s_set_vgpr_msb 0x41                     ;  msbs: dst=1 src0=1 src1=0 src2=0
	v_bfe_i32 v185 /*v441*/, v202 /*v458*/, 16, 8
	s_set_vgpr_msb 0x44                     ;  msbs: dst=1 src0=0 src1=1 src2=0
	v_dual_ashrrev_i32 v186 /*v442*/, 24, v202 /*v458*/ :: v_dual_ashrrev_i32 v190 /*v446*/, 24, v203 /*v459*/
	s_set_vgpr_msb 0x41                     ;  msbs: dst=1 src0=1 src1=0 src2=0
	v_bfe_i32 v202 /*v458*/, v212 /*v468*/, 8, 8
	v_bfe_i32 v232 /*v488*/, v212 /*v468*/, 16, 8
	s_set_vgpr_msb 0x44                     ;  msbs: dst=1 src0=0 src1=1 src2=0
	v_dual_ashrrev_i32 v233 /*v489*/, 24, v212 /*v468*/ :: v_dual_ashrrev_i32 v206 /*v462*/, 24, v213 /*v469*/
	s_set_vgpr_msb 5                        ;  msbs: dst=0 src0=1 src1=1 src2=0
	v_mul_i32_i24_e32 v14, v173 /*v429*/, v32 /*v288*/
	v_mul_i32_i24_e32 v15, v174 /*v430*/, v33 /*v289*/
	s_set_vgpr_msb 0                        ;  msbs: dst=0 src0=0 src1=0 src2=0
	v_add3_u32 v8, v8, v12, v13
	s_set_vgpr_msb 5                        ;  msbs: dst=0 src0=1 src1=1 src2=0
	v_mul_i32_i24_e32 v12, v231 /*v487*/, v73 /*v329*/
	s_set_vgpr_msb 0x41                     ;  msbs: dst=1 src0=1 src1=0 src2=0
	v_bfe_i32 v187 /*v443*/, v203 /*v459*/, 0, 8
	v_bfe_i32 v188 /*v444*/, v203 /*v459*/, 8, 8
	v_bfe_i32 v189 /*v445*/, v203 /*v459*/, 16, 8
	v_bfe_i32 v191 /*v447*/, v204 /*v460*/, 0, 8
	v_bfe_i32 v192 /*v448*/, v204 /*v460*/, 8, 8
	v_bfe_i32 v193 /*v449*/, v204 /*v460*/, 16, 8
	s_set_vgpr_msb 0x44                     ;  msbs: dst=1 src0=0 src1=1 src2=0
	v_dual_ashrrev_i32 v194 /*v450*/, 24, v204 /*v460*/ :: v_dual_ashrrev_i32 v198 /*v454*/, 24, v205 /*v461*/
	s_set_vgpr_msb 0x41                     ;  msbs: dst=1 src0=1 src1=0 src2=0
	v_bfe_i32 v203 /*v459*/, v213 /*v469*/, 0, 8
	v_bfe_i32 v204 /*v460*/, v213 /*v469*/, 8, 8
	s_set_vgpr_msb 5                        ;  msbs: dst=0 src0=1 src1=1 src2=0
	v_mul_i32_i24_e32 v16, v175 /*v431*/, v35 /*v291*/
	v_mul_i32_i24_e32 v18, v176 /*v432*/, v36 /*v292*/
	s_set_vgpr_msb 0                        ;  msbs: dst=0 src0=0 src1=0 src2=0
	v_add3_u32 v8, v8, v14, v15
	s_set_vgpr_msb 5                        ;  msbs: dst=0 src0=1 src1=1 src2=0
	v_mul_i32_i24_e32 v13, v232 /*v488*/, v70 /*v326*/
	v_mul_i32_i24_e32 v14, v233 /*v489*/, v77 /*v333*/
	v_mad_i32_i24 v12, v202 /*v458*/, v72 /*v328*/, v12
	s_set_vgpr_msb 0x41                     ;  msbs: dst=1 src0=1 src1=0 src2=0
	v_bfe_i32 v195 /*v451*/, v205 /*v461*/, 0, 8
	v_bfe_i32 v196 /*v452*/, v205 /*v461*/, 8, 8
	;; [unrolled: 1-line block ×4, first 2 shown]
	s_set_vgpr_msb 5                        ;  msbs: dst=0 src0=1 src1=1 src2=0
	v_mul_i32_i24_e32 v20, v177 /*v433*/, v37 /*v293*/
	v_mul_i32_i24_e32 v21, v178 /*v434*/, v38 /*v294*/
	s_set_vgpr_msb 0                        ;  msbs: dst=0 src0=0 src1=0 src2=0
	v_add3_u32 v8, v8, v16, v18
	v_add3_u32 v12, v12, v13, v14
	s_set_vgpr_msb 5                        ;  msbs: dst=0 src0=1 src1=1 src2=0
	v_mul_i32_i24_e32 v13, v203 /*v459*/, v82 /*v338*/
	v_mul_i32_i24_e32 v14, v204 /*v460*/, v85 /*v341*/
	s_set_vgpr_msb 0x41                     ;  msbs: dst=1 src0=1 src1=0 src2=0
	v_bfe_i32 v207 /*v463*/, v214 /*v470*/, 0, 8
	v_bfe_i32 v208 /*v464*/, v214 /*v470*/, 8, 8
	s_set_vgpr_msb 5                        ;  msbs: dst=0 src0=1 src1=1 src2=0
	v_mul_i32_i24_e32 v22, v179 /*v435*/, v39 /*v295*/
	v_mul_i32_i24_e32 v24, v180 /*v436*/, v41 /*v297*/
	s_set_vgpr_msb 0                        ;  msbs: dst=0 src0=0 src1=0 src2=0
	v_add3_u32 v8, v8, v20, v21
	s_set_vgpr_msb 5                        ;  msbs: dst=0 src0=1 src1=1 src2=0
	v_mul_i32_i24_e32 v15, v205 /*v461*/, v75 /*v331*/
	v_mul_i32_i24_e32 v16, v206 /*v462*/, v87 /*v343*/
	s_set_vgpr_msb 0                        ;  msbs: dst=0 src0=0 src1=0 src2=0
	v_add3_u32 v12, v12, v13, v14
	s_set_vgpr_msb 0x41                     ;  msbs: dst=1 src0=1 src1=0 src2=0
	v_bfe_i32 v209 /*v465*/, v214 /*v470*/, 16, 8
	s_set_vgpr_msb 0x44                     ;  msbs: dst=1 src0=0 src1=1 src2=0
	v_dual_ashrrev_i32 v210 /*v466*/, 24, v214 /*v470*/ :: v_dual_ashrrev_i32 v214 /*v470*/, 24, v215 /*v471*/
	s_set_vgpr_msb 5                        ;  msbs: dst=0 src0=1 src1=1 src2=0
	v_mul_i32_i24_e32 v26, v181 /*v437*/, v43 /*v299*/
	v_mul_i32_i24_e32 v27, v182 /*v438*/, v44 /*v300*/
	s_set_vgpr_msb 0                        ;  msbs: dst=0 src0=0 src1=0 src2=0
	v_add3_u32 v8, v8, v22, v24
	s_set_vgpr_msb 5                        ;  msbs: dst=0 src0=1 src1=1 src2=0
	v_mul_i32_i24_e32 v18, v207 /*v463*/, v89 /*v345*/
	v_mul_i32_i24_e32 v20, v208 /*v464*/, v92 /*v348*/
	s_set_vgpr_msb 0                        ;  msbs: dst=0 src0=0 src1=0 src2=0
	v_add3_u32 v12, v12, v15, v16
	s_set_vgpr_msb 0x41                     ;  msbs: dst=1 src0=1 src1=0 src2=0
	v_bfe_i32 v211 /*v467*/, v215 /*v471*/, 0, 8
	v_bfe_i32 v212 /*v468*/, v215 /*v471*/, 8, 8
	s_set_vgpr_msb 5                        ;  msbs: dst=0 src0=1 src1=1 src2=0
	v_mul_i32_i24_e32 v28, v183 /*v439*/, v49 /*v305*/
	v_mul_i32_i24_e32 v29, v184 /*v440*/, v51 /*v307*/
	s_set_vgpr_msb 0                        ;  msbs: dst=0 src0=0 src1=0 src2=0
	v_add3_u32 v8, v8, v26, v27
	s_set_vgpr_msb 5                        ;  msbs: dst=0 src0=1 src1=1 src2=0
	v_mul_i32_i24_e32 v21, v209 /*v465*/, v86 /*v342*/
	v_mul_i32_i24_e32 v22, v210 /*v466*/, v94 /*v350*/
	s_set_vgpr_msb 0                        ;  msbs: dst=0 src0=0 src1=0 src2=0
	v_add3_u32 v12, v12, v18, v20
	s_set_vgpr_msb 0x41                     ;  msbs: dst=1 src0=1 src1=0 src2=0
	v_bfe_i32 v213 /*v469*/, v215 /*v471*/, 16, 8
	s_set_vgpr_msb 5                        ;  msbs: dst=0 src0=1 src1=1 src2=0
	v_mul_i32_i24_e32 v30, v185 /*v441*/, v53 /*v309*/
	v_mul_i32_i24_e32 v31, v186 /*v442*/, v54 /*v310*/
	s_set_vgpr_msb 0                        ;  msbs: dst=0 src0=0 src1=0 src2=0
	v_add3_u32 v8, v8, v28, v29
	s_set_vgpr_msb 5                        ;  msbs: dst=0 src0=1 src1=1 src2=0
	v_mul_i32_i24_e32 v24, v211 /*v467*/, v96 /*v352*/
	v_mul_i32_i24_e32 v26, v212 /*v468*/, v97 /*v353*/
	s_set_vgpr_msb 0                        ;  msbs: dst=0 src0=0 src1=0 src2=0
	v_add3_u32 v12, v12, v21, v22
	s_wait_dscnt 0x1
	s_set_vgpr_msb 0x41                     ;  msbs: dst=1 src0=1 src1=0 src2=0
	v_bfe_i32 v215 /*v471*/, v234 /*v490*/, 0, 8
	v_bfe_i32 v216 /*v472*/, v234 /*v490*/, 8, 8
	s_set_vgpr_msb 5                        ;  msbs: dst=0 src0=1 src1=1 src2=0
	v_mul_i32_i24_e32 v38, v58 /*v314*/, v187 /*v443*/
	v_mul_i32_i24_e32 v40, v55 /*v311*/, v188 /*v444*/
	s_set_vgpr_msb 0                        ;  msbs: dst=0 src0=0 src1=0 src2=0
	v_add3_u32 v8, v8, v30, v31
	s_set_vgpr_msb 5                        ;  msbs: dst=0 src0=1 src1=1 src2=0
	v_mul_i32_i24_e32 v27, v213 /*v469*/, v93 /*v349*/
	v_mul_i32_i24_e32 v28, v214 /*v470*/, v100 /*v356*/
	s_set_vgpr_msb 0                        ;  msbs: dst=0 src0=0 src1=0 src2=0
	v_add3_u32 v12, v12, v24, v26
	s_set_vgpr_msb 0x41                     ;  msbs: dst=1 src0=1 src1=0 src2=0
	v_bfe_i32 v217 /*v473*/, v234 /*v490*/, 16, 8
	s_set_vgpr_msb 0x44                     ;  msbs: dst=1 src0=0 src1=1 src2=0
	v_dual_ashrrev_i32 v218 /*v474*/, 24, v234 /*v490*/ :: v_dual_ashrrev_i32 v222 /*v478*/, 24, v235 /*v491*/
	s_set_vgpr_msb 5                        ;  msbs: dst=0 src0=1 src1=1 src2=0
	v_mul_i32_i24_e32 v42, v62 /*v318*/, v189 /*v445*/
	v_mul_i32_i24_e32 v44, v59 /*v315*/, v190 /*v446*/
	s_set_vgpr_msb 0                        ;  msbs: dst=0 src0=0 src1=0 src2=0
	v_add3_u32 v8, v8, v38, v40
	s_set_vgpr_msb 5                        ;  msbs: dst=0 src0=1 src1=1 src2=0
	v_mul_i32_i24_e32 v29, v215 /*v471*/, v110 /*v366*/
	v_mul_i32_i24_e32 v30, v216 /*v472*/, v112 /*v368*/
	s_set_vgpr_msb 0                        ;  msbs: dst=0 src0=0 src1=0 src2=0
	v_add3_u32 v12, v12, v27, v28
	s_set_vgpr_msb 0x41                     ;  msbs: dst=1 src0=1 src1=0 src2=0
	v_bfe_i32 v219 /*v475*/, v235 /*v491*/, 0, 8
	v_bfe_i32 v220 /*v476*/, v235 /*v491*/, 8, 8
	s_set_vgpr_msb 5                        ;  msbs: dst=0 src0=1 src1=1 src2=0
	v_mul_i32_i24_e32 v46, v67 /*v323*/, v191 /*v447*/
	v_mul_i32_i24_e32 v84, v64 /*v320*/, v192 /*v448*/
	s_set_vgpr_msb 0                        ;  msbs: dst=0 src0=0 src1=0 src2=0
	v_add3_u32 v8, v8, v42, v44
	s_set_vgpr_msb 5                        ;  msbs: dst=0 src0=1 src1=1 src2=0
	v_mul_i32_i24_e32 v31, v217 /*v473*/, v98 /*v354*/
	v_mul_i32_i24_e32 v38, v218 /*v474*/, v115 /*v371*/
	s_set_vgpr_msb 0                        ;  msbs: dst=0 src0=0 src1=0 src2=0
	v_add3_u32 v12, v12, v29, v30
	s_set_vgpr_msb 0x41                     ;  msbs: dst=1 src0=1 src1=0 src2=0
	v_bfe_i32 v221 /*v477*/, v235 /*v491*/, 16, 8
	s_set_vgpr_msb 5                        ;  msbs: dst=0 src0=1 src1=1 src2=0
	v_mul_i32_i24_e32 v112, v71 /*v327*/, v193 /*v449*/
	v_mul_i32_i24_e32 v113, v68 /*v324*/, v194 /*v450*/
	s_set_vgpr_msb 0                        ;  msbs: dst=0 src0=0 src1=0 src2=0
	v_add3_u32 v8, v8, v46, v84
	s_set_vgpr_msb 5                        ;  msbs: dst=0 src0=1 src1=1 src2=0
	v_mul_i32_i24_e32 v40, v117 /*v373*/, v219 /*v475*/
	v_mul_i32_i24_e32 v42, v118 /*v374*/, v220 /*v476*/
	s_set_vgpr_msb 0                        ;  msbs: dst=0 src0=0 src1=0 src2=0
	v_add3_u32 v12, v12, v31, v38
	s_set_vgpr_msb 0x41                     ;  msbs: dst=1 src0=1 src1=0 src2=0
	v_bfe_i32 v223 /*v479*/, v236 /*v492*/, 0, 8
	v_bfe_i32 v224 /*v480*/, v236 /*v492*/, 8, 8
	s_set_vgpr_msb 5                        ;  msbs: dst=0 src0=1 src1=1 src2=0
	v_mul_i32_i24_e32 v126, v79 /*v335*/, v195 /*v451*/
	s_set_vgpr_msb 0x45                     ;  msbs: dst=1 src0=1 src1=1 src2=0
	v_mul_i32_i24_e32 v26 /*v282*/, v74 /*v330*/, v196 /*v452*/
	s_set_vgpr_msb 0                        ;  msbs: dst=0 src0=0 src1=0 src2=0
	v_add3_u32 v8, v8, v112, v113
	s_set_vgpr_msb 5                        ;  msbs: dst=0 src0=1 src1=1 src2=0
	v_mul_i32_i24_e32 v44, v124 /*v380*/, v221 /*v477*/
	v_mul_i32_i24_e32 v46, v121 /*v377*/, v222 /*v478*/
	s_set_vgpr_msb 0                        ;  msbs: dst=0 src0=0 src1=0 src2=0
	v_add3_u32 v12, v12, v40, v42
	s_set_vgpr_msb 0x41                     ;  msbs: dst=1 src0=1 src1=0 src2=0
	v_bfe_i32 v225 /*v481*/, v236 /*v492*/, 16, 8
	s_set_vgpr_msb 0x45                     ;  msbs: dst=1 src0=1 src1=1 src2=0
	v_dual_ashrrev_i32 v226 /*v482*/, 24, v236 /*v492*/ :: v_dual_ashrrev_i32 v230 /*v486*/, 24, v237 /*v493*/
	v_mul_i32_i24_e32 v27 /*v283*/, v84 /*v340*/, v197 /*v453*/
	v_mul_i32_i24_e32 v28 /*v284*/, v80 /*v336*/, v198 /*v454*/
	s_set_vgpr_msb 16                       ;  msbs: dst=0 src0=0 src1=0 src2=1
	v_add3_u32 v8, v8, v126, v26 /*v282*/
	s_set_vgpr_msb 5                        ;  msbs: dst=0 src0=1 src1=1 src2=0
	v_mul_i32_i24_e32 v84, v125 /*v381*/, v223 /*v479*/
	v_mul_i32_i24_e32 v112, v126 /*v382*/, v224 /*v480*/
	s_set_vgpr_msb 0                        ;  msbs: dst=0 src0=0 src1=0 src2=0
	v_add3_u32 v12, v12, v44, v46
	s_set_vgpr_msb 0x41                     ;  msbs: dst=1 src0=1 src1=0 src2=0
	v_bfe_i32 v227 /*v483*/, v237 /*v493*/, 0, 8
	v_bfe_i32 v228 /*v484*/, v237 /*v493*/, 8, 8
	s_set_vgpr_msb 20                       ;  msbs: dst=0 src0=0 src1=1 src2=1
	v_add3_u32 v8, v8, v27 /*v283*/, v28 /*v284*/
	s_set_vgpr_msb 5                        ;  msbs: dst=0 src0=1 src1=1 src2=0
	v_mul_i32_i24_e32 v113, v130 /*v386*/, v225 /*v481*/
	v_mul_i32_i24_e32 v126, v128 /*v384*/, v226 /*v482*/
	s_set_vgpr_msb 0                        ;  msbs: dst=0 src0=0 src1=0 src2=0
	v_add3_u32 v12, v12, v84, v112
	s_set_vgpr_msb 0x45                     ;  msbs: dst=1 src0=1 src1=1 src2=0
	v_mul_i32_i24_e32 v28 /*v284*/, v227 /*v483*/, v131 /*v387*/
	v_mul_i32_i24_e32 v29 /*v285*/, v228 /*v484*/, v132 /*v388*/
	s_set_vgpr_msb 0                        ;  msbs: dst=0 src0=0 src1=0 src2=0
	v_mul_lo_u32 v8, v8, v101
	s_set_vgpr_msb 0x41                     ;  msbs: dst=1 src0=1 src1=0 src2=0
	v_bfe_i32 v229 /*v485*/, v237 /*v493*/, 16, 8
	s_set_vgpr_msb 0                        ;  msbs: dst=0 src0=0 src1=0 src2=0
	v_add3_u32 v12, v12, v113, v126
	s_set_vgpr_msb 0x45                     ;  msbs: dst=1 src0=1 src1=1 src2=0
	v_mul_i32_i24_e32 v27 /*v283*/, v230 /*v486*/, v133 /*v389*/
	s_wait_dscnt 0x0
	s_set_vgpr_msb 1                        ;  msbs: dst=0 src0=1 src1=0 src2=0
	v_lshrrev_b32_e32 v117, 16, v114
	v_mul_i32_i24_e32 v13, v201 /*v457*/, v220
	s_set_vgpr_msb 0x45                     ;  msbs: dst=1 src0=1 src1=1 src2=0
	v_mul_i32_i24_e32 v26 /*v282*/, v229 /*v485*/, v129 /*v385*/
	s_set_vgpr_msb 0x54                     ;  msbs: dst=1 src0=0 src1=1 src2=1
	v_add3_u32 v28 /*v284*/, v12, v28 /*v284*/, v29 /*v285*/
	s_set_vgpr_msb 1                        ;  msbs: dst=0 src0=1 src1=0 src2=0
	v_mul_lo_u32 v12, v169 /*v425*/, v101
	s_set_vgpr_msb 0                        ;  msbs: dst=0 src0=0 src1=0 src2=0
	v_cvt_f32_f16_e32 v117, v117
	s_set_vgpr_msb 1                        ;  msbs: dst=0 src0=1 src1=0 src2=0
	v_mul_i32_i24_e32 v14, v173 /*v429*/, v223
	s_set_vgpr_msb 64                       ;  msbs: dst=1 src0=0 src1=0 src2=0
	v_cvt_f32_i32_e32 v31 /*v287*/, v8
	s_set_vgpr_msb 21                       ;  msbs: dst=0 src0=1 src1=1 src2=1
	v_add3_u32 v8, v28 /*v284*/, v26 /*v282*/, v27 /*v283*/
	s_set_vgpr_msb 1                        ;  msbs: dst=0 src0=1 src1=0 src2=0
	v_mul_i32_i24_e32 v15, v174 /*v430*/, v224
	s_set_vgpr_msb 64                       ;  msbs: dst=1 src0=0 src1=0 src2=0
	v_pk_fma_f32 v[32:33] /*v[288:289]*/, v[98:99], v[116:117], 0 op_sel_hi:[0,1,0]
	s_set_vgpr_msb 1                        ;  msbs: dst=0 src0=1 src1=0 src2=0
	v_mul_i32_i24_e32 v16, v175 /*v431*/, v225
	v_mul_i32_i24_e32 v18, v176 /*v432*/, v226
	s_set_vgpr_msb 0                        ;  msbs: dst=0 src0=0 src1=0 src2=0
	v_mul_lo_u32 v8, v8, v99
	s_set_vgpr_msb 1                        ;  msbs: dst=0 src0=1 src1=0 src2=0
	v_mul_i32_i24_e32 v20, v177 /*v433*/, v227
	s_set_vgpr_msb 64                       ;  msbs: dst=1 src0=0 src1=0 src2=0
	v_cvt_f32_i32_e32 v30 /*v286*/, v12
	s_set_vgpr_msb 21                       ;  msbs: dst=0 src0=1 src1=1 src2=1
	v_add3_u32 v12, v167 /*v423*/, v165 /*v421*/, v166 /*v422*/
	s_set_vgpr_msb 1                        ;  msbs: dst=0 src0=1 src1=0 src2=0
	v_mul_i32_i24_e32 v21, v178 /*v434*/, v228
	v_mul_i32_i24_e32 v22, v179 /*v435*/, v229
	v_mul_i32_i24_e32 v24, v180 /*v436*/, v230
	v_mul_i32_i24_e32 v26, v181 /*v437*/, v231
	s_set_vgpr_msb 0                        ;  msbs: dst=0 src0=0 src1=0 src2=0
	v_mul_lo_u32 v12, v12, v99
	s_set_vgpr_msb 1                        ;  msbs: dst=0 src0=1 src1=0 src2=0
	v_mul_i32_i24_e32 v27, v182 /*v438*/, v232
	s_set_vgpr_msb 64                       ;  msbs: dst=1 src0=0 src1=0 src2=0
	v_lshrrev_b32_e32 v234 /*v490*/, 16, v115
	s_set_vgpr_msb 0                        ;  msbs: dst=0 src0=0 src1=0 src2=0
	v_cvt_f32_i32_e32 v99, v8
	s_set_vgpr_msb 1                        ;  msbs: dst=0 src0=1 src1=0 src2=0
	v_mul_i32_i24_e32 v8, v199 /*v455*/, v218
	v_mul_i32_i24_e32 v28, v183 /*v439*/, v233
	;; [unrolled: 1-line block ×3, first 2 shown]
	s_set_vgpr_msb 0                        ;  msbs: dst=0 src0=0 src1=0 src2=0
	v_cvt_f32_f16_e32 v113, v114
	v_cvt_f32_f16_e32 v112, v110
	s_set_vgpr_msb 1                        ;  msbs: dst=0 src0=1 src1=0 src2=0
	v_mad_i32_i24 v8, v170 /*v426*/, v217, v8
	s_set_vgpr_msb 0                        ;  msbs: dst=0 src0=0 src1=0 src2=0
	v_cvt_f32_f16_e32 v114, v111
	v_cvt_f32_i32_e32 v98, v12
	s_set_vgpr_msb 1                        ;  msbs: dst=0 src0=1 src1=0 src2=0
	v_mul_i32_i24_e32 v12, v200 /*v456*/, v219
	v_cvt_f32_f16_e64 v111, v234 /*v490*/
	v_cvt_f32_f16_e64 v110, v168 /*v424*/
	v_mul_i32_i24_e32 v30, v185 /*v441*/, v235
	v_mul_i32_i24_e32 v31, v186 /*v442*/, v236
	s_set_vgpr_msb 0                        ;  msbs: dst=0 src0=0 src1=0 src2=0
	v_add3_u32 v8, v8, v12, v13
	s_set_vgpr_msb 1                        ;  msbs: dst=0 src0=1 src1=0 src2=0
	v_mul_i32_i24_e32 v12, v171 /*v427*/, v221
	v_mul_i32_i24_e32 v13, v172 /*v428*/, v222
	s_set_vgpr_msb 0                        ;  msbs: dst=0 src0=0 src1=0 src2=0
	v_cvt_f32_f16_e32 v115, v115
	s_set_vgpr_msb 0x44                     ;  msbs: dst=1 src0=0 src1=1 src2=0
	v_pk_fma_f32 v[30:31] /*v[286:287]*/, v[112:113], v[30:31] /*v[286:287]*/, 0 op_sel_hi:[1,1,0]
	s_set_vgpr_msb 16                       ;  msbs: dst=0 src0=0 src1=0 src2=1
	v_pk_fma_f32 v[100:101], v[100:101], v[110:111], v[32:33] /*v[288:289]*/ op_sel_hi:[0,1,1]
	s_set_vgpr_msb 4                        ;  msbs: dst=0 src0=0 src1=1 src2=0
	v_mul_i32_i24_e32 v38, v238, v187 /*v443*/
	s_set_vgpr_msb 0                        ;  msbs: dst=0 src0=0 src1=0 src2=0
	v_add3_u32 v8, v8, v12, v13
	s_set_vgpr_msb 1                        ;  msbs: dst=0 src0=1 src1=0 src2=0
	v_mul_i32_i24_e32 v12, v231 /*v487*/, v247
	v_mul_i32_i24_e32 v13, v232 /*v488*/, v244
	s_set_vgpr_msb 4                        ;  msbs: dst=0 src0=0 src1=1 src2=0
	v_mul_i32_i24_e32 v40, v237, v188 /*v444*/
	s_set_vgpr_msb 16                       ;  msbs: dst=0 src0=0 src1=0 src2=1
	v_pk_fma_f32 v[98:99], v[114:115], v[98:99], v[30:31] /*v[286:287]*/
	s_set_vgpr_msb 0                        ;  msbs: dst=0 src0=0 src1=0 src2=0
	v_add3_u32 v8, v8, v14, v15
	s_set_vgpr_msb 1                        ;  msbs: dst=0 src0=1 src1=0 src2=0
	v_mul_i32_i24_e32 v14, v233 /*v489*/, v250
	v_mad_i32_i24 v12, v202 /*v458*/, v246, v12
	v_mul_i32_i24_e32 v15, v205 /*v461*/, v249
	s_set_vgpr_msb 0                        ;  msbs: dst=0 src0=0 src1=0 src2=0
	v_pk_mul_f32 v[100:101], v[100:101], v[86:87]
	v_add3_u32 v8, v8, v16, v18
	s_set_vgpr_msb 5                        ;  msbs: dst=0 src0=1 src1=1 src2=0
	v_mul_i32_i24_e32 v16, v206 /*v462*/, v1 /*v257*/
	s_set_vgpr_msb 0                        ;  msbs: dst=0 src0=0 src1=0 src2=0
	v_add3_u32 v12, v12, v13, v14
	s_set_vgpr_msb 1                        ;  msbs: dst=0 src0=1 src1=0 src2=0
	v_mul_i32_i24_e32 v13, v203 /*v459*/, v253
	v_mul_i32_i24_e32 v14, v204 /*v460*/, v255
	s_set_vgpr_msb 0                        ;  msbs: dst=0 src0=0 src1=0 src2=0
	v_add3_u32 v8, v8, v20, v21
	s_set_vgpr_msb 5                        ;  msbs: dst=0 src0=1 src1=1 src2=0
	v_mul_i32_i24_e32 v18, v207 /*v463*/, v2 /*v258*/
	v_mul_i32_i24_e32 v20, v208 /*v464*/, v3 /*v259*/
	v_mul_i32_i24_e32 v21, v209 /*v465*/, v0 /*v256*/
	s_set_vgpr_msb 0                        ;  msbs: dst=0 src0=0 src1=0 src2=0
	v_add3_u32 v12, v12, v13, v14
	v_add3_u32 v8, v8, v22, v24
	s_set_vgpr_msb 5                        ;  msbs: dst=0 src0=1 src1=1 src2=0
	v_mul_i32_i24_e32 v22, v210 /*v466*/, v5 /*v261*/
	v_mul_i32_i24_e32 v24, v211 /*v467*/, v6 /*v262*/
	s_set_vgpr_msb 4                        ;  msbs: dst=0 src0=0 src1=1 src2=0
	v_mul_i32_i24_e32 v42, v240, v189 /*v445*/
	s_set_vgpr_msb 0                        ;  msbs: dst=0 src0=0 src1=0 src2=0
	v_add3_u32 v12, v12, v15, v16
	v_add3_u32 v8, v8, v26, v27
	s_set_vgpr_msb 5                        ;  msbs: dst=0 src0=1 src1=1 src2=0
	v_mul_i32_i24_e32 v26, v212 /*v468*/, v7 /*v263*/
	v_mul_i32_i24_e32 v27, v213 /*v469*/, v4 /*v260*/
	s_set_vgpr_msb 4                        ;  msbs: dst=0 src0=0 src1=1 src2=0
	v_mul_i32_i24_e32 v44, v239, v190 /*v446*/
	s_set_vgpr_msb 0                        ;  msbs: dst=0 src0=0 src1=0 src2=0
	v_add3_u32 v12, v12, v18, v20
	v_add3_u32 v8, v8, v28, v29
	s_set_vgpr_msb 5                        ;  msbs: dst=0 src0=1 src1=1 src2=0
	v_mul_i32_i24_e32 v28, v214 /*v470*/, v9 /*v265*/
	v_mul_i32_i24_e32 v29, v215 /*v471*/, v10 /*v266*/
	s_set_vgpr_msb 0                        ;  msbs: dst=0 src0=0 src1=0 src2=0
	v_pk_fma_f32 v[98:99], v[98:99], v[0:1], v[100:101] neg_lo:[0,0,1] neg_hi:[0,0,1]
	v_add3_u32 v12, v12, v21, v22
	v_add3_u32 v8, v8, v30, v31
	s_set_vgpr_msb 5                        ;  msbs: dst=0 src0=1 src1=1 src2=0
	v_mul_i32_i24_e32 v30, v216 /*v472*/, v11 /*v267*/
	s_set_vgpr_msb 4                        ;  msbs: dst=0 src0=0 src1=1 src2=0
	v_mul_i32_i24_e32 v46, v242, v191 /*v447*/
	v_mul_i32_i24_e32 v84, v241, v192 /*v448*/
	s_set_vgpr_msb 0                        ;  msbs: dst=0 src0=0 src1=0 src2=0
	v_add3_u32 v12, v12, v24, v26
	v_add3_u32 v8, v8, v38, v40
	s_set_vgpr_msb 5                        ;  msbs: dst=0 src0=1 src1=1 src2=0
	v_mul_i32_i24_e32 v31, v217 /*v473*/, v8 /*v264*/
	v_mul_i32_i24_e32 v38, v218 /*v474*/, v12 /*v268*/
	s_set_vgpr_msb 0                        ;  msbs: dst=0 src0=0 src1=0 src2=0
	v_pk_add_f32 v[48:49], v[48:49], v[98:99]
	v_add3_u32 v12, v12, v27, v28
	v_add3_u32 v8, v8, v42, v44
	s_set_vgpr_msb 4                        ;  msbs: dst=0 src0=0 src1=1 src2=0
	v_mul_i32_i24_e32 v98, v245, v193 /*v449*/
	v_mul_i32_i24_e32 v99, v243, v194 /*v450*/
	s_set_vgpr_msb 5                        ;  msbs: dst=0 src0=1 src1=1 src2=0
	v_mul_i32_i24_e32 v40, v13 /*v269*/, v219 /*v475*/
	s_set_vgpr_msb 0                        ;  msbs: dst=0 src0=0 src1=0 src2=0
	v_add3_u32 v12, v12, v29, v30
	v_add3_u32 v8, v8, v46, v84
	s_set_vgpr_msb 5                        ;  msbs: dst=0 src0=1 src1=1 src2=0
	v_mul_i32_i24_e32 v42, v14 /*v270*/, v220 /*v476*/
	s_set_vgpr_msb 4                        ;  msbs: dst=0 src0=0 src1=1 src2=0
	v_mul_i32_i24_e32 v100, v251, v195 /*v451*/
	v_mul_i32_i24_e32 v101, v248, v196 /*v452*/
	s_set_vgpr_msb 0                        ;  msbs: dst=0 src0=0 src1=0 src2=0
	v_add3_u32 v12, v12, v31, v38
	v_add3_u32 v8, v8, v98, v99
	s_set_vgpr_msb 5                        ;  msbs: dst=0 src0=1 src1=1 src2=0
	v_mul_i32_i24_e32 v44, v16 /*v272*/, v221 /*v477*/
	v_mul_i32_i24_e32 v46, v15 /*v271*/, v222 /*v478*/
	s_set_vgpr_msb 4                        ;  msbs: dst=0 src0=0 src1=1 src2=0
	v_mul_i32_i24_e32 v126, v254, v197 /*v453*/
	s_set_vgpr_msb 0                        ;  msbs: dst=0 src0=0 src1=0 src2=0
	v_add3_u32 v12, v12, v40, v42
	s_set_vgpr_msb 4                        ;  msbs: dst=0 src0=0 src1=1 src2=0
	v_mul_i32_i24_e32 v217, v252, v198 /*v454*/
	s_set_vgpr_msb 0                        ;  msbs: dst=0 src0=0 src1=0 src2=0
	v_add3_u32 v8, v8, v100, v101
	s_set_vgpr_msb 5                        ;  msbs: dst=0 src0=1 src1=1 src2=0
	v_mul_i32_i24_e32 v84, v17 /*v273*/, v223 /*v479*/
	v_mul_i32_i24_e32 v98, v18 /*v274*/, v224 /*v480*/
	s_set_vgpr_msb 0                        ;  msbs: dst=0 src0=0 src1=0 src2=0
	v_add3_u32 v12, v12, v44, v46
	s_set_vgpr_msb 5                        ;  msbs: dst=0 src0=1 src1=1 src2=0
	v_mul_i32_i24_e32 v99, v21 /*v277*/, v225 /*v481*/
	s_set_vgpr_msb 0                        ;  msbs: dst=0 src0=0 src1=0 src2=0
	v_add3_u32 v8, v8, v126, v217
	s_set_vgpr_msb 5                        ;  msbs: dst=0 src0=1 src1=1 src2=0
	v_mul_i32_i24_e32 v100, v19 /*v275*/, v226 /*v482*/
	v_mul_i32_i24_e32 v101, v227 /*v483*/, v22 /*v278*/
	s_set_vgpr_msb 0                        ;  msbs: dst=0 src0=0 src1=0 src2=0
	v_add3_u32 v12, v12, v84, v98
	s_set_vgpr_msb 5                        ;  msbs: dst=0 src0=1 src1=1 src2=0
	v_mul_i32_i24_e32 v126, v228 /*v484*/, v23 /*v279*/
	s_set_vgpr_msb 0                        ;  msbs: dst=0 src0=0 src1=0 src2=0
	v_mul_lo_u32 v8, v8, v216
	s_set_vgpr_msb 5                        ;  msbs: dst=0 src0=1 src1=1 src2=0
	v_mul_i32_i24_e32 v217, v229 /*v485*/, v20 /*v276*/
	v_mul_i32_i24_e32 v218, v230 /*v486*/, v24 /*v280*/
	s_set_vgpr_msb 0                        ;  msbs: dst=0 src0=0 src1=0 src2=0
	v_add3_u32 v12, v12, v99, v100
	s_set_vgpr_msb 1                        ;  msbs: dst=0 src0=1 src1=0 src2=0
	v_mul_lo_u32 v13, v164 /*v420*/, v216
	v_mul_i32_i24_e32 v14, v173 /*v429*/, v158
	v_mul_i32_i24_e32 v15, v174 /*v430*/, v159
	;; [unrolled: 1-line block ×3, first 2 shown]
	s_set_vgpr_msb 0                        ;  msbs: dst=0 src0=0 src1=0 src2=0
	v_add3_u32 v12, v12, v101, v126
	s_set_vgpr_msb 1                        ;  msbs: dst=0 src0=1 src1=0 src2=0
	v_mul_i32_i24_e32 v18, v176 /*v432*/, v161
	v_mul_i32_i24_e32 v20, v177 /*v433*/, v162
	s_set_vgpr_msb 0                        ;  msbs: dst=0 src0=0 src1=0 src2=0
	v_cvt_f32_i32_e32 v99, v8
	s_set_vgpr_msb 1                        ;  msbs: dst=0 src0=1 src1=0 src2=0
	v_mul_i32_i24_e32 v21, v178 /*v434*/, v163
	s_set_vgpr_msb 0                        ;  msbs: dst=0 src0=0 src1=0 src2=0
	v_add3_u32 v8, v12, v217, v218
	s_set_vgpr_msb 21                       ;  msbs: dst=0 src0=1 src1=1 src2=1
	v_add3_u32 v12, v163 /*v419*/, v161 /*v417*/, v162 /*v418*/
	s_set_vgpr_msb 0                        ;  msbs: dst=0 src0=0 src1=0 src2=0
	v_cvt_f32_i32_e32 v98, v13
	s_set_vgpr_msb 1                        ;  msbs: dst=0 src0=1 src1=0 src2=0
	v_mul_i32_i24_e32 v13, v201 /*v457*/, v155
	v_mul_i32_i24_e32 v22, v179 /*v435*/, v164
	s_set_vgpr_msb 0                        ;  msbs: dst=0 src0=0 src1=0 src2=0
	v_mul_lo_u32 v8, v8, v154
	v_mul_lo_u32 v12, v12, v154
	s_set_vgpr_msb 1                        ;  msbs: dst=0 src0=1 src1=0 src2=0
	v_mul_i32_i24_e32 v24, v180 /*v436*/, v165
	v_mul_i32_i24_e32 v26, v181 /*v437*/, v166
	;; [unrolled: 1-line block ×5, first 2 shown]
	s_set_vgpr_msb 0                        ;  msbs: dst=0 src0=0 src1=0 src2=0
	v_pk_fma_f32 v[100:101], v[102:103], v[116:117], 0 op_sel_hi:[0,1,0]
	s_set_vgpr_msb 1                        ;  msbs: dst=0 src0=1 src1=0 src2=0
	v_mul_i32_i24_e32 v30, v185 /*v441*/, v170
	v_mul_i32_i24_e32 v31, v186 /*v442*/, v171
	s_set_vgpr_msb 0                        ;  msbs: dst=0 src0=0 src1=0 src2=0
	v_pk_fma_f32 v[98:99], v[112:113], v[98:99], 0 op_sel_hi:[1,1,0]
	v_cvt_f32_i32_e32 v217, v8
	s_set_vgpr_msb 1                        ;  msbs: dst=0 src0=1 src1=0 src2=0
	v_mul_i32_i24_e32 v8, v199 /*v455*/, v152
	s_set_vgpr_msb 0                        ;  msbs: dst=0 src0=0 src1=0 src2=0
	v_cvt_f32_i32_e32 v216, v12
	s_set_vgpr_msb 1                        ;  msbs: dst=0 src0=1 src1=0 src2=0
	v_mul_i32_i24_e32 v12, v200 /*v456*/, v153
	s_set_vgpr_msb 0                        ;  msbs: dst=0 src0=0 src1=0 src2=0
	v_pk_fma_f32 v[100:101], v[104:105], v[110:111], v[100:101] op_sel_hi:[0,1,1]
	s_set_vgpr_msb 4                        ;  msbs: dst=0 src0=0 src1=1 src2=0
	v_mul_i32_i24_e32 v38, v173, v187 /*v443*/
	s_set_vgpr_msb 1                        ;  msbs: dst=0 src0=1 src1=0 src2=0
	v_mad_i32_i24 v8, v170 /*v426*/, v151, v8
	s_set_vgpr_msb 4                        ;  msbs: dst=0 src0=0 src1=1 src2=0
	v_mul_i32_i24_e32 v40, v172, v188 /*v444*/
	s_set_vgpr_msb 0                        ;  msbs: dst=0 src0=0 src1=0 src2=0
	v_pk_fma_f32 v[98:99], v[114:115], v[216:217], v[98:99]
	v_pk_mul_f32 v[100:101], v[100:101], v[88:89]
	s_set_vgpr_msb 4                        ;  msbs: dst=0 src0=0 src1=1 src2=0
	v_mul_i32_i24_e32 v42, v175, v189 /*v445*/
	s_set_vgpr_msb 0                        ;  msbs: dst=0 src0=0 src1=0 src2=0
	v_add3_u32 v8, v8, v12, v13
	s_set_vgpr_msb 1                        ;  msbs: dst=0 src0=1 src1=0 src2=0
	v_mul_i32_i24_e32 v12, v171 /*v427*/, v156
	v_mul_i32_i24_e32 v13, v172 /*v428*/, v157
	s_set_vgpr_msb 4                        ;  msbs: dst=0 src0=0 src1=1 src2=0
	v_mul_i32_i24_e32 v44, v174, v190 /*v446*/
	s_set_vgpr_msb 0                        ;  msbs: dst=0 src0=0 src1=0 src2=0
	v_pk_fma_f32 v[98:99], v[98:99], v[2:3], v[100:101] neg_lo:[0,0,1] neg_hi:[0,0,1]
	s_set_vgpr_msb 4                        ;  msbs: dst=0 src0=0 src1=1 src2=0
	v_mul_i32_i24_e32 v46, v177, v191 /*v447*/
	v_mul_i32_i24_e32 v84, v176, v192 /*v448*/
	s_set_vgpr_msb 0                        ;  msbs: dst=0 src0=0 src1=0 src2=0
	v_add3_u32 v8, v8, v12, v13
	s_set_vgpr_msb 1                        ;  msbs: dst=0 src0=1 src1=0 src2=0
	v_mul_i32_i24_e32 v12, v231 /*v487*/, v182
	v_mul_i32_i24_e32 v13, v232 /*v488*/, v179
	s_set_vgpr_msb 0                        ;  msbs: dst=0 src0=0 src1=0 src2=0
	v_pk_add_f32 v[54:55], v[54:55], v[98:99]
	s_set_vgpr_msb 4                        ;  msbs: dst=0 src0=0 src1=1 src2=0
	v_mul_i32_i24_e32 v98, v180, v193 /*v449*/
	s_set_vgpr_msb 0                        ;  msbs: dst=0 src0=0 src1=0 src2=0
	v_add3_u32 v8, v8, v14, v15
	s_set_vgpr_msb 1                        ;  msbs: dst=0 src0=1 src1=0 src2=0
	v_mul_i32_i24_e32 v14, v233 /*v489*/, v185
	v_mad_i32_i24 v12, v202 /*v458*/, v181, v12
	v_mul_i32_i24_e32 v15, v205 /*v461*/, v184
	s_set_vgpr_msb 4                        ;  msbs: dst=0 src0=0 src1=1 src2=0
	v_mul_i32_i24_e32 v99, v178, v194 /*v450*/
	s_set_vgpr_msb 0                        ;  msbs: dst=0 src0=0 src1=0 src2=0
	v_add3_u32 v8, v8, v16, v18
	s_set_vgpr_msb 1                        ;  msbs: dst=0 src0=1 src1=0 src2=0
	v_mul_i32_i24_e32 v16, v206 /*v462*/, v192
	s_set_vgpr_msb 0                        ;  msbs: dst=0 src0=0 src1=0 src2=0
	v_add3_u32 v12, v12, v13, v14
	s_set_vgpr_msb 1                        ;  msbs: dst=0 src0=1 src1=0 src2=0
	v_mul_i32_i24_e32 v13, v203 /*v459*/, v188
	v_mul_i32_i24_e32 v14, v204 /*v460*/, v190
	s_set_vgpr_msb 0                        ;  msbs: dst=0 src0=0 src1=0 src2=0
	v_add3_u32 v8, v8, v20, v21
	s_set_vgpr_msb 1                        ;  msbs: dst=0 src0=1 src1=0 src2=0
	v_mul_i32_i24_e32 v18, v207 /*v463*/, v193
	v_mul_i32_i24_e32 v20, v208 /*v464*/, v194
	;; [unrolled: 1-line block ×3, first 2 shown]
	s_set_vgpr_msb 0                        ;  msbs: dst=0 src0=0 src1=0 src2=0
	v_add3_u32 v12, v12, v13, v14
	v_add3_u32 v8, v8, v22, v24
	s_set_vgpr_msb 1                        ;  msbs: dst=0 src0=1 src1=0 src2=0
	v_mul_i32_i24_e32 v22, v210 /*v466*/, v196
	v_mul_i32_i24_e32 v24, v211 /*v467*/, v197
	s_set_vgpr_msb 4                        ;  msbs: dst=0 src0=0 src1=1 src2=0
	v_mul_i32_i24_e32 v100, v186, v195 /*v451*/
	s_set_vgpr_msb 0                        ;  msbs: dst=0 src0=0 src1=0 src2=0
	v_add3_u32 v12, v12, v15, v16
	v_add3_u32 v8, v8, v26, v27
	s_set_vgpr_msb 1                        ;  msbs: dst=0 src0=1 src1=0 src2=0
	v_mul_i32_i24_e32 v26, v212 /*v468*/, v198
	v_mul_i32_i24_e32 v27, v213 /*v469*/, v195
	s_set_vgpr_msb 4                        ;  msbs: dst=0 src0=0 src1=1 src2=0
	v_mul_i32_i24_e32 v101, v183, v196 /*v452*/
	;; [unrolled: 8-line block ×4, first 2 shown]
	s_set_vgpr_msb 0                        ;  msbs: dst=0 src0=0 src1=0 src2=0
	v_add3_u32 v12, v12, v24, v26
	v_add3_u32 v8, v8, v38, v40
	s_set_vgpr_msb 1                        ;  msbs: dst=0 src0=1 src1=0 src2=0
	v_mul_i32_i24_e32 v38, v218 /*v474*/, v203
	s_set_vgpr_msb 4                        ;  msbs: dst=0 src0=0 src1=1 src2=0
	v_mul_i32_i24_e32 v40, v204, v219 /*v475*/
	s_set_vgpr_msb 1                        ;  msbs: dst=0 src0=1 src1=0 src2=0
	v_mul_i32_i24_e32 v126, v230 /*v486*/, v215
	s_set_vgpr_msb 0                        ;  msbs: dst=0 src0=0 src1=0 src2=0
	v_add3_u32 v12, v12, v27, v28
	v_add3_u32 v8, v8, v42, v44
	s_set_vgpr_msb 4                        ;  msbs: dst=0 src0=0 src1=1 src2=0
	v_mul_i32_i24_e32 v42, v205, v220 /*v476*/
	v_mul_i32_i24_e32 v44, v207, v221 /*v477*/
	s_set_vgpr_msb 1                        ;  msbs: dst=0 src0=1 src1=0 src2=0
	v_mul_lo_u32 v13, v160 /*v416*/, v150
	s_set_vgpr_msb 0                        ;  msbs: dst=0 src0=0 src1=0 src2=0
	v_add3_u32 v12, v12, v29, v30
	v_add3_u32 v8, v8, v46, v84
	s_set_vgpr_msb 4                        ;  msbs: dst=0 src0=0 src1=1 src2=0
	v_mul_i32_i24_e32 v46, v206, v222 /*v478*/
	v_mul_i32_i24_e32 v84, v208, v223 /*v479*/
	s_set_vgpr_msb 5                        ;  msbs: dst=0 src0=1 src1=1 src2=0
	v_mul_i32_i24_e32 v14, v173 /*v429*/, v50 /*v306*/
	s_set_vgpr_msb 0                        ;  msbs: dst=0 src0=0 src1=0 src2=0
	v_add3_u32 v12, v12, v31, v38
	v_add3_u32 v8, v8, v98, v99
	s_set_vgpr_msb 4                        ;  msbs: dst=0 src0=0 src1=1 src2=0
	v_mul_i32_i24_e32 v98, v209, v224 /*v480*/
	v_mul_i32_i24_e32 v99, v212, v225 /*v481*/
	s_set_vgpr_msb 5                        ;  msbs: dst=0 src0=1 src1=1 src2=0
	v_mul_i32_i24_e32 v15, v174 /*v430*/, v52 /*v308*/
	s_set_vgpr_msb 0                        ;  msbs: dst=0 src0=0 src1=0 src2=0
	v_add3_u32 v12, v12, v40, v42
	v_add3_u32 v8, v8, v100, v101
	s_set_vgpr_msb 4                        ;  msbs: dst=0 src0=0 src1=1 src2=0
	v_mul_i32_i24_e32 v100, v210, v226 /*v482*/
	s_set_vgpr_msb 1                        ;  msbs: dst=0 src0=1 src1=0 src2=0
	v_mul_i32_i24_e32 v101, v227 /*v483*/, v213
	s_set_vgpr_msb 5                        ;  msbs: dst=0 src0=1 src1=1 src2=0
	v_mul_i32_i24_e32 v16, v175 /*v431*/, v56 /*v312*/
	s_set_vgpr_msb 0                        ;  msbs: dst=0 src0=0 src1=0 src2=0
	v_add3_u32 v12, v12, v44, v46
	v_add3_u32 v8, v8, v102, v104
	s_set_vgpr_msb 1                        ;  msbs: dst=0 src0=1 src1=0 src2=0
	v_mul_i32_i24_e32 v102, v228 /*v484*/, v214
	v_mul_i32_i24_e32 v104, v229 /*v485*/, v211
	s_set_vgpr_msb 5                        ;  msbs: dst=0 src0=1 src1=1 src2=0
	v_mul_i32_i24_e32 v18, v176 /*v432*/, v57 /*v313*/
	s_set_vgpr_msb 0                        ;  msbs: dst=0 src0=0 src1=0 src2=0
	v_add3_u32 v12, v12, v84, v98
	v_mul_lo_u32 v8, v8, v150
	v_cvt_f32_i32_e32 v98, v13
	s_set_vgpr_msb 5                        ;  msbs: dst=0 src0=1 src1=1 src2=0
	v_mul_i32_i24_e32 v13, v201 /*v457*/, v46 /*v302*/
	v_mul_i32_i24_e32 v20, v177 /*v433*/, v60 /*v316*/
	s_set_vgpr_msb 0                        ;  msbs: dst=0 src0=0 src1=0 src2=0
	v_add3_u32 v12, v12, v99, v100
	s_set_vgpr_msb 5                        ;  msbs: dst=0 src0=1 src1=1 src2=0
	v_mul_i32_i24_e32 v21, v178 /*v434*/, v61 /*v317*/
	v_mul_i32_i24_e32 v22, v179 /*v435*/, v63 /*v319*/
	;; [unrolled: 1-line block ×4, first 2 shown]
	s_set_vgpr_msb 0                        ;  msbs: dst=0 src0=0 src1=0 src2=0
	v_add3_u32 v12, v12, v101, v102
	s_set_vgpr_msb 5                        ;  msbs: dst=0 src0=1 src1=1 src2=0
	v_mul_i32_i24_e32 v27, v182 /*v438*/, v69 /*v325*/
	s_set_vgpr_msb 0                        ;  msbs: dst=0 src0=0 src1=0 src2=0
	v_cvt_f32_i32_e32 v99, v8
	s_set_vgpr_msb 5                        ;  msbs: dst=0 src0=1 src1=1 src2=0
	v_mul_i32_i24_e32 v28, v183 /*v439*/, v76 /*v332*/
	v_mul_i32_i24_e32 v29, v184 /*v440*/, v78 /*v334*/
	s_set_vgpr_msb 0                        ;  msbs: dst=0 src0=0 src1=0 src2=0
	v_add3_u32 v8, v12, v104, v126
	s_set_vgpr_msb 21                       ;  msbs: dst=0 src0=1 src1=1 src2=1
	v_add3_u32 v12, v159 /*v415*/, v157 /*v413*/, v158 /*v414*/
	s_set_vgpr_msb 0                        ;  msbs: dst=0 src0=0 src1=0 src2=0
	v_pk_fma_f32 v[100:101], v[94:95], v[116:117], 0 op_sel_hi:[0,1,0]
	s_set_vgpr_msb 5                        ;  msbs: dst=0 src0=1 src1=1 src2=0
	v_mul_i32_i24_e32 v30, v185 /*v441*/, v81 /*v337*/
	v_mul_i32_i24_e32 v31, v186 /*v442*/, v83 /*v339*/
	s_set_vgpr_msb 0                        ;  msbs: dst=0 src0=0 src1=0 src2=0
	v_mul_lo_u32 v8, v8, v97
	v_mul_lo_u32 v12, v12, v97
	v_pk_fma_f32 v[98:99], v[112:113], v[98:99], 0 op_sel_hi:[1,1,0]
	v_pk_fma_f32 v[96:97], v[96:97], v[110:111], v[100:101] op_sel_hi:[0,1,1]
	s_set_vgpr_msb 5                        ;  msbs: dst=0 src0=1 src1=1 src2=0
	v_mul_i32_i24_e32 v38, v90 /*v346*/, v187 /*v443*/
	v_mul_i32_i24_e32 v40, v88 /*v344*/, v188 /*v444*/
	;; [unrolled: 1-line block ×4, first 2 shown]
	s_set_vgpr_msb 0                        ;  msbs: dst=0 src0=0 src1=0 src2=0
	v_pk_mul_f32 v[96:97], v[96:97], v[90:91]
	s_set_vgpr_msb 5                        ;  msbs: dst=0 src0=1 src1=1 src2=0
	v_mul_i32_i24_e32 v46, v108 /*v364*/, v191 /*v447*/
	v_mul_i32_i24_e32 v84, v99 /*v355*/, v192 /*v448*/
	s_set_vgpr_msb 0                        ;  msbs: dst=0 src0=0 src1=0 src2=0
	v_cvt_f32_i32_e32 v151, v8
	s_set_vgpr_msb 5                        ;  msbs: dst=0 src0=1 src1=1 src2=0
	v_mul_i32_i24_e32 v8, v199 /*v455*/, v42 /*v298*/
	s_set_vgpr_msb 0                        ;  msbs: dst=0 src0=0 src1=0 src2=0
	v_cvt_f32_i32_e32 v150, v12
	s_set_vgpr_msb 5                        ;  msbs: dst=0 src0=1 src1=1 src2=0
	v_mul_i32_i24_e32 v12, v200 /*v456*/, v45 /*v301*/
	v_mul_i32_i24_e32 v94, v113 /*v369*/, v193 /*v449*/
	;; [unrolled: 1-line block ×3, first 2 shown]
	v_mad_i32_i24 v8, v170 /*v426*/, v40 /*v296*/, v8
	s_set_vgpr_msb 0                        ;  msbs: dst=0 src0=0 src1=0 src2=0
	v_pk_fma_f32 v[98:99], v[114:115], v[150:151], v[98:99]
	s_set_vgpr_msb 5                        ;  msbs: dst=0 src0=1 src1=1 src2=0
	v_mul_i32_i24_e32 v101, v230 /*v486*/, v120 /*v376*/
	s_set_vgpr_msb 0                        ;  msbs: dst=0 src0=0 src1=0 src2=0
	v_add3_u32 v8, v8, v12, v13
	s_set_vgpr_msb 5                        ;  msbs: dst=0 src0=1 src1=1 src2=0
	v_mul_i32_i24_e32 v12, v171 /*v427*/, v47 /*v303*/
	v_mul_i32_i24_e32 v13, v172 /*v428*/, v48 /*v304*/
	s_set_vgpr_msb 0                        ;  msbs: dst=0 src0=0 src1=0 src2=0
	v_pk_fma_f32 v[96:97], v[98:99], v[4:5], v[96:97] neg_lo:[0,0,1] neg_hi:[0,0,1]
	s_set_vgpr_msb 5                        ;  msbs: dst=0 src0=1 src1=1 src2=0
	v_mul_i32_i24_e32 v98, v119 /*v375*/, v196 /*v452*/
	v_mul_i32_i24_e32 v99, v127 /*v383*/, v197 /*v453*/
	s_set_vgpr_msb 0                        ;  msbs: dst=0 src0=0 src1=0 src2=0
	v_add3_u32 v8, v8, v12, v13
	s_set_vgpr_msb 4                        ;  msbs: dst=0 src0=0 src1=1 src2=0
	v_mul_i32_i24_e32 v12, v118, v231 /*v487*/
	s_set_vgpr_msb 5                        ;  msbs: dst=0 src0=1 src1=1 src2=0
	v_mul_i32_i24_e32 v13, v135 /*v391*/, v232 /*v488*/
	s_set_vgpr_msb 0                        ;  msbs: dst=0 src0=0 src1=0 src2=0
	v_pk_add_f32 v[60:61], v[60:61], v[96:97]
	s_set_vgpr_msb 5                        ;  msbs: dst=0 src0=1 src1=1 src2=0
	v_mul_i32_i24_e32 v96, v109 /*v365*/, v194 /*v450*/
	s_set_vgpr_msb 0                        ;  msbs: dst=0 src0=0 src1=0 src2=0
	v_add3_u32 v8, v8, v14, v15
	s_set_vgpr_msb 5                        ;  msbs: dst=0 src0=1 src1=1 src2=0
	v_mul_i32_i24_e32 v14, v111 /*v367*/, v233 /*v489*/
	v_mad_i32_i24 v12, v134 /*v390*/, v202 /*v458*/, v12
	v_mul_i32_i24_e32 v15, v136 /*v392*/, v205 /*v461*/
	v_mul_i32_i24_e32 v97, v122 /*v378*/, v195 /*v451*/
	s_set_vgpr_msb 0                        ;  msbs: dst=0 src0=0 src1=0 src2=0
	v_add3_u32 v8, v8, v16, v18
	s_set_vgpr_msb 5                        ;  msbs: dst=0 src0=1 src1=1 src2=0
	v_mul_i32_i24_e32 v16, v101 /*v357*/, v206 /*v462*/
	s_set_vgpr_msb 0                        ;  msbs: dst=0 src0=0 src1=0 src2=0
	v_add3_u32 v12, v12, v13, v14
	s_set_vgpr_msb 4                        ;  msbs: dst=0 src0=0 src1=1 src2=0
	v_mul_i32_i24_e32 v13, v119, v203 /*v459*/
	s_set_vgpr_msb 5                        ;  msbs: dst=0 src0=1 src1=1 src2=0
	v_mul_i32_i24_e32 v14, v137 /*v393*/, v204 /*v460*/
	s_set_vgpr_msb 0                        ;  msbs: dst=0 src0=0 src1=0 src2=0
	v_add3_u32 v8, v8, v20, v21
	s_set_vgpr_msb 5                        ;  msbs: dst=0 src0=1 src1=1 src2=0
	v_mul_i32_i24_e32 v18, v140 /*v396*/, v207 /*v463*/
	v_mul_i32_i24_e32 v20, v139 /*v395*/, v208 /*v464*/
	;; [unrolled: 1-line block ×3, first 2 shown]
	s_set_vgpr_msb 0                        ;  msbs: dst=0 src0=0 src1=0 src2=0
	v_add3_u32 v12, v12, v13, v14
	v_add3_u32 v8, v8, v22, v24
	s_set_vgpr_msb 5                        ;  msbs: dst=0 src0=1 src1=1 src2=0
	v_mul_i32_i24_e32 v22, v102 /*v358*/, v210 /*v466*/
	v_mul_i32_i24_e32 v24, v143 /*v399*/, v211 /*v467*/
	v_mul_lo_u32 v13, v156 /*v412*/, v34 /*v290*/
	s_set_vgpr_msb 0                        ;  msbs: dst=0 src0=0 src1=0 src2=0
	v_add3_u32 v12, v12, v15, v16
	v_add3_u32 v8, v8, v26, v27
	s_set_vgpr_msb 5                        ;  msbs: dst=0 src0=1 src1=1 src2=0
	v_mul_i32_i24_e32 v26, v142 /*v398*/, v212 /*v468*/
	v_mul_i32_i24_e32 v27, v141 /*v397*/, v213 /*v469*/
	s_set_vgpr_msb 0                        ;  msbs: dst=0 src0=0 src1=0 src2=0
	v_add3_u32 v12, v12, v18, v20
	v_add3_u32 v8, v8, v28, v29
	s_set_vgpr_msb 5                        ;  msbs: dst=0 src0=1 src1=1 src2=0
	v_mul_i32_i24_e32 v28, v103 /*v359*/, v214 /*v470*/
	v_mul_i32_i24_e32 v29, v146 /*v402*/, v215 /*v471*/
	;; [unrolled: 6-line block ×9, first 2 shown]
	s_set_vgpr_msb 0                        ;  msbs: dst=0 src0=0 src1=0 src2=0
	v_add3_u32 v12, v12, v84, v94
	s_set_vgpr_msb 4                        ;  msbs: dst=0 src0=0 src1=1 src2=0
	v_mul_lo_u32 v8, v8, v34 /*v290*/
	s_set_vgpr_msb 0                        ;  msbs: dst=0 src0=0 src1=0 src2=0
	s_delay_alu instid0(VALU_DEP_2) | instskip(SKIP_1) | instid1(VALU_DEP_2)
	v_add3_u32 v12, v12, v96, v97
	v_cvt_f32_i32_e32 v96, v13
	v_add3_u32 v12, v12, v98, v99
	v_pk_fma_f32 v[98:99], v[108:109], v[116:117], 0 op_sel_hi:[0,1,0]
	v_cvt_f32_i32_e32 v97, v8
	s_delay_alu instid0(VALU_DEP_3)
	v_add3_u32 v8, v12, v100, v101
	s_set_vgpr_msb 21                       ;  msbs: dst=0 src0=1 src1=1 src2=1
	v_add3_u32 v12, v155 /*v411*/, v153 /*v409*/, v154 /*v410*/
	s_set_vgpr_msb 0                        ;  msbs: dst=0 src0=0 src1=0 src2=0
	v_pk_fma_f32 v[96:97], v[112:113], v[96:97], 0 op_sel_hi:[1,1,0]
	v_pk_fma_f32 v[98:99], v[106:107], v[110:111], v[98:99] op_sel_hi:[0,1,1]
	s_set_vgpr_msb 4                        ;  msbs: dst=0 src0=0 src1=1 src2=0
	v_mul_lo_u32 v8, v8, v25 /*v281*/
	v_mul_lo_u32 v12, v12, v25 /*v281*/
	s_set_vgpr_msb 0                        ;  msbs: dst=0 src0=0 src1=0 src2=0
	v_pk_mul_f32 v[98:99], v[98:99], v[92:93]
	s_delay_alu instid0(VALU_DEP_3) | instskip(NEXT) | instid1(VALU_DEP_3)
	v_cvt_f32_i32_e32 v101, v8
	v_cvt_f32_i32_e32 v100, v12
	s_delay_alu instid0(VALU_DEP_1) | instskip(NEXT) | instid1(VALU_DEP_1)
	v_pk_fma_f32 v[96:97], v[114:115], v[100:101], v[96:97]
	v_pk_fma_f32 v[96:97], v[96:97], v[6:7], v[98:99] neg_lo:[0,0,1] neg_hi:[0,0,1]
	s_delay_alu instid0(VALU_DEP_1)
	v_pk_add_f32 v[70:71], v[70:71], v[96:97]
	s_cbranch_vccnz .LBB151_6
; %bb.7:                                ;   in Loop: Header=BB151_5 Depth=1
	v_dual_add_nc_u32 v8, s5, v105 :: v_dual_add_nc_u32 v15, 4, v95
	s_barrier_signal -1
	s_barrier_wait -1
	s_delay_alu instid0(VALU_DEP_1) | instskip(SKIP_3) | instid1(VALU_DEP_4)
	v_dual_add_nc_u32 v6, v8, v103 :: v_dual_add_nc_u32 v14, v8, v65
	v_dual_add_nc_u32 v0, v8, v41 :: v_dual_add_nc_u32 v2, v8, v43
	;; [unrolled: 1-line block ×4, first 2 shown]
	v_mad_nc_i64_i32 v[6:7], v6, 36, v[32:33]
	s_delay_alu instid0(VALU_DEP_4)
	v_mad_nc_i64_i32 v[0:1], v0, 36, v[32:33]
	v_mad_nc_i64_i32 v[2:3], v2, 36, v[32:33]
	;; [unrolled: 1-line block ×7, first 2 shown]
	v_mad_nc_u64_u32 v[94:95], v15, 36, s[2:3]
	s_clause 0x8
	global_load_b32 v8, v[6:7], off offset:4
	global_load_b32 v12, v[0:1], off offset:4
	;; [unrolled: 1-line block ×8, first 2 shown]
	global_load_b32 v21, v[94:95], off
	s_mov_b32 s5, 16
	s_wait_loadcnt 0x8
	ds_store_b32 v125, v8
	s_wait_loadcnt 0x7
	ds_store_b32 v107, v12
	;; [unrolled: 2-line block ×9, first 2 shown]
	s_wait_dscnt 0x0
	s_barrier_signal -1
	s_barrier_wait -1
	ds_load_b32 v0, v127
	ds_load_b32 v1, v128 offset:128
	ds_load_b32 v2, v129 offset:256
	ds_load_b32 v3, v130 offset:384
	s_wait_dscnt 0x3
	v_cvt_f32_f16_e32 v86, v0
	v_lshrrev_b32_e32 v0, 16, v0
	s_wait_dscnt 0x2
	v_cvt_f32_f16_e32 v88, v1
	v_lshrrev_b32_e32 v1, 16, v1
	s_wait_dscnt 0x1
	v_cvt_f32_f16_e32 v90, v2
	s_wait_dscnt 0x0
	v_dual_lshrrev_b32 v2, 16, v2 :: v_dual_lshrrev_b32 v4, 16, v3
	v_cvt_f32_f16_e32 v92, v3
	v_cvt_f32_f16_e32 v94, v0
	;; [unrolled: 1-line block ×3, first 2 shown]
	s_delay_alu instid0(VALU_DEP_4) | instskip(SKIP_4) | instid1(VALU_DEP_4)
	v_cvt_f32_f16_e32 v98, v2
	v_cvt_f32_f16_e32 v100, v4
	v_dual_mov_b32 v87, v86 :: v_dual_mov_b32 v89, v88
	v_dual_mov_b32 v91, v90 :: v_dual_mov_b32 v93, v92
	;; [unrolled: 1-line block ×4, first 2 shown]
.LBB151_8:                              ;   Parent Loop BB151_5 Depth=1
                                        ; =>  This Inner Loop Header: Depth=2
	s_lshr_b32 s12, s5, 2
	s_lshl_b32 s13, s5, 2
	s_and_b32 s16, s12, 0x3ffffffe
	s_lshl_b32 s12, s5, 1
	s_addk_co_i32 s16, 0x6200
	s_and_b32 s12, s12, 16
	v_add3_u32 v8, s16, v148, v141
	v_or_b32_e32 v0, s12, v19
	s_delay_alu instid0(VALU_DEP_1)
	v_lshlrev_b32_e32 v1, 2, v0
	s_set_vgpr_msb 64                       ;  msbs: dst=1 src0=0 src1=0 src2=0
	v_lshrrev_b32_e32 v143 /*v399*/, 1, v0
	s_set_vgpr_msb 0                        ;  msbs: dst=0 src0=0 src1=0 src2=0
	ds_load_b128 v[4:7], v1 offset:16896
	ds_load_b128 v[110:113], v1 offset:16912
	;; [unrolled: 1-line block ×4, first 2 shown]
	s_wait_dscnt 0x3
	v_bfe_i32 v254, v4, 0, 8
	s_set_vgpr_msb 64                       ;  msbs: dst=1 src0=0 src1=0 src2=0
	v_bfe_i32 v2 /*v258*/, v4, 8, 8
	v_bfe_i32 v1 /*v257*/, v4, 16, 8
	v_dual_ashrrev_i32 v17 /*v273*/, 24, v4 :: v_dual_ashrrev_i32 v10 /*v266*/, 24, v6
	s_set_vgpr_msb 0                        ;  msbs: dst=0 src0=0 src1=0 src2=0
	v_add_nc_u32_e32 v4, s13, v144
	s_wait_dscnt 0x0
	s_set_vgpr_msb 64                       ;  msbs: dst=1 src0=0 src1=0 src2=0
	v_bfe_i32 v146 /*v402*/, v0, 0, 8
	v_bfe_i32 v147 /*v403*/, v0, 8, 8
	;; [unrolled: 1-line block ×3, first 2 shown]
	v_dual_ashrrev_i32 v158 /*v414*/, 24, v0 :: v_dual_ashrrev_i32 v157 /*v413*/, 24, v1
	s_set_vgpr_msb 0                        ;  msbs: dst=0 src0=0 src1=0 src2=0
	ds_load_2addr_b32 v[118:119], v4 offset1:1
	s_set_vgpr_msb 64                       ;  msbs: dst=1 src0=0 src1=0 src2=0
	v_bfe_i32 v3 /*v259*/, v5, 0, 8
	v_bfe_i32 v4 /*v260*/, v5, 8, 8
	;; [unrolled: 1-line block ×3, first 2 shown]
	v_ashrrev_i32_e32 v6 /*v262*/, 24, v5
	v_bfe_i32 v149 /*v405*/, v1, 0, 8
	v_bfe_i32 v150 /*v406*/, v1, 8, 8
	;; [unrolled: 1-line block ×3, first 2 shown]
	v_ashrrev_i32_e32 v156 /*v412*/, 24, v2
	v_bfe_i32 v7 /*v263*/, v6, 0, 8
	v_bfe_i32 v8 /*v264*/, v6, 8, 8
	;; [unrolled: 1-line block ×6, first 2 shown]
	v_dual_ashrrev_i32 v14 /*v270*/, 24, v7 :: v_dual_ashrrev_i32 v19 /*v275*/, 24, v110
	v_bfe_i32 v15 /*v271*/, v110, 0, 8
	v_bfe_i32 v16 /*v272*/, v110, 8, 8
	;; [unrolled: 1-line block ×3, first 2 shown]
	s_wait_dscnt 0x0
	v_dual_lshrrev_b32 v126 /*v382*/, 28, v118 :: v_dual_bitop2_b32 v94 /*v350*/, 15, v118 bitop3:0x40
	v_bfe_u32 v93 /*v349*/, v118, 8, 4
	v_bfe_u32 v95 /*v351*/, v118, 16, 4
	;; [unrolled: 1-line block ×3, first 2 shown]
	s_set_vgpr_msb 1                        ;  msbs: dst=0 src0=1 src1=0 src2=0
	v_mul_i32_i24_e32 v0, v94 /*v350*/, v254
	s_set_vgpr_msb 64                       ;  msbs: dst=1 src0=0 src1=0 src2=0
	v_and_b32_e32 v97 /*v353*/, 15, v119
	v_bfe_u32 v98 /*v354*/, v119, 8, 4
	s_set_vgpr_msb 5                        ;  msbs: dst=0 src0=1 src1=1 src2=0
	v_mul_i32_i24_e32 v1, v95 /*v351*/, v1 /*v257*/
	v_mul_i32_i24_e32 v5, v96 /*v352*/, v17 /*v273*/
	v_mad_i32_i24 v0, v93 /*v349*/, v2 /*v258*/, v0
	s_set_vgpr_msb 64                       ;  msbs: dst=1 src0=0 src1=0 src2=0
	v_bfe_u32 v99 /*v355*/, v119, 16, 4
	v_bfe_u32 v100 /*v356*/, v119, 24, 4
	v_bfe_i32 v20 /*v276*/, v111, 0, 8
	v_bfe_i32 v21 /*v277*/, v111, 8, 8
	s_set_vgpr_msb 0                        ;  msbs: dst=0 src0=0 src1=0 src2=0
	v_add3_u32 v0, v0, v1, v5
	s_set_vgpr_msb 5                        ;  msbs: dst=0 src0=1 src1=1 src2=0
	v_mul_i32_i24_e32 v1, v97 /*v353*/, v3 /*v259*/
	v_mul_i32_i24_e32 v5, v98 /*v354*/, v4 /*v260*/
	;; [unrolled: 1-line block ×4, first 2 shown]
	s_set_vgpr_msb 64                       ;  msbs: dst=1 src0=0 src1=0 src2=0
	v_bfe_i32 v22 /*v278*/, v111, 16, 8
	v_dual_ashrrev_i32 v23 /*v279*/, 24, v111 :: v_dual_ashrrev_i32 v152 /*v408*/, 24, v113
	s_set_vgpr_msb 0                        ;  msbs: dst=0 src0=0 src1=0 src2=0
	v_add3_u32 v0, v0, v5, v1
	s_set_vgpr_msb 64                       ;  msbs: dst=1 src0=0 src1=0 src2=0
	v_bfe_i32 v24 /*v280*/, v112, 0, 8
	v_bfe_i32 v25 /*v281*/, v112, 8, 8
	s_set_vgpr_msb 0                        ;  msbs: dst=0 src0=0 src1=0 src2=0
	v_bfe_i32 v252, v112, 16, 8
	v_ashrrev_i32_e32 v253, 24, v112
	v_add3_u32 v0, v0, v6, v7
	ds_load_2addr_b32 v[6:7], v4 offset0:2 offset1:3
	v_bfe_i32 v154, v113, 0, 8
	v_bfe_i32 v153, v113, 8, 8
	s_set_vgpr_msb 64                       ;  msbs: dst=1 src0=0 src1=0 src2=0
	v_bfe_i32 v136 /*v392*/, v114, 0, 8
	v_bfe_i32 v135 /*v391*/, v114, 8, 8
	;; [unrolled: 1-line block ×3, first 2 shown]
	v_dual_ashrrev_i32 v164 /*v420*/, 24, v114 :: v_dual_ashrrev_i32 v162 /*v418*/, 24, v115
	v_bfe_i32 v140 /*v396*/, v116, 0, 8
	v_lshrrev_b32_e32 v118 /*v374*/, 28, v119
	v_bfe_i32 v141 /*v397*/, v116, 8, 8
	v_bfe_i32 v142 /*v398*/, v116, 16, 8
	v_dual_ashrrev_i32 v161 /*v417*/, 24, v116 :: v_dual_ashrrev_i32 v160 /*v416*/, 24, v117
	v_bfe_i32 v137 /*v393*/, v115, 0, 8
	v_bfe_i32 v138 /*v394*/, v115, 8, 8
	;; [unrolled: 1-line block ×6, first 2 shown]
	s_wait_dscnt 0x0
	v_and_b32_e32 v101 /*v357*/, 15, v6
	v_bfe_u32 v102 /*v358*/, v6, 8, 4
	v_bfe_u32 v103 /*v359*/, v6, 16, 4
	;; [unrolled: 1-line block ×3, first 2 shown]
	v_dual_lshrrev_b32 v119 /*v375*/, 28, v6 :: v_dual_bitop2_b32 v105 /*v361*/, 15, v7 bitop3:0x40
	s_set_vgpr_msb 5                        ;  msbs: dst=0 src0=1 src1=1 src2=0
	v_mul_i32_i24_e32 v1, v101 /*v357*/, v7 /*v263*/
	v_mul_i32_i24_e32 v5, v102 /*v358*/, v8 /*v264*/
	;; [unrolled: 1-line block ×4, first 2 shown]
	s_set_vgpr_msb 64                       ;  msbs: dst=1 src0=0 src1=0 src2=0
	v_bfe_u32 v106 /*v362*/, v7, 8, 4
	v_bfe_u32 v107 /*v363*/, v7, 16, 4
	s_set_vgpr_msb 0                        ;  msbs: dst=0 src0=0 src1=0 src2=0
	v_add3_u32 v0, v0, v5, v1
	s_set_vgpr_msb 5                        ;  msbs: dst=0 src0=1 src1=1 src2=0
	v_mul_i32_i24_e32 v1, v105 /*v361*/, v11 /*v267*/
	s_set_vgpr_msb 64                       ;  msbs: dst=1 src0=0 src1=0 src2=0
	v_bfe_u32 v108 /*v364*/, v7, 24, 4
	s_set_vgpr_msb 5                        ;  msbs: dst=0 src0=1 src1=1 src2=0
	v_mul_i32_i24_e32 v5, v106 /*v362*/, v12 /*v268*/
	s_set_vgpr_msb 64                       ;  msbs: dst=1 src0=0 src1=0 src2=0
	v_bfe_i32 v153 /*v409*/, v2, 0, 8
	s_set_vgpr_msb 0                        ;  msbs: dst=0 src0=0 src1=0 src2=0
	v_add3_u32 v0, v0, v12, v13
	s_set_vgpr_msb 5                        ;  msbs: dst=0 src0=1 src1=1 src2=0
	v_mul_i32_i24_e32 v12, v107 /*v363*/, v13 /*v269*/
	v_mul_i32_i24_e32 v13, v108 /*v364*/, v14 /*v270*/
	s_set_vgpr_msb 64                       ;  msbs: dst=1 src0=0 src1=0 src2=0
	v_bfe_i32 v154 /*v410*/, v2, 8, 8
	v_bfe_i32 v155 /*v411*/, v2, 16, 8
	s_set_vgpr_msb 0                        ;  msbs: dst=0 src0=0 src1=0 src2=0
	v_add3_u32 v0, v0, v5, v1
	v_bfe_i32 v112, v113, 16, 8
	v_bfe_i32 v152, v3, 0, 8
	;; [unrolled: 1-line block ×4, first 2 shown]
	v_add3_u32 v5, v0, v12, v13
	ds_load_2addr_b32 v[0:1], v4 offset0:4 offset1:5
	v_ashrrev_i32_e32 v3, 24, v3
	s_wait_dscnt 0x0
	s_set_vgpr_msb 64                       ;  msbs: dst=1 src0=0 src1=0 src2=0
	v_dual_lshrrev_b32 v120 /*v376*/, 28, v7 :: v_dual_bitop2_b32 v109 /*v365*/, 15, v0 bitop3:0x40
	v_bfe_u32 v110 /*v366*/, v0, 8, 4
	v_bfe_u32 v111 /*v367*/, v0, 24, 4
	;; [unrolled: 1-line block ×4, first 2 shown]
	s_set_vgpr_msb 5                        ;  msbs: dst=0 src0=1 src1=1 src2=0
	v_mul_i32_i24_e32 v12, v109 /*v365*/, v15 /*v271*/
	v_mul_i32_i24_e32 v13, v110 /*v366*/, v16 /*v272*/
	;; [unrolled: 1-line block ×4, first 2 shown]
	s_set_vgpr_msb 64                       ;  msbs: dst=1 src0=0 src1=0 src2=0
	v_dual_lshrrev_b32 v121 /*v377*/, 28, v0 :: v_dual_bitop2_b32 v114 /*v370*/, 15, v1 bitop3:0x40
	s_set_vgpr_msb 0                        ;  msbs: dst=0 src0=0 src1=0 src2=0
	v_add3_u32 v5, v5, v13, v12
	s_set_vgpr_msb 5                        ;  msbs: dst=0 src0=1 src1=1 src2=0
	v_mul_i32_i24_e32 v13, v21 /*v277*/, v113 /*v369*/
	s_set_vgpr_msb 64                       ;  msbs: dst=1 src0=0 src1=0 src2=0
	v_bfe_u32 v115 /*v371*/, v1, 24, 4
	s_set_vgpr_msb 5                        ;  msbs: dst=0 src0=1 src1=1 src2=0
	v_mul_i32_i24_e32 v12, v20 /*v276*/, v114 /*v370*/
	s_set_vgpr_msb 64                       ;  msbs: dst=1 src0=0 src1=0 src2=0
	v_bfe_u32 v116 /*v372*/, v1, 16, 4
	s_set_vgpr_msb 0                        ;  msbs: dst=0 src0=0 src1=0 src2=0
	v_add3_u32 v5, v5, v15, v14
	s_set_vgpr_msb 64                       ;  msbs: dst=1 src0=0 src1=0 src2=0
	v_lshrrev_b32_e32 v122 /*v378*/, 28, v1
	s_set_vgpr_msb 5                        ;  msbs: dst=0 src0=1 src1=1 src2=0
	v_mul_i32_i24_e32 v14, v23 /*v279*/, v115 /*v371*/
	v_mul_i32_i24_e32 v15, v22 /*v278*/, v116 /*v372*/
	s_set_vgpr_msb 0                        ;  msbs: dst=0 src0=0 src1=0 src2=0
	v_add3_u32 v5, v5, v13, v12
	s_delay_alu instid0(VALU_DEP_1)
	v_add3_u32 v12, v5, v15, v14
	ds_load_2addr_b32 v[4:5], v4 offset0:6 offset1:7
	s_wait_dscnt 0x0
	s_set_vgpr_msb 64                       ;  msbs: dst=1 src0=0 src1=0 src2=0
	v_bfe_u32 v117 /*v373*/, v4, 8, 4
	v_and_b32_e32 v124 /*v380*/, 15, v4
	v_bfe_u32 v125 /*v381*/, v4, 24, 4
	v_bfe_u32 v128 /*v384*/, v4, 16, 4
	v_dual_lshrrev_b32 v123 /*v379*/, 28, v4 :: v_dual_bitop2_b32 v130 /*v386*/, 15, v5 bitop3:0x40
	s_set_vgpr_msb 5                        ;  msbs: dst=0 src0=1 src1=1 src2=0
	v_mul_i32_i24_e32 v13, v24 /*v280*/, v124 /*v380*/
	v_mul_i32_i24_e32 v14, v25 /*v281*/, v117 /*v373*/
	s_set_vgpr_msb 4                        ;  msbs: dst=0 src0=0 src1=1 src2=0
	v_mul_i32_i24_e32 v15, v253, v125 /*v381*/
	v_mul_i32_i24_e32 v16, v252, v128 /*v384*/
	s_set_vgpr_msb 64                       ;  msbs: dst=1 src0=0 src1=0 src2=0
	v_bfe_u32 v131 /*v387*/, v5, 8, 4
	v_bfe_u32 v132 /*v388*/, v5, 16, 4
	s_set_vgpr_msb 0                        ;  msbs: dst=0 src0=0 src1=0 src2=0
	v_add3_u32 v12, v12, v14, v13
	s_set_vgpr_msb 1                        ;  msbs: dst=0 src0=1 src1=0 src2=0
	v_mul_i32_i24_e32 v13, v130 /*v386*/, v154
	s_set_vgpr_msb 64                       ;  msbs: dst=1 src0=0 src1=0 src2=0
	v_bfe_u32 v59 /*v315*/, v5, 24, 4
	s_set_vgpr_msb 1                        ;  msbs: dst=0 src0=1 src1=0 src2=0
	v_mul_i32_i24_e32 v14, v131 /*v387*/, v153
	s_set_vgpr_msb 64                       ;  msbs: dst=1 src0=0 src1=0 src2=0
	v_bfe_u32 v127 /*v383*/, v5, 4, 4
	s_set_vgpr_msb 0                        ;  msbs: dst=0 src0=0 src1=0 src2=0
	v_add3_u32 v12, v12, v16, v15
	s_set_vgpr_msb 64                       ;  msbs: dst=1 src0=0 src1=0 src2=0
	v_bfe_u32 v129 /*v385*/, v5, 12, 4
	v_bfe_u32 v63 /*v319*/, v5, 20, 4
	s_set_vgpr_msb 0x41                     ;  msbs: dst=1 src0=1 src1=0 src2=0
	v_mul_i32_i24_e32 v168 /*v424*/, v132 /*v388*/, v112
	v_mul_i32_i24_e32 v165 /*v421*/, v127 /*v383*/, v152
	s_set_vgpr_msb 64                       ;  msbs: dst=1 src0=0 src1=0 src2=0
	v_add3_u32 v169 /*v425*/, v12, v14, v13
	s_set_vgpr_msb 0                        ;  msbs: dst=0 src0=0 src1=0 src2=0
	ds_load_u16 v12, v8
	ds_load_u16 v8, v8 offset:8
	s_set_vgpr_msb 0x41                     ;  msbs: dst=1 src0=1 src1=0 src2=0
	v_mul_i32_i24_e32 v166 /*v422*/, v129 /*v385*/, v110
	s_set_vgpr_msb 0x44                     ;  msbs: dst=1 src0=0 src1=1 src2=0
	v_mul_i32_i24_e32 v246 /*v502*/, v2, v63 /*v319*/
	s_set_vgpr_msb 64                       ;  msbs: dst=1 src0=0 src1=0 src2=0
	v_lshrrev_b32_e32 v62 /*v318*/, 28, v5
	s_set_vgpr_msb 0                        ;  msbs: dst=0 src0=0 src1=0 src2=0
	v_add_nc_u32_e32 v5, s13, v145
	s_set_vgpr_msb 0x41                     ;  msbs: dst=1 src0=1 src1=0 src2=0
	s_delay_alu instid0(VALU_DEP_2)
	v_mul_i32_i24_e32 v248 /*v504*/, v62 /*v318*/, v3
	s_set_vgpr_msb 0                        ;  msbs: dst=0 src0=0 src1=0 src2=0
	ds_load_2addr_b32 v[150:151], v5 offset1:1
	ds_load_2addr_b32 v[158:159], v5 offset0:2 offset1:3
	ds_load_2addr_b32 v[160:161], v5 offset0:4 offset1:5
	;; [unrolled: 1-line block ×3, first 2 shown]
	s_wait_dscnt 0x5
	v_lshrrev_b16 v13, 8, v12
	s_set_vgpr_msb 64                       ;  msbs: dst=1 src0=0 src1=0 src2=0
	v_and_b32_e32 v60 /*v316*/, 0xff, v12
	s_set_vgpr_msb 0                        ;  msbs: dst=0 src0=0 src1=0 src2=0
	v_lshrrev_b32_e32 v12, 4, v118
	s_wait_dscnt 0x4
	v_cvt_f32_ubyte0_e32 v114, v8
	v_cvt_f32_ubyte1_e32 v116, v8
	s_set_vgpr_msb 64                       ;  msbs: dst=1 src0=0 src1=0 src2=0
	v_and_b32_e32 v61 /*v317*/, 0xffff, v13
	s_set_vgpr_msb 0                        ;  msbs: dst=0 src0=0 src1=0 src2=0
	v_add3_u32 v8, s16, v149, v138
	v_lshrrev_b16 v12, 8, v12
	s_wait_dscnt 0x3
	v_lshrrev_b32_e32 v182, 28, v150
	s_set_vgpr_msb 64                       ;  msbs: dst=1 src0=0 src1=0 src2=0
	v_and_b32_e32 v65 /*v321*/, 15, v150
	v_and_b32_e32 v133 /*v389*/, 15, v12
	s_set_vgpr_msb 0                        ;  msbs: dst=0 src0=0 src1=0 src2=0
	v_lshrrev_b32_e32 v12, 4, v119
	s_set_vgpr_msb 64                       ;  msbs: dst=1 src0=0 src1=0 src2=0
	v_bfe_u32 v64 /*v320*/, v150, 8, 4
	v_bfe_u32 v66 /*v322*/, v150, 16, 4
	;; [unrolled: 1-line block ×3, first 2 shown]
	v_and_b32_e32 v68 /*v324*/, 15, v151
	s_set_vgpr_msb 0                        ;  msbs: dst=0 src0=0 src1=0 src2=0
	v_lshrrev_b16 v12, 8, v12
	s_set_vgpr_msb 64                       ;  msbs: dst=1 src0=0 src1=0 src2=0
	v_bfe_u32 v69 /*v325*/, v151, 8, 4
	v_bfe_u32 v70 /*v326*/, v151, 16, 4
	;; [unrolled: 1-line block ×3, first 2 shown]
	s_wait_dscnt 0x2
	v_and_b32_e32 v72 /*v328*/, 15, v158
	v_and_b32_e32 v174 /*v430*/, 15, v12
	s_set_vgpr_msb 0                        ;  msbs: dst=0 src0=0 src1=0 src2=0
	v_lshrrev_b32_e32 v12, 4, v6
	s_set_vgpr_msb 64                       ;  msbs: dst=1 src0=0 src1=0 src2=0
	v_bfe_u32 v73 /*v329*/, v158, 8, 4
	v_bfe_u32 v74 /*v330*/, v158, 16, 4
	;; [unrolled: 1-line block ×3, first 2 shown]
	v_and_b32_e32 v76 /*v332*/, 15, v159
	s_set_vgpr_msb 0                        ;  msbs: dst=0 src0=0 src1=0 src2=0
	v_lshrrev_b16 v12, 8, v12
	s_set_vgpr_msb 64                       ;  msbs: dst=1 src0=0 src1=0 src2=0
	v_bfe_u32 v77 /*v333*/, v159, 8, 4
	s_set_vgpr_msb 0                        ;  msbs: dst=0 src0=0 src1=0 src2=0
	v_lshrrev_b32_e32 v190, 28, v151
	s_set_vgpr_msb 5                        ;  msbs: dst=0 src0=1 src1=1 src2=0
	v_mul_i32_i24_e32 v13, v66 /*v322*/, v1 /*v257*/
	v_mul_i32_i24_e32 v14, v67 /*v323*/, v17 /*v273*/
	s_set_vgpr_msb 64                       ;  msbs: dst=1 src0=0 src1=0 src2=0
	v_and_b32_e32 v173 /*v429*/, 15, v12
	s_set_vgpr_msb 0                        ;  msbs: dst=0 src0=0 src1=0 src2=0
	v_lshrrev_b32_e32 v12, 4, v7
	s_set_vgpr_msb 5                        ;  msbs: dst=0 src0=1 src1=1 src2=0
	v_mul_i32_i24_e32 v15, v70 /*v326*/, v5 /*v261*/
	v_mul_i32_i24_e32 v16, v71 /*v327*/, v6 /*v262*/
	s_set_vgpr_msb 64                       ;  msbs: dst=1 src0=0 src1=0 src2=0
	v_bfe_u32 v78 /*v334*/, v159, 16, 4
	v_bfe_u32 v79 /*v335*/, v159, 24, 4
	s_set_vgpr_msb 0                        ;  msbs: dst=0 src0=0 src1=0 src2=0
	v_lshrrev_b16 v12, 8, v12
	v_lshrrev_b32_e32 v197, 28, v158
	s_wait_dscnt 0x1
	s_set_vgpr_msb 64                       ;  msbs: dst=1 src0=0 src1=0 src2=0
	v_and_b32_e32 v80 /*v336*/, 15, v160
	v_bfe_u32 v81 /*v337*/, v160, 8, 4
	v_bfe_u32 v82 /*v338*/, v160, 24, 4
	v_and_b32_e32 v172 /*v428*/, 15, v12
	s_set_vgpr_msb 0                        ;  msbs: dst=0 src0=0 src1=0 src2=0
	v_lshrrev_b32_e32 v12, 4, v0
	s_set_vgpr_msb 64                       ;  msbs: dst=1 src0=0 src1=0 src2=0
	v_bfe_u32 v83 /*v339*/, v160, 16, 4
	v_bfe_u32 v84 /*v340*/, v161, 8, 4
	v_and_b32_e32 v85 /*v341*/, 15, v161
	v_bfe_u32 v86 /*v342*/, v161, 24, 4
	s_set_vgpr_msb 0                        ;  msbs: dst=0 src0=0 src1=0 src2=0
	v_lshrrev_b16 v12, 8, v12
	v_lshrrev_b32_e32 v201, 28, v159
	s_set_vgpr_msb 64                       ;  msbs: dst=1 src0=0 src1=0 src2=0
	v_bfe_u32 v87 /*v343*/, v161, 16, 4
	s_wait_dscnt 0x0
	v_bfe_u32 v88 /*v344*/, v162, 8, 4
	v_and_b32_e32 v89 /*v345*/, 15, v162
	v_and_b32_e32 v171 /*v427*/, 15, v12
	s_set_vgpr_msb 0                        ;  msbs: dst=0 src0=0 src1=0 src2=0
	v_lshrrev_b32_e32 v12, 4, v1
	s_set_vgpr_msb 64                       ;  msbs: dst=1 src0=0 src1=0 src2=0
	v_bfe_u32 v90 /*v346*/, v162, 24, 4
	v_bfe_u32 v91 /*v347*/, v162, 16, 4
	s_set_vgpr_msb 5                        ;  msbs: dst=0 src0=1 src1=1 src2=0
	v_mul_i32_i24_e32 v5, v24 /*v280*/, v89 /*v345*/
	s_set_vgpr_msb 64                       ;  msbs: dst=1 src0=0 src1=0 src2=0
	v_and_b32_e32 v92 /*v348*/, 15, v163
	s_set_vgpr_msb 0                        ;  msbs: dst=0 src0=0 src1=0 src2=0
	v_lshrrev_b16 v12, 8, v12
	v_bfe_u32 v183, v163, 8, 4
	v_bfe_u32 v177, v150, 4, 4
	;; [unrolled: 1-line block ×4, first 2 shown]
	s_set_vgpr_msb 64                       ;  msbs: dst=1 src0=0 src1=0 src2=0
	v_and_b32_e32 v170 /*v426*/, 15, v12
	s_set_vgpr_msb 0                        ;  msbs: dst=0 src0=0 src1=0 src2=0
	v_lshrrev_b32_e32 v12, 4, v4
	v_bfe_u32 v186, v151, 4, 4
	v_bfe_u32 v187, v151, 12, 4
	;; [unrolled: 1-line block ×3, first 2 shown]
	s_set_vgpr_msb 4                        ;  msbs: dst=0 src0=0 src1=1 src2=0
	v_mul_i32_i24_e32 v18, v190, v162 /*v418*/
	s_set_vgpr_msb 0                        ;  msbs: dst=0 src0=0 src1=0 src2=0
	v_lshrrev_b16 v12, 8, v12
	v_bfe_u32 v193, v158, 4, 4
	v_bfe_u32 v194, v158, 12, 4
	;; [unrolled: 1-line block ×3, first 2 shown]
	s_set_vgpr_msb 4                        ;  msbs: dst=0 src0=0 src1=1 src2=0
	v_mul_i32_i24_e32 v24, v197, v161 /*v417*/
	s_set_vgpr_msb 64                       ;  msbs: dst=1 src0=0 src1=0 src2=0
	v_and_b32_e32 v167 /*v423*/, 15, v12
	s_set_vgpr_msb 1                        ;  msbs: dst=0 src0=1 src1=0 src2=0
	v_mul_i32_i24_e32 v12, v65 /*v321*/, v254
	s_set_vgpr_msb 4                        ;  msbs: dst=0 src0=0 src1=1 src2=0
	v_mul_i32_i24_e32 v20, v193, v140 /*v396*/
	v_mul_i32_i24_e32 v21, v194, v141 /*v397*/
	;; [unrolled: 1-line block ×3, first 2 shown]
	v_bfe_u32 v198, v159, 4, 4
	s_set_vgpr_msb 5                        ;  msbs: dst=0 src0=1 src1=1 src2=0
	v_mad_i32_i24 v12, v64 /*v320*/, v2 /*v258*/, v12
	s_set_vgpr_msb 4                        ;  msbs: dst=0 src0=0 src1=1 src2=0
	v_bfe_u32 v200, v159, 12, 4
	v_bfe_u32 v195, v159, 20, 4
	v_mul_i32_i24_e32 v29, v201, v160 /*v416*/
	v_mul_i32_i24_e32 v26, v198, v144 /*v400*/
	s_set_vgpr_msb 0                        ;  msbs: dst=0 src0=0 src1=0 src2=0
	v_add3_u32 v12, v12, v13, v14
	s_set_vgpr_msb 5                        ;  msbs: dst=0 src0=1 src1=1 src2=0
	v_mul_i32_i24_e32 v13, v68 /*v324*/, v3 /*v259*/
	v_mul_i32_i24_e32 v14, v69 /*v325*/, v4 /*v260*/
	s_set_vgpr_msb 4                        ;  msbs: dst=0 src0=0 src1=1 src2=0
	v_mul_i32_i24_e32 v27, v200, v145 /*v401*/
	v_mul_i32_i24_e32 v28, v195, v159 /*v415*/
	v_bfe_u32 v204, v160, 4, 4
	v_bfe_u32 v206, v160, 12, 4
	s_set_vgpr_msb 0                        ;  msbs: dst=0 src0=0 src1=0 src2=0
	v_add3_u32 v12, v12, v14, v13
	s_set_vgpr_msb 5                        ;  msbs: dst=0 src0=1 src1=1 src2=0
	v_mul_i32_i24_e32 v13, v72 /*v328*/, v7 /*v263*/
	v_mul_i32_i24_e32 v14, v73 /*v329*/, v8 /*v264*/
	s_set_vgpr_msb 4                        ;  msbs: dst=0 src0=0 src1=1 src2=0
	v_mul_i32_i24_e32 v30, v204, v146 /*v402*/
	v_mul_i32_i24_e32 v31, v206, v147 /*v403*/
	s_set_vgpr_msb 0                        ;  msbs: dst=0 src0=0 src1=0 src2=0
	v_add3_u32 v12, v12, v15, v16
	s_set_vgpr_msb 5                        ;  msbs: dst=0 src0=1 src1=1 src2=0
	v_mul_i32_i24_e32 v15, v74 /*v330*/, v9 /*v265*/
	v_mul_i32_i24_e32 v16, v75 /*v331*/, v10 /*v266*/
	s_set_vgpr_msb 0                        ;  msbs: dst=0 src0=0 src1=0 src2=0
	v_dual_lshrrev_b32 v207, 28, v160 :: v_dual_lshrrev_b32 v217, 28, v161
	v_add3_u32 v12, v12, v14, v13
	s_set_vgpr_msb 5                        ;  msbs: dst=0 src0=1 src1=1 src2=0
	v_mul_i32_i24_e32 v13, v76 /*v332*/, v11 /*v267*/
	v_mul_i32_i24_e32 v14, v77 /*v333*/, v12 /*v268*/
	s_set_vgpr_msb 0                        ;  msbs: dst=0 src0=0 src1=0 src2=0
	v_bfe_u32 v211, v160, 20, 4
	s_set_vgpr_msb 1                        ;  msbs: dst=0 src0=1 src1=0 src2=0
	v_mul_i32_i24_e32 v38, v158 /*v414*/, v207
	s_set_vgpr_msb 0                        ;  msbs: dst=0 src0=0 src1=0 src2=0
	v_add3_u32 v12, v12, v15, v16
	s_set_vgpr_msb 5                        ;  msbs: dst=0 src0=1 src1=1 src2=0
	v_mul_i32_i24_e32 v15, v78 /*v334*/, v13 /*v269*/
	v_mul_i32_i24_e32 v16, v79 /*v335*/, v14 /*v270*/
	s_set_vgpr_msb 1                        ;  msbs: dst=0 src0=1 src1=0 src2=0
	v_mul_i32_i24_e32 v40, v148 /*v404*/, v211
	s_set_vgpr_msb 0                        ;  msbs: dst=0 src0=0 src1=0 src2=0
	v_bfe_u32 v213, v161, 4, 4
	v_add3_u32 v12, v12, v14, v13
	s_set_vgpr_msb 5                        ;  msbs: dst=0 src0=1 src1=1 src2=0
	v_mul_i32_i24_e32 v13, v80 /*v336*/, v15 /*v271*/
	v_mul_i32_i24_e32 v14, v81 /*v337*/, v16 /*v272*/
	s_set_vgpr_msb 0                        ;  msbs: dst=0 src0=0 src1=0 src2=0
	v_bfe_u32 v214, v161, 12, 4
	s_set_vgpr_msb 1                        ;  msbs: dst=0 src0=1 src1=0 src2=0
	v_mul_i32_i24_e32 v44, v149 /*v405*/, v213
	s_set_vgpr_msb 0                        ;  msbs: dst=0 src0=0 src1=0 src2=0
	v_add3_u32 v12, v12, v15, v16
	s_set_vgpr_msb 5                        ;  msbs: dst=0 src0=1 src1=1 src2=0
	v_mul_i32_i24_e32 v15, v19 /*v275*/, v82 /*v338*/
	v_mul_i32_i24_e32 v16, v18 /*v274*/, v83 /*v339*/
	s_set_vgpr_msb 1                        ;  msbs: dst=0 src0=1 src1=0 src2=0
	v_mul_i32_i24_e32 v42, v150 /*v406*/, v214
	s_set_vgpr_msb 0                        ;  msbs: dst=0 src0=0 src1=0 src2=0
	v_bfe_u32 v221, v161, 20, 4
	v_add3_u32 v12, v12, v14, v13
	s_set_vgpr_msb 5                        ;  msbs: dst=0 src0=1 src1=1 src2=0
	v_mul_i32_i24_e32 v13, v20 /*v276*/, v85 /*v341*/
	v_mul_i32_i24_e32 v14, v21 /*v277*/, v84 /*v340*/
	s_set_vgpr_msb 1                        ;  msbs: dst=0 src0=1 src1=0 src2=0
	v_mul_i32_i24_e32 v46, v157 /*v413*/, v217
	v_mul_i32_i24_e32 v84, v151 /*v407*/, v221
	s_set_vgpr_msb 0                        ;  msbs: dst=0 src0=0 src1=0 src2=0
	v_add3_u32 v12, v12, v16, v15
	s_set_vgpr_msb 5                        ;  msbs: dst=0 src0=1 src1=1 src2=0
	v_mul_i32_i24_e32 v15, v23 /*v279*/, v86 /*v342*/
	v_mul_i32_i24_e32 v16, v22 /*v278*/, v87 /*v343*/
	s_set_vgpr_msb 0                        ;  msbs: dst=0 src0=0 src1=0 src2=0
	v_bfe_u32 v224, v162, 4, 4
	v_bfe_u32 v225, v162, 12, 4
	v_add3_u32 v12, v12, v14, v13
	s_set_vgpr_msb 5                        ;  msbs: dst=0 src0=1 src1=1 src2=0
	v_mul_i32_i24_e32 v13, v25 /*v281*/, v88 /*v344*/
	s_set_vgpr_msb 4                        ;  msbs: dst=0 src0=0 src1=1 src2=0
	v_mul_i32_i24_e32 v14, v253, v90 /*v346*/
	s_set_vgpr_msb 1                        ;  msbs: dst=0 src0=1 src1=0 src2=0
	v_mul_i32_i24_e32 v106, v153 /*v409*/, v224
	v_mul_i32_i24_e32 v104, v154 /*v410*/, v225
	s_set_vgpr_msb 0                        ;  msbs: dst=0 src0=0 src1=0 src2=0
	v_add3_u32 v12, v12, v16, v15
	s_set_vgpr_msb 4                        ;  msbs: dst=0 src0=0 src1=1 src2=0
	v_mul_i32_i24_e32 v15, v252, v91 /*v347*/
	v_mul_i32_i24_e32 v16, v179, v139 /*v395*/
	s_set_vgpr_msb 0                        ;  msbs: dst=0 src0=0 src1=0 src2=0
	v_dual_lshrrev_b32 v227, 28, v162 :: v_dual_lshrrev_b32 v111, 28, v163
	v_add3_u32 v5, v12, v13, v5
	s_set_vgpr_msb 1                        ;  msbs: dst=0 src0=1 src1=0 src2=0
	v_mul_i32_i24_e32 v13, v92 /*v348*/, v154
	s_set_vgpr_msb 0                        ;  msbs: dst=0 src0=0 src1=0 src2=0
	v_bfe_u32 v229, v162, 20, 4
	s_set_vgpr_msb 1                        ;  msbs: dst=0 src0=1 src1=0 src2=0
	v_mul_i32_i24_e32 v108, v156 /*v412*/, v227
	s_set_vgpr_msb 0                        ;  msbs: dst=0 src0=0 src1=0 src2=0
	v_bfe_u32 v185, v163, 16, 4
	v_add3_u32 v12, v5, v15, v14
	v_mul_i32_i24_e32 v14, v183, v153
	s_set_vgpr_msb 4                        ;  msbs: dst=0 src0=0 src1=1 src2=0
	v_mul_i32_i24_e32 v15, v182, v164 /*v420*/
	s_set_vgpr_msb 1                        ;  msbs: dst=0 src0=1 src1=0 src2=0
	v_mul_i32_i24_e32 v115, v155 /*v411*/, v229
	s_set_vgpr_msb 0                        ;  msbs: dst=0 src0=0 src1=0 src2=0
	v_bfe_u32 v155, v163, 24, 4
	v_bfe_u32 v232, v163, 4, 4
	s_set_vgpr_msb 64                       ;  msbs: dst=1 src0=0 src1=0 src2=0
	v_add3_u32 v175 /*v431*/, v12, v14, v13
	s_set_vgpr_msb 4                        ;  msbs: dst=0 src0=0 src1=1 src2=0
	ds_load_u16 v12, v8
	ds_load_u16 v8, v8 offset:8
	v_mul_i32_i24_e32 v14, v175, v163 /*v419*/
	v_bfe_u32 v234, v163, 12, 4
	v_bfe_u32 v113, v163, 20, 4
	s_set_vgpr_msb 64                       ;  msbs: dst=1 src0=0 src1=0 src2=0
	v_mul_i32_i24_e32 v176 /*v432*/, v232, v152
	s_set_vgpr_msb 0                        ;  msbs: dst=0 src0=0 src1=0 src2=0
	v_mul_i32_i24_e32 v5, v185, v112
	s_set_vgpr_msb 0x44                     ;  msbs: dst=1 src0=0 src1=1 src2=0
	v_and_b32_e32 v133 /*v389*/, 0xffff, v133 /*v389*/
	s_set_vgpr_msb 64                       ;  msbs: dst=1 src0=0 src1=0 src2=0
	v_mul_i32_i24_e32 v177 /*v433*/, v234, v110
	s_wait_dscnt 0x1
	s_set_vgpr_msb 0                        ;  msbs: dst=0 src0=0 src1=0 src2=0
	v_lshrrev_b16 v13, 8, v12
	v_and_b32_e32 v156, 0xff, v12
	s_set_vgpr_msb 4                        ;  msbs: dst=0 src0=0 src1=1 src2=0
	v_mul_i32_i24_e32 v12, v177, v136 /*v392*/
	s_wait_dscnt 0x0
	v_cvt_f32_ubyte0_e32 v102, v8
	s_delay_alu instid0(VALU_DEP_2) | instskip(SKIP_1) | instid1(VALU_DEP_1)
	v_mad_i32_i24 v12, v176, v135 /*v391*/, v12
	s_set_vgpr_msb 0                        ;  msbs: dst=0 src0=0 src1=0 src2=0
	v_add3_u32 v12, v12, v14, v15
	s_set_vgpr_msb 4                        ;  msbs: dst=0 src0=0 src1=1 src2=0
	v_mul_i32_i24_e32 v14, v186, v137 /*v393*/
	v_mul_i32_i24_e32 v15, v187, v138 /*v394*/
	s_set_vgpr_msb 0                        ;  msbs: dst=0 src0=0 src1=0 src2=0
	s_delay_alu instid0(VALU_DEP_1) | instskip(NEXT) | instid1(VALU_DEP_1)
	v_add3_u32 v12, v12, v14, v15
	v_add3_u32 v12, v12, v16, v18
	s_delay_alu instid0(VALU_DEP_1) | instskip(NEXT) | instid1(VALU_DEP_1)
	v_add3_u32 v12, v12, v20, v21
	v_add3_u32 v12, v12, v22, v24
	;; [unrolled: 3-line block ×5, first 2 shown]
	s_delay_alu instid0(VALU_DEP_1) | instskip(SKIP_3) | instid1(VALU_DEP_3)
	v_add3_u32 v12, v12, v106, v104
	v_cvt_f32_ubyte1_e32 v104, v8
	v_add3_u32 v8, s16, v142, v139
	s_set_vgpr_msb 64                       ;  msbs: dst=1 src0=0 src1=0 src2=0
	v_add3_u32 v178 /*v434*/, v12, v115, v108
	s_set_vgpr_msb 0                        ;  msbs: dst=0 src0=0 src1=0 src2=0
	v_add_nc_u32_e32 v12, s13, v146
	v_and_b32_e32 v115, 0xffff, v13
	ds_load_2addr_b32 v[150:151], v12 offset1:1
	ds_load_2addr_b32 v[236:237], v12 offset0:2 offset1:3
	ds_load_2addr_b32 v[244:245], v12 offset0:4 offset1:5
	s_set_vgpr_msb 64                       ;  msbs: dst=1 src0=0 src1=0 src2=0
	ds_load_2addr_b32 v[26:27] /*v[282:283]*/, v12 offset0:6 offset1:7
	s_wait_dscnt 0x3
	s_set_vgpr_msb 0                        ;  msbs: dst=0 src0=0 src1=0 src2=0
	v_dual_lshrrev_b32 v216, 28, v150 :: v_dual_bitop2_b32 v160, 15, v150 bitop3:0x40
	v_bfe_u32 v159, v150, 8, 4
	v_bfe_u32 v161, v150, 16, 4
	;; [unrolled: 1-line block ×3, first 2 shown]
	s_delay_alu instid0(VALU_DEP_4)
	v_mul_i32_i24_e32 v13, v160, v254
	v_and_b32_e32 v163, 15, v151
	v_bfe_u32 v164, v151, 8, 4
	s_set_vgpr_msb 4                        ;  msbs: dst=0 src0=0 src1=1 src2=0
	v_mul_i32_i24_e32 v14, v161, v1 /*v257*/
	v_mul_i32_i24_e32 v15, v162, v17 /*v273*/
	v_mad_i32_i24 v13, v159, v2 /*v258*/, v13
	v_bfe_u32 v165, v151, 16, 4
	v_bfe_u32 v166, v151, 24, 4
	s_wait_dscnt 0x2
	s_set_vgpr_msb 0                        ;  msbs: dst=0 src0=0 src1=0 src2=0
	v_dual_lshrrev_b32 v226, 28, v151 :: v_dual_bitop2_b32 v167, 15, v236 bitop3:0x40
	v_add3_u32 v13, v13, v14, v15
	s_set_vgpr_msb 4                        ;  msbs: dst=0 src0=0 src1=1 src2=0
	v_mul_i32_i24_e32 v14, v163, v3 /*v259*/
	v_mul_i32_i24_e32 v15, v164, v4 /*v260*/
	;; [unrolled: 1-line block ×4, first 2 shown]
	v_bfe_u32 v168, v236, 8, 4
	v_bfe_u32 v169, v236, 16, 4
	s_set_vgpr_msb 0                        ;  msbs: dst=0 src0=0 src1=0 src2=0
	v_add3_u32 v13, v13, v15, v14
	s_set_vgpr_msb 4                        ;  msbs: dst=0 src0=0 src1=1 src2=0
	v_mul_i32_i24_e32 v14, v167, v7 /*v263*/
	v_bfe_u32 v170, v236, 24, 4
	v_mul_i32_i24_e32 v15, v168, v8 /*v264*/
	s_set_vgpr_msb 0                        ;  msbs: dst=0 src0=0 src1=0 src2=0
	v_dual_lshrrev_b32 v233, 28, v236 :: v_dual_bitop2_b32 v171, 15, v237 bitop3:0x40
	v_add3_u32 v13, v13, v16, v18
	s_set_vgpr_msb 4                        ;  msbs: dst=0 src0=0 src1=1 src2=0
	v_mul_i32_i24_e32 v16, v169, v9 /*v265*/
	v_mul_i32_i24_e32 v18, v170, v10 /*v266*/
	v_bfe_u32 v172, v237, 8, 4
	v_bfe_u32 v173, v237, 16, 4
	s_set_vgpr_msb 0                        ;  msbs: dst=0 src0=0 src1=0 src2=0
	v_add3_u32 v13, v13, v15, v14
	s_set_vgpr_msb 4                        ;  msbs: dst=0 src0=0 src1=1 src2=0
	v_mul_i32_i24_e32 v14, v171, v11 /*v267*/
	v_bfe_u32 v174, v237, 24, 4
	v_mul_i32_i24_e32 v15, v172, v12 /*v268*/
	s_wait_dscnt 0x1
	s_set_vgpr_msb 0                        ;  msbs: dst=0 src0=0 src1=0 src2=0
	v_and_b32_e32 v178, 15, v244
	v_add3_u32 v13, v13, v16, v18
	s_set_vgpr_msb 4                        ;  msbs: dst=0 src0=0 src1=1 src2=0
	v_mul_i32_i24_e32 v16, v173, v13 /*v269*/
	v_mul_i32_i24_e32 v18, v174, v14 /*v270*/
	v_bfe_u32 v180, v244, 8, 4
	v_bfe_u32 v181, v244, 24, 4
	s_set_vgpr_msb 0                        ;  msbs: dst=0 src0=0 src1=0 src2=0
	v_add3_u32 v13, v13, v15, v14
	v_bfe_u32 v184, v244, 16, 4
	v_bfe_u32 v223, v236, 20, 4
	s_set_vgpr_msb 4                        ;  msbs: dst=0 src0=0 src1=1 src2=0
	v_mul_i32_i24_e32 v15, v180, v16 /*v272*/
	v_bfe_u32 v228, v236, 4, 4
	s_set_vgpr_msb 0                        ;  msbs: dst=0 src0=0 src1=0 src2=0
	v_add3_u32 v13, v13, v16, v18
	v_bfe_u32 v230, v236, 12, 4
	v_bfe_u32 v231, v237, 20, 4
	;; [unrolled: 1-line block ×4, first 2 shown]
	v_lshrrev_b32_e32 v237, 28, v237
	s_set_vgpr_msb 4                        ;  msbs: dst=0 src0=0 src1=1 src2=0
	v_mul_i32_i24_e32 v14, v178, v15 /*v271*/
	s_set_vgpr_msb 1                        ;  msbs: dst=0 src0=1 src1=0 src2=0
	v_mul_i32_i24_e32 v16, v19 /*v275*/, v181
	v_mul_i32_i24_e32 v18, v18 /*v274*/, v184
	s_set_vgpr_msb 0                        ;  msbs: dst=0 src0=0 src1=0 src2=0
	v_bfe_u32 v189, v245, 8, 4
	v_dual_lshrrev_b32 v240, 28, v244 :: v_dual_bitop2_b32 v191, 15, v245 bitop3:0x40
	v_add3_u32 v13, v13, v15, v14
	v_bfe_u32 v192, v245, 24, 4
	s_set_vgpr_msb 1                        ;  msbs: dst=0 src0=1 src1=0 src2=0
	v_mul_i32_i24_e32 v15, v21 /*v277*/, v189
	v_mul_i32_i24_e32 v14, v20 /*v276*/, v191
	s_set_vgpr_msb 0                        ;  msbs: dst=0 src0=0 src1=0 src2=0
	v_bfe_u32 v196, v245, 16, 4
	v_add3_u32 v13, v13, v18, v16
	s_set_vgpr_msb 1                        ;  msbs: dst=0 src0=1 src1=0 src2=0
	v_mul_i32_i24_e32 v16, v23 /*v279*/, v192
	s_wait_dscnt 0x0
	v_bfe_u32 v199, v26 /*v282*/, 8, 4
	s_set_vgpr_msb 4                        ;  msbs: dst=0 src0=0 src1=1 src2=0
	v_dual_lshrrev_b32 v248, 28, v26 /*v282*/ :: v_dual_bitop2_b32 v202, 15, v26 /*v282*/ bitop3:0x40
	s_set_vgpr_msb 1                        ;  msbs: dst=0 src0=1 src1=0 src2=0
	v_mul_i32_i24_e32 v18, v22 /*v278*/, v196
	s_set_vgpr_msb 0                        ;  msbs: dst=0 src0=0 src1=0 src2=0
	v_add3_u32 v13, v13, v15, v14
	s_set_vgpr_msb 1                        ;  msbs: dst=0 src0=1 src1=0 src2=0
	v_mul_i32_i24_e32 v14, v25 /*v281*/, v199
	v_mul_i32_i24_e32 v12, v24 /*v280*/, v202
	v_bfe_u32 v203, v26 /*v282*/, 24, 4
	v_bfe_u32 v208, v26 /*v282*/, 16, 4
	s_set_vgpr_msb 0                        ;  msbs: dst=0 src0=0 src1=0 src2=0
	v_add3_u32 v13, v13, v18, v16
	s_set_vgpr_msb 4                        ;  msbs: dst=0 src0=0 src1=1 src2=0
	v_dual_lshrrev_b32 v117, 28, v27 /*v283*/ :: v_dual_bitop2_b32 v215, 15, v27 /*v283*/ bitop3:0x40
	s_set_vgpr_msb 0                        ;  msbs: dst=0 src0=0 src1=0 src2=0
	v_mul_i32_i24_e32 v15, v253, v203
	v_mul_i32_i24_e32 v16, v252, v208
	v_add3_u32 v12, v13, v14, v12
	s_set_vgpr_msb 1                        ;  msbs: dst=0 src0=1 src1=0 src2=0
	v_bfe_u32 v218, v27 /*v283*/, 8, 4
	s_set_vgpr_msb 0                        ;  msbs: dst=0 src0=0 src1=0 src2=0
	v_mul_i32_i24_e32 v13, v215, v154
	v_bfe_u32 v210, v150, 4, 4
	v_bfe_u32 v205, v150, 20, 4
	v_add3_u32 v12, v12, v16, v15
	v_mul_i32_i24_e32 v14, v218, v153
	v_bfe_u32 v209, v150, 12, 4
	s_set_vgpr_msb 4                        ;  msbs: dst=0 src0=0 src1=1 src2=0
	v_mul_i32_i24_e32 v15, v216, v164 /*v420*/
	v_bfe_u32 v220, v151, 4, 4
	v_bfe_u32 v222, v151, 12, 4
	s_set_vgpr_msb 64                       ;  msbs: dst=1 src0=0 src1=0 src2=0
	v_add3_u32 v180 /*v436*/, v12, v14, v13
	s_set_vgpr_msb 4                        ;  msbs: dst=0 src0=0 src1=1 src2=0
	ds_load_u16 v12, v8
	ds_load_u16 v8, v8 offset:8
	v_mul_i32_i24_e32 v14, v205, v163 /*v419*/
	v_bfe_u32 v212, v151, 20, 4
	v_mul_i32_i24_e32 v18, v226, v162 /*v418*/
	v_mul_i32_i24_e32 v20, v228, v140 /*v396*/
	;; [unrolled: 1-line block ×10, first 2 shown]
	v_bfe_u32 v238, v244, 4, 4
	v_bfe_u32 v239, v244, 12, 4
	;; [unrolled: 1-line block ×3, first 2 shown]
	s_set_vgpr_msb 1                        ;  msbs: dst=0 src0=1 src1=0 src2=0
	v_mul_i32_i24_e32 v38, v158 /*v414*/, v240
	s_set_vgpr_msb 4                        ;  msbs: dst=0 src0=0 src1=1 src2=0
	v_bfe_u32 v242, v245, 4, 4
	v_mul_i32_i24_e32 v30, v238, v146 /*v402*/
	s_wait_dscnt 0x1
	s_set_vgpr_msb 0                        ;  msbs: dst=0 src0=0 src1=0 src2=0
	v_lshrrev_b16 v13, 8, v12
	v_and_b32_e32 v158, 0xff, v12
	s_set_vgpr_msb 4                        ;  msbs: dst=0 src0=0 src1=1 src2=0
	v_mul_i32_i24_e32 v12, v210, v136 /*v392*/
	v_mul_i32_i24_e32 v31, v239, v147 /*v403*/
	s_set_vgpr_msb 1                        ;  msbs: dst=0 src0=1 src1=0 src2=0
	v_mul_i32_i24_e32 v40, v148 /*v404*/, v241
	s_set_vgpr_msb 0                        ;  msbs: dst=0 src0=0 src1=0 src2=0
	v_bfe_u32 v243, v245, 12, 4
	s_set_vgpr_msb 1                        ;  msbs: dst=0 src0=1 src1=0 src2=0
	v_mul_i32_i24_e32 v44, v149 /*v405*/, v242
	s_set_vgpr_msb 4                        ;  msbs: dst=0 src0=0 src1=1 src2=0
	v_mad_i32_i24 v12, v209, v135 /*v391*/, v12
	s_set_vgpr_msb 0                        ;  msbs: dst=0 src0=0 src1=0 src2=0
	v_lshrrev_b32_e32 v244, 28, v245
	v_bfe_u32 v245, v245, 20, 4
	s_set_vgpr_msb 1                        ;  msbs: dst=0 src0=1 src1=0 src2=0
	v_mul_i32_i24_e32 v42, v150 /*v406*/, v243
	v_bfe_u32 v246, v26 /*v282*/, 4, 4
	s_set_vgpr_msb 0                        ;  msbs: dst=0 src0=0 src1=0 src2=0
	v_add3_u32 v12, v12, v14, v15
	s_set_vgpr_msb 4                        ;  msbs: dst=0 src0=0 src1=1 src2=0
	v_mul_i32_i24_e32 v14, v220, v137 /*v393*/
	v_mul_i32_i24_e32 v15, v222, v138 /*v394*/
	s_set_vgpr_msb 1                        ;  msbs: dst=0 src0=1 src1=0 src2=0
	v_mul_i32_i24_e32 v46, v157 /*v413*/, v244
	v_mul_i32_i24_e32 v84, v151 /*v407*/, v245
	v_bfe_u32 v247, v26 /*v282*/, 12, 4
	v_mul_i32_i24_e32 v126, v153 /*v409*/, v246
	s_set_vgpr_msb 0                        ;  msbs: dst=0 src0=0 src1=0 src2=0
	v_add3_u32 v12, v12, v14, v15
	s_set_vgpr_msb 1                        ;  msbs: dst=0 src0=1 src1=0 src2=0
	v_bfe_u32 v249, v26 /*v282*/, 20, 4
	v_mul_i32_i24_e32 v151, v156 /*v412*/, v248
	v_mul_i32_i24_e32 v108, v154 /*v410*/, v247
	v_bfe_u32 v250, v27 /*v283*/, 4, 4
	s_set_vgpr_msb 0                        ;  msbs: dst=0 src0=0 src1=0 src2=0
	v_add3_u32 v12, v12, v16, v18
	s_set_vgpr_msb 1                        ;  msbs: dst=0 src0=1 src1=0 src2=0
	v_mul_i32_i24_e32 v255, v155 /*v411*/, v249
	s_wait_dscnt 0x0
	s_set_vgpr_msb 0                        ;  msbs: dst=0 src0=0 src1=0 src2=0
	v_cvt_f32_ubyte0_e32 v106, v8
	s_set_vgpr_msb 1                        ;  msbs: dst=0 src0=1 src1=0 src2=0
	v_bfe_u32 v219, v27 /*v283*/, 16, 4
	s_set_vgpr_msb 64                       ;  msbs: dst=1 src0=0 src1=0 src2=0
	v_mul_i32_i24_e32 v181 /*v437*/, v250, v152
	s_set_vgpr_msb 0                        ;  msbs: dst=0 src0=0 src1=0 src2=0
	v_add3_u32 v12, v12, v20, v21
	s_set_vgpr_msb 1                        ;  msbs: dst=0 src0=1 src1=0 src2=0
	v_bfe_u32 v157, v27 /*v283*/, 24, 4
	v_bfe_u32 v251, v27 /*v283*/, 12, 4
	;; [unrolled: 1-line block ×3, first 2 shown]
	s_set_vgpr_msb 64                       ;  msbs: dst=1 src0=0 src1=0 src2=0
	v_mul_i32_i24_e32 v179 /*v435*/, v219, v112
	s_set_vgpr_msb 0                        ;  msbs: dst=0 src0=0 src1=0 src2=0
	v_add3_u32 v12, v12, v22, v24
	s_set_vgpr_msb 64                       ;  msbs: dst=1 src0=0 src1=0 src2=0
	v_mul_i32_i24_e32 v182 /*v438*/, v251, v110
	s_set_vgpr_msb 0                        ;  msbs: dst=0 src0=0 src1=0 src2=0
	s_delay_alu instid0(VALU_DEP_2) | instskip(NEXT) | instid1(VALU_DEP_1)
	v_add3_u32 v12, v12, v26, v27
	v_add3_u32 v12, v12, v28, v29
	s_delay_alu instid0(VALU_DEP_1) | instskip(NEXT) | instid1(VALU_DEP_1)
	v_add3_u32 v12, v12, v30, v31
	v_add3_u32 v12, v12, v40, v38
	s_delay_alu instid0(VALU_DEP_1) | instskip(NEXT) | instid1(VALU_DEP_1)
	v_add3_u32 v12, v12, v44, v42
	v_add3_u32 v12, v12, v84, v46
	s_delay_alu instid0(VALU_DEP_1) | instskip(SKIP_3) | instid1(VALU_DEP_3)
	v_add3_u32 v12, v12, v126, v108
	v_cvt_f32_ubyte1_e32 v108, v8
	v_add3_u32 v8, s16, v143, v140
	s_set_vgpr_msb 64                       ;  msbs: dst=1 src0=0 src1=0 src2=0
	v_add3_u32 v183 /*v439*/, v12, v255, v151
	s_set_vgpr_msb 0                        ;  msbs: dst=0 src0=0 src1=0 src2=0
	v_add_nc_u32_e32 v12, s13, v147
	v_and_b32_e32 v151, 0xffff, v13
	s_set_vgpr_msb 64                       ;  msbs: dst=1 src0=0 src1=0 src2=0
	ds_load_2addr_b32 v[36:37] /*v[292:293]*/, v12 offset1:1
	ds_load_2addr_b32 v[44:45] /*v[300:301]*/, v12 offset0:2 offset1:3
	ds_load_2addr_b32 v[52:53] /*v[308:309]*/, v12 offset0:4 offset1:5
	;; [unrolled: 1-line block ×3, first 2 shown]
	s_wait_dscnt 0x3
	s_set_vgpr_msb 4                        ;  msbs: dst=0 src0=0 src1=1 src2=0
	v_and_b32_e32 v255, 15, v36 /*v292*/
	s_set_vgpr_msb 0x41                     ;  msbs: dst=1 src0=1 src1=0 src2=0
	v_bfe_u32 v0 /*v256*/, v36 /*v292*/, 16, 4
	s_set_vgpr_msb 0x44                     ;  msbs: dst=1 src0=0 src1=1 src2=0
	v_lshrrev_b32_e32 v31 /*v287*/, 28, v36 /*v292*/
	s_wait_dscnt 0x0
	s_set_vgpr_msb 0x41                     ;  msbs: dst=1 src0=1 src1=0 src2=0
	v_bfe_u32 v57 /*v313*/, v189 /*v445*/, 4, 4
	v_bfe_u32 v29 /*v285*/, v37 /*v293*/, 20, 4
	;; [unrolled: 1-line block ×3, first 2 shown]
	s_set_vgpr_msb 5                        ;  msbs: dst=0 src0=1 src1=1 src2=0
	v_mul_i32_i24_e32 v14, v0 /*v256*/, v1 /*v257*/
	s_set_vgpr_msb 0x41                     ;  msbs: dst=1 src0=1 src1=0 src2=0
	v_bfe_u32 v1 /*v257*/, v36 /*v292*/, 24, 4
	v_mul_i32_i24_e32 v186 /*v442*/, v57 /*v313*/, v152
	s_set_vgpr_msb 4                        ;  msbs: dst=0 src0=0 src1=1 src2=0
	v_lshrrev_b32_e32 v152, 28, v189 /*v445*/
	s_set_vgpr_msb 0                        ;  msbs: dst=0 src0=0 src1=0 src2=0
	v_mul_i32_i24_e32 v13, v255, v254
	s_set_vgpr_msb 5                        ;  msbs: dst=0 src0=1 src1=1 src2=0
	v_bfe_u32 v254, v36 /*v292*/, 8, 4
	v_mul_i32_i24_e32 v15, v1 /*v257*/, v17 /*v273*/
	s_set_vgpr_msb 0x41                     ;  msbs: dst=1 src0=1 src1=0 src2=0
	v_bfe_u32 v35 /*v291*/, v37 /*v293*/, 12, 4
	s_set_vgpr_msb 0x44                     ;  msbs: dst=1 src0=0 src1=1 src2=0
	v_lshrrev_b32_e32 v41 /*v297*/, 28, v44 /*v300*/
	s_set_vgpr_msb 0x41                     ;  msbs: dst=1 src0=1 src1=0 src2=0
	v_bfe_u32 v17 /*v273*/, v52 /*v308*/, 16, 4
	s_set_vgpr_msb 4                        ;  msbs: dst=0 src0=0 src1=1 src2=0
	v_mad_i32_i24 v13, v254, v2 /*v258*/, v13
	s_set_vgpr_msb 0x44                     ;  msbs: dst=1 src0=0 src1=1 src2=0
	v_and_b32_e32 v2 /*v258*/, 15, v37 /*v293*/
	s_set_vgpr_msb 0x41                     ;  msbs: dst=1 src0=1 src1=0 src2=0
	v_bfe_u32 v26 /*v282*/, v188 /*v444*/, 16, 4
	s_set_vgpr_msb 0x44                     ;  msbs: dst=1 src0=0 src1=1 src2=0
	v_dual_lshrrev_b32 v55 /*v311*/, 28, v188 /*v444*/ :: v_dual_bitop2_b32 v30 /*v286*/, 15, v189 /*v445*/ bitop3:0x40
	s_set_vgpr_msb 0                        ;  msbs: dst=0 src0=0 src1=0 src2=0
	v_add3_u32 v13, v13, v14, v15
	s_set_vgpr_msb 5                        ;  msbs: dst=0 src0=1 src1=1 src2=0
	v_mul_i32_i24_e32 v14, v2 /*v258*/, v3 /*v259*/
	s_set_vgpr_msb 0x41                     ;  msbs: dst=1 src0=1 src1=0 src2=0
	v_bfe_u32 v3 /*v259*/, v37 /*v293*/, 8, 4
	v_bfe_u32 v32 /*v288*/, v189 /*v445*/, 8, 4
	v_bfe_u32 v28 /*v284*/, v36 /*v292*/, 4, 4
	v_bfe_u32 v27 /*v283*/, v36 /*v292*/, 12, 4
	v_bfe_u32 v38 /*v294*/, v44 /*v300*/, 4, 4
	s_set_vgpr_msb 5                        ;  msbs: dst=0 src0=1 src1=1 src2=0
	v_mul_i32_i24_e32 v15, v3 /*v259*/, v4 /*v260*/
	s_set_vgpr_msb 0x41                     ;  msbs: dst=1 src0=1 src1=0 src2=0
	v_bfe_u32 v4 /*v260*/, v37 /*v293*/, 16, 4
	v_bfe_u32 v39 /*v295*/, v44 /*v300*/, 12, 4
	s_set_vgpr_msb 5                        ;  msbs: dst=0 src0=1 src1=1 src2=0
	v_mul_i32_i24_e32 v24, v41 /*v297*/, v161 /*v417*/
	v_mul_i32_i24_e32 v20, v38 /*v294*/, v140 /*v396*/
	s_set_vgpr_msb 0                        ;  msbs: dst=0 src0=0 src1=0 src2=0
	v_add3_u32 v13, v13, v15, v14
	s_set_vgpr_msb 5                        ;  msbs: dst=0 src0=1 src1=1 src2=0
	v_mul_i32_i24_e32 v16, v4 /*v260*/, v5 /*v261*/
	s_set_vgpr_msb 0x41                     ;  msbs: dst=1 src0=1 src1=0 src2=0
	v_bfe_u32 v5 /*v261*/, v37 /*v293*/, 24, 4
	s_set_vgpr_msb 0x44                     ;  msbs: dst=1 src0=0 src1=1 src2=0
	v_lshrrev_b32_e32 v37 /*v293*/, 28, v37 /*v293*/
	s_set_vgpr_msb 5                        ;  msbs: dst=0 src0=1 src1=1 src2=0
	v_mul_i32_i24_e32 v21, v39 /*v295*/, v141 /*v397*/
	s_set_vgpr_msb 0x41                     ;  msbs: dst=1 src0=1 src1=0 src2=0
	v_bfe_u32 v42 /*v298*/, v45 /*v301*/, 4, 4
	v_bfe_u32 v43 /*v299*/, v45 /*v301*/, 12, 4
	s_set_vgpr_msb 5                        ;  msbs: dst=0 src0=1 src1=1 src2=0
	v_mul_i32_i24_e32 v18, v5 /*v261*/, v6 /*v262*/
	s_set_vgpr_msb 0x44                     ;  msbs: dst=1 src0=0 src1=1 src2=0
	v_and_b32_e32 v6 /*v262*/, 15, v44 /*v300*/
	v_lshrrev_b32_e32 v47 /*v303*/, 28, v52 /*v308*/
	s_set_vgpr_msb 0x41                     ;  msbs: dst=1 src0=1 src1=0 src2=0
	v_bfe_u32 v40 /*v296*/, v45 /*v301*/, 20, 4
	s_set_vgpr_msb 5                        ;  msbs: dst=0 src0=1 src1=1 src2=0
	v_mul_i32_i24_e32 v26, v42 /*v298*/, v144 /*v400*/
	s_set_vgpr_msb 0                        ;  msbs: dst=0 src0=0 src1=0 src2=0
	v_add3_u32 v13, v13, v16, v18
	s_set_vgpr_msb 5                        ;  msbs: dst=0 src0=1 src1=1 src2=0
	v_mul_i32_i24_e32 v14, v6 /*v262*/, v7 /*v263*/
	s_set_vgpr_msb 0x41                     ;  msbs: dst=1 src0=1 src1=0 src2=0
	v_bfe_u32 v7 /*v263*/, v44 /*v300*/, 8, 4
	s_set_vgpr_msb 5                        ;  msbs: dst=0 src0=1 src1=1 src2=0
	v_mul_i32_i24_e32 v27, v43 /*v299*/, v145 /*v401*/
	v_mul_i32_i24_e32 v28, v40 /*v296*/, v159 /*v415*/
	s_set_vgpr_msb 0x44                     ;  msbs: dst=1 src0=0 src1=1 src2=0
	v_lshrrev_b32_e32 v51 /*v307*/, 28, v53 /*v309*/
	s_set_vgpr_msb 0x41                     ;  msbs: dst=1 src0=1 src1=0 src2=0
	v_bfe_u32 v46 /*v302*/, v52 /*v308*/, 12, 4
	s_set_vgpr_msb 5                        ;  msbs: dst=0 src0=1 src1=1 src2=0
	v_mul_i32_i24_e32 v15, v7 /*v263*/, v8 /*v264*/
	s_set_vgpr_msb 0x41                     ;  msbs: dst=1 src0=1 src1=0 src2=0
	v_bfe_u32 v8 /*v264*/, v44 /*v300*/, 16, 4
	v_bfe_u32 v48 /*v304*/, v52 /*v308*/, 20, 4
	s_set_vgpr_msb 5                        ;  msbs: dst=0 src0=1 src1=1 src2=0
	v_mul_i32_i24_e32 v38, v158 /*v414*/, v47 /*v303*/
	v_mul_i32_i24_e32 v31, v46 /*v302*/, v147 /*v403*/
	s_set_vgpr_msb 0                        ;  msbs: dst=0 src0=0 src1=0 src2=0
	v_add3_u32 v13, v13, v15, v14
	s_set_vgpr_msb 5                        ;  msbs: dst=0 src0=1 src1=1 src2=0
	v_mul_i32_i24_e32 v16, v8 /*v264*/, v9 /*v265*/
	s_set_vgpr_msb 0x41                     ;  msbs: dst=1 src0=1 src1=0 src2=0
	v_bfe_u32 v9 /*v265*/, v44 /*v300*/, 24, 4
	s_set_vgpr_msb 5                        ;  msbs: dst=0 src0=1 src1=1 src2=0
	v_mul_i32_i24_e32 v40, v148 /*v404*/, v48 /*v304*/
	s_set_vgpr_msb 0x41                     ;  msbs: dst=1 src0=1 src1=0 src2=0
	v_bfe_u32 v49 /*v305*/, v53 /*v309*/, 4, 4
	v_bfe_u32 v50 /*v306*/, v53 /*v309*/, 12, 4
	s_set_vgpr_msb 5                        ;  msbs: dst=0 src0=1 src1=1 src2=0
	v_mul_i32_i24_e32 v46, v157 /*v413*/, v51 /*v307*/
	v_mul_i32_i24_e32 v18, v9 /*v265*/, v10 /*v266*/
	s_set_vgpr_msb 0x44                     ;  msbs: dst=1 src0=0 src1=1 src2=0
	v_and_b32_e32 v10 /*v266*/, 15, v45 /*v301*/
	s_set_vgpr_msb 5                        ;  msbs: dst=0 src0=1 src1=1 src2=0
	v_mul_i32_i24_e32 v44, v149 /*v405*/, v49 /*v305*/
	v_mul_i32_i24_e32 v42, v150 /*v406*/, v50 /*v306*/
	s_set_vgpr_msb 0x41                     ;  msbs: dst=1 src0=1 src1=0 src2=0
	v_bfe_u32 v54 /*v310*/, v188 /*v444*/, 12, 4
	s_set_vgpr_msb 0                        ;  msbs: dst=0 src0=0 src1=0 src2=0
	v_add3_u32 v13, v13, v16, v18
	s_set_vgpr_msb 5                        ;  msbs: dst=0 src0=1 src1=1 src2=0
	v_mul_i32_i24_e32 v14, v10 /*v266*/, v11 /*v267*/
	s_set_vgpr_msb 0x41                     ;  msbs: dst=1 src0=1 src1=0 src2=0
	v_bfe_u32 v11 /*v267*/, v45 /*v301*/, 8, 4
	v_bfe_u32 v33 /*v289*/, v189 /*v445*/, 16, 4
	s_set_vgpr_msb 5                        ;  msbs: dst=0 src0=1 src1=1 src2=0
	v_mul_i32_i24_e32 v126, v154 /*v410*/, v54 /*v310*/
	s_set_vgpr_msb 0x41                     ;  msbs: dst=1 src0=1 src1=0 src2=0
	v_bfe_u32 v56 /*v312*/, v188 /*v444*/, 20, 4
	v_bfe_u32 v58 /*v314*/, v189 /*v445*/, 12, 4
	s_set_vgpr_msb 5                        ;  msbs: dst=0 src0=1 src1=1 src2=0
	v_mul_i32_i24_e32 v15, v11 /*v267*/, v12 /*v268*/
	s_set_vgpr_msb 0x41                     ;  msbs: dst=1 src0=1 src1=0 src2=0
	v_bfe_u32 v12 /*v268*/, v45 /*v301*/, 16, 4
	v_mul_i32_i24_e32 v184 /*v440*/, v33 /*v289*/, v112
	s_set_vgpr_msb 0x45                     ;  msbs: dst=1 src0=1 src1=1 src2=0
	v_mul_i32_i24_e32 v134 /*v390*/, v156 /*v412*/, v55 /*v311*/
	s_set_vgpr_msb 0x41                     ;  msbs: dst=1 src0=1 src1=0 src2=0
	v_mul_i32_i24_e32 v187 /*v443*/, v58 /*v314*/, v110
	s_set_vgpr_msb 0                        ;  msbs: dst=0 src0=0 src1=0 src2=0
	v_add3_u32 v13, v13, v15, v14
	s_set_vgpr_msb 5                        ;  msbs: dst=0 src0=1 src1=1 src2=0
	v_mul_i32_i24_e32 v16, v12 /*v268*/, v13 /*v269*/
	s_set_vgpr_msb 0x41                     ;  msbs: dst=1 src0=1 src1=0 src2=0
	v_bfe_u32 v13 /*v269*/, v45 /*v301*/, 24, 4
	s_set_vgpr_msb 5                        ;  msbs: dst=0 src0=1 src1=1 src2=0
	s_delay_alu instid0(VALU_DEP_1) | instskip(SKIP_3) | instid1(VALU_DEP_2)
	v_mul_i32_i24_e32 v18, v13 /*v269*/, v14 /*v270*/
	s_set_vgpr_msb 0x44                     ;  msbs: dst=1 src0=0 src1=1 src2=0
	v_and_b32_e32 v14 /*v270*/, 15, v52 /*v308*/
	s_set_vgpr_msb 0                        ;  msbs: dst=0 src0=0 src1=0 src2=0
	v_add3_u32 v13, v13, v16, v18
	s_set_vgpr_msb 5                        ;  msbs: dst=0 src0=1 src1=1 src2=0
	s_delay_alu instid0(VALU_DEP_2)
	v_mul_i32_i24_e32 v14, v14 /*v270*/, v15 /*v271*/
	s_set_vgpr_msb 0x41                     ;  msbs: dst=1 src0=1 src1=0 src2=0
	v_bfe_u32 v15 /*v271*/, v52 /*v308*/, 8, 4
	s_set_vgpr_msb 5                        ;  msbs: dst=0 src0=1 src1=1 src2=0
	v_mul_i32_i24_e32 v18, v18 /*v274*/, v17 /*v273*/
	s_set_vgpr_msb 0x41                     ;  msbs: dst=1 src0=1 src1=0 src2=0
	v_bfe_u32 v18 /*v274*/, v53 /*v309*/, 8, 4
	s_set_vgpr_msb 5                        ;  msbs: dst=0 src0=1 src1=1 src2=0
	;; [unrolled: 4-line block ×3, first 2 shown]
	s_delay_alu instid0(VALU_DEP_2) | instskip(SKIP_1) | instid1(VALU_DEP_2)
	v_add3_u32 v13, v13, v15, v14
	s_set_vgpr_msb 5                        ;  msbs: dst=0 src0=1 src1=1 src2=0
	v_mul_i32_i24_e32 v16, v19 /*v275*/, v16 /*v272*/
	s_set_vgpr_msb 0x44                     ;  msbs: dst=1 src0=0 src1=1 src2=0
	v_and_b32_e32 v19 /*v275*/, 15, v53 /*v309*/
	s_set_vgpr_msb 5                        ;  msbs: dst=0 src0=1 src1=1 src2=0
	v_mul_i32_i24_e32 v15, v21 /*v277*/, v18 /*v274*/
	s_set_vgpr_msb 0x41                     ;  msbs: dst=1 src0=1 src1=0 src2=0
	v_bfe_u32 v21 /*v277*/, v53 /*v309*/, 16, 4
	s_set_vgpr_msb 0                        ;  msbs: dst=0 src0=0 src1=0 src2=0
	v_add3_u32 v13, v13, v18, v16
	s_set_vgpr_msb 5                        ;  msbs: dst=0 src0=1 src1=1 src2=0
	v_mul_i32_i24_e32 v14, v20 /*v276*/, v19 /*v275*/
	s_set_vgpr_msb 0x41                     ;  msbs: dst=1 src0=1 src1=0 src2=0
	v_bfe_u32 v20 /*v276*/, v53 /*v309*/, 24, 4
	s_set_vgpr_msb 5                        ;  msbs: dst=0 src0=1 src1=1 src2=0
	v_mul_i32_i24_e32 v18, v22 /*v278*/, v21 /*v277*/
	s_set_vgpr_msb 0x41                     ;  msbs: dst=1 src0=1 src1=0 src2=0
	v_bfe_u32 v22 /*v278*/, v188 /*v444*/, 8, 4
	s_set_vgpr_msb 0                        ;  msbs: dst=0 src0=0 src1=0 src2=0
	v_add3_u32 v13, v13, v15, v14
	s_set_vgpr_msb 5                        ;  msbs: dst=0 src0=1 src1=1 src2=0
	v_mul_i32_i24_e32 v16, v23 /*v279*/, v20 /*v276*/
	s_set_vgpr_msb 0x44                     ;  msbs: dst=1 src0=0 src1=1 src2=0
	v_and_b32_e32 v23 /*v279*/, 15, v188 /*v444*/
	s_set_vgpr_msb 5                        ;  msbs: dst=0 src0=1 src1=1 src2=0
	v_mul_i32_i24_e32 v14, v25 /*v281*/, v22 /*v278*/
	s_set_vgpr_msb 0x41                     ;  msbs: dst=1 src0=1 src1=0 src2=0
	v_bfe_u32 v25 /*v281*/, v36 /*v292*/, 20, 4
	v_bfe_u32 v36 /*v292*/, v44 /*v300*/, 20, 4
	s_set_vgpr_msb 0                        ;  msbs: dst=0 src0=0 src1=0 src2=0
	v_add3_u32 v13, v13, v18, v16
	s_set_vgpr_msb 5                        ;  msbs: dst=0 src0=1 src1=1 src2=0
	v_mul_i32_i24_e32 v12, v24 /*v280*/, v23 /*v279*/
	s_set_vgpr_msb 0x41                     ;  msbs: dst=1 src0=1 src1=0 src2=0
	v_bfe_u32 v24 /*v280*/, v188 /*v444*/, 24, 4
	s_set_vgpr_msb 4                        ;  msbs: dst=0 src0=0 src1=1 src2=0
	v_mul_i32_i24_e32 v16, v252, v26 /*v282*/
	s_set_vgpr_msb 5                        ;  msbs: dst=0 src0=1 src1=1 src2=0
	v_mul_i32_i24_e32 v18, v37 /*v293*/, v162 /*v418*/
	v_mul_i32_i24_e32 v22, v36 /*v292*/, v142 /*v398*/
	s_set_vgpr_msb 0                        ;  msbs: dst=0 src0=0 src1=0 src2=0
	v_add3_u32 v12, v13, v14, v12
	s_set_vgpr_msb 4                        ;  msbs: dst=0 src0=0 src1=1 src2=0
	v_mul_i32_i24_e32 v15, v253, v24 /*v280*/
	s_set_vgpr_msb 1                        ;  msbs: dst=0 src0=1 src1=0 src2=0
	v_mul_i32_i24_e32 v13, v30 /*v286*/, v154
	v_mul_i32_i24_e32 v14, v32 /*v288*/, v153
	s_set_vgpr_msb 0x44                     ;  msbs: dst=1 src0=0 src1=1 src2=0
	v_lshrrev_b32_e32 v44 /*v300*/, 28, v45 /*v301*/
	s_set_vgpr_msb 0x41                     ;  msbs: dst=1 src0=1 src1=0 src2=0
	v_bfe_u32 v45 /*v301*/, v52 /*v308*/, 4, 4
	s_set_vgpr_msb 0                        ;  msbs: dst=0 src0=0 src1=0 src2=0
	v_add3_u32 v12, v12, v16, v15
	s_set_vgpr_msb 5                        ;  msbs: dst=0 src0=1 src1=1 src2=0
	v_mul_i32_i24_e32 v15, v31 /*v287*/, v164 /*v420*/
	v_mul_i32_i24_e32 v16, v29 /*v285*/, v139 /*v395*/
	;; [unrolled: 1-line block ×4, first 2 shown]
	s_set_vgpr_msb 64                       ;  msbs: dst=1 src0=0 src1=0 src2=0
	v_add3_u32 v185 /*v441*/, v12, v14, v13
	s_set_vgpr_msb 0                        ;  msbs: dst=0 src0=0 src1=0 src2=0
	ds_load_u16 v12, v8
	ds_load_u16 v8, v8 offset:8
	s_set_vgpr_msb 5                        ;  msbs: dst=0 src0=1 src1=1 src2=0
	v_mul_i32_i24_e32 v14, v25 /*v281*/, v163 /*v419*/
	s_set_vgpr_msb 0x45                     ;  msbs: dst=1 src0=1 src1=1 src2=0
	v_bfe_u32 v52 /*v308*/, v53 /*v309*/, 20, 4
	v_bfe_u32 v53 /*v309*/, v188 /*v444*/, 4, 4
	v_mul_i32_i24_e32 v188 /*v444*/, v155 /*v411*/, v56 /*v312*/
	s_set_vgpr_msb 5                        ;  msbs: dst=0 src0=1 src1=1 src2=0
	v_bfe_u32 v252, v189 /*v445*/, 24, 4
	v_bfe_u32 v153, v189 /*v445*/, 20, 4
	v_mul_i32_i24_e32 v84, v151 /*v407*/, v52 /*v308*/
	v_mul_i32_i24_e32 v154, v153 /*v409*/, v53 /*v309*/
	s_set_vgpr_msb 0x45                     ;  msbs: dst=1 src0=1 src1=1 src2=0
	v_mul_i32_i24_e32 v164 /*v420*/, v126 /*v382*/, v164 /*v420*/
	v_mul_i32_i24_e32 v162 /*v418*/, v118 /*v374*/, v162 /*v418*/
	s_wait_dscnt 0x1
	s_set_vgpr_msb 0                        ;  msbs: dst=0 src0=0 src1=0 src2=0
	v_lshrrev_b16 v13, 8, v12
	v_and_b32_e32 v253, 0xff, v12
	s_set_vgpr_msb 5                        ;  msbs: dst=0 src0=1 src1=1 src2=0
	v_mul_i32_i24_e32 v12, v28 /*v284*/, v136 /*v392*/
	s_wait_dscnt 0x0
	s_set_vgpr_msb 0                        ;  msbs: dst=0 src0=0 src1=0 src2=0
	v_cvt_f32_ubyte0_e32 v112, v8
	v_cvt_f32_ubyte1_e32 v110, v8
	v_or_b32_e32 v8, s12, v131
	s_set_vgpr_msb 5                        ;  msbs: dst=0 src0=1 src1=1 src2=0
	v_mad_i32_i24 v12, v27 /*v283*/, v135 /*v391*/, v12
	s_set_vgpr_msb 0                        ;  msbs: dst=0 src0=0 src1=0 src2=0
	s_delay_alu instid0(VALU_DEP_1) | instskip(SKIP_4) | instid1(VALU_DEP_1)
	v_add3_u32 v12, v12, v14, v15
	s_set_vgpr_msb 5                        ;  msbs: dst=0 src0=1 src1=1 src2=0
	v_mul_i32_i24_e32 v14, v34 /*v290*/, v137 /*v393*/
	v_mul_i32_i24_e32 v15, v35 /*v291*/, v138 /*v394*/
	s_set_vgpr_msb 0                        ;  msbs: dst=0 src0=0 src1=0 src2=0
	v_add3_u32 v12, v12, v14, v15
	s_delay_alu instid0(VALU_DEP_1) | instskip(NEXT) | instid1(VALU_DEP_1)
	v_add3_u32 v12, v12, v16, v18
	v_add3_u32 v12, v12, v20, v21
	s_delay_alu instid0(VALU_DEP_1) | instskip(NEXT) | instid1(VALU_DEP_1)
	v_add3_u32 v12, v12, v22, v24
	;; [unrolled: 3-line block ×5, first 2 shown]
	v_add3_u32 v12, v12, v154, v126
	v_and_b32_e32 v154, 0xffff, v13
	s_set_vgpr_msb 0x54                     ;  msbs: dst=1 src0=0 src1=1 src2=1
	s_delay_alu instid0(VALU_DEP_2)
	v_add3_u32 v188 /*v444*/, v12, v188 /*v444*/, v134 /*v390*/
	s_set_vgpr_msb 0                        ;  msbs: dst=0 src0=0 src1=0 src2=0
	v_dual_lshlrev_b32 v12, 2, v8 :: v_dual_lshrrev_b32 v8, 1, v8
	s_set_vgpr_msb 64                       ;  msbs: dst=1 src0=0 src1=0 src2=0
	ds_load_b128 v[190:193] /*v[446:449]*/, v12 offset:16896
	ds_load_b128 v[194:197] /*v[450:453]*/, v12 offset:16912
	;; [unrolled: 1-line block ×4, first 2 shown]
	s_wait_dscnt 0x3
	s_set_vgpr_msb 1                        ;  msbs: dst=0 src0=1 src1=0 src2=0
	v_bfe_i32 v12, v190 /*v446*/, 0, 8
	v_bfe_i32 v13, v190 /*v446*/, 8, 8
	;; [unrolled: 1-line block ×3, first 2 shown]
	s_set_vgpr_msb 4                        ;  msbs: dst=0 src0=0 src1=1 src2=0
	v_dual_ashrrev_i32 v15, 24, v190 /*v446*/ :: v_dual_ashrrev_i32 v21, 24, v191 /*v447*/
	s_set_vgpr_msb 0x44                     ;  msbs: dst=1 src0=0 src1=1 src2=0
	v_mul_i32_i24_e32 v134 /*v390*/, v12, v94 /*v350*/
	s_set_vgpr_msb 1                        ;  msbs: dst=0 src0=1 src1=0 src2=0
	v_bfe_i32 v16, v191 /*v447*/, 0, 8
	v_bfe_i32 v18, v191 /*v447*/, 8, 8
	v_bfe_i32 v20, v191 /*v447*/, 16, 8
	s_set_vgpr_msb 0x54                     ;  msbs: dst=1 src0=0 src1=1 src2=1
	v_mul_i32_i24_e32 v190 /*v446*/, v14, v95 /*v351*/
	v_mul_i32_i24_e32 v191 /*v447*/, v15, v96 /*v352*/
	v_mad_i32_i24 v134 /*v390*/, v13, v93 /*v349*/, v134 /*v390*/
	s_set_vgpr_msb 1                        ;  msbs: dst=0 src0=1 src1=0 src2=0
	v_bfe_i32 v22, v192 /*v448*/, 0, 8
	v_bfe_i32 v24, v192 /*v448*/, 8, 8
	s_set_vgpr_msb 0x44                     ;  msbs: dst=1 src0=0 src1=1 src2=0
	v_mul_i32_i24_e32 v208 /*v464*/, v20, v99 /*v355*/
	v_mul_i32_i24_e32 v209 /*v465*/, v21, v100 /*v356*/
	s_set_vgpr_msb 0x55                     ;  msbs: dst=1 src0=1 src1=1 src2=1
	v_add3_u32 v134 /*v390*/, v134 /*v390*/, v190 /*v446*/, v191 /*v447*/
	s_set_vgpr_msb 0x44                     ;  msbs: dst=1 src0=0 src1=1 src2=0
	v_mul_i32_i24_e32 v190 /*v446*/, v16, v97 /*v353*/
	v_mul_i32_i24_e32 v191 /*v447*/, v18, v98 /*v354*/
	s_set_vgpr_msb 1                        ;  msbs: dst=0 src0=1 src1=0 src2=0
	v_bfe_i32 v26, v192 /*v448*/, 16, 8
	s_set_vgpr_msb 4                        ;  msbs: dst=0 src0=0 src1=1 src2=0
	v_dual_ashrrev_i32 v27, 24, v192 /*v448*/ :: v_dual_ashrrev_i32 v31, 24, v193 /*v449*/
	s_set_vgpr_msb 0x44                     ;  msbs: dst=1 src0=0 src1=1 src2=0
	v_mul_i32_i24_e32 v210 /*v466*/, v22, v101 /*v357*/
	s_set_vgpr_msb 0x55                     ;  msbs: dst=1 src0=1 src1=1 src2=1
	v_add3_u32 v134 /*v390*/, v134 /*v390*/, v190 /*v446*/, v191 /*v447*/
	s_set_vgpr_msb 0x44                     ;  msbs: dst=1 src0=0 src1=1 src2=0
	v_mul_i32_i24_e32 v211 /*v467*/, v24, v102 /*v358*/
	s_set_vgpr_msb 1                        ;  msbs: dst=0 src0=1 src1=0 src2=0
	v_bfe_i32 v28, v193 /*v449*/, 0, 8
	v_bfe_i32 v29, v193 /*v449*/, 8, 8
	s_set_vgpr_msb 0x44                     ;  msbs: dst=1 src0=0 src1=1 src2=0
	v_mul_i32_i24_e32 v212 /*v468*/, v26, v103 /*v359*/
	s_set_vgpr_msb 0x55                     ;  msbs: dst=1 src0=1 src1=1 src2=1
	v_add3_u32 v134 /*v390*/, v134 /*v390*/, v208 /*v464*/, v209 /*v465*/
	s_set_vgpr_msb 0x44                     ;  msbs: dst=1 src0=0 src1=1 src2=0
	v_mul_i32_i24_e32 v213 /*v469*/, v27, v104 /*v360*/
	s_set_vgpr_msb 1                        ;  msbs: dst=0 src0=1 src1=0 src2=0
	v_bfe_i32 v30, v193 /*v449*/, 16, 8
	s_set_vgpr_msb 0x44                     ;  msbs: dst=1 src0=0 src1=1 src2=0
	v_mul_i32_i24_e32 v214 /*v470*/, v28, v105 /*v361*/
	v_mul_i32_i24_e32 v215 /*v471*/, v29, v106 /*v362*/
	s_set_vgpr_msb 0x55                     ;  msbs: dst=1 src0=1 src1=1 src2=1
	v_add3_u32 v134 /*v390*/, v134 /*v390*/, v210 /*v466*/, v211 /*v467*/
	s_wait_dscnt 0x2
	s_set_vgpr_msb 1                        ;  msbs: dst=0 src0=1 src1=0 src2=0
	v_bfe_i32 v38, v194 /*v450*/, 0, 8
	v_bfe_i32 v40, v194 /*v450*/, 8, 8
	s_set_vgpr_msb 0x44                     ;  msbs: dst=1 src0=0 src1=1 src2=0
	v_mul_i32_i24_e32 v216 /*v472*/, v30, v107 /*v363*/
	v_mul_i32_i24_e32 v217 /*v473*/, v31, v108 /*v364*/
	s_set_vgpr_msb 0x55                     ;  msbs: dst=1 src0=1 src1=1 src2=1
	v_add3_u32 v134 /*v390*/, v134 /*v390*/, v212 /*v468*/, v213 /*v469*/
	s_set_vgpr_msb 1                        ;  msbs: dst=0 src0=1 src1=0 src2=0
	v_bfe_i32 v42, v194 /*v450*/, 16, 8
	s_set_vgpr_msb 4                        ;  msbs: dst=0 src0=0 src1=1 src2=0
	v_ashrrev_i32_e32 v44, 24, v194 /*v450*/
	s_set_vgpr_msb 0x44                     ;  msbs: dst=1 src0=0 src1=1 src2=0
	v_mul_i32_i24_e32 v218 /*v474*/, v38, v109 /*v365*/
	v_mul_i32_i24_e32 v219 /*v475*/, v40, v110 /*v366*/
	s_set_vgpr_msb 0x55                     ;  msbs: dst=1 src0=1 src1=1 src2=1
	v_add3_u32 v134 /*v390*/, v134 /*v390*/, v214 /*v470*/, v215 /*v471*/
	s_set_vgpr_msb 1                        ;  msbs: dst=0 src0=1 src1=0 src2=0
	v_bfe_i32 v46, v195 /*v451*/, 0, 8
	v_bfe_i32 v84, v195 /*v451*/, 8, 8
	s_set_vgpr_msb 0x41                     ;  msbs: dst=1 src0=1 src1=0 src2=0
	v_mul_i32_i24_e32 v220 /*v476*/, v112 /*v368*/, v42
	v_mul_i32_i24_e32 v221 /*v477*/, v111 /*v367*/, v44
	s_set_vgpr_msb 0x55                     ;  msbs: dst=1 src0=1 src1=1 src2=1
	v_add3_u32 v134 /*v390*/, v134 /*v390*/, v216 /*v472*/, v217 /*v473*/
	s_set_vgpr_msb 1                        ;  msbs: dst=0 src0=1 src1=0 src2=0
	v_bfe_i32 v126, v195 /*v451*/, 16, 8
	s_set_vgpr_msb 0x44                     ;  msbs: dst=1 src0=0 src1=1 src2=0
	v_dual_ashrrev_i32 v189 /*v445*/, 24, v195 /*v451*/ :: v_dual_ashrrev_i32 v195 /*v451*/, 24, v196 /*v452*/
	s_set_vgpr_msb 0x41                     ;  msbs: dst=1 src0=1 src1=0 src2=0
	v_mul_i32_i24_e32 v222 /*v478*/, v114 /*v370*/, v46
	s_set_vgpr_msb 0x55                     ;  msbs: dst=1 src0=1 src1=1 src2=1
	v_add3_u32 v134 /*v390*/, v134 /*v390*/, v218 /*v474*/, v219 /*v475*/
	s_set_vgpr_msb 0x41                     ;  msbs: dst=1 src0=1 src1=0 src2=0
	v_mul_i32_i24_e32 v223 /*v479*/, v113 /*v369*/, v84
	v_bfe_i32 v192 /*v448*/, v196 /*v452*/, 0, 8
	v_bfe_i32 v193 /*v449*/, v196 /*v452*/, 8, 8
	v_mul_i32_i24_e32 v224 /*v480*/, v116 /*v372*/, v126
	s_set_vgpr_msb 0x55                     ;  msbs: dst=1 src0=1 src1=1 src2=1
	v_add3_u32 v134 /*v390*/, v134 /*v390*/, v220 /*v476*/, v221 /*v477*/
	v_mul_i32_i24_e32 v225 /*v481*/, v115 /*v371*/, v189 /*v445*/
	v_bfe_i32 v194 /*v450*/, v196 /*v452*/, 16, 8
	v_mul_i32_i24_e32 v226 /*v482*/, v124 /*v380*/, v192 /*v448*/
	v_mul_i32_i24_e32 v227 /*v483*/, v117 /*v373*/, v193 /*v449*/
	v_add3_u32 v134 /*v390*/, v134 /*v390*/, v222 /*v478*/, v223 /*v479*/
	v_bfe_i32 v196 /*v452*/, v197 /*v453*/, 0, 8
	v_bfe_i32 v206 /*v462*/, v197 /*v453*/, 8, 8
	v_mul_i32_i24_e32 v228 /*v484*/, v128 /*v384*/, v194 /*v450*/
	v_mul_i32_i24_e32 v229 /*v485*/, v125 /*v381*/, v195 /*v451*/
	v_add3_u32 v134 /*v390*/, v134 /*v390*/, v224 /*v480*/, v225 /*v481*/
	v_mul_i32_i24_e32 v230 /*v486*/, v196 /*v452*/, v130 /*v386*/
	v_mul_i32_i24_e32 v231 /*v487*/, v206 /*v462*/, v131 /*v387*/
	v_bfe_i32 v207 /*v463*/, v197 /*v453*/, 16, 8
	s_wait_dscnt 0x1
	v_dual_ashrrev_i32 v197 /*v453*/, 24, v197 /*v453*/ :: v_dual_ashrrev_i32 v210 /*v466*/, 24, v198 /*v454*/
	v_add3_u32 v134 /*v390*/, v134 /*v390*/, v226 /*v482*/, v227 /*v483*/
	v_lshrrev_b16 v191 /*v447*/, 8, v200 /*v456*/
	v_mul_i32_i24_e32 v232 /*v488*/, v207 /*v463*/, v132 /*v388*/
	v_lshrrev_b16 v208 /*v464*/, 8, v201 /*v457*/
	v_bfe_i32 v211 /*v467*/, v198 /*v454*/, 16, 8
	v_add3_u32 v134 /*v390*/, v134 /*v390*/, v228 /*v484*/, v229 /*v485*/
	v_bfe_i32 v215 /*v471*/, v199 /*v455*/, 16, 8
	v_ashrrev_i32_e32 v220 /*v476*/, 24, v200 /*v456*/
	v_bfe_i32 v221 /*v477*/, v200 /*v456*/, 16, 8
	v_bfe_i32 v200 /*v456*/, v200 /*v456*/, 0, 8
	v_add3_u32 v190 /*v446*/, v134 /*v390*/, v230 /*v486*/, v231 /*v487*/
	s_set_vgpr_msb 64                       ;  msbs: dst=1 src0=0 src1=0 src2=0
	v_bfe_u32 v134 /*v390*/, v118, 20, 4
	s_set_vgpr_msb 0                        ;  msbs: dst=0 src0=0 src1=0 src2=0
	v_bfe_u32 v118, v118, 4, 4
	s_set_vgpr_msb 0x45                     ;  msbs: dst=1 src0=1 src1=1 src2=0
	v_mul_i32_i24_e32 v214 /*v470*/, v210 /*v466*/, v126 /*v382*/
	v_bfe_i32 v222 /*v478*/, v191 /*v447*/, 0, 8
	v_mul_i32_i24_e32 v226 /*v482*/, v220 /*v476*/, v119 /*v375*/
	v_mul_i32_i24_e32 v163 /*v419*/, v134 /*v390*/, v163 /*v419*/
	s_set_vgpr_msb 0x44                     ;  msbs: dst=1 src0=0 src1=1 src2=0
	v_mul_i32_i24_e32 v136 /*v392*/, v118, v136 /*v392*/
	v_ashrrev_i32_e32 v227 /*v483*/, 24, v201 /*v457*/
	s_set_vgpr_msb 0x55                     ;  msbs: dst=1 src0=1 src1=1 src2=1
	v_bfe_i32 v228 /*v484*/, v201 /*v457*/, 16, 8
	v_bfe_i32 v208 /*v464*/, v208 /*v464*/, 0, 8
	;; [unrolled: 1-line block ×3, first 2 shown]
	v_mad_i32_i24 v135 /*v391*/, v133 /*v389*/, v135 /*v391*/, v136 /*v392*/
	v_and_b32_e32 v136 /*v392*/, 0xffff, v174 /*v430*/
	v_ashrrev_i32_e32 v174 /*v430*/, 24, v199 /*v455*/
	s_wait_dscnt 0x0
	v_lshrrev_b16 v234 /*v490*/, 8, v203 /*v459*/
	v_mul_i32_i24_e32 v213 /*v469*/, v211 /*v467*/, v134 /*v390*/
	v_add3_u32 v163 /*v419*/, v135 /*v391*/, v163 /*v419*/, v164 /*v420*/
	v_lshrrev_b16 v135 /*v391*/, 8, v198 /*v454*/
	v_mul_i32_i24_e32 v138 /*v394*/, v136 /*v392*/, v138 /*v394*/
	v_lshrrev_b16 v164 /*v420*/, 8, v199 /*v455*/
	v_bfe_i32 v198 /*v454*/, v198 /*v454*/, 0, 8
	v_bfe_i32 v199 /*v455*/, v199 /*v455*/, 0, 8
	v_bfe_i32 v209 /*v465*/, v135 /*v391*/, 0, 8
	s_set_vgpr_msb 64                       ;  msbs: dst=1 src0=0 src1=0 src2=0
	v_bfe_u32 v135 /*v391*/, v119, 20, 4
	s_set_vgpr_msb 0                        ;  msbs: dst=0 src0=0 src1=0 src2=0
	v_bfe_u32 v119, v119, 4, 4
	s_set_vgpr_msb 0x41                     ;  msbs: dst=1 src0=1 src1=0 src2=0
	v_bfe_i32 v164 /*v420*/, v164 /*v420*/, 0, 8
	v_mul_i32_i24_e32 v212 /*v468*/, v198 /*v454*/, v118
	s_set_vgpr_msb 0x45                     ;  msbs: dst=1 src0=1 src1=1 src2=0
	v_mul_i32_i24_e32 v219 /*v475*/, v174 /*v430*/, v118 /*v374*/
	v_mul_i32_i24_e32 v139 /*v395*/, v135 /*v391*/, v139 /*v395*/
	s_set_vgpr_msb 0x44                     ;  msbs: dst=1 src0=0 src1=1 src2=0
	v_mul_i32_i24_e32 v137 /*v393*/, v119, v137 /*v393*/
	s_set_vgpr_msb 0x41                     ;  msbs: dst=1 src0=1 src1=0 src2=0
	v_mul_i32_i24_e32 v216 /*v472*/, v199 /*v455*/, v119
	s_set_vgpr_msb 0x55                     ;  msbs: dst=1 src0=1 src1=1 src2=1
	v_mul_i32_i24_e32 v217 /*v473*/, v164 /*v420*/, v136 /*v392*/
	v_mul_i32_i24_e32 v218 /*v474*/, v215 /*v471*/, v135 /*v391*/
	v_lshrrev_b16 v235 /*v491*/, 8, v204 /*v460*/
	v_add3_u32 v137 /*v393*/, v163 /*v419*/, v137 /*v393*/, v138 /*v394*/
	v_and_b32_e32 v138 /*v394*/, 0xffff, v173 /*v429*/
	v_bfe_i32 v236 /*v492*/, v205 /*v461*/, 0, 8
	v_bfe_i32 v237 /*v493*/, v205 /*v461*/, 8, 8
	v_bfe_i32 v238 /*v494*/, v205 /*v461*/, 16, 8
	v_add3_u32 v162 /*v418*/, v137 /*v393*/, v139 /*v395*/, v162 /*v418*/
	s_set_vgpr_msb 64                       ;  msbs: dst=1 src0=0 src1=0 src2=0
	v_bfe_u32 v139 /*v395*/, v6, 4, 4
	v_bfe_u32 v137 /*v393*/, v6, 20, 4
	s_set_vgpr_msb 0x45                     ;  msbs: dst=1 src0=1 src1=1 src2=0
	v_mul_i32_i24_e32 v224 /*v480*/, v222 /*v478*/, v138 /*v394*/
	v_ashrrev_i32_e32 v205 /*v461*/, 24, v205 /*v461*/
	v_bfe_i32 v234 /*v490*/, v234 /*v490*/, 0, 8
	s_set_vgpr_msb 5                        ;  msbs: dst=0 src0=1 src1=1 src2=0
	v_mul_i32_i24_e32 v6, v139 /*v395*/, v140 /*v396*/
	s_set_vgpr_msb 0x45                     ;  msbs: dst=1 src0=1 src1=1 src2=0
	v_mul_i32_i24_e32 v140 /*v396*/, v138 /*v394*/, v141 /*v397*/
	v_mul_i32_i24_e32 v141 /*v397*/, v137 /*v393*/, v142 /*v398*/
	;; [unrolled: 1-line block ×5, first 2 shown]
	s_set_vgpr_msb 17                       ;  msbs: dst=0 src0=1 src1=0 src2=1
	v_add3_u32 v6, v162 /*v418*/, v6, v140 /*v396*/
	s_set_vgpr_msb 64                       ;  msbs: dst=1 src0=0 src1=0 src2=0
	v_bfe_u32 v140 /*v396*/, v7, 20, 4
	s_set_vgpr_msb 0x55                     ;  msbs: dst=1 src0=1 src1=1 src2=1
	v_mad_i32_i24 v217 /*v473*/, v209 /*v465*/, v133 /*v389*/, v217 /*v473*/
	v_add3_u32 v212 /*v468*/, v212 /*v468*/, v216 /*v472*/, v223 /*v479*/
	v_add3_u32 v214 /*v470*/, v214 /*v470*/, v219 /*v475*/, v226 /*v482*/
	s_set_vgpr_msb 20                       ;  msbs: dst=0 src0=0 src1=1 src2=1
	v_add3_u32 v6, v6, v141 /*v397*/, v142 /*v398*/
	s_set_vgpr_msb 0x44                     ;  msbs: dst=1 src0=0 src1=1 src2=0
	v_and_b32_e32 v141 /*v397*/, 0xffff, v172 /*v428*/
	v_bfe_u32 v142 /*v398*/, v7, 4, 4
	s_set_vgpr_msb 0x55                     ;  msbs: dst=1 src0=1 src1=1 src2=1
	v_mul_i32_i24_e32 v231 /*v487*/, v228 /*v484*/, v140 /*v396*/
	v_bfe_i32 v235 /*v491*/, v235 /*v491*/, 0, 8
	v_add3_u32 v213 /*v469*/, v213 /*v469*/, v218 /*v474*/, v225 /*v481*/
	v_mul_i32_i24_e32 v230 /*v486*/, v208 /*v464*/, v141 /*v397*/
	s_set_vgpr_msb 5                        ;  msbs: dst=0 src0=1 src1=1 src2=0
	v_mul_i32_i24_e32 v7, v142 /*v398*/, v144 /*v400*/
	s_set_vgpr_msb 0x55                     ;  msbs: dst=1 src0=1 src1=1 src2=1
	v_mul_i32_i24_e32 v144 /*v400*/, v141 /*v397*/, v145 /*v401*/
	v_mul_i32_i24_e32 v145 /*v401*/, v140 /*v396*/, v159 /*v415*/
	;; [unrolled: 1-line block ×4, first 2 shown]
	v_add3_u32 v216 /*v472*/, v217 /*v473*/, v224 /*v480*/, v230 /*v486*/
	s_set_vgpr_msb 16                       ;  msbs: dst=0 src0=0 src1=0 src2=1
	v_add3_u32 v6, v6, v7, v144 /*v400*/
	s_set_vgpr_msb 0x45                     ;  msbs: dst=1 src0=1 src1=1 src2=0
	v_mul_i32_i24_e32 v244 /*v500*/, v236 /*v492*/, v127 /*v383*/
	v_mul_i32_i24_e32 v245 /*v501*/, v237 /*v493*/, v129 /*v385*/
	;; [unrolled: 1-line block ×3, first 2 shown]
	s_set_vgpr_msb 0x41                     ;  msbs: dst=1 src0=1 src1=0 src2=0
	v_mul_i32_i24_e32 v217 /*v473*/, v85 /*v341*/, v46
	s_set_vgpr_msb 0x54                     ;  msbs: dst=1 src0=0 src1=1 src2=1
	v_add3_u32 v159 /*v415*/, v6, v145 /*v401*/, v159 /*v415*/
	s_set_vgpr_msb 1                        ;  msbs: dst=0 src0=1 src1=0 src2=0
	ds_load_b64 v[6:7], v143 /*v399*/ offset:27200
	s_set_vgpr_msb 64                       ;  msbs: dst=1 src0=0 src1=0 src2=0
	ds_load_b64 v[144:145] /*v[400:401]*/, v8 offset:27200
	s_set_vgpr_msb 0x45                     ;  msbs: dst=1 src0=1 src1=1 src2=0
	v_mul_i32_i24_e32 v143 /*v399*/, v152 /*v408*/, v59 /*v315*/
	s_set_vgpr_msb 0x41                     ;  msbs: dst=1 src0=1 src1=0 src2=0
	v_mul_i32_i24_e32 v218 /*v474*/, v84 /*v340*/, v84
	v_mul_i32_i24_e32 v219 /*v475*/, v87 /*v343*/, v126
	s_set_vgpr_msb 0x55                     ;  msbs: dst=1 src0=1 src1=1 src2=1
	v_mul_i32_i24_e32 v223 /*v479*/, v86 /*v342*/, v189 /*v445*/
	v_mul_i32_i24_e32 v224 /*v480*/, v89 /*v345*/, v192 /*v448*/
	v_add3_u32 v143 /*v399*/, v169 /*v425*/, v168 /*v424*/, v143 /*v399*/
	v_mul_i32_i24_e32 v225 /*v481*/, v88 /*v344*/, v193 /*v449*/
	v_mul_i32_i24_e32 v226 /*v482*/, v91 /*v347*/, v194 /*v450*/
	;; [unrolled: 1-line block ×3, first 2 shown]
	s_delay_alu instid0(VALU_DEP_4)
	v_mul_lo_u32 v143 /*v399*/, v143 /*v399*/, v60 /*v316*/
	s_wait_dscnt 0x1
	s_set_vgpr_msb 64                       ;  msbs: dst=1 src0=0 src1=0 src2=0
	v_cvt_f32_f16_e64 v160 /*v416*/, v6
	s_wait_dscnt 0x0
	s_set_vgpr_msb 0x41                     ;  msbs: dst=1 src0=1 src1=0 src2=0
	v_cvt_f32_f16_e64 v161 /*v417*/, v144 /*v400*/
	s_set_vgpr_msb 4                        ;  msbs: dst=0 src0=0 src1=1 src2=0
	v_lshrrev_b32_e32 v8, 16, v144 /*v400*/
	s_set_vgpr_msb 0x45                     ;  msbs: dst=1 src0=1 src1=1 src2=0
	v_mul_i32_i24_e32 v144 /*v400*/, v197 /*v453*/, v59 /*v315*/
	s_set_vgpr_msb 0                        ;  msbs: dst=0 src0=0 src1=0 src2=0
	v_lshrrev_b32_e32 v6, 16, v6
	s_set_vgpr_msb 0x41                     ;  msbs: dst=1 src0=1 src1=0 src2=0
	v_cvt_f32_f16_e64 v173 /*v429*/, v145 /*v401*/
	s_set_vgpr_msb 64                       ;  msbs: dst=1 src0=0 src1=0 src2=0
	v_cvt_f32_f16_e64 v172 /*v428*/, v7
	v_cvt_f32_f16_e64 v163 /*v419*/, v8
	s_set_vgpr_msb 0x55                     ;  msbs: dst=1 src0=1 src1=1 src2=1
	v_add3_u32 v144 /*v400*/, v190 /*v446*/, v232 /*v488*/, v144 /*v400*/
	s_set_vgpr_msb 64                       ;  msbs: dst=1 src0=0 src1=0 src2=0
	v_cvt_f32_f16_e64 v162 /*v418*/, v6
	s_set_vgpr_msb 0                        ;  msbs: dst=0 src0=0 src1=0 src2=0
	v_lshrrev_b32_e32 v6, 16, v7
	s_set_vgpr_msb 4                        ;  msbs: dst=0 src0=0 src1=1 src2=0
	v_lshrrev_b32_e32 v7, 16, v145 /*v401*/
	v_lshrrev_b16 v8, 8, v202 /*v458*/
	s_set_vgpr_msb 0x45                     ;  msbs: dst=1 src0=1 src1=1 src2=0
	v_mul_lo_u32 v144 /*v400*/, v144 /*v400*/, v60 /*v316*/
	s_set_vgpr_msb 0x44                     ;  msbs: dst=1 src0=0 src1=1 src2=0
	v_pk_fma_f32 v[190:191] /*v[446:447]*/, v[114:115], v[162:163] /*v[418:419]*/, 0 op_sel_hi:[0,1,0]
	s_set_vgpr_msb 0                        ;  msbs: dst=0 src0=0 src1=0 src2=0
	v_cvt_f32_f16_e32 v6, v6
	v_cvt_f32_f16_e32 v7, v7
	v_bfe_i32 v8, v8, 0, 8
	s_set_vgpr_msb 0x41                     ;  msbs: dst=1 src0=1 src1=0 src2=0
	v_cvt_f32_i32_e32 v145 /*v401*/, v144 /*v400*/
	v_cvt_f32_i32_e32 v144 /*v400*/, v143 /*v399*/
	s_set_vgpr_msb 64                       ;  msbs: dst=1 src0=0 src1=0 src2=0
	v_bfe_u32 v143 /*v399*/, v0, 20, 4
	s_set_vgpr_msb 0x45                     ;  msbs: dst=1 src0=1 src1=1 src2=0
	s_delay_alu instid0(VALU_DEP_2)
	v_pk_fma_f32 v[168:169] /*v[424:425]*/, v[160:161] /*v[416:417]*/, v[144:145] /*v[400:401]*/, 0 op_sel_hi:[1,1,0]
	v_and_b32_e32 v144 /*v400*/, 0xffff, v171 /*v427*/
	s_set_vgpr_msb 64                       ;  msbs: dst=1 src0=0 src1=0 src2=0
	v_bfe_u32 v145 /*v401*/, v0, 4, 4
	s_set_vgpr_msb 0x41                     ;  msbs: dst=1 src0=1 src1=0 src2=0
	v_bfe_i32 v171 /*v427*/, v202 /*v458*/, 0, 8
	s_set_vgpr_msb 0x44                     ;  msbs: dst=1 src0=0 src1=1 src2=0
	v_mul_i32_i24_e32 v232 /*v488*/, v8, v144 /*v400*/
	s_set_vgpr_msb 5                        ;  msbs: dst=0 src0=1 src1=1 src2=0
	v_mul_i32_i24_e32 v0, v145 /*v401*/, v146 /*v402*/
	s_set_vgpr_msb 0x45                     ;  msbs: dst=1 src0=1 src1=1 src2=0
	v_mul_i32_i24_e32 v146 /*v402*/, v144 /*v400*/, v147 /*v403*/
	v_mul_i32_i24_e32 v147 /*v403*/, v143 /*v399*/, v148 /*v404*/
	;; [unrolled: 1-line block ×3, first 2 shown]
	v_ashrrev_i32_e32 v158 /*v414*/, 24, v202 /*v458*/
	v_mul_i32_i24_e32 v233 /*v489*/, v227 /*v483*/, v120 /*v376*/
	s_set_vgpr_msb 17                       ;  msbs: dst=0 src0=1 src1=0 src2=1
	v_add3_u32 v0, v159 /*v415*/, v0, v146 /*v402*/
	s_set_vgpr_msb 64                       ;  msbs: dst=1 src0=0 src1=0 src2=0
	v_bfe_u32 v146 /*v402*/, v1, 20, 4
	s_set_vgpr_msb 0x45                     ;  msbs: dst=1 src0=1 src1=1 src2=0
	v_bfe_i32 v159 /*v415*/, v202 /*v458*/, 16, 8
	v_mul_i32_i24_e32 v202 /*v458*/, v171 /*v427*/, v145 /*v401*/
	v_mul_i32_i24_e32 v240 /*v496*/, v158 /*v414*/, v121 /*v377*/
	s_set_vgpr_msb 20                       ;  msbs: dst=0 src0=0 src1=1 src2=1
	v_add3_u32 v0, v0, v147 /*v403*/, v148 /*v404*/
	s_set_vgpr_msb 0x44                     ;  msbs: dst=1 src0=0 src1=1 src2=0
	v_and_b32_e32 v147 /*v403*/, 0xffff, v170 /*v426*/
	v_bfe_u32 v148 /*v404*/, v1, 4, 4
	s_set_vgpr_msb 0x55                     ;  msbs: dst=1 src0=1 src1=1 src2=1
	v_bfe_i32 v170 /*v426*/, v203 /*v459*/, 16, 8
	v_mul_i32_i24_e32 v239 /*v495*/, v159 /*v415*/, v143 /*v399*/
	v_add3_u32 v214 /*v470*/, v214 /*v470*/, v233 /*v489*/, v240 /*v496*/
	v_mul_i32_i24_e32 v241 /*v497*/, v234 /*v490*/, v147 /*v403*/
	s_set_vgpr_msb 5                        ;  msbs: dst=0 src0=1 src1=1 src2=0
	v_mul_i32_i24_e32 v1, v148 /*v404*/, v149 /*v405*/
	s_set_vgpr_msb 0x45                     ;  msbs: dst=1 src0=1 src1=1 src2=0
	v_mul_i32_i24_e32 v149 /*v405*/, v147 /*v403*/, v150 /*v406*/
	v_mul_i32_i24_e32 v150 /*v406*/, v146 /*v402*/, v151 /*v407*/
	;; [unrolled: 1-line block ×3, first 2 shown]
	v_ashrrev_i32_e32 v157 /*v413*/, 24, v203 /*v459*/
	v_bfe_i32 v203 /*v459*/, v203 /*v459*/, 0, 8
	s_set_vgpr_msb 16                       ;  msbs: dst=0 src0=0 src1=0 src2=1
	v_add3_u32 v0, v0, v1, v149 /*v405*/
	s_set_vgpr_msb 64                       ;  msbs: dst=1 src0=0 src1=0 src2=0
	v_bfe_u32 v149 /*v405*/, v4, 20, 4
	s_set_vgpr_msb 0x55                     ;  msbs: dst=1 src0=1 src1=1 src2=1
	v_add3_u32 v202 /*v458*/, v212 /*v468*/, v229 /*v485*/, v202 /*v458*/
	v_mul_i32_i24_e32 v243 /*v499*/, v157 /*v413*/, v122 /*v378*/
	s_set_vgpr_msb 5                        ;  msbs: dst=0 src0=1 src1=1 src2=0
	v_mul_i32_i24_e32 v1, v203 /*v459*/, v148 /*v404*/
	s_set_vgpr_msb 20                       ;  msbs: dst=0 src0=0 src1=1 src2=1
	v_add3_u32 v0, v0, v150 /*v406*/, v151 /*v407*/
	s_set_vgpr_msb 0x44                     ;  msbs: dst=1 src0=0 src1=1 src2=0
	v_and_b32_e32 v150 /*v406*/, 0xffff, v167 /*v423*/
	v_bfe_u32 v151 /*v407*/, v4, 4, 4
	s_set_vgpr_msb 0x55                     ;  msbs: dst=1 src0=1 src1=1 src2=1
	v_bfe_i32 v167 /*v423*/, v204 /*v460*/, 16, 8
	v_mul_i32_i24_e32 v242 /*v498*/, v170 /*v426*/, v146 /*v402*/
	v_add3_u32 v212 /*v468*/, v213 /*v469*/, v231 /*v487*/, v239 /*v495*/
	v_add3_u32 v213 /*v469*/, v216 /*v472*/, v232 /*v488*/, v241 /*v497*/
	s_set_vgpr_msb 5                        ;  msbs: dst=0 src0=1 src1=1 src2=0
	v_mul_i32_i24_e32 v4, v151 /*v407*/, v153 /*v409*/
	s_set_vgpr_msb 0x45                     ;  msbs: dst=1 src0=1 src1=1 src2=0
	v_mul_i32_i24_e32 v153 /*v409*/, v150 /*v406*/, v154 /*v410*/
	v_mul_i32_i24_e32 v154 /*v410*/, v149 /*v405*/, v155 /*v411*/
	;; [unrolled: 1-line block ×3, first 2 shown]
	v_ashrrev_i32_e32 v156 /*v412*/, 24, v204 /*v460*/
	v_bfe_i32 v204 /*v460*/, v204 /*v460*/, 0, 8
	s_set_vgpr_msb 16                       ;  msbs: dst=0 src0=0 src1=0 src2=1
	v_add3_u32 v0, v0, v4, v153 /*v409*/
	s_set_vgpr_msb 0x45                     ;  msbs: dst=1 src0=1 src1=1 src2=0
	v_mul_i32_i24_e32 v153 /*v409*/, v235 /*v491*/, v150 /*v406*/
	v_mul_i32_i24_e32 v249 /*v505*/, v62 /*v318*/, v205 /*v461*/
	s_set_vgpr_msb 0x41                     ;  msbs: dst=1 src0=1 src1=0 src2=0
	v_mul_i32_i24_e32 v216 /*v472*/, v82 /*v338*/, v44
	s_set_vgpr_msb 5                        ;  msbs: dst=0 src0=1 src1=1 src2=0
	v_mul_i32_i24_e32 v4, v204 /*v460*/, v151 /*v407*/
	s_set_vgpr_msb 20                       ;  msbs: dst=0 src0=0 src1=1 src2=1
	v_add3_u32 v0, v0, v154 /*v410*/, v155 /*v411*/
	s_set_vgpr_msb 0x45                     ;  msbs: dst=1 src0=1 src1=1 src2=0
	v_mul_i32_i24_e32 v155 /*v411*/, v156 /*v412*/, v123 /*v379*/
	v_mul_i32_i24_e32 v154 /*v410*/, v167 /*v423*/, v149 /*v405*/
	;; [unrolled: 1-line block ×3, first 2 shown]
	s_set_vgpr_msb 1                        ;  msbs: dst=0 src0=1 src1=0 src2=0
	v_add3_u32 v1, v202 /*v458*/, v1, v4
	s_set_vgpr_msb 20                       ;  msbs: dst=0 src0=0 src1=1 src2=1
	v_add3_u32 v0, v0, v165 /*v421*/, v166 /*v422*/
	s_set_vgpr_msb 21                       ;  msbs: dst=0 src0=1 src1=1 src2=1
	v_add3_u32 v4, v214 /*v470*/, v243 /*v499*/, v155 /*v411*/
	s_set_vgpr_msb 0x55                     ;  msbs: dst=1 src0=1 src1=1 src2=1
	v_add3_u32 v154 /*v410*/, v212 /*v468*/, v242 /*v498*/, v154 /*v410*/
	s_set_vgpr_msb 0x44                     ;  msbs: dst=1 src0=0 src1=1 src2=0
	v_mul_i32_i24_e32 v165 /*v421*/, v24, v73 /*v329*/
	v_mul_i32_i24_e32 v166 /*v422*/, v26, v74 /*v330*/
	s_set_vgpr_msb 20                       ;  msbs: dst=0 src0=0 src1=1 src2=1
	v_add3_u32 v0, v0, v246 /*v502*/, v248 /*v504*/
	s_set_vgpr_msb 5                        ;  msbs: dst=0 src0=1 src1=1 src2=0
	v_add3_u32 v4, v213 /*v469*/, v153 /*v409*/, v4
	s_set_vgpr_msb 0x44                     ;  msbs: dst=1 src0=0 src1=1 src2=0
	v_mul_i32_i24_e32 v153 /*v409*/, v20, v70 /*v326*/
	v_mul_i32_i24_e32 v202 /*v458*/, v31, v79 /*v335*/
	;; [unrolled: 1-line block ×3, first 2 shown]
	s_set_vgpr_msb 4                        ;  msbs: dst=0 src0=0 src1=1 src2=0
	v_mul_lo_u32 v0, v0, v61 /*v317*/
	v_add3_u32 v1, v1, v154 /*v410*/, v4
	s_set_vgpr_msb 0x50                     ;  msbs: dst=1 src0=0 src1=0 src2=1
	v_pk_fma_f32 v[154:155] /*v[410:411]*/, v[116:117], v[6:7], v[190:191] /*v[446:447]*/ op_sel_hi:[0,1,1]
	s_set_vgpr_msb 4                        ;  msbs: dst=0 src0=0 src1=1 src2=0
	v_mul_i32_i24_e32 v4, v15, v67 /*v323*/
	s_set_vgpr_msb 0x44                     ;  msbs: dst=1 src0=0 src1=1 src2=0
	v_mul_i32_i24_e32 v190 /*v446*/, v29, v77 /*v333*/
	v_mul_i32_i24_e32 v191 /*v447*/, v30, v78 /*v334*/
	s_set_vgpr_msb 20                       ;  msbs: dst=0 src0=0 src1=1 src2=1
	v_add3_u32 v1, v1, v244 /*v500*/, v245 /*v501*/
	s_set_vgpr_msb 0x41                     ;  msbs: dst=1 src0=1 src1=0 src2=0
	v_pk_mul_f32 v[154:155] /*v[410:411]*/, v[154:155] /*v[410:411]*/, v[94:95]
	s_set_vgpr_msb 0x44                     ;  msbs: dst=1 src0=0 src1=1 src2=0
	v_mul_i32_i24_e32 v213 /*v469*/, v40, v81 /*v337*/
	s_set_vgpr_msb 0x41                     ;  msbs: dst=1 src0=1 src1=0 src2=0
	v_mul_i32_i24_e32 v214 /*v470*/, v83 /*v339*/, v42
	v_mul_i32_i24_e32 v231 /*v487*/, v206 /*v462*/, v183
	s_set_vgpr_msb 20                       ;  msbs: dst=0 src0=0 src1=1 src2=1
	v_add3_u32 v1, v1, v247 /*v503*/, v249 /*v505*/
	v_cvt_f32_i32_e32 v0, v0
	s_set_vgpr_msb 0x41                     ;  msbs: dst=1 src0=1 src1=0 src2=0
	v_mul_i32_i24_e32 v232 /*v488*/, v207 /*v463*/, v185
	v_mul_i32_i24_e32 v233 /*v489*/, v237 /*v493*/, v234
	s_set_vgpr_msb 4                        ;  msbs: dst=0 src0=0 src1=1 src2=0
	v_mul_lo_u32 v1, v1, v61 /*v317*/
	s_delay_alu instid0(VALU_DEP_1) | instskip(SKIP_1) | instid1(VALU_DEP_1)
	v_cvt_f32_i32_e32 v1, v1
	s_set_vgpr_msb 17                       ;  msbs: dst=0 src0=1 src1=0 src2=1
	v_pk_fma_f32 v[0:1], v[172:173] /*v[428:429]*/, v[0:1], v[168:169] /*v[424:425]*/
	s_set_vgpr_msb 0x44                     ;  msbs: dst=1 src0=0 src1=1 src2=0
	v_mul_i32_i24_e32 v168 /*v424*/, v27, v75 /*v331*/
	v_mul_i32_i24_e32 v169 /*v425*/, v28, v76 /*v332*/
	s_set_vgpr_msb 16                       ;  msbs: dst=0 src0=0 src1=0 src2=1
	v_pk_fma_f32 v[0:1], v[0:1], v[86:87], v[154:155] /*v[410:411]*/ neg_lo:[0,0,1] neg_hi:[0,0,1]
	s_set_vgpr_msb 0x44                     ;  msbs: dst=1 src0=0 src1=1 src2=0
	v_mul_i32_i24_e32 v154 /*v410*/, v21, v71 /*v327*/
	v_mul_i32_i24_e32 v155 /*v411*/, v22, v72 /*v328*/
	s_set_vgpr_msb 0                        ;  msbs: dst=0 src0=0 src1=0 src2=0
	v_pk_add_f32 v[62:63], v[62:63], v[0:1]
	s_set_vgpr_msb 4                        ;  msbs: dst=0 src0=0 src1=1 src2=0
	v_mul_i32_i24_e32 v0, v12, v65 /*v321*/
	v_mul_i32_i24_e32 v1, v14, v66 /*v322*/
	s_delay_alu instid0(VALU_DEP_2) | instskip(SKIP_1) | instid1(VALU_DEP_1)
	v_mad_i32_i24 v0, v13, v64 /*v320*/, v0
	s_set_vgpr_msb 0                        ;  msbs: dst=0 src0=0 src1=0 src2=0
	v_add3_u32 v0, v0, v1, v4
	s_set_vgpr_msb 4                        ;  msbs: dst=0 src0=0 src1=1 src2=0
	v_mul_i32_i24_e32 v1, v16, v68 /*v324*/
	v_mul_i32_i24_e32 v4, v18, v69 /*v325*/
	s_set_vgpr_msb 0                        ;  msbs: dst=0 src0=0 src1=0 src2=0
	s_delay_alu instid0(VALU_DEP_1)
	v_add3_u32 v0, v0, v1, v4
	s_set_vgpr_msb 1                        ;  msbs: dst=0 src0=1 src1=0 src2=0
	v_mul_i32_i24_e32 v1, v198 /*v454*/, v177
	v_mul_i32_i24_e32 v4, v211 /*v467*/, v175
	s_set_vgpr_msb 20                       ;  msbs: dst=0 src0=0 src1=1 src2=1
	v_add3_u32 v0, v0, v153 /*v409*/, v154 /*v410*/
	s_set_vgpr_msb 0x41                     ;  msbs: dst=1 src0=1 src1=0 src2=0
	v_mul_i32_i24_e32 v153 /*v409*/, v210 /*v466*/, v182
	s_set_vgpr_msb 1                        ;  msbs: dst=0 src0=1 src1=0 src2=0
	v_mad_i32_i24 v1, v209 /*v465*/, v176, v1
	s_set_vgpr_msb 0x41                     ;  msbs: dst=1 src0=1 src1=0 src2=0
	v_mul_i32_i24_e32 v154 /*v410*/, v215 /*v471*/, v179
	s_set_vgpr_msb 20                       ;  msbs: dst=0 src0=0 src1=1 src2=1
	v_add3_u32 v0, v0, v155 /*v411*/, v165 /*v421*/
	s_set_vgpr_msb 0x41                     ;  msbs: dst=1 src0=1 src1=0 src2=0
	v_mul_i32_i24_e32 v155 /*v411*/, v174 /*v430*/, v190
	s_set_vgpr_msb 16                       ;  msbs: dst=0 src0=0 src1=0 src2=1
	v_add3_u32 v1, v1, v4, v153 /*v409*/
	s_set_vgpr_msb 1                        ;  msbs: dst=0 src0=1 src1=0 src2=0
	v_mul_i32_i24_e32 v4, v199 /*v455*/, v186
	s_set_vgpr_msb 0x41                     ;  msbs: dst=1 src0=1 src1=0 src2=0
	v_mul_i32_i24_e32 v153 /*v409*/, v164 /*v420*/, v187
	s_set_vgpr_msb 20                       ;  msbs: dst=0 src0=0 src1=1 src2=1
	v_add3_u32 v0, v0, v166 /*v422*/, v168 /*v424*/
	s_set_vgpr_msb 0x41                     ;  msbs: dst=1 src0=1 src1=0 src2=0
	v_mul_i32_i24_e32 v165 /*v421*/, v200 /*v456*/, v193
	v_mul_i32_i24_e32 v166 /*v422*/, v222 /*v478*/, v194
	;; [unrolled: 1-line block ×3, first 2 shown]
	s_set_vgpr_msb 16                       ;  msbs: dst=0 src0=0 src1=0 src2=1
	v_add3_u32 v1, v1, v4, v153 /*v409*/
	s_set_vgpr_msb 20                       ;  msbs: dst=0 src0=0 src1=1 src2=1
	v_add3_u32 v0, v0, v169 /*v425*/, v190 /*v446*/
	s_set_vgpr_msb 0x41                     ;  msbs: dst=1 src0=1 src1=0 src2=0
	v_mul_i32_i24_e32 v169 /*v425*/, v220 /*v476*/, v197
	v_mul_i32_i24_e32 v190 /*v446*/, v201 /*v457*/, v198
	s_set_vgpr_msb 1                        ;  msbs: dst=0 src0=1 src1=0 src2=0
	v_mul_i32_i24_e32 v4, v197 /*v453*/, v155
	s_set_vgpr_msb 20                       ;  msbs: dst=0 src0=0 src1=1 src2=1
	v_add3_u32 v1, v1, v154 /*v410*/, v155 /*v411*/
	v_add3_u32 v0, v0, v191 /*v447*/, v202 /*v458*/
	s_set_vgpr_msb 0x41                     ;  msbs: dst=1 src0=1 src1=0 src2=0
	v_mul_i32_i24_e32 v191 /*v447*/, v208 /*v464*/, v200
	v_mul_i32_i24_e32 v202 /*v458*/, v228 /*v484*/, v195
	;; [unrolled: 1-line block ×3, first 2 shown]
	s_set_vgpr_msb 20                       ;  msbs: dst=0 src0=0 src1=1 src2=1
	v_add3_u32 v1, v1, v165 /*v421*/, v166 /*v422*/
	v_add3_u32 v0, v0, v212 /*v468*/, v213 /*v469*/
	s_set_vgpr_msb 0x41                     ;  msbs: dst=1 src0=1 src1=0 src2=0
	v_mul_i32_i24_e32 v212 /*v468*/, v227 /*v483*/, v201
	v_mul_i32_i24_e32 v213 /*v469*/, v171 /*v427*/, v204
	s_set_vgpr_msb 64                       ;  msbs: dst=1 src0=0 src1=0 src2=0
	v_mul_i32_i24_e32 v155 /*v411*/, v2, v113
	s_set_vgpr_msb 20                       ;  msbs: dst=0 src0=0 src1=1 src2=1
	v_add3_u32 v1, v1, v168 /*v424*/, v169 /*v425*/
	v_add3_u32 v0, v0, v214 /*v470*/, v216 /*v472*/
	s_set_vgpr_msb 64                       ;  msbs: dst=1 src0=0 src1=0 src2=0
	v_mul_i32_i24_e32 v214 /*v470*/, v8, v206
	s_set_vgpr_msb 0x41                     ;  msbs: dst=1 src0=1 src1=0 src2=0
	v_mul_i32_i24_e32 v216 /*v472*/, v159 /*v415*/, v211
	s_set_vgpr_msb 0x44                     ;  msbs: dst=1 src0=0 src1=1 src2=0
	v_mul_i32_i24_e32 v165 /*v421*/, v111, v205 /*v461*/
	s_set_vgpr_msb 20                       ;  msbs: dst=0 src0=0 src1=1 src2=1
	v_add3_u32 v1, v1, v190 /*v446*/, v191 /*v447*/
	v_add3_u32 v0, v0, v217 /*v473*/, v218 /*v474*/
	s_set_vgpr_msb 0x41                     ;  msbs: dst=1 src0=1 src1=0 src2=0
	v_mul_i32_i24_e32 v217 /*v473*/, v158 /*v414*/, v207
	v_mul_i32_i24_e32 v218 /*v474*/, v203 /*v459*/, v213
	s_set_vgpr_msb 64                       ;  msbs: dst=1 src0=0 src1=0 src2=0
	v_mul_i32_i24_e32 v166 /*v422*/, v111, v3
	s_set_vgpr_msb 20                       ;  msbs: dst=0 src0=0 src1=1 src2=1
	v_add3_u32 v1, v1, v202 /*v458*/, v212 /*v468*/
	v_add3_u32 v0, v0, v219 /*v475*/, v223 /*v479*/
	s_set_vgpr_msb 0x41                     ;  msbs: dst=1 src0=1 src1=0 src2=0
	v_mul_i32_i24_e32 v219 /*v475*/, v234 /*v490*/, v214
	v_mul_i32_i24_e32 v223 /*v479*/, v170 /*v426*/, v221
	s_set_vgpr_msb 0x55                     ;  msbs: dst=1 src0=1 src1=1 src2=1
	v_add3_u32 v168 /*v424*/, v178 /*v434*/, v176 /*v432*/, v177 /*v433*/
	s_set_vgpr_msb 20                       ;  msbs: dst=0 src0=0 src1=1 src2=1
	v_add3_u32 v1, v1, v213 /*v469*/, v214 /*v470*/
	v_add3_u32 v0, v0, v224 /*v480*/, v225 /*v481*/
	s_set_vgpr_msb 0x41                     ;  msbs: dst=1 src0=1 src1=0 src2=0
	v_mul_i32_i24_e32 v224 /*v480*/, v157 /*v413*/, v217
	v_mul_i32_i24_e32 v225 /*v481*/, v204 /*v460*/, v224
	s_set_vgpr_msb 0x55                     ;  msbs: dst=1 src0=1 src1=1 src2=1
	v_add3_u32 v155 /*v411*/, v168 /*v424*/, v155 /*v411*/, v166 /*v422*/
	s_set_vgpr_msb 20                       ;  msbs: dst=0 src0=0 src1=1 src2=1
	v_add3_u32 v1, v1, v216 /*v472*/, v217 /*v473*/
	v_add3_u32 v0, v0, v226 /*v482*/, v229 /*v485*/
	s_set_vgpr_msb 0x41                     ;  msbs: dst=1 src0=1 src1=0 src2=0
	v_mul_i32_i24_e32 v226 /*v482*/, v235 /*v491*/, v225
	v_mul_i32_i24_e32 v229 /*v485*/, v167 /*v423*/, v229
	s_set_vgpr_msb 64                       ;  msbs: dst=1 src0=0 src1=0 src2=0
	v_mul_i32_i24_e32 v166 /*v422*/, v27, v170
	s_set_vgpr_msb 20                       ;  msbs: dst=0 src0=0 src1=1 src2=1
	v_add3_u32 v1, v1, v218 /*v474*/, v219 /*v475*/
	v_add3_u32 v0, v0, v230 /*v486*/, v231 /*v487*/
	s_set_vgpr_msb 0x41                     ;  msbs: dst=1 src0=1 src1=0 src2=0
	v_mul_i32_i24_e32 v230 /*v486*/, v156 /*v412*/, v227
	v_mul_i32_i24_e32 v231 /*v487*/, v236 /*v492*/, v232
	s_set_vgpr_msb 64                       ;  msbs: dst=1 src0=0 src1=0 src2=0
	v_mul_i32_i24_e32 v168 /*v424*/, v28, v171
	s_set_vgpr_msb 20                       ;  msbs: dst=0 src0=0 src1=1 src2=1
	v_add3_u32 v1, v1, v223 /*v479*/, v224 /*v480*/
	s_set_vgpr_msb 4                        ;  msbs: dst=0 src0=0 src1=1 src2=0
	v_add3_u32 v0, v0, v232 /*v488*/, v4
	s_set_vgpr_msb 64                       ;  msbs: dst=1 src0=0 src1=0 src2=0
	v_mul_i32_i24_e32 v169 /*v425*/, v29, v172
	v_mul_i32_i24_e32 v176 /*v432*/, v31, v174
	;; [unrolled: 1-line block ×3, first 2 shown]
	s_set_vgpr_msb 20                       ;  msbs: dst=0 src0=0 src1=1 src2=1
	v_add3_u32 v1, v1, v225 /*v481*/, v226 /*v482*/
	s_set_vgpr_msb 0                        ;  msbs: dst=0 src0=0 src1=0 src2=0
	v_mul_lo_u32 v0, v0, v156
	s_set_vgpr_msb 64                       ;  msbs: dst=1 src0=0 src1=0 src2=0
	v_mul_i32_i24_e32 v178 /*v434*/, v40, v180
	v_mul_i32_i24_e32 v190 /*v446*/, v184, v42
	;; [unrolled: 1-line block ×3, first 2 shown]
	s_set_vgpr_msb 0x54                     ;  msbs: dst=1 src0=0 src1=1 src2=1
	v_add3_u32 v153 /*v409*/, v1, v229 /*v485*/, v230 /*v486*/
	s_set_vgpr_msb 1                        ;  msbs: dst=0 src0=1 src1=0 src2=0
	v_mul_i32_i24_e32 v1, v152 /*v408*/, v155
	s_set_vgpr_msb 64                       ;  msbs: dst=1 src0=0 src1=0 src2=0
	v_mul_i32_i24_e32 v202 /*v458*/, v191, v46
	v_mul_i32_i24_e32 v212 /*v468*/, v189, v84
	;; [unrolled: 1-line block ×3, first 2 shown]
	s_set_vgpr_msb 0x55                     ;  msbs: dst=1 src0=1 src1=1 src2=1
	v_add3_u32 v153 /*v409*/, v153 /*v409*/, v231 /*v487*/, v233 /*v489*/
	s_set_vgpr_msb 1                        ;  msbs: dst=0 src0=1 src1=0 src2=0
	v_add3_u32 v1, v175 /*v431*/, v5, v1
	s_set_vgpr_msb 64                       ;  msbs: dst=1 src0=0 src1=0 src2=0
	v_mul_i32_i24_e32 v175 /*v431*/, v30, v173
	s_set_vgpr_msb 0x44                     ;  msbs: dst=1 src0=0 src1=1 src2=0
	v_mul_i32_i24_e32 v214 /*v470*/, v192, v189 /*v445*/
	v_mul_i32_i24_e32 v216 /*v472*/, v202, v192 /*v448*/
	s_set_vgpr_msb 0x55                     ;  msbs: dst=1 src0=1 src1=1 src2=1
	v_add3_u32 v153 /*v409*/, v153 /*v409*/, v154 /*v410*/, v165 /*v421*/
	s_set_vgpr_msb 0                        ;  msbs: dst=0 src0=0 src1=0 src2=0
	v_mul_lo_u32 v4, v1, v156
	s_set_vgpr_msb 0x41                     ;  msbs: dst=1 src0=1 src1=0 src2=0
	v_mul_lo_u32 v154 /*v410*/, v155 /*v411*/, v115
	s_set_vgpr_msb 0                        ;  msbs: dst=0 src0=0 src1=0 src2=0
	v_cvt_f32_i32_e32 v1, v0
	s_set_vgpr_msb 64                       ;  msbs: dst=1 src0=0 src1=0 src2=0
	v_mul_i32_i24_e32 v165 /*v421*/, v26, v169
	s_set_vgpr_msb 0x41                     ;  msbs: dst=1 src0=1 src1=0 src2=0
	v_mul_lo_u32 v153 /*v409*/, v153 /*v409*/, v115
	s_set_vgpr_msb 0x44                     ;  msbs: dst=1 src0=0 src1=1 src2=0
	v_mul_i32_i24_e32 v217 /*v473*/, v199, v193 /*v449*/
	v_mul_i32_i24_e32 v218 /*v474*/, v208, v194 /*v450*/
	;; [unrolled: 1-line block ×3, first 2 shown]
	s_set_vgpr_msb 0x41                     ;  msbs: dst=1 src0=1 src1=0 src2=0
	v_mul_i32_i24_e32 v223 /*v479*/, v196 /*v452*/, v215
	v_mul_i32_i24_e32 v224 /*v480*/, v206 /*v462*/, v218
	;; [unrolled: 1-line block ×3, first 2 shown]
	s_set_vgpr_msb 4                        ;  msbs: dst=0 src0=0 src1=1 src2=0
	v_cvt_f32_i32_e32 v0, v4
	v_pk_fma_f32 v[4:5], v[102:103], v[162:163] /*v[418:419]*/, 0 op_sel_hi:[0,1,0]
	s_set_vgpr_msb 0x41                     ;  msbs: dst=1 src0=1 src1=0 src2=0
	v_cvt_f32_i32_e32 v154 /*v410*/, v154 /*v410*/
	v_mul_i32_i24_e32 v226 /*v482*/, v237 /*v493*/, v251
	v_cvt_f32_i32_e32 v155 /*v411*/, v153 /*v409*/
	s_set_vgpr_msb 1                        ;  msbs: dst=0 src0=1 src1=0 src2=0
	v_pk_fma_f32 v[0:1], v[160:161] /*v[416:417]*/, v[0:1], 0 op_sel_hi:[1,1,0]
	s_set_vgpr_msb 0                        ;  msbs: dst=0 src0=0 src1=0 src2=0
	v_pk_fma_f32 v[4:5], v[104:105], v[6:7], v[4:5] op_sel_hi:[0,1,1]
	s_set_vgpr_msb 64                       ;  msbs: dst=1 src0=0 src1=0 src2=0
	v_mul_i32_i24_e32 v153 /*v409*/, v21, v166
	s_set_vgpr_msb 5                        ;  msbs: dst=0 src0=1 src1=1 src2=0
	v_pk_fma_f32 v[0:1], v[172:173] /*v[428:429]*/, v[154:155] /*v[410:411]*/, v[0:1]
	s_set_vgpr_msb 0                        ;  msbs: dst=0 src0=0 src1=0 src2=0
	v_pk_mul_f32 v[4:5], v[4:5], v[96:97]
	s_set_vgpr_msb 64                       ;  msbs: dst=1 src0=0 src1=0 src2=0
	v_mul_i32_i24_e32 v154 /*v410*/, v22, v167
	v_mul_i32_i24_e32 v155 /*v411*/, v24, v168
	s_set_vgpr_msb 0                        ;  msbs: dst=0 src0=0 src1=0 src2=0
	v_pk_fma_f32 v[0:1], v[0:1], v[88:89], v[4:5] neg_lo:[0,0,1] neg_hi:[0,0,1]
	v_mul_i32_i24_e32 v4, v15, v162
	v_mul_i32_i24_e32 v5, v20, v165
	s_delay_alu instid0(VALU_DEP_3) | instskip(SKIP_2) | instid1(VALU_DEP_2)
	v_pk_add_f32 v[72:73], v[72:73], v[0:1]
	v_mul_i32_i24_e32 v0, v12, v160
	v_mul_i32_i24_e32 v1, v14, v161
	v_mad_i32_i24 v0, v13, v159, v0
	s_delay_alu instid0(VALU_DEP_1) | instskip(SKIP_2) | instid1(VALU_DEP_1)
	v_add3_u32 v0, v0, v1, v4
	v_mul_i32_i24_e32 v1, v16, v163
	v_mul_i32_i24_e32 v4, v18, v164
	v_add3_u32 v0, v0, v1, v4
	s_set_vgpr_msb 1                        ;  msbs: dst=0 src0=1 src1=0 src2=0
	v_mul_i32_i24_e32 v1, v198 /*v454*/, v210
	v_mul_i32_i24_e32 v4, v211 /*v467*/, v205
	s_set_vgpr_msb 16                       ;  msbs: dst=0 src0=0 src1=0 src2=1
	v_add3_u32 v0, v0, v5, v153 /*v409*/
	s_set_vgpr_msb 1                        ;  msbs: dst=0 src0=1 src1=0 src2=0
	v_mul_i32_i24_e32 v5, v210 /*v466*/, v216
	v_mad_i32_i24 v1, v209 /*v465*/, v209, v1
	s_set_vgpr_msb 0x41                     ;  msbs: dst=1 src0=1 src1=0 src2=0
	v_mul_i32_i24_e32 v153 /*v409*/, v215 /*v471*/, v212
	s_set_vgpr_msb 20                       ;  msbs: dst=0 src0=0 src1=1 src2=1
	v_add3_u32 v0, v0, v154 /*v410*/, v155 /*v411*/
	s_set_vgpr_msb 0x41                     ;  msbs: dst=1 src0=1 src1=0 src2=0
	v_mul_i32_i24_e32 v154 /*v410*/, v174 /*v430*/, v226
	s_set_vgpr_msb 0                        ;  msbs: dst=0 src0=0 src1=0 src2=0
	v_add3_u32 v1, v1, v4, v5
	s_set_vgpr_msb 1                        ;  msbs: dst=0 src0=1 src1=0 src2=0
	v_mul_i32_i24_e32 v4, v199 /*v455*/, v220
	v_mul_i32_i24_e32 v5, v164 /*v420*/, v222
	s_set_vgpr_msb 20                       ;  msbs: dst=0 src0=0 src1=1 src2=1
	v_add3_u32 v0, v0, v165 /*v421*/, v166 /*v422*/
	s_set_vgpr_msb 0x41                     ;  msbs: dst=1 src0=1 src1=0 src2=0
	v_mul_i32_i24_e32 v155 /*v411*/, v200 /*v456*/, v228
	v_mul_i32_i24_e32 v165 /*v421*/, v222 /*v478*/, v230
	v_mul_i32_i24_e32 v166 /*v422*/, v221 /*v477*/, v223
	s_set_vgpr_msb 0                        ;  msbs: dst=0 src0=0 src1=0 src2=0
	v_add3_u32 v1, v1, v4, v5
	s_set_vgpr_msb 20                       ;  msbs: dst=0 src0=0 src1=1 src2=1
	v_add3_u32 v0, v0, v168 /*v424*/, v169 /*v425*/
	s_set_vgpr_msb 0x41                     ;  msbs: dst=1 src0=1 src1=0 src2=0
	v_mul_i32_i24_e32 v168 /*v424*/, v220 /*v476*/, v233
	v_mul_i32_i24_e32 v169 /*v425*/, v201 /*v457*/, v235
	s_set_vgpr_msb 1                        ;  msbs: dst=0 src0=1 src1=0 src2=0
	v_mul_i32_i24_e32 v4, v197 /*v453*/, v157
	s_set_vgpr_msb 20                       ;  msbs: dst=0 src0=0 src1=1 src2=1
	v_add3_u32 v1, v1, v153 /*v409*/, v154 /*v410*/
	v_add3_u32 v0, v0, v175 /*v431*/, v176 /*v432*/
	s_set_vgpr_msb 0x41                     ;  msbs: dst=1 src0=1 src1=0 src2=0
	v_mul_i32_i24_e32 v175 /*v431*/, v208 /*v464*/, v236
	v_mul_i32_i24_e32 v176 /*v432*/, v228 /*v484*/, v231
	;; [unrolled: 1-line block ×3, first 2 shown]
	s_set_vgpr_msb 20                       ;  msbs: dst=0 src0=0 src1=1 src2=1
	v_add3_u32 v1, v1, v155 /*v411*/, v165 /*v421*/
	v_add3_u32 v0, v0, v177 /*v433*/, v178 /*v434*/
	s_set_vgpr_msb 0x41                     ;  msbs: dst=1 src0=1 src1=0 src2=0
	v_mul_i32_i24_e32 v177 /*v433*/, v227 /*v483*/, v237
	v_mul_i32_i24_e32 v178 /*v434*/, v171 /*v427*/, v238
	s_set_vgpr_msb 64                       ;  msbs: dst=1 src0=0 src1=0 src2=0
	v_mul_i32_i24_e32 v155 /*v411*/, v2, v150
	s_set_vgpr_msb 20                       ;  msbs: dst=0 src0=0 src1=1 src2=1
	v_add3_u32 v1, v1, v166 /*v422*/, v168 /*v424*/
	v_add3_u32 v0, v0, v190 /*v446*/, v191 /*v447*/
	s_set_vgpr_msb 64                       ;  msbs: dst=1 src0=0 src1=0 src2=0
	v_mul_i32_i24_e32 v190 /*v446*/, v8, v239
	s_set_vgpr_msb 0x41                     ;  msbs: dst=1 src0=1 src1=0 src2=0
	v_mul_i32_i24_e32 v191 /*v447*/, v159 /*v415*/, v241
	s_set_vgpr_msb 0x44                     ;  msbs: dst=1 src0=0 src1=1 src2=0
	v_mul_i32_i24_e32 v165 /*v421*/, v117, v205 /*v461*/
	s_set_vgpr_msb 20                       ;  msbs: dst=0 src0=0 src1=1 src2=1
	v_add3_u32 v1, v1, v169 /*v425*/, v175 /*v431*/
	v_add3_u32 v0, v0, v202 /*v458*/, v212 /*v468*/
	s_set_vgpr_msb 0x41                     ;  msbs: dst=1 src0=1 src1=0 src2=0
	v_mul_i32_i24_e32 v202 /*v458*/, v158 /*v414*/, v240
	v_mul_i32_i24_e32 v212 /*v468*/, v203 /*v459*/, v242
	s_set_vgpr_msb 64                       ;  msbs: dst=1 src0=0 src1=0 src2=0
	v_mul_i32_i24_e32 v166 /*v422*/, v117, v3
	s_set_vgpr_msb 20                       ;  msbs: dst=0 src0=0 src1=1 src2=1
	v_add3_u32 v1, v1, v176 /*v432*/, v177 /*v433*/
	v_add3_u32 v0, v0, v213 /*v469*/, v214 /*v470*/
	s_set_vgpr_msb 0x41                     ;  msbs: dst=1 src0=1 src1=0 src2=0
	v_mul_i32_i24_e32 v213 /*v469*/, v234 /*v490*/, v243
	v_mul_i32_i24_e32 v214 /*v470*/, v170 /*v426*/, v245
	s_set_vgpr_msb 0x55                     ;  msbs: dst=1 src0=1 src1=1 src2=1
	v_add3_u32 v168 /*v424*/, v183 /*v439*/, v181 /*v437*/, v182 /*v438*/
	s_set_vgpr_msb 20                       ;  msbs: dst=0 src0=0 src1=1 src2=1
	v_add3_u32 v1, v1, v178 /*v434*/, v190 /*v446*/
	v_add3_u32 v0, v0, v216 /*v472*/, v217 /*v473*/
	s_set_vgpr_msb 0x41                     ;  msbs: dst=1 src0=1 src1=0 src2=0
	v_mul_i32_i24_e32 v216 /*v472*/, v157 /*v413*/, v244
	v_mul_i32_i24_e32 v217 /*v473*/, v204 /*v460*/, v246
	s_set_vgpr_msb 0x55                     ;  msbs: dst=1 src0=1 src1=1 src2=1
	v_add3_u32 v155 /*v411*/, v168 /*v424*/, v155 /*v411*/, v166 /*v422*/
	s_set_vgpr_msb 20                       ;  msbs: dst=0 src0=0 src1=1 src2=1
	v_add3_u32 v1, v1, v191 /*v447*/, v202 /*v458*/
	v_add3_u32 v0, v0, v218 /*v474*/, v219 /*v475*/
	s_set_vgpr_msb 0x41                     ;  msbs: dst=1 src0=1 src1=0 src2=0
	v_mul_i32_i24_e32 v218 /*v474*/, v235 /*v491*/, v247
	v_mul_i32_i24_e32 v219 /*v475*/, v167 /*v423*/, v249
	s_set_vgpr_msb 20                       ;  msbs: dst=0 src0=0 src1=1 src2=1
	v_mul_i32_i24_e32 v8, v8, v46 /*v302*/
	v_add3_u32 v1, v1, v212 /*v468*/, v213 /*v469*/
	v_add3_u32 v0, v0, v223 /*v479*/, v224 /*v480*/
	s_set_vgpr_msb 0x41                     ;  msbs: dst=1 src0=1 src1=0 src2=0
	v_mul_i32_i24_e32 v223 /*v479*/, v156 /*v412*/, v248
	v_mul_i32_i24_e32 v224 /*v480*/, v236 /*v492*/, v250
	s_set_vgpr_msb 0                        ;  msbs: dst=0 src0=0 src1=0 src2=0
	v_mul_i32_i24_e32 v2, v2, v153
	s_set_vgpr_msb 20                       ;  msbs: dst=0 src0=0 src1=1 src2=1
	v_add3_u32 v1, v1, v214 /*v470*/, v216 /*v472*/
	s_set_vgpr_msb 4                        ;  msbs: dst=0 src0=0 src1=1 src2=0
	v_add3_u32 v0, v0, v225 /*v481*/, v4
	s_set_vgpr_msb 0                        ;  msbs: dst=0 src0=0 src1=0 src2=0
	v_mul_i32_i24_e32 v3, v152, v3
	s_set_vgpr_msb 20                       ;  msbs: dst=0 src0=0 src1=1 src2=1
	v_add3_u32 v1, v1, v217 /*v473*/, v218 /*v474*/
	s_set_vgpr_msb 0                        ;  msbs: dst=0 src0=0 src1=0 src2=0
	v_mul_lo_u32 v0, v0, v158
	s_set_vgpr_msb 0x54                     ;  msbs: dst=1 src0=0 src1=1 src2=1
	s_delay_alu instid0(VALU_DEP_2) | instskip(SKIP_3) | instid1(VALU_DEP_2)
	v_add3_u32 v153 /*v409*/, v1, v219 /*v475*/, v223 /*v479*/
	s_set_vgpr_msb 1                        ;  msbs: dst=0 src0=1 src1=0 src2=0
	v_mul_i32_i24_e32 v1, v152 /*v408*/, v157
	s_set_vgpr_msb 0x55                     ;  msbs: dst=1 src0=1 src1=1 src2=1
	v_add3_u32 v153 /*v409*/, v153 /*v409*/, v224 /*v480*/, v226 /*v482*/
	s_set_vgpr_msb 5                        ;  msbs: dst=0 src0=1 src1=1 src2=0
	s_delay_alu instid0(VALU_DEP_2) | instskip(SKIP_1) | instid1(VALU_DEP_2)
	v_add3_u32 v1, v180 /*v436*/, v179 /*v435*/, v1
	s_set_vgpr_msb 0x55                     ;  msbs: dst=1 src0=1 src1=1 src2=1
	v_add3_u32 v153 /*v409*/, v153 /*v409*/, v154 /*v410*/, v165 /*v421*/
	s_set_vgpr_msb 0                        ;  msbs: dst=0 src0=0 src1=0 src2=0
	s_delay_alu instid0(VALU_DEP_2)
	v_mul_lo_u32 v4, v1, v158
	s_set_vgpr_msb 0x41                     ;  msbs: dst=1 src0=1 src1=0 src2=0
	v_mul_lo_u32 v154 /*v410*/, v155 /*v411*/, v151
	s_set_vgpr_msb 0                        ;  msbs: dst=0 src0=0 src1=0 src2=0
	v_cvt_f32_i32_e32 v1, v0
	s_set_vgpr_msb 0x41                     ;  msbs: dst=1 src0=1 src1=0 src2=0
	v_mul_lo_u32 v153 /*v409*/, v153 /*v409*/, v151
	s_set_vgpr_msb 4                        ;  msbs: dst=0 src0=0 src1=1 src2=0
	s_delay_alu instid0(VALU_DEP_4) | instskip(SKIP_3) | instid1(VALU_DEP_4)
	v_cvt_f32_i32_e32 v0, v4
	v_pk_fma_f32 v[4:5], v[106:107], v[162:163] /*v[418:419]*/, 0 op_sel_hi:[0,1,0]
	s_set_vgpr_msb 0x41                     ;  msbs: dst=1 src0=1 src1=0 src2=0
	v_cvt_f32_i32_e32 v154 /*v410*/, v154 /*v410*/
	v_cvt_f32_i32_e32 v155 /*v411*/, v153 /*v409*/
	s_set_vgpr_msb 1                        ;  msbs: dst=0 src0=1 src1=0 src2=0
	v_pk_fma_f32 v[0:1], v[160:161] /*v[416:417]*/, v[0:1], 0 op_sel_hi:[1,1,0]
	s_set_vgpr_msb 0                        ;  msbs: dst=0 src0=0 src1=0 src2=0
	v_pk_fma_f32 v[4:5], v[108:109], v[6:7], v[4:5] op_sel_hi:[0,1,1]
	s_set_vgpr_msb 0x45                     ;  msbs: dst=1 src0=1 src1=1 src2=0
	v_mul_i32_i24_e32 v153 /*v409*/, v207 /*v463*/, v33 /*v289*/
	s_set_vgpr_msb 5                        ;  msbs: dst=0 src0=1 src1=1 src2=0
	v_pk_fma_f32 v[0:1], v[172:173] /*v[428:429]*/, v[154:155] /*v[410:411]*/, v[0:1]
	s_set_vgpr_msb 0                        ;  msbs: dst=0 src0=0 src1=0 src2=0
	v_pk_mul_f32 v[4:5], v[4:5], v[98:99]
	s_delay_alu instid0(VALU_DEP_1)
	v_pk_fma_f32 v[0:1], v[0:1], v[90:91], v[4:5] neg_lo:[0,0,1] neg_hi:[0,0,1]
	s_set_vgpr_msb 4                        ;  msbs: dst=0 src0=0 src1=1 src2=0
	v_mul_i32_i24_e32 v4, v15, v1 /*v257*/
	v_mul_i32_i24_e32 v5, v20, v4 /*v260*/
	;; [unrolled: 1-line block ×4, first 2 shown]
	s_set_vgpr_msb 0                        ;  msbs: dst=0 src0=0 src1=0 src2=0
	v_pk_add_f32 v[78:79], v[78:79], v[0:1]
	v_mul_i32_i24_e32 v0, v12, v255
	s_set_vgpr_msb 4                        ;  msbs: dst=0 src0=0 src1=1 src2=0
	v_mul_i32_i24_e32 v1, v14, v0 /*v256*/
	v_mul_i32_i24_e32 v12, v21, v5 /*v261*/
	;; [unrolled: 1-line block ×4, first 2 shown]
	s_set_vgpr_msb 0                        ;  msbs: dst=0 src0=0 src1=0 src2=0
	v_mad_i32_i24 v0, v13, v254, v0
	s_set_vgpr_msb 4                        ;  msbs: dst=0 src0=0 src1=1 src2=0
	v_mul_i32_i24_e32 v13, v22, v6 /*v262*/
	v_mul_i32_i24_e32 v22, v31, v13 /*v269*/
	;; [unrolled: 1-line block ×4, first 2 shown]
	s_set_vgpr_msb 0                        ;  msbs: dst=0 src0=0 src1=0 src2=0
	v_add3_u32 v0, v0, v1, v4
	s_set_vgpr_msb 4                        ;  msbs: dst=0 src0=0 src1=1 src2=0
	v_mul_i32_i24_e32 v1, v16, v2 /*v258*/
	v_mul_i32_i24_e32 v4, v18, v3 /*v259*/
	;; [unrolled: 1-line block ×4, first 2 shown]
	s_set_vgpr_msb 1                        ;  msbs: dst=0 src0=1 src1=0 src2=0
	v_mul_i32_i24_e32 v27, v17 /*v273*/, v42
	v_mul_i32_i24_e32 v28, v16 /*v272*/, v44
	s_set_vgpr_msb 0                        ;  msbs: dst=0 src0=0 src1=0 src2=0
	v_add3_u32 v0, v0, v1, v4
	s_set_vgpr_msb 5                        ;  msbs: dst=0 src0=1 src1=1 src2=0
	v_mul_i32_i24_e32 v1, v198 /*v454*/, v28 /*v284*/
	v_mul_i32_i24_e32 v4, v211 /*v467*/, v25 /*v281*/
	s_set_vgpr_msb 1                        ;  msbs: dst=0 src0=1 src1=0 src2=0
	v_mul_i32_i24_e32 v29, v19 /*v275*/, v46
	v_mul_i32_i24_e32 v30, v18 /*v274*/, v84
	s_set_vgpr_msb 0                        ;  msbs: dst=0 src0=0 src1=0 src2=0
	v_add3_u32 v0, v0, v5, v12
	s_set_vgpr_msb 5                        ;  msbs: dst=0 src0=1 src1=1 src2=0
	v_mul_i32_i24_e32 v5, v210 /*v466*/, v31 /*v287*/
	v_mad_i32_i24 v1, v209 /*v465*/, v27 /*v283*/, v1
	v_mul_i32_i24_e32 v12, v215 /*v471*/, v29 /*v285*/
	s_set_vgpr_msb 1                        ;  msbs: dst=0 src0=1 src1=0 src2=0
	v_mul_i32_i24_e32 v31, v21 /*v277*/, v126
	s_set_vgpr_msb 0                        ;  msbs: dst=0 src0=0 src1=0 src2=0
	v_add3_u32 v0, v0, v13, v14
	s_set_vgpr_msb 5                        ;  msbs: dst=0 src0=1 src1=1 src2=0
	v_mul_i32_i24_e32 v13, v174 /*v430*/, v37 /*v293*/
	s_set_vgpr_msb 0                        ;  msbs: dst=0 src0=0 src1=0 src2=0
	v_add3_u32 v1, v1, v4, v5
	s_set_vgpr_msb 5                        ;  msbs: dst=0 src0=1 src1=1 src2=0
	v_mul_i32_i24_e32 v4, v199 /*v455*/, v34 /*v290*/
	v_mul_i32_i24_e32 v5, v164 /*v420*/, v35 /*v291*/
	s_set_vgpr_msb 0                        ;  msbs: dst=0 src0=0 src1=0 src2=0
	v_add3_u32 v0, v0, v15, v16
	s_set_vgpr_msb 5                        ;  msbs: dst=0 src0=1 src1=1 src2=0
	v_mul_i32_i24_e32 v14, v200 /*v456*/, v38 /*v294*/
	v_mul_i32_i24_e32 v15, v222 /*v478*/, v39 /*v295*/
	v_mul_i32_i24_e32 v16, v221 /*v477*/, v36 /*v292*/
	s_set_vgpr_msb 0                        ;  msbs: dst=0 src0=0 src1=0 src2=0
	v_add3_u32 v1, v1, v4, v5
	v_add3_u32 v0, v0, v18, v20
	s_set_vgpr_msb 5                        ;  msbs: dst=0 src0=1 src1=1 src2=0
	v_mul_i32_i24_e32 v18, v220 /*v476*/, v41 /*v297*/
	v_mul_i32_i24_e32 v20, v201 /*v457*/, v42 /*v298*/
	v_mul_i32_i24_e32 v38, v20 /*v276*/, v189 /*v445*/
	s_set_vgpr_msb 0                        ;  msbs: dst=0 src0=0 src1=0 src2=0
	v_add3_u32 v1, v1, v12, v13
	v_add3_u32 v0, v0, v21, v22
	s_set_vgpr_msb 5                        ;  msbs: dst=0 src0=1 src1=1 src2=0
	v_mul_i32_i24_e32 v21, v208 /*v464*/, v43 /*v299*/
	v_mul_i32_i24_e32 v22, v228 /*v484*/, v40 /*v296*/
	v_mul_i32_i24_e32 v40, v23 /*v279*/, v192 /*v448*/
	s_set_vgpr_msb 0                        ;  msbs: dst=0 src0=0 src1=0 src2=0
	v_add3_u32 v1, v1, v14, v15
	v_add3_u32 v0, v0, v24, v26
	s_set_vgpr_msb 5                        ;  msbs: dst=0 src0=1 src1=1 src2=0
	v_mul_i32_i24_e32 v24, v227 /*v483*/, v44 /*v300*/
	v_mul_i32_i24_e32 v26, v171 /*v427*/, v45 /*v301*/
	v_mul_i32_i24_e32 v42, v22 /*v278*/, v193 /*v449*/
	s_set_vgpr_msb 0                        ;  msbs: dst=0 src0=0 src1=0 src2=0
	v_add3_u32 v1, v1, v16, v18
	v_add3_u32 v0, v0, v27, v28
	s_set_vgpr_msb 5                        ;  msbs: dst=0 src0=1 src1=1 src2=0
	v_mul_i32_i24_e32 v27, v159 /*v415*/, v48 /*v304*/
	v_mul_i32_i24_e32 v28, v158 /*v414*/, v47 /*v303*/
	v_mul_i32_i24_e32 v44, v26 /*v282*/, v194 /*v450*/
	s_set_vgpr_msb 0                        ;  msbs: dst=0 src0=0 src1=0 src2=0
	v_add3_u32 v1, v1, v20, v21
	v_add3_u32 v0, v0, v29, v30
	s_set_vgpr_msb 5                        ;  msbs: dst=0 src0=1 src1=1 src2=0
	v_mul_i32_i24_e32 v29, v203 /*v459*/, v49 /*v305*/
	v_mul_i32_i24_e32 v30, v234 /*v490*/, v50 /*v306*/
	v_mul_i32_i24_e32 v46, v24 /*v280*/, v195 /*v451*/
	s_set_vgpr_msb 0                        ;  msbs: dst=0 src0=0 src1=0 src2=0
	v_add3_u32 v1, v1, v22, v24
	v_add3_u32 v0, v0, v31, v38
	s_set_vgpr_msb 5                        ;  msbs: dst=0 src0=1 src1=1 src2=0
	v_mul_i32_i24_e32 v31, v170 /*v426*/, v52 /*v308*/
	v_mul_i32_i24_e32 v38, v157 /*v413*/, v51 /*v307*/
	v_mul_i32_i24_e32 v84, v196 /*v452*/, v30 /*v286*/
	s_set_vgpr_msb 0                        ;  msbs: dst=0 src0=0 src1=0 src2=0
	v_add3_u32 v1, v1, v26, v8
	v_add3_u32 v0, v0, v40, v42
	s_set_vgpr_msb 5                        ;  msbs: dst=0 src0=1 src1=1 src2=0
	v_mul_i32_i24_e32 v40, v204 /*v460*/, v53 /*v309*/
	v_mul_i32_i24_e32 v42, v235 /*v491*/, v54 /*v310*/
	v_mul_i32_i24_e32 v126, v206 /*v462*/, v32 /*v288*/
	s_set_vgpr_msb 0                        ;  msbs: dst=0 src0=0 src1=0 src2=0
	v_add3_u32 v1, v1, v27, v28
	v_add3_u32 v0, v0, v44, v46
	s_set_vgpr_msb 5                        ;  msbs: dst=0 src0=1 src1=1 src2=0
	v_mul_i32_i24_e32 v44, v167 /*v423*/, v56 /*v312*/
	v_mul_i32_i24_e32 v46, v156 /*v412*/, v55 /*v311*/
	s_set_vgpr_msb 1                        ;  msbs: dst=0 src0=1 src1=0 src2=0
	v_mul_i32_i24_e32 v4, v197 /*v453*/, v252
	s_set_vgpr_msb 0                        ;  msbs: dst=0 src0=0 src1=0 src2=0
	v_add3_u32 v1, v1, v29, v30
	v_add3_u32 v0, v0, v84, v126
	s_set_vgpr_msb 5                        ;  msbs: dst=0 src0=1 src1=1 src2=0
	v_mul_i32_i24_e32 v84, v236 /*v492*/, v57 /*v313*/
	v_mul_i32_i24_e32 v126, v237 /*v493*/, v58 /*v314*/
	s_set_vgpr_msb 1                        ;  msbs: dst=0 src0=1 src1=0 src2=0
	v_mul_i32_i24_e32 v12, v238 /*v494*/, v153
	s_set_vgpr_msb 0                        ;  msbs: dst=0 src0=0 src1=0 src2=0
	v_add3_u32 v1, v1, v31, v38
	s_set_vgpr_msb 4                        ;  msbs: dst=0 src0=0 src1=1 src2=0
	v_add3_u32 v0, v0, v153 /*v409*/, v4
	v_mul_i32_i24_e32 v13, v152, v205 /*v461*/
	s_set_vgpr_msb 21                       ;  msbs: dst=0 src0=1 src1=1 src2=1
	v_add3_u32 v14, v188 /*v444*/, v186 /*v442*/, v187 /*v443*/
	s_set_vgpr_msb 0                        ;  msbs: dst=0 src0=0 src1=0 src2=0
	v_add3_u32 v1, v1, v40, v42
	v_mul_lo_u32 v0, v0, v253
	s_delay_alu instid0(VALU_DEP_3) | instskip(NEXT) | instid1(VALU_DEP_3)
	v_add3_u32 v2, v14, v2, v3
	v_add3_u32 v8, v1, v44, v46
	s_set_vgpr_msb 1                        ;  msbs: dst=0 src0=1 src1=0 src2=0
	v_mul_i32_i24_e32 v1, v152 /*v408*/, v252
	s_set_vgpr_msb 0                        ;  msbs: dst=0 src0=0 src1=0 src2=0
	v_mul_lo_u32 v2, v2, v154
	v_add3_u32 v8, v8, v84, v126
	s_set_vgpr_msb 5                        ;  msbs: dst=0 src0=1 src1=1 src2=0
	v_add3_u32 v1, v185 /*v441*/, v184 /*v440*/, v1
	s_set_vgpr_msb 0                        ;  msbs: dst=0 src0=0 src1=0 src2=0
	s_delay_alu instid0(VALU_DEP_2) | instskip(NEXT) | instid1(VALU_DEP_2)
	v_add3_u32 v3, v8, v12, v13
	v_mul_lo_u32 v4, v1, v253
	v_cvt_f32_i32_e32 v1, v0
	v_cvt_f32_i32_e32 v2, v2
	s_delay_alu instid0(VALU_DEP_4) | instskip(NEXT) | instid1(VALU_DEP_4)
	v_mul_lo_u32 v3, v3, v154
	v_cvt_f32_i32_e32 v0, v4
	s_set_vgpr_msb 4                        ;  msbs: dst=0 src0=0 src1=1 src2=0
	v_pk_fma_f32 v[4:5], v[112:113], v[162:163] /*v[418:419]*/, 0 op_sel_hi:[0,1,0]
	s_delay_alu instid0(VALU_DEP_3) | instskip(SKIP_2) | instid1(VALU_DEP_1)
	v_cvt_f32_i32_e32 v3, v3
	s_set_vgpr_msb 1                        ;  msbs: dst=0 src0=1 src1=0 src2=0
	v_pk_fma_f32 v[0:1], v[160:161] /*v[416:417]*/, v[0:1], 0 op_sel_hi:[1,1,0]
	v_pk_fma_f32 v[0:1], v[172:173] /*v[428:429]*/, v[2:3], v[0:1]
	s_set_vgpr_msb 0                        ;  msbs: dst=0 src0=0 src1=0 src2=0
	v_pk_fma_f32 v[2:3], v[110:111], v[6:7], v[4:5] op_sel_hi:[0,1,1]
	s_delay_alu instid0(VALU_DEP_1) | instskip(NEXT) | instid1(VALU_DEP_1)
	v_pk_mul_f32 v[2:3], v[2:3], v[100:101]
	v_pk_fma_f32 v[0:1], v[0:1], v[92:93], v[2:3] neg_lo:[0,0,1] neg_hi:[0,0,1]
	s_delay_alu instid0(VALU_DEP_1) | instskip(SKIP_1) | instid1(VALU_DEP_1)
	v_pk_add_f32 v[82:83], v[82:83], v[0:1]
	v_or_b32_e32 v0, s12, v132
	v_dual_lshlrev_b32 v1, 2, v0 :: v_dual_lshrrev_b32 v5, 1, v0
	s_set_vgpr_msb 64                       ;  msbs: dst=1 src0=0 src1=0 src2=0
	ds_load_b128 v[152:155] /*v[408:411]*/, v1 offset:16896
	ds_load_b128 v[156:159] /*v[412:415]*/, v1 offset:16912
	ds_load_b128 v[160:163] /*v[416:419]*/, v1 offset:16928
	s_set_vgpr_msb 0                        ;  msbs: dst=0 src0=0 src1=0 src2=0
	ds_load_b128 v[0:3], v1 offset:16944
	s_wait_dscnt 0x3
	s_set_vgpr_msb 1                        ;  msbs: dst=0 src0=1 src1=0 src2=0
	v_bfe_i32 v7, v152 /*v408*/, 0, 8
	v_bfe_i32 v8, v152 /*v408*/, 8, 8
	;; [unrolled: 1-line block ×3, first 2 shown]
	s_set_vgpr_msb 4                        ;  msbs: dst=0 src0=0 src1=1 src2=0
	v_ashrrev_i32_e32 v13, 24, v152 /*v408*/
	s_wait_dscnt 0x0
	s_set_vgpr_msb 64                       ;  msbs: dst=1 src0=0 src1=0 src2=0
	v_bfe_i32 v192 /*v448*/, v1, 0, 8
	v_bfe_i32 v193 /*v449*/, v1, 8, 8
	;; [unrolled: 1-line block ×3, first 2 shown]
	v_ashrrev_i32_e32 v195 /*v451*/, 24, v1
	s_set_vgpr_msb 4                        ;  msbs: dst=0 src0=0 src1=1 src2=0
	v_mul_i32_i24_e32 v1, v7, v94 /*v350*/
	s_set_vgpr_msb 1                        ;  msbs: dst=0 src0=1 src1=0 src2=0
	v_bfe_i32 v14, v153 /*v409*/, 0, 8
	v_bfe_i32 v15, v153 /*v409*/, 8, 8
	s_set_vgpr_msb 64                       ;  msbs: dst=1 src0=0 src1=0 src2=0
	v_bfe_i32 v196 /*v452*/, v2, 0, 8
	v_bfe_i32 v197 /*v453*/, v2, 8, 8
	;; [unrolled: 1-line block ×3, first 2 shown]
	v_ashrrev_i32_e32 v199 /*v455*/, 24, v2
	s_set_vgpr_msb 4                        ;  msbs: dst=0 src0=0 src1=1 src2=0
	v_mul_i32_i24_e32 v2, v12, v95 /*v351*/
	v_mul_i32_i24_e32 v6, v13, v96 /*v352*/
	v_mad_i32_i24 v1, v8, v93 /*v349*/, v1
	s_set_vgpr_msb 1                        ;  msbs: dst=0 src0=1 src1=0 src2=0
	v_bfe_i32 v16, v153 /*v409*/, 16, 8
	s_set_vgpr_msb 4                        ;  msbs: dst=0 src0=0 src1=1 src2=0
	v_dual_ashrrev_i32 v18, 24, v153 /*v409*/ :: v_dual_ashrrev_i32 v24, 24, v154 /*v410*/
	s_set_vgpr_msb 1                        ;  msbs: dst=0 src0=1 src1=0 src2=0
	v_bfe_i32 v20, v154 /*v410*/, 0, 8
	s_set_vgpr_msb 0                        ;  msbs: dst=0 src0=0 src1=0 src2=0
	v_add3_u32 v1, v1, v2, v6
	s_set_vgpr_msb 4                        ;  msbs: dst=0 src0=0 src1=1 src2=0
	v_mul_i32_i24_e32 v2, v14, v97 /*v353*/
	v_mul_i32_i24_e32 v6, v15, v98 /*v354*/
	s_set_vgpr_msb 1                        ;  msbs: dst=0 src0=1 src1=0 src2=0
	v_bfe_i32 v21, v154 /*v410*/, 8, 8
	v_bfe_i32 v26, v155 /*v411*/, 0, 8
	;; [unrolled: 1-line block ×4, first 2 shown]
	s_set_vgpr_msb 4                        ;  msbs: dst=0 src0=0 src1=1 src2=0
	v_dual_ashrrev_i32 v29, 24, v155 /*v411*/ :: v_dual_ashrrev_i32 v40, 24, v156 /*v412*/
	s_set_vgpr_msb 0x44                     ;  msbs: dst=1 src0=0 src1=1 src2=0
	v_mul_i32_i24_e32 v153 /*v409*/, v16, v99 /*v355*/
	v_mul_i32_i24_e32 v155 /*v411*/, v18, v100 /*v356*/
	s_set_vgpr_msb 0                        ;  msbs: dst=0 src0=0 src1=0 src2=0
	v_add3_u32 v1, v1, v2, v6
	s_set_vgpr_msb 1                        ;  msbs: dst=0 src0=1 src1=0 src2=0
	v_bfe_i32 v22, v154 /*v410*/, 16, 8
	v_bfe_i32 v30, v156 /*v412*/, 0, 8
	;; [unrolled: 1-line block ×7, first 2 shown]
	s_set_vgpr_msb 4                        ;  msbs: dst=0 src0=0 src1=1 src2=0
	v_dual_ashrrev_i32 v84, 24, v157 /*v413*/ :: v_dual_ashrrev_i32 v4, 24, v159 /*v415*/
	s_set_vgpr_msb 0x44                     ;  msbs: dst=1 src0=0 src1=1 src2=0
	v_mul_i32_i24_e32 v156 /*v412*/, v20, v101 /*v357*/
	v_mul_i32_i24_e32 v157 /*v413*/, v21, v102 /*v358*/
	s_set_vgpr_msb 20                       ;  msbs: dst=0 src0=0 src1=1 src2=1
	v_add3_u32 v1, v1, v153 /*v409*/, v155 /*v411*/
	s_set_vgpr_msb 1                        ;  msbs: dst=0 src0=1 src1=0 src2=0
	v_bfe_i32 v126, v158 /*v414*/, 0, 8
	s_set_vgpr_msb 0x41                     ;  msbs: dst=1 src0=1 src1=0 src2=0
	v_bfe_i32 v152 /*v408*/, v158 /*v414*/, 8, 8
	v_bfe_i32 v154 /*v410*/, v158 /*v414*/, 16, 8
	s_set_vgpr_msb 0x44                     ;  msbs: dst=1 src0=0 src1=1 src2=0
	v_ashrrev_i32_e32 v168 /*v424*/, 24, v158 /*v414*/
	s_set_vgpr_msb 0x41                     ;  msbs: dst=1 src0=1 src1=0 src2=0
	v_bfe_i32 v169 /*v425*/, v159 /*v415*/, 0, 8
	v_bfe_i32 v170 /*v426*/, v159 /*v415*/, 8, 8
	v_bfe_i32 v171 /*v427*/, v159 /*v415*/, 16, 8
	s_set_vgpr_msb 0x44                     ;  msbs: dst=1 src0=0 src1=1 src2=0
	v_mul_i32_i24_e32 v158 /*v414*/, v22, v103 /*v359*/
	v_mul_i32_i24_e32 v159 /*v415*/, v24, v104 /*v360*/
	s_set_vgpr_msb 20                       ;  msbs: dst=0 src0=0 src1=1 src2=1
	v_add3_u32 v1, v1, v156 /*v412*/, v157 /*v413*/
	s_set_vgpr_msb 0x44                     ;  msbs: dst=1 src0=0 src1=1 src2=0
	v_dual_ashrrev_i32 v175 /*v431*/, 24, v160 /*v416*/ :: v_dual_ashrrev_i32 v179 /*v435*/, 24, v161 /*v417*/
	s_set_vgpr_msb 0x41                     ;  msbs: dst=1 src0=1 src1=0 src2=0
	v_bfe_i32 v176 /*v432*/, v161 /*v417*/, 0, 8
	v_bfe_i32 v177 /*v433*/, v161 /*v417*/, 8, 8
	;; [unrolled: 1-line block ×6, first 2 shown]
	s_set_vgpr_msb 0x44                     ;  msbs: dst=1 src0=0 src1=1 src2=0
	v_dual_ashrrev_i32 v183 /*v439*/, 24, v162 /*v418*/ :: v_dual_ashrrev_i32 v187 /*v443*/, 24, v163 /*v419*/
	v_mul_i32_i24_e32 v161 /*v417*/, v26, v105 /*v361*/
	v_mul_i32_i24_e32 v162 /*v418*/, v27, v106 /*v362*/
	s_set_vgpr_msb 20                       ;  msbs: dst=0 src0=0 src1=1 src2=1
	v_add3_u32 v1, v1, v158 /*v414*/, v159 /*v415*/
	s_set_vgpr_msb 0x41                     ;  msbs: dst=1 src0=1 src1=0 src2=0
	v_bfe_i32 v184 /*v440*/, v163 /*v419*/, 0, 8
	v_bfe_i32 v185 /*v441*/, v163 /*v419*/, 8, 8
	;; [unrolled: 1-line block ×3, first 2 shown]
	s_set_vgpr_msb 0x44                     ;  msbs: dst=1 src0=0 src1=1 src2=0
	v_mul_i32_i24_e32 v163 /*v419*/, v28, v107 /*v363*/
	v_mul_i32_i24_e32 v164 /*v420*/, v29, v108 /*v364*/
	s_set_vgpr_msb 20                       ;  msbs: dst=0 src0=0 src1=1 src2=1
	v_add3_u32 v1, v1, v161 /*v417*/, v162 /*v418*/
	s_set_vgpr_msb 0x44                     ;  msbs: dst=1 src0=0 src1=1 src2=0
	v_mul_i32_i24_e32 v165 /*v421*/, v30, v109 /*v365*/
	v_mul_i32_i24_e32 v166 /*v422*/, v31, v110 /*v366*/
	s_set_vgpr_msb 0x41                     ;  msbs: dst=1 src0=1 src1=0 src2=0
	v_mul_i32_i24_e32 v167 /*v423*/, v112 /*v368*/, v38
	v_mul_i32_i24_e32 v202 /*v458*/, v111 /*v367*/, v40
	s_set_vgpr_msb 20                       ;  msbs: dst=0 src0=0 src1=1 src2=1
	v_add3_u32 v1, v1, v163 /*v419*/, v164 /*v420*/
	s_set_vgpr_msb 0x41                     ;  msbs: dst=1 src0=1 src1=0 src2=0
	v_mul_i32_i24_e32 v203 /*v459*/, v114 /*v370*/, v42
	v_mul_i32_i24_e32 v204 /*v460*/, v113 /*v369*/, v44
	;; [unrolled: 1-line block ×4, first 2 shown]
	s_set_vgpr_msb 20                       ;  msbs: dst=0 src0=0 src1=1 src2=1
	v_add3_u32 v1, v1, v165 /*v421*/, v166 /*v422*/
	s_set_vgpr_msb 0x41                     ;  msbs: dst=1 src0=1 src1=0 src2=0
	v_mul_i32_i24_e32 v207 /*v463*/, v124 /*v380*/, v126
	s_set_vgpr_msb 0x45                     ;  msbs: dst=1 src0=1 src1=1 src2=0
	v_mul_i32_i24_e32 v208 /*v464*/, v117 /*v373*/, v152 /*v408*/
	v_mul_i32_i24_e32 v209 /*v465*/, v128 /*v384*/, v154 /*v410*/
	;; [unrolled: 1-line block ×3, first 2 shown]
	s_set_vgpr_msb 20                       ;  msbs: dst=0 src0=0 src1=1 src2=1
	v_add3_u32 v1, v1, v167 /*v423*/, v202 /*v458*/
	s_set_vgpr_msb 0x45                     ;  msbs: dst=1 src0=1 src1=1 src2=0
	v_bfe_i32 v172 /*v428*/, v160 /*v416*/, 0, 8
	v_mul_i32_i24_e32 v211 /*v467*/, v169 /*v425*/, v130 /*v386*/
	v_mul_i32_i24_e32 v212 /*v468*/, v170 /*v426*/, v131 /*v387*/
	v_bfe_i32 v173 /*v429*/, v160 /*v416*/, 8, 8
	s_set_vgpr_msb 20                       ;  msbs: dst=0 src0=0 src1=1 src2=1
	v_add3_u32 v1, v1, v203 /*v459*/, v204 /*v460*/
	s_set_vgpr_msb 0x41                     ;  msbs: dst=1 src0=1 src1=0 src2=0
	v_bfe_i32 v174 /*v430*/, v160 /*v416*/, 16, 8
	s_set_vgpr_msb 5                        ;  msbs: dst=0 src0=1 src1=1 src2=0
	v_mul_i32_i24_e32 v6, v126 /*v382*/, v175 /*v431*/
	s_set_vgpr_msb 0x45                     ;  msbs: dst=1 src0=1 src1=1 src2=0
	v_mul_i32_i24_e32 v153 /*v409*/, v135 /*v391*/, v178 /*v434*/
	v_mul_i32_i24_e32 v155 /*v411*/, v118 /*v374*/, v179 /*v435*/
	s_set_vgpr_msb 20                       ;  msbs: dst=0 src0=0 src1=1 src2=1
	v_add3_u32 v1, v1, v205 /*v461*/, v206 /*v462*/
	s_set_vgpr_msb 5                        ;  msbs: dst=0 src0=1 src1=1 src2=0
	v_mul_i32_i24_e32 v2, v134 /*v390*/, v174 /*v430*/
	s_set_vgpr_msb 0x45                     ;  msbs: dst=1 src0=1 src1=1 src2=0
	v_mul_i32_i24_e32 v156 /*v412*/, v139 /*v395*/, v180 /*v436*/
	v_mul_i32_i24_e32 v157 /*v413*/, v138 /*v394*/, v181 /*v437*/
	;; [unrolled: 1-line block ×3, first 2 shown]
	s_set_vgpr_msb 20                       ;  msbs: dst=0 src0=0 src1=1 src2=1
	v_add3_u32 v1, v1, v207 /*v463*/, v208 /*v464*/
	s_set_vgpr_msb 0x45                     ;  msbs: dst=1 src0=1 src1=1 src2=0
	v_mul_i32_i24_e32 v159 /*v415*/, v119 /*v375*/, v183 /*v439*/
	v_mul_i32_i24_e32 v161 /*v417*/, v142 /*v398*/, v184 /*v440*/
	;; [unrolled: 1-line block ×3, first 2 shown]
	s_set_vgpr_msb 64                       ;  msbs: dst=1 src0=0 src1=0 src2=0
	v_bfe_i32 v188 /*v444*/, v0, 0, 8
	s_set_vgpr_msb 20                       ;  msbs: dst=0 src0=0 src1=1 src2=1
	v_add3_u32 v1, v1, v209 /*v465*/, v210 /*v466*/
	s_set_vgpr_msb 64                       ;  msbs: dst=1 src0=0 src1=0 src2=0
	v_bfe_i32 v189 /*v445*/, v0, 8, 8
	s_set_vgpr_msb 0x45                     ;  msbs: dst=1 src0=1 src1=1 src2=0
	v_mul_i32_i24_e32 v164 /*v420*/, v140 /*v396*/, v186 /*v442*/
	v_mul_i32_i24_e32 v167 /*v423*/, v120 /*v376*/, v187 /*v443*/
	s_set_vgpr_msb 0x54                     ;  msbs: dst=1 src0=0 src1=1 src2=1
	v_bfe_i32 v190 /*v446*/, v0, 16, 8
	v_add3_u32 v163 /*v419*/, v1, v211 /*v467*/, v212 /*v468*/
	s_set_vgpr_msb 4                        ;  msbs: dst=0 src0=0 src1=1 src2=0
	v_mul_i32_i24_e32 v1, v118, v172 /*v428*/
	s_set_vgpr_msb 64                       ;  msbs: dst=1 src0=0 src1=0 src2=0
	v_ashrrev_i32_e32 v191 /*v447*/, 24, v0
	s_set_vgpr_msb 0x45                     ;  msbs: dst=1 src0=1 src1=1 src2=0
	v_mul_i32_i24_e32 v202 /*v458*/, v145 /*v401*/, v188 /*v444*/
	v_mul_i32_i24_e32 v203 /*v459*/, v144 /*v400*/, v189 /*v445*/
	;; [unrolled: 1-line block ×3, first 2 shown]
	s_set_vgpr_msb 5                        ;  msbs: dst=0 src0=1 src1=1 src2=0
	v_mad_i32_i24 v1, v133 /*v389*/, v173 /*v429*/, v1
	s_set_vgpr_msb 0x45                     ;  msbs: dst=1 src0=1 src1=1 src2=0
	v_mul_i32_i24_e32 v205 /*v461*/, v121 /*v377*/, v191 /*v447*/
	v_mul_i32_i24_e32 v206 /*v462*/, v148 /*v404*/, v192 /*v448*/
	;; [unrolled: 1-line block ×4, first 2 shown]
	s_set_vgpr_msb 0                        ;  msbs: dst=0 src0=0 src1=0 src2=0
	v_add3_u32 v1, v1, v2, v6
	s_set_vgpr_msb 4                        ;  msbs: dst=0 src0=0 src1=1 src2=0
	v_mul_i32_i24_e32 v2, v119, v176 /*v432*/
	s_set_vgpr_msb 5                        ;  msbs: dst=0 src0=1 src1=1 src2=0
	v_mul_i32_i24_e32 v6, v136 /*v392*/, v177 /*v433*/
	s_set_vgpr_msb 0x45                     ;  msbs: dst=1 src0=1 src1=1 src2=0
	v_mul_i32_i24_e32 v209 /*v465*/, v122 /*v378*/, v195 /*v451*/
	v_mul_i32_i24_e32 v210 /*v466*/, v151 /*v407*/, v196 /*v452*/
	v_mul_i32_i24_e32 v211 /*v467*/, v150 /*v406*/, v197 /*v453*/
	v_mul_i32_i24_e32 v212 /*v468*/, v149 /*v405*/, v198 /*v454*/
	s_set_vgpr_msb 0                        ;  msbs: dst=0 src0=0 src1=0 src2=0
	v_add3_u32 v1, v1, v2, v6
	s_set_vgpr_msb 0x45                     ;  msbs: dst=1 src0=1 src1=1 src2=0
	v_mul_i32_i24_e32 v213 /*v469*/, v123 /*v379*/, v199 /*v455*/
	s_set_vgpr_msb 4                        ;  msbs: dst=0 src0=0 src1=1 src2=0
	v_mul_i32_i24_e32 v2, v12, v66 /*v322*/
	v_mul_i32_i24_e32 v6, v13, v67 /*v323*/
	s_set_vgpr_msb 0x45                     ;  msbs: dst=1 src0=1 src1=1 src2=0
	v_mul_i32_i24_e32 v214 /*v470*/, v91 /*v347*/, v154 /*v410*/
	s_set_vgpr_msb 20                       ;  msbs: dst=0 src0=0 src1=1 src2=1
	v_add3_u32 v1, v1, v153 /*v409*/, v155 /*v411*/
	s_set_vgpr_msb 0x44                     ;  msbs: dst=1 src0=0 src1=1 src2=0
	v_mul_i32_i24_e32 v153 /*v409*/, v16, v70 /*v326*/
	s_set_vgpr_msb 0x45                     ;  msbs: dst=1 src0=1 src1=1 src2=0
	v_mul_i32_i24_e32 v215 /*v471*/, v90 /*v346*/, v168 /*v424*/
	v_mul_i32_i24_e32 v216 /*v472*/, v169 /*v425*/, v92 /*v348*/
	s_set_vgpr_msb 0x41                     ;  msbs: dst=1 src0=1 src1=0 src2=0
	v_mul_i32_i24_e32 v217 /*v473*/, v170 /*v426*/, v183
	s_set_vgpr_msb 20                       ;  msbs: dst=0 src0=0 src1=1 src2=1
	v_add3_u32 v1, v1, v156 /*v412*/, v157 /*v413*/
	s_set_vgpr_msb 0x44                     ;  msbs: dst=1 src0=0 src1=1 src2=0
	v_mul_i32_i24_e32 v156 /*v412*/, v18, v71 /*v327*/
	v_mul_i32_i24_e32 v157 /*v413*/, v20, v72 /*v328*/
	;; [unrolled: 1-line block ×4, first 2 shown]
	s_set_vgpr_msb 20                       ;  msbs: dst=0 src0=0 src1=1 src2=1
	v_add3_u32 v1, v1, v158 /*v414*/, v159 /*v415*/
	s_set_vgpr_msb 0x44                     ;  msbs: dst=1 src0=0 src1=1 src2=0
	v_mul_i32_i24_e32 v158 /*v414*/, v21, v73 /*v329*/
	v_mul_i32_i24_e32 v159 /*v415*/, v22, v74 /*v330*/
	;; [unrolled: 1-line block ×3, first 2 shown]
	s_set_vgpr_msb 0x41                     ;  msbs: dst=1 src0=1 src1=0 src2=0
	v_mul_i32_i24_e32 v221 /*v477*/, v169 /*v425*/, v215
	s_set_vgpr_msb 20                       ;  msbs: dst=0 src0=0 src1=1 src2=1
	v_add3_u32 v1, v1, v161 /*v417*/, v162 /*v418*/
	s_set_vgpr_msb 0x44                     ;  msbs: dst=1 src0=0 src1=1 src2=0
	v_mul_i32_i24_e32 v161 /*v417*/, v24, v75 /*v331*/
	v_mul_i32_i24_e32 v162 /*v418*/, v26, v76 /*v332*/
	s_set_vgpr_msb 0x41                     ;  msbs: dst=1 src0=1 src1=0 src2=0
	v_mul_i32_i24_e32 v222 /*v478*/, v170 /*v426*/, v218
	s_set_vgpr_msb 0x44                     ;  msbs: dst=1 src0=0 src1=1 src2=0
	v_mul_i32_i24_e32 v223 /*v479*/, v248, v199 /*v455*/
	s_set_vgpr_msb 20                       ;  msbs: dst=0 src0=0 src1=1 src2=1
	v_add3_u32 v1, v1, v164 /*v420*/, v167 /*v423*/
	s_set_vgpr_msb 0x44                     ;  msbs: dst=1 src0=0 src1=1 src2=0
	v_mul_i32_i24_e32 v164 /*v420*/, v27, v77 /*v333*/
	s_set_vgpr_msb 0x45                     ;  msbs: dst=1 src0=1 src1=1 src2=0
	v_mul_i32_i24_e32 v160 /*v416*/, v171 /*v427*/, v132 /*v388*/
	s_set_vgpr_msb 0x41                     ;  msbs: dst=1 src0=1 src1=0 src2=0
	v_mul_i32_i24_e32 v155 /*v411*/, v171 /*v427*/, v185
	s_set_vgpr_msb 64                       ;  msbs: dst=1 src0=0 src1=0 src2=0
	v_bfe_i32 v200 /*v456*/, v3, 0, 8
	s_set_vgpr_msb 20                       ;  msbs: dst=0 src0=0 src1=1 src2=1
	v_add3_u32 v1, v1, v202 /*v458*/, v203 /*v459*/
	s_set_vgpr_msb 0x44                     ;  msbs: dst=1 src0=0 src1=1 src2=0
	v_mul_i32_i24_e32 v202 /*v458*/, v28, v78 /*v334*/
	v_mul_i32_i24_e32 v203 /*v459*/, v29, v79 /*v335*/
	v_bfe_i32 v201 /*v457*/, v3, 8, 8
	s_set_vgpr_msb 0x45                     ;  msbs: dst=1 src0=1 src1=1 src2=0
	v_mul_i32_i24_e32 v165 /*v421*/, v200 /*v456*/, v127 /*v383*/
	s_set_vgpr_msb 20                       ;  msbs: dst=0 src0=0 src1=1 src2=1
	v_add3_u32 v1, v1, v204 /*v460*/, v205 /*v461*/
	s_set_vgpr_msb 0x44                     ;  msbs: dst=1 src0=0 src1=1 src2=0
	v_mul_i32_i24_e32 v204 /*v460*/, v30, v80 /*v336*/
	v_mul_i32_i24_e32 v205 /*v461*/, v31, v81 /*v337*/
	s_set_vgpr_msb 0x45                     ;  msbs: dst=1 src0=1 src1=1 src2=0
	v_mul_i32_i24_e32 v166 /*v422*/, v201 /*v457*/, v129 /*v385*/
	s_set_vgpr_msb 20                       ;  msbs: dst=0 src0=0 src1=1 src2=1
	v_bfe_i32 v0, v3, 16, 8
	v_add3_u32 v1, v1, v206 /*v462*/, v207 /*v463*/
	s_set_vgpr_msb 0x41                     ;  msbs: dst=1 src0=1 src1=0 src2=0
	v_mul_i32_i24_e32 v206 /*v462*/, v83 /*v339*/, v38
	v_mul_i32_i24_e32 v207 /*v463*/, v82 /*v338*/, v40
	s_set_vgpr_msb 20                       ;  msbs: dst=0 src0=0 src1=1 src2=1
	v_add3_u32 v1, v1, v208 /*v464*/, v209 /*v465*/
	s_set_vgpr_msb 0x41                     ;  msbs: dst=1 src0=1 src1=0 src2=0
	v_mul_i32_i24_e32 v208 /*v464*/, v85 /*v341*/, v42
	v_mul_i32_i24_e32 v209 /*v465*/, v84 /*v340*/, v44
	s_set_vgpr_msb 20                       ;  msbs: dst=0 src0=0 src1=1 src2=1
	v_add3_u32 v1, v1, v210 /*v466*/, v211 /*v467*/
	s_set_vgpr_msb 0x41                     ;  msbs: dst=1 src0=1 src1=0 src2=0
	v_mul_i32_i24_e32 v210 /*v466*/, v87 /*v343*/, v46
	v_mul_i32_i24_e32 v211 /*v467*/, v86 /*v342*/, v84
	s_set_vgpr_msb 0x54                     ;  msbs: dst=1 src0=0 src1=1 src2=1
	v_add3_u32 v167 /*v423*/, v1, v212 /*v468*/, v213 /*v469*/
	s_set_vgpr_msb 4                        ;  msbs: dst=0 src0=0 src1=1 src2=0
	v_mul_i32_i24_e32 v1, v7, v65 /*v321*/
	s_set_vgpr_msb 0x41                     ;  msbs: dst=1 src0=1 src1=0 src2=0
	v_mul_i32_i24_e32 v212 /*v468*/, v89 /*v345*/, v126
	s_set_vgpr_msb 0x55                     ;  msbs: dst=1 src0=1 src1=1 src2=1
	v_mul_i32_i24_e32 v213 /*v469*/, v88 /*v344*/, v152 /*v408*/
	v_add3_u32 v165 /*v421*/, v167 /*v423*/, v165 /*v421*/, v166 /*v422*/
	s_set_vgpr_msb 4                        ;  msbs: dst=0 src0=0 src1=1 src2=0
	v_mad_i32_i24 v1, v8, v64 /*v320*/, v1
	s_set_vgpr_msb 0                        ;  msbs: dst=0 src0=0 src1=0 src2=0
	s_delay_alu instid0(VALU_DEP_1) | instskip(SKIP_4) | instid1(VALU_DEP_1)
	v_add3_u32 v1, v1, v2, v6
	s_set_vgpr_msb 4                        ;  msbs: dst=0 src0=0 src1=1 src2=0
	v_mul_i32_i24_e32 v2, v14, v68 /*v324*/
	v_mul_i32_i24_e32 v6, v15, v69 /*v325*/
	s_set_vgpr_msb 0                        ;  msbs: dst=0 src0=0 src1=0 src2=0
	v_add3_u32 v1, v1, v2, v6
	s_set_vgpr_msb 1                        ;  msbs: dst=0 src0=1 src1=0 src2=0
	v_mul_i32_i24_e32 v2, v174 /*v430*/, v175
	v_mul_i32_i24_e32 v6, v175 /*v431*/, v182
	s_set_vgpr_msb 20                       ;  msbs: dst=0 src0=0 src1=1 src2=1
	v_add3_u32 v1, v1, v153 /*v409*/, v156 /*v412*/
	s_set_vgpr_msb 0x41                     ;  msbs: dst=1 src0=1 src1=0 src2=0
	v_mul_i32_i24_e32 v153 /*v409*/, v178 /*v434*/, v179
	v_mul_i32_i24_e32 v156 /*v412*/, v179 /*v435*/, v190
	s_set_vgpr_msb 20                       ;  msbs: dst=0 src0=0 src1=1 src2=1
	v_add3_u32 v1, v1, v157 /*v413*/, v158 /*v414*/
	s_set_vgpr_msb 0x41                     ;  msbs: dst=1 src0=1 src1=0 src2=0
	v_mul_i32_i24_e32 v157 /*v413*/, v180 /*v436*/, v193
	s_set_vgpr_msb 20                       ;  msbs: dst=0 src0=0 src1=1 src2=1
	s_delay_alu instid0(VALU_DEP_2)
	v_add3_u32 v1, v1, v159 /*v415*/, v161 /*v417*/
	s_set_vgpr_msb 0x41                     ;  msbs: dst=1 src0=1 src1=0 src2=0
	v_mul_i32_i24_e32 v159 /*v415*/, v181 /*v437*/, v194
	v_mul_i32_i24_e32 v161 /*v417*/, v200 /*v456*/, v232
	s_set_vgpr_msb 20                       ;  msbs: dst=0 src0=0 src1=1 src2=1
	v_add3_u32 v1, v1, v162 /*v418*/, v164 /*v420*/
	s_set_vgpr_msb 0x41                     ;  msbs: dst=1 src0=1 src1=0 src2=0
	v_mul_i32_i24_e32 v164 /*v420*/, v182 /*v438*/, v188
	v_mul_i32_i24_e32 v162 /*v418*/, v201 /*v457*/, v234
	s_set_vgpr_msb 20                       ;  msbs: dst=0 src0=0 src1=1 src2=1
	;; [unrolled: 5-line block ×5, first 2 shown]
	v_add3_u32 v1, v1, v208 /*v464*/, v209 /*v465*/
	s_set_vgpr_msb 0x41                     ;  msbs: dst=1 src0=1 src1=0 src2=0
	v_mul_i32_i24_e32 v208 /*v464*/, v189 /*v445*/, v206
	s_set_vgpr_msb 0x44                     ;  msbs: dst=1 src0=0 src1=1 src2=0
	v_mul_i32_i24_e32 v209 /*v465*/, v211, v190 /*v446*/
	s_set_vgpr_msb 20                       ;  msbs: dst=0 src0=0 src1=1 src2=1
	v_add3_u32 v1, v1, v210 /*v466*/, v211 /*v467*/
	s_set_vgpr_msb 0x44                     ;  msbs: dst=1 src0=0 src1=1 src2=0
	v_mul_i32_i24_e32 v210 /*v466*/, v207, v191 /*v447*/
	v_mul_i32_i24_e32 v211 /*v467*/, v213, v192 /*v448*/
	s_set_vgpr_msb 20                       ;  msbs: dst=0 src0=0 src1=1 src2=1
	v_add3_u32 v1, v1, v212 /*v468*/, v213 /*v469*/
	s_set_vgpr_msb 0x44                     ;  msbs: dst=1 src0=0 src1=1 src2=0
	v_mul_i32_i24_e32 v212 /*v468*/, v214, v193 /*v449*/
	;; [unrolled: 5-line block ×3, first 2 shown]
	v_mul_i32_i24_e32 v215 /*v471*/, v224, v196 /*v452*/
	s_delay_alu instid0(VALU_DEP_3)
	v_add3_u32 v158 /*v414*/, v1, v216 /*v472*/, v217 /*v473*/
	s_set_vgpr_msb 1                        ;  msbs: dst=0 src0=1 src1=0 src2=0
	v_mul_i32_i24_e32 v1, v172 /*v428*/, v177
	s_set_vgpr_msb 0x44                     ;  msbs: dst=1 src0=0 src1=1 src2=0
	v_mul_i32_i24_e32 v216 /*v472*/, v225, v197 /*v453*/
	v_mul_i32_i24_e32 v217 /*v473*/, v229, v198 /*v454*/
	s_set_vgpr_msb 1                        ;  msbs: dst=0 src0=1 src1=0 src2=0
	v_mad_i32_i24 v1, v173 /*v429*/, v176, v1
	s_set_vgpr_msb 0                        ;  msbs: dst=0 src0=0 src1=0 src2=0
	s_delay_alu instid0(VALU_DEP_1) | instskip(SKIP_4) | instid1(VALU_DEP_1)
	v_add3_u32 v1, v1, v2, v6
	s_set_vgpr_msb 1                        ;  msbs: dst=0 src0=1 src1=0 src2=0
	v_mul_i32_i24_e32 v2, v176 /*v432*/, v186
	v_mul_i32_i24_e32 v6, v177 /*v433*/, v187
	s_set_vgpr_msb 0                        ;  msbs: dst=0 src0=0 src1=0 src2=0
	v_add3_u32 v1, v1, v2, v6
	v_mul_i32_i24_e32 v2, v12, v161
	v_mul_i32_i24_e32 v6, v13, v162
	s_set_vgpr_msb 20                       ;  msbs: dst=0 src0=0 src1=1 src2=1
	s_delay_alu instid0(VALU_DEP_3)
	v_add3_u32 v1, v1, v153 /*v409*/, v156 /*v412*/
	s_set_vgpr_msb 64                       ;  msbs: dst=1 src0=0 src1=0 src2=0
	v_mul_i32_i24_e32 v153 /*v409*/, v15, v164
	v_mul_i32_i24_e32 v156 /*v412*/, v16, v165
	s_set_vgpr_msb 20                       ;  msbs: dst=0 src0=0 src1=1 src2=1
	v_add3_u32 v1, v1, v157 /*v413*/, v159 /*v415*/
	s_set_vgpr_msb 64                       ;  msbs: dst=1 src0=0 src1=0 src2=0
	v_mul_i32_i24_e32 v157 /*v413*/, v18, v166
	v_mul_i32_i24_e32 v159 /*v415*/, v20, v167
	s_set_vgpr_msb 20                       ;  msbs: dst=0 src0=0 src1=1 src2=1
	v_add3_u32 v1, v1, v164 /*v420*/, v202 /*v458*/
	s_set_vgpr_msb 64                       ;  msbs: dst=1 src0=0 src1=0 src2=0
	v_mul_i32_i24_e32 v202 /*v458*/, v21, v168
	s_set_vgpr_msb 20                       ;  msbs: dst=0 src0=0 src1=1 src2=1
	s_delay_alu instid0(VALU_DEP_2)
	v_add3_u32 v1, v1, v203 /*v459*/, v204 /*v460*/
	s_set_vgpr_msb 64                       ;  msbs: dst=1 src0=0 src1=0 src2=0
	v_mul_i32_i24_e32 v203 /*v459*/, v22, v169
	v_mul_i32_i24_e32 v204 /*v460*/, v24, v170
	s_set_vgpr_msb 20                       ;  msbs: dst=0 src0=0 src1=1 src2=1
	v_add3_u32 v1, v1, v205 /*v461*/, v206 /*v462*/
	s_set_vgpr_msb 64                       ;  msbs: dst=1 src0=0 src1=0 src2=0
	v_mul_i32_i24_e32 v205 /*v461*/, v26, v171
	v_mul_i32_i24_e32 v206 /*v462*/, v27, v172
	s_set_vgpr_msb 20                       ;  msbs: dst=0 src0=0 src1=1 src2=1
	;; [unrolled: 5-line block ×6, first 2 shown]
	v_add3_u32 v1, v1, v215 /*v471*/, v216 /*v472*/
	s_set_vgpr_msb 64                       ;  msbs: dst=1 src0=0 src1=0 src2=0
	v_mul_i32_i24_e32 v215 /*v471*/, v196, v46
	v_mul_i32_i24_e32 v216 /*v472*/, v192, v84
	s_set_vgpr_msb 0x54                     ;  msbs: dst=1 src0=0 src1=1 src2=1
	v_add3_u32 v164 /*v420*/, v1, v217 /*v473*/, v218 /*v474*/
	s_set_vgpr_msb 0                        ;  msbs: dst=0 src0=0 src1=0 src2=0
	v_mul_i32_i24_e32 v1, v7, v160
	s_set_vgpr_msb 64                       ;  msbs: dst=1 src0=0 src1=0 src2=0
	v_mul_i32_i24_e32 v217 /*v473*/, v202, v126
	s_set_vgpr_msb 0x44                     ;  msbs: dst=1 src0=0 src1=1 src2=0
	v_mul_i32_i24_e32 v218 /*v474*/, v199, v152 /*v408*/
	s_set_vgpr_msb 0x55                     ;  msbs: dst=1 src0=1 src1=1 src2=1
	v_add3_u32 v161 /*v417*/, v164 /*v420*/, v161 /*v417*/, v162 /*v418*/
	s_set_vgpr_msb 0                        ;  msbs: dst=0 src0=0 src1=0 src2=0
	v_mad_i32_i24 v1, v8, v159, v1
	s_delay_alu instid0(VALU_DEP_1) | instskip(SKIP_4) | instid1(VALU_DEP_2)
	v_add3_u32 v1, v1, v2, v6
	v_mul_i32_i24_e32 v2, v14, v163
	s_set_vgpr_msb 1                        ;  msbs: dst=0 src0=1 src1=0 src2=0
	v_mul_i32_i24_e32 v6, v171 /*v427*/, v219
	s_set_vgpr_msb 16                       ;  msbs: dst=0 src0=0 src1=0 src2=1
	v_add3_u32 v1, v1, v2, v153 /*v409*/
	s_set_vgpr_msb 1                        ;  msbs: dst=0 src0=1 src1=0 src2=0
	v_mul_i32_i24_e32 v2, v174 /*v430*/, v205
	s_set_vgpr_msb 20                       ;  msbs: dst=0 src0=0 src1=1 src2=1
	s_delay_alu instid0(VALU_DEP_2)
	v_add3_u32 v1, v1, v156 /*v412*/, v157 /*v413*/
	s_set_vgpr_msb 0x41                     ;  msbs: dst=1 src0=1 src1=0 src2=0
	v_mul_i32_i24_e32 v156 /*v412*/, v175 /*v431*/, v216
	v_mul_i32_i24_e32 v157 /*v413*/, v201 /*v457*/, v251
	s_set_vgpr_msb 20                       ;  msbs: dst=0 src0=0 src1=1 src2=1
	v_add3_u32 v1, v1, v159 /*v415*/, v202 /*v458*/
	s_set_vgpr_msb 0x41                     ;  msbs: dst=1 src0=1 src1=0 src2=0
	v_mul_i32_i24_e32 v159 /*v415*/, v177 /*v433*/, v222
	v_mul_i32_i24_e32 v202 /*v458*/, v178 /*v434*/, v212
	s_set_vgpr_msb 20                       ;  msbs: dst=0 src0=0 src1=1 src2=1
	;; [unrolled: 5-line block ×7, first 2 shown]
	v_add3_u32 v1, v1, v213 /*v469*/, v214 /*v470*/
	s_set_vgpr_msb 0x41                     ;  msbs: dst=1 src0=1 src1=0 src2=0
	v_mul_i32_i24_e32 v213 /*v469*/, v189 /*v445*/, v239
	s_set_vgpr_msb 0x44                     ;  msbs: dst=1 src0=0 src1=1 src2=0
	v_mul_i32_i24_e32 v214 /*v470*/, v241, v190 /*v446*/
	s_set_vgpr_msb 20                       ;  msbs: dst=0 src0=0 src1=1 src2=1
	v_add3_u32 v1, v1, v215 /*v471*/, v216 /*v472*/
	s_set_vgpr_msb 0x44                     ;  msbs: dst=1 src0=0 src1=1 src2=0
	v_mul_i32_i24_e32 v215 /*v471*/, v240, v191 /*v447*/
	v_mul_i32_i24_e32 v216 /*v472*/, v242, v192 /*v448*/
	s_set_vgpr_msb 20                       ;  msbs: dst=0 src0=0 src1=1 src2=1
	v_add3_u32 v1, v1, v217 /*v473*/, v218 /*v474*/
	s_set_vgpr_msb 0x44                     ;  msbs: dst=1 src0=0 src1=1 src2=0
	v_mul_i32_i24_e32 v217 /*v473*/, v243, v193 /*v449*/
	;; [unrolled: 5-line block ×3, first 2 shown]
	v_mul_i32_i24_e32 v220 /*v476*/, v246, v196 /*v452*/
	s_delay_alu instid0(VALU_DEP_3)
	v_add3_u32 v153 /*v409*/, v1, v221 /*v477*/, v222 /*v478*/
	s_set_vgpr_msb 1                        ;  msbs: dst=0 src0=1 src1=0 src2=0
	v_mul_i32_i24_e32 v1, v172 /*v428*/, v210
	s_set_vgpr_msb 0x44                     ;  msbs: dst=1 src0=0 src1=1 src2=0
	v_mul_i32_i24_e32 v221 /*v477*/, v247, v197 /*v453*/
	v_mul_i32_i24_e32 v222 /*v478*/, v249, v198 /*v454*/
	s_set_vgpr_msb 1                        ;  msbs: dst=0 src0=1 src1=0 src2=0
	v_mad_i32_i24 v1, v173 /*v429*/, v209, v1
	s_set_vgpr_msb 16                       ;  msbs: dst=0 src0=0 src1=0 src2=1
	s_delay_alu instid0(VALU_DEP_1)
	v_add3_u32 v1, v1, v2, v156 /*v412*/
	s_set_vgpr_msb 1                        ;  msbs: dst=0 src0=1 src1=0 src2=0
	v_mul_i32_i24_e32 v2, v176 /*v432*/, v220
	s_set_vgpr_msb 0x41                     ;  msbs: dst=1 src0=1 src1=0 src2=0
	v_mul_i32_i24_e32 v156 /*v412*/, v200 /*v456*/, v250
	s_set_vgpr_msb 16                       ;  msbs: dst=0 src0=0 src1=0 src2=1
	s_delay_alu instid0(VALU_DEP_2)
	v_add3_u32 v1, v1, v2, v159 /*v415*/
	s_set_vgpr_msb 20                       ;  msbs: dst=0 src0=0 src1=1 src2=1
	v_mul_i32_i24_e32 v2, v12, v0 /*v256*/
	v_mul_i32_i24_e32 v12, v16, v4 /*v260*/
	v_mul_i32_i24_e32 v16, v22, v8 /*v264*/
	v_mul_i32_i24_e32 v22, v28, v12 /*v268*/
	v_add3_u32 v1, v1, v202 /*v458*/, v203 /*v459*/
	s_set_vgpr_msb 1                        ;  msbs: dst=0 src0=1 src1=0 src2=0
	v_mul_i32_i24_e32 v28, v17 /*v273*/, v38
	v_mul_i32_i24_e32 v38, v21 /*v277*/, v46
	s_set_vgpr_msb 5                        ;  msbs: dst=0 src0=1 src1=1 src2=0
	v_mul_i32_i24_e32 v46, v26 /*v282*/, v154 /*v410*/
	s_set_vgpr_msb 0x45                     ;  msbs: dst=1 src0=1 src1=1 src2=0
	v_mul_i32_i24_e32 v154 /*v410*/, v55 /*v311*/, v199 /*v455*/
	s_set_vgpr_msb 20                       ;  msbs: dst=0 src0=0 src1=1 src2=1
	v_add3_u32 v1, v1, v204 /*v460*/, v205 /*v461*/
	s_delay_alu instid0(VALU_DEP_1) | instskip(NEXT) | instid1(VALU_DEP_1)
	v_add3_u32 v1, v1, v206 /*v462*/, v207 /*v463*/
	v_add3_u32 v1, v1, v208 /*v464*/, v209 /*v465*/
	s_delay_alu instid0(VALU_DEP_1) | instskip(NEXT) | instid1(VALU_DEP_1)
	v_add3_u32 v1, v1, v210 /*v466*/, v211 /*v467*/
	;; [unrolled: 3-line block ×4, first 2 shown]
	v_add3_u32 v1, v1, v220 /*v476*/, v221 /*v477*/
	s_set_vgpr_msb 0x54                     ;  msbs: dst=1 src0=0 src1=1 src2=1
	s_delay_alu instid0(VALU_DEP_1)
	v_add3_u32 v159 /*v415*/, v1, v222 /*v478*/, v223 /*v479*/
	s_set_vgpr_msb 0                        ;  msbs: dst=0 src0=0 src1=0 src2=0
	v_mul_i32_i24_e32 v1, v7, v255
	s_set_vgpr_msb 4                        ;  msbs: dst=0 src0=0 src1=1 src2=0
	v_mul_i32_i24_e32 v7, v13, v1 /*v257*/
	v_mul_i32_i24_e32 v13, v18, v5 /*v261*/
	;; [unrolled: 1-line block ×4, first 2 shown]
	s_set_vgpr_msb 0                        ;  msbs: dst=0 src0=0 src1=0 src2=0
	v_mad_i32_i24 v1, v8, v254, v1
	s_set_vgpr_msb 4                        ;  msbs: dst=0 src0=0 src1=1 src2=0
	v_mul_i32_i24_e32 v8, v15, v3 /*v259*/
	v_mul_i32_i24_e32 v15, v21, v7 /*v263*/
	;; [unrolled: 1-line block ×4, first 2 shown]
	s_set_vgpr_msb 0                        ;  msbs: dst=0 src0=0 src1=0 src2=0
	v_add3_u32 v2, v1, v2, v7
	s_set_vgpr_msb 4                        ;  msbs: dst=0 src0=0 src1=1 src2=0
	v_mul_i32_i24_e32 v7, v14, v2 /*v258*/
	v_mul_i32_i24_e32 v14, v20, v6 /*v262*/
	;; [unrolled: 1-line block ×4, first 2 shown]
	s_set_vgpr_msb 1                        ;  msbs: dst=0 src0=1 src1=0 src2=0
	v_mul_i32_i24_e32 v29, v16 /*v272*/, v40
	s_set_vgpr_msb 0                        ;  msbs: dst=0 src0=0 src1=0 src2=0
	v_add3_u32 v2, v2, v7, v8
	s_set_vgpr_msb 5                        ;  msbs: dst=0 src0=1 src1=1 src2=0
	v_mul_i32_i24_e32 v7, v172 /*v428*/, v28 /*v284*/
	v_mul_i32_i24_e32 v8, v174 /*v430*/, v25 /*v281*/
	s_set_vgpr_msb 1                        ;  msbs: dst=0 src0=1 src1=0 src2=0
	v_mul_i32_i24_e32 v30, v19 /*v275*/, v42
	v_mul_i32_i24_e32 v31, v18 /*v274*/, v44
	s_set_vgpr_msb 0                        ;  msbs: dst=0 src0=0 src1=0 src2=0
	v_add3_u32 v2, v2, v12, v13
	s_set_vgpr_msb 5                        ;  msbs: dst=0 src0=1 src1=1 src2=0
	v_mul_i32_i24_e32 v12, v175 /*v431*/, v31 /*v287*/
	v_mad_i32_i24 v7, v173 /*v429*/, v27 /*v283*/, v7
	v_mul_i32_i24_e32 v13, v177 /*v433*/, v35 /*v291*/
	s_set_vgpr_msb 1                        ;  msbs: dst=0 src0=1 src1=0 src2=0
	v_mul_i32_i24_e32 v40, v20 /*v276*/, v84
	s_set_vgpr_msb 0                        ;  msbs: dst=0 src0=0 src1=0 src2=0
	v_add3_u32 v2, v2, v14, v15
	s_set_vgpr_msb 5                        ;  msbs: dst=0 src0=1 src1=1 src2=0
	v_mul_i32_i24_e32 v14, v178 /*v434*/, v29 /*v285*/
	s_set_vgpr_msb 0                        ;  msbs: dst=0 src0=0 src1=0 src2=0
	v_add3_u32 v8, v7, v8, v12
	s_set_vgpr_msb 5                        ;  msbs: dst=0 src0=1 src1=1 src2=0
	v_mul_i32_i24_e32 v12, v176 /*v432*/, v34 /*v290*/
	v_mul_i32_i24_e32 v15, v179 /*v435*/, v37 /*v293*/
	s_set_vgpr_msb 0                        ;  msbs: dst=0 src0=0 src1=0 src2=0
	v_add3_u32 v2, v2, v16, v18
	s_set_vgpr_msb 5                        ;  msbs: dst=0 src0=1 src1=1 src2=0
	v_mul_i32_i24_e32 v16, v180 /*v436*/, v38 /*v294*/
	v_mul_i32_i24_e32 v18, v181 /*v437*/, v39 /*v295*/
	s_set_vgpr_msb 0                        ;  msbs: dst=0 src0=0 src1=0 src2=0
	v_add3_u32 v8, v8, v12, v13
	s_set_vgpr_msb 1                        ;  msbs: dst=0 src0=1 src1=0 src2=0
	v_mul_i32_i24_e32 v42, v23 /*v279*/, v126
	s_set_vgpr_msb 0                        ;  msbs: dst=0 src0=0 src1=0 src2=0
	v_add3_u32 v2, v2, v20, v21
	s_set_vgpr_msb 5                        ;  msbs: dst=0 src0=1 src1=1 src2=0
	v_mul_i32_i24_e32 v20, v182 /*v438*/, v36 /*v292*/
	v_mul_i32_i24_e32 v21, v183 /*v439*/, v41 /*v297*/
	s_set_vgpr_msb 0                        ;  msbs: dst=0 src0=0 src1=0 src2=0
	v_add3_u32 v8, v8, v14, v15
	s_set_vgpr_msb 5                        ;  msbs: dst=0 src0=1 src1=1 src2=0
	v_mul_i32_i24_e32 v44, v22 /*v278*/, v152 /*v408*/
	s_set_vgpr_msb 0                        ;  msbs: dst=0 src0=0 src1=0 src2=0
	v_add3_u32 v2, v2, v22, v24
	s_set_vgpr_msb 5                        ;  msbs: dst=0 src0=1 src1=1 src2=0
	v_mul_i32_i24_e32 v22, v184 /*v440*/, v42 /*v298*/
	v_mul_i32_i24_e32 v24, v185 /*v441*/, v43 /*v299*/
	s_set_vgpr_msb 0                        ;  msbs: dst=0 src0=0 src1=0 src2=0
	v_add3_u32 v8, v8, v16, v18
	s_set_vgpr_msb 5                        ;  msbs: dst=0 src0=1 src1=1 src2=0
	v_mul_i32_i24_e32 v84, v24 /*v280*/, v168 /*v424*/
	;; [unrolled: 9-line block ×3, first 2 shown]
	s_set_vgpr_msb 0                        ;  msbs: dst=0 src0=0 src1=0 src2=0
	v_add3_u32 v2, v2, v28, v29
	s_set_vgpr_msb 5                        ;  msbs: dst=0 src0=1 src1=1 src2=0
	v_mul_i32_i24_e32 v28, v188 /*v444*/, v45 /*v301*/
	v_mul_i32_i24_e32 v29, v189 /*v445*/, v46 /*v302*/
	s_set_vgpr_msb 0                        ;  msbs: dst=0 src0=0 src1=0 src2=0
	v_add3_u32 v8, v8, v22, v24
	s_set_vgpr_msb 0x45                     ;  msbs: dst=1 src0=1 src1=1 src2=0
	v_mul_i32_i24_e32 v152 /*v408*/, v170 /*v426*/, v32 /*v288*/
	s_set_vgpr_msb 0                        ;  msbs: dst=0 src0=0 src1=0 src2=0
	v_add3_u32 v2, v2, v30, v31
	s_set_vgpr_msb 5                        ;  msbs: dst=0 src0=1 src1=1 src2=0
	v_mul_i32_i24_e32 v30, v48 /*v304*/, v190 /*v446*/
	v_mul_i32_i24_e32 v31, v47 /*v303*/, v191 /*v447*/
	s_set_vgpr_msb 0                        ;  msbs: dst=0 src0=0 src1=0 src2=0
	v_add3_u32 v8, v8, v26, v27
	s_set_vgpr_msb 5                        ;  msbs: dst=0 src0=1 src1=1 src2=0
	v_mul_i32_i24_e32 v1, v171 /*v427*/, v33 /*v289*/
	s_set_vgpr_msb 0                        ;  msbs: dst=0 src0=0 src1=0 src2=0
	v_add3_u32 v2, v2, v38, v40
	s_set_vgpr_msb 5                        ;  msbs: dst=0 src0=1 src1=1 src2=0
	v_mul_i32_i24_e32 v38, v49 /*v305*/, v192 /*v448*/
	v_mul_i32_i24_e32 v40, v50 /*v306*/, v193 /*v449*/
	s_set_vgpr_msb 0                        ;  msbs: dst=0 src0=0 src1=0 src2=0
	v_add3_u32 v8, v8, v28, v29
	s_set_vgpr_msb 5                        ;  msbs: dst=0 src0=1 src1=1 src2=0
	v_mul_i32_i24_e32 v7, v200 /*v456*/, v57 /*v313*/
	s_set_vgpr_msb 0                        ;  msbs: dst=0 src0=0 src1=0 src2=0
	v_add3_u32 v2, v2, v42, v44
	s_set_vgpr_msb 5                        ;  msbs: dst=0 src0=1 src1=1 src2=0
	v_mul_i32_i24_e32 v42, v52 /*v308*/, v194 /*v450*/
	v_mul_i32_i24_e32 v44, v51 /*v307*/, v195 /*v451*/
	s_set_vgpr_msb 0                        ;  msbs: dst=0 src0=0 src1=0 src2=0
	v_add3_u32 v8, v8, v30, v31
	s_set_vgpr_msb 0x55                     ;  msbs: dst=1 src0=1 src1=1 src2=1
	v_add3_u32 v156 /*v412*/, v159 /*v415*/, v156 /*v412*/, v157 /*v413*/
	s_set_vgpr_msb 0                        ;  msbs: dst=0 src0=0 src1=0 src2=0
	v_add3_u32 v2, v2, v46, v84
	s_set_vgpr_msb 5                        ;  msbs: dst=0 src0=1 src1=1 src2=0
	v_mul_i32_i24_e32 v46, v53 /*v309*/, v196 /*v452*/
	v_mul_i32_i24_e32 v84, v54 /*v310*/, v197 /*v453*/
	s_set_vgpr_msb 0                        ;  msbs: dst=0 src0=0 src1=0 src2=0
	v_add3_u32 v8, v8, v38, v40
	s_set_vgpr_msb 16                       ;  msbs: dst=0 src0=0 src1=0 src2=1
	v_add3_u32 v2, v2, v126, v152 /*v408*/
	s_set_vgpr_msb 5                        ;  msbs: dst=0 src0=1 src1=1 src2=0
	v_mul_i32_i24_e32 v126, v56 /*v312*/, v198 /*v454*/
	s_set_vgpr_msb 0x45                     ;  msbs: dst=1 src0=1 src1=1 src2=0
	v_mul_i32_i24_e32 v152 /*v408*/, v201 /*v457*/, v58 /*v314*/
	s_set_vgpr_msb 0                        ;  msbs: dst=0 src0=0 src1=0 src2=0
	v_add3_u32 v8, v8, v42, v44
	s_delay_alu instid0(VALU_DEP_1) | instskip(SKIP_1) | instid1(VALU_DEP_1)
	v_add3_u32 v8, v8, v46, v84
	s_set_vgpr_msb 0x50                     ;  msbs: dst=1 src0=0 src1=0 src2=1
	v_add3_u32 v154 /*v410*/, v8, v126, v154 /*v410*/
	s_set_vgpr_msb 17                       ;  msbs: dst=0 src0=1 src1=0 src2=1
	v_or_b32_e32 v8, s12, v133
	s_delay_alu instid0(VALU_DEP_2) | instskip(NEXT) | instid1(VALU_DEP_2)
	v_add3_u32 v7, v154 /*v410*/, v7, v152 /*v408*/
	v_dual_lshlrev_b32 v12, 2, v8 :: v_dual_lshrrev_b32 v8, 1, v8
	s_set_vgpr_msb 64                       ;  msbs: dst=1 src0=0 src1=0 src2=0
	ds_load_b128 v[168:171] /*v[424:427]*/, v12 offset:16896
	ds_load_b128 v[172:175] /*v[428:431]*/, v12 offset:16912
	;; [unrolled: 1-line block ×4, first 2 shown]
	s_wait_dscnt 0x3
	s_set_vgpr_msb 1                        ;  msbs: dst=0 src0=1 src1=0 src2=0
	v_bfe_i32 v12, v168 /*v424*/, 0, 8
	v_bfe_i32 v13, v168 /*v424*/, 8, 8
	;; [unrolled: 1-line block ×3, first 2 shown]
	s_set_vgpr_msb 4                        ;  msbs: dst=0 src0=0 src1=1 src2=0
	v_dual_ashrrev_i32 v15, 24, v168 /*v424*/ :: v_dual_ashrrev_i32 v21, 24, v169 /*v425*/
	s_set_vgpr_msb 0x44                     ;  msbs: dst=1 src0=0 src1=1 src2=0
	v_mul_i32_i24_e32 v168 /*v424*/, v12, v94 /*v350*/
	s_set_vgpr_msb 1                        ;  msbs: dst=0 src0=1 src1=0 src2=0
	v_bfe_i32 v16, v169 /*v425*/, 0, 8
	v_bfe_i32 v18, v169 /*v425*/, 8, 8
	;; [unrolled: 1-line block ×6, first 2 shown]
	s_set_vgpr_msb 4                        ;  msbs: dst=0 src0=0 src1=1 src2=0
	v_dual_ashrrev_i32 v27, 24, v170 /*v426*/ :: v_dual_ashrrev_i32 v31, 24, v171 /*v427*/
	s_set_vgpr_msb 0x54                     ;  msbs: dst=1 src0=0 src1=1 src2=1
	v_mul_i32_i24_e32 v169 /*v425*/, v14, v95 /*v351*/
	v_mul_i32_i24_e32 v170 /*v426*/, v15, v96 /*v352*/
	v_mad_i32_i24 v168 /*v424*/, v13, v93 /*v349*/, v168 /*v424*/
	s_set_vgpr_msb 1                        ;  msbs: dst=0 src0=1 src1=0 src2=0
	v_bfe_i32 v28, v171 /*v427*/, 0, 8
	v_bfe_i32 v29, v171 /*v427*/, 8, 8
	;; [unrolled: 1-line block ×3, first 2 shown]
	s_wait_dscnt 0x2
	v_bfe_i32 v38, v172 /*v428*/, 0, 8
	s_set_vgpr_msb 0x55                     ;  msbs: dst=1 src0=1 src1=1 src2=1
	v_add3_u32 v168 /*v424*/, v168 /*v424*/, v169 /*v425*/, v170 /*v426*/
	s_set_vgpr_msb 0x44                     ;  msbs: dst=1 src0=0 src1=1 src2=0
	v_mul_i32_i24_e32 v169 /*v425*/, v16, v97 /*v353*/
	v_mul_i32_i24_e32 v170 /*v426*/, v18, v98 /*v354*/
	s_set_vgpr_msb 1                        ;  msbs: dst=0 src0=1 src1=0 src2=0
	v_bfe_i32 v40, v172 /*v428*/, 8, 8
	v_bfe_i32 v42, v172 /*v428*/, 16, 8
	s_set_vgpr_msb 4                        ;  msbs: dst=0 src0=0 src1=1 src2=0
	v_ashrrev_i32_e32 v44, 24, v172 /*v428*/
	s_set_vgpr_msb 0x44                     ;  msbs: dst=1 src0=0 src1=1 src2=0
	v_mul_i32_i24_e32 v171 /*v427*/, v20, v99 /*v355*/
	v_mul_i32_i24_e32 v172 /*v428*/, v21, v100 /*v356*/
	s_set_vgpr_msb 0x55                     ;  msbs: dst=1 src0=1 src1=1 src2=1
	v_add3_u32 v168 /*v424*/, v168 /*v424*/, v169 /*v425*/, v170 /*v426*/
	s_set_vgpr_msb 1                        ;  msbs: dst=0 src0=1 src1=0 src2=0
	v_bfe_i32 v46, v173 /*v429*/, 0, 8
	v_bfe_i32 v84, v173 /*v429*/, 8, 8
	;; [unrolled: 1-line block ×3, first 2 shown]
	s_set_vgpr_msb 0x44                     ;  msbs: dst=1 src0=0 src1=1 src2=0
	v_dual_ashrrev_i32 v184 /*v440*/, 24, v173 /*v429*/ :: v_dual_ashrrev_i32 v188 /*v444*/, 24, v174 /*v430*/
	s_set_vgpr_msb 0x41                     ;  msbs: dst=1 src0=1 src1=0 src2=0
	v_bfe_i32 v185 /*v441*/, v174 /*v430*/, 0, 8
	v_bfe_i32 v186 /*v442*/, v174 /*v430*/, 8, 8
	;; [unrolled: 1-line block ×3, first 2 shown]
	s_set_vgpr_msb 0x44                     ;  msbs: dst=1 src0=0 src1=1 src2=0
	v_mul_i32_i24_e32 v173 /*v429*/, v22, v101 /*v357*/
	v_mul_i32_i24_e32 v174 /*v430*/, v24, v102 /*v358*/
	s_set_vgpr_msb 0x55                     ;  msbs: dst=1 src0=1 src1=1 src2=1
	v_add3_u32 v168 /*v424*/, v168 /*v424*/, v171 /*v427*/, v172 /*v428*/
	v_bfe_i32 v189 /*v445*/, v175 /*v431*/, 0, 8
	v_bfe_i32 v190 /*v446*/, v175 /*v431*/, 8, 8
	;; [unrolled: 1-line block ×3, first 2 shown]
	s_wait_dscnt 0x1
	v_dual_ashrrev_i32 v192 /*v448*/, 24, v175 /*v431*/ :: v_dual_ashrrev_i32 v196 /*v452*/, 24, v176 /*v432*/
	v_bfe_i32 v193 /*v449*/, v176 /*v432*/, 0, 8
	v_bfe_i32 v194 /*v450*/, v176 /*v432*/, 8, 8
	;; [unrolled: 1-line block ×3, first 2 shown]
	s_set_vgpr_msb 0x44                     ;  msbs: dst=1 src0=0 src1=1 src2=0
	v_mul_i32_i24_e32 v175 /*v431*/, v26, v103 /*v359*/
	v_mul_i32_i24_e32 v176 /*v432*/, v27, v104 /*v360*/
	s_set_vgpr_msb 0x55                     ;  msbs: dst=1 src0=1 src1=1 src2=1
	v_add3_u32 v168 /*v424*/, v168 /*v424*/, v173 /*v429*/, v174 /*v430*/
	v_bfe_i32 v197 /*v453*/, v177 /*v433*/, 0, 8
	v_bfe_i32 v198 /*v454*/, v177 /*v433*/, 8, 8
	;; [unrolled: 1-line block ×3, first 2 shown]
	v_dual_ashrrev_i32 v200 /*v456*/, 24, v177 /*v433*/ :: v_dual_ashrrev_i32 v204 /*v460*/, 24, v178 /*v434*/
	v_bfe_i32 v201 /*v457*/, v178 /*v434*/, 0, 8
	v_bfe_i32 v202 /*v458*/, v178 /*v434*/, 8, 8
	v_bfe_i32 v203 /*v459*/, v178 /*v434*/, 16, 8
	s_set_vgpr_msb 0x44                     ;  msbs: dst=1 src0=0 src1=1 src2=0
	v_mul_i32_i24_e32 v177 /*v433*/, v28, v105 /*v361*/
	v_mul_i32_i24_e32 v178 /*v434*/, v29, v106 /*v362*/
	s_set_vgpr_msb 0x55                     ;  msbs: dst=1 src0=1 src1=1 src2=1
	v_add3_u32 v168 /*v424*/, v168 /*v424*/, v175 /*v431*/, v176 /*v432*/
	v_bfe_i32 v205 /*v461*/, v179 /*v435*/, 0, 8
	v_bfe_i32 v206 /*v462*/, v179 /*v435*/, 8, 8
	;; [unrolled: 1-line block ×3, first 2 shown]
	v_ashrrev_i32_e32 v208 /*v464*/, 24, v179 /*v435*/
	s_set_vgpr_msb 0x44                     ;  msbs: dst=1 src0=0 src1=1 src2=0
	v_mul_i32_i24_e32 v179 /*v435*/, v30, v107 /*v363*/
	v_mul_i32_i24_e32 v221 /*v477*/, v31, v108 /*v364*/
	s_set_vgpr_msb 0x55                     ;  msbs: dst=1 src0=1 src1=1 src2=1
	v_add3_u32 v168 /*v424*/, v168 /*v424*/, v177 /*v433*/, v178 /*v434*/
	s_set_vgpr_msb 0x44                     ;  msbs: dst=1 src0=0 src1=1 src2=0
	v_mul_i32_i24_e32 v222 /*v478*/, v38, v109 /*v365*/
	v_mul_i32_i24_e32 v223 /*v479*/, v40, v110 /*v366*/
	s_set_vgpr_msb 0x41                     ;  msbs: dst=1 src0=1 src1=0 src2=0
	v_mul_i32_i24_e32 v224 /*v480*/, v112 /*v368*/, v42
	v_mul_i32_i24_e32 v225 /*v481*/, v111 /*v367*/, v44
	s_set_vgpr_msb 0x55                     ;  msbs: dst=1 src0=1 src1=1 src2=1
	v_add3_u32 v168 /*v424*/, v168 /*v424*/, v179 /*v435*/, v221 /*v477*/
	s_set_vgpr_msb 0x41                     ;  msbs: dst=1 src0=1 src1=0 src2=0
	v_mul_i32_i24_e32 v226 /*v482*/, v114 /*v370*/, v46
	v_mul_i32_i24_e32 v227 /*v483*/, v113 /*v369*/, v84
	;; [unrolled: 1-line block ×3, first 2 shown]
	s_set_vgpr_msb 0x55                     ;  msbs: dst=1 src0=1 src1=1 src2=1
	v_mul_i32_i24_e32 v229 /*v485*/, v115 /*v371*/, v184 /*v440*/
	v_add3_u32 v168 /*v424*/, v168 /*v424*/, v222 /*v478*/, v223 /*v479*/
	v_mul_i32_i24_e32 v230 /*v486*/, v124 /*v380*/, v185 /*v441*/
	v_mul_i32_i24_e32 v231 /*v487*/, v117 /*v373*/, v186 /*v442*/
	v_mul_i32_i24_e32 v232 /*v488*/, v128 /*v384*/, v187 /*v443*/
	v_mul_i32_i24_e32 v233 /*v489*/, v125 /*v381*/, v188 /*v444*/
	v_add3_u32 v168 /*v424*/, v168 /*v424*/, v224 /*v480*/, v225 /*v481*/
	v_mul_i32_i24_e32 v234 /*v490*/, v189 /*v445*/, v130 /*v386*/
	v_mul_i32_i24_e32 v235 /*v491*/, v190 /*v446*/, v131 /*v387*/
	v_mul_i32_i24_e32 v169 /*v425*/, v134 /*v390*/, v195 /*v451*/
	;; [unrolled: 5-line block ×4, first 2 shown]
	v_mul_i32_i24_e32 v179 /*v435*/, v141 /*v397*/, v206 /*v462*/
	v_add3_u32 v168 /*v424*/, v168 /*v424*/, v230 /*v486*/, v231 /*v487*/
	s_wait_dscnt 0x0
	v_bfe_i32 v209 /*v465*/, v180 /*v436*/, 0, 8
	v_bfe_i32 v210 /*v466*/, v180 /*v436*/, 8, 8
	;; [unrolled: 1-line block ×3, first 2 shown]
	v_ashrrev_i32_e32 v180 /*v436*/, 24, v180 /*v436*/
	v_add3_u32 v168 /*v424*/, v168 /*v424*/, v232 /*v488*/, v233 /*v489*/
	v_mul_i32_i24_e32 v221 /*v477*/, v140 /*v396*/, v207 /*v463*/
	v_mul_i32_i24_e32 v222 /*v478*/, v120 /*v376*/, v208 /*v464*/
	;; [unrolled: 1-line block ×4, first 2 shown]
	v_add3_u32 v178 /*v434*/, v168 /*v424*/, v234 /*v490*/, v235 /*v491*/
	s_set_vgpr_msb 0x44                     ;  msbs: dst=1 src0=0 src1=1 src2=0
	v_mul_i32_i24_e32 v168 /*v424*/, v118, v193 /*v449*/
	s_set_vgpr_msb 0x55                     ;  msbs: dst=1 src0=1 src1=1 src2=1
	v_bfe_i32 v212 /*v468*/, v181 /*v437*/, 0, 8
	v_bfe_i32 v213 /*v469*/, v181 /*v437*/, 8, 8
	v_mul_i32_i24_e32 v225 /*v481*/, v143 /*v399*/, v211 /*v467*/
	v_mul_i32_i24_e32 v226 /*v482*/, v121 /*v377*/, v180 /*v436*/
	v_mad_i32_i24 v168 /*v424*/, v133 /*v389*/, v194 /*v450*/, v168 /*v424*/
	v_bfe_i32 v214 /*v470*/, v181 /*v437*/, 16, 8
	v_ashrrev_i32_e32 v181 /*v437*/, 24, v181 /*v437*/
	v_mul_i32_i24_e32 v227 /*v483*/, v148 /*v404*/, v212 /*v468*/
	v_mul_i32_i24_e32 v228 /*v484*/, v147 /*v403*/, v213 /*v469*/
	v_add3_u32 v168 /*v424*/, v168 /*v424*/, v169 /*v425*/, v170 /*v426*/
	s_set_vgpr_msb 0x44                     ;  msbs: dst=1 src0=0 src1=1 src2=0
	v_mul_i32_i24_e32 v169 /*v425*/, v119, v197 /*v453*/
	s_set_vgpr_msb 0x55                     ;  msbs: dst=1 src0=1 src1=1 src2=1
	v_mul_i32_i24_e32 v170 /*v426*/, v136 /*v392*/, v198 /*v454*/
	v_bfe_i32 v215 /*v471*/, v182 /*v438*/, 0, 8
	v_bfe_i32 v216 /*v472*/, v182 /*v438*/, 8, 8
	v_bfe_i32 v217 /*v473*/, v182 /*v438*/, 16, 8
	v_ashrrev_i32_e32 v182 /*v438*/, 24, v182 /*v438*/
	v_add3_u32 v168 /*v424*/, v168 /*v424*/, v169 /*v425*/, v170 /*v426*/
	v_mul_i32_i24_e32 v229 /*v485*/, v146 /*v402*/, v214 /*v470*/
	v_mul_i32_i24_e32 v230 /*v486*/, v122 /*v378*/, v181 /*v437*/
	;; [unrolled: 1-line block ×4, first 2 shown]
	v_add3_u32 v168 /*v424*/, v168 /*v424*/, v171 /*v427*/, v172 /*v428*/
	v_mul_i32_i24_e32 v233 /*v489*/, v149 /*v405*/, v217 /*v473*/
	v_mul_i32_i24_e32 v234 /*v490*/, v123 /*v379*/, v182 /*v438*/
	v_bfe_i32 v218 /*v474*/, v183 /*v439*/, 0, 8
	v_bfe_i32 v219 /*v475*/, v183 /*v439*/, 8, 8
	v_add3_u32 v168 /*v424*/, v168 /*v424*/, v173 /*v429*/, v174 /*v430*/
	v_bfe_i32 v220 /*v476*/, v183 /*v439*/, 16, 8
	v_mul_i32_i24_e32 v236 /*v492*/, v191 /*v447*/, v132 /*v388*/
	v_mul_i32_i24_e32 v235 /*v491*/, v218 /*v474*/, v127 /*v383*/
	v_mul_i32_i24_e32 v237 /*v493*/, v219 /*v475*/, v129 /*v385*/
	v_add3_u32 v168 /*v424*/, v168 /*v424*/, v175 /*v431*/, v176 /*v432*/
	s_set_vgpr_msb 0x41                     ;  msbs: dst=1 src0=1 src1=0 src2=0
	v_mul_i32_i24_e32 v238 /*v494*/, v219 /*v475*/, v234
	s_set_vgpr_msb 64                       ;  msbs: dst=1 src0=0 src1=0 src2=0
	v_mul_i32_i24_e32 v164 /*v420*/, v27, v170
	s_set_vgpr_msb 0x55                     ;  msbs: dst=1 src0=1 src1=1 src2=1
	v_add3_u32 v168 /*v424*/, v168 /*v424*/, v177 /*v433*/, v179 /*v435*/
	s_delay_alu instid0(VALU_DEP_1) | instskip(SKIP_3) | instid1(VALU_DEP_2)
	v_add3_u32 v168 /*v424*/, v168 /*v424*/, v221 /*v477*/, v222 /*v478*/
	s_set_vgpr_msb 0x44                     ;  msbs: dst=1 src0=0 src1=1 src2=0
	v_mul_i32_i24_e32 v222 /*v478*/, v31, v79 /*v335*/
	s_set_vgpr_msb 0x55                     ;  msbs: dst=1 src0=1 src1=1 src2=1
	v_add3_u32 v168 /*v424*/, v168 /*v424*/, v223 /*v479*/, v224 /*v480*/
	s_set_vgpr_msb 0x44                     ;  msbs: dst=1 src0=0 src1=1 src2=0
	v_mul_i32_i24_e32 v223 /*v479*/, v38, v80 /*v336*/
	v_mul_i32_i24_e32 v224 /*v480*/, v40, v81 /*v337*/
	s_set_vgpr_msb 0x55                     ;  msbs: dst=1 src0=1 src1=1 src2=1
	v_add3_u32 v168 /*v424*/, v168 /*v424*/, v225 /*v481*/, v226 /*v482*/
	s_set_vgpr_msb 0x41                     ;  msbs: dst=1 src0=1 src1=0 src2=0
	v_mul_i32_i24_e32 v225 /*v481*/, v83 /*v339*/, v42
	s_set_vgpr_msb 0x55                     ;  msbs: dst=1 src0=1 src1=1 src2=1
	s_delay_alu instid0(VALU_DEP_2)
	v_add3_u32 v168 /*v424*/, v168 /*v424*/, v227 /*v483*/, v228 /*v484*/
	s_set_vgpr_msb 0x41                     ;  msbs: dst=1 src0=1 src1=0 src2=0
	v_mul_i32_i24_e32 v227 /*v483*/, v85 /*v341*/, v46
	v_mul_i32_i24_e32 v228 /*v484*/, v84 /*v340*/, v84
	s_set_vgpr_msb 0x55                     ;  msbs: dst=1 src0=1 src1=1 src2=1
	v_add3_u32 v168 /*v424*/, v168 /*v424*/, v229 /*v485*/, v230 /*v486*/
	s_set_vgpr_msb 0x41                     ;  msbs: dst=1 src0=1 src1=0 src2=0
	v_mul_i32_i24_e32 v229 /*v485*/, v87 /*v343*/, v126
	s_set_vgpr_msb 0x55                     ;  msbs: dst=1 src0=1 src1=1 src2=1
	v_mul_i32_i24_e32 v230 /*v486*/, v86 /*v342*/, v184 /*v440*/
	v_add3_u32 v168 /*v424*/, v168 /*v424*/, v231 /*v487*/, v232 /*v488*/
	v_mul_i32_i24_e32 v231 /*v487*/, v89 /*v345*/, v185 /*v441*/
	v_mul_i32_i24_e32 v232 /*v488*/, v88 /*v344*/, v186 /*v442*/
	s_delay_alu instid0(VALU_DEP_3)
	v_add3_u32 v221 /*v477*/, v168 /*v424*/, v233 /*v489*/, v234 /*v490*/
	s_set_vgpr_msb 64                       ;  msbs: dst=1 src0=0 src1=0 src2=0
	ds_load_b64 v[168:169] /*v[424:425]*/, v5 offset:27200
	ds_load_b64 v[170:171] /*v[426:427]*/, v8 offset:27200
	s_set_vgpr_msb 0x55                     ;  msbs: dst=1 src0=1 src1=1 src2=1
	v_mul_i32_i24_e32 v233 /*v489*/, v91 /*v347*/, v187 /*v443*/
	v_mul_i32_i24_e32 v234 /*v490*/, v90 /*v346*/, v188 /*v444*/
	v_add3_u32 v166 /*v422*/, v221 /*v477*/, v235 /*v491*/, v237 /*v493*/
	s_set_vgpr_msb 0x44                     ;  msbs: dst=1 src0=0 src1=1 src2=0
	v_mul_i32_i24_e32 v221 /*v477*/, v30, v78 /*v334*/
	s_set_vgpr_msb 0x45                     ;  msbs: dst=1 src0=1 src1=1 src2=0
	v_mul_i32_i24_e32 v235 /*v491*/, v189 /*v445*/, v92 /*v348*/
	s_set_vgpr_msb 0x41                     ;  msbs: dst=1 src0=1 src1=0 src2=0
	v_mul_i32_i24_e32 v237 /*v493*/, v191 /*v447*/, v185
	s_wait_dscnt 0x0
	s_set_vgpr_msb 4                        ;  msbs: dst=0 src0=0 src1=1 src2=0
	v_dual_lshrrev_b32 v5, 16, v168 /*v424*/ :: v_dual_lshrrev_b32 v8, 16, v170 /*v426*/
	s_set_vgpr_msb 0x41                     ;  msbs: dst=1 src0=1 src1=0 src2=0
	v_cvt_f32_f16_e64 v172 /*v428*/, v168 /*v424*/
	v_cvt_f32_f16_e64 v176 /*v432*/, v169 /*v425*/
	;; [unrolled: 1-line block ×4, first 2 shown]
	s_set_vgpr_msb 64                       ;  msbs: dst=1 src0=0 src1=0 src2=0
	v_cvt_f32_f16_e64 v175 /*v431*/, v8
	s_set_vgpr_msb 4                        ;  msbs: dst=0 src0=0 src1=1 src2=0
	v_ashrrev_i32_e32 v8, 24, v183 /*v439*/
	s_set_vgpr_msb 64                       ;  msbs: dst=1 src0=0 src1=0 src2=0
	v_cvt_f32_f16_e64 v174 /*v430*/, v5
	v_ashrrev_i32_e32 v183 /*v439*/, 24, v3
	s_set_vgpr_msb 4                        ;  msbs: dst=0 src0=0 src1=1 src2=0
	v_dual_lshrrev_b32 v3, 16, v169 /*v425*/ :: v_dual_lshrrev_b32 v5, 16, v171 /*v427*/
	s_set_vgpr_msb 0x41                     ;  msbs: dst=1 src0=1 src1=0 src2=0
	v_mul_i32_i24_e32 v226 /*v482*/, v82 /*v338*/, v44
	s_set_vgpr_msb 64                       ;  msbs: dst=1 src0=0 src1=0 src2=0
	s_delay_alu instid0(VALU_DEP_2)
	v_cvt_f32_f16_e64 v168 /*v424*/, v3
	v_cvt_f32_f16_e64 v169 /*v425*/, v5
	s_set_vgpr_msb 4                        ;  msbs: dst=0 src0=0 src1=1 src2=0
	v_mul_i32_i24_e32 v3, v4, v59 /*v315*/
	s_set_vgpr_msb 5                        ;  msbs: dst=0 src0=1 src1=1 src2=0
	v_mul_i32_i24_e32 v5, v192 /*v448*/, v59 /*v315*/
	s_delay_alu instid0(VALU_DEP_2) | instskip(NEXT) | instid1(VALU_DEP_2)
	v_add3_u32 v3, v163 /*v419*/, v160 /*v416*/, v3
	v_add3_u32 v5, v178 /*v434*/, v236 /*v492*/, v5
	s_set_vgpr_msb 0x45                     ;  msbs: dst=1 src0=1 src1=1 src2=0
	v_mul_i32_i24_e32 v160 /*v416*/, v62 /*v318*/, v183 /*v439*/
	s_set_vgpr_msb 0x41                     ;  msbs: dst=1 src0=1 src1=0 src2=0
	v_mul_i32_i24_e32 v163 /*v419*/, v62 /*v318*/, v8
	s_set_vgpr_msb 0x44                     ;  msbs: dst=1 src0=0 src1=1 src2=0
	v_pk_fma_f32 v[178:179] /*v[434:435]*/, v[114:115], v[174:175] /*v[430:431]*/, 0 op_sel_hi:[0,1,0]
	s_set_vgpr_msb 4                        ;  msbs: dst=0 src0=0 src1=1 src2=0
	v_mul_lo_u32 v3, v3, v60 /*v316*/
	v_mul_lo_u32 v5, v5, v60 /*v316*/
	s_set_vgpr_msb 0x41                     ;  msbs: dst=1 src0=1 src1=0 src2=0
	v_mul_i32_i24_e32 v236 /*v492*/, v190 /*v446*/, v183
	s_set_vgpr_msb 64                       ;  msbs: dst=1 src0=0 src1=0 src2=0
	s_delay_alu instid0(VALU_DEP_3) | instskip(NEXT) | instid1(VALU_DEP_3)
	v_cvt_f32_i32_e32 v170 /*v426*/, v3
	v_cvt_f32_i32_e32 v171 /*v427*/, v5
	s_set_vgpr_msb 4                        ;  msbs: dst=0 src0=0 src1=1 src2=0
	v_mul_i32_i24_e32 v3, v0, v63 /*v319*/
	s_set_vgpr_msb 5                        ;  msbs: dst=0 src0=1 src1=1 src2=0
	v_mul_i32_i24_e32 v5, v220 /*v476*/, v63 /*v319*/
	s_set_vgpr_msb 0x45                     ;  msbs: dst=1 src0=1 src1=1 src2=0
	v_pk_fma_f32 v[170:171] /*v[426:427]*/, v[172:173] /*v[428:429]*/, v[170:171] /*v[426:427]*/, 0 op_sel_hi:[1,1,0]
	s_set_vgpr_msb 17                       ;  msbs: dst=0 src0=1 src1=0 src2=1
	v_add3_u32 v3, v165 /*v421*/, v3, v160 /*v416*/
	v_add3_u32 v5, v166 /*v422*/, v5, v163 /*v419*/
	s_set_vgpr_msb 0x44                     ;  msbs: dst=1 src0=0 src1=1 src2=0
	v_mul_i32_i24_e32 v160 /*v416*/, v15, v67 /*v323*/
	v_mul_i32_i24_e32 v163 /*v419*/, v20, v70 /*v326*/
	;; [unrolled: 1-line block ×3, first 2 shown]
	s_set_vgpr_msb 4                        ;  msbs: dst=0 src0=0 src1=1 src2=0
	v_mul_lo_u32 v3, v3, v61 /*v317*/
	v_mul_lo_u32 v5, v5, v61 /*v317*/
	s_set_vgpr_msb 64                       ;  msbs: dst=1 src0=0 src1=0 src2=0
	s_delay_alu instid0(VALU_DEP_2) | instskip(NEXT) | instid1(VALU_DEP_2)
	v_cvt_f32_i32_e32 v166 /*v422*/, v3
	v_cvt_f32_i32_e32 v167 /*v423*/, v5
	s_set_vgpr_msb 4                        ;  msbs: dst=0 src0=0 src1=1 src2=0
	v_mul_i32_i24_e32 v3, v12, v65 /*v321*/
	v_mul_i32_i24_e32 v5, v14, v66 /*v322*/
	s_set_vgpr_msb 0x55                     ;  msbs: dst=1 src0=1 src1=1 src2=1
	v_pk_fma_f32 v[166:167] /*v[422:423]*/, v[176:177] /*v[432:433]*/, v[166:167] /*v[422:423]*/, v[170:171] /*v[426:427]*/
	s_set_vgpr_msb 0x54                     ;  msbs: dst=1 src0=0 src1=1 src2=1
	v_pk_fma_f32 v[170:171] /*v[426:427]*/, v[116:117], v[168:169] /*v[424:425]*/, v[178:179] /*v[434:435]*/ op_sel_hi:[0,1,1]
	s_set_vgpr_msb 4                        ;  msbs: dst=0 src0=0 src1=1 src2=0
	v_mad_i32_i24 v3, v13, v64 /*v320*/, v3
	s_set_vgpr_msb 0x44                     ;  msbs: dst=1 src0=0 src1=1 src2=0
	v_mul_i32_i24_e32 v178 /*v434*/, v28, v76 /*v332*/
	v_mul_i32_i24_e32 v179 /*v435*/, v29, v77 /*v333*/
	s_set_vgpr_msb 0x41                     ;  msbs: dst=1 src0=1 src1=0 src2=0
	v_pk_mul_f32 v[170:171] /*v[426:427]*/, v[170:171] /*v[426:427]*/, v[94:95]
	s_set_vgpr_msb 16                       ;  msbs: dst=0 src0=0 src1=0 src2=1
	v_add3_u32 v3, v3, v5, v160 /*v416*/
	s_set_vgpr_msb 4                        ;  msbs: dst=0 src0=0 src1=1 src2=0
	v_mul_i32_i24_e32 v5, v16, v68 /*v324*/
	s_set_vgpr_msb 0x44                     ;  msbs: dst=1 src0=0 src1=1 src2=0
	v_mul_i32_i24_e32 v160 /*v416*/, v18, v69 /*v325*/
	s_set_vgpr_msb 0x51                     ;  msbs: dst=1 src0=1 src1=0 src2=1
	v_pk_fma_f32 v[166:167] /*v[422:423]*/, v[166:167] /*v[422:423]*/, v[86:87], v[170:171] /*v[426:427]*/ neg_lo:[0,0,1] neg_hi:[0,0,1]
	s_set_vgpr_msb 0x44                     ;  msbs: dst=1 src0=0 src1=1 src2=0
	v_mul_i32_i24_e32 v170 /*v426*/, v26, v74 /*v330*/
	v_mul_i32_i24_e32 v171 /*v427*/, v27, v75 /*v331*/
	s_set_vgpr_msb 16                       ;  msbs: dst=0 src0=0 src1=0 src2=1
	v_add3_u32 v3, v3, v5, v160 /*v416*/
	s_set_vgpr_msb 1                        ;  msbs: dst=0 src0=1 src1=0 src2=0
	v_mul_i32_i24_e32 v5, v193 /*v449*/, v177
	s_set_vgpr_msb 4                        ;  msbs: dst=0 src0=0 src1=1 src2=0
	v_pk_add_f32 v[56:57], v[56:57], v[166:167] /*v[422:423]*/
	s_set_vgpr_msb 0x44                     ;  msbs: dst=1 src0=0 src1=1 src2=0
	v_mul_i32_i24_e32 v166 /*v422*/, v22, v72 /*v328*/
	v_mul_i32_i24_e32 v167 /*v423*/, v24, v73 /*v329*/
	s_set_vgpr_msb 20                       ;  msbs: dst=0 src0=0 src1=1 src2=1
	v_add3_u32 v3, v3, v163 /*v419*/, v165 /*v421*/
	s_set_vgpr_msb 0x41                     ;  msbs: dst=1 src0=1 src1=0 src2=0
	v_mul_i32_i24_e32 v160 /*v416*/, v195 /*v451*/, v175
	v_mul_i32_i24_e32 v163 /*v419*/, v196 /*v452*/, v182
	s_set_vgpr_msb 1                        ;  msbs: dst=0 src0=1 src1=0 src2=0
	v_mad_i32_i24 v5, v194 /*v450*/, v176, v5
	s_set_vgpr_msb 0x41                     ;  msbs: dst=1 src0=1 src1=0 src2=0
	v_mul_i32_i24_e32 v165 /*v421*/, v199 /*v455*/, v179
	s_set_vgpr_msb 20                       ;  msbs: dst=0 src0=0 src1=1 src2=1
	v_add3_u32 v3, v3, v166 /*v422*/, v167 /*v423*/
	s_set_vgpr_msb 0x41                     ;  msbs: dst=1 src0=1 src1=0 src2=0
	v_mul_i32_i24_e32 v166 /*v422*/, v200 /*v456*/, v190
	v_mul_i32_i24_e32 v167 /*v423*/, v201 /*v457*/, v193
	s_set_vgpr_msb 20                       ;  msbs: dst=0 src0=0 src1=1 src2=1
	v_add3_u32 v5, v5, v160 /*v416*/, v163 /*v419*/
	s_set_vgpr_msb 0x41                     ;  msbs: dst=1 src0=1 src1=0 src2=0
	v_mul_i32_i24_e32 v160 /*v416*/, v197 /*v453*/, v186
	s_set_vgpr_msb 20                       ;  msbs: dst=0 src0=0 src1=1 src2=1
	v_add3_u32 v3, v3, v170 /*v426*/, v171 /*v427*/
	s_set_vgpr_msb 0x41                     ;  msbs: dst=1 src0=1 src1=0 src2=0
	v_mul_i32_i24_e32 v163 /*v419*/, v198 /*v454*/, v187
	v_mul_i32_i24_e32 v170 /*v426*/, v202 /*v458*/, v194
	;; [unrolled: 1-line block ×3, first 2 shown]
	s_set_vgpr_msb 20                       ;  msbs: dst=0 src0=0 src1=1 src2=1
	v_add3_u32 v3, v3, v178 /*v434*/, v179 /*v435*/
	v_add3_u32 v5, v5, v160 /*v416*/, v163 /*v419*/
	s_set_vgpr_msb 0x41                     ;  msbs: dst=1 src0=1 src1=0 src2=0
	v_mul_i32_i24_e32 v178 /*v434*/, v204 /*v460*/, v197
	v_mul_i32_i24_e32 v179 /*v435*/, v205 /*v461*/, v198
	s_set_vgpr_msb 64                       ;  msbs: dst=1 src0=0 src1=0 src2=0
	v_mul_i32_i24_e32 v160 /*v416*/, v4, v155
	s_set_vgpr_msb 20                       ;  msbs: dst=0 src0=0 src1=1 src2=1
	v_add3_u32 v3, v3, v221 /*v477*/, v222 /*v478*/
	v_add3_u32 v5, v5, v165 /*v421*/, v166 /*v422*/
	s_set_vgpr_msb 0x41                     ;  msbs: dst=1 src0=1 src1=0 src2=0
	v_mul_i32_i24_e32 v221 /*v477*/, v206 /*v462*/, v200
	v_mul_i32_i24_e32 v222 /*v478*/, v207 /*v463*/, v195
	;; [unrolled: 1-line block ×3, first 2 shown]
	s_set_vgpr_msb 20                       ;  msbs: dst=0 src0=0 src1=1 src2=1
	v_add3_u32 v3, v3, v223 /*v479*/, v224 /*v480*/
	v_add3_u32 v5, v5, v167 /*v423*/, v170 /*v426*/
	s_set_vgpr_msb 0x41                     ;  msbs: dst=1 src0=1 src1=0 src2=0
	v_mul_i32_i24_e32 v223 /*v479*/, v208 /*v464*/, v201
	v_mul_i32_i24_e32 v224 /*v480*/, v209 /*v465*/, v204
	s_set_vgpr_msb 0x55                     ;  msbs: dst=1 src0=1 src1=1 src2=1
	v_add3_u32 v155 /*v411*/, v158 /*v414*/, v155 /*v411*/, v160 /*v416*/
	s_set_vgpr_msb 20                       ;  msbs: dst=0 src0=0 src1=1 src2=1
	v_add3_u32 v3, v3, v225 /*v481*/, v226 /*v482*/
	v_add3_u32 v5, v5, v171 /*v427*/, v178 /*v434*/
	s_set_vgpr_msb 0x41                     ;  msbs: dst=1 src0=1 src1=0 src2=0
	v_mul_i32_i24_e32 v225 /*v481*/, v210 /*v466*/, v206
	s_set_vgpr_msb 0x44                     ;  msbs: dst=1 src0=0 src1=1 src2=0
	v_mul_i32_i24_e32 v226 /*v482*/, v211, v211 /*v467*/
	s_set_vgpr_msb 0x41                     ;  msbs: dst=1 src0=1 src1=0 src2=0
	v_mul_lo_u32 v155 /*v411*/, v155 /*v411*/, v156
	s_set_vgpr_msb 20                       ;  msbs: dst=0 src0=0 src1=1 src2=1
	v_add3_u32 v3, v3, v227 /*v483*/, v228 /*v484*/
	v_add3_u32 v5, v5, v179 /*v435*/, v221 /*v477*/
	s_set_vgpr_msb 0x44                     ;  msbs: dst=1 src0=0 src1=1 src2=0
	v_mul_i32_i24_e32 v227 /*v483*/, v207, v180 /*v436*/
	v_mul_i32_i24_e32 v228 /*v484*/, v213, v212 /*v468*/
	;; [unrolled: 1-line block ×3, first 2 shown]
	s_set_vgpr_msb 20                       ;  msbs: dst=0 src0=0 src1=1 src2=1
	v_add3_u32 v3, v3, v229 /*v485*/, v230 /*v486*/
	v_add3_u32 v5, v5, v222 /*v478*/, v223 /*v479*/
	s_set_vgpr_msb 0x44                     ;  msbs: dst=1 src0=0 src1=1 src2=0
	v_mul_i32_i24_e32 v229 /*v485*/, v214, v213 /*v469*/
	v_mul_i32_i24_e32 v230 /*v486*/, v221, v214 /*v470*/
	s_set_vgpr_msb 64                       ;  msbs: dst=1 src0=0 src1=0 src2=0
	v_mul_i32_i24_e32 v160 /*v416*/, v111, v8
	s_set_vgpr_msb 20                       ;  msbs: dst=0 src0=0 src1=1 src2=1
	v_add3_u32 v3, v3, v231 /*v487*/, v232 /*v488*/
	v_add3_u32 v5, v5, v224 /*v480*/, v225 /*v481*/
	s_set_vgpr_msb 0x44                     ;  msbs: dst=1 src0=0 src1=1 src2=0
	v_mul_i32_i24_e32 v231 /*v487*/, v217, v181 /*v437*/
	v_mul_i32_i24_e32 v232 /*v488*/, v224, v215 /*v471*/
	s_set_vgpr_msb 0x41                     ;  msbs: dst=1 src0=1 src1=0 src2=0
	v_cvt_f32_i32_e32 v166 /*v422*/, v155 /*v411*/
	s_set_vgpr_msb 20                       ;  msbs: dst=0 src0=0 src1=1 src2=1
	v_add3_u32 v3, v3, v233 /*v489*/, v234 /*v490*/
	v_add3_u32 v5, v5, v226 /*v482*/, v227 /*v483*/
	s_set_vgpr_msb 0x44                     ;  msbs: dst=1 src0=0 src1=1 src2=0
	v_mul_i32_i24_e32 v233 /*v489*/, v225, v216 /*v472*/
	v_mul_i32_i24_e32 v234 /*v490*/, v229, v217 /*v473*/
	s_set_vgpr_msb 0x41                     ;  msbs: dst=1 src0=1 src1=0 src2=0
	v_mul_i32_i24_e32 v155 /*v411*/, v220 /*v476*/, v113
	s_set_vgpr_msb 20                       ;  msbs: dst=0 src0=0 src1=1 src2=1
	v_add3_u32 v3, v3, v235 /*v491*/, v236 /*v492*/
	v_add3_u32 v5, v5, v228 /*v484*/, v229 /*v485*/
	s_set_vgpr_msb 0x44                     ;  msbs: dst=1 src0=0 src1=1 src2=0
	v_mul_i32_i24_e32 v235 /*v491*/, v227, v182 /*v438*/
	s_set_vgpr_msb 0x41                     ;  msbs: dst=1 src0=1 src1=0 src2=0
	v_mul_i32_i24_e32 v236 /*v492*/, v218 /*v474*/, v232
	s_set_vgpr_msb 0x44                     ;  msbs: dst=1 src0=0 src1=1 src2=0
	v_pk_fma_f32 v[170:171] /*v[426:427]*/, v[102:103], v[174:175] /*v[430:431]*/, 0 op_sel_hi:[0,1,0]
	s_set_vgpr_msb 20                       ;  msbs: dst=0 src0=0 src1=1 src2=1
	v_add3_u32 v3, v3, v237 /*v493*/, v163 /*v419*/
	v_add3_u32 v5, v5, v230 /*v486*/, v231 /*v487*/
	s_set_vgpr_msb 64                       ;  msbs: dst=1 src0=0 src1=0 src2=0
	v_mul_i32_i24_e32 v165 /*v421*/, v28, v171
	v_mul_i32_i24_e32 v178 /*v434*/, v40, v180
	s_set_vgpr_msb 0x54                     ;  msbs: dst=1 src0=0 src1=1 src2=1
	v_pk_fma_f32 v[162:163] /*v[418:419]*/, v[104:105], v[168:169] /*v[424:425]*/, v[170:171] /*v[426:427]*/ op_sel_hi:[0,1,1]
	s_set_vgpr_msb 0                        ;  msbs: dst=0 src0=0 src1=0 src2=0
	v_mul_lo_u32 v3, v3, v156
	s_set_vgpr_msb 20                       ;  msbs: dst=0 src0=0 src1=1 src2=1
	v_add3_u32 v5, v5, v232 /*v488*/, v233 /*v489*/
	s_set_vgpr_msb 64                       ;  msbs: dst=1 src0=0 src1=0 src2=0
	v_mul_i32_i24_e32 v170 /*v426*/, v31, v174
	v_mul_i32_i24_e32 v171 /*v427*/, v38, v178
	s_set_vgpr_msb 0x41                     ;  msbs: dst=1 src0=1 src1=0 src2=0
	v_pk_mul_f32 v[162:163] /*v[418:419]*/, v[162:163] /*v[418:419]*/, v[96:97]
	s_set_vgpr_msb 64                       ;  msbs: dst=1 src0=0 src1=0 src2=0
	v_mul_i32_i24_e32 v179 /*v435*/, v184, v42
	s_set_vgpr_msb 20                       ;  msbs: dst=0 src0=0 src1=1 src2=1
	v_add3_u32 v5, v5, v234 /*v490*/, v235 /*v491*/
	s_set_vgpr_msb 64                       ;  msbs: dst=1 src0=0 src1=0 src2=0
	v_mul_i32_i24_e32 v221 /*v477*/, v181, v44
	v_mul_i32_i24_e32 v222 /*v478*/, v191, v46
	;; [unrolled: 1-line block ×4, first 2 shown]
	v_cvt_f32_i32_e32 v167 /*v423*/, v3
	s_set_vgpr_msb 0                        ;  msbs: dst=0 src0=0 src1=0 src2=0
	v_mul_i32_i24_e32 v3, v0, v113
	s_set_vgpr_msb 20                       ;  msbs: dst=0 src0=0 src1=1 src2=1
	v_add3_u32 v5, v5, v236 /*v492*/, v238 /*v494*/
	s_set_vgpr_msb 0x44                     ;  msbs: dst=1 src0=0 src1=1 src2=0
	v_mul_i32_i24_e32 v225 /*v481*/, v192, v184 /*v440*/
	v_mul_i32_i24_e32 v226 /*v482*/, v202, v185 /*v441*/
	s_set_vgpr_msb 0x45                     ;  msbs: dst=1 src0=1 src1=1 src2=0
	v_pk_fma_f32 v[166:167] /*v[422:423]*/, v[172:173] /*v[428:429]*/, v[166:167] /*v[422:423]*/, 0 op_sel_hi:[1,1,0]
	s_set_vgpr_msb 17                       ;  msbs: dst=0 src0=1 src1=0 src2=1
	v_add3_u32 v3, v161 /*v417*/, v3, v158 /*v414*/
	s_set_vgpr_msb 20                       ;  msbs: dst=0 src0=0 src1=1 src2=1
	v_add3_u32 v5, v5, v155 /*v411*/, v160 /*v416*/
	s_set_vgpr_msb 64                       ;  msbs: dst=1 src0=0 src1=0 src2=0
	v_mul_i32_i24_e32 v155 /*v411*/, v15, v162
	v_mul_i32_i24_e32 v158 /*v414*/, v20, v165
	s_set_vgpr_msb 0x44                     ;  msbs: dst=1 src0=0 src1=1 src2=0
	v_mul_i32_i24_e32 v227 /*v483*/, v199, v186 /*v442*/
	s_set_vgpr_msb 0                        ;  msbs: dst=0 src0=0 src1=0 src2=0
	v_mul_lo_u32 v3, v3, v115
	v_mul_lo_u32 v5, v5, v115
	s_set_vgpr_msb 0x44                     ;  msbs: dst=1 src0=0 src1=1 src2=0
	v_mul_i32_i24_e32 v228 /*v484*/, v208, v187 /*v443*/
	v_mul_i32_i24_e32 v229 /*v485*/, v203, v188 /*v444*/
	s_set_vgpr_msb 0x41                     ;  msbs: dst=1 src0=1 src1=0 src2=0
	v_mul_i32_i24_e32 v230 /*v486*/, v189 /*v445*/, v215
	v_mul_i32_i24_e32 v231 /*v487*/, v190 /*v446*/, v218
	;; [unrolled: 1-line block ×4, first 2 shown]
	s_set_vgpr_msb 64                       ;  msbs: dst=1 src0=0 src1=0 src2=0
	v_cvt_f32_i32_e32 v160 /*v416*/, v3
	v_cvt_f32_i32_e32 v161 /*v417*/, v5
	s_set_vgpr_msb 0                        ;  msbs: dst=0 src0=0 src1=0 src2=0
	v_mul_i32_i24_e32 v3, v12, v160
	v_mul_i32_i24_e32 v5, v14, v161
	s_set_vgpr_msb 0x55                     ;  msbs: dst=1 src0=1 src1=1 src2=1
	v_pk_fma_f32 v[160:161] /*v[416:417]*/, v[176:177] /*v[432:433]*/, v[160:161] /*v[416:417]*/, v[166:167] /*v[422:423]*/
	s_set_vgpr_msb 0                        ;  msbs: dst=0 src0=0 src1=0 src2=0
	v_mad_i32_i24 v3, v13, v159, v3
	s_set_vgpr_msb 64                       ;  msbs: dst=1 src0=0 src1=0 src2=0
	v_mul_i32_i24_e32 v166 /*v422*/, v29, v172
	v_mul_i32_i24_e32 v167 /*v423*/, v30, v173
	s_set_vgpr_msb 0x51                     ;  msbs: dst=1 src0=1 src1=0 src2=1
	v_pk_fma_f32 v[160:161] /*v[416:417]*/, v[160:161] /*v[416:417]*/, v[88:89], v[162:163] /*v[418:419]*/ neg_lo:[0,0,1] neg_hi:[0,0,1]
	s_set_vgpr_msb 16                       ;  msbs: dst=0 src0=0 src1=0 src2=1
	v_add3_u32 v3, v3, v5, v155 /*v411*/
	v_mul_i32_i24_e32 v5, v16, v163
	s_set_vgpr_msb 64                       ;  msbs: dst=1 src0=0 src1=0 src2=0
	v_mul_i32_i24_e32 v155 /*v411*/, v18, v164
	v_mul_i32_i24_e32 v162 /*v418*/, v24, v168
	s_set_vgpr_msb 4                        ;  msbs: dst=0 src0=0 src1=1 src2=0
	v_pk_add_f32 v[66:67], v[66:67], v[160:161] /*v[416:417]*/
	s_set_vgpr_msb 64                       ;  msbs: dst=1 src0=0 src1=0 src2=0
	v_mul_i32_i24_e32 v160 /*v416*/, v21, v166
	v_mul_i32_i24_e32 v161 /*v417*/, v22, v167
	s_set_vgpr_msb 16                       ;  msbs: dst=0 src0=0 src1=0 src2=1
	v_add3_u32 v3, v3, v5, v155 /*v411*/
	s_set_vgpr_msb 64                       ;  msbs: dst=1 src0=0 src1=0 src2=0
	v_mul_i32_i24_e32 v163 /*v419*/, v26, v169
	s_set_vgpr_msb 1                        ;  msbs: dst=0 src0=1 src1=0 src2=0
	v_mul_i32_i24_e32 v5, v193 /*v449*/, v210
	s_set_vgpr_msb 0x41                     ;  msbs: dst=1 src0=1 src1=0 src2=0
	v_mul_i32_i24_e32 v155 /*v411*/, v195 /*v451*/, v205
	s_set_vgpr_msb 20                       ;  msbs: dst=0 src0=0 src1=1 src2=1
	v_add3_u32 v3, v3, v158 /*v414*/, v160 /*v416*/
	s_set_vgpr_msb 0x41                     ;  msbs: dst=1 src0=1 src1=0 src2=0
	v_mul_i32_i24_e32 v158 /*v414*/, v196 /*v452*/, v216
	s_set_vgpr_msb 1                        ;  msbs: dst=0 src0=1 src1=0 src2=0
	v_mad_i32_i24 v5, v194 /*v450*/, v209, v5
	s_set_vgpr_msb 0x41                     ;  msbs: dst=1 src0=1 src1=0 src2=0
	v_mul_i32_i24_e32 v160 /*v416*/, v199 /*v455*/, v212
	s_set_vgpr_msb 20                       ;  msbs: dst=0 src0=0 src1=1 src2=1
	v_add3_u32 v3, v3, v161 /*v417*/, v162 /*v418*/
	s_set_vgpr_msb 0x41                     ;  msbs: dst=1 src0=1 src1=0 src2=0
	v_mul_i32_i24_e32 v161 /*v417*/, v200 /*v456*/, v226
	s_set_vgpr_msb 20                       ;  msbs: dst=0 src0=0 src1=1 src2=1
	v_add3_u32 v5, v5, v155 /*v411*/, v158 /*v414*/
	s_set_vgpr_msb 0x41                     ;  msbs: dst=1 src0=1 src1=0 src2=0
	v_mul_i32_i24_e32 v155 /*v411*/, v197 /*v453*/, v220
	v_mul_i32_i24_e32 v158 /*v414*/, v198 /*v454*/, v222
	s_set_vgpr_msb 20                       ;  msbs: dst=0 src0=0 src1=1 src2=1
	v_add3_u32 v3, v3, v163 /*v419*/, v164 /*v420*/
	s_set_vgpr_msb 0x41                     ;  msbs: dst=1 src0=1 src1=0 src2=0
	v_mul_i32_i24_e32 v162 /*v418*/, v201 /*v457*/, v228
	v_mul_i32_i24_e32 v163 /*v419*/, v202 /*v458*/, v230
	;; [unrolled: 1-line block ×3, first 2 shown]
	s_set_vgpr_msb 20                       ;  msbs: dst=0 src0=0 src1=1 src2=1
	v_add3_u32 v5, v5, v155 /*v411*/, v158 /*v414*/
	v_add3_u32 v3, v3, v165 /*v421*/, v166 /*v422*/
	s_set_vgpr_msb 0x41                     ;  msbs: dst=1 src0=1 src1=0 src2=0
	v_mul_i32_i24_e32 v165 /*v421*/, v204 /*v460*/, v233
	v_mul_i32_i24_e32 v166 /*v422*/, v205 /*v461*/, v235
	;; [unrolled: 1-line block ×3, first 2 shown]
	s_set_vgpr_msb 20                       ;  msbs: dst=0 src0=0 src1=1 src2=1
	v_add3_u32 v5, v5, v160 /*v416*/, v161 /*v417*/
	v_add3_u32 v3, v3, v167 /*v423*/, v170 /*v426*/
	s_set_vgpr_msb 0x41                     ;  msbs: dst=1 src0=1 src1=0 src2=0
	v_mul_i32_i24_e32 v167 /*v423*/, v206 /*v462*/, v236
	v_mul_i32_i24_e32 v170 /*v426*/, v207 /*v463*/, v231
	s_set_vgpr_msb 64                       ;  msbs: dst=1 src0=0 src1=0 src2=0
	v_mul_i32_i24_e32 v155 /*v411*/, v4, v157
	s_set_vgpr_msb 20                       ;  msbs: dst=0 src0=0 src1=1 src2=1
	v_add3_u32 v5, v5, v162 /*v418*/, v163 /*v419*/
	v_add3_u32 v3, v3, v171 /*v427*/, v178 /*v434*/
	s_set_vgpr_msb 0x41                     ;  msbs: dst=1 src0=1 src1=0 src2=0
	v_mul_i32_i24_e32 v171 /*v427*/, v208 /*v464*/, v237
	v_mul_i32_i24_e32 v178 /*v434*/, v209 /*v465*/, v238
	s_set_vgpr_msb 17                       ;  msbs: dst=0 src0=1 src1=0 src2=1
	v_add3_u32 v6, v153 /*v409*/, v6, v155 /*v411*/
	s_set_vgpr_msb 20                       ;  msbs: dst=0 src0=0 src1=1 src2=1
	v_add3_u32 v5, v5, v164 /*v420*/, v165 /*v421*/
	v_add3_u32 v3, v3, v179 /*v435*/, v221 /*v477*/
	s_set_vgpr_msb 0x41                     ;  msbs: dst=1 src0=1 src1=0 src2=0
	v_mul_i32_i24_e32 v179 /*v435*/, v210 /*v466*/, v239
	s_set_vgpr_msb 0x44                     ;  msbs: dst=1 src0=0 src1=1 src2=0
	v_mul_i32_i24_e32 v221 /*v477*/, v241, v211 /*v467*/
	s_set_vgpr_msb 0                        ;  msbs: dst=0 src0=0 src1=0 src2=0
	v_mul_lo_u32 v6, v6, v158
	s_set_vgpr_msb 20                       ;  msbs: dst=0 src0=0 src1=1 src2=1
	v_add3_u32 v5, v5, v166 /*v422*/, v167 /*v423*/
	v_add3_u32 v3, v3, v222 /*v478*/, v223 /*v479*/
	s_set_vgpr_msb 0x44                     ;  msbs: dst=1 src0=0 src1=1 src2=0
	v_mul_i32_i24_e32 v222 /*v478*/, v240, v180 /*v436*/
	v_mul_i32_i24_e32 v223 /*v479*/, v242, v212 /*v468*/
	v_mul_i32_i24_e32 v153 /*v409*/, v117, v183 /*v439*/
	s_set_vgpr_msb 20                       ;  msbs: dst=0 src0=0 src1=1 src2=1
	v_add3_u32 v5, v5, v170 /*v426*/, v171 /*v427*/
	v_add3_u32 v3, v3, v224 /*v480*/, v225 /*v481*/
	s_set_vgpr_msb 0x44                     ;  msbs: dst=1 src0=0 src1=1 src2=0
	v_mul_i32_i24_e32 v224 /*v480*/, v243, v213 /*v469*/
	v_mul_i32_i24_e32 v225 /*v481*/, v245, v214 /*v470*/
	s_set_vgpr_msb 64                       ;  msbs: dst=1 src0=0 src1=0 src2=0
	v_mul_i32_i24_e32 v155 /*v411*/, v117, v8
	s_set_vgpr_msb 20                       ;  msbs: dst=0 src0=0 src1=1 src2=1
	v_add3_u32 v5, v5, v178 /*v434*/, v179 /*v435*/
	v_add3_u32 v3, v3, v226 /*v482*/, v227 /*v483*/
	s_set_vgpr_msb 0x44                     ;  msbs: dst=1 src0=0 src1=1 src2=0
	v_mul_i32_i24_e32 v226 /*v482*/, v244, v181 /*v437*/
	v_mul_i32_i24_e32 v227 /*v483*/, v246, v215 /*v471*/
	v_cvt_f32_i32_e32 v160 /*v416*/, v6
	s_set_vgpr_msb 20                       ;  msbs: dst=0 src0=0 src1=1 src2=1
	v_add3_u32 v5, v5, v221 /*v477*/, v222 /*v478*/
	v_add3_u32 v3, v3, v228 /*v484*/, v229 /*v485*/
	s_set_vgpr_msb 0x44                     ;  msbs: dst=1 src0=0 src1=1 src2=0
	v_mul_i32_i24_e32 v228 /*v484*/, v247, v216 /*v472*/
	v_mul_i32_i24_e32 v229 /*v485*/, v249, v217 /*v473*/
	s_set_vgpr_msb 1                        ;  msbs: dst=0 src0=1 src1=0 src2=0
	v_mul_i32_i24_e32 v6, v220 /*v476*/, v150
	s_set_vgpr_msb 20                       ;  msbs: dst=0 src0=0 src1=1 src2=1
	v_add3_u32 v5, v5, v223 /*v479*/, v224 /*v480*/
	v_add3_u32 v3, v3, v230 /*v486*/, v231 /*v487*/
	s_set_vgpr_msb 0x44                     ;  msbs: dst=1 src0=0 src1=1 src2=0
	v_mul_i32_i24_e32 v230 /*v486*/, v248, v182 /*v438*/
	s_set_vgpr_msb 0x41                     ;  msbs: dst=1 src0=1 src1=0 src2=0
	v_mul_i32_i24_e32 v231 /*v487*/, v218 /*v474*/, v250
	s_set_vgpr_msb 0x44                     ;  msbs: dst=1 src0=0 src1=1 src2=0
	v_pk_fma_f32 v[162:163] /*v[418:419]*/, v[106:107], v[174:175] /*v[430:431]*/, 0 op_sel_hi:[0,1,0]
	s_set_vgpr_msb 20                       ;  msbs: dst=0 src0=0 src1=1 src2=1
	v_add3_u32 v5, v5, v225 /*v481*/, v226 /*v482*/
	v_add3_u32 v3, v3, v232 /*v488*/, v158 /*v414*/
	s_set_vgpr_msb 0                        ;  msbs: dst=0 src0=0 src1=0 src2=0
	v_mul_i32_i24_e32 v4, v4, v252
	v_mul_i32_i24_e32 v8, v152, v8
	s_set_vgpr_msb 0x54                     ;  msbs: dst=1 src0=0 src1=1 src2=1
	v_pk_fma_f32 v[158:159] /*v[414:415]*/, v[108:109], v[168:169] /*v[424:425]*/, v[162:163] /*v[418:419]*/ op_sel_hi:[0,1,1]
	s_set_vgpr_msb 20                       ;  msbs: dst=0 src0=0 src1=1 src2=1
	v_add3_u32 v5, v5, v227 /*v483*/, v228 /*v484*/
	s_set_vgpr_msb 0                        ;  msbs: dst=0 src0=0 src1=0 src2=0
	v_mul_lo_u32 v3, v3, v158
	v_add3_u32 v1, v2, v1, v4
	s_set_vgpr_msb 0x41                     ;  msbs: dst=1 src0=1 src1=0 src2=0
	v_pk_mul_f32 v[158:159] /*v[414:415]*/, v[158:159] /*v[414:415]*/, v[98:99]
	s_set_vgpr_msb 20                       ;  msbs: dst=0 src0=0 src1=1 src2=1
	v_add3_u32 v5, v5, v229 /*v485*/, v230 /*v486*/
	s_set_vgpr_msb 0                        ;  msbs: dst=0 src0=0 src1=0 src2=0
	v_mul_lo_u32 v1, v1, v253
	s_set_vgpr_msb 20                       ;  msbs: dst=0 src0=0 src1=1 src2=1
	s_delay_alu instid0(VALU_DEP_2)
	v_add3_u32 v5, v5, v231 /*v487*/, v233 /*v489*/
	s_set_vgpr_msb 64                       ;  msbs: dst=1 src0=0 src1=0 src2=0
	v_cvt_f32_i32_e32 v161 /*v417*/, v3
	s_set_vgpr_msb 16                       ;  msbs: dst=0 src0=0 src1=0 src2=1
	v_mul_i32_i24_e32 v3, v0, v150
	v_mul_i32_i24_e32 v0, v0, v153
	v_add3_u32 v5, v5, v6, v155 /*v411*/
	s_set_vgpr_msb 4                        ;  msbs: dst=0 src0=0 src1=1 src2=0
	v_mul_i32_i24_e32 v6, v15, v1 /*v257*/
	v_mul_i32_i24_e32 v15, v24, v7 /*v263*/
	s_set_vgpr_msb 17                       ;  msbs: dst=0 src0=1 src1=0 src2=1
	v_add3_u32 v3, v156 /*v412*/, v3, v153 /*v409*/
	s_set_vgpr_msb 4                        ;  msbs: dst=0 src0=0 src1=1 src2=0
	v_mul_i32_i24_e32 v24, v31, v13 /*v269*/
	s_set_vgpr_msb 0                        ;  msbs: dst=0 src0=0 src1=0 src2=0
	v_mul_lo_u32 v5, v5, v151
	s_set_vgpr_msb 1                        ;  msbs: dst=0 src0=1 src1=0 src2=0
	v_mul_i32_i24_e32 v31, v18 /*v274*/, v84
	s_set_vgpr_msb 5                        ;  msbs: dst=0 src0=1 src1=1 src2=0
	v_mul_i32_i24_e32 v84, v24 /*v280*/, v188 /*v444*/
	s_set_vgpr_msb 0                        ;  msbs: dst=0 src0=0 src1=0 src2=0
	v_mul_lo_u32 v3, v3, v151
	s_set_vgpr_msb 0x45                     ;  msbs: dst=1 src0=1 src1=1 src2=0
	v_mul_i32_i24_e32 v153 /*v409*/, v190 /*v446*/, v32 /*v288*/
	v_mul_i32_i24_e32 v155 /*v411*/, v191 /*v447*/, v33 /*v289*/
	v_pk_fma_f32 v[160:161] /*v[416:417]*/, v[172:173] /*v[428:429]*/, v[160:161] /*v[416:417]*/, 0 op_sel_hi:[1,1,0]
	s_set_vgpr_msb 64                       ;  msbs: dst=1 src0=0 src1=0 src2=0
	v_cvt_f32_i32_e32 v157 /*v413*/, v5
	s_set_vgpr_msb 4                        ;  msbs: dst=0 src0=0 src1=1 src2=0
	v_mul_i32_i24_e32 v5, v14, v0 /*v256*/
	v_mul_i32_i24_e32 v14, v22, v6 /*v262*/
	s_set_vgpr_msb 64                       ;  msbs: dst=1 src0=0 src1=0 src2=0
	v_cvt_f32_i32_e32 v156 /*v412*/, v3
	s_set_vgpr_msb 0                        ;  msbs: dst=0 src0=0 src1=0 src2=0
	v_mul_i32_i24_e32 v3, v12, v255
	s_set_vgpr_msb 4                        ;  msbs: dst=0 src0=0 src1=1 src2=0
	v_mul_i32_i24_e32 v12, v20, v4 /*v260*/
	v_mul_i32_i24_e32 v20, v28, v10 /*v266*/
	v_mul_i32_i24_e32 v22, v30, v12 /*v268*/
	s_set_vgpr_msb 1                        ;  msbs: dst=0 src0=1 src1=0 src2=0
	v_mul_i32_i24_e32 v28, v17 /*v273*/, v42
	s_set_vgpr_msb 0                        ;  msbs: dst=0 src0=0 src1=0 src2=0
	v_mad_i32_i24 v3, v13, v254, v3
	s_set_vgpr_msb 4                        ;  msbs: dst=0 src0=0 src1=1 src2=0
	v_mul_i32_i24_e32 v13, v21, v5 /*v261*/
	v_mul_i32_i24_e32 v21, v29, v11 /*v267*/
	s_set_vgpr_msb 1                        ;  msbs: dst=0 src0=1 src1=0 src2=0
	v_mul_i32_i24_e32 v29, v16 /*v272*/, v44
	v_mul_i32_i24_e32 v30, v19 /*v275*/, v46
	s_set_vgpr_msb 0                        ;  msbs: dst=0 src0=0 src1=0 src2=0
	v_add3_u32 v3, v3, v5, v6
	s_set_vgpr_msb 4                        ;  msbs: dst=0 src0=0 src1=1 src2=0
	v_mul_i32_i24_e32 v5, v16, v2 /*v258*/
	v_mul_i32_i24_e32 v6, v18, v3 /*v259*/
	;; [unrolled: 1-line block ×6, first 2 shown]
	s_set_vgpr_msb 0                        ;  msbs: dst=0 src0=0 src1=0 src2=0
	v_add3_u32 v3, v3, v5, v6
	s_set_vgpr_msb 5                        ;  msbs: dst=0 src0=1 src1=1 src2=0
	v_mul_i32_i24_e32 v5, v193 /*v449*/, v28 /*v284*/
	v_mul_i32_i24_e32 v6, v195 /*v451*/, v25 /*v281*/
	s_set_vgpr_msb 1                        ;  msbs: dst=0 src0=1 src1=0 src2=0
	v_mul_i32_i24_e32 v38, v21 /*v277*/, v126
	s_set_vgpr_msb 5                        ;  msbs: dst=0 src0=1 src1=1 src2=0
	v_mul_i32_i24_e32 v40, v20 /*v276*/, v184 /*v440*/
	s_set_vgpr_msb 0                        ;  msbs: dst=0 src0=0 src1=0 src2=0
	v_add3_u32 v3, v3, v12, v13
	s_set_vgpr_msb 5                        ;  msbs: dst=0 src0=1 src1=1 src2=0
	v_mul_i32_i24_e32 v12, v196 /*v452*/, v31 /*v287*/
	v_mad_i32_i24 v5, v194 /*v450*/, v27 /*v283*/, v5
	v_mul_i32_i24_e32 v13, v199 /*v455*/, v29 /*v285*/
	v_mul_i32_i24_e32 v42, v23 /*v279*/, v185 /*v441*/
	s_set_vgpr_msb 0                        ;  msbs: dst=0 src0=0 src1=0 src2=0
	v_add3_u32 v3, v3, v14, v15
	s_set_vgpr_msb 5                        ;  msbs: dst=0 src0=1 src1=1 src2=0
	v_mul_i32_i24_e32 v14, v200 /*v456*/, v37 /*v293*/
	s_set_vgpr_msb 0                        ;  msbs: dst=0 src0=0 src1=0 src2=0
	v_add3_u32 v5, v5, v6, v12
	s_set_vgpr_msb 5                        ;  msbs: dst=0 src0=1 src1=1 src2=0
	v_mul_i32_i24_e32 v6, v197 /*v453*/, v34 /*v290*/
	v_mul_i32_i24_e32 v12, v198 /*v454*/, v35 /*v291*/
	s_set_vgpr_msb 0                        ;  msbs: dst=0 src0=0 src1=0 src2=0
	v_add3_u32 v3, v3, v16, v18
	s_set_vgpr_msb 5                        ;  msbs: dst=0 src0=1 src1=1 src2=0
	v_mul_i32_i24_e32 v15, v201 /*v457*/, v38 /*v294*/
	v_mul_i32_i24_e32 v16, v202 /*v458*/, v39 /*v295*/
	v_mul_i32_i24_e32 v18, v203 /*v459*/, v36 /*v292*/
	s_set_vgpr_msb 0                        ;  msbs: dst=0 src0=0 src1=0 src2=0
	v_add3_u32 v5, v5, v6, v12
	v_add3_u32 v3, v3, v20, v21
	s_set_vgpr_msb 5                        ;  msbs: dst=0 src0=1 src1=1 src2=0
	v_mul_i32_i24_e32 v20, v204 /*v460*/, v41 /*v297*/
	v_mul_i32_i24_e32 v21, v205 /*v461*/, v42 /*v298*/
	v_mul_i32_i24_e32 v44, v22 /*v278*/, v186 /*v442*/
	s_set_vgpr_msb 0                        ;  msbs: dst=0 src0=0 src1=0 src2=0
	v_add3_u32 v5, v5, v13, v14
	;; [unrolled: 7-line block ×4, first 2 shown]
	v_add3_u32 v3, v3, v28, v29
	s_set_vgpr_msb 5                        ;  msbs: dst=0 src0=1 src1=1 src2=0
	v_mul_i32_i24_e32 v28, v210 /*v466*/, v46 /*v302*/
	v_mul_i32_i24_e32 v29, v48 /*v304*/, v211 /*v467*/
	s_set_vgpr_msb 0x55                     ;  msbs: dst=1 src0=1 src1=1 src2=1
	v_pk_fma_f32 v[156:157] /*v[412:413]*/, v[176:177] /*v[432:433]*/, v[156:157] /*v[412:413]*/, v[160:161] /*v[416:417]*/
	s_set_vgpr_msb 0                        ;  msbs: dst=0 src0=0 src1=0 src2=0
	v_add3_u32 v5, v5, v21, v22
	v_add3_u32 v3, v3, v30, v31
	s_set_vgpr_msb 5                        ;  msbs: dst=0 src0=1 src1=1 src2=0
	v_mul_i32_i24_e32 v30, v47 /*v303*/, v180 /*v436*/
	v_mul_i32_i24_e32 v31, v49 /*v305*/, v212 /*v468*/
	s_set_vgpr_msb 0x51                     ;  msbs: dst=1 src0=1 src1=0 src2=1
	v_pk_fma_f32 v[156:157] /*v[412:413]*/, v[156:157] /*v[412:413]*/, v[90:91], v[158:159] /*v[414:415]*/ neg_lo:[0,0,1] neg_hi:[0,0,1]
	s_set_vgpr_msb 0                        ;  msbs: dst=0 src0=0 src1=0 src2=0
	v_add3_u32 v5, v5, v24, v26
	v_add3_u32 v3, v3, v38, v40
	s_set_vgpr_msb 5                        ;  msbs: dst=0 src0=1 src1=1 src2=0
	v_mul_i32_i24_e32 v38, v50 /*v306*/, v213 /*v469*/
	v_mul_i32_i24_e32 v40, v52 /*v308*/, v214 /*v470*/
	s_set_vgpr_msb 4                        ;  msbs: dst=0 src0=0 src1=1 src2=0
	v_pk_add_f32 v[74:75], v[74:75], v[156:157] /*v[412:413]*/
	s_set_vgpr_msb 0                        ;  msbs: dst=0 src0=0 src1=0 src2=0
	v_add3_u32 v5, v5, v27, v28
	v_add3_u32 v3, v3, v42, v44
	s_set_vgpr_msb 5                        ;  msbs: dst=0 src0=1 src1=1 src2=0
	v_mul_i32_i24_e32 v42, v51 /*v307*/, v181 /*v437*/
	v_mul_i32_i24_e32 v44, v53 /*v309*/, v215 /*v471*/
	s_set_vgpr_msb 0x45                     ;  msbs: dst=1 src0=1 src1=1 src2=0
	v_mul_i32_i24_e32 v156 /*v412*/, v219 /*v475*/, v58 /*v314*/
	s_set_vgpr_msb 0                        ;  msbs: dst=0 src0=0 src1=0 src2=0
	v_add3_u32 v5, v5, v29, v30
	v_add3_u32 v3, v3, v46, v84
	s_set_vgpr_msb 5                        ;  msbs: dst=0 src0=1 src1=1 src2=0
	v_mul_i32_i24_e32 v46, v54 /*v310*/, v216 /*v472*/
	v_mul_i32_i24_e32 v84, v56 /*v312*/, v217 /*v473*/
	s_set_vgpr_msb 4                        ;  msbs: dst=0 src0=0 src1=1 src2=0
	v_mul_i32_i24_e32 v12, v152, v183 /*v439*/
	s_set_vgpr_msb 0                        ;  msbs: dst=0 src0=0 src1=0 src2=0
	v_add3_u32 v5, v5, v31, v38
	s_set_vgpr_msb 16                       ;  msbs: dst=0 src0=0 src1=0 src2=1
	v_add3_u32 v3, v3, v126, v153 /*v409*/
	s_set_vgpr_msb 5                        ;  msbs: dst=0 src0=1 src1=1 src2=0
	v_mul_i32_i24_e32 v126, v55 /*v311*/, v182 /*v438*/
	s_set_vgpr_msb 0x45                     ;  msbs: dst=1 src0=1 src1=1 src2=0
	v_mul_i32_i24_e32 v153 /*v409*/, v218 /*v474*/, v57 /*v313*/
	s_set_vgpr_msb 0                        ;  msbs: dst=0 src0=0 src1=0 src2=0
	v_add3_u32 v0, v7, v0, v12
	v_add3_u32 v5, v5, v40, v42
	s_delay_alu instid0(VALU_DEP_2) | instskip(NEXT) | instid1(VALU_DEP_2)
	v_mul_lo_u32 v0, v0, v154
	v_add3_u32 v5, v5, v44, v46
	s_delay_alu instid0(VALU_DEP_1) | instskip(SKIP_3) | instid1(VALU_DEP_2)
	v_add3_u32 v6, v5, v84, v126
	s_set_vgpr_msb 1                        ;  msbs: dst=0 src0=1 src1=0 src2=0
	v_mul_i32_i24_e32 v5, v192 /*v448*/, v252
	s_set_vgpr_msb 20                       ;  msbs: dst=0 src0=0 src1=1 src2=1
	v_add3_u32 v6, v6, v153 /*v409*/, v156 /*v412*/
	s_set_vgpr_msb 4                        ;  msbs: dst=0 src0=0 src1=1 src2=0
	s_delay_alu instid0(VALU_DEP_2) | instskip(SKIP_3) | instid1(VALU_DEP_3)
	v_add3_u32 v3, v3, v155 /*v411*/, v5
	v_pk_fma_f32 v[4:5], v[112:113], v[174:175] /*v[430:431]*/, 0 op_sel_hi:[0,1,0]
	v_cvt_f32_i32_e32 v0, v0
	s_set_vgpr_msb 0                        ;  msbs: dst=0 src0=0 src1=0 src2=0
	v_mul_lo_u32 v2, v3, v253
	s_delay_alu instid0(VALU_DEP_1) | instskip(SKIP_3) | instid1(VALU_DEP_2)
	v_cvt_f32_i32_e32 v3, v2
	v_cvt_f32_i32_e32 v2, v1
	s_set_vgpr_msb 1                        ;  msbs: dst=0 src0=1 src1=0 src2=0
	v_mul_i32_i24_e32 v1, v220 /*v476*/, v153
	v_pk_fma_f32 v[2:3], v[172:173] /*v[428:429]*/, v[2:3], 0 op_sel_hi:[1,1,0]
	s_set_vgpr_msb 0                        ;  msbs: dst=0 src0=0 src1=0 src2=0
	s_delay_alu instid0(VALU_DEP_2) | instskip(NEXT) | instid1(VALU_DEP_1)
	v_add3_u32 v1, v6, v1, v8
	v_mul_lo_u32 v1, v1, v154
	s_delay_alu instid0(VALU_DEP_1) | instskip(SKIP_1) | instid1(VALU_DEP_1)
	v_cvt_f32_i32_e32 v1, v1
	s_set_vgpr_msb 1                        ;  msbs: dst=0 src0=1 src1=0 src2=0
	v_pk_fma_f32 v[0:1], v[176:177] /*v[432:433]*/, v[0:1], v[2:3]
	s_set_vgpr_msb 4                        ;  msbs: dst=0 src0=0 src1=1 src2=0
	v_pk_fma_f32 v[2:3], v[110:111], v[168:169] /*v[424:425]*/, v[4:5] op_sel_hi:[0,1,1]
	s_set_vgpr_msb 0                        ;  msbs: dst=0 src0=0 src1=0 src2=0
	s_delay_alu instid0(VALU_DEP_1) | instskip(NEXT) | instid1(VALU_DEP_1)
	v_pk_mul_f32 v[2:3], v[2:3], v[100:101]
	v_pk_fma_f32 v[0:1], v[0:1], v[92:93], v[2:3] neg_lo:[0,0,1] neg_hi:[0,0,1]
	s_delay_alu instid0(VALU_DEP_1) | instskip(SKIP_1) | instid1(VALU_DEP_1)
	v_pk_add_f32 v[80:81], v[80:81], v[0:1]
	v_or_b32_e32 v0, s12, v134
	v_dual_lshlrev_b32 v1, 2, v0 :: v_dual_lshrrev_b32 v5, 1, v0
	s_set_vgpr_msb 64                       ;  msbs: dst=1 src0=0 src1=0 src2=0
	ds_load_b128 v[152:155] /*v[408:411]*/, v1 offset:16896
	ds_load_b128 v[156:159] /*v[412:415]*/, v1 offset:16912
	;; [unrolled: 1-line block ×3, first 2 shown]
	s_set_vgpr_msb 0                        ;  msbs: dst=0 src0=0 src1=0 src2=0
	ds_load_b128 v[0:3], v1 offset:16944
	s_wait_dscnt 0x3
	s_set_vgpr_msb 1                        ;  msbs: dst=0 src0=1 src1=0 src2=0
	v_bfe_i32 v7, v152 /*v408*/, 0, 8
	v_bfe_i32 v8, v152 /*v408*/, 8, 8
	;; [unrolled: 1-line block ×3, first 2 shown]
	s_set_vgpr_msb 4                        ;  msbs: dst=0 src0=0 src1=1 src2=0
	v_dual_ashrrev_i32 v13, 24, v152 /*v408*/ :: v_dual_ashrrev_i32 v18, 24, v153 /*v409*/
	s_wait_dscnt 0x0
	s_set_vgpr_msb 64                       ;  msbs: dst=1 src0=0 src1=0 src2=0
	v_bfe_i32 v192 /*v448*/, v1, 0, 8
	v_bfe_i32 v193 /*v449*/, v1, 8, 8
	;; [unrolled: 1-line block ×3, first 2 shown]
	v_ashrrev_i32_e32 v195 /*v451*/, 24, v1
	s_set_vgpr_msb 4                        ;  msbs: dst=0 src0=0 src1=1 src2=0
	v_mul_i32_i24_e32 v1, v7, v94 /*v350*/
	s_set_vgpr_msb 1                        ;  msbs: dst=0 src0=1 src1=0 src2=0
	v_bfe_i32 v14, v153 /*v409*/, 0, 8
	v_bfe_i32 v15, v153 /*v409*/, 8, 8
	s_set_vgpr_msb 64                       ;  msbs: dst=1 src0=0 src1=0 src2=0
	v_bfe_i32 v196 /*v452*/, v2, 0, 8
	v_bfe_i32 v197 /*v453*/, v2, 8, 8
	;; [unrolled: 1-line block ×3, first 2 shown]
	v_ashrrev_i32_e32 v199 /*v455*/, 24, v2
	s_set_vgpr_msb 4                        ;  msbs: dst=0 src0=0 src1=1 src2=0
	v_mul_i32_i24_e32 v2, v12, v95 /*v351*/
	v_mul_i32_i24_e32 v6, v13, v96 /*v352*/
	v_mad_i32_i24 v1, v8, v93 /*v349*/, v1
	s_set_vgpr_msb 1                        ;  msbs: dst=0 src0=1 src1=0 src2=0
	v_bfe_i32 v16, v153 /*v409*/, 16, 8
	v_bfe_i32 v20, v154 /*v410*/, 0, 8
	;; [unrolled: 1-line block ×3, first 2 shown]
	s_set_vgpr_msb 4                        ;  msbs: dst=0 src0=0 src1=1 src2=0
	v_dual_ashrrev_i32 v24, 24, v154 /*v410*/ :: v_dual_ashrrev_i32 v29, 24, v155 /*v411*/
	s_set_vgpr_msb 0                        ;  msbs: dst=0 src0=0 src1=0 src2=0
	v_add3_u32 v1, v1, v2, v6
	s_set_vgpr_msb 4                        ;  msbs: dst=0 src0=0 src1=1 src2=0
	v_mul_i32_i24_e32 v2, v14, v97 /*v353*/
	v_mul_i32_i24_e32 v6, v15, v98 /*v354*/
	s_set_vgpr_msb 1                        ;  msbs: dst=0 src0=1 src1=0 src2=0
	v_bfe_i32 v26, v155 /*v411*/, 0, 8
	v_bfe_i32 v27, v155 /*v411*/, 8, 8
	;; [unrolled: 1-line block ×3, first 2 shown]
	s_set_vgpr_msb 0x44                     ;  msbs: dst=1 src0=0 src1=1 src2=0
	v_mul_i32_i24_e32 v153 /*v409*/, v16, v99 /*v355*/
	v_mul_i32_i24_e32 v155 /*v411*/, v18, v100 /*v356*/
	s_set_vgpr_msb 0                        ;  msbs: dst=0 src0=0 src1=0 src2=0
	v_add3_u32 v1, v1, v2, v6
	s_set_vgpr_msb 1                        ;  msbs: dst=0 src0=1 src1=0 src2=0
	v_bfe_i32 v22, v154 /*v410*/, 16, 8
	v_bfe_i32 v30, v156 /*v412*/, 0, 8
	;; [unrolled: 1-line block ×4, first 2 shown]
	s_set_vgpr_msb 4                        ;  msbs: dst=0 src0=0 src1=1 src2=0
	v_dual_ashrrev_i32 v40, 24, v156 /*v412*/ :: v_dual_ashrrev_i32 v84, 24, v157 /*v413*/
	s_set_vgpr_msb 1                        ;  msbs: dst=0 src0=1 src1=0 src2=0
	v_bfe_i32 v42, v157 /*v413*/, 0, 8
	v_bfe_i32 v44, v157 /*v413*/, 8, 8
	;; [unrolled: 1-line block ×3, first 2 shown]
	s_set_vgpr_msb 0x44                     ;  msbs: dst=1 src0=0 src1=1 src2=0
	v_mul_i32_i24_e32 v156 /*v412*/, v20, v101 /*v357*/
	v_mul_i32_i24_e32 v157 /*v413*/, v21, v102 /*v358*/
	s_set_vgpr_msb 20                       ;  msbs: dst=0 src0=0 src1=1 src2=1
	v_add3_u32 v1, v1, v153 /*v409*/, v155 /*v411*/
	s_set_vgpr_msb 1                        ;  msbs: dst=0 src0=1 src1=0 src2=0
	v_bfe_i32 v126, v158 /*v414*/, 0, 8
	s_set_vgpr_msb 0x41                     ;  msbs: dst=1 src0=1 src1=0 src2=0
	v_bfe_i32 v152 /*v408*/, v158 /*v414*/, 8, 8
	v_bfe_i32 v154 /*v410*/, v158 /*v414*/, 16, 8
	s_set_vgpr_msb 0x44                     ;  msbs: dst=1 src0=0 src1=1 src2=0
	v_dual_ashrrev_i32 v168 /*v424*/, 24, v158 /*v414*/ :: v_dual_ashrrev_i32 v175 /*v431*/, 24, v160 /*v416*/
	s_set_vgpr_msb 0x41                     ;  msbs: dst=1 src0=1 src1=0 src2=0
	v_bfe_i32 v169 /*v425*/, v159 /*v415*/, 0, 8
	v_bfe_i32 v170 /*v426*/, v159 /*v415*/, 8, 8
	;; [unrolled: 1-line block ×3, first 2 shown]
	s_set_vgpr_msb 4                        ;  msbs: dst=0 src0=0 src1=1 src2=0
	v_ashrrev_i32_e32 v4, 24, v159 /*v415*/
	s_set_vgpr_msb 0x44                     ;  msbs: dst=1 src0=0 src1=1 src2=0
	v_mul_i32_i24_e32 v158 /*v414*/, v22, v103 /*v359*/
	v_mul_i32_i24_e32 v159 /*v415*/, v24, v104 /*v360*/
	s_set_vgpr_msb 20                       ;  msbs: dst=0 src0=0 src1=1 src2=1
	v_add3_u32 v1, v1, v156 /*v412*/, v157 /*v413*/
	s_set_vgpr_msb 0x41                     ;  msbs: dst=1 src0=1 src1=0 src2=0
	v_bfe_i32 v176 /*v432*/, v161 /*v417*/, 0, 8
	v_bfe_i32 v177 /*v433*/, v161 /*v417*/, 8, 8
	;; [unrolled: 1-line block ×3, first 2 shown]
	s_set_vgpr_msb 0x44                     ;  msbs: dst=1 src0=0 src1=1 src2=0
	v_dual_ashrrev_i32 v179 /*v435*/, 24, v161 /*v417*/ :: v_dual_ashrrev_i32 v183 /*v439*/, 24, v162 /*v418*/
	s_set_vgpr_msb 0x41                     ;  msbs: dst=1 src0=1 src1=0 src2=0
	v_bfe_i32 v180 /*v436*/, v162 /*v418*/, 0, 8
	v_bfe_i32 v181 /*v437*/, v162 /*v418*/, 8, 8
	;; [unrolled: 1-line block ×3, first 2 shown]
	s_set_vgpr_msb 0x44                     ;  msbs: dst=1 src0=0 src1=1 src2=0
	v_mul_i32_i24_e32 v161 /*v417*/, v26, v105 /*v361*/
	v_mul_i32_i24_e32 v162 /*v418*/, v27, v106 /*v362*/
	s_set_vgpr_msb 20                       ;  msbs: dst=0 src0=0 src1=1 src2=1
	v_add3_u32 v1, v1, v158 /*v414*/, v159 /*v415*/
	s_set_vgpr_msb 0x41                     ;  msbs: dst=1 src0=1 src1=0 src2=0
	v_bfe_i32 v184 /*v440*/, v163 /*v419*/, 0, 8
	v_bfe_i32 v185 /*v441*/, v163 /*v419*/, 8, 8
	;; [unrolled: 1-line block ×3, first 2 shown]
	s_set_vgpr_msb 0x44                     ;  msbs: dst=1 src0=0 src1=1 src2=0
	v_ashrrev_i32_e32 v187 /*v443*/, 24, v163 /*v419*/
	v_mul_i32_i24_e32 v163 /*v419*/, v28, v107 /*v363*/
	v_mul_i32_i24_e32 v164 /*v420*/, v29, v108 /*v364*/
	s_set_vgpr_msb 20                       ;  msbs: dst=0 src0=0 src1=1 src2=1
	v_add3_u32 v1, v1, v161 /*v417*/, v162 /*v418*/
	s_set_vgpr_msb 0x44                     ;  msbs: dst=1 src0=0 src1=1 src2=0
	v_mul_i32_i24_e32 v165 /*v421*/, v30, v109 /*v365*/
	v_mul_i32_i24_e32 v166 /*v422*/, v31, v110 /*v366*/
	s_set_vgpr_msb 0x41                     ;  msbs: dst=1 src0=1 src1=0 src2=0
	v_mul_i32_i24_e32 v167 /*v423*/, v112 /*v368*/, v38
	v_mul_i32_i24_e32 v202 /*v458*/, v111 /*v367*/, v40
	s_set_vgpr_msb 20                       ;  msbs: dst=0 src0=0 src1=1 src2=1
	v_add3_u32 v1, v1, v163 /*v419*/, v164 /*v420*/
	s_set_vgpr_msb 0x41                     ;  msbs: dst=1 src0=1 src1=0 src2=0
	v_mul_i32_i24_e32 v203 /*v459*/, v114 /*v370*/, v42
	v_mul_i32_i24_e32 v204 /*v460*/, v113 /*v369*/, v44
	;; [unrolled: 1-line block ×4, first 2 shown]
	s_set_vgpr_msb 20                       ;  msbs: dst=0 src0=0 src1=1 src2=1
	v_add3_u32 v1, v1, v165 /*v421*/, v166 /*v422*/
	s_set_vgpr_msb 0x41                     ;  msbs: dst=1 src0=1 src1=0 src2=0
	v_mul_i32_i24_e32 v207 /*v463*/, v124 /*v380*/, v126
	s_set_vgpr_msb 0x45                     ;  msbs: dst=1 src0=1 src1=1 src2=0
	v_mul_i32_i24_e32 v208 /*v464*/, v117 /*v373*/, v152 /*v408*/
	v_mul_i32_i24_e32 v209 /*v465*/, v128 /*v384*/, v154 /*v410*/
	;; [unrolled: 1-line block ×3, first 2 shown]
	s_set_vgpr_msb 20                       ;  msbs: dst=0 src0=0 src1=1 src2=1
	v_add3_u32 v1, v1, v167 /*v423*/, v202 /*v458*/
	s_set_vgpr_msb 0x45                     ;  msbs: dst=1 src0=1 src1=1 src2=0
	v_bfe_i32 v172 /*v428*/, v160 /*v416*/, 0, 8
	v_mul_i32_i24_e32 v211 /*v467*/, v169 /*v425*/, v130 /*v386*/
	v_mul_i32_i24_e32 v212 /*v468*/, v170 /*v426*/, v131 /*v387*/
	v_bfe_i32 v173 /*v429*/, v160 /*v416*/, 8, 8
	s_set_vgpr_msb 20                       ;  msbs: dst=0 src0=0 src1=1 src2=1
	v_add3_u32 v1, v1, v203 /*v459*/, v204 /*v460*/
	s_set_vgpr_msb 0x41                     ;  msbs: dst=1 src0=1 src1=0 src2=0
	v_bfe_i32 v174 /*v430*/, v160 /*v416*/, 16, 8
	s_set_vgpr_msb 5                        ;  msbs: dst=0 src0=1 src1=1 src2=0
	v_mul_i32_i24_e32 v6, v126 /*v382*/, v175 /*v431*/
	s_set_vgpr_msb 0x45                     ;  msbs: dst=1 src0=1 src1=1 src2=0
	v_mul_i32_i24_e32 v153 /*v409*/, v135 /*v391*/, v178 /*v434*/
	v_mul_i32_i24_e32 v155 /*v411*/, v118 /*v374*/, v179 /*v435*/
	s_set_vgpr_msb 20                       ;  msbs: dst=0 src0=0 src1=1 src2=1
	v_add3_u32 v1, v1, v205 /*v461*/, v206 /*v462*/
	s_set_vgpr_msb 5                        ;  msbs: dst=0 src0=1 src1=1 src2=0
	v_mul_i32_i24_e32 v2, v134 /*v390*/, v174 /*v430*/
	s_set_vgpr_msb 0x45                     ;  msbs: dst=1 src0=1 src1=1 src2=0
	v_mul_i32_i24_e32 v156 /*v412*/, v139 /*v395*/, v180 /*v436*/
	v_mul_i32_i24_e32 v157 /*v413*/, v138 /*v394*/, v181 /*v437*/
	v_mul_i32_i24_e32 v158 /*v414*/, v137 /*v393*/, v182 /*v438*/
	s_set_vgpr_msb 20                       ;  msbs: dst=0 src0=0 src1=1 src2=1
	v_add3_u32 v1, v1, v207 /*v463*/, v208 /*v464*/
	s_set_vgpr_msb 0x45                     ;  msbs: dst=1 src0=1 src1=1 src2=0
	v_mul_i32_i24_e32 v159 /*v415*/, v119 /*v375*/, v183 /*v439*/
	v_mul_i32_i24_e32 v161 /*v417*/, v142 /*v398*/, v184 /*v440*/
	;; [unrolled: 1-line block ×3, first 2 shown]
	s_set_vgpr_msb 64                       ;  msbs: dst=1 src0=0 src1=0 src2=0
	v_bfe_i32 v188 /*v444*/, v0, 0, 8
	s_set_vgpr_msb 20                       ;  msbs: dst=0 src0=0 src1=1 src2=1
	v_add3_u32 v1, v1, v209 /*v465*/, v210 /*v466*/
	s_set_vgpr_msb 64                       ;  msbs: dst=1 src0=0 src1=0 src2=0
	v_bfe_i32 v189 /*v445*/, v0, 8, 8
	s_set_vgpr_msb 0x45                     ;  msbs: dst=1 src0=1 src1=1 src2=0
	v_mul_i32_i24_e32 v164 /*v420*/, v140 /*v396*/, v186 /*v442*/
	v_mul_i32_i24_e32 v167 /*v423*/, v120 /*v376*/, v187 /*v443*/
	s_set_vgpr_msb 0x54                     ;  msbs: dst=1 src0=0 src1=1 src2=1
	v_bfe_i32 v190 /*v446*/, v0, 16, 8
	v_add3_u32 v163 /*v419*/, v1, v211 /*v467*/, v212 /*v468*/
	s_set_vgpr_msb 4                        ;  msbs: dst=0 src0=0 src1=1 src2=0
	v_mul_i32_i24_e32 v1, v118, v172 /*v428*/
	s_set_vgpr_msb 64                       ;  msbs: dst=1 src0=0 src1=0 src2=0
	v_ashrrev_i32_e32 v191 /*v447*/, 24, v0
	s_set_vgpr_msb 0x45                     ;  msbs: dst=1 src0=1 src1=1 src2=0
	v_mul_i32_i24_e32 v202 /*v458*/, v145 /*v401*/, v188 /*v444*/
	v_mul_i32_i24_e32 v203 /*v459*/, v144 /*v400*/, v189 /*v445*/
	;; [unrolled: 1-line block ×3, first 2 shown]
	s_set_vgpr_msb 5                        ;  msbs: dst=0 src0=1 src1=1 src2=0
	v_mad_i32_i24 v1, v133 /*v389*/, v173 /*v429*/, v1
	s_set_vgpr_msb 0x45                     ;  msbs: dst=1 src0=1 src1=1 src2=0
	v_mul_i32_i24_e32 v205 /*v461*/, v121 /*v377*/, v191 /*v447*/
	v_mul_i32_i24_e32 v206 /*v462*/, v148 /*v404*/, v192 /*v448*/
	;; [unrolled: 1-line block ×4, first 2 shown]
	s_set_vgpr_msb 0                        ;  msbs: dst=0 src0=0 src1=0 src2=0
	v_add3_u32 v1, v1, v2, v6
	s_set_vgpr_msb 4                        ;  msbs: dst=0 src0=0 src1=1 src2=0
	v_mul_i32_i24_e32 v2, v119, v176 /*v432*/
	s_set_vgpr_msb 5                        ;  msbs: dst=0 src0=1 src1=1 src2=0
	v_mul_i32_i24_e32 v6, v136 /*v392*/, v177 /*v433*/
	s_set_vgpr_msb 0x45                     ;  msbs: dst=1 src0=1 src1=1 src2=0
	v_mul_i32_i24_e32 v209 /*v465*/, v122 /*v378*/, v195 /*v451*/
	v_mul_i32_i24_e32 v210 /*v466*/, v151 /*v407*/, v196 /*v452*/
	;; [unrolled: 1-line block ×4, first 2 shown]
	s_set_vgpr_msb 0                        ;  msbs: dst=0 src0=0 src1=0 src2=0
	v_add3_u32 v1, v1, v2, v6
	s_set_vgpr_msb 0x45                     ;  msbs: dst=1 src0=1 src1=1 src2=0
	v_mul_i32_i24_e32 v213 /*v469*/, v123 /*v379*/, v199 /*v455*/
	s_set_vgpr_msb 4                        ;  msbs: dst=0 src0=0 src1=1 src2=0
	v_mul_i32_i24_e32 v2, v12, v66 /*v322*/
	v_mul_i32_i24_e32 v6, v13, v67 /*v323*/
	s_set_vgpr_msb 0x45                     ;  msbs: dst=1 src0=1 src1=1 src2=0
	v_mul_i32_i24_e32 v214 /*v470*/, v91 /*v347*/, v154 /*v410*/
	s_set_vgpr_msb 20                       ;  msbs: dst=0 src0=0 src1=1 src2=1
	v_add3_u32 v1, v1, v153 /*v409*/, v155 /*v411*/
	s_set_vgpr_msb 0x44                     ;  msbs: dst=1 src0=0 src1=1 src2=0
	v_mul_i32_i24_e32 v153 /*v409*/, v16, v70 /*v326*/
	s_set_vgpr_msb 0x45                     ;  msbs: dst=1 src0=1 src1=1 src2=0
	v_mul_i32_i24_e32 v215 /*v471*/, v90 /*v346*/, v168 /*v424*/
	v_mul_i32_i24_e32 v216 /*v472*/, v169 /*v425*/, v92 /*v348*/
	s_set_vgpr_msb 0x41                     ;  msbs: dst=1 src0=1 src1=0 src2=0
	v_mul_i32_i24_e32 v217 /*v473*/, v170 /*v426*/, v183
	s_set_vgpr_msb 20                       ;  msbs: dst=0 src0=0 src1=1 src2=1
	v_add3_u32 v1, v1, v156 /*v412*/, v157 /*v413*/
	s_set_vgpr_msb 0x44                     ;  msbs: dst=1 src0=0 src1=1 src2=0
	v_mul_i32_i24_e32 v156 /*v412*/, v18, v71 /*v327*/
	v_mul_i32_i24_e32 v157 /*v413*/, v20, v72 /*v328*/
	;; [unrolled: 1-line block ×4, first 2 shown]
	s_set_vgpr_msb 20                       ;  msbs: dst=0 src0=0 src1=1 src2=1
	v_add3_u32 v1, v1, v158 /*v414*/, v159 /*v415*/
	s_set_vgpr_msb 0x44                     ;  msbs: dst=1 src0=0 src1=1 src2=0
	v_mul_i32_i24_e32 v158 /*v414*/, v21, v73 /*v329*/
	v_mul_i32_i24_e32 v159 /*v415*/, v22, v74 /*v330*/
	v_mul_i32_i24_e32 v220 /*v476*/, v203, v168 /*v424*/
	s_set_vgpr_msb 0x41                     ;  msbs: dst=1 src0=1 src1=0 src2=0
	v_mul_i32_i24_e32 v221 /*v477*/, v169 /*v425*/, v215
	s_set_vgpr_msb 20                       ;  msbs: dst=0 src0=0 src1=1 src2=1
	v_add3_u32 v1, v1, v161 /*v417*/, v162 /*v418*/
	s_set_vgpr_msb 0x44                     ;  msbs: dst=1 src0=0 src1=1 src2=0
	v_mul_i32_i24_e32 v161 /*v417*/, v24, v75 /*v331*/
	v_mul_i32_i24_e32 v162 /*v418*/, v26, v76 /*v332*/
	s_set_vgpr_msb 0x41                     ;  msbs: dst=1 src0=1 src1=0 src2=0
	v_mul_i32_i24_e32 v222 /*v478*/, v170 /*v426*/, v218
	s_set_vgpr_msb 0x44                     ;  msbs: dst=1 src0=0 src1=1 src2=0
	v_mul_i32_i24_e32 v223 /*v479*/, v248, v199 /*v455*/
	s_set_vgpr_msb 20                       ;  msbs: dst=0 src0=0 src1=1 src2=1
	v_add3_u32 v1, v1, v164 /*v420*/, v167 /*v423*/
	s_set_vgpr_msb 0x44                     ;  msbs: dst=1 src0=0 src1=1 src2=0
	v_mul_i32_i24_e32 v164 /*v420*/, v27, v77 /*v333*/
	s_set_vgpr_msb 0x45                     ;  msbs: dst=1 src0=1 src1=1 src2=0
	v_mul_i32_i24_e32 v160 /*v416*/, v171 /*v427*/, v132 /*v388*/
	s_set_vgpr_msb 0x41                     ;  msbs: dst=1 src0=1 src1=0 src2=0
	v_mul_i32_i24_e32 v155 /*v411*/, v171 /*v427*/, v185
	s_set_vgpr_msb 64                       ;  msbs: dst=1 src0=0 src1=0 src2=0
	v_bfe_i32 v200 /*v456*/, v3, 0, 8
	s_set_vgpr_msb 20                       ;  msbs: dst=0 src0=0 src1=1 src2=1
	v_add3_u32 v1, v1, v202 /*v458*/, v203 /*v459*/
	s_set_vgpr_msb 0x44                     ;  msbs: dst=1 src0=0 src1=1 src2=0
	v_mul_i32_i24_e32 v202 /*v458*/, v28, v78 /*v334*/
	v_mul_i32_i24_e32 v203 /*v459*/, v29, v79 /*v335*/
	v_bfe_i32 v201 /*v457*/, v3, 8, 8
	s_set_vgpr_msb 0x45                     ;  msbs: dst=1 src0=1 src1=1 src2=0
	v_mul_i32_i24_e32 v165 /*v421*/, v200 /*v456*/, v127 /*v383*/
	s_set_vgpr_msb 20                       ;  msbs: dst=0 src0=0 src1=1 src2=1
	v_add3_u32 v1, v1, v204 /*v460*/, v205 /*v461*/
	s_set_vgpr_msb 0x44                     ;  msbs: dst=1 src0=0 src1=1 src2=0
	v_mul_i32_i24_e32 v204 /*v460*/, v30, v80 /*v336*/
	v_mul_i32_i24_e32 v205 /*v461*/, v31, v81 /*v337*/
	s_set_vgpr_msb 0x45                     ;  msbs: dst=1 src0=1 src1=1 src2=0
	v_mul_i32_i24_e32 v166 /*v422*/, v201 /*v457*/, v129 /*v385*/
	s_set_vgpr_msb 20                       ;  msbs: dst=0 src0=0 src1=1 src2=1
	v_bfe_i32 v0, v3, 16, 8
	v_add3_u32 v1, v1, v206 /*v462*/, v207 /*v463*/
	s_set_vgpr_msb 0x41                     ;  msbs: dst=1 src0=1 src1=0 src2=0
	v_mul_i32_i24_e32 v206 /*v462*/, v83 /*v339*/, v38
	v_mul_i32_i24_e32 v207 /*v463*/, v82 /*v338*/, v40
	s_set_vgpr_msb 20                       ;  msbs: dst=0 src0=0 src1=1 src2=1
	v_add3_u32 v1, v1, v208 /*v464*/, v209 /*v465*/
	s_set_vgpr_msb 0x41                     ;  msbs: dst=1 src0=1 src1=0 src2=0
	v_mul_i32_i24_e32 v208 /*v464*/, v85 /*v341*/, v42
	v_mul_i32_i24_e32 v209 /*v465*/, v84 /*v340*/, v44
	s_set_vgpr_msb 20                       ;  msbs: dst=0 src0=0 src1=1 src2=1
	v_add3_u32 v1, v1, v210 /*v466*/, v211 /*v467*/
	s_set_vgpr_msb 0x41                     ;  msbs: dst=1 src0=1 src1=0 src2=0
	v_mul_i32_i24_e32 v210 /*v466*/, v87 /*v343*/, v46
	v_mul_i32_i24_e32 v211 /*v467*/, v86 /*v342*/, v84
	s_set_vgpr_msb 0x54                     ;  msbs: dst=1 src0=0 src1=1 src2=1
	v_add3_u32 v167 /*v423*/, v1, v212 /*v468*/, v213 /*v469*/
	s_set_vgpr_msb 4                        ;  msbs: dst=0 src0=0 src1=1 src2=0
	v_mul_i32_i24_e32 v1, v7, v65 /*v321*/
	s_set_vgpr_msb 0x41                     ;  msbs: dst=1 src0=1 src1=0 src2=0
	v_mul_i32_i24_e32 v212 /*v468*/, v89 /*v345*/, v126
	s_set_vgpr_msb 0x55                     ;  msbs: dst=1 src0=1 src1=1 src2=1
	v_mul_i32_i24_e32 v213 /*v469*/, v88 /*v344*/, v152 /*v408*/
	v_add3_u32 v165 /*v421*/, v167 /*v423*/, v165 /*v421*/, v166 /*v422*/
	s_set_vgpr_msb 4                        ;  msbs: dst=0 src0=0 src1=1 src2=0
	v_mad_i32_i24 v1, v8, v64 /*v320*/, v1
	s_set_vgpr_msb 0                        ;  msbs: dst=0 src0=0 src1=0 src2=0
	s_delay_alu instid0(VALU_DEP_1) | instskip(SKIP_4) | instid1(VALU_DEP_1)
	v_add3_u32 v1, v1, v2, v6
	s_set_vgpr_msb 4                        ;  msbs: dst=0 src0=0 src1=1 src2=0
	v_mul_i32_i24_e32 v2, v14, v68 /*v324*/
	v_mul_i32_i24_e32 v6, v15, v69 /*v325*/
	s_set_vgpr_msb 0                        ;  msbs: dst=0 src0=0 src1=0 src2=0
	v_add3_u32 v1, v1, v2, v6
	s_set_vgpr_msb 1                        ;  msbs: dst=0 src0=1 src1=0 src2=0
	v_mul_i32_i24_e32 v2, v174 /*v430*/, v175
	v_mul_i32_i24_e32 v6, v175 /*v431*/, v182
	s_set_vgpr_msb 20                       ;  msbs: dst=0 src0=0 src1=1 src2=1
	v_add3_u32 v1, v1, v153 /*v409*/, v156 /*v412*/
	s_set_vgpr_msb 0x41                     ;  msbs: dst=1 src0=1 src1=0 src2=0
	v_mul_i32_i24_e32 v153 /*v409*/, v178 /*v434*/, v179
	v_mul_i32_i24_e32 v156 /*v412*/, v179 /*v435*/, v190
	s_set_vgpr_msb 20                       ;  msbs: dst=0 src0=0 src1=1 src2=1
	v_add3_u32 v1, v1, v157 /*v413*/, v158 /*v414*/
	s_set_vgpr_msb 0x41                     ;  msbs: dst=1 src0=1 src1=0 src2=0
	v_mul_i32_i24_e32 v157 /*v413*/, v180 /*v436*/, v193
	s_set_vgpr_msb 20                       ;  msbs: dst=0 src0=0 src1=1 src2=1
	s_delay_alu instid0(VALU_DEP_2)
	v_add3_u32 v1, v1, v159 /*v415*/, v161 /*v417*/
	s_set_vgpr_msb 0x41                     ;  msbs: dst=1 src0=1 src1=0 src2=0
	v_mul_i32_i24_e32 v159 /*v415*/, v181 /*v437*/, v194
	v_mul_i32_i24_e32 v161 /*v417*/, v200 /*v456*/, v232
	s_set_vgpr_msb 20                       ;  msbs: dst=0 src0=0 src1=1 src2=1
	v_add3_u32 v1, v1, v162 /*v418*/, v164 /*v420*/
	s_set_vgpr_msb 0x41                     ;  msbs: dst=1 src0=1 src1=0 src2=0
	v_mul_i32_i24_e32 v164 /*v420*/, v182 /*v438*/, v188
	v_mul_i32_i24_e32 v162 /*v418*/, v201 /*v457*/, v234
	s_set_vgpr_msb 20                       ;  msbs: dst=0 src0=0 src1=1 src2=1
	;; [unrolled: 5-line block ×5, first 2 shown]
	v_add3_u32 v1, v1, v208 /*v464*/, v209 /*v465*/
	s_set_vgpr_msb 0x41                     ;  msbs: dst=1 src0=1 src1=0 src2=0
	v_mul_i32_i24_e32 v208 /*v464*/, v189 /*v445*/, v206
	s_set_vgpr_msb 0x44                     ;  msbs: dst=1 src0=0 src1=1 src2=0
	v_mul_i32_i24_e32 v209 /*v465*/, v211, v190 /*v446*/
	s_set_vgpr_msb 20                       ;  msbs: dst=0 src0=0 src1=1 src2=1
	v_add3_u32 v1, v1, v210 /*v466*/, v211 /*v467*/
	s_set_vgpr_msb 0x44                     ;  msbs: dst=1 src0=0 src1=1 src2=0
	v_mul_i32_i24_e32 v210 /*v466*/, v207, v191 /*v447*/
	v_mul_i32_i24_e32 v211 /*v467*/, v213, v192 /*v448*/
	s_set_vgpr_msb 20                       ;  msbs: dst=0 src0=0 src1=1 src2=1
	v_add3_u32 v1, v1, v212 /*v468*/, v213 /*v469*/
	s_set_vgpr_msb 0x44                     ;  msbs: dst=1 src0=0 src1=1 src2=0
	v_mul_i32_i24_e32 v212 /*v468*/, v214, v193 /*v449*/
	;; [unrolled: 5-line block ×3, first 2 shown]
	v_mul_i32_i24_e32 v215 /*v471*/, v224, v196 /*v452*/
	s_delay_alu instid0(VALU_DEP_3)
	v_add3_u32 v158 /*v414*/, v1, v216 /*v472*/, v217 /*v473*/
	s_set_vgpr_msb 1                        ;  msbs: dst=0 src0=1 src1=0 src2=0
	v_mul_i32_i24_e32 v1, v172 /*v428*/, v177
	s_set_vgpr_msb 0x44                     ;  msbs: dst=1 src0=0 src1=1 src2=0
	v_mul_i32_i24_e32 v216 /*v472*/, v225, v197 /*v453*/
	v_mul_i32_i24_e32 v217 /*v473*/, v229, v198 /*v454*/
	s_set_vgpr_msb 1                        ;  msbs: dst=0 src0=1 src1=0 src2=0
	v_mad_i32_i24 v1, v173 /*v429*/, v176, v1
	s_set_vgpr_msb 0                        ;  msbs: dst=0 src0=0 src1=0 src2=0
	s_delay_alu instid0(VALU_DEP_1) | instskip(SKIP_4) | instid1(VALU_DEP_1)
	v_add3_u32 v1, v1, v2, v6
	s_set_vgpr_msb 1                        ;  msbs: dst=0 src0=1 src1=0 src2=0
	v_mul_i32_i24_e32 v2, v176 /*v432*/, v186
	v_mul_i32_i24_e32 v6, v177 /*v433*/, v187
	s_set_vgpr_msb 0                        ;  msbs: dst=0 src0=0 src1=0 src2=0
	v_add3_u32 v1, v1, v2, v6
	v_mul_i32_i24_e32 v2, v12, v161
	v_mul_i32_i24_e32 v6, v13, v162
	s_set_vgpr_msb 20                       ;  msbs: dst=0 src0=0 src1=1 src2=1
	s_delay_alu instid0(VALU_DEP_3)
	v_add3_u32 v1, v1, v153 /*v409*/, v156 /*v412*/
	s_set_vgpr_msb 64                       ;  msbs: dst=1 src0=0 src1=0 src2=0
	v_mul_i32_i24_e32 v153 /*v409*/, v15, v164
	v_mul_i32_i24_e32 v156 /*v412*/, v16, v165
	s_set_vgpr_msb 20                       ;  msbs: dst=0 src0=0 src1=1 src2=1
	v_add3_u32 v1, v1, v157 /*v413*/, v159 /*v415*/
	s_set_vgpr_msb 64                       ;  msbs: dst=1 src0=0 src1=0 src2=0
	v_mul_i32_i24_e32 v157 /*v413*/, v18, v166
	v_mul_i32_i24_e32 v159 /*v415*/, v20, v167
	s_set_vgpr_msb 20                       ;  msbs: dst=0 src0=0 src1=1 src2=1
	v_add3_u32 v1, v1, v164 /*v420*/, v202 /*v458*/
	s_set_vgpr_msb 64                       ;  msbs: dst=1 src0=0 src1=0 src2=0
	v_mul_i32_i24_e32 v202 /*v458*/, v21, v168
	s_set_vgpr_msb 20                       ;  msbs: dst=0 src0=0 src1=1 src2=1
	s_delay_alu instid0(VALU_DEP_2)
	v_add3_u32 v1, v1, v203 /*v459*/, v204 /*v460*/
	s_set_vgpr_msb 64                       ;  msbs: dst=1 src0=0 src1=0 src2=0
	v_mul_i32_i24_e32 v203 /*v459*/, v22, v169
	v_mul_i32_i24_e32 v204 /*v460*/, v24, v170
	s_set_vgpr_msb 20                       ;  msbs: dst=0 src0=0 src1=1 src2=1
	v_add3_u32 v1, v1, v205 /*v461*/, v206 /*v462*/
	s_set_vgpr_msb 64                       ;  msbs: dst=1 src0=0 src1=0 src2=0
	v_mul_i32_i24_e32 v205 /*v461*/, v26, v171
	v_mul_i32_i24_e32 v206 /*v462*/, v27, v172
	s_set_vgpr_msb 20                       ;  msbs: dst=0 src0=0 src1=1 src2=1
	;; [unrolled: 5-line block ×6, first 2 shown]
	v_add3_u32 v1, v1, v215 /*v471*/, v216 /*v472*/
	s_set_vgpr_msb 64                       ;  msbs: dst=1 src0=0 src1=0 src2=0
	v_mul_i32_i24_e32 v215 /*v471*/, v196, v46
	v_mul_i32_i24_e32 v216 /*v472*/, v192, v84
	s_set_vgpr_msb 0x54                     ;  msbs: dst=1 src0=0 src1=1 src2=1
	v_add3_u32 v164 /*v420*/, v1, v217 /*v473*/, v218 /*v474*/
	s_set_vgpr_msb 0                        ;  msbs: dst=0 src0=0 src1=0 src2=0
	v_mul_i32_i24_e32 v1, v7, v160
	s_set_vgpr_msb 64                       ;  msbs: dst=1 src0=0 src1=0 src2=0
	v_mul_i32_i24_e32 v217 /*v473*/, v202, v126
	s_set_vgpr_msb 0x44                     ;  msbs: dst=1 src0=0 src1=1 src2=0
	v_mul_i32_i24_e32 v218 /*v474*/, v199, v152 /*v408*/
	s_set_vgpr_msb 0x55                     ;  msbs: dst=1 src0=1 src1=1 src2=1
	v_add3_u32 v161 /*v417*/, v164 /*v420*/, v161 /*v417*/, v162 /*v418*/
	s_set_vgpr_msb 0                        ;  msbs: dst=0 src0=0 src1=0 src2=0
	v_mad_i32_i24 v1, v8, v159, v1
	s_delay_alu instid0(VALU_DEP_1) | instskip(SKIP_4) | instid1(VALU_DEP_2)
	v_add3_u32 v1, v1, v2, v6
	v_mul_i32_i24_e32 v2, v14, v163
	s_set_vgpr_msb 1                        ;  msbs: dst=0 src0=1 src1=0 src2=0
	v_mul_i32_i24_e32 v6, v171 /*v427*/, v219
	s_set_vgpr_msb 16                       ;  msbs: dst=0 src0=0 src1=0 src2=1
	v_add3_u32 v1, v1, v2, v153 /*v409*/
	s_set_vgpr_msb 1                        ;  msbs: dst=0 src0=1 src1=0 src2=0
	v_mul_i32_i24_e32 v2, v174 /*v430*/, v205
	s_set_vgpr_msb 20                       ;  msbs: dst=0 src0=0 src1=1 src2=1
	s_delay_alu instid0(VALU_DEP_2)
	v_add3_u32 v1, v1, v156 /*v412*/, v157 /*v413*/
	s_set_vgpr_msb 0x41                     ;  msbs: dst=1 src0=1 src1=0 src2=0
	v_mul_i32_i24_e32 v156 /*v412*/, v175 /*v431*/, v216
	v_mul_i32_i24_e32 v157 /*v413*/, v201 /*v457*/, v251
	s_set_vgpr_msb 20                       ;  msbs: dst=0 src0=0 src1=1 src2=1
	v_add3_u32 v1, v1, v159 /*v415*/, v202 /*v458*/
	s_set_vgpr_msb 0x41                     ;  msbs: dst=1 src0=1 src1=0 src2=0
	v_mul_i32_i24_e32 v159 /*v415*/, v177 /*v433*/, v222
	v_mul_i32_i24_e32 v202 /*v458*/, v178 /*v434*/, v212
	s_set_vgpr_msb 20                       ;  msbs: dst=0 src0=0 src1=1 src2=1
	;; [unrolled: 5-line block ×7, first 2 shown]
	v_add3_u32 v1, v1, v213 /*v469*/, v214 /*v470*/
	s_set_vgpr_msb 0x41                     ;  msbs: dst=1 src0=1 src1=0 src2=0
	v_mul_i32_i24_e32 v213 /*v469*/, v189 /*v445*/, v239
	s_set_vgpr_msb 0x44                     ;  msbs: dst=1 src0=0 src1=1 src2=0
	v_mul_i32_i24_e32 v214 /*v470*/, v241, v190 /*v446*/
	s_set_vgpr_msb 20                       ;  msbs: dst=0 src0=0 src1=1 src2=1
	v_add3_u32 v1, v1, v215 /*v471*/, v216 /*v472*/
	s_set_vgpr_msb 0x44                     ;  msbs: dst=1 src0=0 src1=1 src2=0
	v_mul_i32_i24_e32 v215 /*v471*/, v240, v191 /*v447*/
	v_mul_i32_i24_e32 v216 /*v472*/, v242, v192 /*v448*/
	s_set_vgpr_msb 20                       ;  msbs: dst=0 src0=0 src1=1 src2=1
	v_add3_u32 v1, v1, v217 /*v473*/, v218 /*v474*/
	s_set_vgpr_msb 0x44                     ;  msbs: dst=1 src0=0 src1=1 src2=0
	v_mul_i32_i24_e32 v217 /*v473*/, v243, v193 /*v449*/
	;; [unrolled: 5-line block ×3, first 2 shown]
	v_mul_i32_i24_e32 v220 /*v476*/, v246, v196 /*v452*/
	s_delay_alu instid0(VALU_DEP_3)
	v_add3_u32 v153 /*v409*/, v1, v221 /*v477*/, v222 /*v478*/
	s_set_vgpr_msb 1                        ;  msbs: dst=0 src0=1 src1=0 src2=0
	v_mul_i32_i24_e32 v1, v172 /*v428*/, v210
	s_set_vgpr_msb 0x44                     ;  msbs: dst=1 src0=0 src1=1 src2=0
	v_mul_i32_i24_e32 v221 /*v477*/, v247, v197 /*v453*/
	v_mul_i32_i24_e32 v222 /*v478*/, v249, v198 /*v454*/
	s_set_vgpr_msb 1                        ;  msbs: dst=0 src0=1 src1=0 src2=0
	v_mad_i32_i24 v1, v173 /*v429*/, v209, v1
	s_set_vgpr_msb 16                       ;  msbs: dst=0 src0=0 src1=0 src2=1
	s_delay_alu instid0(VALU_DEP_1)
	v_add3_u32 v1, v1, v2, v156 /*v412*/
	s_set_vgpr_msb 1                        ;  msbs: dst=0 src0=1 src1=0 src2=0
	v_mul_i32_i24_e32 v2, v176 /*v432*/, v220
	s_set_vgpr_msb 0x41                     ;  msbs: dst=1 src0=1 src1=0 src2=0
	v_mul_i32_i24_e32 v156 /*v412*/, v200 /*v456*/, v250
	s_set_vgpr_msb 16                       ;  msbs: dst=0 src0=0 src1=0 src2=1
	s_delay_alu instid0(VALU_DEP_2)
	v_add3_u32 v1, v1, v2, v159 /*v415*/
	s_set_vgpr_msb 20                       ;  msbs: dst=0 src0=0 src1=1 src2=1
	v_mul_i32_i24_e32 v2, v12, v0 /*v256*/
	v_mul_i32_i24_e32 v12, v16, v4 /*v260*/
	;; [unrolled: 1-line block ×4, first 2 shown]
	v_add3_u32 v1, v1, v202 /*v458*/, v203 /*v459*/
	s_set_vgpr_msb 1                        ;  msbs: dst=0 src0=1 src1=0 src2=0
	v_mul_i32_i24_e32 v28, v17 /*v273*/, v38
	v_mul_i32_i24_e32 v38, v21 /*v277*/, v46
	s_set_vgpr_msb 5                        ;  msbs: dst=0 src0=1 src1=1 src2=0
	v_mul_i32_i24_e32 v46, v26 /*v282*/, v154 /*v410*/
	s_set_vgpr_msb 0x45                     ;  msbs: dst=1 src0=1 src1=1 src2=0
	v_mul_i32_i24_e32 v154 /*v410*/, v55 /*v311*/, v199 /*v455*/
	s_set_vgpr_msb 20                       ;  msbs: dst=0 src0=0 src1=1 src2=1
	v_add3_u32 v1, v1, v204 /*v460*/, v205 /*v461*/
	s_delay_alu instid0(VALU_DEP_1) | instskip(NEXT) | instid1(VALU_DEP_1)
	v_add3_u32 v1, v1, v206 /*v462*/, v207 /*v463*/
	v_add3_u32 v1, v1, v208 /*v464*/, v209 /*v465*/
	s_delay_alu instid0(VALU_DEP_1) | instskip(NEXT) | instid1(VALU_DEP_1)
	v_add3_u32 v1, v1, v210 /*v466*/, v211 /*v467*/
	;; [unrolled: 3-line block ×4, first 2 shown]
	v_add3_u32 v1, v1, v220 /*v476*/, v221 /*v477*/
	s_set_vgpr_msb 0x54                     ;  msbs: dst=1 src0=0 src1=1 src2=1
	s_delay_alu instid0(VALU_DEP_1)
	v_add3_u32 v159 /*v415*/, v1, v222 /*v478*/, v223 /*v479*/
	s_set_vgpr_msb 0                        ;  msbs: dst=0 src0=0 src1=0 src2=0
	v_mul_i32_i24_e32 v1, v7, v255
	s_set_vgpr_msb 4                        ;  msbs: dst=0 src0=0 src1=1 src2=0
	v_mul_i32_i24_e32 v7, v13, v1 /*v257*/
	v_mul_i32_i24_e32 v13, v18, v5 /*v261*/
	v_mul_i32_i24_e32 v18, v24, v9 /*v265*/
	v_mul_i32_i24_e32 v24, v29, v13 /*v269*/
	s_set_vgpr_msb 0                        ;  msbs: dst=0 src0=0 src1=0 src2=0
	v_mad_i32_i24 v1, v8, v254, v1
	s_set_vgpr_msb 4                        ;  msbs: dst=0 src0=0 src1=1 src2=0
	v_mul_i32_i24_e32 v8, v15, v3 /*v259*/
	v_mul_i32_i24_e32 v15, v21, v7 /*v263*/
	;; [unrolled: 1-line block ×4, first 2 shown]
	s_set_vgpr_msb 0                        ;  msbs: dst=0 src0=0 src1=0 src2=0
	v_add3_u32 v2, v1, v2, v7
	s_set_vgpr_msb 4                        ;  msbs: dst=0 src0=0 src1=1 src2=0
	v_mul_i32_i24_e32 v7, v14, v2 /*v258*/
	v_mul_i32_i24_e32 v14, v20, v6 /*v262*/
	;; [unrolled: 1-line block ×4, first 2 shown]
	s_set_vgpr_msb 1                        ;  msbs: dst=0 src0=1 src1=0 src2=0
	v_mul_i32_i24_e32 v29, v16 /*v272*/, v40
	s_set_vgpr_msb 0                        ;  msbs: dst=0 src0=0 src1=0 src2=0
	v_add3_u32 v2, v2, v7, v8
	s_set_vgpr_msb 5                        ;  msbs: dst=0 src0=1 src1=1 src2=0
	v_mul_i32_i24_e32 v7, v172 /*v428*/, v28 /*v284*/
	v_mul_i32_i24_e32 v8, v174 /*v430*/, v25 /*v281*/
	s_set_vgpr_msb 1                        ;  msbs: dst=0 src0=1 src1=0 src2=0
	v_mul_i32_i24_e32 v30, v19 /*v275*/, v42
	v_mul_i32_i24_e32 v31, v18 /*v274*/, v44
	s_set_vgpr_msb 0                        ;  msbs: dst=0 src0=0 src1=0 src2=0
	v_add3_u32 v2, v2, v12, v13
	s_set_vgpr_msb 5                        ;  msbs: dst=0 src0=1 src1=1 src2=0
	v_mul_i32_i24_e32 v12, v175 /*v431*/, v31 /*v287*/
	v_mad_i32_i24 v7, v173 /*v429*/, v27 /*v283*/, v7
	v_mul_i32_i24_e32 v13, v177 /*v433*/, v35 /*v291*/
	s_set_vgpr_msb 1                        ;  msbs: dst=0 src0=1 src1=0 src2=0
	v_mul_i32_i24_e32 v40, v20 /*v276*/, v84
	s_set_vgpr_msb 0                        ;  msbs: dst=0 src0=0 src1=0 src2=0
	v_add3_u32 v2, v2, v14, v15
	s_set_vgpr_msb 5                        ;  msbs: dst=0 src0=1 src1=1 src2=0
	v_mul_i32_i24_e32 v14, v178 /*v434*/, v29 /*v285*/
	s_set_vgpr_msb 0                        ;  msbs: dst=0 src0=0 src1=0 src2=0
	v_add3_u32 v8, v7, v8, v12
	s_set_vgpr_msb 5                        ;  msbs: dst=0 src0=1 src1=1 src2=0
	v_mul_i32_i24_e32 v12, v176 /*v432*/, v34 /*v290*/
	v_mul_i32_i24_e32 v15, v179 /*v435*/, v37 /*v293*/
	s_set_vgpr_msb 0                        ;  msbs: dst=0 src0=0 src1=0 src2=0
	v_add3_u32 v2, v2, v16, v18
	s_set_vgpr_msb 5                        ;  msbs: dst=0 src0=1 src1=1 src2=0
	v_mul_i32_i24_e32 v16, v180 /*v436*/, v38 /*v294*/
	v_mul_i32_i24_e32 v18, v181 /*v437*/, v39 /*v295*/
	s_set_vgpr_msb 0                        ;  msbs: dst=0 src0=0 src1=0 src2=0
	v_add3_u32 v8, v8, v12, v13
	s_set_vgpr_msb 1                        ;  msbs: dst=0 src0=1 src1=0 src2=0
	v_mul_i32_i24_e32 v42, v23 /*v279*/, v126
	s_set_vgpr_msb 0                        ;  msbs: dst=0 src0=0 src1=0 src2=0
	v_add3_u32 v2, v2, v20, v21
	s_set_vgpr_msb 5                        ;  msbs: dst=0 src0=1 src1=1 src2=0
	v_mul_i32_i24_e32 v20, v182 /*v438*/, v36 /*v292*/
	v_mul_i32_i24_e32 v21, v183 /*v439*/, v41 /*v297*/
	s_set_vgpr_msb 0                        ;  msbs: dst=0 src0=0 src1=0 src2=0
	v_add3_u32 v8, v8, v14, v15
	s_set_vgpr_msb 5                        ;  msbs: dst=0 src0=1 src1=1 src2=0
	v_mul_i32_i24_e32 v44, v22 /*v278*/, v152 /*v408*/
	s_set_vgpr_msb 0                        ;  msbs: dst=0 src0=0 src1=0 src2=0
	v_add3_u32 v2, v2, v22, v24
	s_set_vgpr_msb 5                        ;  msbs: dst=0 src0=1 src1=1 src2=0
	v_mul_i32_i24_e32 v22, v184 /*v440*/, v42 /*v298*/
	v_mul_i32_i24_e32 v24, v185 /*v441*/, v43 /*v299*/
	s_set_vgpr_msb 0                        ;  msbs: dst=0 src0=0 src1=0 src2=0
	v_add3_u32 v8, v8, v16, v18
	s_set_vgpr_msb 5                        ;  msbs: dst=0 src0=1 src1=1 src2=0
	v_mul_i32_i24_e32 v84, v24 /*v280*/, v168 /*v424*/
	;; [unrolled: 9-line block ×3, first 2 shown]
	s_set_vgpr_msb 0                        ;  msbs: dst=0 src0=0 src1=0 src2=0
	v_add3_u32 v2, v2, v28, v29
	s_set_vgpr_msb 5                        ;  msbs: dst=0 src0=1 src1=1 src2=0
	v_mul_i32_i24_e32 v28, v188 /*v444*/, v45 /*v301*/
	v_mul_i32_i24_e32 v29, v189 /*v445*/, v46 /*v302*/
	s_set_vgpr_msb 0                        ;  msbs: dst=0 src0=0 src1=0 src2=0
	v_add3_u32 v8, v8, v22, v24
	s_set_vgpr_msb 0x45                     ;  msbs: dst=1 src0=1 src1=1 src2=0
	v_mul_i32_i24_e32 v152 /*v408*/, v170 /*v426*/, v32 /*v288*/
	s_set_vgpr_msb 0                        ;  msbs: dst=0 src0=0 src1=0 src2=0
	v_add3_u32 v2, v2, v30, v31
	s_set_vgpr_msb 5                        ;  msbs: dst=0 src0=1 src1=1 src2=0
	v_mul_i32_i24_e32 v30, v48 /*v304*/, v190 /*v446*/
	v_mul_i32_i24_e32 v31, v47 /*v303*/, v191 /*v447*/
	s_set_vgpr_msb 0                        ;  msbs: dst=0 src0=0 src1=0 src2=0
	v_add3_u32 v8, v8, v26, v27
	s_set_vgpr_msb 5                        ;  msbs: dst=0 src0=1 src1=1 src2=0
	v_mul_i32_i24_e32 v1, v171 /*v427*/, v33 /*v289*/
	s_set_vgpr_msb 0                        ;  msbs: dst=0 src0=0 src1=0 src2=0
	v_add3_u32 v2, v2, v38, v40
	s_set_vgpr_msb 5                        ;  msbs: dst=0 src0=1 src1=1 src2=0
	v_mul_i32_i24_e32 v38, v49 /*v305*/, v192 /*v448*/
	v_mul_i32_i24_e32 v40, v50 /*v306*/, v193 /*v449*/
	s_set_vgpr_msb 0                        ;  msbs: dst=0 src0=0 src1=0 src2=0
	v_add3_u32 v8, v8, v28, v29
	s_set_vgpr_msb 5                        ;  msbs: dst=0 src0=1 src1=1 src2=0
	v_mul_i32_i24_e32 v7, v200 /*v456*/, v57 /*v313*/
	s_set_vgpr_msb 0                        ;  msbs: dst=0 src0=0 src1=0 src2=0
	v_add3_u32 v2, v2, v42, v44
	s_set_vgpr_msb 5                        ;  msbs: dst=0 src0=1 src1=1 src2=0
	v_mul_i32_i24_e32 v42, v52 /*v308*/, v194 /*v450*/
	v_mul_i32_i24_e32 v44, v51 /*v307*/, v195 /*v451*/
	s_set_vgpr_msb 0                        ;  msbs: dst=0 src0=0 src1=0 src2=0
	v_add3_u32 v8, v8, v30, v31
	s_set_vgpr_msb 0x55                     ;  msbs: dst=1 src0=1 src1=1 src2=1
	v_add3_u32 v156 /*v412*/, v159 /*v415*/, v156 /*v412*/, v157 /*v413*/
	s_set_vgpr_msb 0                        ;  msbs: dst=0 src0=0 src1=0 src2=0
	v_add3_u32 v2, v2, v46, v84
	s_set_vgpr_msb 5                        ;  msbs: dst=0 src0=1 src1=1 src2=0
	v_mul_i32_i24_e32 v46, v53 /*v309*/, v196 /*v452*/
	v_mul_i32_i24_e32 v84, v54 /*v310*/, v197 /*v453*/
	s_set_vgpr_msb 0                        ;  msbs: dst=0 src0=0 src1=0 src2=0
	v_add3_u32 v8, v8, v38, v40
	s_set_vgpr_msb 16                       ;  msbs: dst=0 src0=0 src1=0 src2=1
	v_add3_u32 v2, v2, v126, v152 /*v408*/
	s_set_vgpr_msb 5                        ;  msbs: dst=0 src0=1 src1=1 src2=0
	v_mul_i32_i24_e32 v126, v56 /*v312*/, v198 /*v454*/
	s_set_vgpr_msb 0x45                     ;  msbs: dst=1 src0=1 src1=1 src2=0
	v_mul_i32_i24_e32 v152 /*v408*/, v201 /*v457*/, v58 /*v314*/
	s_set_vgpr_msb 0                        ;  msbs: dst=0 src0=0 src1=0 src2=0
	v_add3_u32 v8, v8, v42, v44
	s_delay_alu instid0(VALU_DEP_1) | instskip(SKIP_1) | instid1(VALU_DEP_1)
	v_add3_u32 v8, v8, v46, v84
	s_set_vgpr_msb 0x50                     ;  msbs: dst=1 src0=0 src1=0 src2=1
	v_add3_u32 v154 /*v410*/, v8, v126, v154 /*v410*/
	s_set_vgpr_msb 17                       ;  msbs: dst=0 src0=1 src1=0 src2=1
	v_or_b32_e32 v8, s12, v135
	s_delay_alu instid0(VALU_DEP_2) | instskip(NEXT) | instid1(VALU_DEP_2)
	v_add3_u32 v7, v154 /*v410*/, v7, v152 /*v408*/
	v_lshlrev_b32_e32 v12, 2, v8
	s_set_vgpr_msb 64                       ;  msbs: dst=1 src0=0 src1=0 src2=0
	ds_load_b128 v[168:171] /*v[424:427]*/, v12 offset:16896
	ds_load_b128 v[172:175] /*v[428:431]*/, v12 offset:16912
	;; [unrolled: 1-line block ×4, first 2 shown]
	s_set_vgpr_msb 1                        ;  msbs: dst=0 src0=1 src1=0 src2=0
	v_lshrrev_b32_e32 v8, 1, v8
	s_wait_dscnt 0x3
	v_bfe_i32 v12, v168 /*v424*/, 0, 8
	v_bfe_i32 v13, v168 /*v424*/, 8, 8
	;; [unrolled: 1-line block ×3, first 2 shown]
	s_set_vgpr_msb 4                        ;  msbs: dst=0 src0=0 src1=1 src2=0
	v_ashrrev_i32_e32 v15, 24, v168 /*v424*/
	s_set_vgpr_msb 1                        ;  msbs: dst=0 src0=1 src1=0 src2=0
	v_bfe_i32 v16, v169 /*v425*/, 0, 8
	s_set_vgpr_msb 0x44                     ;  msbs: dst=1 src0=0 src1=1 src2=0
	v_mul_i32_i24_e32 v168 /*v424*/, v12, v94 /*v350*/
	s_set_vgpr_msb 1                        ;  msbs: dst=0 src0=1 src1=0 src2=0
	v_bfe_i32 v18, v169 /*v425*/, 8, 8
	v_bfe_i32 v20, v169 /*v425*/, 16, 8
	s_set_vgpr_msb 4                        ;  msbs: dst=0 src0=0 src1=1 src2=0
	v_dual_ashrrev_i32 v21, 24, v169 /*v425*/ :: v_dual_ashrrev_i32 v27, 24, v170 /*v426*/
	s_set_vgpr_msb 1                        ;  msbs: dst=0 src0=1 src1=0 src2=0
	v_bfe_i32 v22, v170 /*v426*/, 0, 8
	v_bfe_i32 v24, v170 /*v426*/, 8, 8
	;; [unrolled: 1-line block ×3, first 2 shown]
	s_set_vgpr_msb 0x54                     ;  msbs: dst=1 src0=0 src1=1 src2=1
	v_mul_i32_i24_e32 v169 /*v425*/, v14, v95 /*v351*/
	v_mul_i32_i24_e32 v170 /*v426*/, v15, v96 /*v352*/
	v_mad_i32_i24 v168 /*v424*/, v13, v93 /*v349*/, v168 /*v424*/
	s_set_vgpr_msb 1                        ;  msbs: dst=0 src0=1 src1=0 src2=0
	v_bfe_i32 v28, v171 /*v427*/, 0, 8
	v_bfe_i32 v29, v171 /*v427*/, 8, 8
	;; [unrolled: 1-line block ×3, first 2 shown]
	s_wait_dscnt 0x2
	s_set_vgpr_msb 4                        ;  msbs: dst=0 src0=0 src1=1 src2=0
	v_dual_ashrrev_i32 v31, 24, v171 /*v427*/ :: v_dual_ashrrev_i32 v44, 24, v172 /*v428*/
	s_set_vgpr_msb 0x55                     ;  msbs: dst=1 src0=1 src1=1 src2=1
	v_add3_u32 v168 /*v424*/, v168 /*v424*/, v169 /*v425*/, v170 /*v426*/
	s_set_vgpr_msb 0x44                     ;  msbs: dst=1 src0=0 src1=1 src2=0
	v_mul_i32_i24_e32 v169 /*v425*/, v16, v97 /*v353*/
	v_mul_i32_i24_e32 v170 /*v426*/, v18, v98 /*v354*/
	s_set_vgpr_msb 1                        ;  msbs: dst=0 src0=1 src1=0 src2=0
	v_bfe_i32 v38, v172 /*v428*/, 0, 8
	v_bfe_i32 v40, v172 /*v428*/, 8, 8
	;; [unrolled: 1-line block ×3, first 2 shown]
	s_set_vgpr_msb 0x44                     ;  msbs: dst=1 src0=0 src1=1 src2=0
	v_mul_i32_i24_e32 v171 /*v427*/, v20, v99 /*v355*/
	v_mul_i32_i24_e32 v172 /*v428*/, v21, v100 /*v356*/
	s_set_vgpr_msb 0x55                     ;  msbs: dst=1 src0=1 src1=1 src2=1
	v_add3_u32 v168 /*v424*/, v168 /*v424*/, v169 /*v425*/, v170 /*v426*/
	s_set_vgpr_msb 1                        ;  msbs: dst=0 src0=1 src1=0 src2=0
	v_bfe_i32 v46, v173 /*v429*/, 0, 8
	v_bfe_i32 v84, v173 /*v429*/, 8, 8
	;; [unrolled: 1-line block ×3, first 2 shown]
	s_set_vgpr_msb 0x44                     ;  msbs: dst=1 src0=0 src1=1 src2=0
	v_ashrrev_i32_e32 v184 /*v440*/, 24, v173 /*v429*/
	s_set_vgpr_msb 0x41                     ;  msbs: dst=1 src0=1 src1=0 src2=0
	v_bfe_i32 v185 /*v441*/, v174 /*v430*/, 0, 8
	v_bfe_i32 v186 /*v442*/, v174 /*v430*/, 8, 8
	;; [unrolled: 1-line block ×3, first 2 shown]
	s_set_vgpr_msb 0x44                     ;  msbs: dst=1 src0=0 src1=1 src2=0
	v_dual_ashrrev_i32 v188 /*v444*/, 24, v174 /*v430*/ :: v_dual_ashrrev_i32 v192 /*v448*/, 24, v175 /*v431*/
	v_mul_i32_i24_e32 v173 /*v429*/, v22, v101 /*v357*/
	v_mul_i32_i24_e32 v174 /*v430*/, v24, v102 /*v358*/
	s_set_vgpr_msb 0x55                     ;  msbs: dst=1 src0=1 src1=1 src2=1
	v_add3_u32 v168 /*v424*/, v168 /*v424*/, v171 /*v427*/, v172 /*v428*/
	v_bfe_i32 v189 /*v445*/, v175 /*v431*/, 0, 8
	v_bfe_i32 v190 /*v446*/, v175 /*v431*/, 8, 8
	;; [unrolled: 1-line block ×3, first 2 shown]
	s_wait_dscnt 0x1
	v_bfe_i32 v193 /*v449*/, v176 /*v432*/, 0, 8
	v_bfe_i32 v194 /*v450*/, v176 /*v432*/, 8, 8
	;; [unrolled: 1-line block ×3, first 2 shown]
	v_dual_ashrrev_i32 v196 /*v452*/, 24, v176 /*v432*/ :: v_dual_ashrrev_i32 v200 /*v456*/, 24, v177 /*v433*/
	s_set_vgpr_msb 0x44                     ;  msbs: dst=1 src0=0 src1=1 src2=0
	v_mul_i32_i24_e32 v175 /*v431*/, v26, v103 /*v359*/
	v_mul_i32_i24_e32 v176 /*v432*/, v27, v104 /*v360*/
	s_set_vgpr_msb 0x55                     ;  msbs: dst=1 src0=1 src1=1 src2=1
	v_add3_u32 v168 /*v424*/, v168 /*v424*/, v173 /*v429*/, v174 /*v430*/
	v_bfe_i32 v197 /*v453*/, v177 /*v433*/, 0, 8
	v_bfe_i32 v198 /*v454*/, v177 /*v433*/, 8, 8
	;; [unrolled: 1-line block ×6, first 2 shown]
	v_dual_ashrrev_i32 v204 /*v460*/, 24, v178 /*v434*/ :: v_dual_ashrrev_i32 v208 /*v464*/, 24, v179 /*v435*/
	s_set_vgpr_msb 0x44                     ;  msbs: dst=1 src0=0 src1=1 src2=0
	v_mul_i32_i24_e32 v177 /*v433*/, v28, v105 /*v361*/
	v_mul_i32_i24_e32 v178 /*v434*/, v29, v106 /*v362*/
	s_set_vgpr_msb 0x55                     ;  msbs: dst=1 src0=1 src1=1 src2=1
	v_add3_u32 v168 /*v424*/, v168 /*v424*/, v175 /*v431*/, v176 /*v432*/
	v_bfe_i32 v205 /*v461*/, v179 /*v435*/, 0, 8
	v_bfe_i32 v206 /*v462*/, v179 /*v435*/, 8, 8
	;; [unrolled: 1-line block ×3, first 2 shown]
	s_set_vgpr_msb 0x44                     ;  msbs: dst=1 src0=0 src1=1 src2=0
	v_mul_i32_i24_e32 v179 /*v435*/, v30, v107 /*v363*/
	v_mul_i32_i24_e32 v221 /*v477*/, v31, v108 /*v364*/
	s_set_vgpr_msb 0x55                     ;  msbs: dst=1 src0=1 src1=1 src2=1
	v_add3_u32 v168 /*v424*/, v168 /*v424*/, v177 /*v433*/, v178 /*v434*/
	s_set_vgpr_msb 0x44                     ;  msbs: dst=1 src0=0 src1=1 src2=0
	v_mul_i32_i24_e32 v222 /*v478*/, v38, v109 /*v365*/
	v_mul_i32_i24_e32 v223 /*v479*/, v40, v110 /*v366*/
	s_set_vgpr_msb 0x41                     ;  msbs: dst=1 src0=1 src1=0 src2=0
	v_mul_i32_i24_e32 v224 /*v480*/, v112 /*v368*/, v42
	v_mul_i32_i24_e32 v225 /*v481*/, v111 /*v367*/, v44
	s_set_vgpr_msb 0x55                     ;  msbs: dst=1 src0=1 src1=1 src2=1
	v_add3_u32 v168 /*v424*/, v168 /*v424*/, v179 /*v435*/, v221 /*v477*/
	s_set_vgpr_msb 0x41                     ;  msbs: dst=1 src0=1 src1=0 src2=0
	v_mul_i32_i24_e32 v226 /*v482*/, v114 /*v370*/, v46
	v_mul_i32_i24_e32 v227 /*v483*/, v113 /*v369*/, v84
	;; [unrolled: 1-line block ×3, first 2 shown]
	s_set_vgpr_msb 0x55                     ;  msbs: dst=1 src0=1 src1=1 src2=1
	v_mul_i32_i24_e32 v229 /*v485*/, v115 /*v371*/, v184 /*v440*/
	v_add3_u32 v168 /*v424*/, v168 /*v424*/, v222 /*v478*/, v223 /*v479*/
	v_mul_i32_i24_e32 v230 /*v486*/, v124 /*v380*/, v185 /*v441*/
	v_mul_i32_i24_e32 v231 /*v487*/, v117 /*v373*/, v186 /*v442*/
	v_mul_i32_i24_e32 v232 /*v488*/, v128 /*v384*/, v187 /*v443*/
	v_mul_i32_i24_e32 v233 /*v489*/, v125 /*v381*/, v188 /*v444*/
	v_add3_u32 v168 /*v424*/, v168 /*v424*/, v224 /*v480*/, v225 /*v481*/
	v_mul_i32_i24_e32 v234 /*v490*/, v189 /*v445*/, v130 /*v386*/
	v_mul_i32_i24_e32 v235 /*v491*/, v190 /*v446*/, v131 /*v387*/
	v_mul_i32_i24_e32 v169 /*v425*/, v134 /*v390*/, v195 /*v451*/
	;; [unrolled: 5-line block ×4, first 2 shown]
	v_mul_i32_i24_e32 v179 /*v435*/, v141 /*v397*/, v206 /*v462*/
	v_add3_u32 v168 /*v424*/, v168 /*v424*/, v230 /*v486*/, v231 /*v487*/
	s_wait_dscnt 0x0
	v_bfe_i32 v209 /*v465*/, v180 /*v436*/, 0, 8
	v_bfe_i32 v210 /*v466*/, v180 /*v436*/, 8, 8
	v_mul_i32_i24_e32 v221 /*v477*/, v140 /*v396*/, v207 /*v463*/
	v_mul_i32_i24_e32 v222 /*v478*/, v120 /*v376*/, v208 /*v464*/
	v_add3_u32 v168 /*v424*/, v168 /*v424*/, v232 /*v488*/, v233 /*v489*/
	v_bfe_i32 v211 /*v467*/, v180 /*v436*/, 16, 8
	v_ashrrev_i32_e32 v180 /*v436*/, 24, v180 /*v436*/
	v_mul_i32_i24_e32 v223 /*v479*/, v145 /*v401*/, v209 /*v465*/
	v_mul_i32_i24_e32 v224 /*v480*/, v144 /*v400*/, v210 /*v466*/
	v_add3_u32 v178 /*v434*/, v168 /*v424*/, v234 /*v490*/, v235 /*v491*/
	s_set_vgpr_msb 0x44                     ;  msbs: dst=1 src0=0 src1=1 src2=0
	v_mul_i32_i24_e32 v168 /*v424*/, v118, v193 /*v449*/
	s_set_vgpr_msb 0x41                     ;  msbs: dst=1 src0=1 src1=0 src2=0
	v_bfe_i32 v212 /*v468*/, v181 /*v437*/, 0, 8
	v_bfe_i32 v213 /*v469*/, v181 /*v437*/, 8, 8
	;; [unrolled: 1-line block ×3, first 2 shown]
	s_set_vgpr_msb 0x55                     ;  msbs: dst=1 src0=1 src1=1 src2=1
	v_ashrrev_i32_e32 v181 /*v437*/, 24, v181 /*v437*/
	v_mad_i32_i24 v168 /*v424*/, v133 /*v389*/, v194 /*v450*/, v168 /*v424*/
	v_mul_i32_i24_e32 v225 /*v481*/, v143 /*v399*/, v211 /*v467*/
	v_mul_i32_i24_e32 v226 /*v482*/, v121 /*v377*/, v180 /*v436*/
	;; [unrolled: 1-line block ×4, first 2 shown]
	v_add3_u32 v168 /*v424*/, v168 /*v424*/, v169 /*v425*/, v170 /*v426*/
	s_set_vgpr_msb 0x44                     ;  msbs: dst=1 src0=0 src1=1 src2=0
	v_mul_i32_i24_e32 v169 /*v425*/, v119, v197 /*v453*/
	s_set_vgpr_msb 0x55                     ;  msbs: dst=1 src0=1 src1=1 src2=1
	v_mul_i32_i24_e32 v170 /*v426*/, v136 /*v392*/, v198 /*v454*/
	v_bfe_i32 v215 /*v471*/, v182 /*v438*/, 0, 8
	v_bfe_i32 v216 /*v472*/, v182 /*v438*/, 8, 8
	v_mul_i32_i24_e32 v229 /*v485*/, v146 /*v402*/, v214 /*v470*/
	v_mul_i32_i24_e32 v230 /*v486*/, v122 /*v378*/, v181 /*v437*/
	v_add3_u32 v168 /*v424*/, v168 /*v424*/, v169 /*v425*/, v170 /*v426*/
	v_bfe_i32 v217 /*v473*/, v182 /*v438*/, 16, 8
	v_ashrrev_i32_e32 v182 /*v438*/, 24, v182 /*v438*/
	v_mul_i32_i24_e32 v231 /*v487*/, v151 /*v407*/, v215 /*v471*/
	v_mul_i32_i24_e32 v232 /*v488*/, v150 /*v406*/, v216 /*v472*/
	v_add3_u32 v168 /*v424*/, v168 /*v424*/, v171 /*v427*/, v172 /*v428*/
	v_mul_i32_i24_e32 v233 /*v489*/, v149 /*v405*/, v217 /*v473*/
	v_mul_i32_i24_e32 v234 /*v490*/, v123 /*v379*/, v182 /*v438*/
	v_bfe_i32 v218 /*v474*/, v183 /*v439*/, 0, 8
	v_bfe_i32 v219 /*v475*/, v183 /*v439*/, 8, 8
	v_add3_u32 v168 /*v424*/, v168 /*v424*/, v173 /*v429*/, v174 /*v430*/
	v_bfe_i32 v220 /*v476*/, v183 /*v439*/, 16, 8
	v_mul_i32_i24_e32 v236 /*v492*/, v191 /*v447*/, v132 /*v388*/
	v_mul_i32_i24_e32 v235 /*v491*/, v218 /*v474*/, v127 /*v383*/
	;; [unrolled: 1-line block ×3, first 2 shown]
	v_add3_u32 v168 /*v424*/, v168 /*v424*/, v175 /*v431*/, v176 /*v432*/
	s_set_vgpr_msb 0x41                     ;  msbs: dst=1 src0=1 src1=0 src2=0
	v_mul_i32_i24_e32 v238 /*v494*/, v219 /*v475*/, v234
	s_set_vgpr_msb 64                       ;  msbs: dst=1 src0=0 src1=0 src2=0
	v_mul_i32_i24_e32 v164 /*v420*/, v27, v170
	s_set_vgpr_msb 0x55                     ;  msbs: dst=1 src0=1 src1=1 src2=1
	v_add3_u32 v168 /*v424*/, v168 /*v424*/, v177 /*v433*/, v179 /*v435*/
	s_delay_alu instid0(VALU_DEP_1) | instskip(SKIP_3) | instid1(VALU_DEP_2)
	v_add3_u32 v168 /*v424*/, v168 /*v424*/, v221 /*v477*/, v222 /*v478*/
	s_set_vgpr_msb 0x44                     ;  msbs: dst=1 src0=0 src1=1 src2=0
	v_mul_i32_i24_e32 v222 /*v478*/, v31, v79 /*v335*/
	s_set_vgpr_msb 0x55                     ;  msbs: dst=1 src0=1 src1=1 src2=1
	v_add3_u32 v168 /*v424*/, v168 /*v424*/, v223 /*v479*/, v224 /*v480*/
	s_set_vgpr_msb 0x44                     ;  msbs: dst=1 src0=0 src1=1 src2=0
	v_mul_i32_i24_e32 v223 /*v479*/, v38, v80 /*v336*/
	v_mul_i32_i24_e32 v224 /*v480*/, v40, v81 /*v337*/
	s_set_vgpr_msb 0x55                     ;  msbs: dst=1 src0=1 src1=1 src2=1
	v_add3_u32 v168 /*v424*/, v168 /*v424*/, v225 /*v481*/, v226 /*v482*/
	s_set_vgpr_msb 0x41                     ;  msbs: dst=1 src0=1 src1=0 src2=0
	v_mul_i32_i24_e32 v225 /*v481*/, v83 /*v339*/, v42
	v_mul_i32_i24_e32 v226 /*v482*/, v82 /*v338*/, v44
	s_set_vgpr_msb 0x55                     ;  msbs: dst=1 src0=1 src1=1 src2=1
	v_add3_u32 v168 /*v424*/, v168 /*v424*/, v227 /*v483*/, v228 /*v484*/
	s_set_vgpr_msb 0x41                     ;  msbs: dst=1 src0=1 src1=0 src2=0
	v_mul_i32_i24_e32 v227 /*v483*/, v85 /*v341*/, v46
	v_mul_i32_i24_e32 v228 /*v484*/, v84 /*v340*/, v84
	s_set_vgpr_msb 0x55                     ;  msbs: dst=1 src0=1 src1=1 src2=1
	v_add3_u32 v168 /*v424*/, v168 /*v424*/, v229 /*v485*/, v230 /*v486*/
	s_set_vgpr_msb 0x41                     ;  msbs: dst=1 src0=1 src1=0 src2=0
	v_mul_i32_i24_e32 v229 /*v485*/, v87 /*v343*/, v126
	s_set_vgpr_msb 0x55                     ;  msbs: dst=1 src0=1 src1=1 src2=1
	v_mul_i32_i24_e32 v230 /*v486*/, v86 /*v342*/, v184 /*v440*/
	v_add3_u32 v168 /*v424*/, v168 /*v424*/, v231 /*v487*/, v232 /*v488*/
	v_mul_i32_i24_e32 v231 /*v487*/, v89 /*v345*/, v185 /*v441*/
	v_mul_i32_i24_e32 v232 /*v488*/, v88 /*v344*/, v186 /*v442*/
	s_delay_alu instid0(VALU_DEP_3)
	v_add3_u32 v221 /*v477*/, v168 /*v424*/, v233 /*v489*/, v234 /*v490*/
	s_set_vgpr_msb 64                       ;  msbs: dst=1 src0=0 src1=0 src2=0
	ds_load_b64 v[168:169] /*v[424:425]*/, v5 offset:27200
	ds_load_b64 v[170:171] /*v[426:427]*/, v8 offset:27200
	s_set_vgpr_msb 0x55                     ;  msbs: dst=1 src0=1 src1=1 src2=1
	v_mul_i32_i24_e32 v233 /*v489*/, v91 /*v347*/, v187 /*v443*/
	v_mul_i32_i24_e32 v234 /*v490*/, v90 /*v346*/, v188 /*v444*/
	v_add3_u32 v166 /*v422*/, v221 /*v477*/, v235 /*v491*/, v237 /*v493*/
	s_set_vgpr_msb 0x44                     ;  msbs: dst=1 src0=0 src1=1 src2=0
	v_mul_i32_i24_e32 v221 /*v477*/, v30, v78 /*v334*/
	s_set_vgpr_msb 0x45                     ;  msbs: dst=1 src0=1 src1=1 src2=0
	v_mul_i32_i24_e32 v235 /*v491*/, v189 /*v445*/, v92 /*v348*/
	s_set_vgpr_msb 0x41                     ;  msbs: dst=1 src0=1 src1=0 src2=0
	v_mul_i32_i24_e32 v237 /*v493*/, v191 /*v447*/, v185
	s_wait_dscnt 0x0
	s_set_vgpr_msb 4                        ;  msbs: dst=0 src0=0 src1=1 src2=0
	v_dual_lshrrev_b32 v5, 16, v168 /*v424*/ :: v_dual_lshrrev_b32 v8, 16, v170 /*v426*/
	s_set_vgpr_msb 0x41                     ;  msbs: dst=1 src0=1 src1=0 src2=0
	v_cvt_f32_f16_e64 v172 /*v428*/, v168 /*v424*/
	v_cvt_f32_f16_e64 v176 /*v432*/, v169 /*v425*/
	;; [unrolled: 1-line block ×3, first 2 shown]
	s_set_vgpr_msb 64                       ;  msbs: dst=1 src0=0 src1=0 src2=0
	v_cvt_f32_f16_e64 v174 /*v430*/, v5
	v_cvt_f32_f16_e64 v175 /*v431*/, v8
	s_set_vgpr_msb 4                        ;  msbs: dst=0 src0=0 src1=1 src2=0
	v_ashrrev_i32_e32 v8, 24, v183 /*v439*/
	s_set_vgpr_msb 64                       ;  msbs: dst=1 src0=0 src1=0 src2=0
	v_ashrrev_i32_e32 v183 /*v439*/, 24, v3
	s_set_vgpr_msb 4                        ;  msbs: dst=0 src0=0 src1=1 src2=0
	v_dual_lshrrev_b32 v3, 16, v169 /*v425*/ :: v_dual_lshrrev_b32 v5, 16, v171 /*v427*/
	s_set_vgpr_msb 0x41                     ;  msbs: dst=1 src0=1 src1=0 src2=0
	v_cvt_f32_f16_e64 v177 /*v433*/, v171 /*v427*/
	s_set_vgpr_msb 64                       ;  msbs: dst=1 src0=0 src1=0 src2=0
	s_delay_alu instid0(VALU_DEP_2)
	v_cvt_f32_f16_e64 v168 /*v424*/, v3
	v_cvt_f32_f16_e64 v169 /*v425*/, v5
	s_set_vgpr_msb 4                        ;  msbs: dst=0 src0=0 src1=1 src2=0
	v_mul_i32_i24_e32 v3, v4, v59 /*v315*/
	s_set_vgpr_msb 5                        ;  msbs: dst=0 src0=1 src1=1 src2=0
	v_mul_i32_i24_e32 v5, v192 /*v448*/, v59 /*v315*/
	s_delay_alu instid0(VALU_DEP_2) | instskip(NEXT) | instid1(VALU_DEP_2)
	v_add3_u32 v3, v163 /*v419*/, v160 /*v416*/, v3
	v_add3_u32 v5, v178 /*v434*/, v236 /*v492*/, v5
	s_set_vgpr_msb 0x45                     ;  msbs: dst=1 src0=1 src1=1 src2=0
	v_mul_i32_i24_e32 v160 /*v416*/, v62 /*v318*/, v183 /*v439*/
	s_set_vgpr_msb 0x41                     ;  msbs: dst=1 src0=1 src1=0 src2=0
	v_mul_i32_i24_e32 v163 /*v419*/, v62 /*v318*/, v8
	s_set_vgpr_msb 0x44                     ;  msbs: dst=1 src0=0 src1=1 src2=0
	v_pk_fma_f32 v[178:179] /*v[434:435]*/, v[114:115], v[174:175] /*v[430:431]*/, 0 op_sel_hi:[0,1,0]
	s_set_vgpr_msb 4                        ;  msbs: dst=0 src0=0 src1=1 src2=0
	v_mul_lo_u32 v3, v3, v60 /*v316*/
	v_mul_lo_u32 v5, v5, v60 /*v316*/
	s_set_vgpr_msb 0x41                     ;  msbs: dst=1 src0=1 src1=0 src2=0
	v_mul_i32_i24_e32 v236 /*v492*/, v190 /*v446*/, v183
	s_set_vgpr_msb 64                       ;  msbs: dst=1 src0=0 src1=0 src2=0
	s_delay_alu instid0(VALU_DEP_3) | instskip(NEXT) | instid1(VALU_DEP_3)
	v_cvt_f32_i32_e32 v170 /*v426*/, v3
	v_cvt_f32_i32_e32 v171 /*v427*/, v5
	s_set_vgpr_msb 4                        ;  msbs: dst=0 src0=0 src1=1 src2=0
	v_mul_i32_i24_e32 v3, v0, v63 /*v319*/
	s_set_vgpr_msb 5                        ;  msbs: dst=0 src0=1 src1=1 src2=0
	v_mul_i32_i24_e32 v5, v220 /*v476*/, v63 /*v319*/
	s_set_vgpr_msb 0x45                     ;  msbs: dst=1 src0=1 src1=1 src2=0
	v_pk_fma_f32 v[170:171] /*v[426:427]*/, v[172:173] /*v[428:429]*/, v[170:171] /*v[426:427]*/, 0 op_sel_hi:[1,1,0]
	s_set_vgpr_msb 17                       ;  msbs: dst=0 src0=1 src1=0 src2=1
	v_add3_u32 v3, v165 /*v421*/, v3, v160 /*v416*/
	v_add3_u32 v5, v166 /*v422*/, v5, v163 /*v419*/
	s_set_vgpr_msb 0x44                     ;  msbs: dst=1 src0=0 src1=1 src2=0
	v_mul_i32_i24_e32 v160 /*v416*/, v15, v67 /*v323*/
	v_mul_i32_i24_e32 v163 /*v419*/, v20, v70 /*v326*/
	v_mul_i32_i24_e32 v165 /*v421*/, v21, v71 /*v327*/
	s_set_vgpr_msb 4                        ;  msbs: dst=0 src0=0 src1=1 src2=0
	v_mul_lo_u32 v3, v3, v61 /*v317*/
	v_mul_lo_u32 v5, v5, v61 /*v317*/
	s_set_vgpr_msb 64                       ;  msbs: dst=1 src0=0 src1=0 src2=0
	s_delay_alu instid0(VALU_DEP_2) | instskip(NEXT) | instid1(VALU_DEP_2)
	v_cvt_f32_i32_e32 v166 /*v422*/, v3
	v_cvt_f32_i32_e32 v167 /*v423*/, v5
	s_set_vgpr_msb 4                        ;  msbs: dst=0 src0=0 src1=1 src2=0
	v_mul_i32_i24_e32 v3, v12, v65 /*v321*/
	v_mul_i32_i24_e32 v5, v14, v66 /*v322*/
	s_set_vgpr_msb 0x55                     ;  msbs: dst=1 src0=1 src1=1 src2=1
	v_pk_fma_f32 v[166:167] /*v[422:423]*/, v[176:177] /*v[432:433]*/, v[166:167] /*v[422:423]*/, v[170:171] /*v[426:427]*/
	s_set_vgpr_msb 0x54                     ;  msbs: dst=1 src0=0 src1=1 src2=1
	v_pk_fma_f32 v[170:171] /*v[426:427]*/, v[116:117], v[168:169] /*v[424:425]*/, v[178:179] /*v[434:435]*/ op_sel_hi:[0,1,1]
	s_set_vgpr_msb 4                        ;  msbs: dst=0 src0=0 src1=1 src2=0
	v_mad_i32_i24 v3, v13, v64 /*v320*/, v3
	s_set_vgpr_msb 0x44                     ;  msbs: dst=1 src0=0 src1=1 src2=0
	v_mul_i32_i24_e32 v178 /*v434*/, v28, v76 /*v332*/
	v_mul_i32_i24_e32 v179 /*v435*/, v29, v77 /*v333*/
	s_set_vgpr_msb 0x41                     ;  msbs: dst=1 src0=1 src1=0 src2=0
	v_pk_mul_f32 v[170:171] /*v[426:427]*/, v[170:171] /*v[426:427]*/, v[94:95]
	s_set_vgpr_msb 16                       ;  msbs: dst=0 src0=0 src1=0 src2=1
	v_add3_u32 v3, v3, v5, v160 /*v416*/
	s_set_vgpr_msb 4                        ;  msbs: dst=0 src0=0 src1=1 src2=0
	v_mul_i32_i24_e32 v5, v16, v68 /*v324*/
	s_set_vgpr_msb 0x44                     ;  msbs: dst=1 src0=0 src1=1 src2=0
	v_mul_i32_i24_e32 v160 /*v416*/, v18, v69 /*v325*/
	s_set_vgpr_msb 0x51                     ;  msbs: dst=1 src0=1 src1=0 src2=1
	v_pk_fma_f32 v[166:167] /*v[422:423]*/, v[166:167] /*v[422:423]*/, v[86:87], v[170:171] /*v[426:427]*/ neg_lo:[0,0,1] neg_hi:[0,0,1]
	s_set_vgpr_msb 0x44                     ;  msbs: dst=1 src0=0 src1=1 src2=0
	v_mul_i32_i24_e32 v170 /*v426*/, v26, v74 /*v330*/
	v_mul_i32_i24_e32 v171 /*v427*/, v27, v75 /*v331*/
	s_set_vgpr_msb 16                       ;  msbs: dst=0 src0=0 src1=0 src2=1
	v_add3_u32 v3, v3, v5, v160 /*v416*/
	s_set_vgpr_msb 1                        ;  msbs: dst=0 src0=1 src1=0 src2=0
	v_mul_i32_i24_e32 v5, v193 /*v449*/, v177
	s_set_vgpr_msb 4                        ;  msbs: dst=0 src0=0 src1=1 src2=0
	v_pk_add_f32 v[52:53], v[52:53], v[166:167] /*v[422:423]*/
	s_set_vgpr_msb 0x44                     ;  msbs: dst=1 src0=0 src1=1 src2=0
	v_mul_i32_i24_e32 v166 /*v422*/, v22, v72 /*v328*/
	v_mul_i32_i24_e32 v167 /*v423*/, v24, v73 /*v329*/
	s_set_vgpr_msb 20                       ;  msbs: dst=0 src0=0 src1=1 src2=1
	v_add3_u32 v3, v3, v163 /*v419*/, v165 /*v421*/
	s_set_vgpr_msb 0x41                     ;  msbs: dst=1 src0=1 src1=0 src2=0
	v_mul_i32_i24_e32 v160 /*v416*/, v195 /*v451*/, v175
	v_mul_i32_i24_e32 v163 /*v419*/, v196 /*v452*/, v182
	s_set_vgpr_msb 1                        ;  msbs: dst=0 src0=1 src1=0 src2=0
	v_mad_i32_i24 v5, v194 /*v450*/, v176, v5
	s_set_vgpr_msb 0x41                     ;  msbs: dst=1 src0=1 src1=0 src2=0
	v_mul_i32_i24_e32 v165 /*v421*/, v199 /*v455*/, v179
	s_set_vgpr_msb 20                       ;  msbs: dst=0 src0=0 src1=1 src2=1
	v_add3_u32 v3, v3, v166 /*v422*/, v167 /*v423*/
	s_set_vgpr_msb 0x41                     ;  msbs: dst=1 src0=1 src1=0 src2=0
	v_mul_i32_i24_e32 v166 /*v422*/, v200 /*v456*/, v190
	v_mul_i32_i24_e32 v167 /*v423*/, v201 /*v457*/, v193
	s_set_vgpr_msb 20                       ;  msbs: dst=0 src0=0 src1=1 src2=1
	v_add3_u32 v5, v5, v160 /*v416*/, v163 /*v419*/
	s_set_vgpr_msb 0x41                     ;  msbs: dst=1 src0=1 src1=0 src2=0
	v_mul_i32_i24_e32 v160 /*v416*/, v197 /*v453*/, v186
	s_set_vgpr_msb 20                       ;  msbs: dst=0 src0=0 src1=1 src2=1
	v_add3_u32 v3, v3, v170 /*v426*/, v171 /*v427*/
	s_set_vgpr_msb 0x41                     ;  msbs: dst=1 src0=1 src1=0 src2=0
	v_mul_i32_i24_e32 v163 /*v419*/, v198 /*v454*/, v187
	v_mul_i32_i24_e32 v170 /*v426*/, v202 /*v458*/, v194
	;; [unrolled: 1-line block ×3, first 2 shown]
	s_set_vgpr_msb 20                       ;  msbs: dst=0 src0=0 src1=1 src2=1
	v_add3_u32 v3, v3, v178 /*v434*/, v179 /*v435*/
	v_add3_u32 v5, v5, v160 /*v416*/, v163 /*v419*/
	s_set_vgpr_msb 0x41                     ;  msbs: dst=1 src0=1 src1=0 src2=0
	v_mul_i32_i24_e32 v178 /*v434*/, v204 /*v460*/, v197
	v_mul_i32_i24_e32 v179 /*v435*/, v205 /*v461*/, v198
	s_set_vgpr_msb 64                       ;  msbs: dst=1 src0=0 src1=0 src2=0
	v_mul_i32_i24_e32 v160 /*v416*/, v4, v155
	s_set_vgpr_msb 20                       ;  msbs: dst=0 src0=0 src1=1 src2=1
	v_add3_u32 v3, v3, v221 /*v477*/, v222 /*v478*/
	v_add3_u32 v5, v5, v165 /*v421*/, v166 /*v422*/
	s_set_vgpr_msb 0x41                     ;  msbs: dst=1 src0=1 src1=0 src2=0
	v_mul_i32_i24_e32 v221 /*v477*/, v206 /*v462*/, v200
	v_mul_i32_i24_e32 v222 /*v478*/, v207 /*v463*/, v195
	;; [unrolled: 1-line block ×3, first 2 shown]
	s_set_vgpr_msb 20                       ;  msbs: dst=0 src0=0 src1=1 src2=1
	v_add3_u32 v3, v3, v223 /*v479*/, v224 /*v480*/
	v_add3_u32 v5, v5, v167 /*v423*/, v170 /*v426*/
	s_set_vgpr_msb 0x41                     ;  msbs: dst=1 src0=1 src1=0 src2=0
	v_mul_i32_i24_e32 v223 /*v479*/, v208 /*v464*/, v201
	v_mul_i32_i24_e32 v224 /*v480*/, v209 /*v465*/, v204
	s_set_vgpr_msb 0x55                     ;  msbs: dst=1 src0=1 src1=1 src2=1
	v_add3_u32 v155 /*v411*/, v158 /*v414*/, v155 /*v411*/, v160 /*v416*/
	s_set_vgpr_msb 20                       ;  msbs: dst=0 src0=0 src1=1 src2=1
	v_add3_u32 v3, v3, v225 /*v481*/, v226 /*v482*/
	v_add3_u32 v5, v5, v171 /*v427*/, v178 /*v434*/
	s_set_vgpr_msb 0x41                     ;  msbs: dst=1 src0=1 src1=0 src2=0
	v_mul_i32_i24_e32 v225 /*v481*/, v210 /*v466*/, v206
	s_set_vgpr_msb 0x44                     ;  msbs: dst=1 src0=0 src1=1 src2=0
	v_mul_i32_i24_e32 v226 /*v482*/, v211, v211 /*v467*/
	s_set_vgpr_msb 0x41                     ;  msbs: dst=1 src0=1 src1=0 src2=0
	v_mul_lo_u32 v155 /*v411*/, v155 /*v411*/, v156
	s_set_vgpr_msb 20                       ;  msbs: dst=0 src0=0 src1=1 src2=1
	v_add3_u32 v3, v3, v227 /*v483*/, v228 /*v484*/
	v_add3_u32 v5, v5, v179 /*v435*/, v221 /*v477*/
	s_set_vgpr_msb 0x44                     ;  msbs: dst=1 src0=0 src1=1 src2=0
	v_mul_i32_i24_e32 v227 /*v483*/, v207, v180 /*v436*/
	v_mul_i32_i24_e32 v228 /*v484*/, v213, v212 /*v468*/
	;; [unrolled: 1-line block ×3, first 2 shown]
	s_set_vgpr_msb 20                       ;  msbs: dst=0 src0=0 src1=1 src2=1
	v_add3_u32 v3, v3, v229 /*v485*/, v230 /*v486*/
	v_add3_u32 v5, v5, v222 /*v478*/, v223 /*v479*/
	s_set_vgpr_msb 0x44                     ;  msbs: dst=1 src0=0 src1=1 src2=0
	v_mul_i32_i24_e32 v229 /*v485*/, v214, v213 /*v469*/
	v_mul_i32_i24_e32 v230 /*v486*/, v221, v214 /*v470*/
	s_set_vgpr_msb 64                       ;  msbs: dst=1 src0=0 src1=0 src2=0
	v_mul_i32_i24_e32 v160 /*v416*/, v111, v8
	s_set_vgpr_msb 20                       ;  msbs: dst=0 src0=0 src1=1 src2=1
	v_add3_u32 v3, v3, v231 /*v487*/, v232 /*v488*/
	v_add3_u32 v5, v5, v224 /*v480*/, v225 /*v481*/
	s_set_vgpr_msb 0x44                     ;  msbs: dst=1 src0=0 src1=1 src2=0
	v_mul_i32_i24_e32 v231 /*v487*/, v217, v181 /*v437*/
	v_mul_i32_i24_e32 v232 /*v488*/, v224, v215 /*v471*/
	s_set_vgpr_msb 0x41                     ;  msbs: dst=1 src0=1 src1=0 src2=0
	v_cvt_f32_i32_e32 v166 /*v422*/, v155 /*v411*/
	s_set_vgpr_msb 20                       ;  msbs: dst=0 src0=0 src1=1 src2=1
	v_add3_u32 v3, v3, v233 /*v489*/, v234 /*v490*/
	v_add3_u32 v5, v5, v226 /*v482*/, v227 /*v483*/
	s_set_vgpr_msb 0x44                     ;  msbs: dst=1 src0=0 src1=1 src2=0
	v_mul_i32_i24_e32 v233 /*v489*/, v225, v216 /*v472*/
	v_mul_i32_i24_e32 v234 /*v490*/, v229, v217 /*v473*/
	s_set_vgpr_msb 0x41                     ;  msbs: dst=1 src0=1 src1=0 src2=0
	v_mul_i32_i24_e32 v155 /*v411*/, v220 /*v476*/, v113
	s_set_vgpr_msb 20                       ;  msbs: dst=0 src0=0 src1=1 src2=1
	v_add3_u32 v3, v3, v235 /*v491*/, v236 /*v492*/
	v_add3_u32 v5, v5, v228 /*v484*/, v229 /*v485*/
	s_set_vgpr_msb 0x44                     ;  msbs: dst=1 src0=0 src1=1 src2=0
	v_mul_i32_i24_e32 v235 /*v491*/, v227, v182 /*v438*/
	s_set_vgpr_msb 0x41                     ;  msbs: dst=1 src0=1 src1=0 src2=0
	v_mul_i32_i24_e32 v236 /*v492*/, v218 /*v474*/, v232
	s_set_vgpr_msb 0x44                     ;  msbs: dst=1 src0=0 src1=1 src2=0
	v_pk_fma_f32 v[170:171] /*v[426:427]*/, v[102:103], v[174:175] /*v[430:431]*/, 0 op_sel_hi:[0,1,0]
	s_set_vgpr_msb 20                       ;  msbs: dst=0 src0=0 src1=1 src2=1
	v_add3_u32 v3, v3, v237 /*v493*/, v163 /*v419*/
	v_add3_u32 v5, v5, v230 /*v486*/, v231 /*v487*/
	s_set_vgpr_msb 64                       ;  msbs: dst=1 src0=0 src1=0 src2=0
	v_mul_i32_i24_e32 v165 /*v421*/, v28, v171
	v_mul_i32_i24_e32 v178 /*v434*/, v40, v180
	s_set_vgpr_msb 0x54                     ;  msbs: dst=1 src0=0 src1=1 src2=1
	v_pk_fma_f32 v[162:163] /*v[418:419]*/, v[104:105], v[168:169] /*v[424:425]*/, v[170:171] /*v[426:427]*/ op_sel_hi:[0,1,1]
	s_set_vgpr_msb 0                        ;  msbs: dst=0 src0=0 src1=0 src2=0
	v_mul_lo_u32 v3, v3, v156
	s_set_vgpr_msb 20                       ;  msbs: dst=0 src0=0 src1=1 src2=1
	v_add3_u32 v5, v5, v232 /*v488*/, v233 /*v489*/
	s_set_vgpr_msb 64                       ;  msbs: dst=1 src0=0 src1=0 src2=0
	v_mul_i32_i24_e32 v170 /*v426*/, v31, v174
	v_mul_i32_i24_e32 v171 /*v427*/, v38, v178
	s_set_vgpr_msb 0x41                     ;  msbs: dst=1 src0=1 src1=0 src2=0
	v_pk_mul_f32 v[162:163] /*v[418:419]*/, v[162:163] /*v[418:419]*/, v[96:97]
	s_set_vgpr_msb 64                       ;  msbs: dst=1 src0=0 src1=0 src2=0
	v_mul_i32_i24_e32 v179 /*v435*/, v184, v42
	s_set_vgpr_msb 20                       ;  msbs: dst=0 src0=0 src1=1 src2=1
	v_add3_u32 v5, v5, v234 /*v490*/, v235 /*v491*/
	s_set_vgpr_msb 64                       ;  msbs: dst=1 src0=0 src1=0 src2=0
	v_mul_i32_i24_e32 v221 /*v477*/, v181, v44
	v_mul_i32_i24_e32 v222 /*v478*/, v191, v46
	;; [unrolled: 1-line block ×4, first 2 shown]
	v_cvt_f32_i32_e32 v167 /*v423*/, v3
	s_set_vgpr_msb 0                        ;  msbs: dst=0 src0=0 src1=0 src2=0
	v_mul_i32_i24_e32 v3, v0, v113
	s_set_vgpr_msb 20                       ;  msbs: dst=0 src0=0 src1=1 src2=1
	v_add3_u32 v5, v5, v236 /*v492*/, v238 /*v494*/
	s_set_vgpr_msb 0x44                     ;  msbs: dst=1 src0=0 src1=1 src2=0
	v_mul_i32_i24_e32 v225 /*v481*/, v192, v184 /*v440*/
	v_mul_i32_i24_e32 v226 /*v482*/, v202, v185 /*v441*/
	s_set_vgpr_msb 0x45                     ;  msbs: dst=1 src0=1 src1=1 src2=0
	v_pk_fma_f32 v[166:167] /*v[422:423]*/, v[172:173] /*v[428:429]*/, v[166:167] /*v[422:423]*/, 0 op_sel_hi:[1,1,0]
	s_set_vgpr_msb 17                       ;  msbs: dst=0 src0=1 src1=0 src2=1
	v_add3_u32 v3, v161 /*v417*/, v3, v158 /*v414*/
	s_set_vgpr_msb 20                       ;  msbs: dst=0 src0=0 src1=1 src2=1
	v_add3_u32 v5, v5, v155 /*v411*/, v160 /*v416*/
	s_set_vgpr_msb 64                       ;  msbs: dst=1 src0=0 src1=0 src2=0
	v_mul_i32_i24_e32 v155 /*v411*/, v15, v162
	v_mul_i32_i24_e32 v158 /*v414*/, v20, v165
	s_set_vgpr_msb 0x44                     ;  msbs: dst=1 src0=0 src1=1 src2=0
	v_mul_i32_i24_e32 v227 /*v483*/, v199, v186 /*v442*/
	s_set_vgpr_msb 0                        ;  msbs: dst=0 src0=0 src1=0 src2=0
	v_mul_lo_u32 v3, v3, v115
	v_mul_lo_u32 v5, v5, v115
	s_set_vgpr_msb 0x44                     ;  msbs: dst=1 src0=0 src1=1 src2=0
	v_mul_i32_i24_e32 v228 /*v484*/, v208, v187 /*v443*/
	v_mul_i32_i24_e32 v229 /*v485*/, v203, v188 /*v444*/
	s_set_vgpr_msb 0x41                     ;  msbs: dst=1 src0=1 src1=0 src2=0
	v_mul_i32_i24_e32 v230 /*v486*/, v189 /*v445*/, v215
	v_mul_i32_i24_e32 v231 /*v487*/, v190 /*v446*/, v218
	;; [unrolled: 1-line block ×4, first 2 shown]
	s_set_vgpr_msb 64                       ;  msbs: dst=1 src0=0 src1=0 src2=0
	v_cvt_f32_i32_e32 v160 /*v416*/, v3
	v_cvt_f32_i32_e32 v161 /*v417*/, v5
	s_set_vgpr_msb 0                        ;  msbs: dst=0 src0=0 src1=0 src2=0
	v_mul_i32_i24_e32 v3, v12, v160
	v_mul_i32_i24_e32 v5, v14, v161
	s_set_vgpr_msb 0x55                     ;  msbs: dst=1 src0=1 src1=1 src2=1
	v_pk_fma_f32 v[160:161] /*v[416:417]*/, v[176:177] /*v[432:433]*/, v[160:161] /*v[416:417]*/, v[166:167] /*v[422:423]*/
	s_set_vgpr_msb 0                        ;  msbs: dst=0 src0=0 src1=0 src2=0
	v_mad_i32_i24 v3, v13, v159, v3
	s_set_vgpr_msb 64                       ;  msbs: dst=1 src0=0 src1=0 src2=0
	v_mul_i32_i24_e32 v166 /*v422*/, v29, v172
	v_mul_i32_i24_e32 v167 /*v423*/, v30, v173
	s_set_vgpr_msb 0x51                     ;  msbs: dst=1 src0=1 src1=0 src2=1
	v_pk_fma_f32 v[160:161] /*v[416:417]*/, v[160:161] /*v[416:417]*/, v[88:89], v[162:163] /*v[418:419]*/ neg_lo:[0,0,1] neg_hi:[0,0,1]
	s_set_vgpr_msb 16                       ;  msbs: dst=0 src0=0 src1=0 src2=1
	v_add3_u32 v3, v3, v5, v155 /*v411*/
	v_mul_i32_i24_e32 v5, v16, v163
	s_set_vgpr_msb 64                       ;  msbs: dst=1 src0=0 src1=0 src2=0
	v_mul_i32_i24_e32 v155 /*v411*/, v18, v164
	v_mul_i32_i24_e32 v162 /*v418*/, v24, v168
	s_set_vgpr_msb 4                        ;  msbs: dst=0 src0=0 src1=1 src2=0
	v_pk_add_f32 v[58:59], v[58:59], v[160:161] /*v[416:417]*/
	s_set_vgpr_msb 64                       ;  msbs: dst=1 src0=0 src1=0 src2=0
	v_mul_i32_i24_e32 v160 /*v416*/, v21, v166
	v_mul_i32_i24_e32 v161 /*v417*/, v22, v167
	s_set_vgpr_msb 16                       ;  msbs: dst=0 src0=0 src1=0 src2=1
	v_add3_u32 v3, v3, v5, v155 /*v411*/
	s_set_vgpr_msb 64                       ;  msbs: dst=1 src0=0 src1=0 src2=0
	v_mul_i32_i24_e32 v163 /*v419*/, v26, v169
	s_set_vgpr_msb 1                        ;  msbs: dst=0 src0=1 src1=0 src2=0
	v_mul_i32_i24_e32 v5, v193 /*v449*/, v210
	s_set_vgpr_msb 0x41                     ;  msbs: dst=1 src0=1 src1=0 src2=0
	v_mul_i32_i24_e32 v155 /*v411*/, v195 /*v451*/, v205
	s_set_vgpr_msb 20                       ;  msbs: dst=0 src0=0 src1=1 src2=1
	v_add3_u32 v3, v3, v158 /*v414*/, v160 /*v416*/
	s_set_vgpr_msb 0x41                     ;  msbs: dst=1 src0=1 src1=0 src2=0
	v_mul_i32_i24_e32 v158 /*v414*/, v196 /*v452*/, v216
	s_set_vgpr_msb 1                        ;  msbs: dst=0 src0=1 src1=0 src2=0
	v_mad_i32_i24 v5, v194 /*v450*/, v209, v5
	s_set_vgpr_msb 0x41                     ;  msbs: dst=1 src0=1 src1=0 src2=0
	v_mul_i32_i24_e32 v160 /*v416*/, v199 /*v455*/, v212
	s_set_vgpr_msb 20                       ;  msbs: dst=0 src0=0 src1=1 src2=1
	v_add3_u32 v3, v3, v161 /*v417*/, v162 /*v418*/
	s_set_vgpr_msb 0x41                     ;  msbs: dst=1 src0=1 src1=0 src2=0
	v_mul_i32_i24_e32 v161 /*v417*/, v200 /*v456*/, v226
	s_set_vgpr_msb 20                       ;  msbs: dst=0 src0=0 src1=1 src2=1
	v_add3_u32 v5, v5, v155 /*v411*/, v158 /*v414*/
	s_set_vgpr_msb 0x41                     ;  msbs: dst=1 src0=1 src1=0 src2=0
	v_mul_i32_i24_e32 v155 /*v411*/, v197 /*v453*/, v220
	v_mul_i32_i24_e32 v158 /*v414*/, v198 /*v454*/, v222
	s_set_vgpr_msb 20                       ;  msbs: dst=0 src0=0 src1=1 src2=1
	v_add3_u32 v3, v3, v163 /*v419*/, v164 /*v420*/
	s_set_vgpr_msb 0x41                     ;  msbs: dst=1 src0=1 src1=0 src2=0
	v_mul_i32_i24_e32 v162 /*v418*/, v201 /*v457*/, v228
	v_mul_i32_i24_e32 v163 /*v419*/, v202 /*v458*/, v230
	;; [unrolled: 1-line block ×3, first 2 shown]
	s_set_vgpr_msb 20                       ;  msbs: dst=0 src0=0 src1=1 src2=1
	v_add3_u32 v5, v5, v155 /*v411*/, v158 /*v414*/
	v_add3_u32 v3, v3, v165 /*v421*/, v166 /*v422*/
	s_set_vgpr_msb 0x41                     ;  msbs: dst=1 src0=1 src1=0 src2=0
	v_mul_i32_i24_e32 v165 /*v421*/, v204 /*v460*/, v233
	v_mul_i32_i24_e32 v166 /*v422*/, v205 /*v461*/, v235
	;; [unrolled: 1-line block ×3, first 2 shown]
	s_set_vgpr_msb 20                       ;  msbs: dst=0 src0=0 src1=1 src2=1
	v_add3_u32 v5, v5, v160 /*v416*/, v161 /*v417*/
	v_add3_u32 v3, v3, v167 /*v423*/, v170 /*v426*/
	s_set_vgpr_msb 0x41                     ;  msbs: dst=1 src0=1 src1=0 src2=0
	v_mul_i32_i24_e32 v167 /*v423*/, v206 /*v462*/, v236
	v_mul_i32_i24_e32 v170 /*v426*/, v207 /*v463*/, v231
	s_set_vgpr_msb 64                       ;  msbs: dst=1 src0=0 src1=0 src2=0
	v_mul_i32_i24_e32 v155 /*v411*/, v4, v157
	s_set_vgpr_msb 20                       ;  msbs: dst=0 src0=0 src1=1 src2=1
	v_add3_u32 v5, v5, v162 /*v418*/, v163 /*v419*/
	v_add3_u32 v3, v3, v171 /*v427*/, v178 /*v434*/
	s_set_vgpr_msb 0x41                     ;  msbs: dst=1 src0=1 src1=0 src2=0
	v_mul_i32_i24_e32 v171 /*v427*/, v208 /*v464*/, v237
	v_mul_i32_i24_e32 v178 /*v434*/, v209 /*v465*/, v238
	s_set_vgpr_msb 17                       ;  msbs: dst=0 src0=1 src1=0 src2=1
	v_add3_u32 v6, v153 /*v409*/, v6, v155 /*v411*/
	s_set_vgpr_msb 20                       ;  msbs: dst=0 src0=0 src1=1 src2=1
	v_add3_u32 v5, v5, v164 /*v420*/, v165 /*v421*/
	v_add3_u32 v3, v3, v179 /*v435*/, v221 /*v477*/
	s_set_vgpr_msb 0x41                     ;  msbs: dst=1 src0=1 src1=0 src2=0
	v_mul_i32_i24_e32 v179 /*v435*/, v210 /*v466*/, v239
	s_set_vgpr_msb 0x44                     ;  msbs: dst=1 src0=0 src1=1 src2=0
	v_mul_i32_i24_e32 v221 /*v477*/, v241, v211 /*v467*/
	s_set_vgpr_msb 0                        ;  msbs: dst=0 src0=0 src1=0 src2=0
	v_mul_lo_u32 v6, v6, v158
	s_set_vgpr_msb 20                       ;  msbs: dst=0 src0=0 src1=1 src2=1
	v_add3_u32 v5, v5, v166 /*v422*/, v167 /*v423*/
	v_add3_u32 v3, v3, v222 /*v478*/, v223 /*v479*/
	s_set_vgpr_msb 0x44                     ;  msbs: dst=1 src0=0 src1=1 src2=0
	v_mul_i32_i24_e32 v222 /*v478*/, v240, v180 /*v436*/
	v_mul_i32_i24_e32 v223 /*v479*/, v242, v212 /*v468*/
	v_mul_i32_i24_e32 v153 /*v409*/, v117, v183 /*v439*/
	s_set_vgpr_msb 20                       ;  msbs: dst=0 src0=0 src1=1 src2=1
	v_add3_u32 v5, v5, v170 /*v426*/, v171 /*v427*/
	v_add3_u32 v3, v3, v224 /*v480*/, v225 /*v481*/
	s_set_vgpr_msb 0x44                     ;  msbs: dst=1 src0=0 src1=1 src2=0
	v_mul_i32_i24_e32 v224 /*v480*/, v243, v213 /*v469*/
	v_mul_i32_i24_e32 v225 /*v481*/, v245, v214 /*v470*/
	s_set_vgpr_msb 64                       ;  msbs: dst=1 src0=0 src1=0 src2=0
	v_mul_i32_i24_e32 v155 /*v411*/, v117, v8
	s_set_vgpr_msb 20                       ;  msbs: dst=0 src0=0 src1=1 src2=1
	v_add3_u32 v5, v5, v178 /*v434*/, v179 /*v435*/
	v_add3_u32 v3, v3, v226 /*v482*/, v227 /*v483*/
	s_set_vgpr_msb 0x44                     ;  msbs: dst=1 src0=0 src1=1 src2=0
	v_mul_i32_i24_e32 v226 /*v482*/, v244, v181 /*v437*/
	v_mul_i32_i24_e32 v227 /*v483*/, v246, v215 /*v471*/
	v_cvt_f32_i32_e32 v160 /*v416*/, v6
	s_set_vgpr_msb 20                       ;  msbs: dst=0 src0=0 src1=1 src2=1
	v_add3_u32 v5, v5, v221 /*v477*/, v222 /*v478*/
	v_add3_u32 v3, v3, v228 /*v484*/, v229 /*v485*/
	s_set_vgpr_msb 0x44                     ;  msbs: dst=1 src0=0 src1=1 src2=0
	v_mul_i32_i24_e32 v228 /*v484*/, v247, v216 /*v472*/
	v_mul_i32_i24_e32 v229 /*v485*/, v249, v217 /*v473*/
	s_set_vgpr_msb 1                        ;  msbs: dst=0 src0=1 src1=0 src2=0
	v_mul_i32_i24_e32 v6, v220 /*v476*/, v150
	s_set_vgpr_msb 20                       ;  msbs: dst=0 src0=0 src1=1 src2=1
	v_add3_u32 v5, v5, v223 /*v479*/, v224 /*v480*/
	v_add3_u32 v3, v3, v230 /*v486*/, v231 /*v487*/
	s_set_vgpr_msb 0x44                     ;  msbs: dst=1 src0=0 src1=1 src2=0
	v_mul_i32_i24_e32 v230 /*v486*/, v248, v182 /*v438*/
	s_set_vgpr_msb 0x41                     ;  msbs: dst=1 src0=1 src1=0 src2=0
	v_mul_i32_i24_e32 v231 /*v487*/, v218 /*v474*/, v250
	s_set_vgpr_msb 0x44                     ;  msbs: dst=1 src0=0 src1=1 src2=0
	v_pk_fma_f32 v[162:163] /*v[418:419]*/, v[106:107], v[174:175] /*v[430:431]*/, 0 op_sel_hi:[0,1,0]
	s_set_vgpr_msb 20                       ;  msbs: dst=0 src0=0 src1=1 src2=1
	v_add3_u32 v5, v5, v225 /*v481*/, v226 /*v482*/
	v_add3_u32 v3, v3, v232 /*v488*/, v158 /*v414*/
	s_set_vgpr_msb 0                        ;  msbs: dst=0 src0=0 src1=0 src2=0
	v_mul_i32_i24_e32 v4, v4, v252
	v_mul_i32_i24_e32 v8, v152, v8
	s_set_vgpr_msb 0x54                     ;  msbs: dst=1 src0=0 src1=1 src2=1
	v_pk_fma_f32 v[158:159] /*v[414:415]*/, v[108:109], v[168:169] /*v[424:425]*/, v[162:163] /*v[418:419]*/ op_sel_hi:[0,1,1]
	s_set_vgpr_msb 20                       ;  msbs: dst=0 src0=0 src1=1 src2=1
	v_add3_u32 v5, v5, v227 /*v483*/, v228 /*v484*/
	s_set_vgpr_msb 0                        ;  msbs: dst=0 src0=0 src1=0 src2=0
	v_mul_lo_u32 v3, v3, v158
	v_add3_u32 v1, v2, v1, v4
	s_set_vgpr_msb 0x41                     ;  msbs: dst=1 src0=1 src1=0 src2=0
	v_pk_mul_f32 v[158:159] /*v[414:415]*/, v[158:159] /*v[414:415]*/, v[98:99]
	s_set_vgpr_msb 20                       ;  msbs: dst=0 src0=0 src1=1 src2=1
	v_add3_u32 v5, v5, v229 /*v485*/, v230 /*v486*/
	s_set_vgpr_msb 0                        ;  msbs: dst=0 src0=0 src1=0 src2=0
	v_mul_lo_u32 v1, v1, v253
	s_set_vgpr_msb 20                       ;  msbs: dst=0 src0=0 src1=1 src2=1
	s_delay_alu instid0(VALU_DEP_2)
	v_add3_u32 v5, v5, v231 /*v487*/, v233 /*v489*/
	s_set_vgpr_msb 64                       ;  msbs: dst=1 src0=0 src1=0 src2=0
	v_cvt_f32_i32_e32 v161 /*v417*/, v3
	s_set_vgpr_msb 16                       ;  msbs: dst=0 src0=0 src1=0 src2=1
	v_mul_i32_i24_e32 v3, v0, v150
	v_mul_i32_i24_e32 v0, v0, v153
	v_add3_u32 v5, v5, v6, v155 /*v411*/
	s_set_vgpr_msb 4                        ;  msbs: dst=0 src0=0 src1=1 src2=0
	v_mul_i32_i24_e32 v6, v15, v1 /*v257*/
	v_mul_i32_i24_e32 v15, v24, v7 /*v263*/
	s_set_vgpr_msb 17                       ;  msbs: dst=0 src0=1 src1=0 src2=1
	v_add3_u32 v3, v156 /*v412*/, v3, v153 /*v409*/
	s_set_vgpr_msb 4                        ;  msbs: dst=0 src0=0 src1=1 src2=0
	v_mul_i32_i24_e32 v24, v31, v13 /*v269*/
	s_set_vgpr_msb 0                        ;  msbs: dst=0 src0=0 src1=0 src2=0
	v_mul_lo_u32 v5, v5, v151
	s_set_vgpr_msb 1                        ;  msbs: dst=0 src0=1 src1=0 src2=0
	v_mul_i32_i24_e32 v31, v18 /*v274*/, v84
	s_set_vgpr_msb 5                        ;  msbs: dst=0 src0=1 src1=1 src2=0
	v_mul_i32_i24_e32 v84, v24 /*v280*/, v188 /*v444*/
	s_set_vgpr_msb 0                        ;  msbs: dst=0 src0=0 src1=0 src2=0
	v_mul_lo_u32 v3, v3, v151
	s_set_vgpr_msb 0x45                     ;  msbs: dst=1 src0=1 src1=1 src2=0
	v_mul_i32_i24_e32 v153 /*v409*/, v190 /*v446*/, v32 /*v288*/
	v_mul_i32_i24_e32 v155 /*v411*/, v191 /*v447*/, v33 /*v289*/
	v_pk_fma_f32 v[160:161] /*v[416:417]*/, v[172:173] /*v[428:429]*/, v[160:161] /*v[416:417]*/, 0 op_sel_hi:[1,1,0]
	s_set_vgpr_msb 64                       ;  msbs: dst=1 src0=0 src1=0 src2=0
	v_cvt_f32_i32_e32 v157 /*v413*/, v5
	s_set_vgpr_msb 4                        ;  msbs: dst=0 src0=0 src1=1 src2=0
	v_mul_i32_i24_e32 v5, v14, v0 /*v256*/
	v_mul_i32_i24_e32 v14, v22, v6 /*v262*/
	s_set_vgpr_msb 64                       ;  msbs: dst=1 src0=0 src1=0 src2=0
	v_cvt_f32_i32_e32 v156 /*v412*/, v3
	s_set_vgpr_msb 0                        ;  msbs: dst=0 src0=0 src1=0 src2=0
	v_mul_i32_i24_e32 v3, v12, v255
	s_set_vgpr_msb 4                        ;  msbs: dst=0 src0=0 src1=1 src2=0
	v_mul_i32_i24_e32 v12, v20, v4 /*v260*/
	v_mul_i32_i24_e32 v20, v28, v10 /*v266*/
	;; [unrolled: 1-line block ×3, first 2 shown]
	s_set_vgpr_msb 1                        ;  msbs: dst=0 src0=1 src1=0 src2=0
	v_mul_i32_i24_e32 v28, v17 /*v273*/, v42
	s_set_vgpr_msb 0                        ;  msbs: dst=0 src0=0 src1=0 src2=0
	v_mad_i32_i24 v3, v13, v254, v3
	s_set_vgpr_msb 4                        ;  msbs: dst=0 src0=0 src1=1 src2=0
	v_mul_i32_i24_e32 v13, v21, v5 /*v261*/
	v_mul_i32_i24_e32 v21, v29, v11 /*v267*/
	s_set_vgpr_msb 1                        ;  msbs: dst=0 src0=1 src1=0 src2=0
	v_mul_i32_i24_e32 v29, v16 /*v272*/, v44
	v_mul_i32_i24_e32 v30, v19 /*v275*/, v46
	s_set_vgpr_msb 0                        ;  msbs: dst=0 src0=0 src1=0 src2=0
	v_add3_u32 v3, v3, v5, v6
	s_set_vgpr_msb 4                        ;  msbs: dst=0 src0=0 src1=1 src2=0
	v_mul_i32_i24_e32 v5, v16, v2 /*v258*/
	v_mul_i32_i24_e32 v6, v18, v3 /*v259*/
	;; [unrolled: 1-line block ×6, first 2 shown]
	s_set_vgpr_msb 0                        ;  msbs: dst=0 src0=0 src1=0 src2=0
	v_add3_u32 v3, v3, v5, v6
	s_set_vgpr_msb 5                        ;  msbs: dst=0 src0=1 src1=1 src2=0
	v_mul_i32_i24_e32 v5, v193 /*v449*/, v28 /*v284*/
	v_mul_i32_i24_e32 v6, v195 /*v451*/, v25 /*v281*/
	s_set_vgpr_msb 1                        ;  msbs: dst=0 src0=1 src1=0 src2=0
	v_mul_i32_i24_e32 v38, v21 /*v277*/, v126
	s_set_vgpr_msb 5                        ;  msbs: dst=0 src0=1 src1=1 src2=0
	v_mul_i32_i24_e32 v40, v20 /*v276*/, v184 /*v440*/
	s_set_vgpr_msb 0                        ;  msbs: dst=0 src0=0 src1=0 src2=0
	v_add3_u32 v3, v3, v12, v13
	s_set_vgpr_msb 5                        ;  msbs: dst=0 src0=1 src1=1 src2=0
	v_mul_i32_i24_e32 v12, v196 /*v452*/, v31 /*v287*/
	v_mad_i32_i24 v5, v194 /*v450*/, v27 /*v283*/, v5
	v_mul_i32_i24_e32 v13, v199 /*v455*/, v29 /*v285*/
	v_mul_i32_i24_e32 v42, v23 /*v279*/, v185 /*v441*/
	s_set_vgpr_msb 0                        ;  msbs: dst=0 src0=0 src1=0 src2=0
	v_add3_u32 v3, v3, v14, v15
	s_set_vgpr_msb 5                        ;  msbs: dst=0 src0=1 src1=1 src2=0
	v_mul_i32_i24_e32 v14, v200 /*v456*/, v37 /*v293*/
	s_set_vgpr_msb 0                        ;  msbs: dst=0 src0=0 src1=0 src2=0
	v_add3_u32 v5, v5, v6, v12
	s_set_vgpr_msb 5                        ;  msbs: dst=0 src0=1 src1=1 src2=0
	v_mul_i32_i24_e32 v6, v197 /*v453*/, v34 /*v290*/
	v_mul_i32_i24_e32 v12, v198 /*v454*/, v35 /*v291*/
	s_set_vgpr_msb 0                        ;  msbs: dst=0 src0=0 src1=0 src2=0
	v_add3_u32 v3, v3, v16, v18
	s_set_vgpr_msb 5                        ;  msbs: dst=0 src0=1 src1=1 src2=0
	v_mul_i32_i24_e32 v15, v201 /*v457*/, v38 /*v294*/
	v_mul_i32_i24_e32 v16, v202 /*v458*/, v39 /*v295*/
	v_mul_i32_i24_e32 v18, v203 /*v459*/, v36 /*v292*/
	s_set_vgpr_msb 0                        ;  msbs: dst=0 src0=0 src1=0 src2=0
	v_add3_u32 v5, v5, v6, v12
	v_add3_u32 v3, v3, v20, v21
	s_set_vgpr_msb 5                        ;  msbs: dst=0 src0=1 src1=1 src2=0
	v_mul_i32_i24_e32 v20, v204 /*v460*/, v41 /*v297*/
	v_mul_i32_i24_e32 v21, v205 /*v461*/, v42 /*v298*/
	v_mul_i32_i24_e32 v44, v22 /*v278*/, v186 /*v442*/
	s_set_vgpr_msb 0                        ;  msbs: dst=0 src0=0 src1=0 src2=0
	v_add3_u32 v5, v5, v13, v14
	;; [unrolled: 7-line block ×4, first 2 shown]
	v_add3_u32 v3, v3, v28, v29
	s_set_vgpr_msb 5                        ;  msbs: dst=0 src0=1 src1=1 src2=0
	v_mul_i32_i24_e32 v28, v210 /*v466*/, v46 /*v302*/
	v_mul_i32_i24_e32 v29, v48 /*v304*/, v211 /*v467*/
	s_set_vgpr_msb 0x55                     ;  msbs: dst=1 src0=1 src1=1 src2=1
	v_pk_fma_f32 v[156:157] /*v[412:413]*/, v[176:177] /*v[432:433]*/, v[156:157] /*v[412:413]*/, v[160:161] /*v[416:417]*/
	s_set_vgpr_msb 0                        ;  msbs: dst=0 src0=0 src1=0 src2=0
	v_add3_u32 v5, v5, v21, v22
	v_add3_u32 v3, v3, v30, v31
	s_set_vgpr_msb 5                        ;  msbs: dst=0 src0=1 src1=1 src2=0
	v_mul_i32_i24_e32 v30, v47 /*v303*/, v180 /*v436*/
	v_mul_i32_i24_e32 v31, v49 /*v305*/, v212 /*v468*/
	s_set_vgpr_msb 0x51                     ;  msbs: dst=1 src0=1 src1=0 src2=1
	v_pk_fma_f32 v[156:157] /*v[412:413]*/, v[156:157] /*v[412:413]*/, v[90:91], v[158:159] /*v[414:415]*/ neg_lo:[0,0,1] neg_hi:[0,0,1]
	s_set_vgpr_msb 0                        ;  msbs: dst=0 src0=0 src1=0 src2=0
	v_add3_u32 v5, v5, v24, v26
	v_add3_u32 v3, v3, v38, v40
	s_set_vgpr_msb 5                        ;  msbs: dst=0 src0=1 src1=1 src2=0
	v_mul_i32_i24_e32 v38, v50 /*v306*/, v213 /*v469*/
	v_mul_i32_i24_e32 v40, v52 /*v308*/, v214 /*v470*/
	s_set_vgpr_msb 4                        ;  msbs: dst=0 src0=0 src1=1 src2=0
	v_pk_add_f32 v[68:69], v[68:69], v[156:157] /*v[412:413]*/
	s_set_vgpr_msb 0                        ;  msbs: dst=0 src0=0 src1=0 src2=0
	v_add3_u32 v5, v5, v27, v28
	v_add3_u32 v3, v3, v42, v44
	s_set_vgpr_msb 5                        ;  msbs: dst=0 src0=1 src1=1 src2=0
	v_mul_i32_i24_e32 v42, v51 /*v307*/, v181 /*v437*/
	v_mul_i32_i24_e32 v44, v53 /*v309*/, v215 /*v471*/
	s_set_vgpr_msb 0x45                     ;  msbs: dst=1 src0=1 src1=1 src2=0
	v_mul_i32_i24_e32 v156 /*v412*/, v219 /*v475*/, v58 /*v314*/
	s_set_vgpr_msb 0                        ;  msbs: dst=0 src0=0 src1=0 src2=0
	v_add3_u32 v5, v5, v29, v30
	v_add3_u32 v3, v3, v46, v84
	s_set_vgpr_msb 5                        ;  msbs: dst=0 src0=1 src1=1 src2=0
	v_mul_i32_i24_e32 v46, v54 /*v310*/, v216 /*v472*/
	v_mul_i32_i24_e32 v84, v56 /*v312*/, v217 /*v473*/
	s_set_vgpr_msb 4                        ;  msbs: dst=0 src0=0 src1=1 src2=0
	v_mul_i32_i24_e32 v12, v152, v183 /*v439*/
	s_set_vgpr_msb 0                        ;  msbs: dst=0 src0=0 src1=0 src2=0
	v_add3_u32 v5, v5, v31, v38
	s_set_vgpr_msb 16                       ;  msbs: dst=0 src0=0 src1=0 src2=1
	v_add3_u32 v3, v3, v126, v153 /*v409*/
	s_set_vgpr_msb 5                        ;  msbs: dst=0 src0=1 src1=1 src2=0
	v_mul_i32_i24_e32 v126, v55 /*v311*/, v182 /*v438*/
	s_set_vgpr_msb 0x45                     ;  msbs: dst=1 src0=1 src1=1 src2=0
	v_mul_i32_i24_e32 v153 /*v409*/, v218 /*v474*/, v57 /*v313*/
	s_set_vgpr_msb 0                        ;  msbs: dst=0 src0=0 src1=0 src2=0
	v_add3_u32 v0, v7, v0, v12
	v_add3_u32 v5, v5, v40, v42
	s_delay_alu instid0(VALU_DEP_2) | instskip(NEXT) | instid1(VALU_DEP_2)
	v_mul_lo_u32 v0, v0, v154
	v_add3_u32 v5, v5, v44, v46
	s_delay_alu instid0(VALU_DEP_1) | instskip(SKIP_3) | instid1(VALU_DEP_2)
	v_add3_u32 v6, v5, v84, v126
	s_set_vgpr_msb 1                        ;  msbs: dst=0 src0=1 src1=0 src2=0
	v_mul_i32_i24_e32 v5, v192 /*v448*/, v252
	s_set_vgpr_msb 20                       ;  msbs: dst=0 src0=0 src1=1 src2=1
	v_add3_u32 v6, v6, v153 /*v409*/, v156 /*v412*/
	s_set_vgpr_msb 4                        ;  msbs: dst=0 src0=0 src1=1 src2=0
	s_delay_alu instid0(VALU_DEP_2) | instskip(SKIP_3) | instid1(VALU_DEP_3)
	v_add3_u32 v3, v3, v155 /*v411*/, v5
	v_pk_fma_f32 v[4:5], v[112:113], v[174:175] /*v[430:431]*/, 0 op_sel_hi:[0,1,0]
	v_cvt_f32_i32_e32 v0, v0
	s_set_vgpr_msb 0                        ;  msbs: dst=0 src0=0 src1=0 src2=0
	v_mul_lo_u32 v2, v3, v253
	s_delay_alu instid0(VALU_DEP_1) | instskip(SKIP_3) | instid1(VALU_DEP_2)
	v_cvt_f32_i32_e32 v3, v2
	v_cvt_f32_i32_e32 v2, v1
	s_set_vgpr_msb 1                        ;  msbs: dst=0 src0=1 src1=0 src2=0
	v_mul_i32_i24_e32 v1, v220 /*v476*/, v153
	v_pk_fma_f32 v[2:3], v[172:173] /*v[428:429]*/, v[2:3], 0 op_sel_hi:[1,1,0]
	s_set_vgpr_msb 0                        ;  msbs: dst=0 src0=0 src1=0 src2=0
	s_delay_alu instid0(VALU_DEP_2) | instskip(NEXT) | instid1(VALU_DEP_1)
	v_add3_u32 v1, v6, v1, v8
	v_mul_lo_u32 v1, v1, v154
	s_delay_alu instid0(VALU_DEP_1) | instskip(SKIP_1) | instid1(VALU_DEP_1)
	v_cvt_f32_i32_e32 v1, v1
	s_set_vgpr_msb 1                        ;  msbs: dst=0 src0=1 src1=0 src2=0
	v_pk_fma_f32 v[0:1], v[176:177] /*v[432:433]*/, v[0:1], v[2:3]
	s_set_vgpr_msb 4                        ;  msbs: dst=0 src0=0 src1=1 src2=0
	v_pk_fma_f32 v[2:3], v[110:111], v[168:169] /*v[424:425]*/, v[4:5] op_sel_hi:[0,1,1]
	s_set_vgpr_msb 0                        ;  msbs: dst=0 src0=0 src1=0 src2=0
	s_delay_alu instid0(VALU_DEP_1) | instskip(NEXT) | instid1(VALU_DEP_1)
	v_pk_mul_f32 v[2:3], v[2:3], v[100:101]
	v_pk_fma_f32 v[0:1], v[0:1], v[92:93], v[2:3] neg_lo:[0,0,1] neg_hi:[0,0,1]
	s_delay_alu instid0(VALU_DEP_1) | instskip(SKIP_1) | instid1(VALU_DEP_1)
	v_pk_add_f32 v[76:77], v[76:77], v[0:1]
	v_or_b32_e32 v0, s12, v136
	v_lshlrev_b32_e32 v1, 2, v0
	s_set_vgpr_msb 64                       ;  msbs: dst=1 src0=0 src1=0 src2=0
	v_lshrrev_b32_e32 v232 /*v488*/, 1, v0
	s_set_vgpr_msb 0                        ;  msbs: dst=0 src0=0 src1=0 src2=0
	ds_load_b128 v[4:7], v1 offset:16896
	s_set_vgpr_msb 64                       ;  msbs: dst=1 src0=0 src1=0 src2=0
	ds_load_b128 v[152:155] /*v[408:411]*/, v1 offset:16912
	ds_load_b128 v[158:161] /*v[414:417]*/, v1 offset:16928
	s_set_vgpr_msb 0                        ;  msbs: dst=0 src0=0 src1=0 src2=0
	ds_load_b128 v[0:3], v1 offset:16944
	s_wait_dscnt 0x3
	v_bfe_i32 v8, v4, 0, 8
	v_bfe_i32 v12, v4, 8, 8
	;; [unrolled: 1-line block ×3, first 2 shown]
	v_ashrrev_i32_e32 v4, 24, v4
	s_wait_dscnt 0x2
	s_set_vgpr_msb 1                        ;  msbs: dst=0 src0=1 src1=0 src2=0
	v_bfe_i32 v31, v153 /*v409*/, 0, 8
	v_bfe_i32 v38, v153 /*v409*/, 8, 8
	;; [unrolled: 1-line block ×3, first 2 shown]
	s_set_vgpr_msb 4                        ;  msbs: dst=0 src0=0 src1=1 src2=0
	v_dual_ashrrev_i32 v42, 24, v153 /*v409*/ :: v_dual_ashrrev_i32 v126, 24, v154 /*v410*/
	s_set_vgpr_msb 1                        ;  msbs: dst=0 src0=1 src1=0 src2=0
	v_bfe_i32 v44, v154 /*v410*/, 0, 8
	v_bfe_i32 v46, v154 /*v410*/, 8, 8
	;; [unrolled: 1-line block ×3, first 2 shown]
	s_set_vgpr_msb 0x41                     ;  msbs: dst=1 src0=1 src1=0 src2=0
	v_bfe_i32 v153 /*v409*/, v155 /*v411*/, 0, 8
	v_bfe_i32 v154 /*v410*/, v155 /*v411*/, 8, 8
	v_bfe_i32 v157 /*v413*/, v155 /*v411*/, 16, 8
	s_set_vgpr_msb 0x44                     ;  msbs: dst=1 src0=0 src1=1 src2=0
	v_ashrrev_i32_e32 v156 /*v412*/, 24, v155 /*v411*/
	s_wait_dscnt 0x1
	s_set_vgpr_msb 0x41                     ;  msbs: dst=1 src0=1 src1=0 src2=0
	v_bfe_i32 v155 /*v411*/, v158 /*v414*/, 0, 8
	v_bfe_i32 v169 /*v425*/, v158 /*v414*/, 8, 8
	;; [unrolled: 1-line block ×3, first 2 shown]
	s_set_vgpr_msb 0x44                     ;  msbs: dst=1 src0=0 src1=1 src2=0
	v_dual_ashrrev_i32 v171 /*v427*/, 24, v158 /*v414*/ :: v_dual_ashrrev_i32 v175 /*v431*/, 24, v159 /*v415*/
	v_mul_i32_i24_e32 v158 /*v414*/, v8, v94 /*v350*/
	s_set_vgpr_msb 0                        ;  msbs: dst=0 src0=0 src1=0 src2=0
	v_bfe_i32 v14, v5, 0, 8
	v_bfe_i32 v15, v5, 8, 8
	v_bfe_i32 v22, v7, 0, 8
	v_bfe_i32 v24, v7, 8, 8
	v_bfe_i32 v26, v7, 16, 8
	v_ashrrev_i32_e32 v7, 24, v7
	s_set_vgpr_msb 0x41                     ;  msbs: dst=1 src0=1 src1=0 src2=0
	v_bfe_i32 v172 /*v428*/, v159 /*v415*/, 0, 8
	v_bfe_i32 v173 /*v429*/, v159 /*v415*/, 8, 8
	;; [unrolled: 1-line block ×6, first 2 shown]
	s_set_vgpr_msb 0x54                     ;  msbs: dst=1 src0=0 src1=1 src2=1
	v_dual_ashrrev_i32 v179 /*v435*/, 24, v160 /*v416*/ :: v_dual_ashrrev_i32 v183 /*v439*/, 24, v161 /*v417*/
	v_mul_i32_i24_e32 v159 /*v415*/, v13, v95 /*v351*/
	v_mul_i32_i24_e32 v160 /*v416*/, v4, v96 /*v352*/
	v_mad_i32_i24 v158 /*v414*/, v12, v93 /*v349*/, v158 /*v414*/
	s_set_vgpr_msb 0                        ;  msbs: dst=0 src0=0 src1=0 src2=0
	v_bfe_i32 v16, v5, 16, 8
	v_ashrrev_i32_e32 v5, 24, v5
	v_bfe_i32 v18, v6, 0, 8
	v_bfe_i32 v20, v6, 8, 8
	s_set_vgpr_msb 0x55                     ;  msbs: dst=1 src0=1 src1=1 src2=1
	v_add3_u32 v158 /*v414*/, v158 /*v414*/, v159 /*v415*/, v160 /*v416*/
	s_set_vgpr_msb 0x44                     ;  msbs: dst=1 src0=0 src1=1 src2=0
	v_mul_i32_i24_e32 v159 /*v415*/, v14, v97 /*v353*/
	v_mul_i32_i24_e32 v160 /*v416*/, v15, v98 /*v354*/
	s_set_vgpr_msb 0x41                     ;  msbs: dst=1 src0=1 src1=0 src2=0
	v_bfe_i32 v180 /*v436*/, v161 /*v417*/, 0, 8
	v_bfe_i32 v181 /*v437*/, v161 /*v417*/, 8, 8
	;; [unrolled: 1-line block ×3, first 2 shown]
	s_set_vgpr_msb 0x44                     ;  msbs: dst=1 src0=0 src1=1 src2=0
	v_mul_i32_i24_e32 v161 /*v417*/, v16, v99 /*v355*/
	v_mul_i32_i24_e32 v162 /*v418*/, v5, v100 /*v356*/
	s_set_vgpr_msb 0x55                     ;  msbs: dst=1 src0=1 src1=1 src2=1
	v_add3_u32 v158 /*v414*/, v158 /*v414*/, v159 /*v415*/, v160 /*v416*/
	s_set_vgpr_msb 0                        ;  msbs: dst=0 src0=0 src1=0 src2=0
	v_bfe_i32 v21, v6, 16, 8
	v_ashrrev_i32_e32 v6, 24, v6
	s_set_vgpr_msb 0x44                     ;  msbs: dst=1 src0=0 src1=1 src2=0
	v_mul_i32_i24_e32 v163 /*v419*/, v18, v101 /*v357*/
	v_mul_i32_i24_e32 v164 /*v420*/, v20, v102 /*v358*/
	s_set_vgpr_msb 0x55                     ;  msbs: dst=1 src0=1 src1=1 src2=1
	v_add3_u32 v158 /*v414*/, v158 /*v414*/, v161 /*v417*/, v162 /*v418*/
	s_set_vgpr_msb 0x44                     ;  msbs: dst=1 src0=0 src1=1 src2=0
	v_mul_i32_i24_e32 v165 /*v421*/, v21, v103 /*v359*/
	v_mul_i32_i24_e32 v166 /*v422*/, v6, v104 /*v360*/
	;; [unrolled: 1-line block ×4, first 2 shown]
	s_set_vgpr_msb 0x55                     ;  msbs: dst=1 src0=1 src1=1 src2=1
	v_add3_u32 v158 /*v414*/, v158 /*v414*/, v163 /*v419*/, v164 /*v420*/
	s_set_vgpr_msb 1                        ;  msbs: dst=0 src0=1 src1=0 src2=0
	v_bfe_i32 v27, v152 /*v408*/, 0, 8
	v_bfe_i32 v28, v152 /*v408*/, 8, 8
	s_set_vgpr_msb 0x44                     ;  msbs: dst=1 src0=0 src1=1 src2=0
	v_mul_i32_i24_e32 v195 /*v451*/, v26, v107 /*v363*/
	v_mul_i32_i24_e32 v196 /*v452*/, v7, v108 /*v364*/
	s_set_vgpr_msb 0x55                     ;  msbs: dst=1 src0=1 src1=1 src2=1
	v_add3_u32 v158 /*v414*/, v158 /*v414*/, v165 /*v421*/, v166 /*v422*/
	s_set_vgpr_msb 1                        ;  msbs: dst=0 src0=1 src1=0 src2=0
	v_bfe_i32 v29, v152 /*v408*/, 16, 8
	s_set_vgpr_msb 4                        ;  msbs: dst=0 src0=0 src1=1 src2=0
	v_ashrrev_i32_e32 v30, 24, v152 /*v408*/
	s_set_vgpr_msb 0x44                     ;  msbs: dst=1 src0=0 src1=1 src2=0
	v_mul_i32_i24_e32 v197 /*v453*/, v27, v109 /*v365*/
	v_mul_i32_i24_e32 v198 /*v454*/, v28, v110 /*v366*/
	s_set_vgpr_msb 0x55                     ;  msbs: dst=1 src0=1 src1=1 src2=1
	v_add3_u32 v158 /*v414*/, v158 /*v414*/, v167 /*v423*/, v168 /*v424*/
	s_set_vgpr_msb 0x41                     ;  msbs: dst=1 src0=1 src1=0 src2=0
	v_mul_i32_i24_e32 v199 /*v455*/, v112 /*v368*/, v29
	v_mul_i32_i24_e32 v200 /*v456*/, v111 /*v367*/, v30
	;; [unrolled: 1-line block ×4, first 2 shown]
	s_set_vgpr_msb 0x55                     ;  msbs: dst=1 src0=1 src1=1 src2=1
	v_add3_u32 v158 /*v414*/, v158 /*v414*/, v195 /*v451*/, v196 /*v452*/
	s_set_vgpr_msb 0x41                     ;  msbs: dst=1 src0=1 src1=0 src2=0
	v_mul_i32_i24_e32 v203 /*v459*/, v116 /*v372*/, v40
	v_mul_i32_i24_e32 v204 /*v460*/, v115 /*v371*/, v42
	;; [unrolled: 1-line block ×4, first 2 shown]
	s_set_vgpr_msb 0x55                     ;  msbs: dst=1 src0=1 src1=1 src2=1
	v_add3_u32 v158 /*v414*/, v158 /*v414*/, v197 /*v453*/, v198 /*v454*/
	s_set_vgpr_msb 0x41                     ;  msbs: dst=1 src0=1 src1=0 src2=0
	v_mul_i32_i24_e32 v207 /*v463*/, v128 /*v384*/, v84
	v_mul_i32_i24_e32 v208 /*v464*/, v125 /*v381*/, v126
	s_set_vgpr_msb 0x55                     ;  msbs: dst=1 src0=1 src1=1 src2=1
	v_mul_i32_i24_e32 v209 /*v465*/, v153 /*v409*/, v130 /*v386*/
	v_mul_i32_i24_e32 v210 /*v466*/, v154 /*v410*/, v131 /*v387*/
	v_add3_u32 v158 /*v414*/, v158 /*v414*/, v199 /*v455*/, v200 /*v456*/
	v_mul_i32_i24_e32 v159 /*v415*/, v134 /*v390*/, v170 /*v426*/
	v_mul_i32_i24_e32 v160 /*v416*/, v126 /*v382*/, v171 /*v427*/
	v_mul_i32_i24_e32 v161 /*v417*/, v135 /*v391*/, v174 /*v430*/
	v_mul_i32_i24_e32 v162 /*v418*/, v118 /*v374*/, v175 /*v431*/
	v_add3_u32 v158 /*v414*/, v158 /*v414*/, v201 /*v457*/, v202 /*v458*/
	v_mul_i32_i24_e32 v163 /*v419*/, v139 /*v395*/, v176 /*v432*/
	v_mul_i32_i24_e32 v164 /*v420*/, v138 /*v394*/, v177 /*v433*/
	;; [unrolled: 5-line block ×3, first 2 shown]
	s_wait_dscnt 0x0
	s_set_vgpr_msb 64                       ;  msbs: dst=1 src0=0 src1=0 src2=0
	v_bfe_i32 v184 /*v440*/, v0, 0, 8
	v_bfe_i32 v185 /*v441*/, v0, 8, 8
	s_set_vgpr_msb 0x55                     ;  msbs: dst=1 src0=1 src1=1 src2=1
	v_add3_u32 v158 /*v414*/, v158 /*v414*/, v205 /*v461*/, v206 /*v462*/
	v_mul_i32_i24_e32 v195 /*v451*/, v140 /*v396*/, v182 /*v438*/
	v_mul_i32_i24_e32 v196 /*v452*/, v120 /*v376*/, v183 /*v439*/
	s_set_vgpr_msb 64                       ;  msbs: dst=1 src0=0 src1=0 src2=0
	v_bfe_i32 v186 /*v442*/, v0, 16, 8
	s_set_vgpr_msb 0                        ;  msbs: dst=0 src0=0 src1=0 src2=0
	v_ashrrev_i32_e32 v0, 24, v0
	s_set_vgpr_msb 0x55                     ;  msbs: dst=1 src0=1 src1=1 src2=1
	v_add3_u32 v158 /*v414*/, v158 /*v414*/, v207 /*v463*/, v208 /*v464*/
	v_mul_i32_i24_e32 v197 /*v453*/, v145 /*v401*/, v184 /*v440*/
	v_mul_i32_i24_e32 v198 /*v454*/, v144 /*v400*/, v185 /*v441*/
	s_set_vgpr_msb 64                       ;  msbs: dst=1 src0=0 src1=0 src2=0
	v_bfe_i32 v187 /*v443*/, v1, 0, 8
	v_bfe_i32 v188 /*v444*/, v1, 8, 8
	s_set_vgpr_msb 0x55                     ;  msbs: dst=1 src0=1 src1=1 src2=1
	v_add3_u32 v234 /*v490*/, v158 /*v414*/, v209 /*v465*/, v210 /*v466*/
	s_set_vgpr_msb 0x44                     ;  msbs: dst=1 src0=0 src1=1 src2=0
	v_mul_i32_i24_e32 v158 /*v414*/, v118, v155 /*v411*/
	v_bfe_i32 v189 /*v445*/, v1, 16, 8
	s_set_vgpr_msb 0                        ;  msbs: dst=0 src0=0 src1=0 src2=0
	v_ashrrev_i32_e32 v1, 24, v1
	s_set_vgpr_msb 0x45                     ;  msbs: dst=1 src0=1 src1=1 src2=0
	v_mul_i32_i24_e32 v199 /*v455*/, v143 /*v399*/, v186 /*v442*/
	s_set_vgpr_msb 0x41                     ;  msbs: dst=1 src0=1 src1=0 src2=0
	v_mul_i32_i24_e32 v200 /*v456*/, v121 /*v377*/, v0
	s_set_vgpr_msb 0x55                     ;  msbs: dst=1 src0=1 src1=1 src2=1
	v_mad_i32_i24 v158 /*v414*/, v133 /*v389*/, v169 /*v425*/, v158 /*v414*/
	v_mul_i32_i24_e32 v201 /*v457*/, v148 /*v404*/, v187 /*v443*/
	v_mul_i32_i24_e32 v202 /*v458*/, v147 /*v403*/, v188 /*v444*/
	s_set_vgpr_msb 64                       ;  msbs: dst=1 src0=0 src1=0 src2=0
	v_bfe_i32 v190 /*v446*/, v2, 0, 8
	v_bfe_i32 v191 /*v447*/, v2, 8, 8
	s_set_vgpr_msb 0x55                     ;  msbs: dst=1 src0=1 src1=1 src2=1
	v_add3_u32 v158 /*v414*/, v158 /*v414*/, v159 /*v415*/, v160 /*v416*/
	s_set_vgpr_msb 0x44                     ;  msbs: dst=1 src0=0 src1=1 src2=0
	v_mul_i32_i24_e32 v159 /*v415*/, v119, v172 /*v428*/
	s_set_vgpr_msb 0x45                     ;  msbs: dst=1 src0=1 src1=1 src2=0
	v_mul_i32_i24_e32 v160 /*v416*/, v136 /*v392*/, v173 /*v429*/
	v_mul_i32_i24_e32 v203 /*v459*/, v146 /*v402*/, v189 /*v445*/
	s_set_vgpr_msb 0x41                     ;  msbs: dst=1 src0=1 src1=0 src2=0
	v_mul_i32_i24_e32 v204 /*v460*/, v122 /*v378*/, v1
	s_set_vgpr_msb 64                       ;  msbs: dst=1 src0=0 src1=0 src2=0
	v_bfe_i32 v192 /*v448*/, v2, 16, 8
	s_set_vgpr_msb 0                        ;  msbs: dst=0 src0=0 src1=0 src2=0
	v_ashrrev_i32_e32 v2, 24, v2
	s_set_vgpr_msb 0x55                     ;  msbs: dst=1 src0=1 src1=1 src2=1
	v_add3_u32 v158 /*v414*/, v158 /*v414*/, v159 /*v415*/, v160 /*v416*/
	v_mul_i32_i24_e32 v205 /*v461*/, v151 /*v407*/, v190 /*v446*/
	v_mul_i32_i24_e32 v206 /*v462*/, v150 /*v406*/, v191 /*v447*/
	v_mul_i32_i24_e32 v207 /*v463*/, v149 /*v405*/, v192 /*v448*/
	s_set_vgpr_msb 0x41                     ;  msbs: dst=1 src0=1 src1=0 src2=0
	v_mul_i32_i24_e32 v208 /*v464*/, v123 /*v379*/, v2
	s_set_vgpr_msb 0x55                     ;  msbs: dst=1 src0=1 src1=1 src2=1
	v_add3_u32 v158 /*v414*/, v158 /*v414*/, v161 /*v417*/, v162 /*v418*/
	s_set_vgpr_msb 0x44                     ;  msbs: dst=1 src0=0 src1=1 src2=0
	v_mul_i32_i24_e32 v159 /*v415*/, v13, v66 /*v322*/
	v_mul_i32_i24_e32 v160 /*v416*/, v4, v67 /*v323*/
	;; [unrolled: 1-line block ×4, first 2 shown]
	s_set_vgpr_msb 0x55                     ;  msbs: dst=1 src0=1 src1=1 src2=1
	v_add3_u32 v158 /*v414*/, v158 /*v414*/, v163 /*v419*/, v164 /*v420*/
	s_set_vgpr_msb 0x44                     ;  msbs: dst=1 src0=0 src1=1 src2=0
	v_mul_i32_i24_e32 v163 /*v419*/, v18, v72 /*v328*/
	v_mul_i32_i24_e32 v164 /*v420*/, v20, v73 /*v329*/
	s_set_vgpr_msb 0x41                     ;  msbs: dst=1 src0=1 src1=0 src2=0
	v_mul_i32_i24_e32 v209 /*v465*/, v90 /*v346*/, v126
	s_set_vgpr_msb 0x55                     ;  msbs: dst=1 src0=1 src1=1 src2=1
	v_mul_i32_i24_e32 v210 /*v466*/, v153 /*v409*/, v92 /*v348*/
	v_add3_u32 v158 /*v414*/, v158 /*v414*/, v165 /*v421*/, v166 /*v422*/
	s_set_vgpr_msb 0x44                     ;  msbs: dst=1 src0=0 src1=1 src2=0
	v_mul_i32_i24_e32 v165 /*v421*/, v21, v74 /*v330*/
	v_mul_i32_i24_e32 v166 /*v422*/, v6, v75 /*v331*/
	s_set_vgpr_msb 0x41                     ;  msbs: dst=1 src0=1 src1=0 src2=0
	v_mul_i32_i24_e32 v211 /*v467*/, v154 /*v410*/, v183
	s_set_vgpr_msb 64                       ;  msbs: dst=1 src0=0 src1=0 src2=0
	v_mul_i32_i24_e32 v212 /*v468*/, v227, v2
	s_set_vgpr_msb 0x55                     ;  msbs: dst=1 src0=1 src1=1 src2=1
	v_add3_u32 v158 /*v414*/, v158 /*v414*/, v167 /*v423*/, v168 /*v424*/
	s_set_vgpr_msb 0x44                     ;  msbs: dst=1 src0=0 src1=1 src2=0
	v_mul_i32_i24_e32 v168 /*v424*/, v22, v76 /*v332*/
	s_set_vgpr_msb 64                       ;  msbs: dst=1 src0=0 src1=0 src2=0
	v_mul_i32_i24_e32 v213 /*v469*/, v208, v84
	v_mul_i32_i24_e32 v214 /*v470*/, v203, v126
	s_set_vgpr_msb 0x41                     ;  msbs: dst=1 src0=1 src1=0 src2=0
	v_mul_i32_i24_e32 v215 /*v471*/, v153 /*v409*/, v215
	s_set_vgpr_msb 0x55                     ;  msbs: dst=1 src0=1 src1=1 src2=1
	v_add3_u32 v158 /*v414*/, v158 /*v414*/, v195 /*v451*/, v196 /*v452*/
	s_set_vgpr_msb 0x44                     ;  msbs: dst=1 src0=0 src1=1 src2=0
	v_mul_i32_i24_e32 v195 /*v451*/, v24, v77 /*v333*/
	v_mul_i32_i24_e32 v196 /*v452*/, v26, v78 /*v334*/
	s_set_vgpr_msb 0x41                     ;  msbs: dst=1 src0=1 src1=0 src2=0
	v_mul_i32_i24_e32 v216 /*v472*/, v154 /*v410*/, v218
	s_set_vgpr_msb 64                       ;  msbs: dst=1 src0=0 src1=0 src2=0
	v_mul_i32_i24_e32 v217 /*v473*/, v248, v2
	s_set_vgpr_msb 0x55                     ;  msbs: dst=1 src0=1 src1=1 src2=1
	v_add3_u32 v158 /*v414*/, v158 /*v414*/, v197 /*v453*/, v198 /*v454*/
	s_set_vgpr_msb 0x44                     ;  msbs: dst=1 src0=0 src1=1 src2=0
	v_mul_i32_i24_e32 v197 /*v453*/, v7, v79 /*v335*/
	v_mul_i32_i24_e32 v198 /*v454*/, v27, v80 /*v336*/
	s_set_vgpr_msb 1                        ;  msbs: dst=0 src0=1 src1=0 src2=0
	v_mul_i32_i24_e32 v2, v55 /*v311*/, v2
	s_set_vgpr_msb 64                       ;  msbs: dst=1 src0=0 src1=0 src2=0
	v_bfe_i32 v193 /*v449*/, v3, 0, 8
	s_set_vgpr_msb 0x55                     ;  msbs: dst=1 src0=1 src1=1 src2=1
	v_add3_u32 v158 /*v414*/, v158 /*v414*/, v199 /*v455*/, v200 /*v456*/
	s_set_vgpr_msb 0x44                     ;  msbs: dst=1 src0=0 src1=1 src2=0
	v_mul_i32_i24_e32 v199 /*v455*/, v28, v81 /*v337*/
	s_set_vgpr_msb 0x41                     ;  msbs: dst=1 src0=1 src1=0 src2=0
	v_mul_i32_i24_e32 v200 /*v456*/, v83 /*v339*/, v29
	s_set_vgpr_msb 64                       ;  msbs: dst=1 src0=0 src1=0 src2=0
	v_bfe_i32 v194 /*v450*/, v3, 8, 8
	s_set_vgpr_msb 0x55                     ;  msbs: dst=1 src0=1 src1=1 src2=1
	v_mul_i32_i24_e32 v235 /*v491*/, v193 /*v449*/, v127 /*v383*/
	v_add3_u32 v158 /*v414*/, v158 /*v414*/, v201 /*v457*/, v202 /*v458*/
	s_set_vgpr_msb 0x41                     ;  msbs: dst=1 src0=1 src1=0 src2=0
	v_mul_i32_i24_e32 v201 /*v457*/, v82 /*v338*/, v30
	v_mul_i32_i24_e32 v202 /*v458*/, v85 /*v341*/, v31
	s_set_vgpr_msb 0x55                     ;  msbs: dst=1 src0=1 src1=1 src2=1
	v_mul_i32_i24_e32 v236 /*v492*/, v194 /*v450*/, v129 /*v385*/
	v_mul_i32_i24_e32 v233 /*v489*/, v157 /*v413*/, v132 /*v388*/
	v_add3_u32 v158 /*v414*/, v158 /*v414*/, v203 /*v459*/, v204 /*v460*/
	s_set_vgpr_msb 0x41                     ;  msbs: dst=1 src0=1 src1=0 src2=0
	v_mul_i32_i24_e32 v203 /*v459*/, v84 /*v340*/, v38
	v_mul_i32_i24_e32 v204 /*v460*/, v87 /*v343*/, v40
	s_set_vgpr_msb 64                       ;  msbs: dst=1 src0=0 src1=0 src2=0
	v_bfe_i32 v152 /*v408*/, v3, 16, 8
	s_set_vgpr_msb 0x41                     ;  msbs: dst=1 src0=1 src1=0 src2=0
	v_mul_i32_i24_e32 v167 /*v423*/, v157 /*v413*/, v185
	s_set_vgpr_msb 0x55                     ;  msbs: dst=1 src0=1 src1=1 src2=1
	v_add3_u32 v158 /*v414*/, v158 /*v414*/, v205 /*v461*/, v206 /*v462*/
	s_set_vgpr_msb 0x41                     ;  msbs: dst=1 src0=1 src1=0 src2=0
	v_mul_i32_i24_e32 v205 /*v461*/, v86 /*v342*/, v42
	v_mul_i32_i24_e32 v206 /*v462*/, v89 /*v345*/, v44
	s_set_vgpr_msb 0x55                     ;  msbs: dst=1 src0=1 src1=1 src2=1
	v_add3_u32 v237 /*v493*/, v158 /*v414*/, v207 /*v463*/, v208 /*v464*/
	s_set_vgpr_msb 0x44                     ;  msbs: dst=1 src0=0 src1=1 src2=0
	v_mul_i32_i24_e32 v158 /*v414*/, v8, v65 /*v321*/
	s_set_vgpr_msb 0x41                     ;  msbs: dst=1 src0=1 src1=0 src2=0
	v_mul_i32_i24_e32 v207 /*v463*/, v88 /*v344*/, v46
	v_mul_i32_i24_e32 v208 /*v464*/, v91 /*v347*/, v84
	s_set_vgpr_msb 0x54                     ;  msbs: dst=1 src0=0 src1=1 src2=1
	v_mad_i32_i24 v158 /*v414*/, v12, v64 /*v320*/, v158 /*v414*/
	s_set_vgpr_msb 0x55                     ;  msbs: dst=1 src0=1 src1=1 src2=1
	s_delay_alu instid0(VALU_DEP_1) | instskip(SKIP_4) | instid1(VALU_DEP_1)
	v_add3_u32 v158 /*v414*/, v158 /*v414*/, v159 /*v415*/, v160 /*v416*/
	s_set_vgpr_msb 0x44                     ;  msbs: dst=1 src0=0 src1=1 src2=0
	v_mul_i32_i24_e32 v159 /*v415*/, v14, v68 /*v324*/
	v_mul_i32_i24_e32 v160 /*v416*/, v15, v69 /*v325*/
	s_set_vgpr_msb 0x55                     ;  msbs: dst=1 src0=1 src1=1 src2=1
	v_add3_u32 v158 /*v414*/, v158 /*v414*/, v159 /*v415*/, v160 /*v416*/
	s_set_vgpr_msb 0x41                     ;  msbs: dst=1 src0=1 src1=0 src2=0
	v_mul_i32_i24_e32 v159 /*v415*/, v170 /*v426*/, v175
	v_mul_i32_i24_e32 v160 /*v416*/, v171 /*v427*/, v182
	s_set_vgpr_msb 0x55                     ;  msbs: dst=1 src0=1 src1=1 src2=1
	v_add3_u32 v158 /*v414*/, v158 /*v414*/, v161 /*v417*/, v162 /*v418*/
	s_set_vgpr_msb 0x41                     ;  msbs: dst=1 src0=1 src1=0 src2=0
	v_mul_i32_i24_e32 v161 /*v417*/, v174 /*v430*/, v179
	v_mul_i32_i24_e32 v162 /*v418*/, v175 /*v431*/, v190
	s_set_vgpr_msb 0x55                     ;  msbs: dst=1 src0=1 src1=1 src2=1
	v_add3_u32 v158 /*v414*/, v158 /*v414*/, v163 /*v419*/, v164 /*v420*/
	s_set_vgpr_msb 0x41                     ;  msbs: dst=1 src0=1 src1=0 src2=0
	v_mul_i32_i24_e32 v163 /*v419*/, v176 /*v432*/, v193
	v_mul_i32_i24_e32 v164 /*v420*/, v193 /*v449*/, v232
	s_set_vgpr_msb 0x55                     ;  msbs: dst=1 src0=1 src1=1 src2=1
	v_add3_u32 v158 /*v414*/, v158 /*v414*/, v165 /*v421*/, v166 /*v422*/
	s_set_vgpr_msb 0x41                     ;  msbs: dst=1 src0=1 src1=0 src2=0
	v_mul_i32_i24_e32 v166 /*v422*/, v177 /*v433*/, v194
	v_mul_i32_i24_e32 v165 /*v421*/, v194 /*v450*/, v234
	s_set_vgpr_msb 0x55                     ;  msbs: dst=1 src0=1 src1=1 src2=1
	v_add3_u32 v158 /*v414*/, v158 /*v414*/, v168 /*v424*/, v195 /*v451*/
	s_set_vgpr_msb 0x41                     ;  msbs: dst=1 src0=1 src1=0 src2=0
	v_mul_i32_i24_e32 v195 /*v451*/, v178 /*v434*/, v188
	s_set_vgpr_msb 0x55                     ;  msbs: dst=1 src0=1 src1=1 src2=1
	s_delay_alu instid0(VALU_DEP_2)
	v_add3_u32 v158 /*v414*/, v158 /*v414*/, v196 /*v452*/, v197 /*v453*/
	s_set_vgpr_msb 0x41                     ;  msbs: dst=1 src0=1 src1=0 src2=0
	v_mul_i32_i24_e32 v196 /*v452*/, v179 /*v435*/, v197
	v_mul_i32_i24_e32 v197 /*v453*/, v180 /*v436*/, v198
	s_set_vgpr_msb 0x55                     ;  msbs: dst=1 src0=1 src1=1 src2=1
	v_add3_u32 v158 /*v414*/, v158 /*v414*/, v198 /*v454*/, v199 /*v455*/
	s_set_vgpr_msb 0x41                     ;  msbs: dst=1 src0=1 src1=0 src2=0
	v_mul_i32_i24_e32 v198 /*v454*/, v181 /*v437*/, v200
	v_mul_i32_i24_e32 v199 /*v455*/, v182 /*v438*/, v195
	s_set_vgpr_msb 0x55                     ;  msbs: dst=1 src0=1 src1=1 src2=1
	;; [unrolled: 5-line block ×3, first 2 shown]
	v_add3_u32 v158 /*v414*/, v158 /*v414*/, v202 /*v458*/, v203 /*v459*/
	s_set_vgpr_msb 0x41                     ;  msbs: dst=1 src0=1 src1=0 src2=0
	v_mul_i32_i24_e32 v202 /*v458*/, v185 /*v441*/, v206
	s_set_vgpr_msb 0x44                     ;  msbs: dst=1 src0=0 src1=1 src2=0
	v_mul_i32_i24_e32 v203 /*v459*/, v211, v186 /*v442*/
	s_set_vgpr_msb 0x55                     ;  msbs: dst=1 src0=1 src1=1 src2=1
	v_add3_u32 v158 /*v414*/, v158 /*v414*/, v204 /*v460*/, v205 /*v461*/
	s_set_vgpr_msb 64                       ;  msbs: dst=1 src0=0 src1=0 src2=0
	v_mul_i32_i24_e32 v204 /*v460*/, v207, v0
	s_set_vgpr_msb 0x44                     ;  msbs: dst=1 src0=0 src1=1 src2=0
	v_mul_i32_i24_e32 v205 /*v461*/, v213, v187 /*v443*/
	s_set_vgpr_msb 0x55                     ;  msbs: dst=1 src0=1 src1=1 src2=1
	v_add3_u32 v158 /*v414*/, v158 /*v414*/, v206 /*v462*/, v207 /*v463*/
	s_set_vgpr_msb 0x44                     ;  msbs: dst=1 src0=0 src1=1 src2=0
	v_mul_i32_i24_e32 v206 /*v462*/, v214, v188 /*v444*/
	v_mul_i32_i24_e32 v207 /*v463*/, v221, v189 /*v445*/
	s_set_vgpr_msb 0x55                     ;  msbs: dst=1 src0=1 src1=1 src2=1
	v_add3_u32 v158 /*v414*/, v158 /*v414*/, v208 /*v464*/, v209 /*v465*/
	s_set_vgpr_msb 64                       ;  msbs: dst=1 src0=0 src1=0 src2=0
	v_mul_i32_i24_e32 v208 /*v464*/, v217, v1
	s_set_vgpr_msb 0x44                     ;  msbs: dst=1 src0=0 src1=1 src2=0
	v_mul_i32_i24_e32 v209 /*v465*/, v224, v190 /*v446*/
	s_set_vgpr_msb 0x55                     ;  msbs: dst=1 src0=1 src1=1 src2=1
	v_add3_u32 v168 /*v424*/, v158 /*v414*/, v210 /*v466*/, v211 /*v467*/
	s_set_vgpr_msb 0x41                     ;  msbs: dst=1 src0=1 src1=0 src2=0
	v_mul_i32_i24_e32 v158 /*v414*/, v155 /*v411*/, v177
	s_set_vgpr_msb 0x44                     ;  msbs: dst=1 src0=0 src1=1 src2=0
	v_mul_i32_i24_e32 v210 /*v466*/, v225, v191 /*v447*/
	v_mul_i32_i24_e32 v211 /*v467*/, v229, v192 /*v448*/
	s_set_vgpr_msb 0x51                     ;  msbs: dst=1 src0=1 src1=0 src2=1
	v_mad_i32_i24 v158 /*v414*/, v169 /*v425*/, v176, v158 /*v414*/
	s_set_vgpr_msb 0x55                     ;  msbs: dst=1 src0=1 src1=1 src2=1
	s_delay_alu instid0(VALU_DEP_1) | instskip(SKIP_4) | instid1(VALU_DEP_1)
	v_add3_u32 v158 /*v414*/, v158 /*v414*/, v159 /*v415*/, v160 /*v416*/
	s_set_vgpr_msb 0x41                     ;  msbs: dst=1 src0=1 src1=0 src2=0
	v_mul_i32_i24_e32 v159 /*v415*/, v172 /*v428*/, v186
	v_mul_i32_i24_e32 v160 /*v416*/, v173 /*v429*/, v187
	s_set_vgpr_msb 0x55                     ;  msbs: dst=1 src0=1 src1=1 src2=1
	v_add3_u32 v158 /*v414*/, v158 /*v414*/, v159 /*v415*/, v160 /*v416*/
	s_set_vgpr_msb 64                       ;  msbs: dst=1 src0=0 src1=0 src2=0
	v_mul_i32_i24_e32 v159 /*v415*/, v13, v161
	v_mul_i32_i24_e32 v160 /*v416*/, v4, v162
	s_set_vgpr_msb 4                        ;  msbs: dst=0 src0=0 src1=1 src2=0
	v_mul_i32_i24_e32 v13, v13, v0 /*v256*/
	v_mul_i32_i24_e32 v4, v4, v1 /*v257*/
	s_set_vgpr_msb 0x55                     ;  msbs: dst=1 src0=1 src1=1 src2=1
	v_add3_u32 v158 /*v414*/, v158 /*v414*/, v161 /*v417*/, v162 /*v418*/
	s_set_vgpr_msb 64                       ;  msbs: dst=1 src0=0 src1=0 src2=0
	v_mul_i32_i24_e32 v161 /*v417*/, v16, v165
	s_set_vgpr_msb 0x41                     ;  msbs: dst=1 src0=1 src1=0 src2=0
	v_mul_i32_i24_e32 v162 /*v418*/, v157 /*v413*/, v219
	s_set_vgpr_msb 0x55                     ;  msbs: dst=1 src0=1 src1=1 src2=1
	v_mul_i32_i24_e32 v157 /*v413*/, v157 /*v413*/, v33 /*v289*/
	v_add3_u32 v158 /*v414*/, v158 /*v414*/, v163 /*v419*/, v166 /*v422*/
	s_set_vgpr_msb 64                       ;  msbs: dst=1 src0=0 src1=0 src2=0
	v_mul_i32_i24_e32 v163 /*v419*/, v5, v166
	s_set_vgpr_msb 4                        ;  msbs: dst=0 src0=0 src1=1 src2=0
	v_mul_i32_i24_e32 v5, v5, v5 /*v261*/
	s_set_vgpr_msb 0x55                     ;  msbs: dst=1 src0=1 src1=1 src2=1
	v_add3_u32 v158 /*v414*/, v158 /*v414*/, v195 /*v451*/, v196 /*v452*/
	s_set_vgpr_msb 64                       ;  msbs: dst=1 src0=0 src1=0 src2=0
	v_mul_i32_i24_e32 v195 /*v451*/, v18, v167
	v_mul_i32_i24_e32 v196 /*v452*/, v20, v168
	s_set_vgpr_msb 0x55                     ;  msbs: dst=1 src0=1 src1=1 src2=1
	v_add3_u32 v158 /*v414*/, v158 /*v414*/, v197 /*v453*/, v198 /*v454*/
	s_set_vgpr_msb 64                       ;  msbs: dst=1 src0=0 src1=0 src2=0
	v_mul_i32_i24_e32 v197 /*v453*/, v21, v169
	v_mul_i32_i24_e32 v198 /*v454*/, v6, v170
	s_set_vgpr_msb 4                        ;  msbs: dst=0 src0=0 src1=1 src2=0
	v_mul_i32_i24_e32 v6, v6, v9 /*v265*/
	s_set_vgpr_msb 0x55                     ;  msbs: dst=1 src0=1 src1=1 src2=1
	v_add3_u32 v158 /*v414*/, v158 /*v414*/, v199 /*v455*/, v200 /*v456*/
	s_set_vgpr_msb 64                       ;  msbs: dst=1 src0=0 src1=0 src2=0
	v_mul_i32_i24_e32 v199 /*v455*/, v22, v171
	v_mul_i32_i24_e32 v200 /*v456*/, v24, v172
	s_set_vgpr_msb 0x55                     ;  msbs: dst=1 src0=1 src1=1 src2=1
	v_add3_u32 v158 /*v414*/, v158 /*v414*/, v201 /*v457*/, v202 /*v458*/
	s_set_vgpr_msb 64                       ;  msbs: dst=1 src0=0 src1=0 src2=0
	v_mul_i32_i24_e32 v201 /*v457*/, v26, v173
	;; [unrolled: 12-line block ×3, first 2 shown]
	v_mul_i32_i24_e32 v206 /*v462*/, v181, v30
	s_set_vgpr_msb 0x55                     ;  msbs: dst=1 src0=1 src1=1 src2=1
	v_add3_u32 v158 /*v414*/, v158 /*v414*/, v207 /*v463*/, v208 /*v464*/
	s_set_vgpr_msb 64                       ;  msbs: dst=1 src0=0 src1=0 src2=0
	v_mul_i32_i24_e32 v207 /*v463*/, v191, v31
	v_mul_i32_i24_e32 v208 /*v464*/, v189, v38
	s_set_vgpr_msb 0x55                     ;  msbs: dst=1 src0=1 src1=1 src2=1
	v_add3_u32 v158 /*v414*/, v158 /*v414*/, v209 /*v465*/, v210 /*v466*/
	s_set_vgpr_msb 64                       ;  msbs: dst=1 src0=0 src1=0 src2=0
	v_mul_i32_i24_e32 v209 /*v465*/, v196, v40
	;; [unrolled: 5-line block ×3, first 2 shown]
	v_mul_i32_i24_e32 v211 /*v467*/, v202, v44
	v_mul_i32_i24_e32 v212 /*v468*/, v199, v46
	s_set_vgpr_msb 0                        ;  msbs: dst=0 src0=0 src1=0 src2=0
	v_mul_i32_i24_e32 v8, v8, v255
	s_set_vgpr_msb 0x50                     ;  msbs: dst=1 src0=0 src1=0 src2=1
	v_mad_i32_i24 v158 /*v414*/, v12, v159, v158 /*v414*/
	s_set_vgpr_msb 0                        ;  msbs: dst=0 src0=0 src1=0 src2=0
	s_delay_alu instid0(VALU_DEP_2)
	v_mad_i32_i24 v8, v12, v254, v8
	s_set_vgpr_msb 4                        ;  msbs: dst=0 src0=0 src1=1 src2=0
	v_mul_i32_i24_e32 v12, v15, v3 /*v259*/
	s_set_vgpr_msb 0x55                     ;  msbs: dst=1 src0=1 src1=1 src2=1
	v_add3_u32 v158 /*v414*/, v158 /*v414*/, v159 /*v415*/, v160 /*v416*/
	s_set_vgpr_msb 64                       ;  msbs: dst=1 src0=0 src1=0 src2=0
	v_mul_i32_i24_e32 v159 /*v415*/, v14, v163
	v_mul_i32_i24_e32 v160 /*v416*/, v15, v164
	s_set_vgpr_msb 0                        ;  msbs: dst=0 src0=0 src1=0 src2=0
	v_add3_u32 v4, v8, v13, v4
	s_set_vgpr_msb 4                        ;  msbs: dst=0 src0=0 src1=1 src2=0
	v_mul_i32_i24_e32 v8, v14, v2 /*v258*/
	v_mul_i32_i24_e32 v13, v16, v4 /*v260*/
	;; [unrolled: 1-line block ×3, first 2 shown]
	s_set_vgpr_msb 0x55                     ;  msbs: dst=1 src0=1 src1=1 src2=1
	v_add3_u32 v158 /*v414*/, v158 /*v414*/, v159 /*v415*/, v160 /*v416*/
	s_set_vgpr_msb 0x41                     ;  msbs: dst=1 src0=1 src1=0 src2=0
	v_mul_i32_i24_e32 v159 /*v415*/, v170 /*v426*/, v205
	v_mul_i32_i24_e32 v160 /*v416*/, v171 /*v427*/, v216
	s_set_vgpr_msb 0                        ;  msbs: dst=0 src0=0 src1=0 src2=0
	v_add3_u32 v4, v4, v8, v12
	s_set_vgpr_msb 4                        ;  msbs: dst=0 src0=0 src1=1 src2=0
	v_mul_i32_i24_e32 v15, v20, v7 /*v263*/
	s_set_vgpr_msb 0x55                     ;  msbs: dst=1 src0=1 src1=1 src2=1
	v_add3_u32 v158 /*v414*/, v158 /*v414*/, v161 /*v417*/, v163 /*v419*/
	s_set_vgpr_msb 0x41                     ;  msbs: dst=1 src0=1 src1=0 src2=0
	v_mul_i32_i24_e32 v161 /*v417*/, v172 /*v428*/, v220
	s_set_vgpr_msb 4                        ;  msbs: dst=0 src0=0 src1=1 src2=0
	v_mul_i32_i24_e32 v16, v21, v8 /*v264*/
	s_set_vgpr_msb 0                        ;  msbs: dst=0 src0=0 src1=0 src2=0
	v_add3_u32 v4, v4, v13, v5
	s_set_vgpr_msb 4                        ;  msbs: dst=0 src0=0 src1=1 src2=0
	v_mul_i32_i24_e32 v18, v22, v10 /*v266*/
	s_set_vgpr_msb 0x55                     ;  msbs: dst=1 src0=1 src1=1 src2=1
	v_add3_u32 v158 /*v414*/, v158 /*v414*/, v195 /*v451*/, v196 /*v452*/
	s_set_vgpr_msb 0x41                     ;  msbs: dst=1 src0=1 src1=0 src2=0
	v_mul_i32_i24_e32 v195 /*v451*/, v173 /*v429*/, v222
	v_mul_i32_i24_e32 v196 /*v452*/, v174 /*v430*/, v212
	s_set_vgpr_msb 0                        ;  msbs: dst=0 src0=0 src1=0 src2=0
	v_add3_u32 v4, v4, v14, v15
	s_set_vgpr_msb 4                        ;  msbs: dst=0 src0=0 src1=1 src2=0
	v_mul_i32_i24_e32 v20, v24, v11 /*v267*/
	s_set_vgpr_msb 0x55                     ;  msbs: dst=1 src0=1 src1=1 src2=1
	v_add3_u32 v158 /*v414*/, v158 /*v414*/, v197 /*v453*/, v198 /*v454*/
	s_set_vgpr_msb 0x41                     ;  msbs: dst=1 src0=1 src1=0 src2=0
	v_mul_i32_i24_e32 v197 /*v453*/, v175 /*v431*/, v226
	v_mul_i32_i24_e32 v198 /*v454*/, v176 /*v432*/, v228
	;; [unrolled: 9-line block ×4, first 2 shown]
	s_set_vgpr_msb 4                        ;  msbs: dst=0 src0=0 src1=1 src2=0
	v_mul_i32_i24_e32 v24, v28, v15 /*v271*/
	s_set_vgpr_msb 0                        ;  msbs: dst=0 src0=0 src1=0 src2=0
	v_add3_u32 v4, v4, v21, v7
	s_set_vgpr_msb 0x55                     ;  msbs: dst=1 src0=1 src1=1 src2=1
	v_add3_u32 v158 /*v414*/, v158 /*v414*/, v203 /*v459*/, v204 /*v460*/
	s_set_vgpr_msb 0x41                     ;  msbs: dst=1 src0=1 src1=0 src2=0
	v_mul_i32_i24_e32 v203 /*v459*/, v181 /*v437*/, v236
	v_mul_i32_i24_e32 v204 /*v460*/, v182 /*v438*/, v231
	s_set_vgpr_msb 1                        ;  msbs: dst=0 src0=1 src1=0 src2=0
	v_mul_i32_i24_e32 v26, v17 /*v273*/, v29
	v_mul_i32_i24_e32 v27, v16 /*v272*/, v30
	s_set_vgpr_msb 0x55                     ;  msbs: dst=1 src0=1 src1=1 src2=1
	v_add3_u32 v158 /*v414*/, v158 /*v414*/, v205 /*v461*/, v206 /*v462*/
	s_set_vgpr_msb 0x41                     ;  msbs: dst=1 src0=1 src1=0 src2=0
	v_mul_i32_i24_e32 v205 /*v461*/, v183 /*v439*/, v237
	v_mul_i32_i24_e32 v206 /*v462*/, v184 /*v440*/, v238
	s_set_vgpr_msb 0                        ;  msbs: dst=0 src0=0 src1=0 src2=0
	v_add3_u32 v4, v4, v22, v24
	s_set_vgpr_msb 1                        ;  msbs: dst=0 src0=1 src1=0 src2=0
	v_mul_i32_i24_e32 v28, v19 /*v275*/, v31
	s_set_vgpr_msb 0x55                     ;  msbs: dst=1 src0=1 src1=1 src2=1
	v_add3_u32 v158 /*v414*/, v158 /*v414*/, v207 /*v463*/, v208 /*v464*/
	s_set_vgpr_msb 0x41                     ;  msbs: dst=1 src0=1 src1=0 src2=0
	v_mul_i32_i24_e32 v207 /*v463*/, v185 /*v441*/, v239
	s_set_vgpr_msb 0x44                     ;  msbs: dst=1 src0=0 src1=1 src2=0
	v_mul_i32_i24_e32 v208 /*v464*/, v241, v186 /*v442*/
	s_set_vgpr_msb 1                        ;  msbs: dst=0 src0=1 src1=0 src2=0
	v_mul_i32_i24_e32 v29, v18 /*v274*/, v38
	s_set_vgpr_msb 0                        ;  msbs: dst=0 src0=0 src1=0 src2=0
	v_add3_u32 v4, v4, v26, v27
	s_set_vgpr_msb 0x55                     ;  msbs: dst=1 src0=1 src1=1 src2=1
	v_add3_u32 v158 /*v414*/, v158 /*v414*/, v209 /*v465*/, v210 /*v466*/
	s_set_vgpr_msb 64                       ;  msbs: dst=1 src0=0 src1=0 src2=0
	v_mul_i32_i24_e32 v209 /*v465*/, v240, v0
	s_set_vgpr_msb 0x44                     ;  msbs: dst=1 src0=0 src1=1 src2=0
	v_mul_i32_i24_e32 v210 /*v466*/, v242, v187 /*v443*/
	s_set_vgpr_msb 1                        ;  msbs: dst=0 src0=1 src1=0 src2=0
	v_mul_i32_i24_e32 v30, v21 /*v277*/, v40
	v_mul_i32_i24_e32 v31, v20 /*v276*/, v42
	s_set_vgpr_msb 0x55                     ;  msbs: dst=1 src0=1 src1=1 src2=1
	v_add3_u32 v158 /*v414*/, v158 /*v414*/, v211 /*v467*/, v212 /*v468*/
	s_set_vgpr_msb 0x44                     ;  msbs: dst=1 src0=0 src1=1 src2=0
	v_mul_i32_i24_e32 v211 /*v467*/, v243, v188 /*v444*/
	s_set_vgpr_msb 0                        ;  msbs: dst=0 src0=0 src1=0 src2=0
	v_add3_u32 v4, v4, v28, v29
	s_set_vgpr_msb 0x44                     ;  msbs: dst=1 src0=0 src1=1 src2=0
	v_mul_i32_i24_e32 v212 /*v468*/, v245, v189 /*v445*/
	s_set_vgpr_msb 1                        ;  msbs: dst=0 src0=1 src1=0 src2=0
	v_mul_i32_i24_e32 v38, v23 /*v279*/, v44
	s_set_vgpr_msb 0x55                     ;  msbs: dst=1 src0=1 src1=1 src2=1
	v_add3_u32 v158 /*v414*/, v158 /*v414*/, v213 /*v469*/, v214 /*v470*/
	s_set_vgpr_msb 64                       ;  msbs: dst=1 src0=0 src1=0 src2=0
	v_mul_i32_i24_e32 v213 /*v469*/, v244, v1
	s_set_vgpr_msb 1                        ;  msbs: dst=0 src0=1 src1=0 src2=0
	v_mul_i32_i24_e32 v40, v22 /*v278*/, v46
	s_set_vgpr_msb 0                        ;  msbs: dst=0 src0=0 src1=0 src2=0
	v_add3_u32 v4, v4, v30, v31
	s_set_vgpr_msb 0x44                     ;  msbs: dst=1 src0=0 src1=1 src2=0
	v_mul_i32_i24_e32 v214 /*v470*/, v246, v190 /*v446*/
	s_set_vgpr_msb 0x55                     ;  msbs: dst=1 src0=1 src1=1 src2=1
	v_add3_u32 v163 /*v419*/, v158 /*v414*/, v215 /*v471*/, v216 /*v472*/
	s_set_vgpr_msb 0x41                     ;  msbs: dst=1 src0=1 src1=0 src2=0
	v_mul_i32_i24_e32 v158 /*v414*/, v155 /*v411*/, v210
	s_set_vgpr_msb 0x44                     ;  msbs: dst=1 src0=0 src1=1 src2=0
	v_mul_i32_i24_e32 v215 /*v471*/, v247, v191 /*v447*/
	s_set_vgpr_msb 1                        ;  msbs: dst=0 src0=1 src1=0 src2=0
	v_mul_i32_i24_e32 v42, v26 /*v282*/, v84
	v_mul_i32_i24_e32 v44, v24 /*v280*/, v126
	s_set_vgpr_msb 0                        ;  msbs: dst=0 src0=0 src1=0 src2=0
	v_add3_u32 v4, v4, v38, v40
	s_set_vgpr_msb 0x51                     ;  msbs: dst=1 src0=1 src1=0 src2=1
	v_mad_i32_i24 v158 /*v414*/, v169 /*v425*/, v209, v158 /*v414*/
	s_set_vgpr_msb 0x44                     ;  msbs: dst=1 src0=0 src1=1 src2=0
	v_mul_i32_i24_e32 v216 /*v472*/, v249, v192 /*v448*/
	s_set_vgpr_msb 5                        ;  msbs: dst=0 src0=1 src1=1 src2=0
	v_mul_i32_i24_e32 v46, v153 /*v409*/, v30 /*v286*/
	v_mul_i32_i24_e32 v84, v154 /*v410*/, v32 /*v288*/
	s_set_vgpr_msb 0                        ;  msbs: dst=0 src0=0 src1=0 src2=0
	v_add3_u32 v4, v4, v42, v44
	s_set_vgpr_msb 0x55                     ;  msbs: dst=1 src0=1 src1=1 src2=1
	v_add3_u32 v158 /*v414*/, v158 /*v414*/, v159 /*v415*/, v160 /*v416*/
	s_set_vgpr_msb 5                        ;  msbs: dst=0 src0=1 src1=1 src2=0
	v_mul_i32_i24_e32 v5, v170 /*v426*/, v25 /*v281*/
	v_mul_i32_i24_e32 v6, v171 /*v427*/, v31 /*v287*/
	v_mul_i32_i24_e32 v7, v174 /*v430*/, v29 /*v285*/
	v_mul_i32_i24_e32 v8, v175 /*v431*/, v37 /*v293*/
	s_set_vgpr_msb 0x55                     ;  msbs: dst=1 src0=1 src1=1 src2=1
	v_add3_u32 v158 /*v414*/, v158 /*v414*/, v161 /*v417*/, v195 /*v451*/
	s_set_vgpr_msb 5                        ;  msbs: dst=0 src0=1 src1=1 src2=0
	v_mul_i32_i24_e32 v12, v176 /*v432*/, v38 /*v294*/
	v_mul_i32_i24_e32 v13, v177 /*v433*/, v39 /*v295*/
	v_mul_i32_i24_e32 v14, v178 /*v434*/, v36 /*v292*/
	v_mul_i32_i24_e32 v15, v179 /*v435*/, v41 /*v297*/
	;; [unrolled: 7-line block ×3, first 2 shown]
	s_set_vgpr_msb 0x55                     ;  msbs: dst=1 src0=1 src1=1 src2=1
	v_add3_u32 v158 /*v414*/, v158 /*v414*/, v198 /*v454*/, v199 /*v455*/
	s_set_vgpr_msb 5                        ;  msbs: dst=0 src0=1 src1=1 src2=0
	v_mul_i32_i24_e32 v22, v184 /*v440*/, v45 /*v301*/
	v_mul_i32_i24_e32 v24, v185 /*v441*/, v46 /*v302*/
	;; [unrolled: 1-line block ×3, first 2 shown]
	s_set_vgpr_msb 1                        ;  msbs: dst=0 src0=1 src1=0 src2=0
	v_mul_i32_i24_e32 v0, v47 /*v303*/, v0
	s_set_vgpr_msb 0x55                     ;  msbs: dst=1 src0=1 src1=1 src2=1
	v_add3_u32 v158 /*v414*/, v158 /*v414*/, v200 /*v456*/, v201 /*v457*/
	s_set_vgpr_msb 5                        ;  msbs: dst=0 src0=1 src1=1 src2=0
	v_mul_i32_i24_e32 v27, v49 /*v305*/, v187 /*v443*/
	v_mul_i32_i24_e32 v28, v50 /*v306*/, v188 /*v444*/
	;; [unrolled: 1-line block ×3, first 2 shown]
	s_set_vgpr_msb 1                        ;  msbs: dst=0 src0=1 src1=0 src2=0
	v_mul_i32_i24_e32 v1, v51 /*v307*/, v1
	s_set_vgpr_msb 0x55                     ;  msbs: dst=1 src0=1 src1=1 src2=1
	v_add3_u32 v158 /*v414*/, v158 /*v414*/, v202 /*v458*/, v203 /*v459*/
	s_set_vgpr_msb 5                        ;  msbs: dst=0 src0=1 src1=1 src2=0
	v_mul_i32_i24_e32 v30, v53 /*v309*/, v190 /*v446*/
	v_mul_i32_i24_e32 v31, v54 /*v310*/, v191 /*v447*/
	;; [unrolled: 1-line block ×3, first 2 shown]
	s_set_vgpr_msb 0x41                     ;  msbs: dst=1 src0=1 src1=0 src2=0
	v_mul_i32_i24_e32 v159 /*v415*/, v193 /*v449*/, v250
	s_set_vgpr_msb 0x55                     ;  msbs: dst=1 src0=1 src1=1 src2=1
	v_add3_u32 v158 /*v414*/, v158 /*v414*/, v204 /*v460*/, v205 /*v461*/
	s_set_vgpr_msb 0x41                     ;  msbs: dst=1 src0=1 src1=0 src2=0
	v_mul_i32_i24_e32 v160 /*v416*/, v194 /*v450*/, v251
	s_set_vgpr_msb 0x55                     ;  msbs: dst=1 src0=1 src1=1 src2=1
	v_mul_i32_i24_e32 v153 /*v409*/, v193 /*v449*/, v57 /*v313*/
	v_mul_i32_i24_e32 v154 /*v410*/, v194 /*v450*/, v58 /*v314*/
	v_add3_u32 v158 /*v414*/, v158 /*v414*/, v206 /*v462*/, v207 /*v463*/
	s_delay_alu instid0(VALU_DEP_1) | instskip(NEXT) | instid1(VALU_DEP_1)
	v_add3_u32 v158 /*v414*/, v158 /*v414*/, v208 /*v464*/, v209 /*v465*/
	v_add3_u32 v158 /*v414*/, v158 /*v414*/, v210 /*v466*/, v211 /*v467*/
	s_delay_alu instid0(VALU_DEP_1) | instskip(NEXT) | instid1(VALU_DEP_1)
	v_add3_u32 v158 /*v414*/, v158 /*v414*/, v212 /*v468*/, v213 /*v469*/
	v_add3_u32 v158 /*v414*/, v158 /*v414*/, v214 /*v470*/, v215 /*v471*/
	s_delay_alu instid0(VALU_DEP_1) | instskip(SKIP_4) | instid1(VALU_DEP_1)
	v_add3_u32 v161 /*v417*/, v158 /*v414*/, v216 /*v472*/, v217 /*v473*/
	s_set_vgpr_msb 64                       ;  msbs: dst=1 src0=0 src1=0 src2=0
	v_add3_u32 v158 /*v414*/, v4, v46, v84
	s_set_vgpr_msb 5                        ;  msbs: dst=0 src0=1 src1=1 src2=0
	v_mul_i32_i24_e32 v4, v155 /*v411*/, v28 /*v284*/
	v_mad_i32_i24 v4, v169 /*v425*/, v27 /*v283*/, v4
	s_set_vgpr_msb 0                        ;  msbs: dst=0 src0=0 src1=0 src2=0
	s_delay_alu instid0(VALU_DEP_1) | instskip(SKIP_4) | instid1(VALU_DEP_1)
	v_add3_u32 v4, v4, v5, v6
	s_set_vgpr_msb 5                        ;  msbs: dst=0 src0=1 src1=1 src2=0
	v_mul_i32_i24_e32 v5, v172 /*v428*/, v34 /*v290*/
	v_mul_i32_i24_e32 v6, v173 /*v429*/, v35 /*v291*/
	s_set_vgpr_msb 0                        ;  msbs: dst=0 src0=0 src1=0 src2=0
	v_add3_u32 v4, v4, v5, v6
	s_delay_alu instid0(VALU_DEP_1) | instskip(NEXT) | instid1(VALU_DEP_1)
	v_add3_u32 v4, v4, v7, v8
	v_add3_u32 v4, v4, v12, v13
	s_delay_alu instid0(VALU_DEP_1) | instskip(NEXT) | instid1(VALU_DEP_1)
	v_add3_u32 v4, v4, v14, v15
	;; [unrolled: 3-line block ×5, first 2 shown]
	v_add3_u32 v0, v0, v30, v31
	s_set_vgpr_msb 64                       ;  msbs: dst=1 src0=0 src1=0 src2=0
	s_delay_alu instid0(VALU_DEP_1)
	v_add3_u32 v155 /*v411*/, v0, v38, v2
	s_set_vgpr_msb 0                        ;  msbs: dst=0 src0=0 src1=0 src2=0
	v_or_b32_e32 v0, s12, v137
	s_add_co_i32 s12, s5, 8
	s_cmp_lt_u32 s5, 24
	s_mov_b32 s5, s12
	s_delay_alu instid0(VALU_DEP_1)
	v_dual_lshlrev_b32 v1, 2, v0 :: v_dual_lshrrev_b32 v0, 1, v0
	s_set_vgpr_msb 64                       ;  msbs: dst=1 src0=0 src1=0 src2=0
	ds_load_b128 v[170:173] /*v[426:429]*/, v1 offset:16896
	ds_load_b128 v[174:177] /*v[430:433]*/, v1 offset:16912
	;; [unrolled: 1-line block ×3, first 2 shown]
	s_set_vgpr_msb 0                        ;  msbs: dst=0 src0=0 src1=0 src2=0
	ds_load_b128 v[4:7], v1 offset:16944
	s_wait_dscnt 0x3
	s_set_vgpr_msb 0x41                     ;  msbs: dst=1 src0=1 src1=0 src2=0
	v_bfe_i32 v229 /*v485*/, v170 /*v426*/, 0, 8
	v_bfe_i32 v201 /*v457*/, v170 /*v426*/, 8, 8
	;; [unrolled: 1-line block ×3, first 2 shown]
	s_set_vgpr_msb 0x44                     ;  msbs: dst=1 src0=0 src1=1 src2=0
	v_dual_ashrrev_i32 v231 /*v487*/, 24, v170 /*v426*/ :: v_dual_ashrrev_i32 v205 /*v461*/, 24, v171 /*v427*/
	s_set_vgpr_msb 5                        ;  msbs: dst=0 src0=1 src1=1 src2=0
	v_mul_i32_i24_e32 v1, v229 /*v485*/, v94 /*v350*/
	s_set_vgpr_msb 0x41                     ;  msbs: dst=1 src0=1 src1=0 src2=0
	v_bfe_i32 v202 /*v458*/, v171 /*v427*/, 0, 8
	v_bfe_i32 v203 /*v459*/, v171 /*v427*/, 8, 8
	s_wait_dscnt 0x0
	s_set_vgpr_msb 64                       ;  msbs: dst=1 src0=0 src1=0 src2=0
	v_bfe_i32 v184 /*v440*/, v4, 0, 8
	v_bfe_i32 v185 /*v441*/, v4, 8, 8
	;; [unrolled: 1-line block ×3, first 2 shown]
	v_ashrrev_i32_e32 v187 /*v443*/, 24, v4
	s_set_vgpr_msb 5                        ;  msbs: dst=0 src0=1 src1=1 src2=0
	v_mul_i32_i24_e32 v2, v230 /*v486*/, v95 /*v351*/
	v_mul_i32_i24_e32 v4, v231 /*v487*/, v96 /*v352*/
	v_mad_i32_i24 v1, v201 /*v457*/, v93 /*v349*/, v1
	s_set_vgpr_msb 0x41                     ;  msbs: dst=1 src0=1 src1=0 src2=0
	v_bfe_i32 v204 /*v460*/, v171 /*v427*/, 16, 8
	v_bfe_i32 v206 /*v462*/, v172 /*v428*/, 0, 8
	;; [unrolled: 1-line block ×3, first 2 shown]
	s_set_vgpr_msb 64                       ;  msbs: dst=1 src0=0 src1=0 src2=0
	v_bfe_i32 v188 /*v444*/, v5, 0, 8
	s_set_vgpr_msb 0                        ;  msbs: dst=0 src0=0 src1=0 src2=0
	v_add3_u32 v1, v1, v2, v4
	s_set_vgpr_msb 5                        ;  msbs: dst=0 src0=1 src1=1 src2=0
	v_mul_i32_i24_e32 v2, v202 /*v458*/, v97 /*v353*/
	v_mul_i32_i24_e32 v4, v203 /*v459*/, v98 /*v354*/
	s_set_vgpr_msb 64                       ;  msbs: dst=1 src0=0 src1=0 src2=0
	v_bfe_i32 v189 /*v445*/, v5, 8, 8
	v_bfe_i32 v190 /*v446*/, v5, 16, 8
	v_ashrrev_i32_e32 v191 /*v447*/, 24, v5
	v_bfe_i32 v192 /*v448*/, v6, 0, 8
	v_bfe_i32 v193 /*v449*/, v6, 8, 8
	;; [unrolled: 1-line block ×3, first 2 shown]
	v_ashrrev_i32_e32 v195 /*v451*/, 24, v6
	s_set_vgpr_msb 5                        ;  msbs: dst=0 src0=1 src1=1 src2=0
	v_mul_i32_i24_e32 v5, v204 /*v460*/, v99 /*v355*/
	v_mul_i32_i24_e32 v6, v205 /*v461*/, v100 /*v356*/
	s_set_vgpr_msb 0                        ;  msbs: dst=0 src0=0 src1=0 src2=0
	v_add3_u32 v1, v1, v2, v4
	s_set_vgpr_msb 0x41                     ;  msbs: dst=1 src0=1 src1=0 src2=0
	v_bfe_i32 v208 /*v464*/, v172 /*v428*/, 16, 8
	s_set_vgpr_msb 0x44                     ;  msbs: dst=1 src0=0 src1=1 src2=0
	v_dual_ashrrev_i32 v209 /*v465*/, 24, v172 /*v428*/ :: v_dual_ashrrev_i32 v213 /*v469*/, 24, v173 /*v429*/
	s_set_vgpr_msb 5                        ;  msbs: dst=0 src0=1 src1=1 src2=0
	v_mul_i32_i24_e32 v8, v206 /*v462*/, v101 /*v357*/
	v_mul_i32_i24_e32 v12, v207 /*v463*/, v102 /*v358*/
	s_set_vgpr_msb 0                        ;  msbs: dst=0 src0=0 src1=0 src2=0
	v_add3_u32 v1, v1, v5, v6
	s_set_vgpr_msb 0x41                     ;  msbs: dst=1 src0=1 src1=0 src2=0
	v_bfe_i32 v210 /*v466*/, v173 /*v429*/, 0, 8
	v_bfe_i32 v211 /*v467*/, v173 /*v429*/, 8, 8
	s_set_vgpr_msb 5                        ;  msbs: dst=0 src0=1 src1=1 src2=0
	v_mul_i32_i24_e32 v13, v208 /*v464*/, v103 /*v359*/
	v_mul_i32_i24_e32 v14, v209 /*v465*/, v104 /*v360*/
	s_set_vgpr_msb 0                        ;  msbs: dst=0 src0=0 src1=0 src2=0
	v_add3_u32 v1, v1, v8, v12
	s_set_vgpr_msb 0x41                     ;  msbs: dst=1 src0=1 src1=0 src2=0
	v_bfe_i32 v212 /*v468*/, v173 /*v429*/, 16, 8
	s_set_vgpr_msb 5                        ;  msbs: dst=0 src0=1 src1=1 src2=0
	v_mul_i32_i24_e32 v15, v210 /*v466*/, v105 /*v361*/
	v_mul_i32_i24_e32 v16, v211 /*v467*/, v106 /*v362*/
	s_set_vgpr_msb 0x41                     ;  msbs: dst=1 src0=1 src1=0 src2=0
	v_bfe_i32 v214 /*v470*/, v174 /*v430*/, 0, 8
	s_set_vgpr_msb 0                        ;  msbs: dst=0 src0=0 src1=0 src2=0
	v_add3_u32 v1, v1, v13, v14
	s_set_vgpr_msb 0x41                     ;  msbs: dst=1 src0=1 src1=0 src2=0
	v_bfe_i32 v215 /*v471*/, v174 /*v430*/, 8, 8
	s_set_vgpr_msb 5                        ;  msbs: dst=0 src0=1 src1=1 src2=0
	v_mul_i32_i24_e32 v18, v212 /*v468*/, v107 /*v363*/
	v_mul_i32_i24_e32 v20, v213 /*v469*/, v108 /*v364*/
	s_set_vgpr_msb 0x41                     ;  msbs: dst=1 src0=1 src1=0 src2=0
	v_bfe_i32 v216 /*v472*/, v174 /*v430*/, 16, 8
	s_set_vgpr_msb 0                        ;  msbs: dst=0 src0=0 src1=0 src2=0
	v_add3_u32 v1, v1, v15, v16
	s_set_vgpr_msb 0x44                     ;  msbs: dst=1 src0=0 src1=1 src2=0
	v_dual_ashrrev_i32 v217 /*v473*/, 24, v174 /*v430*/ :: v_dual_ashrrev_i32 v221 /*v477*/, 24, v175 /*v431*/
	s_set_vgpr_msb 5                        ;  msbs: dst=0 src0=1 src1=1 src2=0
	v_mul_i32_i24_e32 v21, v214 /*v470*/, v109 /*v365*/
	v_mul_i32_i24_e32 v22, v215 /*v471*/, v110 /*v366*/
	s_set_vgpr_msb 0                        ;  msbs: dst=0 src0=0 src1=0 src2=0
	v_add3_u32 v1, v1, v18, v20
	s_set_vgpr_msb 0x41                     ;  msbs: dst=1 src0=1 src1=0 src2=0
	v_bfe_i32 v218 /*v474*/, v175 /*v431*/, 0, 8
	v_bfe_i32 v219 /*v475*/, v175 /*v431*/, 8, 8
	s_set_vgpr_msb 5                        ;  msbs: dst=0 src0=1 src1=1 src2=0
	v_mul_i32_i24_e32 v24, v112 /*v368*/, v216 /*v472*/
	v_mul_i32_i24_e32 v26, v111 /*v367*/, v217 /*v473*/
	s_set_vgpr_msb 0                        ;  msbs: dst=0 src0=0 src1=0 src2=0
	v_add3_u32 v1, v1, v21, v22
	s_set_vgpr_msb 0x41                     ;  msbs: dst=1 src0=1 src1=0 src2=0
	v_bfe_i32 v220 /*v476*/, v175 /*v431*/, 16, 8
	s_set_vgpr_msb 5                        ;  msbs: dst=0 src0=1 src1=1 src2=0
	v_mul_i32_i24_e32 v27, v114 /*v370*/, v218 /*v474*/
	v_mul_i32_i24_e32 v28, v113 /*v369*/, v219 /*v475*/
	s_set_vgpr_msb 0x41                     ;  msbs: dst=1 src0=1 src1=0 src2=0
	v_bfe_i32 v222 /*v478*/, v176 /*v432*/, 0, 8
	s_set_vgpr_msb 0                        ;  msbs: dst=0 src0=0 src1=0 src2=0
	v_add3_u32 v1, v1, v24, v26
	s_set_vgpr_msb 0x41                     ;  msbs: dst=1 src0=1 src1=0 src2=0
	v_bfe_i32 v223 /*v479*/, v176 /*v432*/, 8, 8
	s_set_vgpr_msb 5                        ;  msbs: dst=0 src0=1 src1=1 src2=0
	v_mul_i32_i24_e32 v29, v116 /*v372*/, v220 /*v476*/
	v_mul_i32_i24_e32 v30, v115 /*v371*/, v221 /*v477*/
	s_set_vgpr_msb 0x41                     ;  msbs: dst=1 src0=1 src1=0 src2=0
	v_bfe_i32 v224 /*v480*/, v176 /*v432*/, 16, 8
	s_set_vgpr_msb 0                        ;  msbs: dst=0 src0=0 src1=0 src2=0
	v_add3_u32 v1, v1, v27, v28
	s_set_vgpr_msb 0x44                     ;  msbs: dst=1 src0=0 src1=1 src2=0
	v_dual_ashrrev_i32 v225 /*v481*/, 24, v176 /*v432*/ :: v_dual_ashrrev_i32 v170 /*v426*/, 24, v177 /*v433*/
	s_set_vgpr_msb 5                        ;  msbs: dst=0 src0=1 src1=1 src2=0
	v_mul_i32_i24_e32 v31, v124 /*v380*/, v222 /*v478*/
	v_mul_i32_i24_e32 v38, v117 /*v373*/, v223 /*v479*/
	s_set_vgpr_msb 0                        ;  msbs: dst=0 src0=0 src1=0 src2=0
	v_add3_u32 v1, v1, v29, v30
	s_set_vgpr_msb 0x41                     ;  msbs: dst=1 src0=1 src1=0 src2=0
	v_bfe_i32 v226 /*v482*/, v177 /*v433*/, 0, 8
	v_bfe_i32 v227 /*v483*/, v177 /*v433*/, 8, 8
	s_set_vgpr_msb 5                        ;  msbs: dst=0 src0=1 src1=1 src2=0
	v_mul_i32_i24_e32 v40, v128 /*v384*/, v224 /*v480*/
	v_mul_i32_i24_e32 v42, v125 /*v381*/, v225 /*v481*/
	s_set_vgpr_msb 0                        ;  msbs: dst=0 src0=0 src1=0 src2=0
	v_add3_u32 v1, v1, v31, v38
	s_set_vgpr_msb 0x41                     ;  msbs: dst=1 src0=1 src1=0 src2=0
	v_bfe_i32 v198 /*v454*/, v180 /*v436*/, 0, 8
	s_set_vgpr_msb 5                        ;  msbs: dst=0 src0=1 src1=1 src2=0
	v_mul_i32_i24_e32 v44, v226 /*v482*/, v130 /*v386*/
	v_mul_i32_i24_e32 v46, v227 /*v483*/, v131 /*v387*/
	s_set_vgpr_msb 0x41                     ;  msbs: dst=1 src0=1 src1=0 src2=0
	v_bfe_i32 v171 /*v427*/, v180 /*v436*/, 8, 8
	s_set_vgpr_msb 0                        ;  msbs: dst=0 src0=0 src1=0 src2=0
	v_add3_u32 v1, v1, v40, v42
	s_set_vgpr_msb 0x41                     ;  msbs: dst=1 src0=1 src1=0 src2=0
	v_bfe_i32 v199 /*v455*/, v180 /*v436*/, 16, 8
	s_set_vgpr_msb 0x44                     ;  msbs: dst=1 src0=0 src1=1 src2=0
	v_dual_ashrrev_i32 v200 /*v456*/, 24, v180 /*v436*/ :: v_dual_ashrrev_i32 v175 /*v431*/, 24, v181 /*v437*/
	s_set_vgpr_msb 0x41                     ;  msbs: dst=1 src0=1 src1=0 src2=0
	v_bfe_i32 v172 /*v428*/, v181 /*v437*/, 0, 8
	s_set_vgpr_msb 0                        ;  msbs: dst=0 src0=0 src1=0 src2=0
	v_add3_u32 v6, v1, v44, v46
	s_set_vgpr_msb 4                        ;  msbs: dst=0 src0=0 src1=1 src2=0
	v_mul_i32_i24_e32 v1, v118, v198 /*v454*/
	s_set_vgpr_msb 0x41                     ;  msbs: dst=1 src0=1 src1=0 src2=0
	v_bfe_i32 v173 /*v429*/, v181 /*v437*/, 8, 8
	s_set_vgpr_msb 5                        ;  msbs: dst=0 src0=1 src1=1 src2=0
	v_mul_i32_i24_e32 v2, v134 /*v390*/, v199 /*v455*/
	v_mul_i32_i24_e32 v4, v126 /*v382*/, v200 /*v456*/
	s_set_vgpr_msb 0x41                     ;  msbs: dst=1 src0=1 src1=0 src2=0
	v_bfe_i32 v174 /*v430*/, v181 /*v437*/, 16, 8
	s_set_vgpr_msb 5                        ;  msbs: dst=0 src0=1 src1=1 src2=0
	v_mad_i32_i24 v1, v133 /*v389*/, v171 /*v427*/, v1
	s_set_vgpr_msb 0x41                     ;  msbs: dst=1 src0=1 src1=0 src2=0
	v_bfe_i32 v228 /*v484*/, v177 /*v433*/, 16, 8
	v_bfe_i32 v176 /*v432*/, v182 /*v438*/, 0, 8
	;; [unrolled: 1-line block ×3, first 2 shown]
	s_set_vgpr_msb 5                        ;  msbs: dst=0 src0=1 src1=1 src2=0
	v_mul_i32_i24_e32 v5, v135 /*v391*/, v174 /*v430*/
	s_set_vgpr_msb 0                        ;  msbs: dst=0 src0=0 src1=0 src2=0
	v_add3_u32 v1, v1, v2, v4
	s_set_vgpr_msb 4                        ;  msbs: dst=0 src0=0 src1=1 src2=0
	v_mul_i32_i24_e32 v2, v119, v172 /*v428*/
	s_set_vgpr_msb 5                        ;  msbs: dst=0 src0=1 src1=1 src2=0
	v_mul_i32_i24_e32 v4, v136 /*v392*/, v173 /*v429*/
	v_mul_i32_i24_e32 v8, v118 /*v374*/, v175 /*v431*/
	s_set_vgpr_msb 0x41                     ;  msbs: dst=1 src0=1 src1=0 src2=0
	v_bfe_i32 v178 /*v434*/, v182 /*v438*/, 16, 8
	s_set_vgpr_msb 0x44                     ;  msbs: dst=1 src0=0 src1=1 src2=0
	v_ashrrev_i32_e32 v179 /*v435*/, 24, v182 /*v438*/
	s_set_vgpr_msb 5                        ;  msbs: dst=0 src0=1 src1=1 src2=0
	v_mul_i32_i24_e32 v12, v139 /*v395*/, v176 /*v432*/
	s_set_vgpr_msb 0                        ;  msbs: dst=0 src0=0 src1=0 src2=0
	v_add3_u32 v1, v1, v2, v4
	s_set_vgpr_msb 5                        ;  msbs: dst=0 src0=1 src1=1 src2=0
	v_mul_i32_i24_e32 v13, v138 /*v394*/, v177 /*v433*/
	s_set_vgpr_msb 0x41                     ;  msbs: dst=1 src0=1 src1=0 src2=0
	v_bfe_i32 v180 /*v436*/, v183 /*v439*/, 0, 8
	v_bfe_i32 v181 /*v437*/, v183 /*v439*/, 8, 8
	;; [unrolled: 1-line block ×3, first 2 shown]
	s_set_vgpr_msb 0                        ;  msbs: dst=0 src0=0 src1=0 src2=0
	v_add3_u32 v1, v1, v5, v8
	s_set_vgpr_msb 0x44                     ;  msbs: dst=1 src0=0 src1=1 src2=0
	v_ashrrev_i32_e32 v183 /*v439*/, 24, v183 /*v439*/
	s_set_vgpr_msb 5                        ;  msbs: dst=0 src0=1 src1=1 src2=0
	v_mul_i32_i24_e32 v14, v137 /*v393*/, v178 /*v434*/
	v_mul_i32_i24_e32 v15, v119 /*v375*/, v179 /*v435*/
	v_mul_i32_i24_e32 v16, v142 /*v398*/, v180 /*v436*/
	s_set_vgpr_msb 0                        ;  msbs: dst=0 src0=0 src1=0 src2=0
	v_add3_u32 v1, v1, v12, v13
	s_set_vgpr_msb 5                        ;  msbs: dst=0 src0=1 src1=1 src2=0
	v_mul_i32_i24_e32 v18, v141 /*v397*/, v181 /*v437*/
	v_mul_i32_i24_e32 v20, v140 /*v396*/, v182 /*v438*/
	v_mul_i32_i24_e32 v21, v120 /*v376*/, v183 /*v439*/
	v_mul_i32_i24_e32 v22, v145 /*v401*/, v184 /*v440*/
	s_set_vgpr_msb 0                        ;  msbs: dst=0 src0=0 src1=0 src2=0
	v_add3_u32 v1, v1, v14, v15
	s_set_vgpr_msb 5                        ;  msbs: dst=0 src0=1 src1=1 src2=0
	v_mul_i32_i24_e32 v24, v144 /*v400*/, v185 /*v441*/
	v_mul_i32_i24_e32 v26, v143 /*v399*/, v186 /*v442*/
	v_mul_i32_i24_e32 v27, v121 /*v377*/, v187 /*v443*/
	v_mul_i32_i24_e32 v28, v148 /*v404*/, v188 /*v444*/
	s_set_vgpr_msb 0                        ;  msbs: dst=0 src0=0 src1=0 src2=0
	v_add3_u32 v1, v1, v16, v18
	s_set_vgpr_msb 5                        ;  msbs: dst=0 src0=1 src1=1 src2=0
	v_mul_i32_i24_e32 v29, v147 /*v403*/, v189 /*v445*/
	s_set_vgpr_msb 0x41                     ;  msbs: dst=1 src0=1 src1=0 src2=0
	ds_load_b64 v[94:95] /*v[350:351]*/, v232 /*v488*/ offset:27200
	s_set_vgpr_msb 64                       ;  msbs: dst=1 src0=0 src1=0 src2=0
	ds_load_b64 v[96:97] /*v[352:353]*/, v0 offset:27200
	v_bfe_i32 v196 /*v452*/, v7, 0, 8
	v_bfe_i32 v197 /*v453*/, v7, 8, 8
	s_set_vgpr_msb 0                        ;  msbs: dst=0 src0=0 src1=0 src2=0
	v_add3_u32 v1, v1, v20, v21
	s_set_vgpr_msb 64                       ;  msbs: dst=1 src0=0 src1=0 src2=0
	v_bfe_i32 v169 /*v425*/, v7, 16, 8
	s_set_vgpr_msb 5                        ;  msbs: dst=0 src0=1 src1=1 src2=0
	v_mul_i32_i24_e32 v84, v228 /*v484*/, v132 /*v388*/
	s_set_vgpr_msb 64                       ;  msbs: dst=1 src0=0 src1=0 src2=0
	v_ashrrev_i32_e32 v93 /*v349*/, 24, v7
	s_set_vgpr_msb 5                        ;  msbs: dst=0 src0=1 src1=1 src2=0
	v_mul_i32_i24_e32 v7, v156 /*v412*/, v59 /*v315*/
	s_set_vgpr_msb 0                        ;  msbs: dst=0 src0=0 src1=0 src2=0
	v_add3_u32 v1, v1, v22, v24
	s_set_vgpr_msb 5                        ;  msbs: dst=0 src0=1 src1=1 src2=0
	v_mul_i32_i24_e32 v12, v170 /*v426*/, v59 /*v315*/
	v_mul_i32_i24_e32 v30, v146 /*v402*/, v190 /*v446*/
	;; [unrolled: 1-line block ×3, first 2 shown]
	v_add3_u32 v7, v234 /*v490*/, v233 /*v489*/, v7
	s_set_vgpr_msb 0                        ;  msbs: dst=0 src0=0 src1=0 src2=0
	v_add3_u32 v1, v1, v26, v27
	v_add3_u32 v6, v6, v84, v12
	s_set_vgpr_msb 5                        ;  msbs: dst=0 src0=1 src1=1 src2=0
	v_mul_i32_i24_e32 v38, v151 /*v407*/, v192 /*v448*/
	v_mul_i32_i24_e32 v40, v150 /*v406*/, v193 /*v449*/
	s_set_vgpr_msb 4                        ;  msbs: dst=0 src0=0 src1=1 src2=0
	v_mul_lo_u32 v12, v7, v60 /*v316*/
	s_set_vgpr_msb 0                        ;  msbs: dst=0 src0=0 src1=0 src2=0
	v_add3_u32 v1, v1, v28, v29
	s_set_vgpr_msb 4                        ;  msbs: dst=0 src0=0 src1=1 src2=0
	v_mul_lo_u32 v6, v6, v60 /*v316*/
	s_set_vgpr_msb 5                        ;  msbs: dst=0 src0=1 src1=1 src2=0
	v_mul_i32_i24_e32 v42, v149 /*v405*/, v194 /*v450*/
	v_mul_i32_i24_e32 v44, v123 /*v379*/, v195 /*v451*/
	;; [unrolled: 1-line block ×3, first 2 shown]
	s_set_vgpr_msb 0                        ;  msbs: dst=0 src0=0 src1=0 src2=0
	v_add3_u32 v1, v1, v30, v31
	s_set_vgpr_msb 5                        ;  msbs: dst=0 src0=1 src1=1 src2=0
	v_mul_i32_i24_e32 v126, v197 /*v453*/, v129 /*v385*/
	s_wait_dscnt 0x1
	v_cvt_f32_f16_e64 v118, v94 /*v350*/
	v_lshrrev_b32_e32 v0, 16, v94 /*v350*/
	s_set_vgpr_msb 64                       ;  msbs: dst=1 src0=0 src1=0 src2=0
	v_ashrrev_i32_e32 v94 /*v350*/, 24, v3
	s_set_vgpr_msb 0                        ;  msbs: dst=0 src0=0 src1=0 src2=0
	v_add3_u32 v1, v1, v38, v40
	s_set_vgpr_msb 5                        ;  msbs: dst=0 src0=1 src1=1 src2=0
	v_mul_i32_i24_e32 v13, v169 /*v425*/, v63 /*v319*/
	s_set_vgpr_msb 0                        ;  msbs: dst=0 src0=0 src1=0 src2=0
	v_cvt_f32_i32_e32 v7, v6
	v_cvt_f32_i32_e32 v6, v12
	s_set_vgpr_msb 5                        ;  msbs: dst=0 src0=1 src1=1 src2=0
	v_mul_i32_i24_e32 v12, v152 /*v408*/, v63 /*v319*/
	s_set_vgpr_msb 0                        ;  msbs: dst=0 src0=0 src1=0 src2=0
	v_add3_u32 v8, v1, v42, v44
	s_set_vgpr_msb 21                       ;  msbs: dst=0 src0=1 src1=1 src2=1
	v_mul_i32_i24_e32 v14, v62 /*v318*/, v94 /*v350*/
	v_mul_i32_i24_e32 v15, v62 /*v318*/, v93 /*v349*/
	v_add3_u32 v16, v237 /*v493*/, v235 /*v491*/, v236 /*v492*/
	s_wait_dscnt 0x0
	v_lshrrev_b32_e32 v1, 16, v96 /*v352*/
	s_set_vgpr_msb 0                        ;  msbs: dst=0 src0=0 src1=0 src2=0
	v_add3_u32 v8, v8, v46, v126
	s_set_vgpr_msb 1                        ;  msbs: dst=0 src0=1 src1=0 src2=0
	v_cvt_f32_f16_e64 v119, v96 /*v352*/
	s_set_vgpr_msb 0                        ;  msbs: dst=0 src0=0 src1=0 src2=0
	v_cvt_f32_f16_e32 v4, v0
	v_add3_u32 v12, v16, v12, v14
	v_cvt_f32_f16_e32 v5, v1
	v_add3_u32 v8, v8, v13, v15
	s_set_vgpr_msb 4                        ;  msbs: dst=0 src0=0 src1=1 src2=0
	v_dual_lshrrev_b32 v2, 16, v95 /*v351*/ :: v_dual_lshrrev_b32 v3, 16, v97 /*v353*/
	v_mul_lo_u32 v12, v12, v61 /*v317*/
	s_set_vgpr_msb 1                        ;  msbs: dst=0 src0=1 src1=0 src2=0
	v_cvt_f32_f16_e64 v1, v97 /*v353*/
	s_set_vgpr_msb 4                        ;  msbs: dst=0 src0=0 src1=1 src2=0
	v_mul_lo_u32 v8, v8, v61 /*v317*/
	s_set_vgpr_msb 1                        ;  msbs: dst=0 src0=1 src1=0 src2=0
	v_cvt_f32_f16_e64 v0, v95 /*v351*/
	s_set_vgpr_msb 0                        ;  msbs: dst=0 src0=0 src1=0 src2=0
	v_cvt_f32_f16_e32 v3, v3
	v_cvt_f32_f16_e32 v2, v2
	v_pk_fma_f32 v[6:7], v[118:119], v[6:7], 0 op_sel_hi:[1,1,0]
	s_set_vgpr_msb 64                       ;  msbs: dst=1 src0=0 src1=0 src2=0
	v_pk_fma_f32 v[96:97] /*v[352:353]*/, v[114:115], v[4:5], 0 op_sel_hi:[0,1,0]
	s_set_vgpr_msb 5                        ;  msbs: dst=0 src0=1 src1=1 src2=0
	v_mul_i32_i24_e32 v114, v203 /*v459*/, v69 /*v325*/
	s_set_vgpr_msb 0x45                     ;  msbs: dst=1 src0=1 src1=1 src2=0
	v_mul_i32_i24_e32 v59 /*v315*/, v205 /*v461*/, v71 /*v327*/
	v_mul_i32_i24_e32 v62 /*v318*/, v208 /*v464*/, v74 /*v330*/
	s_set_vgpr_msb 64                       ;  msbs: dst=1 src0=0 src1=0 src2=0
	v_cvt_f32_i32_e32 v60 /*v316*/, v12
	s_set_vgpr_msb 0x45                     ;  msbs: dst=1 src0=1 src1=1 src2=0
	v_mul_i32_i24_e32 v63 /*v319*/, v209 /*v465*/, v75 /*v331*/
	s_set_vgpr_msb 64                       ;  msbs: dst=1 src0=0 src1=0 src2=0
	v_cvt_f32_i32_e32 v61 /*v317*/, v8
	s_set_vgpr_msb 5                        ;  msbs: dst=0 src0=1 src1=1 src2=0
	v_mul_i32_i24_e32 v8, v231 /*v487*/, v67 /*v323*/
	s_set_vgpr_msb 0x45                     ;  msbs: dst=1 src0=1 src1=1 src2=0
	v_mul_i32_i24_e32 v67 /*v323*/, v213 /*v469*/, v79 /*v335*/
	v_mul_i32_i24_e32 v69 /*v325*/, v215 /*v471*/, v81 /*v337*/
	;; [unrolled: 1-line block ×3, first 2 shown]
	s_set_vgpr_msb 4                        ;  msbs: dst=0 src0=0 src1=1 src2=0
	v_pk_fma_f32 v[6:7], v[0:1], v[60:61] /*v[316:317]*/, v[6:7]
	s_set_vgpr_msb 0x50                     ;  msbs: dst=1 src0=0 src1=0 src2=1
	v_pk_fma_f32 v[60:61] /*v[316:317]*/, v[116:117], v[2:3], v[96:97] /*v[352:353]*/ op_sel_hi:[0,1,1]
	s_set_vgpr_msb 5                        ;  msbs: dst=0 src0=1 src1=1 src2=0
	v_mul_i32_i24_e32 v116, v204 /*v460*/, v70 /*v326*/
	s_set_vgpr_msb 0x45                     ;  msbs: dst=1 src0=1 src1=1 src2=0
	v_mul_i32_i24_e32 v70 /*v326*/, v83 /*v339*/, v216 /*v472*/
	v_mul_i32_i24_e32 v74 /*v330*/, v87 /*v343*/, v220 /*v476*/
	;; [unrolled: 1-line block ×3, first 2 shown]
	s_set_vgpr_msb 0x41                     ;  msbs: dst=1 src0=1 src1=0 src2=0
	v_pk_mul_f32 v[60:61] /*v[316:317]*/, v[60:61] /*v[316:317]*/, v[94:95]
	s_set_vgpr_msb 0x45                     ;  msbs: dst=1 src0=1 src1=1 src2=0
	v_mul_i32_i24_e32 v79 /*v335*/, v90 /*v346*/, v225 /*v481*/
	s_set_vgpr_msb 1                        ;  msbs: dst=0 src0=1 src1=0 src2=0
	v_mul_i32_i24_e32 v13, v200 /*v456*/, v182
	v_mul_i32_i24_e32 v14, v174 /*v430*/, v179
	;; [unrolled: 1-line block ×3, first 2 shown]
	s_set_vgpr_msb 16                       ;  msbs: dst=0 src0=0 src1=0 src2=1
	v_pk_fma_f32 v[6:7], v[6:7], v[86:87], v[60:61] /*v[316:317]*/ neg_lo:[0,0,1] neg_hi:[0,0,1]
	s_set_vgpr_msb 0x45                     ;  msbs: dst=1 src0=1 src1=1 src2=0
	v_mul_i32_i24_e32 v60 /*v316*/, v206 /*v462*/, v72 /*v328*/
	v_mul_i32_i24_e32 v61 /*v317*/, v207 /*v463*/, v73 /*v329*/
	;; [unrolled: 1-line block ×4, first 2 shown]
	s_set_vgpr_msb 0                        ;  msbs: dst=0 src0=0 src1=0 src2=0
	v_pk_add_f32 v[48:49], v[48:49], v[6:7]
	s_set_vgpr_msb 5                        ;  msbs: dst=0 src0=1 src1=1 src2=0
	v_mul_i32_i24_e32 v6, v229 /*v485*/, v65 /*v321*/
	v_mul_i32_i24_e32 v7, v230 /*v486*/, v66 /*v322*/
	s_set_vgpr_msb 0x45                     ;  msbs: dst=1 src0=1 src1=1 src2=0
	v_mul_i32_i24_e32 v65 /*v321*/, v211 /*v467*/, v77 /*v333*/
	v_mul_i32_i24_e32 v66 /*v322*/, v212 /*v468*/, v78 /*v334*/
	;; [unrolled: 1-line block ×3, first 2 shown]
	s_set_vgpr_msb 5                        ;  msbs: dst=0 src0=1 src1=1 src2=0
	v_mad_i32_i24 v6, v201 /*v457*/, v64 /*v320*/, v6
	s_set_vgpr_msb 0x45                     ;  msbs: dst=1 src0=1 src1=1 src2=0
	v_mul_i32_i24_e32 v64 /*v320*/, v210 /*v466*/, v76 /*v332*/
	v_mul_i32_i24_e32 v76 /*v332*/, v89 /*v345*/, v222 /*v478*/
	;; [unrolled: 1-line block ×3, first 2 shown]
	s_set_vgpr_msb 1                        ;  msbs: dst=0 src0=1 src1=0 src2=0
	v_mul_i32_i24_e32 v16, v176 /*v432*/, v193
	s_set_vgpr_msb 0                        ;  msbs: dst=0 src0=0 src1=0 src2=0
	v_add3_u32 v6, v6, v7, v8
	s_set_vgpr_msb 5                        ;  msbs: dst=0 src0=1 src1=1 src2=0
	v_mul_i32_i24_e32 v7, v202 /*v458*/, v68 /*v324*/
	s_set_vgpr_msb 0x45                     ;  msbs: dst=1 src0=1 src1=1 src2=0
	v_mul_i32_i24_e32 v68 /*v324*/, v214 /*v470*/, v80 /*v336*/
	v_mul_i32_i24_e32 v80 /*v336*/, v226 /*v482*/, v92 /*v348*/
	s_set_vgpr_msb 1                        ;  msbs: dst=0 src0=1 src1=0 src2=0
	v_mul_i32_i24_e32 v8, v227 /*v483*/, v183
	v_mul_i32_i24_e32 v18, v177 /*v433*/, v194
	s_set_vgpr_msb 0                        ;  msbs: dst=0 src0=0 src1=0 src2=0
	v_add3_u32 v6, v6, v7, v114
	s_set_vgpr_msb 1                        ;  msbs: dst=0 src0=1 src1=0 src2=0
	v_mul_i32_i24_e32 v7, v198 /*v454*/, v177
	v_mul_i32_i24_e32 v20, v178 /*v434*/, v188
	;; [unrolled: 1-line block ×4, first 2 shown]
	s_set_vgpr_msb 16                       ;  msbs: dst=0 src0=0 src1=0 src2=1
	v_add3_u32 v6, v6, v116, v59 /*v315*/
	s_set_vgpr_msb 1                        ;  msbs: dst=0 src0=1 src1=0 src2=0
	v_mad_i32_i24 v7, v171 /*v427*/, v176, v7
	v_mul_i32_i24_e32 v24, v181 /*v437*/, v200
	v_mul_i32_i24_e32 v26, v182 /*v438*/, v195
	;; [unrolled: 1-line block ×3, first 2 shown]
	s_set_vgpr_msb 20                       ;  msbs: dst=0 src0=0 src1=1 src2=1
	v_add3_u32 v6, v6, v60 /*v316*/, v61 /*v317*/
	s_set_vgpr_msb 1                        ;  msbs: dst=0 src0=1 src1=0 src2=0
	v_mul_i32_i24_e32 v28, v184 /*v440*/, v204
	v_mul_i32_i24_e32 v29, v185 /*v441*/, v206
	s_set_vgpr_msb 20                       ;  msbs: dst=0 src0=0 src1=1 src2=1
	v_mul_i32_i24_e32 v30, v211, v186 /*v442*/
	v_mul_i32_i24_e32 v31, v207, v187 /*v443*/
	v_add3_u32 v6, v6, v62 /*v318*/, v63 /*v319*/
	v_mul_i32_i24_e32 v38, v213, v188 /*v444*/
	v_mul_i32_i24_e32 v40, v214, v189 /*v445*/
	;; [unrolled: 1-line block ×4, first 2 shown]
	v_add3_u32 v6, v6, v64 /*v320*/, v65 /*v321*/
	v_mul_i32_i24_e32 v46, v224, v192 /*v448*/
	v_mul_i32_i24_e32 v84, v225, v193 /*v449*/
	;; [unrolled: 1-line block ×4, first 2 shown]
	v_add3_u32 v6, v6, v66 /*v322*/, v67 /*v323*/
	s_set_vgpr_msb 1                        ;  msbs: dst=0 src0=1 src1=0 src2=0
	v_mul_i32_i24_e32 v12, v228 /*v484*/, v185
	v_mul_i32_i24_e32 v126, v196 /*v452*/, v232
	s_set_vgpr_msb 0                        ;  msbs: dst=0 src0=0 src1=0 src2=0
	v_pk_fma_f32 v[176:177], v[102:103], v[4:5], 0 op_sel_hi:[0,1,0]
	s_set_vgpr_msb 1                        ;  msbs: dst=0 src0=1 src1=0 src2=0
	v_mul_i32_i24_e32 v102, v226 /*v482*/, v215
	s_set_vgpr_msb 20                       ;  msbs: dst=0 src0=0 src1=1 src2=1
	v_add3_u32 v6, v6, v68 /*v324*/, v69 /*v325*/
	s_delay_alu instid0(VALU_DEP_1) | instskip(NEXT) | instid1(VALU_DEP_1)
	v_add3_u32 v6, v6, v70 /*v326*/, v71 /*v327*/
	v_add3_u32 v6, v6, v72 /*v328*/, v73 /*v329*/
	s_delay_alu instid0(VALU_DEP_1) | instskip(NEXT) | instid1(VALU_DEP_1)
	v_add3_u32 v6, v6, v74 /*v330*/, v75 /*v331*/
	v_add3_u32 v6, v6, v76 /*v332*/, v77 /*v333*/
	s_delay_alu instid0(VALU_DEP_1) | instskip(SKIP_1) | instid1(VALU_DEP_1)
	v_add3_u32 v6, v6, v78 /*v334*/, v79 /*v335*/
	s_set_vgpr_msb 4                        ;  msbs: dst=0 src0=0 src1=1 src2=0
	v_add3_u32 v6, v6, v80 /*v336*/, v8
	s_set_vgpr_msb 1                        ;  msbs: dst=0 src0=1 src1=0 src2=0
	v_mul_i32_i24_e32 v8, v199 /*v455*/, v175
	v_mul_i32_i24_e32 v175, v197 /*v453*/, v234
	s_set_vgpr_msb 0                        ;  msbs: dst=0 src0=0 src1=0 src2=0
	s_delay_alu instid0(VALU_DEP_2) | instskip(SKIP_4) | instid1(VALU_DEP_1)
	v_add3_u32 v7, v7, v8, v13
	s_set_vgpr_msb 1                        ;  msbs: dst=0 src0=1 src1=0 src2=0
	v_mul_i32_i24_e32 v8, v172 /*v428*/, v186
	v_mul_i32_i24_e32 v13, v173 /*v429*/, v187
	s_set_vgpr_msb 0                        ;  msbs: dst=0 src0=0 src1=0 src2=0
	v_add3_u32 v7, v7, v8, v13
	s_set_vgpr_msb 1                        ;  msbs: dst=0 src0=1 src1=0 src2=0
	v_mul_i32_i24_e32 v13, v170 /*v426*/, v155
	s_set_vgpr_msb 0                        ;  msbs: dst=0 src0=0 src1=0 src2=0
	s_delay_alu instid0(VALU_DEP_2) | instskip(NEXT) | instid1(VALU_DEP_2)
	v_add3_u32 v7, v7, v14, v15
	v_add3_u32 v6, v6, v12, v13
	s_set_vgpr_msb 1                        ;  msbs: dst=0 src0=1 src1=0 src2=0
	v_mul_i32_i24_e32 v13, v169 /*v425*/, v113
	s_set_vgpr_msb 4                        ;  msbs: dst=0 src0=0 src1=1 src2=0
	v_mul_i32_i24_e32 v14, v111, v94 /*v350*/
	v_mul_i32_i24_e32 v15, v111, v93 /*v349*/
	s_set_vgpr_msb 0                        ;  msbs: dst=0 src0=0 src1=0 src2=0
	v_add3_u32 v7, v7, v16, v18
	v_mul_lo_u32 v6, v6, v156
	s_set_vgpr_msb 21                       ;  msbs: dst=0 src0=1 src1=1 src2=1
	v_add3_u32 v16, v166 /*v422*/, v164 /*v420*/, v165 /*v421*/
	s_set_vgpr_msb 1                        ;  msbs: dst=0 src0=1 src1=0 src2=0
	v_mul_i32_i24_e32 v18, v209 /*v465*/, v170
	v_mul_i32_i24_e32 v111, v228 /*v484*/, v219
	s_set_vgpr_msb 0                        ;  msbs: dst=0 src0=0 src1=0 src2=0
	v_add3_u32 v7, v7, v20, v21
	s_set_vgpr_msb 1                        ;  msbs: dst=0 src0=1 src1=0 src2=0
	v_mul_i32_i24_e32 v20, v210 /*v466*/, v171
	v_mul_i32_i24_e32 v21, v211 /*v467*/, v172
	s_set_vgpr_msb 0                        ;  msbs: dst=0 src0=0 src1=0 src2=0
	v_add3_u32 v7, v7, v22, v24
	;; [unrolled: 5-line block ×4, first 2 shown]
	s_set_vgpr_msb 4                        ;  msbs: dst=0 src0=0 src1=1 src2=0
	v_mul_i32_i24_e32 v28, v184, v216 /*v472*/
	v_mul_i32_i24_e32 v29, v181, v217 /*v473*/
	s_set_vgpr_msb 0                        ;  msbs: dst=0 src0=0 src1=0 src2=0
	v_add3_u32 v7, v7, v30, v31
	s_set_vgpr_msb 4                        ;  msbs: dst=0 src0=0 src1=1 src2=0
	v_mul_i32_i24_e32 v30, v191, v218 /*v474*/
	v_mul_i32_i24_e32 v31, v189, v219 /*v475*/
	s_set_vgpr_msb 0                        ;  msbs: dst=0 src0=0 src1=0 src2=0
	v_add3_u32 v7, v7, v38, v40
	;; [unrolled: 5-line block ×5, first 2 shown]
	s_set_vgpr_msb 1                        ;  msbs: dst=0 src0=1 src1=0 src2=0
	v_mul_i32_i24_e32 v7, v156 /*v412*/, v155
	s_set_vgpr_msb 0                        ;  msbs: dst=0 src0=0 src1=0 src2=0
	s_delay_alu instid0(VALU_DEP_2) | instskip(SKIP_1) | instid1(VALU_DEP_2)
	v_add3_u32 v8, v8, v126, v175
	s_set_vgpr_msb 5                        ;  msbs: dst=0 src0=1 src1=1 src2=0
	v_add3_u32 v7, v168 /*v424*/, v167 /*v423*/, v7
	s_set_vgpr_msb 0                        ;  msbs: dst=0 src0=0 src1=0 src2=0
	s_delay_alu instid0(VALU_DEP_2) | instskip(NEXT) | instid1(VALU_DEP_2)
	v_add3_u32 v8, v8, v13, v15
	v_mul_lo_u32 v12, v7, v156
	v_cvt_f32_i32_e32 v7, v6
	s_set_vgpr_msb 1                        ;  msbs: dst=0 src0=1 src1=0 src2=0
	v_mul_i32_i24_e32 v13, v205 /*v461*/, v166
	v_mul_i32_i24_e32 v15, v207 /*v463*/, v168
	s_set_vgpr_msb 0                        ;  msbs: dst=0 src0=0 src1=0 src2=0
	v_mul_lo_u32 v8, v8, v115
	v_cvt_f32_i32_e32 v6, v12
	s_set_vgpr_msb 1                        ;  msbs: dst=0 src0=1 src1=0 src2=0
	v_mul_i32_i24_e32 v12, v152 /*v408*/, v113
	v_mul_i32_i24_e32 v113, v197 /*v453*/, v251
	s_set_vgpr_msb 0                        ;  msbs: dst=0 src0=0 src1=0 src2=0
	v_pk_fma_f32 v[6:7], v[118:119], v[6:7], 0 op_sel_hi:[1,1,0]
	s_delay_alu instid0(VALU_DEP_3)
	v_add3_u32 v12, v16, v12, v14
	s_set_vgpr_msb 1                        ;  msbs: dst=0 src0=1 src1=0 src2=0
	v_mul_i32_i24_e32 v14, v206 /*v462*/, v167
	v_mul_i32_i24_e32 v16, v208 /*v464*/, v169
	s_set_vgpr_msb 0                        ;  msbs: dst=0 src0=0 src1=0 src2=0
	v_mul_lo_u32 v12, v12, v115
	v_cvt_f32_i32_e32 v115, v8
	s_set_vgpr_msb 1                        ;  msbs: dst=0 src0=1 src1=0 src2=0
	v_mul_i32_i24_e32 v8, v231 /*v487*/, v162
	s_set_vgpr_msb 0                        ;  msbs: dst=0 src0=0 src1=0 src2=0
	s_delay_alu instid0(VALU_DEP_3) | instskip(SKIP_3) | instid1(VALU_DEP_2)
	v_cvt_f32_i32_e32 v114, v12
	s_set_vgpr_msb 1                        ;  msbs: dst=0 src0=1 src1=0 src2=0
	v_mul_i32_i24_e32 v12, v204 /*v460*/, v165
	s_set_vgpr_msb 0                        ;  msbs: dst=0 src0=0 src1=0 src2=0
	v_pk_fma_f32 v[6:7], v[0:1], v[114:115], v[6:7]
	v_pk_fma_f32 v[114:115], v[104:105], v[2:3], v[176:177] op_sel_hi:[0,1,1]
	s_set_vgpr_msb 1                        ;  msbs: dst=0 src0=1 src1=0 src2=0
	v_mul_i32_i24_e32 v104, v227 /*v483*/, v218
	s_set_vgpr_msb 0                        ;  msbs: dst=0 src0=0 src1=0 src2=0
	s_delay_alu instid0(VALU_DEP_2) | instskip(NEXT) | instid1(VALU_DEP_1)
	v_pk_mul_f32 v[114:115], v[114:115], v[96:97]
	v_pk_fma_f32 v[6:7], v[6:7], v[88:89], v[114:115] neg_lo:[0,0,1] neg_hi:[0,0,1]
	v_pk_fma_f32 v[114:115], v[106:107], v[4:5], 0 op_sel_hi:[0,1,0]
	s_set_vgpr_msb 5                        ;  msbs: dst=0 src0=1 src1=1 src2=0
	v_mul_i32_i24_e32 v106, v228 /*v484*/, v33 /*v289*/
	s_set_vgpr_msb 0                        ;  msbs: dst=0 src0=0 src1=0 src2=0
	v_pk_fma_f32 v[4:5], v[112:113], v[4:5], 0 op_sel_hi:[0,1,0]
	v_pk_add_f32 v[54:55], v[54:55], v[6:7]
	s_set_vgpr_msb 1                        ;  msbs: dst=0 src0=1 src1=0 src2=0
	v_mul_i32_i24_e32 v6, v229 /*v485*/, v160
	v_mul_i32_i24_e32 v7, v230 /*v486*/, v161
	s_set_vgpr_msb 0                        ;  msbs: dst=0 src0=0 src1=0 src2=0
	v_pk_fma_f32 v[114:115], v[108:109], v[2:3], v[114:115] op_sel_hi:[0,1,1]
	s_set_vgpr_msb 5                        ;  msbs: dst=0 src0=1 src1=1 src2=0
	v_mul_i32_i24_e32 v108, v197 /*v453*/, v58 /*v314*/
	s_set_vgpr_msb 0                        ;  msbs: dst=0 src0=0 src1=0 src2=0
	v_pk_fma_f32 v[2:3], v[110:111], v[2:3], v[4:5] op_sel_hi:[0,1,1]
	s_set_vgpr_msb 1                        ;  msbs: dst=0 src0=1 src1=0 src2=0
	v_mad_i32_i24 v6, v201 /*v457*/, v159, v6
	s_set_vgpr_msb 0                        ;  msbs: dst=0 src0=0 src1=0 src2=0
	v_pk_mul_f32 v[114:115], v[114:115], v[98:99]
	v_pk_mul_f32 v[2:3], v[2:3], v[100:101]
	s_delay_alu instid0(VALU_DEP_3) | instskip(SKIP_4) | instid1(VALU_DEP_1)
	v_add3_u32 v6, v6, v7, v8
	s_set_vgpr_msb 1                        ;  msbs: dst=0 src0=1 src1=0 src2=0
	v_mul_i32_i24_e32 v7, v202 /*v458*/, v163
	v_mul_i32_i24_e32 v8, v203 /*v459*/, v164
	s_set_vgpr_msb 0                        ;  msbs: dst=0 src0=0 src1=0 src2=0
	v_add3_u32 v6, v6, v7, v8
	s_set_vgpr_msb 1                        ;  msbs: dst=0 src0=1 src1=0 src2=0
	v_mul_i32_i24_e32 v7, v198 /*v454*/, v210
	v_mul_i32_i24_e32 v8, v199 /*v455*/, v205
	s_set_vgpr_msb 0                        ;  msbs: dst=0 src0=0 src1=0 src2=0
	v_add3_u32 v6, v6, v12, v13
	s_set_vgpr_msb 1                        ;  msbs: dst=0 src0=1 src1=0 src2=0
	v_mul_i32_i24_e32 v12, v200 /*v456*/, v216
	v_mad_i32_i24 v7, v171 /*v427*/, v209, v7
	v_mul_i32_i24_e32 v13, v174 /*v430*/, v212
	s_set_vgpr_msb 0                        ;  msbs: dst=0 src0=0 src1=0 src2=0
	v_add3_u32 v6, v6, v14, v15
	s_set_vgpr_msb 1                        ;  msbs: dst=0 src0=1 src1=0 src2=0
	v_mul_i32_i24_e32 v14, v175 /*v431*/, v226
	s_set_vgpr_msb 0                        ;  msbs: dst=0 src0=0 src1=0 src2=0
	v_add3_u32 v7, v7, v8, v12
	s_set_vgpr_msb 1                        ;  msbs: dst=0 src0=1 src1=0 src2=0
	v_mul_i32_i24_e32 v8, v172 /*v428*/, v220
	v_mul_i32_i24_e32 v12, v173 /*v429*/, v222
	s_set_vgpr_msb 0                        ;  msbs: dst=0 src0=0 src1=0 src2=0
	v_add3_u32 v6, v6, v16, v18
	s_set_vgpr_msb 1                        ;  msbs: dst=0 src0=1 src1=0 src2=0
	v_mul_i32_i24_e32 v15, v176 /*v432*/, v228
	v_mul_i32_i24_e32 v16, v177 /*v433*/, v230
	v_mul_i32_i24_e32 v18, v178 /*v434*/, v223
	s_set_vgpr_msb 0                        ;  msbs: dst=0 src0=0 src1=0 src2=0
	v_add3_u32 v7, v7, v8, v12
	v_add3_u32 v6, v6, v20, v21
	s_set_vgpr_msb 1                        ;  msbs: dst=0 src0=1 src1=0 src2=0
	v_mul_i32_i24_e32 v20, v179 /*v435*/, v233
	v_mul_i32_i24_e32 v21, v180 /*v436*/, v235
	v_mul_i32_i24_e32 v12, v170 /*v426*/, v157
	s_set_vgpr_msb 0                        ;  msbs: dst=0 src0=0 src1=0 src2=0
	v_add3_u32 v7, v7, v13, v14
	;; [unrolled: 7-line block ×3, first 2 shown]
	v_add3_u32 v6, v6, v26, v27
	s_set_vgpr_msb 1                        ;  msbs: dst=0 src0=1 src1=0 src2=0
	v_mul_i32_i24_e32 v26, v183 /*v439*/, v237
	v_mul_i32_i24_e32 v27, v184 /*v440*/, v238
	s_set_vgpr_msb 4                        ;  msbs: dst=0 src0=0 src1=1 src2=0
	v_mul_i32_i24_e32 v14, v117, v94 /*v350*/
	s_set_vgpr_msb 0                        ;  msbs: dst=0 src0=0 src1=0 src2=0
	v_add3_u32 v7, v7, v18, v20
	v_add3_u32 v6, v6, v28, v29
	s_set_vgpr_msb 1                        ;  msbs: dst=0 src0=1 src1=0 src2=0
	v_mul_i32_i24_e32 v28, v185 /*v441*/, v239
	s_set_vgpr_msb 4                        ;  msbs: dst=0 src0=0 src1=1 src2=0
	v_mul_i32_i24_e32 v29, v241, v186 /*v442*/
	v_mul_i32_i24_e32 v15, v117, v93 /*v349*/
	s_set_vgpr_msb 0                        ;  msbs: dst=0 src0=0 src1=0 src2=0
	v_add3_u32 v7, v7, v21, v22
	v_add3_u32 v6, v6, v30, v31
	s_set_vgpr_msb 4                        ;  msbs: dst=0 src0=0 src1=1 src2=0
	v_mul_i32_i24_e32 v30, v240, v187 /*v443*/
	v_mul_i32_i24_e32 v31, v242, v188 /*v444*/
	s_set_vgpr_msb 21                       ;  msbs: dst=0 src0=1 src1=1 src2=1
	v_add3_u32 v16, v161 /*v417*/, v159 /*v415*/, v160 /*v416*/
	s_set_vgpr_msb 0                        ;  msbs: dst=0 src0=0 src1=0 src2=0
	v_add3_u32 v7, v7, v24, v26
	v_add3_u32 v6, v6, v38, v40
	s_set_vgpr_msb 4                        ;  msbs: dst=0 src0=0 src1=1 src2=0
	v_mul_i32_i24_e32 v38, v243, v189 /*v445*/
	v_mul_i32_i24_e32 v40, v245, v190 /*v446*/
	s_set_vgpr_msb 5                        ;  msbs: dst=0 src0=1 src1=1 src2=0
	v_mul_i32_i24_e32 v18, v209 /*v465*/, v9 /*v265*/
	s_set_vgpr_msb 0                        ;  msbs: dst=0 src0=0 src1=0 src2=0
	v_add3_u32 v7, v7, v27, v28
	v_add3_u32 v6, v6, v42, v44
	s_set_vgpr_msb 4                        ;  msbs: dst=0 src0=0 src1=1 src2=0
	v_mul_i32_i24_e32 v42, v244, v191 /*v447*/
	v_mul_i32_i24_e32 v44, v246, v192 /*v448*/
	s_set_vgpr_msb 5                        ;  msbs: dst=0 src0=1 src1=1 src2=0
	v_mul_i32_i24_e32 v20, v210 /*v466*/, v10 /*v266*/
	;; [unrolled: 8-line block ×3, first 2 shown]
	s_set_vgpr_msb 0                        ;  msbs: dst=0 src0=0 src1=0 src2=0
	v_add3_u32 v7, v7, v31, v38
	v_add3_u32 v6, v6, v102, v104
	s_set_vgpr_msb 4                        ;  msbs: dst=0 src0=0 src1=1 src2=0
	v_mul_i32_i24_e32 v102, v248, v195 /*v451*/
	s_set_vgpr_msb 1                        ;  msbs: dst=0 src0=1 src1=0 src2=0
	v_mul_i32_i24_e32 v104, v196 /*v452*/, v250
	s_set_vgpr_msb 5                        ;  msbs: dst=0 src0=1 src1=1 src2=0
	v_mul_i32_i24_e32 v22, v212 /*v468*/, v12 /*v268*/
	s_set_vgpr_msb 0                        ;  msbs: dst=0 src0=0 src1=0 src2=0
	v_add3_u32 v7, v7, v40, v42
	v_add3_u32 v6, v6, v111, v12
	s_set_vgpr_msb 5                        ;  msbs: dst=0 src0=1 src1=1 src2=0
	v_mul_i32_i24_e32 v24, v213 /*v469*/, v13 /*v269*/
	v_mul_i32_i24_e32 v26, v214 /*v470*/, v14 /*v270*/
	;; [unrolled: 1-line block ×3, first 2 shown]
	s_set_vgpr_msb 0                        ;  msbs: dst=0 src0=0 src1=0 src2=0
	v_add3_u32 v7, v7, v44, v46
	v_mul_lo_u32 v6, v6, v158
	s_set_vgpr_msb 5                        ;  msbs: dst=0 src0=1 src1=1 src2=0
	v_mul_i32_i24_e32 v28, v17 /*v273*/, v216 /*v472*/
	v_mul_i32_i24_e32 v29, v16 /*v272*/, v217 /*v473*/
	;; [unrolled: 1-line block ×3, first 2 shown]
	s_set_vgpr_msb 0                        ;  msbs: dst=0 src0=0 src1=0 src2=0
	v_add3_u32 v8, v7, v84, v102
	s_set_vgpr_msb 1                        ;  msbs: dst=0 src0=1 src1=0 src2=0
	v_mul_i32_i24_e32 v7, v156 /*v412*/, v157
	s_set_vgpr_msb 5                        ;  msbs: dst=0 src0=1 src1=1 src2=0
	v_mul_i32_i24_e32 v31, v18 /*v274*/, v219 /*v475*/
	v_mul_i32_i24_e32 v38, v21 /*v277*/, v220 /*v476*/
	;; [unrolled: 1-line block ×3, first 2 shown]
	s_set_vgpr_msb 0                        ;  msbs: dst=0 src0=0 src1=0 src2=0
	v_add3_u32 v8, v8, v104, v113
	s_set_vgpr_msb 5                        ;  msbs: dst=0 src0=1 src1=1 src2=0
	v_add3_u32 v7, v163 /*v419*/, v162 /*v418*/, v7
	v_mul_i32_i24_e32 v42, v23 /*v279*/, v222 /*v478*/
	v_mul_i32_i24_e32 v44, v22 /*v278*/, v223 /*v479*/
	;; [unrolled: 1-line block ×3, first 2 shown]
	s_set_vgpr_msb 0                        ;  msbs: dst=0 src0=0 src1=0 src2=0
	v_add3_u32 v8, v8, v13, v15
	v_mul_lo_u32 v12, v7, v158
	v_cvt_f32_i32_e32 v7, v6
	s_set_vgpr_msb 5                        ;  msbs: dst=0 src0=1 src1=1 src2=0
	v_mul_i32_i24_e32 v13, v205 /*v461*/, v5 /*v261*/
	v_mul_i32_i24_e32 v15, v207 /*v463*/, v7 /*v263*/
	s_set_vgpr_msb 0                        ;  msbs: dst=0 src0=0 src1=0 src2=0
	v_mul_lo_u32 v8, v8, v151
	s_set_vgpr_msb 5                        ;  msbs: dst=0 src0=1 src1=1 src2=0
	v_mul_i32_i24_e32 v84, v24 /*v280*/, v225 /*v481*/
	v_mul_i32_i24_e32 v102, v226 /*v482*/, v30 /*v286*/
	;; [unrolled: 1-line block ×3, first 2 shown]
	s_set_vgpr_msb 0                        ;  msbs: dst=0 src0=0 src1=0 src2=0
	v_cvt_f32_i32_e32 v6, v12
	s_set_vgpr_msb 1                        ;  msbs: dst=0 src0=1 src1=0 src2=0
	v_mul_i32_i24_e32 v12, v152 /*v408*/, v150
	s_set_vgpr_msb 0                        ;  msbs: dst=0 src0=0 src1=0 src2=0
	v_cvt_f32_i32_e32 v117, v8
	v_pk_fma_f32 v[6:7], v[118:119], v[6:7], 0 op_sel_hi:[1,1,0]
	s_delay_alu instid0(VALU_DEP_3)
	v_add3_u32 v12, v16, v12, v14
	s_set_vgpr_msb 5                        ;  msbs: dst=0 src0=1 src1=1 src2=0
	v_mul_i32_i24_e32 v8, v231 /*v487*/, v1 /*v257*/
	v_mul_i32_i24_e32 v14, v206 /*v462*/, v6 /*v262*/
	;; [unrolled: 1-line block ×3, first 2 shown]
	s_set_vgpr_msb 0                        ;  msbs: dst=0 src0=0 src1=0 src2=0
	v_mul_lo_u32 v12, v12, v151
	s_delay_alu instid0(VALU_DEP_1) | instskip(SKIP_3) | instid1(VALU_DEP_2)
	v_cvt_f32_i32_e32 v116, v12
	s_set_vgpr_msb 5                        ;  msbs: dst=0 src0=1 src1=1 src2=0
	v_mul_i32_i24_e32 v12, v204 /*v460*/, v4 /*v260*/
	s_set_vgpr_msb 0                        ;  msbs: dst=0 src0=0 src1=0 src2=0
	v_pk_fma_f32 v[6:7], v[0:1], v[116:117], v[6:7]
	s_delay_alu instid0(VALU_DEP_1) | instskip(NEXT) | instid1(VALU_DEP_1)
	v_pk_fma_f32 v[6:7], v[6:7], v[90:91], v[114:115] neg_lo:[0,0,1] neg_hi:[0,0,1]
	v_pk_add_f32 v[60:61], v[60:61], v[6:7]
	s_set_vgpr_msb 1                        ;  msbs: dst=0 src0=1 src1=0 src2=0
	v_mul_i32_i24_e32 v6, v229 /*v485*/, v255
	s_set_vgpr_msb 5                        ;  msbs: dst=0 src0=1 src1=1 src2=0
	v_mul_i32_i24_e32 v7, v230 /*v486*/, v0 /*v256*/
	s_set_vgpr_msb 1                        ;  msbs: dst=0 src0=1 src1=0 src2=0
	s_delay_alu instid0(VALU_DEP_2) | instskip(SKIP_1) | instid1(VALU_DEP_1)
	v_mad_i32_i24 v6, v201 /*v457*/, v254, v6
	s_set_vgpr_msb 0                        ;  msbs: dst=0 src0=0 src1=0 src2=0
	v_add3_u32 v6, v6, v7, v8
	s_set_vgpr_msb 5                        ;  msbs: dst=0 src0=1 src1=1 src2=0
	v_mul_i32_i24_e32 v7, v202 /*v458*/, v2 /*v258*/
	v_mul_i32_i24_e32 v8, v203 /*v459*/, v3 /*v259*/
	s_set_vgpr_msb 0                        ;  msbs: dst=0 src0=0 src1=0 src2=0
	s_delay_alu instid0(VALU_DEP_1)
	v_add3_u32 v6, v6, v7, v8
	s_set_vgpr_msb 5                        ;  msbs: dst=0 src0=1 src1=1 src2=0
	v_mul_i32_i24_e32 v7, v198 /*v454*/, v28 /*v284*/
	v_mul_i32_i24_e32 v8, v199 /*v455*/, v25 /*v281*/
	s_set_vgpr_msb 0                        ;  msbs: dst=0 src0=0 src1=0 src2=0
	v_add3_u32 v6, v6, v12, v13
	s_set_vgpr_msb 5                        ;  msbs: dst=0 src0=1 src1=1 src2=0
	v_mul_i32_i24_e32 v12, v200 /*v456*/, v31 /*v287*/
	v_mad_i32_i24 v7, v171 /*v427*/, v27 /*v283*/, v7
	v_mul_i32_i24_e32 v13, v174 /*v430*/, v29 /*v285*/
	s_set_vgpr_msb 0                        ;  msbs: dst=0 src0=0 src1=0 src2=0
	v_add3_u32 v6, v6, v14, v15
	s_set_vgpr_msb 5                        ;  msbs: dst=0 src0=1 src1=1 src2=0
	v_mul_i32_i24_e32 v14, v175 /*v431*/, v37 /*v293*/
	s_set_vgpr_msb 0                        ;  msbs: dst=0 src0=0 src1=0 src2=0
	v_add3_u32 v7, v7, v8, v12
	s_set_vgpr_msb 5                        ;  msbs: dst=0 src0=1 src1=1 src2=0
	v_mul_i32_i24_e32 v8, v172 /*v428*/, v34 /*v290*/
	v_mul_i32_i24_e32 v12, v173 /*v429*/, v35 /*v291*/
	s_set_vgpr_msb 0                        ;  msbs: dst=0 src0=0 src1=0 src2=0
	v_add3_u32 v6, v6, v16, v18
	s_set_vgpr_msb 5                        ;  msbs: dst=0 src0=1 src1=1 src2=0
	v_mul_i32_i24_e32 v15, v176 /*v432*/, v38 /*v294*/
	v_mul_i32_i24_e32 v16, v177 /*v433*/, v39 /*v295*/
	;; [unrolled: 1-line block ×3, first 2 shown]
	s_set_vgpr_msb 0                        ;  msbs: dst=0 src0=0 src1=0 src2=0
	v_add3_u32 v7, v7, v8, v12
	v_add3_u32 v6, v6, v20, v21
	s_set_vgpr_msb 5                        ;  msbs: dst=0 src0=1 src1=1 src2=0
	v_mul_i32_i24_e32 v20, v179 /*v435*/, v41 /*v297*/
	v_mul_i32_i24_e32 v21, v180 /*v436*/, v42 /*v298*/
	s_set_vgpr_msb 1                        ;  msbs: dst=0 src0=1 src1=0 src2=0
	v_mul_i32_i24_e32 v12, v170 /*v426*/, v252
	s_set_vgpr_msb 0                        ;  msbs: dst=0 src0=0 src1=0 src2=0
	v_add3_u32 v7, v7, v13, v14
	v_add3_u32 v6, v6, v22, v24
	s_set_vgpr_msb 5                        ;  msbs: dst=0 src0=1 src1=1 src2=0
	v_mul_i32_i24_e32 v22, v181 /*v437*/, v43 /*v299*/
	v_mul_i32_i24_e32 v24, v182 /*v438*/, v40 /*v296*/
	s_set_vgpr_msb 1                        ;  msbs: dst=0 src0=1 src1=0 src2=0
	v_mul_i32_i24_e32 v13, v169 /*v425*/, v153
	s_set_vgpr_msb 0                        ;  msbs: dst=0 src0=0 src1=0 src2=0
	v_add3_u32 v7, v7, v15, v16
	v_add3_u32 v6, v6, v26, v27
	s_set_vgpr_msb 5                        ;  msbs: dst=0 src0=1 src1=1 src2=0
	v_mul_i32_i24_e32 v26, v183 /*v439*/, v44 /*v300*/
	v_mul_i32_i24_e32 v27, v184 /*v440*/, v45 /*v301*/
	s_set_vgpr_msb 4                        ;  msbs: dst=0 src0=0 src1=1 src2=0
	v_mul_i32_i24_e32 v14, v152, v94 /*v350*/
	s_set_vgpr_msb 0                        ;  msbs: dst=0 src0=0 src1=0 src2=0
	v_add3_u32 v7, v7, v18, v20
	v_add3_u32 v6, v6, v28, v29
	s_set_vgpr_msb 5                        ;  msbs: dst=0 src0=1 src1=1 src2=0
	v_mul_i32_i24_e32 v28, v185 /*v441*/, v46 /*v302*/
	v_mul_i32_i24_e32 v29, v48 /*v304*/, v186 /*v442*/
	s_set_vgpr_msb 4                        ;  msbs: dst=0 src0=0 src1=1 src2=0
	v_mul_i32_i24_e32 v15, v152, v93 /*v349*/
	s_set_vgpr_msb 0                        ;  msbs: dst=0 src0=0 src1=0 src2=0
	v_add3_u32 v7, v7, v21, v22
	v_add3_u32 v6, v6, v30, v31
	s_set_vgpr_msb 21                       ;  msbs: dst=0 src0=1 src1=1 src2=1
	v_mul_i32_i24_e32 v30, v47 /*v303*/, v187 /*v443*/
	v_mul_i32_i24_e32 v31, v49 /*v305*/, v188 /*v444*/
	v_add3_u32 v16, v155 /*v411*/, v153 /*v409*/, v154 /*v410*/
	s_set_vgpr_msb 0                        ;  msbs: dst=0 src0=0 src1=0 src2=0
	v_add3_u32 v7, v7, v24, v26
	v_add3_u32 v6, v6, v38, v40
	s_set_vgpr_msb 5                        ;  msbs: dst=0 src0=1 src1=1 src2=0
	v_mul_i32_i24_e32 v38, v50 /*v306*/, v189 /*v445*/
	v_mul_i32_i24_e32 v40, v52 /*v308*/, v190 /*v446*/
	s_set_vgpr_msb 0                        ;  msbs: dst=0 src0=0 src1=0 src2=0
	v_add3_u32 v7, v7, v27, v28
	v_add3_u32 v6, v6, v42, v44
	s_set_vgpr_msb 5                        ;  msbs: dst=0 src0=1 src1=1 src2=0
	v_mul_i32_i24_e32 v42, v51 /*v307*/, v191 /*v447*/
	v_mul_i32_i24_e32 v44, v53 /*v309*/, v192 /*v448*/
	;; [unrolled: 6-line block ×4, first 2 shown]
	s_set_vgpr_msb 0                        ;  msbs: dst=0 src0=0 src1=0 src2=0
	v_add3_u32 v7, v7, v40, v42
	v_add3_u32 v6, v6, v106, v12
	s_delay_alu instid0(VALU_DEP_2) | instskip(NEXT) | instid1(VALU_DEP_2)
	v_add3_u32 v7, v7, v44, v46
	v_mul_lo_u32 v6, v6, v253
	s_delay_alu instid0(VALU_DEP_2) | instskip(SKIP_3) | instid1(VALU_DEP_2)
	v_add3_u32 v8, v7, v84, v102
	s_set_vgpr_msb 1                        ;  msbs: dst=0 src0=1 src1=0 src2=0
	v_mul_i32_i24_e32 v7, v156 /*v412*/, v252
	s_set_vgpr_msb 0                        ;  msbs: dst=0 src0=0 src1=0 src2=0
	v_add3_u32 v8, v8, v104, v108
	s_set_vgpr_msb 5                        ;  msbs: dst=0 src0=1 src1=1 src2=0
	s_delay_alu instid0(VALU_DEP_2) | instskip(SKIP_1) | instid1(VALU_DEP_2)
	v_add3_u32 v7, v158 /*v414*/, v157 /*v413*/, v7
	s_set_vgpr_msb 0                        ;  msbs: dst=0 src0=0 src1=0 src2=0
	v_add3_u32 v8, v8, v13, v15
	s_delay_alu instid0(VALU_DEP_2) | instskip(SKIP_1) | instid1(VALU_DEP_3)
	v_mul_lo_u32 v12, v7, v253
	v_cvt_f32_i32_e32 v7, v6
	v_mul_lo_u32 v8, v8, v154
	s_delay_alu instid0(VALU_DEP_3) | instskip(SKIP_3) | instid1(VALU_DEP_3)
	v_cvt_f32_i32_e32 v6, v12
	s_set_vgpr_msb 1                        ;  msbs: dst=0 src0=1 src1=0 src2=0
	v_mul_i32_i24_e32 v12, v152 /*v408*/, v153
	s_set_vgpr_msb 0                        ;  msbs: dst=0 src0=0 src1=0 src2=0
	v_cvt_f32_i32_e32 v113, v8
	v_pk_fma_f32 v[6:7], v[118:119], v[6:7], 0 op_sel_hi:[1,1,0]
	s_delay_alu instid0(VALU_DEP_3) | instskip(NEXT) | instid1(VALU_DEP_1)
	v_add3_u32 v12, v16, v12, v14
	v_mul_lo_u32 v12, v12, v154
	s_delay_alu instid0(VALU_DEP_1) | instskip(NEXT) | instid1(VALU_DEP_1)
	v_cvt_f32_i32_e32 v112, v12
	v_pk_fma_f32 v[0:1], v[0:1], v[112:113], v[6:7]
	s_delay_alu instid0(VALU_DEP_1) | instskip(NEXT) | instid1(VALU_DEP_1)
	v_pk_fma_f32 v[0:1], v[0:1], v[92:93], v[2:3] neg_lo:[0,0,1] neg_hi:[0,0,1]
	v_pk_add_f32 v[70:71], v[70:71], v[0:1]
	s_cbranch_scc1 .LBB151_8
; %bb.9:                                ;   in Loop: Header=BB151_5 Depth=1
	s_add_co_i32 s10, s10, 1
	s_delay_alu instid0(SALU_CYCLE_1)
	s_cmp_eq_u32 s10, s15
	s_barrier_signal -1
	s_barrier_wait -1
	s_cbranch_scc0 .LBB151_5
; %bb.10:
	s_clause 0x1
	scratch_load_b32 v7, off, off offset:156 th:TH_LOAD_LU
	scratch_load_b32 v10, off, off offset:160
	v_cvt_pk_f16_f32 v22, v62, v63
	v_cvt_pk_f16_f32 v21, v72, v73
	v_cvt_pk_f16_f32 v20, v78, v79
	v_cvt_pk_f16_f32 v19, v82, v83
	v_cvt_pk_f16_f32 v18, v56, v57
	v_cvt_pk_f16_f32 v17, v66, v67
	v_cvt_pk_f16_f32 v16, v74, v75
	v_cvt_pk_f16_f32 v14, v80, v81
	v_cvt_pk_f16_f32 v12, v52, v53
	v_cvt_pk_f16_f32 v11, v58, v59
	v_cvt_pk_f16_f32 v8, v68, v69
	v_cvt_pk_f16_f32 v6, v76, v77
	v_cvt_pk_f16_f32 v5, v48, v49
	v_cvt_pk_f16_f32 v3, v54, v55
	v_cvt_pk_f16_f32 v2, v60, v61
	v_cvt_pk_f16_f32 v1, v70, v71
	v_mov_b32_e32 v4, v9
.LBB151_11:
	s_wait_xcnt 0x0
	s_mov_b32 s0, exec_lo
	s_wait_loadcnt 0x0
	v_cmpx_gt_u32_e64 s4, v10
	s_cbranch_execz .LBB151_62
; %bb.12:
	v_mul_lo_u32 v13, v10, s6
	v_add_nc_u32_e32 v0, s14, v7
	s_delay_alu instid0(VALU_DEP_1)
	v_cmp_gt_u32_e32 vcc_lo, s6, v0
	s_and_saveexec_b32 s0, vcc_lo
	s_cbranch_execz .LBB151_14
; %bb.13:
	s_delay_alu instid0(VALU_DEP_3)
	v_add_nc_u32_e32 v7, v0, v13
	s_wait_kmcnt 0x0
	global_store_b16 v7, v22, s[8:9] scale_offset
.LBB151_14:
	s_wait_xcnt 0x0
	s_or_b32 exec_lo, exec_lo, s0
	v_add_nc_u32_e32 v7, 32, v0
	s_delay_alu instid0(VALU_DEP_1)
	v_cmp_gt_u32_e64 s0, s6, v7
	s_and_saveexec_b32 s1, s0
	s_cbranch_execz .LBB151_16
; %bb.15:
	v_add_nc_u32_e32 v9, v7, v13
	s_wait_kmcnt 0x0
	global_store_b16 v9, v21, s[8:9] scale_offset
.LBB151_16:
	s_wait_xcnt 0x0
	s_or_b32 exec_lo, exec_lo, s1
	v_add_nc_u32_e32 v9, 64, v0
	s_delay_alu instid0(VALU_DEP_1)
	v_cmp_gt_u32_e64 s1, s6, v9
	s_and_saveexec_b32 s2, s1
	s_cbranch_execz .LBB151_18
; %bb.17:
	v_add_nc_u32_e32 v10, v9, v13
	s_wait_kmcnt 0x0
	global_store_b16 v10, v20, s[8:9] scale_offset
.LBB151_18:
	;; [unrolled: 12-line block ×3, first 2 shown]
	s_wait_xcnt 0x0
	s_or_b32 exec_lo, exec_lo, s3
	v_add3_u32 v13, v4, s7, 8
	s_delay_alu instid0(VALU_DEP_1)
	v_cmp_gt_u32_e64 s3, s4, v13
	s_and_b32 exec_lo, exec_lo, s3
	s_cbranch_execz .LBB151_62
; %bb.21:
	v_mul_lo_u32 v13, v13, s6
	s_and_saveexec_b32 s3, vcc_lo
	s_cbranch_execnz .LBB151_63
; %bb.22:
	s_or_b32 exec_lo, exec_lo, s3
	s_and_saveexec_b32 s3, s0
	s_cbranch_execnz .LBB151_64
.LBB151_23:
	s_or_b32 exec_lo, exec_lo, s3
	s_and_saveexec_b32 s3, s1
	s_cbranch_execnz .LBB151_65
.LBB151_24:
	s_or_b32 exec_lo, exec_lo, s3
	s_and_saveexec_b32 s3, s2
	s_cbranch_execz .LBB151_26
.LBB151_25:
	v_add_nc_u32_e32 v13, v13, v10
	s_wait_kmcnt 0x0
	global_store_d16_hi_b16 v13, v19, s[8:9] scale_offset
.LBB151_26:
	s_wait_xcnt 0x0
	s_or_b32 exec_lo, exec_lo, s3
	v_add3_u32 v13, v4, s7, 16
	s_delay_alu instid0(VALU_DEP_1)
	v_cmp_gt_u32_e64 s3, s4, v13
	s_and_b32 exec_lo, exec_lo, s3
	s_cbranch_execz .LBB151_62
; %bb.27:
	v_mul_lo_u32 v13, v13, s6
	s_and_saveexec_b32 s3, vcc_lo
	s_cbranch_execnz .LBB151_66
; %bb.28:
	s_or_b32 exec_lo, exec_lo, s3
	s_and_saveexec_b32 s3, s0
	s_cbranch_execnz .LBB151_67
.LBB151_29:
	s_or_b32 exec_lo, exec_lo, s3
	s_and_saveexec_b32 s3, s1
	s_cbranch_execnz .LBB151_68
.LBB151_30:
	s_or_b32 exec_lo, exec_lo, s3
	s_and_saveexec_b32 s3, s2
	s_cbranch_execz .LBB151_32
.LBB151_31:
	v_add_nc_u32_e32 v13, v13, v10
	s_wait_kmcnt 0x0
	global_store_b16 v13, v14, s[8:9] scale_offset
.LBB151_32:
	s_wait_xcnt 0x0
	s_or_b32 exec_lo, exec_lo, s3
	v_add3_u32 v13, v4, s7, 24
	s_delay_alu instid0(VALU_DEP_1)
	v_cmp_gt_u32_e64 s3, s4, v13
	s_and_b32 exec_lo, exec_lo, s3
	s_cbranch_execz .LBB151_62
; %bb.33:
	v_mul_lo_u32 v13, v13, s6
	s_and_saveexec_b32 s3, vcc_lo
	s_cbranch_execnz .LBB151_69
; %bb.34:
	s_or_b32 exec_lo, exec_lo, s3
	s_and_saveexec_b32 s3, s0
	s_cbranch_execnz .LBB151_70
.LBB151_35:
	s_or_b32 exec_lo, exec_lo, s3
	s_and_saveexec_b32 s3, s1
	s_cbranch_execnz .LBB151_71
.LBB151_36:
	s_or_b32 exec_lo, exec_lo, s3
	s_and_saveexec_b32 s3, s2
	s_cbranch_execz .LBB151_38
.LBB151_37:
	v_add_nc_u32_e32 v13, v13, v10
	s_wait_kmcnt 0x0
	global_store_d16_hi_b16 v13, v14, s[8:9] scale_offset
.LBB151_38:
	s_wait_xcnt 0x0
	s_or_b32 exec_lo, exec_lo, s3
	v_add3_u32 v13, v4, s7, 32
	s_delay_alu instid0(VALU_DEP_1)
	v_cmp_gt_u32_e64 s3, s4, v13
	s_and_b32 exec_lo, exec_lo, s3
	s_cbranch_execz .LBB151_62
; %bb.39:
	v_mul_lo_u32 v13, v13, s6
	s_and_saveexec_b32 s3, vcc_lo
	s_cbranch_execnz .LBB151_72
; %bb.40:
	s_or_b32 exec_lo, exec_lo, s3
	s_and_saveexec_b32 s3, s0
	s_cbranch_execnz .LBB151_73
.LBB151_41:
	s_or_b32 exec_lo, exec_lo, s3
	s_and_saveexec_b32 s3, s1
	s_cbranch_execnz .LBB151_74
.LBB151_42:
	s_or_b32 exec_lo, exec_lo, s3
	s_and_saveexec_b32 s3, s2
	s_cbranch_execz .LBB151_44
.LBB151_43:
	v_add_nc_u32_e32 v13, v13, v10
	s_wait_kmcnt 0x0
	global_store_b16 v13, v6, s[8:9] scale_offset
.LBB151_44:
	s_wait_xcnt 0x0
	s_or_b32 exec_lo, exec_lo, s3
	v_add3_u32 v13, v4, s7, 40
	s_delay_alu instid0(VALU_DEP_1)
	v_cmp_gt_u32_e64 s3, s4, v13
	s_and_b32 exec_lo, exec_lo, s3
	s_cbranch_execz .LBB151_62
; %bb.45:
	v_mul_lo_u32 v13, v13, s6
	s_and_saveexec_b32 s3, vcc_lo
	s_cbranch_execnz .LBB151_75
; %bb.46:
	s_or_b32 exec_lo, exec_lo, s3
	s_and_saveexec_b32 s3, s0
	s_cbranch_execnz .LBB151_76
.LBB151_47:
	s_or_b32 exec_lo, exec_lo, s3
	s_and_saveexec_b32 s3, s1
	s_cbranch_execnz .LBB151_77
.LBB151_48:
	s_or_b32 exec_lo, exec_lo, s3
	s_and_saveexec_b32 s3, s2
	s_cbranch_execz .LBB151_50
.LBB151_49:
	v_add_nc_u32_e32 v8, v13, v10
	s_wait_kmcnt 0x0
	global_store_d16_hi_b16 v8, v6, s[8:9] scale_offset
.LBB151_50:
	s_wait_xcnt 0x0
	s_or_b32 exec_lo, exec_lo, s3
	v_add3_u32 v6, v4, s7, 48
	s_delay_alu instid0(VALU_DEP_1)
	v_cmp_gt_u32_e64 s3, s4, v6
	s_and_b32 exec_lo, exec_lo, s3
	s_cbranch_execz .LBB151_62
; %bb.51:
	v_mul_lo_u32 v6, v6, s6
	s_and_saveexec_b32 s3, vcc_lo
	s_cbranch_execnz .LBB151_78
; %bb.52:
	s_or_b32 exec_lo, exec_lo, s3
	s_and_saveexec_b32 s3, s0
	s_cbranch_execnz .LBB151_79
.LBB151_53:
	s_or_b32 exec_lo, exec_lo, s3
	s_and_saveexec_b32 s3, s1
	s_cbranch_execnz .LBB151_80
.LBB151_54:
	s_or_b32 exec_lo, exec_lo, s3
	s_and_saveexec_b32 s3, s2
	s_cbranch_execz .LBB151_56
.LBB151_55:
	v_add_nc_u32_e32 v6, v6, v10
	s_wait_kmcnt 0x0
	global_store_b16 v6, v1, s[8:9] scale_offset
.LBB151_56:
	s_wait_xcnt 0x0
	s_or_b32 exec_lo, exec_lo, s3
	v_add3_u32 v4, v4, s7, 56
	s_delay_alu instid0(VALU_DEP_1)
	v_cmp_gt_u32_e64 s3, s4, v4
	s_and_b32 exec_lo, exec_lo, s3
	s_cbranch_execz .LBB151_62
; %bb.57:
	v_mul_lo_u32 v4, v4, s6
	s_and_saveexec_b32 s3, vcc_lo
	s_cbranch_execnz .LBB151_81
; %bb.58:
	s_or_b32 exec_lo, exec_lo, s3
	s_and_saveexec_b32 s3, s0
	s_cbranch_execnz .LBB151_82
.LBB151_59:
	s_or_b32 exec_lo, exec_lo, s3
	s_and_saveexec_b32 s0, s1
	s_cbranch_execnz .LBB151_83
.LBB151_60:
	s_or_b32 exec_lo, exec_lo, s0
	s_delay_alu instid0(SALU_CYCLE_1)
	s_and_b32 exec_lo, exec_lo, s2
	s_cbranch_execz .LBB151_62
.LBB151_61:
	v_add_nc_u32_e32 v0, v4, v10
	s_wait_kmcnt 0x0
	global_store_d16_hi_b16 v0, v1, s[8:9] scale_offset
.LBB151_62:
	s_sendmsg sendmsg(MSG_DEALLOC_VGPRS)
	s_endpgm
.LBB151_63:
	s_delay_alu instid0(VALU_DEP_1)
	v_add_nc_u32_e32 v15, v13, v0
	s_wait_kmcnt 0x0
	global_store_d16_hi_b16 v15, v22, s[8:9] scale_offset
	s_wait_xcnt 0x0
	s_or_b32 exec_lo, exec_lo, s3
	s_and_saveexec_b32 s3, s0
	s_cbranch_execz .LBB151_23
.LBB151_64:
	s_delay_alu instid0(VALU_DEP_1)
	v_add_nc_u32_e32 v15, v13, v7
	s_wait_kmcnt 0x0
	global_store_d16_hi_b16 v15, v21, s[8:9] scale_offset
	s_wait_xcnt 0x0
	s_or_b32 exec_lo, exec_lo, s3
	s_and_saveexec_b32 s3, s1
	s_cbranch_execz .LBB151_24
.LBB151_65:
	s_delay_alu instid0(VALU_DEP_1)
	v_add_nc_u32_e32 v15, v13, v9
	s_wait_kmcnt 0x0
	global_store_d16_hi_b16 v15, v20, s[8:9] scale_offset
	s_wait_xcnt 0x0
	s_or_b32 exec_lo, exec_lo, s3
	s_and_saveexec_b32 s3, s2
	s_cbranch_execnz .LBB151_25
	s_branch .LBB151_26
.LBB151_66:
	s_delay_alu instid0(VALU_DEP_1)
	v_add_nc_u32_e32 v15, v13, v0
	s_wait_kmcnt 0x0
	global_store_b16 v15, v18, s[8:9] scale_offset
	s_wait_xcnt 0x0
	s_or_b32 exec_lo, exec_lo, s3
	s_and_saveexec_b32 s3, s0
	s_cbranch_execz .LBB151_29
.LBB151_67:
	s_delay_alu instid0(VALU_DEP_1)
	v_add_nc_u32_e32 v15, v13, v7
	s_wait_kmcnt 0x0
	global_store_b16 v15, v17, s[8:9] scale_offset
	s_wait_xcnt 0x0
	s_or_b32 exec_lo, exec_lo, s3
	s_and_saveexec_b32 s3, s1
	s_cbranch_execz .LBB151_30
.LBB151_68:
	s_delay_alu instid0(VALU_DEP_1)
	v_add_nc_u32_e32 v15, v13, v9
	s_wait_kmcnt 0x0
	global_store_b16 v15, v16, s[8:9] scale_offset
	s_wait_xcnt 0x0
	s_or_b32 exec_lo, exec_lo, s3
	s_and_saveexec_b32 s3, s2
	s_cbranch_execnz .LBB151_31
	s_branch .LBB151_32
.LBB151_69:
	s_delay_alu instid0(VALU_DEP_1)
	v_add_nc_u32_e32 v15, v13, v0
	s_wait_kmcnt 0x0
	global_store_d16_hi_b16 v15, v18, s[8:9] scale_offset
	s_wait_xcnt 0x0
	s_or_b32 exec_lo, exec_lo, s3
	s_and_saveexec_b32 s3, s0
	s_cbranch_execz .LBB151_35
.LBB151_70:
	s_delay_alu instid0(VALU_DEP_1)
	v_add_nc_u32_e32 v15, v13, v7
	s_wait_kmcnt 0x0
	global_store_d16_hi_b16 v15, v17, s[8:9] scale_offset
	s_wait_xcnt 0x0
	s_or_b32 exec_lo, exec_lo, s3
	s_and_saveexec_b32 s3, s1
	s_cbranch_execz .LBB151_36
.LBB151_71:
	s_delay_alu instid0(VALU_DEP_1)
	v_add_nc_u32_e32 v15, v13, v9
	s_wait_kmcnt 0x0
	global_store_d16_hi_b16 v15, v16, s[8:9] scale_offset
	s_wait_xcnt 0x0
	s_or_b32 exec_lo, exec_lo, s3
	s_and_saveexec_b32 s3, s2
	s_cbranch_execnz .LBB151_37
	s_branch .LBB151_38
.LBB151_72:
	s_delay_alu instid0(VALU_DEP_1)
	v_add_nc_u32_e32 v14, v13, v0
	s_wait_kmcnt 0x0
	global_store_b16 v14, v12, s[8:9] scale_offset
	s_wait_xcnt 0x0
	s_or_b32 exec_lo, exec_lo, s3
	s_and_saveexec_b32 s3, s0
	s_cbranch_execz .LBB151_41
.LBB151_73:
	s_delay_alu instid0(VALU_DEP_1)
	v_add_nc_u32_e32 v14, v13, v7
	s_wait_kmcnt 0x0
	global_store_b16 v14, v11, s[8:9] scale_offset
	s_wait_xcnt 0x0
	s_or_b32 exec_lo, exec_lo, s3
	s_and_saveexec_b32 s3, s1
	s_cbranch_execz .LBB151_42
.LBB151_74:
	s_delay_alu instid0(VALU_DEP_1)
	v_add_nc_u32_e32 v14, v13, v9
	s_wait_kmcnt 0x0
	global_store_b16 v14, v8, s[8:9] scale_offset
	s_wait_xcnt 0x0
	s_or_b32 exec_lo, exec_lo, s3
	s_and_saveexec_b32 s3, s2
	s_cbranch_execnz .LBB151_43
	s_branch .LBB151_44
.LBB151_75:
	s_delay_alu instid0(VALU_DEP_1)
	v_add_nc_u32_e32 v14, v13, v0
	s_wait_kmcnt 0x0
	global_store_d16_hi_b16 v14, v12, s[8:9] scale_offset
	s_wait_xcnt 0x0
	s_or_b32 exec_lo, exec_lo, s3
	s_and_saveexec_b32 s3, s0
	s_cbranch_execz .LBB151_47
.LBB151_76:
	s_delay_alu instid0(VALU_DEP_1)
	v_add_nc_u32_e32 v12, v13, v7
	s_wait_kmcnt 0x0
	global_store_d16_hi_b16 v12, v11, s[8:9] scale_offset
	s_wait_xcnt 0x0
	s_or_b32 exec_lo, exec_lo, s3
	s_and_saveexec_b32 s3, s1
	s_cbranch_execz .LBB151_48
.LBB151_77:
	s_delay_alu instid0(VALU_DEP_1)
	v_add_nc_u32_e32 v11, v13, v9
	s_wait_kmcnt 0x0
	global_store_d16_hi_b16 v11, v8, s[8:9] scale_offset
	s_wait_xcnt 0x0
	s_or_b32 exec_lo, exec_lo, s3
	s_and_saveexec_b32 s3, s2
	s_cbranch_execnz .LBB151_49
	s_branch .LBB151_50
.LBB151_78:
	s_delay_alu instid0(VALU_DEP_1)
	v_add_nc_u32_e32 v8, v6, v0
	s_wait_kmcnt 0x0
	global_store_b16 v8, v5, s[8:9] scale_offset
	s_wait_xcnt 0x0
	s_or_b32 exec_lo, exec_lo, s3
	s_and_saveexec_b32 s3, s0
	s_cbranch_execz .LBB151_53
.LBB151_79:
	s_delay_alu instid0(VALU_DEP_1)
	v_add_nc_u32_e32 v8, v6, v7
	s_wait_kmcnt 0x0
	global_store_b16 v8, v3, s[8:9] scale_offset
	s_wait_xcnt 0x0
	s_or_b32 exec_lo, exec_lo, s3
	s_and_saveexec_b32 s3, s1
	s_cbranch_execz .LBB151_54
.LBB151_80:
	s_delay_alu instid0(VALU_DEP_1)
	v_add_nc_u32_e32 v8, v6, v9
	s_wait_kmcnt 0x0
	global_store_b16 v8, v2, s[8:9] scale_offset
	s_wait_xcnt 0x0
	s_or_b32 exec_lo, exec_lo, s3
	s_and_saveexec_b32 s3, s2
	s_cbranch_execnz .LBB151_55
	s_branch .LBB151_56
.LBB151_81:
	s_delay_alu instid0(VALU_DEP_1)
	v_add_nc_u32_e32 v0, v4, v0
	s_wait_kmcnt 0x0
	global_store_d16_hi_b16 v0, v5, s[8:9] scale_offset
	s_wait_xcnt 0x0
	s_or_b32 exec_lo, exec_lo, s3
	s_and_saveexec_b32 s3, s0
	s_cbranch_execz .LBB151_59
.LBB151_82:
	s_delay_alu instid0(VALU_DEP_1)
	v_add_nc_u32_e32 v0, v4, v7
	s_wait_kmcnt 0x0
	global_store_d16_hi_b16 v0, v3, s[8:9] scale_offset
	s_wait_xcnt 0x0
	s_or_b32 exec_lo, exec_lo, s3
	s_and_saveexec_b32 s0, s1
	s_cbranch_execz .LBB151_60
.LBB151_83:
	s_delay_alu instid0(VALU_DEP_1) | instskip(SKIP_4) | instid1(SALU_CYCLE_1)
	v_add_nc_u32_e32 v0, v4, v9
	s_wait_kmcnt 0x0
	global_store_d16_hi_b16 v0, v2, s[8:9] scale_offset
	s_wait_xcnt 0x0
	s_or_b32 exec_lo, exec_lo, s0
	s_and_b32 exec_lo, exec_lo, s2
	s_cbranch_execnz .LBB151_61
	s_branch .LBB151_62
	.section	.rodata,"a",@progbits
	.p2align	6, 0x0
	.amdhsa_kernel _ZL12mul_mat_q4_KIN3c104HalfELb0EEvPKvS3_PT_iiiii
		.amdhsa_group_segment_fixed_size 28752
		.amdhsa_private_segment_fixed_size 168
		.amdhsa_kernarg_size 44
		.amdhsa_user_sgpr_count 2
		.amdhsa_user_sgpr_dispatch_ptr 0
		.amdhsa_user_sgpr_queue_ptr 0
		.amdhsa_user_sgpr_kernarg_segment_ptr 1
		.amdhsa_user_sgpr_dispatch_id 0
		.amdhsa_user_sgpr_kernarg_preload_length 0
		.amdhsa_user_sgpr_kernarg_preload_offset 0
		.amdhsa_user_sgpr_private_segment_size 0
		.amdhsa_wavefront_size32 1
		.amdhsa_uses_dynamic_stack 0
		.amdhsa_enable_private_segment 1
		.amdhsa_system_sgpr_workgroup_id_x 1
		.amdhsa_system_sgpr_workgroup_id_y 1
		.amdhsa_system_sgpr_workgroup_id_z 0
		.amdhsa_system_sgpr_workgroup_info 0
		.amdhsa_system_vgpr_workitem_id 1
		.amdhsa_next_free_vgpr 512
		.amdhsa_next_free_sgpr 20
		.amdhsa_named_barrier_count 0
		.amdhsa_reserve_vcc 1
		.amdhsa_float_round_mode_32 0
		.amdhsa_float_round_mode_16_64 0
		.amdhsa_float_denorm_mode_32 3
		.amdhsa_float_denorm_mode_16_64 3
		.amdhsa_fp16_overflow 0
		.amdhsa_memory_ordered 1
		.amdhsa_forward_progress 1
		.amdhsa_inst_pref_size 255
		.amdhsa_round_robin_scheduling 0
		.amdhsa_exception_fp_ieee_invalid_op 0
		.amdhsa_exception_fp_denorm_src 0
		.amdhsa_exception_fp_ieee_div_zero 0
		.amdhsa_exception_fp_ieee_overflow 0
		.amdhsa_exception_fp_ieee_underflow 0
		.amdhsa_exception_fp_ieee_inexact 0
		.amdhsa_exception_int_div_zero 0
	.end_amdhsa_kernel
	.section	.text._ZL12mul_mat_q4_KIN3c104HalfELb0EEvPKvS3_PT_iiiii,"axG",@progbits,_ZL12mul_mat_q4_KIN3c104HalfELb0EEvPKvS3_PT_iiiii,comdat
.Lfunc_end151:
	.size	_ZL12mul_mat_q4_KIN3c104HalfELb0EEvPKvS3_PT_iiiii, .Lfunc_end151-_ZL12mul_mat_q4_KIN3c104HalfELb0EEvPKvS3_PT_iiiii
                                        ; -- End function
	.set _ZL12mul_mat_q4_KIN3c104HalfELb0EEvPKvS3_PT_iiiii.num_vgpr, 512
	.set _ZL12mul_mat_q4_KIN3c104HalfELb0EEvPKvS3_PT_iiiii.num_agpr, 0
	.set _ZL12mul_mat_q4_KIN3c104HalfELb0EEvPKvS3_PT_iiiii.numbered_sgpr, 20
	.set _ZL12mul_mat_q4_KIN3c104HalfELb0EEvPKvS3_PT_iiiii.num_named_barrier, 0
	.set _ZL12mul_mat_q4_KIN3c104HalfELb0EEvPKvS3_PT_iiiii.private_seg_size, 168
	.set _ZL12mul_mat_q4_KIN3c104HalfELb0EEvPKvS3_PT_iiiii.uses_vcc, 1
	.set _ZL12mul_mat_q4_KIN3c104HalfELb0EEvPKvS3_PT_iiiii.uses_flat_scratch, 1
	.set _ZL12mul_mat_q4_KIN3c104HalfELb0EEvPKvS3_PT_iiiii.has_dyn_sized_stack, 0
	.set _ZL12mul_mat_q4_KIN3c104HalfELb0EEvPKvS3_PT_iiiii.has_recursion, 0
	.set _ZL12mul_mat_q4_KIN3c104HalfELb0EEvPKvS3_PT_iiiii.has_indirect_call, 0
	.section	.AMDGPU.csdata,"",@progbits
; Kernel info:
; codeLenInByte = 75772
; TotalNumSgprs: 22
; NumVgprs: 512
; ScratchSize: 168
; MemoryBound: 0
; FloatMode: 240
; IeeeMode: 1
; LDSByteSize: 28752 bytes/workgroup (compile time only)
; SGPRBlocks: 0
; VGPRBlocks: 31
; NumSGPRsForWavesPerEU: 22
; NumVGPRsForWavesPerEU: 512
; NamedBarCnt: 0
; Occupancy: 2
; WaveLimiterHint : 0
; COMPUTE_PGM_RSRC2:SCRATCH_EN: 1
; COMPUTE_PGM_RSRC2:USER_SGPR: 2
; COMPUTE_PGM_RSRC2:TRAP_HANDLER: 0
; COMPUTE_PGM_RSRC2:TGID_X_EN: 1
; COMPUTE_PGM_RSRC2:TGID_Y_EN: 1
; COMPUTE_PGM_RSRC2:TGID_Z_EN: 0
; COMPUTE_PGM_RSRC2:TIDIG_COMP_CNT: 1
	.section	.text._ZL12mul_mat_q4_KIN3c104HalfELb1EEvPKvS3_PT_iiiii,"axG",@progbits,_ZL12mul_mat_q4_KIN3c104HalfELb1EEvPKvS3_PT_iiiii,comdat
	.globl	_ZL12mul_mat_q4_KIN3c104HalfELb1EEvPKvS3_PT_iiiii ; -- Begin function _ZL12mul_mat_q4_KIN3c104HalfELb1EEvPKvS3_PT_iiiii
	.p2align	8
	.type	_ZL12mul_mat_q4_KIN3c104HalfELb1EEvPKvS3_PT_iiiii,@function
_ZL12mul_mat_q4_KIN3c104HalfELb1EEvPKvS3_PT_iiiii: ; @_ZL12mul_mat_q4_KIN3c104HalfELb1EEvPKvS3_PT_iiiii
; %bb.0:
	s_clause 0x1
	s_load_b128 s[4:7], s[0:1], 0x18
	s_load_b32 s16, s[0:1], 0x28
	s_bfe_u32 s2, ttmp6, 0x4000c
	s_bfe_u32 s8, ttmp6, 0x40010
	s_add_co_i32 s2, s2, 1
	s_and_b32 s3, ttmp6, 15
	s_mul_i32 s2, ttmp9, s2
	s_add_co_i32 s8, s8, 1
	s_add_co_i32 s3, s3, s2
	s_mul_i32 s2, ttmp7, s8
	s_bfe_u32 s8, ttmp6, 0x40004
	s_getreg_b32 s9, hwreg(HW_REG_IB_STS2, 6, 4)
	s_add_co_i32 s8, s8, s2
	s_cmp_eq_u32 s9, 0
	v_bfe_u32 v9, v0, 10, 10
	s_cselect_b32 s8, ttmp7, s8
	v_and_b32_e32 v19, 0x3ff, v0
	s_cselect_b32 s2, ttmp9, s3
	s_lshl_b32 s17, s8, 6
	s_mov_b32 s3, 0
	s_wait_kmcnt 0x0
	s_cmp_gt_i32 s4, 0xff
	s_cbranch_scc1 .LBB152_2
; %bb.1:
	v_bfe_u32 v4, v0, 10, 10
	v_and_b32_e32 v7, 0x3ff, v0
	s_delay_alu instid0(VALU_DEP_2)
	v_add_nc_u32_e32 v10, s17, v4
	s_branch .LBB152_3
.LBB152_2:
	s_mov_b32 s3, -1
                                        ; implicit-def: $vgpr4
                                        ; implicit-def: $vgpr7
                                        ; implicit-def: $vgpr10
.LBB152_3:
	s_load_b64 s[12:13], s[0:1], 0x10
	v_dual_mov_b32 v1, 0 :: v_dual_mov_b32 v6, 0
	v_dual_mov_b32 v13, 0 :: v_dual_mov_b32 v17, 0
	;; [unrolled: 1-line block ×8, first 2 shown]
	s_lshl_b32 s18, s2, 7
	s_and_not1_b32 vcc_lo, exec_lo, s3
	s_mov_b32 s3, 0
	s_cbranch_vccnz .LBB152_11
; %bb.4:
	v_dual_add_nc_u32 v11, s17, v9 :: v_dual_lshlrev_b32 v23, 5, v9
	s_add_co_i32 s19, s6, -1
	s_load_b128 s[8:11], s[0:1], 0x0
	v_cvt_f64_i32_e32 v[2:3], s19
	s_delay_alu instid0(VALU_DEP_2)
	v_dual_add_nc_u32 v1, 8, v11 :: v_dual_add_nc_u32 v8, 16, v11
	v_cvt_f64_u32_e32 v[4:5], v11
	s_wait_xcnt 0x0
	s_ashr_i32 s0, s4, 31
	s_ashr_i32 s1, s7, 31
	v_cvt_f64_u32_e32 v[6:7], v1
	v_dual_add_nc_u32 v1, 24, v11 :: v_dual_add_nc_u32 v10, 32, v11
	v_cvt_f64_u32_e32 v[12:13], v8
	v_add_nc_u32_e32 v8, 40, v11
	s_lshr_b32 s0, s0, 24
	s_delay_alu instid0(VALU_DEP_3)
	v_cvt_f64_u32_e32 v[14:15], v1
	v_add_nc_u32_e32 v1, 48, v11
	s_lshr_b32 s1, s1, 27
	v_cvt_f64_u32_e32 v[24:25], v8
	s_add_co_i32 s0, s4, s0
	v_cvt_f64_u32_e32 v[16:17], v10
	v_add_nc_u32_e32 v10, v23, v19
	v_add_nc_u32_e32 v8, 56, v11
	s_add_co_i32 s4, s7, s1
	s_ashr_i32 s7, s0, 8
	v_cvt_f64_u32_e32 v[26:27], v1
	s_mul_i32 s0, s7, s18
	v_lshlrev_b32_e32 v1, 2, v19
	v_and_b32_e32 v18, 0x7f, v10
	s_not_b32 s2, s18
	s_ashr_i32 s1, s0, 31
	v_cvt_f64_u32_e32 v[28:29], v8
	s_mul_u64 s[14:15], s[0:1], 0x90
	s_add_co_i32 s1, s5, s2
	s_delay_alu instid0(SALU_CYCLE_1) | instskip(SKIP_2) | instid1(VALU_DEP_3)
	v_dual_add_nc_u32 v20, 8, v9 :: v_dual_min_i32 v50, s1, v18
	v_bfe_u32 v31, v0, 2, 8
	v_dual_add_nc_u32 v32, 32, v9 :: v_dual_add_nc_u32 v18, 16, v9
	v_dual_add_nc_u32 v22, 24, v9 :: v_dual_min_i32 v34, s1, v20
	s_delay_alu instid0(VALU_DEP_2) | instskip(NEXT) | instid1(VALU_DEP_4)
	v_dual_ashrrev_i32 v30, 31, v50 :: v_dual_min_i32 v40, s1, v32
	v_lshl_add_u32 v33, v9, 3, v31
	v_dual_min_num_f64 v[6:7], v[6:7], v[2:3] :: v_dual_add_nc_u32 v46, 48, v9
	s_delay_alu instid0(VALU_DEP_3) | instskip(SKIP_1) | instid1(VALU_DEP_3)
	v_lshrrev_b32_e32 v30, 27, v30
	s_ashr_i32 s4, s4, 5
	v_and_b32_e32 v37, 0x7f, v33
	v_min_num_f64_e32 v[4:5], v[4:5], v[2:3]
	v_add_nc_u32_e32 v61, 0x60, v19
	v_dual_add_nc_u32 v42, 40, v9 :: v_dual_min_i32 v36, s1, v18
	s_delay_alu instid0(VALU_DEP_4)
	v_dual_add_nc_u32 v35, v50, v30 :: v_dual_min_i32 v51, s1, v37
	v_min_num_f64_e32 v[30:31], v[24:25], v[2:3]
	v_bitop3_b32 v25, v33, 64, 0x7f bitop3:0x6c
	v_min_num_f64_e32 v[12:13], v[12:13], v[2:3]
	v_dual_add_nc_u32 v48, 56, v9 :: v_dual_min_i32 v44, s1, v42
	v_dual_lshlrev_b32 v131, 5, v18 :: v_dual_lshlrev_b32 v133, 5, v32
	s_delay_alu instid0(VALU_DEP_4) | instskip(SKIP_2) | instid1(VALU_DEP_3)
	v_dual_ashrrev_i32 v25, 31, v51 :: v_dual_min_i32 v56, s1, v25
	v_dual_ashrrev_i32 v24, 5, v35 :: v_dual_min_i32 v38, s1, v22
	v_min_num_f64_e32 v[14:15], v[14:15], v[2:3]
	v_dual_min_num_f64 v[16:17], v[16:17], v[2:3] :: v_dual_ashrrev_i32 v37, 31, v56
	v_min_num_f64_e32 v[26:27], v[26:27], v[2:3]
	v_dual_min_num_f64 v[2:3], v[28:29], v[2:3] :: v_dual_bitop2_b32 v28, 3, v0 bitop3:0x40
	v_dual_lshlrev_b32 v24, 2, v24 :: v_dual_lshrrev_b32 v39, 29, v25
	v_bfe_u32 v8, v0, 5, 5
	v_bfe_u32 v125, v0, 3, 7
	s_delay_alu instid0(VALU_DEP_4)
	v_add_nc_u32_e32 v29, 0xfe, v28
	v_cmp_gt_u32_e32 vcc_lo, 2, v28
	v_cvt_i32_f64_e32 v6, v[6:7]
	v_cmp_ne_u32_e64 s0, 0, v28
	v_lshlrev_b32_e32 v132, 5, v22
	v_and_b32_e32 v29, 0xff, v29
	v_lshlrev_b32_e32 v35, 2, v50
	v_cvt_i32_f64_e32 v4, v[4:5]
	v_dual_lshlrev_b32 v134, 5, v42 :: v_dual_lshlrev_b32 v136, 5, v48
	s_delay_alu instid0(VALU_DEP_4) | instskip(NEXT) | instid1(VALU_DEP_4)
	v_cndmask_b32_e32 v5, v29, v28, vcc_lo
	v_add3_u32 v21, v24, v35, 0x6e40
	v_dual_lshrrev_b32 v24, 29, v37 :: v_dual_add_nc_u32 v35, v51, v39
	v_cvt_i32_f64_e32 v12, v[12:13]
	v_and_b32_e32 v29, 63, v33
	v_cmp_lt_u32_e32 vcc_lo, 1, v28
	s_delay_alu instid0(VALU_DEP_4)
	v_dual_add_nc_u32 v7, v56, v24 :: v_dual_ashrrev_i32 v13, 3, v35
	v_lshlrev_b32_e32 v24, 2, v28
	v_lshlrev_b32_e32 v52, 4, v56
	v_mul_lo_u32 v56, v56, s7
	v_cvt_i32_f64_e32 v14, v[14:15]
	v_dual_ashrrev_i32 v7, 3, v7 :: v_dual_lshlrev_b32 v13, 2, v13
	v_and_b32_e32 v15, 4, v1
	v_cvt_i32_f64_e32 v16, v[16:17]
	v_cvt_i32_f64_e32 v17, v[30:31]
	s_delay_alu instid0(VALU_DEP_4)
	v_lshlrev_b32_e32 v7, 2, v7
	v_cvt_i32_f64_e32 v26, v[26:27]
	v_cvt_i32_f64_e32 v30, v[2:3]
	v_dual_cndmask_b32 v27, 0, v15, vcc_lo :: v_dual_bitop2_b32 v2, s17, v29 bitop3:0x54
	v_add3_u32 v13, v13, v24, 0x6200
	v_lshlrev_b32_e32 v15, 4, v51
	v_add3_u32 v7, v7, v24, 0x6200
	v_and_b32_e32 v31, 31, v0
	v_min_i32_e32 v33, s19, v2
	v_lshl_or_b32 v24, v29, 4, v24
	s_delay_alu instid0(VALU_DEP_4)
	v_dual_add_nc_u32 v13, v13, v15 :: v_dual_add_nc_u32 v7, v7, v52
	scratch_store_b32 off, v21, off         ; 4-byte Folded Spill
	s_wait_xcnt 0x0
	v_mad_u32 v21, v33, s4, v28
	v_lshl_or_b32 v54, v31, 2, 0x4200
	v_add_nc_u32_e32 v31, 0x6a40, v24
	v_mul_lo_u32 v33, s4, v4
	v_dual_lshlrev_b32 v4, 7, v9 :: v_dual_add_nc_u32 v24, 32, v19
	v_lshlrev_b32_e32 v58, 7, v46
	s_clause 0x1
	scratch_store_b32 off, v7, off offset:12
	scratch_store_b32 off, v9, off offset:216
	s_wait_xcnt 0x1
	v_dual_lshrrev_b32 v7, 3, v61 :: v_dual_add_nc_u32 v57, v54, v4
	scratch_store_b32 off, v21, off offset:4 ; 4-byte Folded Spill
	v_mul_lo_u32 v39, s4, v14
	v_dual_lshlrev_b32 v14, 7, v22 :: v_dual_lshrrev_b32 v49, 3, v24
	v_dual_add_nc_u32 v115, v54, v58 :: v_dual_bitop2_b32 v4, 60, v7 bitop3:0x40
	v_mul_lo_u32 v43, s4, v17
	v_lshlrev_b32_e32 v17, 7, v42
	v_mul_lo_u32 v45, s4, v26
	v_add_nc_u32_e32 v26, 64, v19
	v_add3_u32 v129, v1, v4, 0x6e40
	v_dual_lshlrev_b32 v135, 5, v46 :: v_dual_min_i32 v4, s1, v46
	v_mul_lo_u32 v37, s4, v12
	v_lshlrev_b32_e32 v12, 7, v18
	v_mul_lo_u32 v47, s4, v30
	v_dual_lshlrev_b32 v30, 7, v48 :: v_dual_lshrrev_b32 v59, 3, v26
	v_mad_u32 v18, 0x84, v4, v1
	s_clause 0x1
	scratch_store_b32 off, v13, off offset:8
	scratch_store_b32 off, v11, off offset:224
	s_wait_xcnt 0x0
	v_dual_mov_b32 v11, 0 :: v_dual_bitop2_b32 v2, 28, v1 bitop3:0x40
	v_mul_lo_u32 v35, s4, v6
	v_dual_lshlrev_b32 v6, 7, v20 :: v_dual_bitop2_b32 v13, 60, v59 bitop3:0x40
	s_delay_alu instid0(VALU_DEP_3) | instskip(SKIP_1) | instid1(VALU_DEP_3)
	v_mov_b32_e32 v3, v11
	v_mul_lo_u32 v41, s4, v16
	v_dual_lshlrev_b32 v16, 7, v32 :: v_dual_add_nc_u32 v105, v54, v6
	v_dual_add_nc_u32 v107, v54, v12 :: v_dual_add_nc_u32 v109, v54, v14
	v_add3_u32 v128, v1, v13, 0x6e40
	v_add_co_ci_u32_e64 v0, null, 0, v5, s0
	s_wait_kmcnt 0x0
	v_add_nc_u64_e32 v[12:13], s[10:11], v[2:3]
	v_cndmask_b32_e64 v2, 0, 1, vcc_lo
	v_dual_add_nc_u32 v111, v54, v16 :: v_dual_min_i32 v3, s1, v9
	v_add_nc_u32_e32 v113, v54, v17
	v_dual_lshlrev_b32 v139, 4, v61 :: v_dual_lshlrev_b32 v14, 2, v0
	s_delay_alu instid0(VALU_DEP_4) | instskip(NEXT) | instid1(VALU_DEP_4)
	v_lshlrev_b32_e32 v16, 2, v2
	v_mad_u32 v0, 0x84, v3, v1
	v_min_i32_e32 v6, s1, v48
	scratch_store_b32 off, v18, off offset:40 ; 4-byte Folded Spill
	v_dual_mov_b32 v15, v11 :: v_dual_lshlrev_b32 v140, 1, v5
	v_add_min_i32_e64 v5, 0x50, v9, s1
	s_wait_xcnt 0x0
	v_mad_u32 v18, 0x84, v6, v1
	v_mul_lo_u32 v4, v4, s7
	v_add_min_i32_e64 v42, 0x58, v9, s1
	v_dual_add_nc_u32 v124, v54, v30 :: v_dual_lshlrev_b32 v130, 5, v20
	scratch_store_b32 off, v0, off offset:16 ; 4-byte Folded Spill
	s_wait_xcnt 0x0
	v_mad_u32 v0, 0x84, v34, v1
	v_add_min_i32_e64 v2, 0x48, v9, s1
	v_add_min_i32_e64 v46, 0x60, v9, s1
	;; [unrolled: 1-line block ×5, first 2 shown]
	scratch_store_b64 off, v[4:5], off offset:128 ; 8-byte Folded Spill
	s_wait_xcnt 0x0
	v_mul_lo_u32 v4, v6, s7
	v_dual_lshlrev_b32 v60, 2, v8 :: v_dual_bitop2_b32 v62, 60, v49 bitop3:0x40
	s_movk_i32 s2, 0x1080
	scratch_store_b32 off, v0, off offset:20 ; 4-byte Folded Spill
	s_wait_xcnt 0x0
	v_mad_u32 v0, 0x84, v36, v1
	v_add3_u32 v126, v60, v1, 0x6e40
	v_add3_u32 v127, v1, v62, 0x6e40
	s_movk_i32 s4, 0x2100
	s_movk_i32 s5, 0x3180
	v_dual_lshlrev_b32 v158, 2, v59 :: v_dual_lshlrev_b32 v164, 2, v125
	v_mov_b64_e32 v[68:69], 0
	v_mov_b64_e32 v[62:63], 0
	;; [unrolled: 1-line block ×4, first 2 shown]
	s_clause 0x1
	scratch_store_b32 off, v0, off offset:24
	scratch_store_b64 off, v[4:5], off offset:136
	s_wait_xcnt 0x1
	v_mad_u32 v0, 0x84, v38, v1
	v_mov_b64_e32 v[70:71], 0
	v_mov_b64_e32 v[64:65], 0
	;; [unrolled: 1-line block ×10, first 2 shown]
	s_clause 0x1
	scratch_store_b32 off, v0, off offset:28
	scratch_store_b32 off, v19, off offset:220
	s_wait_xcnt 0x1
	v_mad_u32 v0, 0x84, v40, v1
	v_mov_b64_e32 v[74:75], 0
	v_and_b32_e32 v10, 0x7c, v1
	v_dual_lshlrev_b32 v137, 4, v24 :: v_dual_lshlrev_b32 v138, 4, v26
	v_dual_mov_b32 v17, v11 :: v_dual_lshlrev_b32 v157, 2, v1
	v_dual_lshlrev_b32 v159, 2, v7 :: v_dual_lshlrev_b32 v165, 2, v49
	v_mul_u32_u24_e32 v160, 0x84, v19
	v_mad_u32_u24 v161, 0x84, v19, s2
	scratch_store_b32 off, v0, off offset:32 ; 4-byte Folded Spill
	s_wait_xcnt 0x0
	v_mad_u32 v0, 0x84, v44, v1
	v_mad_u32_u24 v162, 0x84, v19, s4
	v_mad_u32_u24 v163, 0x84, v19, s5
	s_mov_b32 s2, s3
	scratch_store_b32 off, v0, off offset:36 ; 4-byte Folded Spill
	s_wait_xcnt 0x0
	v_add_min_i32_e64 v0, v9, 64, s1
	v_mad_u32 v9, 0x84, v42, v1
	scratch_store_b32 off, v18, off offset:44 ; 4-byte Folded Spill
	s_add_nc_u64 s[0:1], s[8:9], s[14:15]
	s_wait_xcnt 0x0
	v_mad_u32 v18, 0x84, v0, v1
	v_mul_lo_u32 v0, v0, s7
	scratch_store_b32 off, v9, off offset:60 ; 4-byte Folded Spill
	s_wait_xcnt 0x0
	v_mad_u32 v9, 0x84, v46, v1
	scratch_store_b32 off, v18, off offset:48 ; 4-byte Folded Spill
	s_wait_xcnt 0x0
	v_mad_u32 v18, 0x84, v2, v1
	scratch_store_b64 off, v[0:1], off offset:144 ; 8-byte Folded Spill
	s_wait_xcnt 0x0
	v_mul_lo_u32 v0, v2, s7
	scratch_store_b32 off, v9, off offset:64 ; 4-byte Folded Spill
	s_wait_xcnt 0x0
	v_mad_u32 v9, 0x84, v48, v1
	scratch_store_b32 off, v18, off offset:52 ; 4-byte Folded Spill
	s_wait_xcnt 0x0
	v_mad_u32 v18, 0x84, v5, v1
	scratch_store_b64 off, v[0:1], off offset:152 ; 8-byte Folded Spill
	s_wait_xcnt 0x0
	v_mul_lo_u32 v0, v5, s7
	scratch_store_b32 off, v9, off offset:68 ; 4-byte Folded Spill
	s_wait_xcnt 0x0
	v_mad_u32 v9, 0x84, v52, v1
	scratch_store_b32 off, v18, off offset:56 ; 4-byte Folded Spill
	s_wait_xcnt 0x0
	v_mul_lo_u32 v18, v3, s7
	scratch_store_b64 off, v[0:1], off offset:160 ; 8-byte Folded Spill
	s_wait_xcnt 0x0
	v_mul_lo_u32 v0, v42, s7
	scratch_store_b32 off, v9, off offset:72 ; 4-byte Folded Spill
	s_wait_xcnt 0x0
	v_mad_u32 v9, 0x84, v54, v1
	scratch_store_b64 off, v[18:19], off offset:80 ; 8-byte Folded Spill
	s_wait_xcnt 0x0
	v_mul_lo_u32 v18, v34, s7
	scratch_store_b64 off, v[0:1], off offset:168 ; 8-byte Folded Spill
	s_wait_xcnt 0x0
	v_mul_lo_u32 v0, v46, s7
	s_clause 0x1
	scratch_store_b32 off, v9, off offset:76
	scratch_store_b64 off, v[18:19], off offset:88
	s_wait_xcnt 0x0
	v_mul_lo_u32 v18, v36, s7
	scratch_store_b64 off, v[0:1], off offset:176 ; 8-byte Folded Spill
	s_wait_xcnt 0x0
	v_mul_lo_u32 v0, v48, s7
	scratch_store_b64 off, v[18:19], off offset:96 ; 8-byte Folded Spill
	;; [unrolled: 3-line block ×5, first 2 shown]
	s_wait_xcnt 0x0
	v_mul_lo_u32 v0, v54, s7
	v_mul_lo_u32 v54, v51, s7
	scratch_store_b64 off, v[18:19], off offset:112 ; 8-byte Folded Spill
	s_wait_xcnt 0x0
	v_mul_lo_u32 v18, v44, s7
	scratch_store_b64 off, v[0:1], off offset:200 ; 8-byte Folded Spill
	s_wait_xcnt 0x0
	v_mul_lo_u32 v0, v50, s7
	v_mov_b64_e32 v[50:51], 0
	s_clause 0x1
	scratch_store_b64 off, v[18:19], off offset:120
	scratch_store_b64 off, v[0:1], off offset:208
.LBB152_5:                              ; =>This Loop Header: Depth=1
                                        ;     Child Loop BB152_6 Depth 2
                                        ;     Child Loop BB152_8 Depth 2
	s_clause 0x2
	scratch_load_b64 v[4:5], off, off offset:80
	scratch_load_b64 v[6:7], off, off offset:88
	;; [unrolled: 1-line block ×3, first 2 shown]
	s_mul_u64 s[4:5], s[2:3], 0x90
	s_mov_b32 s9, 0
	s_add_nc_u64 s[4:5], s[0:1], s[4:5]
	s_wait_xcnt 0x3
	v_mad_nc_u64_u32 v[0:1], 0x90, v8, s[4:5]
	v_mad_nc_i64_i32 v[2:3], 0x90, v54, s[4:5]
	s_wait_loadcnt 0x2
	s_delay_alu instid0(VALU_DEP_2)
	v_mad_nc_i64_i32 v[4:5], 0x90, v4, v[0:1]
	s_wait_loadcnt 0x1
	v_mad_nc_i64_i32 v[6:7], 0x90, v6, v[0:1]
	s_wait_loadcnt 0x0
	v_mad_nc_i64_i32 v[88:89], 0x90, v18, v[0:1]
	scratch_load_b64 v[18:19], off, off offset:104 ; 8-byte Folded Reload
	v_add_nc_u64_e32 v[4:5], v[4:5], v[10:11]
	v_add_nc_u64_e32 v[6:7], v[6:7], v[10:11]
	;; [unrolled: 1-line block ×3, first 2 shown]
	s_wait_loadcnt 0x0
	v_mad_nc_i64_i32 v[90:91], 0x90, v18, v[0:1]
	scratch_load_b64 v[18:19], off, off offset:112 ; 8-byte Folded Reload
	v_add_nc_u64_e32 v[90:91], v[90:91], v[10:11]
	s_wait_loadcnt 0x0
	v_mad_nc_i64_i32 v[92:93], 0x90, v18, v[0:1]
	scratch_load_b64 v[18:19], off, off offset:120 ; 8-byte Folded Reload
	v_add_nc_u64_e32 v[92:93], v[92:93], v[10:11]
	;; [unrolled: 4-line block ×5, first 2 shown]
	s_wait_loadcnt 0x0
	v_mad_nc_i64_i32 v[100:101], 0x90, v18, v[0:1]
	scratch_load_b64 v[18:19], off, off offset:152 ; 8-byte Folded Reload
	s_wait_loadcnt 0x0
	v_mad_nc_i64_i32 v[102:103], 0x90, v18, v[0:1]
	scratch_load_b64 v[18:19], off, off offset:160 ; 8-byte Folded Reload
	;; [unrolled: 3-line block ×5, first 2 shown]
	s_clause 0x7
	global_load_b32 v104, v[4:5], off offset:16
	global_load_b32 v106, v[6:7], off offset:16
	;; [unrolled: 1-line block ×8, first 2 shown]
	s_wait_xcnt 0x6
	v_mad_nc_i64_i32 v[6:7], 0x90, v56, s[4:5]
	v_add_nc_u64_e32 v[4:5], v[100:101], v[10:11]
	v_add_nc_u64_e32 v[100:101], v[2:3], v[14:15]
	v_add_nc_u64_e32 v[2:3], v[2:3], v[16:17]
	s_wait_xcnt 0x4
	v_add_nc_u64_e32 v[90:91], v[116:117], v[10:11]
	s_wait_xcnt 0x2
	v_add_nc_u64_e32 v[94:95], v[118:119], v[10:11]
	v_add_nc_u64_e32 v[88:89], v[102:103], v[10:11]
	s_wait_xcnt 0x0
	v_add_nc_u64_e32 v[98:99], v[120:121], v[10:11]
	v_add_nc_u64_e32 v[116:117], v[6:7], v[14:15]
	v_add_nc_u64_e32 v[6:7], v[6:7], v[16:17]
	s_wait_loadcnt 0x8
	v_mad_nc_i64_i32 v[122:123], 0x90, v18, v[0:1]
	scratch_load_b64 v[18:19], off, off offset:192 ; 8-byte Folded Reload
	v_add_nc_u64_e32 v[102:103], v[122:123], v[10:11]
	s_wait_loadcnt 0x0
	v_mad_nc_i64_i32 v[92:93], 0x90, v18, v[0:1]
	scratch_load_b64 v[18:19], off, off offset:208 ; 8-byte Folded Reload
	v_add_nc_u64_e32 v[92:93], v[92:93], v[10:11]
	s_wait_loadcnt 0x0
	v_mad_nc_i64_i32 v[96:97], 0x90, v18, s[4:5]
	scratch_load_b64 v[18:19], off, off offset:200 ; 8-byte Folded Reload
	s_clause 0x4
	global_load_b32 v170, v[96:97], off
	global_load_b32 v171, v[100:101], off offset:4
	global_load_b32 v172, v[2:3], off offset:4
	;; [unrolled: 1-line block ×4, first 2 shown]
	scratch_load_b32 v3, off, off offset:4  ; 4-byte Folded Reload
	s_lshl_b32 s4, s2, 3
	s_mov_b32 s5, -1
	v_add_nc_u32_e32 v118, s4, v125
	s_wait_loadcnt 0x6
	v_mad_nc_i64_i32 v[0:1], 0x90, v18, v[0:1]
	s_wait_loadcnt 0x0
	s_delay_alu instid0(VALU_DEP_2)
	v_dual_add_nc_u32 v101, s4, v3 :: v_dual_add_nc_u32 v2, v118, v33
	s_wait_xcnt 0x1
	v_dual_add_nc_u32 v6, v118, v35 :: v_dual_add_nc_u32 v96, v118, v37
	v_dual_add_nc_u32 v100, v118, v39 :: v_dual_add_nc_u32 v119, v118, v41
	v_add_nc_u32_e32 v120, v118, v43
	v_mad_nc_i64_i32 v[2:3], v2, 36, v[12:13]
	s_delay_alu instid0(VALU_DEP_4)
	v_mad_nc_i64_i32 v[6:7], v6, 36, v[12:13]
	v_dual_add_nc_u32 v122, v118, v45 :: v_dual_add_nc_u32 v166, v118, v47
	v_mad_nc_i64_i32 v[96:97], v96, 36, v[12:13]
	v_mad_nc_i64_i32 v[116:117], v100, 36, v[12:13]
	v_mad_nc_i64_i32 v[118:119], v119, 36, v[12:13]
	v_mad_nc_i64_i32 v[120:121], v120, 36, v[12:13]
	v_mad_nc_i64_i32 v[122:123], v122, 36, v[12:13]
	v_add_nc_u64_e32 v[0:1], v[0:1], v[10:11]
	v_mad_nc_i64_i32 v[166:167], v166, 36, v[12:13]
	s_clause 0x7
	global_load_b32 v100, v[4:5], off offset:16
	global_load_b32 v175, v[88:89], off offset:16
	;; [unrolled: 1-line block ×8, first 2 shown]
	s_wait_xcnt 0x0
	v_mad_nc_u64_u32 v[0:1], v101, 36, s[10:11]
	s_clause 0x8
	global_load_b32 v4, v[2:3], off offset:4
	global_load_b32 v5, v[6:7], off offset:4
	;; [unrolled: 1-line block ×8, first 2 shown]
	global_load_b32 v94, v[0:1], off
	s_wait_xcnt 0x0
	v_dual_ashrrev_i32 v0, v27, v171 :: v_dual_ashrrev_i32 v1, v27, v173
	v_dual_ashrrev_i32 v2, v140, v172 :: v_dual_ashrrev_i32 v3, v140, v174
	s_delay_alu instid0(VALU_DEP_2) | instskip(NEXT) | instid1(VALU_DEP_3)
	v_and_b32_e32 v0, 0xf0f0f0f, v0
	v_and_b32_e32 v1, 0xf0f0f0f, v1
	s_delay_alu instid0(VALU_DEP_2)
	v_and_or_b32 v0, 0x30303030, v2, v0
	scratch_load_b32 v2, off, off offset:16 ; 4-byte Folded Reload
	v_and_or_b32 v1, 0x30303030, v3, v1
	s_wait_loadcnt 0x0
	ds_store_b32 v2, v104
	scratch_load_b32 v2, off, off offset:20 ; 4-byte Folded Reload
	s_wait_loadcnt 0x0
	ds_store_b32 v2, v106
	scratch_load_b32 v2, off, off offset:24 ; 4-byte Folded Reload
	;; [unrolled: 3-line block ×15, first 2 shown]
	s_wait_loadcnt 0x0
	ds_store_b32 v2, v181
	scratch_load_b32 v2, off, off           ; 4-byte Folded Reload
	s_wait_loadcnt 0x0
	ds_store_b32 v2, v170
	ds_store_b32 v57, v4
	;; [unrolled: 1-line block ×9, first 2 shown]
	scratch_load_b32 v2, off, off offset:8  ; 4-byte Folded Reload
	s_wait_loadcnt 0x0
	ds_store_b32 v2, v0
	scratch_load_b32 v0, off, off offset:12 ; 4-byte Folded Reload
	s_wait_loadcnt 0x0
	ds_store_b32 v0, v1
	ds_store_b32 v31, v94
	s_wait_storecnt_dscnt 0x0
	s_barrier_signal -1
	s_barrier_wait -1
	ds_load_b32 v0, v126
	ds_load_b32 v1, v127 offset:128
	ds_load_b32 v2, v128 offset:256
	;; [unrolled: 1-line block ×3, first 2 shown]
	s_wait_dscnt 0x3
	v_cvt_f32_f16_e32 v4, v0
	v_lshrrev_b32_e32 v0, 16, v0
	s_wait_dscnt 0x2
	v_cvt_f32_f16_e32 v6, v1
	v_lshrrev_b32_e32 v1, 16, v1
	s_wait_dscnt 0x1
	v_cvt_f32_f16_e32 v88, v2
	s_wait_dscnt 0x0
	v_dual_lshrrev_b32 v2, 16, v2 :: v_dual_lshrrev_b32 v5, 16, v3
	v_cvt_f32_f16_e32 v90, v3
	v_cvt_f32_f16_e32 v92, v0
	;; [unrolled: 1-line block ×3, first 2 shown]
	s_delay_alu instid0(VALU_DEP_4) | instskip(SKIP_4) | instid1(VALU_DEP_4)
	v_cvt_f32_f16_e32 v96, v2
	v_cvt_f32_f16_e32 v98, v5
	v_dual_mov_b32 v5, v4 :: v_dual_mov_b32 v7, v6
	v_dual_mov_b32 v89, v88 :: v_dual_mov_b32 v91, v90
	;; [unrolled: 1-line block ×4, first 2 shown]
.LBB152_6:                              ;   Parent Loop BB152_5 Depth=1
                                        ; =>  This Inner Loop Header: Depth=2
	s_lshl_b32 s8, s9, 1
	s_lshr_b32 s14, s9, 2
	v_or_b32_e32 v0, s8, v23
	s_lshl_b32 s9, s9, 2
	s_addk_co_i32 s14, 0x6200
	s_and_b32 vcc_lo, exec_lo, s5
	s_mov_b32 s5, 0
	v_dual_lshlrev_b32 v100, 2, v0 :: v_dual_lshrrev_b32 v102, 1, v0
	ds_load_b128 v[0:3], v100 offset:16896
	ds_load_b128 v[120:123], v100 offset:16912
	;; [unrolled: 1-line block ×4, first 2 shown]
	v_add3_u32 v100, s14, v164, v157
	v_add_nc_u32_e32 v104, s9, v160
	s_wait_dscnt 0x3
	s_set_vgpr_msb 64                       ;  msbs: dst=1 src0=0 src1=0 src2=0
	v_bfe_i32 v109 /*v365*/, v0, 0, 8
	v_bfe_i32 v113 /*v369*/, v0, 8, 8
	;; [unrolled: 1-line block ×3, first 2 shown]
	s_wait_dscnt 0x0
	s_set_vgpr_msb 0                        ;  msbs: dst=0 src0=0 src1=0 src2=0
	v_ashrrev_i32_e32 v112, 24, v173
	s_set_vgpr_msb 64                       ;  msbs: dst=1 src0=0 src1=0 src2=0
	v_dual_ashrrev_i32 v116 /*v372*/, 24, v0 :: v_dual_ashrrev_i32 v121 /*v377*/, 24, v2
	v_bfe_i32 v114 /*v370*/, v1, 0, 8
	v_bfe_i32 v115 /*v371*/, v1, 8, 8
	s_set_vgpr_msb 0                        ;  msbs: dst=0 src0=0 src1=0 src2=0
	v_bfe_i32 v119, v1, 16, 8
	v_ashrrev_i32_e32 v118, 24, v1
	ds_load_b64 v[0:1], v102 offset:27200
	s_set_vgpr_msb 64                       ;  msbs: dst=1 src0=0 src1=0 src2=0
	v_bfe_i32 v161 /*v417*/, v168, 0, 8
	v_bfe_i32 v162 /*v418*/, v168, 8, 8
	;; [unrolled: 1-line block ×3, first 2 shown]
	v_dual_ashrrev_i32 v178 /*v434*/, 24, v168 :: v_dual_ashrrev_i32 v177 /*v433*/, 24, v169
	v_bfe_i32 v164 /*v420*/, v169, 0, 8
	v_bfe_i32 v165 /*v421*/, v169, 8, 8
	;; [unrolled: 1-line block ×3, first 2 shown]
	s_set_vgpr_msb 0                        ;  msbs: dst=0 src0=0 src1=0 src2=0
	ds_load_2addr_b32 v[168:169], v104 offset0:4 offset1:5
	ds_load_2addr_b32 v[102:103], v104 offset1:1
	s_set_vgpr_msb 64                       ;  msbs: dst=1 src0=0 src1=0 src2=0
	v_bfe_i32 v167 /*v423*/, v170, 0, 8
	v_bfe_i32 v168 /*v424*/, v170, 8, 8
	;; [unrolled: 1-line block ×3, first 2 shown]
	v_dual_ashrrev_i32 v176 /*v432*/, 24, v170 :: v_dual_ashrrev_i32 v175 /*v431*/, 24, v171
	v_bfe_i32 v170 /*v426*/, v171, 0, 8
	v_bfe_i32 v171 /*v427*/, v171, 8, 8
	;; [unrolled: 1-line block ×3, first 2 shown]
	s_set_vgpr_msb 0                        ;  msbs: dst=0 src0=0 src1=0 src2=0
	ds_load_2addr_b32 v[170:171], v104 offset0:6 offset1:7
	s_set_vgpr_msb 64                       ;  msbs: dst=1 src0=0 src1=0 src2=0
	v_bfe_i32 v118 /*v374*/, v2, 0, 8
	v_bfe_i32 v119 /*v375*/, v2, 8, 8
	;; [unrolled: 1-line block ×5, first 2 shown]
	s_set_vgpr_msb 0                        ;  msbs: dst=0 src0=0 src1=0 src2=0
	v_bfe_i32 v117, v3, 16, 8
	v_dual_ashrrev_i32 v116, 24, v3 :: v_dual_ashrrev_i32 v3, 24, v121
	s_set_vgpr_msb 64                       ;  msbs: dst=1 src0=0 src1=0 src2=0
	v_bfe_i32 v126 /*v382*/, v120, 0, 8
	s_wait_dscnt 0x2
	v_bfe_u32 v4 /*v260*/, v169, 8, 4
	s_wait_dscnt 0x1
	s_set_vgpr_msb 0                        ;  msbs: dst=0 src0=0 src1=0 src2=0
	v_and_b32_e32 v202, 15, v102
	v_bfe_u32 v200, v102, 8, 4
	v_bfe_u32 v206, v102, 16, 4
	;; [unrolled: 1-line block ×3, first 2 shown]
	s_set_vgpr_msb 64                       ;  msbs: dst=1 src0=0 src1=0 src2=0
	v_dual_lshrrev_b32 v29 /*v285*/, 28, v102 :: v_dual_bitop2_b32 v9 /*v265*/, 15, v169 bitop3:0x40
	v_bfe_u32 v10 /*v266*/, v169, 24, 4
	v_bfe_u32 v13 /*v269*/, v169, 16, 4
	;; [unrolled: 1-line block ×3, first 2 shown]
	s_wait_dscnt 0x0
	v_bfe_u32 v15 /*v271*/, v170, 8, 4
	v_dual_lshrrev_b32 v38 /*v294*/, 28, v103 :: v_dual_bitop2_b32 v18 /*v274*/, 15, v170 bitop3:0x40
	v_bfe_u32 v19 /*v275*/, v170, 24, 4
	v_bfe_u32 v22 /*v278*/, v170, 16, 4
	;; [unrolled: 1-line block ×3, first 2 shown]
	v_and_b32_e32 v31 /*v287*/, 15, v171
	v_bfe_u32 v32 /*v288*/, v171, 24, 4
	v_bfe_u32 v35 /*v291*/, v171, 16, 4
	;; [unrolled: 1-line block ×3, first 2 shown]
	v_dual_lshrrev_b32 v61 /*v317*/, 28, v169 :: v_dual_lshrrev_b32 v70 /*v326*/, 28, v170
	v_bfe_u32 v64 /*v320*/, v169, 20, 4
	v_bfe_u32 v66 /*v322*/, v170, 4, 4
	;; [unrolled: 1-line block ×4, first 2 shown]
	s_set_vgpr_msb 0                        ;  msbs: dst=0 src0=0 src1=0 src2=0
	v_bfe_u32 v169, v171, 20, 4
	s_set_vgpr_msb 64                       ;  msbs: dst=1 src0=0 src1=0 src2=0
	v_bfe_u32 v78 /*v334*/, v171, 4, 4
	s_set_vgpr_msb 0                        ;  msbs: dst=0 src0=0 src1=0 src2=0
	v_bfe_u32 v170, v171, 12, 4
	v_lshrrev_b32_e32 v171, 28, v171
	s_set_vgpr_msb 4                        ;  msbs: dst=0 src0=0 src1=1 src2=0
	v_mul_i32_i24_e32 v106, v202, v109 /*v365*/
	v_mul_i32_i24_e32 v108, v206, v112 /*v368*/
	;; [unrolled: 1-line block ×3, first 2 shown]
	s_set_vgpr_msb 0                        ;  msbs: dst=0 src0=0 src1=0 src2=0
	v_and_b32_e32 v211, 15, v103
	v_bfe_u32 v214, v103, 8, 4
	s_set_vgpr_msb 4                        ;  msbs: dst=0 src0=0 src1=1 src2=0
	v_mad_i32_i24 v106, v200, v113 /*v369*/, v106
	v_bfe_u32 v216, v103, 16, 4
	v_bfe_u32 v220, v103, 24, 4
	s_set_vgpr_msb 64                       ;  msbs: dst=1 src0=0 src1=0 src2=0
	v_bfe_i32 v127 /*v383*/, v120, 8, 8
	v_bfe_i32 v128 /*v384*/, v120, 16, 8
	s_set_vgpr_msb 0                        ;  msbs: dst=0 src0=0 src1=0 src2=0
	v_add3_u32 v106, v106, v108, v110
	s_set_vgpr_msb 4                        ;  msbs: dst=0 src0=0 src1=1 src2=0
	v_mul_i32_i24_e32 v108, v211, v114 /*v370*/
	v_mul_i32_i24_e32 v110, v214, v115 /*v371*/
	s_set_vgpr_msb 64                       ;  msbs: dst=1 src0=0 src1=0 src2=0
	v_dual_ashrrev_i32 v129 /*v385*/, 24, v120 :: v_dual_ashrrev_i32 v137 /*v393*/, 24, v122
	v_bfe_i32 v131 /*v387*/, v121, 0, 8
	v_bfe_i32 v132 /*v388*/, v121, 8, 8
	s_set_vgpr_msb 0                        ;  msbs: dst=0 src0=0 src1=0 src2=0
	v_bfe_i32 v2, v121, 16, 8
	v_mul_i32_i24_e32 v120, v216, v119
	v_mul_i32_i24_e32 v121, v220, v118
	v_add3_u32 v106, v106, v110, v108
	s_set_vgpr_msb 64                       ;  msbs: dst=1 src0=0 src1=0 src2=0
	v_bfe_i32 v156 /*v412*/, v166, 0, 8
	v_bfe_i32 v155 /*v411*/, v166, 8, 8
	;; [unrolled: 1-line block ×3, first 2 shown]
	v_dual_ashrrev_i32 v180 /*v436*/, 24, v166 :: v_dual_ashrrev_i32 v179 /*v435*/, 24, v167
	s_set_vgpr_msb 0                        ;  msbs: dst=0 src0=0 src1=0 src2=0
	v_add3_u32 v106, v106, v120, v121
	ds_load_2addr_b32 v[120:121], v104 offset0:2 offset1:3
	s_set_vgpr_msb 64                       ;  msbs: dst=1 src0=0 src1=0 src2=0
	v_bfe_i32 v158 /*v414*/, v167, 0, 8
	v_bfe_i32 v159 /*v415*/, v167, 8, 8
	;; [unrolled: 1-line block ×3, first 2 shown]
	s_set_vgpr_msb 0                        ;  msbs: dst=0 src0=0 src1=0 src2=0
	v_and_b32_e32 v247, 15, v168
	v_bfe_u32 v251, v168, 8, 4
	v_bfe_u32 v253, v168, 16, 4
	s_set_vgpr_msb 64                       ;  msbs: dst=1 src0=0 src1=0 src2=0
	v_bfe_u32 v0 /*v256*/, v168, 24, 4
	v_bfe_i32 v138 /*v394*/, v122, 0, 8
	v_bfe_i32 v139 /*v395*/, v122, 8, 8
	;; [unrolled: 1-line block ×5, first 2 shown]
	s_set_vgpr_msb 5                        ;  msbs: dst=0 src0=1 src1=1 src2=0
	v_mul_i32_i24_e32 v104, v138 /*v394*/, v18 /*v274*/
	s_set_vgpr_msb 0                        ;  msbs: dst=0 src0=0 src1=0 src2=0
	v_bfe_i32 v114, v123, 16, 8
	s_set_vgpr_msb 64                       ;  msbs: dst=1 src0=0 src1=0 src2=0
	v_dual_ashrrev_i32 v108 /*v364*/, 24, v123 :: v_dual_lshrrev_b32 v152 /*v408*/, 16, v0
	v_bfe_u32 v24 /*v280*/, v102, 4, 4
	v_bfe_u32 v21 /*v277*/, v102, 20, 4
	;; [unrolled: 1-line block ×3, first 2 shown]
	s_wait_dscnt 0x0
	s_set_vgpr_msb 0                        ;  msbs: dst=0 src0=0 src1=0 src2=0
	v_and_b32_e32 v225, 15, v120
	v_bfe_u32 v227, v120, 8, 4
	v_bfe_u32 v228, v120, 16, 4
	;; [unrolled: 1-line block ×3, first 2 shown]
	v_and_b32_e32 v235, 15, v121
	s_set_vgpr_msb 4                        ;  msbs: dst=0 src0=0 src1=1 src2=0
	v_mul_i32_i24_e32 v108, v225, v118 /*v374*/
	v_mul_i32_i24_e32 v110, v227, v119 /*v375*/
	v_mul_i32_i24_e32 v166, v228, v120 /*v376*/
	v_mul_i32_i24_e32 v167, v230, v121 /*v377*/
	v_bfe_u32 v237, v121, 8, 4
	v_bfe_u32 v239, v121, 16, 4
	s_set_vgpr_msb 0                        ;  msbs: dst=0 src0=0 src1=0 src2=0
	v_add3_u32 v106, v106, v110, v108
	s_set_vgpr_msb 4                        ;  msbs: dst=0 src0=0 src1=1 src2=0
	v_mul_i32_i24_e32 v108, v235, v122 /*v378*/
	v_bfe_u32 v241, v121, 24, 4
	v_mul_i32_i24_e32 v110, v237, v123 /*v379*/
	s_set_vgpr_msb 64                       ;  msbs: dst=1 src0=0 src1=0 src2=0
	v_lshrrev_b32_e32 v45 /*v301*/, 28, v120
	s_set_vgpr_msb 0                        ;  msbs: dst=0 src0=0 src1=0 src2=0
	v_add3_u32 v106, v106, v166, v167
	v_mul_i32_i24_e32 v166, v239, v117
	v_mul_i32_i24_e32 v167, v241, v116
	s_set_vgpr_msb 5                        ;  msbs: dst=0 src0=1 src1=1 src2=0
	v_mul_i32_i24_e32 v102, v29 /*v285*/, v180 /*v436*/
	s_set_vgpr_msb 64                       ;  msbs: dst=1 src0=0 src1=0 src2=0
	v_bfe_u32 v34 /*v290*/, v103, 4, 4
	s_set_vgpr_msb 0                        ;  msbs: dst=0 src0=0 src1=0 src2=0
	v_add3_u32 v106, v106, v110, v108
	s_set_vgpr_msb 4                        ;  msbs: dst=0 src0=0 src1=1 src2=0
	v_mul_i32_i24_e32 v108, v247, v126 /*v382*/
	v_mul_i32_i24_e32 v110, v251, v127 /*v383*/
	s_set_vgpr_msb 64                       ;  msbs: dst=1 src0=0 src1=0 src2=0
	v_bfe_u32 v36 /*v292*/, v103, 12, 4
	v_bfe_u32 v27 /*v283*/, v103, 20, 4
	s_set_vgpr_msb 0                        ;  msbs: dst=0 src0=0 src1=0 src2=0
	v_add3_u32 v106, v106, v166, v167
	s_set_vgpr_msb 4                        ;  msbs: dst=0 src0=0 src1=1 src2=0
	v_mul_i32_i24_e32 v166, v253, v128 /*v384*/
	s_set_vgpr_msb 5                        ;  msbs: dst=0 src0=1 src1=1 src2=0
	v_mul_i32_i24_e32 v167, v0 /*v256*/, v129 /*v385*/
	v_mul_i32_i24_e32 v103, v38 /*v294*/, v179 /*v435*/
	s_set_vgpr_msb 64                       ;  msbs: dst=1 src0=0 src1=0 src2=0
	v_bfe_u32 v40 /*v296*/, v120, 4, 4
	s_set_vgpr_msb 0                        ;  msbs: dst=0 src0=0 src1=0 src2=0
	v_add3_u32 v106, v106, v110, v108
	s_set_vgpr_msb 5                        ;  msbs: dst=0 src0=1 src1=1 src2=0
	v_mul_i32_i24_e32 v108, v131 /*v387*/, v9 /*v265*/
	v_mul_i32_i24_e32 v110, v132 /*v388*/, v4 /*v260*/
	s_set_vgpr_msb 64                       ;  msbs: dst=1 src0=0 src1=0 src2=0
	v_bfe_u32 v42 /*v298*/, v120, 12, 4
	s_set_vgpr_msb 0                        ;  msbs: dst=0 src0=0 src1=0 src2=0
	v_bfe_i32 v122, v172, 0, 8
	v_add3_u32 v106, v106, v166, v167
	s_set_vgpr_msb 4                        ;  msbs: dst=0 src0=0 src1=1 src2=0
	v_mul_i32_i24_e32 v166, v3, v10 /*v266*/
	v_mul_i32_i24_e32 v167, v2, v13 /*v269*/
	v_bfe_i32 v123, v172, 8, 8
	s_set_vgpr_msb 64                       ;  msbs: dst=1 src0=0 src1=0 src2=0
	v_bfe_i32 v173 /*v429*/, v172, 16, 8
	s_set_vgpr_msb 0                        ;  msbs: dst=0 src0=0 src1=0 src2=0
	v_add3_u32 v106, v106, v110, v108
	s_set_vgpr_msb 5                        ;  msbs: dst=0 src0=1 src1=1 src2=0
	v_mul_i32_i24_e32 v108, v139 /*v395*/, v15 /*v271*/
	v_mul_i32_i24_e32 v110, v137 /*v393*/, v19 /*v275*/
	s_set_vgpr_msb 64                       ;  msbs: dst=1 src0=0 src1=0 src2=0
	v_dual_ashrrev_i32 v174 /*v430*/, 24, v172 :: v_dual_lshrrev_b32 v153 /*v409*/, 16, v1
	s_set_vgpr_msb 0                        ;  msbs: dst=0 src0=0 src1=0 src2=0
	v_add3_u32 v106, v106, v167, v166
	s_set_vgpr_msb 5                        ;  msbs: dst=0 src0=1 src1=1 src2=0
	v_mul_i32_i24_e32 v166, v136 /*v392*/, v22 /*v278*/
	s_set_vgpr_msb 64                       ;  msbs: dst=1 src0=0 src1=0 src2=0
	v_bfe_i32 v146 /*v402*/, v173, 0, 8
	v_bfe_i32 v107 /*v363*/, v173, 8, 8
	;; [unrolled: 1-line block ×3, first 2 shown]
	s_set_vgpr_msb 0                        ;  msbs: dst=0 src0=0 src1=0 src2=0
	v_add3_u32 v104, v106, v108, v104
	s_set_vgpr_msb 5                        ;  msbs: dst=0 src0=1 src1=1 src2=0
	v_mul_i32_i24_e32 v106, v134 /*v390*/, v31 /*v287*/
	v_mul_i32_i24_e32 v108, v135 /*v391*/, v26 /*v282*/
	s_set_vgpr_msb 64                       ;  msbs: dst=1 src0=0 src1=0 src2=0
	v_bfe_u32 v37 /*v293*/, v120, 20, 4
	s_set_vgpr_msb 5                        ;  msbs: dst=0 src0=1 src1=1 src2=0
	v_mul_i32_i24_e32 v172, v40 /*v296*/, v161 /*v417*/
	s_set_vgpr_msb 0                        ;  msbs: dst=0 src0=0 src1=0 src2=0
	v_add3_u32 v104, v104, v166, v110
	s_set_vgpr_msb 5                        ;  msbs: dst=0 src0=1 src1=1 src2=0
	v_mul_i32_i24_e32 v110, v108 /*v364*/, v32 /*v288*/
	s_set_vgpr_msb 4                        ;  msbs: dst=0 src0=0 src1=1 src2=0
	v_mul_i32_i24_e32 v166, v114, v35 /*v291*/
	s_set_vgpr_msb 5                        ;  msbs: dst=0 src0=1 src1=1 src2=0
	v_mul_i32_i24_e32 v173, v42 /*v298*/, v162 /*v418*/
	v_mul_i32_i24_e32 v174, v37 /*v293*/, v163 /*v419*/
	s_set_vgpr_msb 0                        ;  msbs: dst=0 src0=0 src1=0 src2=0
	v_add3_u32 v104, v104, v108, v106
	s_set_vgpr_msb 5                        ;  msbs: dst=0 src0=1 src1=1 src2=0
	v_mul_i32_i24_e32 v120, v45 /*v301*/, v178 /*v434*/
	s_set_vgpr_msb 64                       ;  msbs: dst=1 src0=0 src1=0 src2=0
	v_bfe_u32 v47 /*v303*/, v121, 4, 4
	v_bfe_u32 v49 /*v305*/, v121, 12, 4
	;; [unrolled: 1-line block ×3, first 2 shown]
	v_add3_u32 v154 /*v410*/, v104, v166, v110
	s_set_vgpr_msb 0                        ;  msbs: dst=0 src0=0 src1=0 src2=0
	ds_load_u16 v104, v100
	ds_load_u16 v106, v100 offset:8
	s_set_vgpr_msb 5                        ;  msbs: dst=0 src0=1 src1=1 src2=0
	v_mul_i32_i24_e32 v110, v21 /*v277*/, v157 /*v413*/
	v_mul_i32_i24_e32 v166, v27 /*v283*/, v160 /*v416*/
	;; [unrolled: 1-line block ×4, first 2 shown]
	s_set_vgpr_msb 64                       ;  msbs: dst=1 src0=0 src1=0 src2=0
	v_dual_lshrrev_b32 v51 /*v307*/, 28, v121 :: v_dual_lshrrev_b32 v57 /*v313*/, 28, v168
	s_set_vgpr_msb 5                        ;  msbs: dst=0 src0=1 src1=1 src2=0
	v_mul_i32_i24_e32 v177, v43 /*v299*/, v166 /*v422*/
	s_set_vgpr_msb 64                       ;  msbs: dst=1 src0=0 src1=0 src2=0
	v_bfe_u32 v54 /*v310*/, v168, 4, 4
	v_bfe_u32 v56 /*v312*/, v168, 12, 4
	s_set_vgpr_msb 5                        ;  msbs: dst=0 src0=1 src1=1 src2=0
	v_mul_i32_i24_e32 v121, v51 /*v307*/, v177 /*v433*/
	s_set_vgpr_msb 64                       ;  msbs: dst=1 src0=0 src1=0 src2=0
	v_bfe_u32 v50 /*v306*/, v168, 20, 4
	s_set_vgpr_msb 5                        ;  msbs: dst=0 src0=1 src1=1 src2=0
	v_mul_i32_i24_e32 v168, v57 /*v313*/, v176 /*v432*/
	v_mul_i32_i24_e32 v178, v54 /*v310*/, v167 /*v423*/
	;; [unrolled: 1-line block ×7, first 2 shown]
	s_wait_dscnt 0x1
	s_set_vgpr_msb 0                        ;  msbs: dst=0 src0=0 src1=0 src2=0
	v_lshrrev_b16 v108, 8, v104
	v_and_b32_e32 v167, 0xff, v104
	s_set_vgpr_msb 5                        ;  msbs: dst=0 src0=1 src1=1 src2=0
	v_mul_i32_i24_e32 v104, v24 /*v280*/, v156 /*v412*/
	v_mul_i32_i24_e32 v184, v172 /*v428*/, v64 /*v320*/
	s_set_vgpr_msb 4                        ;  msbs: dst=0 src0=0 src1=1 src2=0
	v_mul_i32_i24_e32 v185, v123, v67 /*v323*/
	v_mul_i32_i24_e32 v186, v122, v66 /*v322*/
	s_set_vgpr_msb 5                        ;  msbs: dst=0 src0=1 src1=1 src2=0
	v_mul_i32_i24_e32 v187, v174 /*v430*/, v70 /*v326*/
	v_mad_i32_i24 v104, v23 /*v279*/, v155 /*v411*/, v104
	v_mul_i32_i24_e32 v188, v173 /*v429*/, v74 /*v330*/
	v_mul_i32_i24_e32 v189, v78 /*v334*/, v146 /*v402*/
	s_set_vgpr_msb 4                        ;  msbs: dst=0 src0=0 src1=1 src2=0
	v_mul_i32_i24_e32 v190, v170, v107 /*v363*/
	s_wait_dscnt 0x0
	v_cvt_f32_ubyte0_e32 v100, v106
	s_set_vgpr_msb 0                        ;  msbs: dst=0 src0=0 src1=0 src2=0
	v_add3_u32 v102, v104, v110, v102
	s_set_vgpr_msb 5                        ;  msbs: dst=0 src0=1 src1=1 src2=0
	v_mul_i32_i24_e32 v104, v34 /*v290*/, v158 /*v414*/
	v_mul_i32_i24_e32 v110, v36 /*v292*/, v159 /*v415*/
	s_set_vgpr_msb 0x44                     ;  msbs: dst=1 src0=0 src1=1 src2=0
	v_mul_i32_i24_e32 v181 /*v437*/, v169, v148 /*v404*/
	s_set_vgpr_msb 64                       ;  msbs: dst=1 src0=0 src1=0 src2=0
	v_mul_i32_i24_e32 v182 /*v438*/, v171, v112
	s_set_vgpr_msb 0                        ;  msbs: dst=0 src0=0 src1=0 src2=0
	v_add3_u32 v102, v102, v104, v110
	v_add3_u32 v104, s14, v165, v137
	s_delay_alu instid0(VALU_DEP_2) | instskip(SKIP_1) | instid1(VALU_DEP_2)
	v_add3_u32 v102, v102, v166, v103
	v_and_b32_e32 v103, 0xffff, v108
	v_add3_u32 v102, v102, v172, v173
	s_delay_alu instid0(VALU_DEP_1) | instskip(NEXT) | instid1(VALU_DEP_1)
	v_add3_u32 v102, v102, v174, v120
	v_add3_u32 v102, v102, v175, v176
	s_delay_alu instid0(VALU_DEP_1) | instskip(NEXT) | instid1(VALU_DEP_1)
	v_add3_u32 v102, v102, v177, v121
	;; [unrolled: 3-line block ×4, first 2 shown]
	v_add3_u32 v102, v102, v186, v185
	s_delay_alu instid0(VALU_DEP_1) | instskip(SKIP_1) | instid1(VALU_DEP_1)
	v_add3_u32 v102, v102, v188, v187
	s_set_vgpr_msb 64                       ;  msbs: dst=1 src0=0 src1=0 src2=0
	v_add3_u32 v183 /*v439*/, v102, v189, v190
	s_set_vgpr_msb 0                        ;  msbs: dst=0 src0=0 src1=0 src2=0
	v_cvt_f32_ubyte1_e32 v102, v106
	v_add_nc_u32_e32 v106, s9, v161
	ds_load_2addr_b32 v[120:121], v106 offset1:1
	ds_load_2addr_b32 v[232:233], v106 offset0:2 offset1:3
	ds_load_2addr_b32 v[244:245], v106 offset0:4 offset1:5
	;; [unrolled: 1-line block ×3, first 2 shown]
	s_wait_dscnt 0x3
	v_and_b32_e32 v174, 15, v120
	v_bfe_u32 v173, v120, 8, 4
	v_bfe_u32 v175, v120, 16, 4
	;; [unrolled: 1-line block ×3, first 2 shown]
	s_wait_dscnt 0x2
	v_dual_lshrrev_b32 v226, 28, v232 :: v_dual_bitop2_b32 v177, 15, v121 bitop3:0x40
	s_wait_dscnt 0x0
	v_dual_lshrrev_b32 v252, 28, v254 :: v_dual_bitop2_b32 v181, 15, v232 bitop3:0x40
	v_bfe_u32 v182, v232, 8, 4
	v_bfe_u32 v183, v232, 16, 4
	v_bfe_u32 v184, v232, 24, 4
	v_dual_lshrrev_b32 v240, 28, v244 :: v_dual_bitop2_b32 v185, 15, v233 bitop3:0x40
	v_and_b32_e32 v189, 15, v244
	v_bfe_u32 v190, v244, 8, 4
	v_bfe_u32 v191, v244, 16, 4
	;; [unrolled: 1-line block ×9, first 2 shown]
	v_lshrrev_b32_e32 v244, 28, v245
	s_set_vgpr_msb 4                        ;  msbs: dst=0 src0=0 src1=1 src2=0
	v_mul_i32_i24_e32 v108, v174, v109 /*v365*/
	v_mul_i32_i24_e32 v110, v175, v112 /*v368*/
	v_mul_i32_i24_e32 v166, v176, v116 /*v372*/
	v_bfe_u32 v178, v121, 8, 4
	v_bfe_u32 v179, v121, 16, 4
	v_mad_i32_i24 v108, v173, v113 /*v369*/, v108
	v_bfe_u32 v180, v121, 24, 4
	v_bfe_u32 v186, v233, 8, 4
	;; [unrolled: 1-line block ×3, first 2 shown]
	s_set_vgpr_msb 0                        ;  msbs: dst=0 src0=0 src1=0 src2=0
	v_mul_i32_i24_e32 v168, v179, v119
	v_add3_u32 v108, v108, v110, v166
	s_set_vgpr_msb 4                        ;  msbs: dst=0 src0=0 src1=1 src2=0
	v_mul_i32_i24_e32 v110, v177, v114 /*v370*/
	v_mul_i32_i24_e32 v166, v178, v115 /*v371*/
	s_set_vgpr_msb 0                        ;  msbs: dst=0 src0=0 src1=0 src2=0
	v_mul_i32_i24_e32 v172, v180, v118
	v_bfe_u32 v188, v233, 24, 4
	v_bfe_u32 v193, v245, 8, 4
	v_and_b32_e32 v194, 15, v245
	v_add3_u32 v108, v108, v166, v110
	s_set_vgpr_msb 4                        ;  msbs: dst=0 src0=0 src1=1 src2=0
	v_mul_i32_i24_e32 v110, v181, v118 /*v374*/
	v_mul_i32_i24_e32 v166, v182, v119 /*v375*/
	v_bfe_u32 v195, v245, 24, 4
	v_bfe_u32 v196, v245, 16, 4
	s_set_vgpr_msb 0                        ;  msbs: dst=0 src0=0 src1=0 src2=0
	v_add3_u32 v108, v108, v168, v172
	s_set_vgpr_msb 4                        ;  msbs: dst=0 src0=0 src1=1 src2=0
	v_mul_i32_i24_e32 v168, v183, v120 /*v376*/
	v_mul_i32_i24_e32 v172, v184, v121 /*v377*/
	v_bfe_u32 v197, v254, 8, 4
	s_set_vgpr_msb 0                        ;  msbs: dst=0 src0=0 src1=0 src2=0
	v_and_b32_e32 v198, 15, v254
	v_add3_u32 v108, v108, v166, v110
	s_set_vgpr_msb 4                        ;  msbs: dst=0 src0=0 src1=1 src2=0
	v_mul_i32_i24_e32 v110, v185, v122 /*v378*/
	v_mul_i32_i24_e32 v166, v186, v123 /*v379*/
	v_bfe_u32 v199, v254, 24, 4
	s_set_vgpr_msb 1                        ;  msbs: dst=0 src0=1 src1=0 src2=0
	v_mul_i32_i24_e32 v106, v138 /*v394*/, v198
	s_set_vgpr_msb 0                        ;  msbs: dst=0 src0=0 src1=0 src2=0
	v_add3_u32 v108, v108, v168, v172
	v_mul_i32_i24_e32 v168, v187, v117
	v_mul_i32_i24_e32 v172, v188, v116
	v_bfe_u32 v203, v254, 16, 4
	v_bfe_u32 v207, v255, 8, 4
	v_add3_u32 v108, v108, v166, v110
	s_set_vgpr_msb 4                        ;  msbs: dst=0 src0=0 src1=1 src2=0
	v_mul_i32_i24_e32 v110, v189, v126 /*v382*/
	v_mul_i32_i24_e32 v166, v190, v127 /*v383*/
	s_set_vgpr_msb 0                        ;  msbs: dst=0 src0=0 src1=0 src2=0
	v_and_b32_e32 v212, 15, v255
	v_bfe_u32 v213, v255, 24, 4
	v_add3_u32 v108, v108, v168, v172
	s_set_vgpr_msb 4                        ;  msbs: dst=0 src0=0 src1=1 src2=0
	v_mul_i32_i24_e32 v168, v191, v128 /*v384*/
	v_mul_i32_i24_e32 v172, v192, v129 /*v385*/
	v_bfe_u32 v217, v255, 16, 4
	v_bfe_u32 v205, v120, 4, 4
	s_set_vgpr_msb 0                        ;  msbs: dst=0 src0=0 src1=0 src2=0
	v_add3_u32 v108, v108, v166, v110
	s_set_vgpr_msb 1                        ;  msbs: dst=0 src0=1 src1=0 src2=0
	v_mul_i32_i24_e32 v110, v131 /*v387*/, v194
	v_mul_i32_i24_e32 v166, v132 /*v388*/, v193
	s_set_vgpr_msb 0                        ;  msbs: dst=0 src0=0 src1=0 src2=0
	v_bfe_u32 v201, v120, 20, 4
	v_bfe_u32 v204, v120, 12, 4
	v_add3_u32 v108, v108, v168, v172
	v_mul_i32_i24_e32 v168, v3, v195
	v_mul_i32_i24_e32 v172, v2, v196
	v_lshrrev_b32_e32 v210, 28, v120
	v_bfe_u32 v215, v121, 4, 4
	v_add3_u32 v108, v108, v166, v110
	s_set_vgpr_msb 1                        ;  msbs: dst=0 src0=1 src1=0 src2=0
	v_mul_i32_i24_e32 v110, v139 /*v395*/, v197
	v_mul_i32_i24_e32 v166, v137 /*v393*/, v199
	s_set_vgpr_msb 4                        ;  msbs: dst=0 src0=0 src1=1 src2=0
	v_mul_i32_i24_e32 v120, v210, v180 /*v436*/
	v_bfe_u32 v218, v121, 12, 4
	s_set_vgpr_msb 0                        ;  msbs: dst=0 src0=0 src1=0 src2=0
	v_add3_u32 v108, v108, v172, v168
	s_set_vgpr_msb 1                        ;  msbs: dst=0 src0=1 src1=0 src2=0
	v_mul_i32_i24_e32 v168, v136 /*v392*/, v203
	s_set_vgpr_msb 0                        ;  msbs: dst=0 src0=0 src1=0 src2=0
	v_bfe_u32 v208, v121, 20, 4
	v_lshrrev_b32_e32 v221, 28, v121
	s_set_vgpr_msb 4                        ;  msbs: dst=0 src0=0 src1=1 src2=0
	v_mul_i32_i24_e32 v234, v222, v161 /*v417*/
	s_set_vgpr_msb 0                        ;  msbs: dst=0 src0=0 src1=0 src2=0
	v_add3_u32 v106, v108, v110, v106
	s_set_vgpr_msb 1                        ;  msbs: dst=0 src0=1 src1=0 src2=0
	v_mul_i32_i24_e32 v108, v134 /*v390*/, v212
	v_mul_i32_i24_e32 v110, v135 /*v391*/, v207
	s_set_vgpr_msb 4                        ;  msbs: dst=0 src0=0 src1=1 src2=0
	v_mul_i32_i24_e32 v121, v221, v179 /*v435*/
	v_mul_i32_i24_e32 v246, v223, v162 /*v418*/
	s_set_vgpr_msb 0                        ;  msbs: dst=0 src0=0 src1=0 src2=0
	v_add3_u32 v106, v106, v168, v166
	s_set_vgpr_msb 1                        ;  msbs: dst=0 src0=1 src1=0 src2=0
	v_mul_i32_i24_e32 v166, v108 /*v364*/, v213
	s_set_vgpr_msb 0                        ;  msbs: dst=0 src0=0 src1=0 src2=0
	v_mul_i32_i24_e32 v168, v114, v217
	s_set_vgpr_msb 4                        ;  msbs: dst=0 src0=0 src1=1 src2=0
	v_mul_i32_i24_e32 v250, v219, v163 /*v419*/
	s_set_vgpr_msb 0x44                     ;  msbs: dst=1 src0=0 src1=1 src2=0
	v_mul_i32_i24_e32 v2 /*v258*/, v226, v178 /*v434*/
	s_set_vgpr_msb 0                        ;  msbs: dst=0 src0=0 src1=0 src2=0
	v_add3_u32 v106, v106, v110, v108
	v_bfe_u32 v229, v233, 4, 4
	v_bfe_u32 v231, v233, 12, 4
	v_bfe_u32 v224, v233, 20, 4
	v_lshrrev_b32_e32 v233, 28, v233
	s_set_vgpr_msb 64                       ;  msbs: dst=1 src0=0 src1=0 src2=0
	v_add3_u32 v187 /*v443*/, v106, v168, v166
	s_set_vgpr_msb 4                        ;  msbs: dst=0 src0=0 src1=1 src2=0
	ds_load_u16 v106, v104
	ds_load_u16 v108, v104 offset:8
	v_mul_i32_i24_e32 v166, v201, v157 /*v413*/
	v_mul_i32_i24_e32 v168, v208, v160 /*v416*/
	s_set_vgpr_msb 0x44                     ;  msbs: dst=1 src0=0 src1=1 src2=0
	v_mul_i32_i24_e32 v3 /*v259*/, v229, v164 /*v420*/
	v_mul_i32_i24_e32 v6 /*v262*/, v231, v165 /*v421*/
	s_set_vgpr_msb 0                        ;  msbs: dst=0 src0=0 src1=0 src2=0
	v_bfe_u32 v248, v254, 4, 4
	v_bfe_u32 v249, v254, 12, 4
	s_set_vgpr_msb 64                       ;  msbs: dst=1 src0=0 src1=0 src2=0
	v_bfe_u32 v1 /*v257*/, v254, 20, 4
	s_set_vgpr_msb 0                        ;  msbs: dst=0 src0=0 src1=0 src2=0
	v_bfe_u32 v254, v255, 20, 4
	s_set_vgpr_msb 0x44                     ;  msbs: dst=1 src0=0 src1=1 src2=0
	v_bfe_u32 v5 /*v261*/, v255, 4, 4
	v_bfe_u32 v7 /*v263*/, v255, 12, 4
	v_mul_i32_i24_e32 v8 /*v264*/, v224, v166 /*v422*/
	v_mul_i32_i24_e32 v12 /*v268*/, v233, v177 /*v433*/
	;; [unrolled: 1-line block ×6, first 2 shown]
	s_set_vgpr_msb 0                        ;  msbs: dst=0 src0=0 src1=0 src2=0
	v_bfe_u32 v242, v245, 4, 4
	v_bfe_u32 v243, v245, 12, 4
	s_wait_dscnt 0x1
	v_lshrrev_b16 v110, 8, v106
	v_and_b32_e32 v172, 0xff, v106
	s_set_vgpr_msb 4                        ;  msbs: dst=0 src0=0 src1=1 src2=0
	v_mul_i32_i24_e32 v106, v205, v156 /*v412*/
	s_set_vgpr_msb 0x41                     ;  msbs: dst=1 src0=1 src1=0 src2=0
	v_mul_i32_i24_e32 v28 /*v284*/, v170 /*v426*/, v242
	v_mul_i32_i24_e32 v25 /*v281*/, v171 /*v427*/, v243
	s_set_vgpr_msb 0                        ;  msbs: dst=0 src0=0 src1=0 src2=0
	v_bfe_u32 v245, v245, 20, 4
	s_set_vgpr_msb 0x41                     ;  msbs: dst=1 src0=1 src1=0 src2=0
	v_mul_i32_i24_e32 v30 /*v286*/, v175 /*v431*/, v244
	s_set_vgpr_msb 4                        ;  msbs: dst=0 src0=0 src1=1 src2=0
	v_mad_i32_i24 v106, v204, v155 /*v411*/, v106
	s_set_vgpr_msb 64                       ;  msbs: dst=1 src0=0 src1=0 src2=0
	v_mul_i32_i24_e32 v39 /*v295*/, v123, v249
	v_mul_i32_i24_e32 v41 /*v297*/, v122, v248
	s_set_vgpr_msb 0x41                     ;  msbs: dst=1 src0=1 src1=0 src2=0
	v_mul_i32_i24_e32 v33 /*v289*/, v172 /*v428*/, v245
	v_mul_i32_i24_e32 v44 /*v300*/, v174 /*v430*/, v252
	s_set_vgpr_msb 0                        ;  msbs: dst=0 src0=0 src1=0 src2=0
	v_add3_u32 v106, v106, v166, v120
	s_set_vgpr_msb 4                        ;  msbs: dst=0 src0=0 src1=1 src2=0
	v_mul_i32_i24_e32 v120, v215, v158 /*v414*/
	v_mul_i32_i24_e32 v166, v218, v159 /*v415*/
	s_set_vgpr_msb 0x45                     ;  msbs: dst=1 src0=1 src1=1 src2=0
	v_mul_i32_i24_e32 v46 /*v302*/, v173 /*v429*/, v1 /*v257*/
	v_mul_i32_i24_e32 v48 /*v304*/, v5 /*v261*/, v146 /*v402*/
	;; [unrolled: 1-line block ×3, first 2 shown]
	s_set_vgpr_msb 0x44                     ;  msbs: dst=1 src0=0 src1=1 src2=0
	v_mul_i32_i24_e32 v184 /*v440*/, v254, v148 /*v404*/
	s_set_vgpr_msb 0                        ;  msbs: dst=0 src0=0 src1=0 src2=0
	v_add3_u32 v106, v106, v120, v166
	v_and_b32_e32 v166, 0xffff, v110
	v_add_nc_u32_e32 v110, s9, v162
	s_wait_dscnt 0x0
	v_cvt_f32_ubyte0_e32 v104, v108
	v_cvt_f32_ubyte1_e32 v108, v108
	v_add3_u32 v106, v106, v168, v121
	ds_load_2addr_b32 v[120:121], v110 offset1:1
	s_set_vgpr_msb 64                       ;  msbs: dst=1 src0=0 src1=0 src2=0
	ds_load_2addr_b32 v[90:91] /*v[346:347]*/, v110 offset0:2 offset1:3
	ds_load_2addr_b32 v[98:99] /*v[354:355]*/, v110 offset0:4 offset1:5
	;; [unrolled: 1-line block ×3, first 2 shown]
	s_set_vgpr_msb 0                        ;  msbs: dst=0 src0=0 src1=0 src2=0
	v_add3_u32 v106, v106, v234, v246
	s_set_vgpr_msb 64                       ;  msbs: dst=1 src0=0 src1=0 src2=0
	v_lshrrev_b32_e32 v11 /*v267*/, 28, v255
	s_set_vgpr_msb 16                       ;  msbs: dst=0 src0=0 src1=0 src2=1
	s_delay_alu instid0(VALU_DEP_2) | instskip(SKIP_1) | instid1(VALU_DEP_1)
	v_add3_u32 v106, v106, v250, v2 /*v258*/
	s_set_vgpr_msb 20                       ;  msbs: dst=0 src0=0 src1=1 src2=1
	v_add3_u32 v106, v106, v3 /*v259*/, v6 /*v262*/
	s_delay_alu instid0(VALU_DEP_1)
	v_add3_u32 v106, v106, v8 /*v264*/, v12 /*v268*/
	s_wait_dscnt 0x3
	s_set_vgpr_msb 0                        ;  msbs: dst=0 src0=0 src1=0 src2=0
	v_and_b32_e32 v250, 15, v120
	v_bfe_u32 v246, v120, 8, 4
	v_bfe_u32 v255, v120, 16, 4
	s_set_vgpr_msb 64                       ;  msbs: dst=1 src0=0 src1=0 src2=0
	v_bfe_u32 v2 /*v258*/, v120, 24, 4
	v_bfe_u32 v6 /*v262*/, v121, 8, 4
	s_set_vgpr_msb 20                       ;  msbs: dst=0 src0=0 src1=1 src2=1
	v_mul_i32_i24_e32 v168, v250, v109 /*v365*/
	v_add3_u32 v106, v106, v14 /*v270*/, v16 /*v272*/
	v_mul_i32_i24_e32 v234, v255, v112 /*v368*/
	s_set_vgpr_msb 0x45                     ;  msbs: dst=1 src0=1 src1=1 src2=0
	v_mul_i32_i24_e32 v3 /*v259*/, v2 /*v258*/, v116 /*v372*/
	v_mul_i32_i24_e32 v14 /*v270*/, v6 /*v262*/, v115 /*v371*/
	s_set_vgpr_msb 4                        ;  msbs: dst=0 src0=0 src1=1 src2=0
	v_mad_i32_i24 v168, v246, v113 /*v369*/, v168
	s_set_vgpr_msb 64                       ;  msbs: dst=1 src0=0 src1=0 src2=0
	v_bfe_u32 v8 /*v264*/, v121, 16, 4
	v_bfe_u32 v12 /*v268*/, v121, 24, 4
	s_set_vgpr_msb 20                       ;  msbs: dst=0 src0=0 src1=1 src2=1
	v_add3_u32 v106, v106, v17 /*v273*/, v20 /*v276*/
	s_wait_dscnt 0x2
	s_set_vgpr_msb 0x41                     ;  msbs: dst=1 src0=1 src1=0 src2=0
	v_bfe_u32 v20 /*v276*/, v90 /*v346*/, 24, 4
	s_set_vgpr_msb 16                       ;  msbs: dst=0 src0=0 src1=0 src2=1
	v_add3_u32 v168, v168, v234, v3 /*v259*/
	s_set_vgpr_msb 0x41                     ;  msbs: dst=1 src0=1 src1=0 src2=0
	v_and_b32_e32 v3 /*v259*/, 15, v121
	v_mul_i32_i24_e32 v16 /*v272*/, v8 /*v264*/, v119
	v_mul_i32_i24_e32 v17 /*v273*/, v12 /*v268*/, v118
	s_set_vgpr_msb 20                       ;  msbs: dst=0 src0=0 src1=1 src2=1
	v_add3_u32 v106, v106, v28 /*v284*/, v25 /*v281*/
	s_set_vgpr_msb 0x44                     ;  msbs: dst=1 src0=0 src1=1 src2=0
	v_lshrrev_b32_e32 v87 /*v343*/, 28, v90 /*v346*/
	s_set_vgpr_msb 5                        ;  msbs: dst=0 src0=1 src1=1 src2=0
	v_mul_i32_i24_e32 v234, v3 /*v259*/, v114 /*v370*/
	s_set_vgpr_msb 0x41                     ;  msbs: dst=1 src0=1 src1=0 src2=0
	v_bfe_u32 v86 /*v342*/, v91 /*v347*/, 20, 4
	v_bfe_u32 v88 /*v344*/, v91 /*v347*/, 4, 4
	s_set_vgpr_msb 20                       ;  msbs: dst=0 src0=0 src1=1 src2=1
	v_add3_u32 v106, v106, v33 /*v289*/, v30 /*v286*/
	s_set_vgpr_msb 0x45                     ;  msbs: dst=1 src0=1 src1=1 src2=0
	v_mul_i32_i24_e32 v30 /*v286*/, v20 /*v276*/, v121 /*v377*/
	s_set_vgpr_msb 4                        ;  msbs: dst=0 src0=0 src1=1 src2=0
	v_add3_u32 v168, v168, v14 /*v270*/, v234
	s_set_vgpr_msb 0x44                     ;  msbs: dst=1 src0=0 src1=1 src2=0
	v_and_b32_e32 v14 /*v270*/, 15, v90 /*v346*/
	s_set_vgpr_msb 0x41                     ;  msbs: dst=1 src0=1 src1=0 src2=0
	v_bfe_u32 v33 /*v289*/, v91 /*v347*/, 24, 4
	s_set_vgpr_msb 20                       ;  msbs: dst=0 src0=0 src1=1 src2=1
	v_add3_u32 v106, v106, v41 /*v297*/, v39 /*v295*/
	s_set_vgpr_msb 0x41                     ;  msbs: dst=1 src0=1 src1=0 src2=0
	v_bfe_u32 v89 /*v345*/, v91 /*v347*/, 12, 4
	s_set_vgpr_msb 20                       ;  msbs: dst=0 src0=0 src1=1 src2=1
	v_add3_u32 v168, v168, v16 /*v272*/, v17 /*v273*/
	s_set_vgpr_msb 0x41                     ;  msbs: dst=1 src0=1 src1=0 src2=0
	v_bfe_u32 v16 /*v272*/, v90 /*v346*/, 8, 4
	s_set_vgpr_msb 5                        ;  msbs: dst=0 src0=1 src1=1 src2=0
	v_mul_i32_i24_e32 v234, v14 /*v270*/, v118 /*v374*/
	s_set_vgpr_msb 0x41                     ;  msbs: dst=1 src0=1 src1=0 src2=0
	v_bfe_u32 v17 /*v273*/, v90 /*v346*/, 16, 4
	s_set_vgpr_msb 20                       ;  msbs: dst=0 src0=0 src1=1 src2=1
	v_add3_u32 v106, v106, v46 /*v302*/, v44 /*v300*/
	s_set_vgpr_msb 0x41                     ;  msbs: dst=1 src0=1 src1=0 src2=0
	v_mul_i32_i24_e32 v44 /*v300*/, v33 /*v289*/, v116
	s_set_vgpr_msb 0x45                     ;  msbs: dst=1 src0=1 src1=1 src2=0
	v_mul_i32_i24_e32 v25 /*v281*/, v16 /*v272*/, v119 /*v375*/
	s_wait_dscnt 0x1
	v_bfe_u32 v46 /*v302*/, v98 /*v354*/, 24, 4
	v_mul_i32_i24_e32 v28 /*v284*/, v17 /*v273*/, v120 /*v376*/
	s_set_vgpr_msb 0x54                     ;  msbs: dst=1 src0=0 src1=1 src2=1
	v_add3_u32 v186 /*v442*/, v106, v48 /*v304*/, v52 /*v308*/
	v_lshrrev_b32_e32 v94 /*v350*/, 28, v98 /*v354*/
	s_set_vgpr_msb 4                        ;  msbs: dst=0 src0=0 src1=1 src2=0
	v_add3_u32 v168, v168, v25 /*v281*/, v234
	s_set_vgpr_msb 0x45                     ;  msbs: dst=1 src0=1 src1=1 src2=0
	v_and_b32_e32 v25 /*v281*/, 15, v91 /*v347*/
	v_mul_i32_i24_e32 v53 /*v309*/, v46 /*v302*/, v129 /*v385*/
	v_bfe_u32 v55 /*v311*/, v99 /*v355*/, 16, 4
	v_lshrrev_b32_e32 v97 /*v353*/, 28, v99 /*v355*/
	s_set_vgpr_msb 20                       ;  msbs: dst=0 src0=0 src1=1 src2=1
	v_add3_u32 v168, v168, v28 /*v284*/, v30 /*v286*/
	s_set_vgpr_msb 0x41                     ;  msbs: dst=1 src0=1 src1=0 src2=0
	v_bfe_u32 v28 /*v284*/, v91 /*v347*/, 8, 4
	v_bfe_u32 v30 /*v286*/, v91 /*v347*/, 16, 4
	s_set_vgpr_msb 0x44                     ;  msbs: dst=1 src0=0 src1=1 src2=0
	v_lshrrev_b32_e32 v91 /*v347*/, 28, v91 /*v347*/
	s_set_vgpr_msb 5                        ;  msbs: dst=0 src0=1 src1=1 src2=0
	v_mul_i32_i24_e32 v234, v25 /*v281*/, v122 /*v378*/
	s_set_vgpr_msb 0x44                     ;  msbs: dst=1 src0=0 src1=1 src2=0
	v_mul_i32_i24_e32 v63 /*v319*/, v2, v55 /*v311*/
	s_set_vgpr_msb 0x45                     ;  msbs: dst=1 src0=1 src1=1 src2=0
	v_mul_i32_i24_e32 v39 /*v295*/, v28 /*v284*/, v123 /*v379*/
	s_set_vgpr_msb 0x41                     ;  msbs: dst=1 src0=1 src1=0 src2=0
	v_mul_i32_i24_e32 v41 /*v297*/, v30 /*v286*/, v117
	s_wait_dscnt 0x0
	v_bfe_u32 v68 /*v324*/, v110 /*v366*/, 16, 4
	s_set_vgpr_msb 0x44                     ;  msbs: dst=1 src0=0 src1=1 src2=0
	v_lshrrev_b32_e32 v101 /*v357*/, 28, v110 /*v366*/
	s_set_vgpr_msb 0x41                     ;  msbs: dst=1 src0=1 src1=0 src2=0
	v_bfe_u32 v72 /*v328*/, v111 /*v367*/, 8, 4
	s_set_vgpr_msb 4                        ;  msbs: dst=0 src0=0 src1=1 src2=0
	v_add3_u32 v168, v168, v39 /*v295*/, v234
	s_set_vgpr_msb 0x45                     ;  msbs: dst=1 src0=1 src1=1 src2=0
	v_and_b32_e32 v39 /*v295*/, 15, v98 /*v354*/
	v_mul_i32_i24_e32 v69 /*v325*/, v136 /*v392*/, v68 /*v324*/
	v_dual_lshrrev_b32 v106 /*v362*/, 28, v111 /*v367*/ :: v_dual_bitop2_b32 v76 /*v332*/, 15, v111 /*v367*/ bitop3:0x40
	s_set_vgpr_msb 20                       ;  msbs: dst=0 src0=0 src1=1 src2=1
	v_add3_u32 v168, v168, v41 /*v297*/, v44 /*v300*/
	s_set_vgpr_msb 0x41                     ;  msbs: dst=1 src0=1 src1=0 src2=0
	v_bfe_u32 v41 /*v297*/, v98 /*v354*/, 8, 4
	s_set_vgpr_msb 5                        ;  msbs: dst=0 src0=1 src1=1 src2=0
	v_mul_i32_i24_e32 v234, v39 /*v295*/, v126 /*v382*/
	s_set_vgpr_msb 0x45                     ;  msbs: dst=1 src0=1 src1=1 src2=0
	v_bfe_u32 v44 /*v300*/, v98 /*v354*/, 16, 4
	v_bfe_u32 v77 /*v333*/, v111 /*v367*/, 24, 4
	;; [unrolled: 1-line block ×3, first 2 shown]
	v_mul_i32_i24_e32 v48 /*v304*/, v41 /*v297*/, v127 /*v383*/
	s_set_vgpr_msb 0                        ;  msbs: dst=0 src0=0 src1=0 src2=0
	v_add3_u32 v106, s14, v158, v138
	s_set_vgpr_msb 0x45                     ;  msbs: dst=1 src0=1 src1=1 src2=0
	v_mul_i32_i24_e32 v52 /*v308*/, v44 /*v300*/, v128 /*v384*/
	s_set_vgpr_msb 64                       ;  msbs: dst=1 src0=0 src1=0 src2=0
	v_bfe_u32 v71 /*v327*/, v120, 4, 4
	v_dual_lshrrev_b32 v75 /*v331*/, 28, v120 :: v_dual_lshrrev_b32 v83 /*v339*/, 28, v121
	s_set_vgpr_msb 4                        ;  msbs: dst=0 src0=0 src1=1 src2=0
	v_add3_u32 v168, v168, v48 /*v304*/, v234
	s_set_vgpr_msb 0x41                     ;  msbs: dst=1 src0=1 src1=0 src2=0
	v_bfe_u32 v48 /*v304*/, v99 /*v355*/, 8, 4
	s_set_vgpr_msb 64                       ;  msbs: dst=1 src0=0 src1=0 src2=0
	v_bfe_u32 v79 /*v335*/, v121, 4, 4
	v_bfe_u32 v81 /*v337*/, v121, 12, 4
	s_set_vgpr_msb 0x41                     ;  msbs: dst=1 src0=1 src1=0 src2=0
	v_bfe_u32 v84 /*v340*/, v90 /*v346*/, 4, 4
	s_set_vgpr_msb 20                       ;  msbs: dst=0 src0=0 src1=1 src2=1
	v_add3_u32 v168, v168, v52 /*v308*/, v53 /*v309*/
	s_set_vgpr_msb 0x45                     ;  msbs: dst=1 src0=1 src1=1 src2=0
	v_and_b32_e32 v52 /*v308*/, 15, v99 /*v355*/
	v_mul_i32_i24_e32 v60 /*v316*/, v132 /*v388*/, v48 /*v304*/
	v_bfe_u32 v53 /*v309*/, v99 /*v355*/, 24, 4
	v_mul_i32_i24_e32 v124 /*v380*/, v81 /*v337*/, v159 /*v415*/
	v_bfe_u32 v85 /*v341*/, v90 /*v346*/, 12, 4
	s_set_vgpr_msb 5                        ;  msbs: dst=0 src0=1 src1=1 src2=0
	v_mul_i32_i24_e32 v234, v131 /*v387*/, v52 /*v308*/
	s_set_vgpr_msb 0x41                     ;  msbs: dst=1 src0=1 src1=0 src2=0
	v_bfe_u32 v82 /*v338*/, v90 /*v346*/, 20, 4
	s_set_vgpr_msb 0x44                     ;  msbs: dst=1 src0=0 src1=1 src2=0
	v_mul_i32_i24_e32 v62 /*v318*/, v3, v53 /*v309*/
	s_set_vgpr_msb 0x45                     ;  msbs: dst=1 src0=1 src1=1 src2=0
	v_mul_i32_i24_e32 v130 /*v386*/, v84 /*v340*/, v161 /*v417*/
	v_mul_i32_i24_e32 v133 /*v389*/, v85 /*v341*/, v162 /*v418*/
	s_set_vgpr_msb 4                        ;  msbs: dst=0 src0=0 src1=1 src2=0
	v_add3_u32 v168, v168, v60 /*v316*/, v234
	s_set_vgpr_msb 0x45                     ;  msbs: dst=1 src0=1 src1=1 src2=0
	v_bfe_u32 v60 /*v316*/, v110 /*v366*/, 8, 4
	v_mul_i32_i24_e32 v140 /*v396*/, v82 /*v338*/, v163 /*v419*/
	v_mul_i32_i24_e32 v141 /*v397*/, v87 /*v343*/, v178 /*v434*/
	;; [unrolled: 1-line block ×3, first 2 shown]
	s_set_vgpr_msb 20                       ;  msbs: dst=0 src0=0 src1=1 src2=1
	v_add3_u32 v168, v168, v63 /*v319*/, v62 /*v318*/
	s_set_vgpr_msb 0x44                     ;  msbs: dst=1 src0=0 src1=1 src2=0
	v_and_b32_e32 v62 /*v318*/, 15, v110 /*v366*/
	s_set_vgpr_msb 5                        ;  msbs: dst=0 src0=1 src1=1 src2=0
	v_mul_i32_i24_e32 v234, v139 /*v395*/, v60 /*v316*/
	s_set_vgpr_msb 0x45                     ;  msbs: dst=1 src0=1 src1=1 src2=0
	v_bfe_u32 v63 /*v319*/, v110 /*v366*/, 24, 4
	v_mul_i32_i24_e32 v143 /*v399*/, v89 /*v345*/, v165 /*v421*/
	v_mul_i32_i24_e32 v144 /*v400*/, v86 /*v342*/, v166 /*v422*/
	s_set_vgpr_msb 5                        ;  msbs: dst=0 src0=1 src1=1 src2=0
	v_mul_i32_i24_e32 v110, v138 /*v394*/, v62 /*v318*/
	s_set_vgpr_msb 0x45                     ;  msbs: dst=1 src0=1 src1=1 src2=0
	v_mul_i32_i24_e32 v145 /*v401*/, v91 /*v347*/, v177 /*v433*/
	v_mul_i32_i24_e32 v65 /*v321*/, v137 /*v393*/, v63 /*v319*/
	v_bfe_u32 v92 /*v348*/, v98 /*v354*/, 4, 4
	v_bfe_u32 v93 /*v349*/, v98 /*v354*/, 12, 4
	s_set_vgpr_msb 0                        ;  msbs: dst=0 src0=0 src1=0 src2=0
	v_add3_u32 v110, v168, v234, v110
	s_set_vgpr_msb 5                        ;  msbs: dst=0 src0=1 src1=1 src2=0
	v_mul_i32_i24_e32 v168, v134 /*v390*/, v76 /*v332*/
	v_mul_i32_i24_e32 v234, v135 /*v391*/, v72 /*v328*/
	s_set_vgpr_msb 0x45                     ;  msbs: dst=1 src0=1 src1=1 src2=0
	v_bfe_u32 v90 /*v346*/, v98 /*v354*/, 20, 4
	v_mul_i32_i24_e32 v147 /*v403*/, v92 /*v348*/, v167 /*v423*/
	s_set_vgpr_msb 20                       ;  msbs: dst=0 src0=0 src1=1 src2=1
	v_add3_u32 v110, v110, v69 /*v325*/, v65 /*v321*/
	s_set_vgpr_msb 0x45                     ;  msbs: dst=1 src0=1 src1=1 src2=0
	v_mul_i32_i24_e32 v65 /*v321*/, v108 /*v364*/, v77 /*v333*/
	s_set_vgpr_msb 0x44                     ;  msbs: dst=1 src0=0 src1=1 src2=0
	v_mul_i32_i24_e32 v69 /*v325*/, v114, v80 /*v336*/
	s_set_vgpr_msb 0x45                     ;  msbs: dst=1 src0=1 src1=1 src2=0
	v_mul_i32_i24_e32 v149 /*v405*/, v93 /*v349*/, v168 /*v424*/
	v_mul_i32_i24_e32 v150 /*v406*/, v90 /*v346*/, v169 /*v425*/
	s_set_vgpr_msb 0                        ;  msbs: dst=0 src0=0 src1=0 src2=0
	v_add3_u32 v110, v110, v234, v168
	s_set_vgpr_msb 0x45                     ;  msbs: dst=1 src0=1 src1=1 src2=0
	v_mul_i32_i24_e32 v151 /*v407*/, v94 /*v350*/, v176 /*v432*/
	v_bfe_u32 v95 /*v351*/, v99 /*v355*/, 4, 4
	v_bfe_u32 v96 /*v352*/, v99 /*v355*/, 12, 4
	;; [unrolled: 1-line block ×3, first 2 shown]
	s_set_vgpr_msb 0x54                     ;  msbs: dst=1 src0=0 src1=1 src2=1
	v_add3_u32 v191 /*v447*/, v110, v69 /*v325*/, v65 /*v321*/
	s_set_vgpr_msb 0                        ;  msbs: dst=0 src0=0 src1=0 src2=0
	ds_load_u16 v110, v106
	s_set_vgpr_msb 64                       ;  msbs: dst=1 src0=0 src1=0 src2=0
	ds_load_u16 v117 /*v373*/, v106 offset:8
	v_bfe_u32 v65 /*v321*/, v120, 20, 4
	v_bfe_u32 v69 /*v325*/, v120, 12, 4
	s_set_vgpr_msb 5                        ;  msbs: dst=0 src0=1 src1=1 src2=0
	v_mul_i32_i24_e32 v120, v75 /*v331*/, v180 /*v436*/
	s_set_vgpr_msb 0x45                     ;  msbs: dst=1 src0=1 src1=1 src2=0
	v_mul_i32_i24_e32 v190 /*v446*/, v171 /*v427*/, v96 /*v352*/
	v_mul_i32_i24_e32 v192 /*v448*/, v170 /*v426*/, v95 /*v351*/
	;; [unrolled: 1-line block ×5, first 2 shown]
	v_bfe_u32 v99 /*v355*/, v110 /*v366*/, 4, 4
	v_bfe_u32 v100 /*v356*/, v110 /*v366*/, 12, 4
	;; [unrolled: 1-line block ×3, first 2 shown]
	v_mul_i32_i24_e32 v110 /*v366*/, v174 /*v430*/, v101 /*v357*/
	v_bfe_u32 v104 /*v360*/, v111 /*v367*/, 4, 4
	s_set_vgpr_msb 0x44                     ;  msbs: dst=1 src0=0 src1=1 src2=0
	v_mul_i32_i24_e32 v196 /*v452*/, v122, v99 /*v355*/
	v_mul_i32_i24_e32 v195 /*v451*/, v123, v100 /*v356*/
	s_set_vgpr_msb 0x45                     ;  msbs: dst=1 src0=1 src1=1 src2=0
	v_mul_i32_i24_e32 v197 /*v453*/, v173 /*v429*/, v103 /*v359*/
	v_bfe_u32 v105 /*v361*/, v111 /*v367*/, 12, 4
	v_bfe_u32 v102 /*v358*/, v111 /*v367*/, 20, 4
	s_wait_dscnt 0x1
	s_set_vgpr_msb 0                        ;  msbs: dst=0 src0=0 src1=0 src2=0
	v_lshrrev_b16 v168, 8, v110
	v_and_b32_e32 v234, 0xff, v110
	s_set_vgpr_msb 5                        ;  msbs: dst=0 src0=1 src1=1 src2=0
	v_mul_i32_i24_e32 v110, v71 /*v327*/, v156 /*v412*/
	s_set_vgpr_msb 0x45                     ;  msbs: dst=1 src0=1 src1=1 src2=0
	v_mul_i32_i24_e32 v198 /*v454*/, v104 /*v360*/, v146 /*v402*/
	v_mul_i32_i24_e32 v199 /*v455*/, v105 /*v361*/, v107 /*v363*/
	s_wait_dscnt 0x0
	s_set_vgpr_msb 1                        ;  msbs: dst=0 src0=1 src1=0 src2=0
	v_cvt_f32_ubyte0_e32 v106, v117 /*v373*/
	s_set_vgpr_msb 0x45                     ;  msbs: dst=1 src0=1 src1=1 src2=0
	v_mul_i32_i24_e32 v188 /*v444*/, v102 /*v358*/, v148 /*v404*/
	s_set_vgpr_msb 5                        ;  msbs: dst=0 src0=1 src1=1 src2=0
	v_mad_i32_i24 v110, v69 /*v325*/, v155 /*v411*/, v110
	s_set_vgpr_msb 0x41                     ;  msbs: dst=1 src0=1 src1=0 src2=0
	v_mul_i32_i24_e32 v185 /*v441*/, v11 /*v267*/, v112
	v_mul_i32_i24_e32 v189 /*v445*/, v106 /*v362*/, v112
	s_set_vgpr_msb 0                        ;  msbs: dst=0 src0=0 src1=0 src2=0
	v_and_b32_e32 v168, 0xffff, v168
	s_set_vgpr_msb 4                        ;  msbs: dst=0 src0=0 src1=1 src2=0
	v_add3_u32 v110, v110, v73 /*v329*/, v120
	s_set_vgpr_msb 64                       ;  msbs: dst=1 src0=0 src1=0 src2=0
	v_bfe_u32 v73 /*v329*/, v121, 20, 4
	s_set_vgpr_msb 5                        ;  msbs: dst=0 src0=1 src1=1 src2=0
	v_mul_i32_i24_e32 v120, v79 /*v335*/, v158 /*v414*/
	v_mul_i32_i24_e32 v121, v83 /*v339*/, v179 /*v435*/
	s_set_vgpr_msb 0x45                     ;  msbs: dst=1 src0=1 src1=1 src2=0
	v_mul_i32_i24_e32 v125 /*v381*/, v73 /*v329*/, v160 /*v416*/
	s_set_vgpr_msb 16                       ;  msbs: dst=0 src0=0 src1=0 src2=1
	v_add3_u32 v110, v110, v120, v124 /*v380*/
	s_set_vgpr_msb 4                        ;  msbs: dst=0 src0=0 src1=1 src2=0
	s_delay_alu instid0(VALU_DEP_1) | instskip(SKIP_1) | instid1(VALU_DEP_1)
	v_add3_u32 v110, v110, v125 /*v381*/, v121
	s_set_vgpr_msb 20                       ;  msbs: dst=0 src0=0 src1=1 src2=1
	v_add3_u32 v110, v110, v130 /*v386*/, v133 /*v389*/
	s_set_vgpr_msb 64                       ;  msbs: dst=1 src0=0 src1=0 src2=0
	v_add_nc_u32_e32 v133 /*v389*/, s9, v163
	s_mov_b32 s9, 8
	s_set_vgpr_msb 20                       ;  msbs: dst=0 src0=0 src1=1 src2=1
	v_add3_u32 v110, v110, v140 /*v396*/, v141 /*v397*/
	s_set_vgpr_msb 1                        ;  msbs: dst=0 src0=1 src1=0 src2=0
	ds_load_2addr_b32 v[120:121], v133 /*v389*/ offset1:1
	s_set_vgpr_msb 64                       ;  msbs: dst=1 src0=0 src1=0 src2=0
	v_add3_u32 v140 /*v396*/, s14, v159, v139
	s_set_vgpr_msb 20                       ;  msbs: dst=0 src0=0 src1=1 src2=1
	v_add3_u32 v110, v110, v142 /*v398*/, v143 /*v399*/
	s_delay_alu instid0(VALU_DEP_1) | instskip(NEXT) | instid1(VALU_DEP_1)
	v_add3_u32 v110, v110, v144 /*v400*/, v145 /*v401*/
	v_add3_u32 v110, v110, v147 /*v403*/, v149 /*v405*/
	s_delay_alu instid0(VALU_DEP_1)
	v_add3_u32 v110, v110, v150 /*v406*/, v151 /*v407*/
	s_wait_dscnt 0x0
	s_set_vgpr_msb 64                       ;  msbs: dst=1 src0=0 src1=0 src2=0
	v_bfe_u32 v111 /*v367*/, v120, 16, 4
	s_set_vgpr_msb 20                       ;  msbs: dst=0 src0=0 src1=1 src2=1
	v_add3_u32 v110, v110, v192 /*v448*/, v190 /*v446*/
	s_set_vgpr_msb 0x45                     ;  msbs: dst=1 src0=1 src1=1 src2=0
	s_delay_alu instid0(VALU_DEP_2)
	v_mul_i32_i24_e32 v124 /*v380*/, v111 /*v367*/, v112 /*v368*/
	s_set_vgpr_msb 64                       ;  msbs: dst=1 src0=0 src1=0 src2=0
	v_bfe_u32 v112 /*v368*/, v120, 24, 4
	s_set_vgpr_msb 20                       ;  msbs: dst=0 src0=0 src1=1 src2=1
	v_add3_u32 v110, v110, v194 /*v450*/, v193 /*v449*/
	s_set_vgpr_msb 0x45                     ;  msbs: dst=1 src0=1 src1=1 src2=0
	s_delay_alu instid0(VALU_DEP_2) | instskip(SKIP_1) | instid1(VALU_DEP_2)
	v_mul_i32_i24_e32 v116 /*v372*/, v112 /*v368*/, v116 /*v372*/
	s_set_vgpr_msb 20                       ;  msbs: dst=0 src0=0 src1=1 src2=1
	v_add3_u32 v110, v110, v196 /*v452*/, v195 /*v451*/
	s_delay_alu instid0(VALU_DEP_1) | instskip(SKIP_3) | instid1(VALU_DEP_2)
	v_add3_u32 v110, v110, v197 /*v453*/, v110 /*v366*/
	s_set_vgpr_msb 64                       ;  msbs: dst=1 src0=0 src1=0 src2=0
	v_and_b32_e32 v110 /*v366*/, 15, v120
	s_set_vgpr_msb 0x54                     ;  msbs: dst=1 src0=0 src1=1 src2=1
	v_add3_u32 v190 /*v446*/, v110, v198 /*v454*/, v199 /*v455*/
	s_set_vgpr_msb 1                        ;  msbs: dst=0 src0=1 src1=0 src2=0
	v_cvt_f32_ubyte1_e32 v110, v117 /*v373*/
	s_set_vgpr_msb 0x45                     ;  msbs: dst=1 src0=1 src1=1 src2=0
	v_mul_i32_i24_e32 v117 /*v373*/, v110 /*v366*/, v109 /*v365*/
	s_set_vgpr_msb 64                       ;  msbs: dst=1 src0=0 src1=0 src2=0
	v_bfe_u32 v109 /*v365*/, v120, 8, 4
	s_set_vgpr_msb 0x55                     ;  msbs: dst=1 src0=1 src1=1 src2=1
	s_delay_alu instid0(VALU_DEP_1) | instskip(NEXT) | instid1(VALU_DEP_1)
	v_mad_i32_i24 v113 /*v369*/, v109 /*v365*/, v113 /*v369*/, v117 /*v373*/
	v_add3_u32 v117 /*v373*/, v113 /*v369*/, v124 /*v380*/, v116 /*v372*/
	s_set_vgpr_msb 64                       ;  msbs: dst=1 src0=0 src1=0 src2=0
	v_and_b32_e32 v113 /*v369*/, 15, v121
	v_bfe_u32 v116 /*v372*/, v121, 24, 4
	s_set_vgpr_msb 0x45                     ;  msbs: dst=1 src0=1 src1=1 src2=0
	s_delay_alu instid0(VALU_DEP_2)
	v_mul_i32_i24_e32 v124 /*v380*/, v113 /*v369*/, v114 /*v370*/
	s_set_vgpr_msb 64                       ;  msbs: dst=1 src0=0 src1=0 src2=0
	v_bfe_u32 v114 /*v370*/, v121, 8, 4
	s_set_vgpr_msb 1                        ;  msbs: dst=0 src0=1 src1=0 src2=0
	v_mul_i32_i24_e32 v118, v116 /*v372*/, v118
	s_set_vgpr_msb 0x45                     ;  msbs: dst=1 src0=1 src1=1 src2=0
	s_delay_alu instid0(VALU_DEP_2) | instskip(SKIP_3) | instid1(VALU_DEP_2)
	v_mul_i32_i24_e32 v125 /*v381*/, v114 /*v370*/, v115 /*v371*/
	s_set_vgpr_msb 64                       ;  msbs: dst=1 src0=0 src1=0 src2=0
	v_bfe_u32 v115 /*v371*/, v121, 16, 4
	s_set_vgpr_msb 0x55                     ;  msbs: dst=1 src0=1 src1=1 src2=1
	v_add3_u32 v117 /*v373*/, v117 /*v373*/, v125 /*v381*/, v124 /*v380*/
	s_set_vgpr_msb 1                        ;  msbs: dst=0 src0=1 src1=0 src2=0
	s_delay_alu instid0(VALU_DEP_2) | instskip(SKIP_1) | instid1(VALU_DEP_1)
	v_mul_i32_i24_e32 v119, v115 /*v371*/, v119
	s_set_vgpr_msb 0x41                     ;  msbs: dst=1 src0=1 src1=0 src2=0
	v_add3_u32 v124 /*v380*/, v117 /*v373*/, v119, v118
	s_set_vgpr_msb 1                        ;  msbs: dst=0 src0=1 src1=0 src2=0
	ds_load_2addr_b32 v[118:119], v133 /*v389*/ offset0:2 offset1:3
	s_wait_dscnt 0x0
	s_set_vgpr_msb 64                       ;  msbs: dst=1 src0=0 src1=0 src2=0
	v_and_b32_e32 v117 /*v373*/, 15, v118
	s_set_vgpr_msb 0x45                     ;  msbs: dst=1 src0=1 src1=1 src2=0
	s_delay_alu instid0(VALU_DEP_1) | instskip(SKIP_3) | instid1(VALU_DEP_1)
	v_mul_i32_i24_e32 v125 /*v381*/, v117 /*v373*/, v118 /*v374*/
	s_set_vgpr_msb 64                       ;  msbs: dst=1 src0=0 src1=0 src2=0
	v_bfe_u32 v118 /*v374*/, v118, 8, 4
	s_set_vgpr_msb 0x45                     ;  msbs: dst=1 src0=1 src1=1 src2=0
	v_mul_i32_i24_e32 v130 /*v386*/, v118 /*v374*/, v119 /*v375*/
	s_set_vgpr_msb 64                       ;  msbs: dst=1 src0=0 src1=0 src2=0
	v_bfe_u32 v119 /*v375*/, v118, 16, 4
	s_set_vgpr_msb 0x55                     ;  msbs: dst=1 src0=1 src1=1 src2=1
	s_delay_alu instid0(VALU_DEP_2) | instskip(NEXT) | instid1(VALU_DEP_2)
	v_add3_u32 v124 /*v380*/, v124 /*v380*/, v130 /*v386*/, v125 /*v381*/
	v_mul_i32_i24_e32 v141 /*v397*/, v119 /*v375*/, v120 /*v376*/
	s_set_vgpr_msb 64                       ;  msbs: dst=1 src0=0 src1=0 src2=0
	v_bfe_u32 v120 /*v376*/, v118, 24, 4
	s_set_vgpr_msb 0x55                     ;  msbs: dst=1 src0=1 src1=1 src2=1
	s_delay_alu instid0(VALU_DEP_1) | instskip(NEXT) | instid1(VALU_DEP_1)
	v_mul_i32_i24_e32 v121 /*v377*/, v120 /*v376*/, v121 /*v377*/
	v_add3_u32 v125 /*v381*/, v124 /*v380*/, v141 /*v397*/, v121 /*v377*/
	s_set_vgpr_msb 64                       ;  msbs: dst=1 src0=0 src1=0 src2=0
	v_and_b32_e32 v121 /*v377*/, 15, v119
	v_bfe_u32 v124 /*v380*/, v119, 24, 4
	s_set_vgpr_msb 0x45                     ;  msbs: dst=1 src0=1 src1=1 src2=0
	s_delay_alu instid0(VALU_DEP_2)
	v_mul_i32_i24_e32 v130 /*v386*/, v121 /*v377*/, v122 /*v378*/
	s_set_vgpr_msb 64                       ;  msbs: dst=1 src0=0 src1=0 src2=0
	v_bfe_u32 v122 /*v378*/, v119, 8, 4
	s_set_vgpr_msb 1                        ;  msbs: dst=0 src0=1 src1=0 src2=0
	v_mul_i32_i24_e32 v116, v124 /*v380*/, v116
	s_set_vgpr_msb 0x45                     ;  msbs: dst=1 src0=1 src1=1 src2=0
	s_delay_alu instid0(VALU_DEP_2) | instskip(SKIP_3) | instid1(VALU_DEP_2)
	v_mul_i32_i24_e32 v141 /*v397*/, v122 /*v378*/, v123 /*v379*/
	s_set_vgpr_msb 64                       ;  msbs: dst=1 src0=0 src1=0 src2=0
	v_bfe_u32 v123 /*v379*/, v119, 16, 4
	s_set_vgpr_msb 0x55                     ;  msbs: dst=1 src0=1 src1=1 src2=1
	v_add3_u32 v125 /*v381*/, v125 /*v381*/, v141 /*v397*/, v130 /*v386*/
	s_set_vgpr_msb 1                        ;  msbs: dst=0 src0=1 src1=0 src2=0
	s_delay_alu instid0(VALU_DEP_2) | instskip(SKIP_1) | instid1(VALU_DEP_1)
	v_mul_i32_i24_e32 v117, v123 /*v379*/, v117
	s_set_vgpr_msb 0x41                     ;  msbs: dst=1 src0=1 src1=0 src2=0
	v_add3_u32 v130 /*v386*/, v125 /*v381*/, v117, v116
	s_set_vgpr_msb 1                        ;  msbs: dst=0 src0=1 src1=0 src2=0
	ds_load_2addr_b32 v[116:117], v133 /*v389*/ offset0:4 offset1:5
	s_wait_dscnt 0x0
	s_set_vgpr_msb 64                       ;  msbs: dst=1 src0=0 src1=0 src2=0
	v_and_b32_e32 v125 /*v381*/, 15, v116
	s_set_vgpr_msb 0x45                     ;  msbs: dst=1 src0=1 src1=1 src2=0
	s_delay_alu instid0(VALU_DEP_1) | instskip(SKIP_3) | instid1(VALU_DEP_1)
	v_mul_i32_i24_e32 v141 /*v397*/, v125 /*v381*/, v126 /*v382*/
	s_set_vgpr_msb 64                       ;  msbs: dst=1 src0=0 src1=0 src2=0
	v_bfe_u32 v126 /*v382*/, v116, 8, 4
	s_set_vgpr_msb 0x45                     ;  msbs: dst=1 src0=1 src1=1 src2=0
	v_mul_i32_i24_e32 v142 /*v398*/, v126 /*v382*/, v127 /*v383*/
	s_set_vgpr_msb 64                       ;  msbs: dst=1 src0=0 src1=0 src2=0
	v_bfe_u32 v127 /*v383*/, v116, 16, 4
	s_set_vgpr_msb 0x55                     ;  msbs: dst=1 src0=1 src1=1 src2=1
	s_delay_alu instid0(VALU_DEP_2) | instskip(NEXT) | instid1(VALU_DEP_2)
	v_add3_u32 v130 /*v386*/, v130 /*v386*/, v142 /*v398*/, v141 /*v397*/
	v_mul_i32_i24_e32 v143 /*v399*/, v127 /*v383*/, v128 /*v384*/
	s_set_vgpr_msb 64                       ;  msbs: dst=1 src0=0 src1=0 src2=0
	v_bfe_u32 v128 /*v384*/, v116, 24, 4
	s_set_vgpr_msb 0x55                     ;  msbs: dst=1 src0=1 src1=1 src2=1
	s_delay_alu instid0(VALU_DEP_1) | instskip(NEXT) | instid1(VALU_DEP_1)
	v_mul_i32_i24_e32 v129 /*v385*/, v128 /*v384*/, v129 /*v385*/
	v_add3_u32 v141 /*v397*/, v130 /*v386*/, v143 /*v399*/, v129 /*v385*/
	s_set_vgpr_msb 64                       ;  msbs: dst=1 src0=0 src1=0 src2=0
	v_bfe_u32 v129 /*v385*/, v117, 8, 4
	v_and_b32_e32 v130 /*v386*/, 15, v117
	s_set_vgpr_msb 0x45                     ;  msbs: dst=1 src0=1 src1=1 src2=0
	s_delay_alu instid0(VALU_DEP_2) | instskip(NEXT) | instid1(VALU_DEP_2)
	v_mul_i32_i24_e32 v143 /*v399*/, v132 /*v388*/, v129 /*v385*/
	v_mul_i32_i24_e32 v142 /*v398*/, v131 /*v387*/, v130 /*v386*/
	s_set_vgpr_msb 64                       ;  msbs: dst=1 src0=0 src1=0 src2=0
	v_bfe_u32 v131 /*v387*/, v117, 24, 4
	v_bfe_u32 v132 /*v388*/, v117, 16, 4
	s_set_vgpr_msb 0x55                     ;  msbs: dst=1 src0=1 src1=1 src2=1
	v_add3_u32 v141 /*v397*/, v141 /*v397*/, v143 /*v399*/, v142 /*v398*/
	s_set_vgpr_msb 4                        ;  msbs: dst=0 src0=0 src1=1 src2=0
	v_mul_i32_i24_e32 v3, v3, v131 /*v387*/
	v_mul_i32_i24_e32 v2, v2, v132 /*v388*/
	s_set_vgpr_msb 0x41                     ;  msbs: dst=1 src0=1 src1=0 src2=0
	s_delay_alu instid0(VALU_DEP_1)
	v_add3_u32 v143 /*v399*/, v141 /*v397*/, v2, v3
	s_set_vgpr_msb 1                        ;  msbs: dst=0 src0=1 src1=0 src2=0
	ds_load_2addr_b32 v[2:3], v133 /*v389*/ offset0:6 offset1:7
	s_wait_dscnt 0x0
	s_set_vgpr_msb 64                       ;  msbs: dst=1 src0=0 src1=0 src2=0
	v_bfe_u32 v133 /*v389*/, v2, 8, 4
	v_and_b32_e32 v141 /*v397*/, 15, v2
	v_bfe_u32 v142 /*v398*/, v2, 24, 4
	v_bfe_u32 v144 /*v400*/, v2, 16, 4
	;; [unrolled: 1-line block ×3, first 2 shown]
	s_set_vgpr_msb 0x45                     ;  msbs: dst=1 src0=1 src1=1 src2=0
	v_mul_i32_i24_e32 v139 /*v395*/, v139 /*v395*/, v133 /*v389*/
	v_mul_i32_i24_e32 v138 /*v394*/, v138 /*v394*/, v141 /*v397*/
	;; [unrolled: 1-line block ×4, first 2 shown]
	s_set_vgpr_msb 64                       ;  msbs: dst=1 src0=0 src1=0 src2=0
	v_and_b32_e32 v149 /*v405*/, 15, v3
	s_set_vgpr_msb 0x55                     ;  msbs: dst=1 src0=1 src1=1 src2=1
	v_mul_i32_i24_e32 v135 /*v391*/, v135 /*v391*/, v147 /*v403*/
	v_add3_u32 v138 /*v394*/, v143 /*v399*/, v139 /*v395*/, v138 /*v394*/
	s_set_vgpr_msb 64                       ;  msbs: dst=1 src0=0 src1=0 src2=0
	v_bfe_u32 v150 /*v406*/, v3, 24, 4
	v_bfe_u32 v151 /*v407*/, v3, 16, 4
	s_set_vgpr_msb 0x45                     ;  msbs: dst=1 src0=1 src1=1 src2=0
	v_mul_i32_i24_e32 v134 /*v390*/, v134 /*v390*/, v149 /*v405*/
	s_set_vgpr_msb 64                       ;  msbs: dst=1 src0=0 src1=0 src2=0
	v_bfe_u32 v145 /*v401*/, v3, 4, 4
	s_set_vgpr_msb 0x55                     ;  msbs: dst=1 src0=1 src1=1 src2=1
	v_add3_u32 v136 /*v392*/, v138 /*v394*/, v136 /*v392*/, v137 /*v393*/
	v_mul_i32_i24_e32 v108 /*v364*/, v108 /*v364*/, v150 /*v406*/
	s_set_vgpr_msb 4                        ;  msbs: dst=0 src0=0 src1=1 src2=0
	v_mul_i32_i24_e32 v114, v114, v151 /*v407*/
	s_set_vgpr_msb 64                       ;  msbs: dst=1 src0=0 src1=0 src2=0
	v_lshrrev_b32_e32 v137 /*v393*/, 4, v119
	s_set_vgpr_msb 0x55                     ;  msbs: dst=1 src0=1 src1=1 src2=1
	v_mul_i32_i24_e32 v226 /*v482*/, v145 /*v401*/, v146 /*v402*/
	v_add3_u32 v134 /*v390*/, v136 /*v392*/, v135 /*v391*/, v134 /*v390*/
	s_set_vgpr_msb 64                       ;  msbs: dst=1 src0=0 src1=0 src2=0
	v_bfe_u32 v146 /*v402*/, v3, 12, 4
	v_dual_lshrrev_b32 v136 /*v392*/, 4, v118 :: v_dual_lshrrev_b32 v138 /*v394*/, 4, v116
	v_lshrrev_b32_e32 v135 /*v391*/, 4, v121
	s_set_vgpr_msb 0x51                     ;  msbs: dst=1 src0=1 src1=0 src2=1
	v_add3_u32 v218 /*v474*/, v134 /*v390*/, v114, v108 /*v364*/
	s_set_vgpr_msb 1                        ;  msbs: dst=0 src0=1 src1=0 src2=0
	ds_load_u16 v114, v140 /*v396*/
	s_set_vgpr_msb 0x41                     ;  msbs: dst=1 src0=1 src1=0 src2=0
	ds_load_u16 v192 /*v448*/, v140 /*v396*/ offset:8
	v_lshrrev_b32_e32 v140 /*v396*/, 4, v2
	s_set_vgpr_msb 0x45                     ;  msbs: dst=1 src0=1 src1=1 src2=0
	v_mul_i32_i24_e32 v227 /*v483*/, v146 /*v402*/, v107 /*v363*/
	s_set_vgpr_msb 64                       ;  msbs: dst=1 src0=0 src1=0 src2=0
	v_lshrrev_b32_e32 v134 /*v390*/, 4, v120
	s_set_vgpr_msb 0x44                     ;  msbs: dst=1 src0=0 src1=1 src2=0
	v_lshrrev_b16 v136 /*v392*/, 8, v136 /*v392*/
	v_lshrrev_b16 v137 /*v393*/, 8, v137 /*v393*/
	;; [unrolled: 1-line block ×6, first 2 shown]
	s_set_vgpr_msb 64                       ;  msbs: dst=1 src0=0 src1=0 src2=0
	v_lshrrev_b32_e32 v139 /*v395*/, 4, v117
	s_set_vgpr_msb 0x44                     ;  msbs: dst=1 src0=0 src1=1 src2=0
	v_and_b32_e32 v225 /*v481*/, 15, v140 /*v396*/
	v_bfe_u32 v140 /*v396*/, v3, 20, 4
	s_set_vgpr_msb 64                       ;  msbs: dst=1 src0=0 src1=0 src2=0
	v_lshrrev_b32_e32 v143 /*v399*/, 28, v120
	s_set_vgpr_msb 0x45                     ;  msbs: dst=1 src0=1 src1=1 src2=0
	v_lshrrev_b16 v139 /*v395*/, 8, v139 /*v395*/
	v_mul_i32_i24_e32 v228 /*v484*/, v140 /*v396*/, v148 /*v404*/
	s_set_vgpr_msb 64                       ;  msbs: dst=1 src0=0 src1=0 src2=0
	v_lshrrev_b32_e32 v148 /*v404*/, 28, v3
	s_set_vgpr_msb 0                        ;  msbs: dst=0 src0=0 src1=0 src2=0
	v_or_b32_e32 v3, s8, v130
	s_wait_dscnt 0x1
	s_set_vgpr_msb 64                       ;  msbs: dst=1 src0=0 src1=0 src2=0
	v_lshrrev_b16 v193 /*v449*/, 8, v114
	v_and_b32_e32 v108 /*v364*/, 0xff, v114
	s_wait_dscnt 0x0
	s_set_vgpr_msb 1                        ;  msbs: dst=0 src0=1 src1=0 src2=0
	v_cvt_f32_ubyte0_e32 v114, v192 /*v448*/
	s_set_vgpr_msb 0x41                     ;  msbs: dst=1 src0=1 src1=0 src2=0
	v_mul_i32_i24_e32 v229 /*v485*/, v148 /*v404*/, v112
	v_lshlrev_b32_e32 v204 /*v460*/, 2, v3
	s_set_vgpr_msb 0x44                     ;  msbs: dst=1 src0=0 src1=1 src2=0
	v_and_b32_e32 v107 /*v363*/, 0xffff, v193 /*v449*/
	s_set_vgpr_msb 1                        ;  msbs: dst=0 src0=1 src1=0 src2=0
	v_cvt_f32_ubyte1_e32 v112, v192 /*v448*/
	s_set_vgpr_msb 0x41                     ;  msbs: dst=1 src0=1 src1=0 src2=0
	ds_load_b128 v[192:195] /*v[448:451]*/, v204 /*v460*/ offset:16896
	ds_load_b128 v[196:199] /*v[452:455]*/, v204 /*v460*/ offset:16912
	;; [unrolled: 1-line block ×4, first 2 shown]
	s_set_vgpr_msb 0x44                     ;  msbs: dst=1 src0=0 src1=1 src2=0
	v_and_b32_e32 v221 /*v477*/, 15, v136 /*v392*/
	s_set_vgpr_msb 64                       ;  msbs: dst=1 src0=0 src1=0 src2=0
	v_lshrrev_b32_e32 v136 /*v392*/, 28, v119
	s_set_vgpr_msb 0x44                     ;  msbs: dst=1 src0=0 src1=1 src2=0
	v_and_b32_e32 v219 /*v475*/, 15, v134 /*v390*/
	v_and_b32_e32 v222 /*v478*/, 15, v137 /*v393*/
	s_set_vgpr_msb 64                       ;  msbs: dst=1 src0=0 src1=0 src2=0
	v_lshrrev_b32_e32 v137 /*v393*/, 28, v116
	s_set_vgpr_msb 0x44                     ;  msbs: dst=1 src0=0 src1=1 src2=0
	v_and_b32_e32 v223 /*v479*/, 15, v138 /*v394*/
	v_and_b32_e32 v220 /*v476*/, 15, v135 /*v391*/
	;; [unrolled: 1-line block ×3, first 2 shown]
	s_set_vgpr_msb 0                        ;  msbs: dst=0 src0=0 src1=0 src2=0
	v_lshrrev_b32_e32 v3, 1, v3
	s_set_vgpr_msb 0x41                     ;  msbs: dst=1 src0=1 src1=0 src2=0
	v_dual_lshrrev_b32 v134 /*v390*/, 28, v121 :: v_dual_lshrrev_b32 v135 /*v391*/, 28, v118
	v_dual_lshrrev_b32 v138 /*v394*/, 28, v117 :: v_dual_lshrrev_b32 v139 /*v395*/, 28, v2
	s_wait_dscnt 0x3
	v_bfe_i32 v230 /*v486*/, v192 /*v448*/, 0, 8
	v_bfe_i32 v231 /*v487*/, v192 /*v448*/, 8, 8
	;; [unrolled: 1-line block ×3, first 2 shown]
	s_set_vgpr_msb 0x44                     ;  msbs: dst=1 src0=0 src1=1 src2=0
	v_ashrrev_i32_e32 v233 /*v489*/, 24, v192 /*v448*/
	s_set_vgpr_msb 0x41                     ;  msbs: dst=1 src0=1 src1=0 src2=0
	v_bfe_i32 v238 /*v494*/, v194 /*v450*/, 0, 8
	v_bfe_i32 v239 /*v495*/, v194 /*v450*/, 8, 8
	;; [unrolled: 1-line block ×3, first 2 shown]
	s_set_vgpr_msb 0x44                     ;  msbs: dst=1 src0=0 src1=1 src2=0
	v_ashrrev_i32_e32 v241 /*v497*/, 24, v194 /*v450*/
	s_set_vgpr_msb 0x41                     ;  msbs: dst=1 src0=1 src1=0 src2=0
	v_mul_i32_i24_e32 v194 /*v450*/, v230 /*v486*/, v202
	v_bfe_i32 v234 /*v490*/, v193 /*v449*/, 0, 8
	v_bfe_i32 v235 /*v491*/, v193 /*v449*/, 8, 8
	;; [unrolled: 1-line block ×5, first 2 shown]
	s_set_vgpr_msb 0x44                     ;  msbs: dst=1 src0=0 src1=1 src2=0
	v_ashrrev_i32_e32 v245 /*v501*/, 24, v195 /*v451*/
	s_wait_dscnt 0x2
	s_set_vgpr_msb 0x41                     ;  msbs: dst=1 src0=1 src1=0 src2=0
	v_bfe_i32 v246 /*v502*/, v196 /*v452*/, 0, 8
	v_bfe_i32 v247 /*v503*/, v196 /*v452*/, 8, 8
	;; [unrolled: 1-line block ×3, first 2 shown]
	s_set_vgpr_msb 0x44                     ;  msbs: dst=1 src0=0 src1=1 src2=0
	v_ashrrev_i32_e32 v249 /*v505*/, 24, v196 /*v452*/
	s_set_vgpr_msb 0x51                     ;  msbs: dst=1 src0=1 src1=0 src2=1
	v_mul_i32_i24_e32 v195 /*v451*/, v232 /*v488*/, v206
	v_mul_i32_i24_e32 v196 /*v452*/, v233 /*v489*/, v209
	v_mad_i32_i24 v194 /*v450*/, v231 /*v487*/, v200, v194 /*v450*/
	v_bfe_i32 v236 /*v492*/, v193 /*v449*/, 16, 8
	s_set_vgpr_msb 0x44                     ;  msbs: dst=1 src0=0 src1=1 src2=0
	v_ashrrev_i32_e32 v237 /*v493*/, 24, v193 /*v449*/
	s_set_vgpr_msb 0x55                     ;  msbs: dst=1 src0=1 src1=1 src2=1
	v_bfe_i32 v250 /*v506*/, v197 /*v453*/, 0, 8
	v_bfe_i32 v251 /*v507*/, v197 /*v453*/, 8, 8
	v_add3_u32 v194 /*v450*/, v194 /*v450*/, v195 /*v451*/, v196 /*v452*/
	s_set_vgpr_msb 0x41                     ;  msbs: dst=1 src0=1 src1=0 src2=0
	v_mul_i32_i24_e32 v195 /*v451*/, v234 /*v490*/, v211
	v_mul_i32_i24_e32 v196 /*v452*/, v235 /*v491*/, v214
	v_bfe_i32 v252 /*v508*/, v197 /*v453*/, 16, 8
	s_set_vgpr_msb 0x44                     ;  msbs: dst=1 src0=0 src1=1 src2=0
	v_ashrrev_i32_e32 v253 /*v509*/, 24, v197 /*v453*/
	s_set_vgpr_msb 4                        ;  msbs: dst=0 src0=0 src1=1 src2=0
	v_dual_ashrrev_i32 v21, 24, v198 /*v454*/ :: v_dual_ashrrev_i32 v53, 24, v199 /*v455*/
	s_set_vgpr_msb 1                        ;  msbs: dst=0 src0=1 src1=0 src2=0
	v_bfe_i32 v9, v199 /*v455*/, 0, 8
	v_bfe_i32 v25, v199 /*v455*/, 8, 8
	;; [unrolled: 1-line block ×3, first 2 shown]
	s_set_vgpr_msb 0x41                     ;  msbs: dst=1 src0=1 src1=0 src2=0
	v_mul_i32_i24_e32 v197 /*v453*/, v236 /*v492*/, v216
	v_mul_i32_i24_e32 v199 /*v455*/, v237 /*v493*/, v220
	s_set_vgpr_msb 0x55                     ;  msbs: dst=1 src0=1 src1=1 src2=1
	v_add3_u32 v194 /*v450*/, v194 /*v450*/, v195 /*v451*/, v196 /*v452*/
	s_set_vgpr_msb 0x41                     ;  msbs: dst=1 src0=1 src1=0 src2=0
	v_mul_i32_i24_e32 v208 /*v464*/, v238 /*v494*/, v225
	v_mul_i32_i24_e32 v209 /*v465*/, v239 /*v495*/, v227
	v_mul_i32_i24_e32 v210 /*v466*/, v240 /*v496*/, v228
	v_mul_i32_i24_e32 v211 /*v467*/, v241 /*v497*/, v230
	s_set_vgpr_msb 0x55                     ;  msbs: dst=1 src0=1 src1=1 src2=1
	v_add3_u32 v194 /*v450*/, v194 /*v450*/, v197 /*v453*/, v199 /*v455*/
	s_set_vgpr_msb 0x41                     ;  msbs: dst=1 src0=1 src1=0 src2=0
	v_mul_i32_i24_e32 v212 /*v468*/, v242 /*v498*/, v235
	v_mul_i32_i24_e32 v213 /*v469*/, v243 /*v499*/, v237
	;; [unrolled: 7-line block ×3, first 2 shown]
	s_set_vgpr_msb 1                        ;  msbs: dst=0 src0=1 src1=0 src2=0
	v_mul_i32_i24_e32 v146, v248 /*v504*/, v253
	s_set_vgpr_msb 5                        ;  msbs: dst=0 src0=1 src1=1 src2=0
	v_mul_i32_i24_e32 v147, v249 /*v505*/, v0 /*v256*/
	s_set_vgpr_msb 0x55                     ;  msbs: dst=1 src0=1 src1=1 src2=1
	v_add3_u32 v194 /*v450*/, v194 /*v450*/, v210 /*v466*/, v211 /*v467*/
	s_set_vgpr_msb 5                        ;  msbs: dst=0 src0=1 src1=1 src2=0
	v_mul_i32_i24_e32 v148, v9 /*v265*/, v250 /*v506*/
	v_mul_i32_i24_e32 v149, v4 /*v260*/, v251 /*v507*/
	s_set_vgpr_msb 0x55                     ;  msbs: dst=1 src0=1 src1=1 src2=1
	v_bfe_i32 v254 /*v510*/, v198 /*v454*/, 0, 8
	v_bfe_i32 v255 /*v511*/, v198 /*v454*/, 8, 8
	v_add3_u32 v194 /*v450*/, v194 /*v450*/, v212 /*v468*/, v213 /*v469*/
	s_set_vgpr_msb 64                       ;  msbs: dst=1 src0=0 src1=0 src2=0
	ds_load_b64 v[192:193] /*v[448:449]*/, v3 offset:27200
	s_set_vgpr_msb 5                        ;  msbs: dst=0 src0=1 src1=1 src2=0
	v_mul_i32_i24_e32 v150, v13 /*v269*/, v252 /*v508*/
	v_mul_i32_i24_e32 v151, v10 /*v266*/, v253 /*v509*/
	v_bfe_i32 v19, v198 /*v454*/, 16, 8
	s_set_vgpr_msb 0x55                     ;  msbs: dst=1 src0=1 src1=1 src2=1
	v_add3_u32 v194 /*v450*/, v194 /*v450*/, v214 /*v470*/, v215 /*v471*/
	s_set_vgpr_msb 5                        ;  msbs: dst=0 src0=1 src1=1 src2=0
	v_mul_i32_i24_e32 v152, v18 /*v274*/, v254 /*v510*/
	v_mul_i32_i24_e32 v153, v15 /*v271*/, v255 /*v511*/
	s_set_vgpr_msb 1                        ;  msbs: dst=0 src0=1 src1=0 src2=0
	v_mul_i32_i24_e32 v155, v19 /*v275*/, v21
	v_mul_i32_i24_e32 v154, v22 /*v278*/, v19
	s_set_vgpr_msb 0x55                     ;  msbs: dst=1 src0=1 src1=1 src2=1
	v_add3_u32 v194 /*v450*/, v194 /*v450*/, v216 /*v472*/, v217 /*v473*/
	s_set_vgpr_msb 1                        ;  msbs: dst=0 src0=1 src1=0 src2=0
	v_mul_i32_i24_e32 v156, v31 /*v287*/, v9
	v_mul_i32_i24_e32 v18, v26 /*v282*/, v25
	;; [unrolled: 1-line block ×4, first 2 shown]
	v_add3_u32 v146, v194 /*v450*/, v146, v147
	s_set_vgpr_msb 0x41                     ;  msbs: dst=1 src0=1 src1=0 src2=0
	v_cvt_f32_f16_e64 v196 /*v452*/, v152 /*v408*/
	s_set_vgpr_msb 64                       ;  msbs: dst=1 src0=0 src1=0 src2=0
	v_cvt_f32_f16_e64 v194 /*v450*/, v0
	s_set_vgpr_msb 1                        ;  msbs: dst=0 src0=1 src1=0 src2=0
	v_cvt_f32_f16_e64 v0, v153 /*v409*/
	s_set_vgpr_msb 0x41                     ;  msbs: dst=1 src0=1 src1=0 src2=0
	v_mul_i32_i24_e32 v210 /*v466*/, v247 /*v503*/, v190
	s_set_vgpr_msb 0                        ;  msbs: dst=0 src0=0 src1=0 src2=0
	v_add3_u32 v146, v146, v148, v149
	s_wait_dscnt 0x0
	s_set_vgpr_msb 4                        ;  msbs: dst=0 src0=0 src1=1 src2=0
	v_lshrrev_b32_e32 v3, 16, v192 /*v448*/
	s_set_vgpr_msb 1                        ;  msbs: dst=0 src0=1 src1=0 src2=0
	v_mul_i32_i24_e32 v148, v233 /*v489*/, v176
	v_mul_i32_i24_e32 v149, v236 /*v492*/, v179
	s_set_vgpr_msb 0x44                     ;  msbs: dst=1 src0=0 src1=1 src2=0
	v_lshrrev_b32_e32 v198 /*v454*/, 16, v193 /*v449*/
	s_set_vgpr_msb 0                        ;  msbs: dst=0 src0=0 src1=0 src2=0
	v_add3_u32 v146, v146, v150, v151
	s_set_vgpr_msb 64                       ;  msbs: dst=1 src0=0 src1=0 src2=0
	v_cvt_f32_f16_e64 v197 /*v453*/, v3
	s_set_vgpr_msb 1                        ;  msbs: dst=0 src0=1 src1=0 src2=0
	v_mul_lo_u32 v3, v154 /*v410*/, v167
	v_mul_i32_i24_e32 v150, v237 /*v493*/, v180
	s_set_vgpr_msb 0x41                     ;  msbs: dst=1 src0=1 src1=0 src2=0
	v_cvt_f32_f16_e64 v195 /*v451*/, v192 /*v448*/
	s_set_vgpr_msb 0                        ;  msbs: dst=0 src0=0 src1=0 src2=0
	v_add3_u32 v146, v146, v152, v153
	s_set_vgpr_msb 1                        ;  msbs: dst=0 src0=1 src1=0 src2=0
	v_mul_i32_i24_e32 v151, v238 /*v494*/, v181
	v_mul_i32_i24_e32 v152, v239 /*v495*/, v182
	s_set_vgpr_msb 64                       ;  msbs: dst=1 src0=0 src1=0 src2=0
	v_cvt_f32_f16_e64 v192 /*v448*/, v1
	s_set_vgpr_msb 1                        ;  msbs: dst=0 src0=1 src1=0 src2=0
	v_cvt_f32_f16_e64 v1, v198 /*v454*/
	s_set_vgpr_msb 0                        ;  msbs: dst=0 src0=0 src1=0 src2=0
	v_add3_u32 v146, v146, v154, v155
	s_set_vgpr_msb 1                        ;  msbs: dst=0 src0=1 src1=0 src2=0
	v_mul_i32_i24_e32 v153, v240 /*v496*/, v183
	v_mul_i32_i24_e32 v154, v241 /*v497*/, v184
	s_set_vgpr_msb 64                       ;  msbs: dst=1 src0=0 src1=0 src2=0
	v_cvt_f32_i32_e32 v152 /*v408*/, v3
	s_set_vgpr_msb 1                        ;  msbs: dst=0 src0=1 src1=0 src2=0
	v_mul_i32_i24_e32 v3, v230 /*v486*/, v174
	s_set_vgpr_msb 0                        ;  msbs: dst=0 src0=0 src1=0 src2=0
	v_add3_u32 v18, v146, v156, v18
	s_set_vgpr_msb 1                        ;  msbs: dst=0 src0=1 src1=0 src2=0
	v_mul_i32_i24_e32 v155, v242 /*v498*/, v185
	v_mul_i32_i24_e32 v156, v243 /*v499*/, v186
	s_set_vgpr_msb 0x41                     ;  msbs: dst=1 src0=1 src1=0 src2=0
	v_mul_i32_i24_e32 v154 /*v410*/, v246 /*v502*/, v189
	s_set_vgpr_msb 1                        ;  msbs: dst=0 src0=1 src1=0 src2=0
	v_mad_i32_i24 v3, v231 /*v487*/, v173, v3
	s_set_vgpr_msb 0                        ;  msbs: dst=0 src0=0 src1=0 src2=0
	v_add3_u32 v18, v18, v20, v22
	s_set_vgpr_msb 0x41                     ;  msbs: dst=1 src0=1 src1=0 src2=0
	v_mul_i32_i24_e32 v211 /*v467*/, v248 /*v504*/, v191
	v_mul_i32_i24_e32 v212 /*v468*/, v249 /*v505*/, v192
	s_set_vgpr_msb 0x44                     ;  msbs: dst=1 src0=0 src1=1 src2=0
	v_mul_i32_i24_e32 v213 /*v469*/, v194, v250 /*v506*/
	v_mul_i32_i24_e32 v214 /*v470*/, v193, v251 /*v507*/
	s_set_vgpr_msb 0                        ;  msbs: dst=0 src0=0 src1=0 src2=0
	v_mul_lo_u32 v18, v18, v167
	s_set_vgpr_msb 0x44                     ;  msbs: dst=1 src0=0 src1=1 src2=0
	v_mul_i32_i24_e32 v215 /*v471*/, v196, v252 /*v508*/
	v_mul_i32_i24_e32 v216 /*v472*/, v195, v253 /*v509*/
	;; [unrolled: 1-line block ×3, first 2 shown]
	s_set_vgpr_msb 4                        ;  msbs: dst=0 src0=0 src1=1 src2=0
	v_mul_i32_i24_e32 v24, v197, v255 /*v511*/
	s_set_vgpr_msb 0                        ;  msbs: dst=0 src0=0 src1=0 src2=0
	v_mul_i32_i24_e32 v26, v203, v19
	v_mul_i32_i24_e32 v28, v199, v21
	;; [unrolled: 1-line block ×6, first 2 shown]
	s_set_vgpr_msb 64                       ;  msbs: dst=1 src0=0 src1=0 src2=0
	v_cvt_f32_i32_e32 v153 /*v409*/, v18
	s_set_vgpr_msb 1                        ;  msbs: dst=0 src0=1 src1=0 src2=0
	v_mul_i32_i24_e32 v18, v232 /*v488*/, v175
	s_set_vgpr_msb 5                        ;  msbs: dst=0 src0=1 src1=1 src2=0
	v_mul_i32_i24_e32 v38, v60 /*v316*/, v255 /*v511*/
	s_set_vgpr_msb 1                        ;  msbs: dst=0 src0=1 src1=0 src2=0
	v_mul_i32_i24_e32 v40, v68 /*v324*/, v19
	v_mul_i32_i24_e32 v42, v63 /*v319*/, v21
	s_set_vgpr_msb 0x45                     ;  msbs: dst=1 src0=1 src1=1 src2=0
	v_pk_fma_f32 v[198:199] /*v[454:455]*/, v[194:195] /*v[450:451]*/, v[152:153] /*v[408:409]*/, 0 op_sel_hi:[1,1,0]
	s_set_vgpr_msb 0                        ;  msbs: dst=0 src0=0 src1=0 src2=0
	v_add3_u32 v3, v3, v18, v148
	s_set_vgpr_msb 1                        ;  msbs: dst=0 src0=1 src1=0 src2=0
	v_mul_i32_i24_e32 v18, v234 /*v490*/, v177
	v_mul_i32_i24_e32 v148, v235 /*v491*/, v178
	s_set_vgpr_msb 0x44                     ;  msbs: dst=1 src0=0 src1=1 src2=0
	v_pk_fma_f32 v[152:153] /*v[408:409]*/, v[100:101], v[196:197] /*v[452:453]*/, 0 op_sel_hi:[0,1,0]
	s_set_vgpr_msb 1                        ;  msbs: dst=0 src0=1 src1=0 src2=0
	v_mul_i32_i24_e32 v44, v76 /*v332*/, v9
	v_mul_i32_i24_e32 v46, v72 /*v328*/, v25
	;; [unrolled: 1-line block ×3, first 2 shown]
	s_set_vgpr_msb 0                        ;  msbs: dst=0 src0=0 src1=0 src2=0
	v_add3_u32 v3, v3, v18, v148
	s_set_vgpr_msb 0x50                     ;  msbs: dst=1 src0=0 src1=0 src2=1
	v_pk_fma_f32 v[152:153] /*v[408:409]*/, v[102:103], v[0:1], v[152:153] /*v[408:409]*/ op_sel_hi:[0,1,1]
	s_set_vgpr_msb 5                        ;  msbs: dst=0 src0=1 src1=1 src2=0
	v_mul_i32_i24_e32 v148, v238 /*v494*/, v14 /*v270*/
	s_set_vgpr_msb 1                        ;  msbs: dst=0 src0=1 src1=0 src2=0
	v_mul_i32_i24_e32 v52, v77 /*v333*/, v53
	v_mul_i32_i24_e32 v19, v144 /*v400*/, v19
	s_set_vgpr_msb 0                        ;  msbs: dst=0 src0=0 src1=0 src2=0
	v_add3_u32 v3, v3, v149, v150
	s_set_vgpr_msb 0x41                     ;  msbs: dst=1 src0=1 src1=0 src2=0
	v_pk_mul_f32 v[208:209] /*v[464:465]*/, v[152:153] /*v[408:409]*/, v[92:93]
	v_mul_i32_i24_e32 v152 /*v408*/, v244 /*v500*/, v187
	v_mul_i32_i24_e32 v153 /*v409*/, v245 /*v501*/, v188
	s_set_vgpr_msb 5                        ;  msbs: dst=0 src0=1 src1=1 src2=0
	v_mul_i32_i24_e32 v149, v239 /*v495*/, v16 /*v272*/
	s_set_vgpr_msb 0                        ;  msbs: dst=0 src0=0 src1=0 src2=0
	v_add3_u32 v3, v3, v151, v152
	s_set_vgpr_msb 5                        ;  msbs: dst=0 src0=1 src1=1 src2=0
	v_mul_i32_i24_e32 v150, v240 /*v496*/, v17 /*v273*/
	v_mul_i32_i24_e32 v151, v241 /*v497*/, v20 /*v276*/
	;; [unrolled: 1-line block ×3, first 2 shown]
	s_set_vgpr_msb 1                        ;  msbs: dst=0 src0=1 src1=0 src2=0
	v_mul_i32_i24_e32 v21, v142 /*v398*/, v21
	s_set_vgpr_msb 0                        ;  msbs: dst=0 src0=0 src1=0 src2=0
	v_add3_u32 v3, v3, v153, v154
	s_set_vgpr_msb 5                        ;  msbs: dst=0 src0=1 src1=1 src2=0
	v_mul_i32_i24_e32 v153, v243 /*v499*/, v28 /*v284*/
	v_mul_i32_i24_e32 v154, v244 /*v500*/, v30 /*v286*/
	s_set_vgpr_msb 1                        ;  msbs: dst=0 src0=1 src1=0 src2=0
	v_mul_i32_i24_e32 v9, v149 /*v405*/, v9
	v_mul_i32_i24_e32 v25, v147 /*v403*/, v25
	s_set_vgpr_msb 0                        ;  msbs: dst=0 src0=0 src1=0 src2=0
	v_add3_u32 v3, v3, v155, v156
	s_set_vgpr_msb 5                        ;  msbs: dst=0 src0=1 src1=1 src2=0
	v_mul_i32_i24_e32 v155, v245 /*v501*/, v33 /*v289*/
	v_mul_i32_i24_e32 v156, v246 /*v502*/, v39 /*v295*/
	s_set_vgpr_msb 1                        ;  msbs: dst=0 src0=1 src1=0 src2=0
	v_mul_i32_i24_e32 v29, v151 /*v407*/, v29
	v_mul_i32_i24_e32 v53, v150 /*v406*/, v53
	s_set_vgpr_msb 20                       ;  msbs: dst=0 src0=0 src1=1 src2=1
	v_add3_u32 v3, v3, v152 /*v408*/, v153 /*v409*/
	v_lshrrev_b16 v55, 8, v204 /*v460*/
	v_lshrrev_b16 v141, 8, v205 /*v461*/
	s_set_vgpr_msb 1                        ;  msbs: dst=0 src0=1 src1=0 src2=0
	v_bfe_i32 v143, v207 /*v463*/, 0, 8
	v_bfe_i32 v144, v207 /*v463*/, 8, 8
	s_set_vgpr_msb 20                       ;  msbs: dst=0 src0=0 src1=1 src2=1
	v_add3_u32 v3, v3, v154 /*v410*/, v210 /*v466*/
	s_set_vgpr_msb 0x45                     ;  msbs: dst=1 src0=1 src1=1 src2=0
	v_mul_i32_i24_e32 v154 /*v410*/, v249 /*v505*/, v46 /*v302*/
	s_set_vgpr_msb 0                        ;  msbs: dst=0 src0=0 src1=0 src2=0
	v_bfe_i32 v55, v55, 0, 8
	v_bfe_i32 v141, v141, 0, 8
	s_set_vgpr_msb 1                        ;  msbs: dst=0 src0=1 src1=0 src2=0
	v_bfe_i32 v145, v207 /*v463*/, 16, 8
	s_set_vgpr_msb 20                       ;  msbs: dst=0 src0=0 src1=1 src2=1
	v_add3_u32 v3, v3, v211 /*v467*/, v212 /*v468*/
	s_set_vgpr_msb 0x44                     ;  msbs: dst=1 src0=0 src1=1 src2=0
	v_ashrrev_i32_e32 v207 /*v463*/, 24, v207 /*v463*/
	s_set_vgpr_msb 4                        ;  msbs: dst=0 src0=0 src1=1 src2=0
	v_lshrrev_b16 v142, 8, v206 /*v462*/
	v_mul_i32_i24_e32 v20, v143, v78 /*v334*/
	s_set_vgpr_msb 0                        ;  msbs: dst=0 src0=0 src1=0 src2=0
	v_mul_i32_i24_e32 v22, v144, v170
	s_set_vgpr_msb 20                       ;  msbs: dst=0 src0=0 src1=1 src2=1
	v_add3_u32 v3, v3, v213 /*v469*/, v214 /*v470*/
	s_set_vgpr_msb 0x45                     ;  msbs: dst=1 src0=1 src1=1 src2=0
	v_mul_i32_i24_e32 v214 /*v470*/, v48 /*v304*/, v251 /*v507*/
	s_set_vgpr_msb 0                        ;  msbs: dst=0 src0=0 src1=0 src2=0
	v_bfe_i32 v142, v142, 0, 8
	v_mul_i32_i24_e32 v146, v145, v169
	s_set_vgpr_msb 1                        ;  msbs: dst=0 src0=1 src1=0 src2=0
	v_mul_i32_i24_e32 v147, v207 /*v463*/, v171
	s_set_vgpr_msb 20                       ;  msbs: dst=0 src0=0 src1=1 src2=1
	v_add3_u32 v3, v3, v215 /*v471*/, v216 /*v472*/
	s_set_vgpr_msb 0x45                     ;  msbs: dst=1 src0=1 src1=1 src2=0
	v_mul_i32_i24_e32 v215 /*v471*/, v55 /*v311*/, v252 /*v508*/
	v_mul_i32_i24_e32 v216 /*v472*/, v53 /*v309*/, v253 /*v509*/
	v_cvt_f32_f16_e64 v193 /*v449*/, v193 /*v449*/
	s_set_vgpr_msb 4                        ;  msbs: dst=0 src0=0 src1=1 src2=0
	v_mul_i32_i24_e32 v18, v143, v5 /*v261*/
	v_add3_u32 v3, v3, v217 /*v473*/, v24
	s_set_vgpr_msb 0x45                     ;  msbs: dst=1 src0=1 src1=1 src2=0
	v_mul_i32_i24_e32 v217 /*v473*/, v62 /*v318*/, v254 /*v510*/
	s_set_vgpr_msb 4                        ;  msbs: dst=0 src0=0 src1=1 src2=0
	v_mul_i32_i24_e32 v24, v144, v7 /*v263*/
	s_set_vgpr_msb 0                        ;  msbs: dst=0 src0=0 src1=0 src2=0
	v_add3_u32 v3, v3, v26, v28
	v_mul_i32_i24_e32 v26, v145, v254
	s_set_vgpr_msb 5                        ;  msbs: dst=0 src0=1 src1=1 src2=0
	v_mul_i32_i24_e32 v28, v207 /*v463*/, v11 /*v267*/
	s_set_vgpr_msb 0                        ;  msbs: dst=0 src0=0 src1=0 src2=0
	v_add3_u32 v3, v3, v30, v32
	s_set_vgpr_msb 1                        ;  msbs: dst=0 src0=1 src1=0 src2=0
	v_mul_lo_u32 v30, v187 /*v443*/, v172
	s_set_vgpr_msb 5                        ;  msbs: dst=0 src0=1 src1=1 src2=0
	v_mul_i32_i24_e32 v32, v233 /*v489*/, v2 /*v258*/
	s_set_vgpr_msb 0x45                     ;  msbs: dst=1 src0=1 src1=1 src2=0
	v_mul_i32_i24_e32 v187 /*v443*/, v52 /*v308*/, v250 /*v506*/
	s_set_vgpr_msb 0                        ;  msbs: dst=0 src0=0 src1=0 src2=0
	v_add3_u32 v3, v3, v34, v36
	s_set_vgpr_msb 5                        ;  msbs: dst=0 src0=1 src1=1 src2=0
	v_mul_i32_i24_e32 v34, v236 /*v492*/, v8 /*v264*/
	v_mul_i32_i24_e32 v36, v237 /*v493*/, v12 /*v268*/
	s_set_vgpr_msb 0                        ;  msbs: dst=0 src0=0 src1=0 src2=0
	v_mul_lo_u32 v3, v3, v172
	s_set_vgpr_msb 64                       ;  msbs: dst=1 src0=0 src1=0 src2=0
	v_cvt_f32_i32_e32 v152 /*v408*/, v30
	s_set_vgpr_msb 1                        ;  msbs: dst=0 src0=1 src1=0 src2=0
	v_mul_i32_i24_e32 v30, v232 /*v488*/, v255
	s_set_vgpr_msb 64                       ;  msbs: dst=1 src0=0 src1=0 src2=0
	s_delay_alu instid0(VALU_DEP_3) | instskip(SKIP_3) | instid1(VALU_DEP_2)
	v_cvt_f32_i32_e32 v153 /*v409*/, v3
	s_set_vgpr_msb 1                        ;  msbs: dst=0 src0=1 src1=0 src2=0
	v_mul_i32_i24_e32 v3, v230 /*v486*/, v250
	s_set_vgpr_msb 0x45                     ;  msbs: dst=1 src0=1 src1=1 src2=0
	v_pk_fma_f32 v[210:211] /*v[466:467]*/, v[194:195] /*v[450:451]*/, v[152:153] /*v[408:409]*/, 0 op_sel_hi:[1,1,0]
	s_set_vgpr_msb 1                        ;  msbs: dst=0 src0=1 src1=0 src2=0
	s_delay_alu instid0(VALU_DEP_2) | instskip(SKIP_3) | instid1(VALU_DEP_2)
	v_mad_i32_i24 v3, v231 /*v487*/, v246, v3
	s_set_vgpr_msb 0x44                     ;  msbs: dst=1 src0=0 src1=1 src2=0
	v_pk_fma_f32 v[152:153] /*v[408:409]*/, v[104:105], v[196:197] /*v[452:453]*/, 0 op_sel_hi:[0,1,0]
	s_set_vgpr_msb 0                        ;  msbs: dst=0 src0=0 src1=0 src2=0
	v_add3_u32 v3, v3, v30, v32
	s_set_vgpr_msb 5                        ;  msbs: dst=0 src0=1 src1=1 src2=0
	v_mul_i32_i24_e32 v30, v234 /*v490*/, v3 /*v259*/
	v_mul_i32_i24_e32 v32, v235 /*v491*/, v6 /*v262*/
	s_set_vgpr_msb 0x50                     ;  msbs: dst=1 src0=0 src1=0 src2=1
	v_pk_fma_f32 v[152:153] /*v[408:409]*/, v[108:109], v[0:1], v[152:153] /*v[408:409]*/ op_sel_hi:[0,1,1]
	s_set_vgpr_msb 0                        ;  msbs: dst=0 src0=0 src1=0 src2=0
	s_delay_alu instid0(VALU_DEP_2) | instskip(SKIP_1) | instid1(VALU_DEP_2)
	v_add3_u32 v3, v3, v30, v32
	s_set_vgpr_msb 0x41                     ;  msbs: dst=1 src0=1 src1=0 src2=0
	v_pk_mul_f32 v[212:213] /*v[468:469]*/, v[152:153] /*v[408:409]*/, v[94:95]
	s_set_vgpr_msb 0x45                     ;  msbs: dst=1 src0=1 src1=1 src2=0
	v_mul_i32_i24_e32 v152 /*v408*/, v247 /*v503*/, v41 /*v297*/
	v_mul_i32_i24_e32 v153 /*v409*/, v248 /*v504*/, v44 /*v300*/
	s_set_vgpr_msb 4                        ;  msbs: dst=0 src0=0 src1=1 src2=0
	v_mul_i32_i24_e32 v30, v143, v104 /*v360*/
	s_set_vgpr_msb 0                        ;  msbs: dst=0 src0=0 src1=0 src2=0
	v_add3_u32 v3, v3, v34, v36
	s_set_vgpr_msb 4                        ;  msbs: dst=0 src0=0 src1=1 src2=0
	v_mul_i32_i24_e32 v32, v144, v105 /*v361*/
	v_mul_i32_i24_e32 v34, v145, v102 /*v358*/
	s_set_vgpr_msb 5                        ;  msbs: dst=0 src0=1 src1=1 src2=0
	v_mul_i32_i24_e32 v36, v207 /*v463*/, v106 /*v362*/
	s_set_vgpr_msb 0                        ;  msbs: dst=0 src0=0 src1=0 src2=0
	v_add3_u32 v3, v3, v148, v149
	s_set_vgpr_msb 5                        ;  msbs: dst=0 src0=1 src1=1 src2=0
	v_mul_i32_i24_e32 v148, v241 /*v497*/, v120 /*v376*/
	v_mul_i32_i24_e32 v149, v242 /*v498*/, v121 /*v377*/
	s_set_vgpr_msb 0                        ;  msbs: dst=0 src0=0 src1=0 src2=0
	v_add3_u32 v3, v3, v150, v151
	s_set_vgpr_msb 5                        ;  msbs: dst=0 src0=1 src1=1 src2=0
	v_mul_i32_i24_e32 v150, v243 /*v499*/, v122 /*v378*/
	;; [unrolled: 5-line block ×4, first 2 shown]
	v_mul_i32_i24_e32 v155, v248 /*v504*/, v127 /*v383*/
	s_set_vgpr_msb 16                       ;  msbs: dst=0 src0=0 src1=0 src2=1
	v_add3_u32 v3, v3, v156, v152 /*v408*/
	s_set_vgpr_msb 5                        ;  msbs: dst=0 src0=1 src1=1 src2=0
	v_mul_i32_i24_e32 v156, v249 /*v505*/, v128 /*v384*/
	s_set_vgpr_msb 20                       ;  msbs: dst=0 src0=0 src1=1 src2=1
	s_delay_alu instid0(VALU_DEP_2) | instskip(SKIP_3) | instid1(VALU_DEP_2)
	v_add3_u32 v3, v3, v153 /*v409*/, v154 /*v410*/
	s_set_vgpr_msb 0x45                     ;  msbs: dst=1 src0=1 src1=1 src2=0
	v_mul_i32_i24_e32 v154 /*v410*/, v132 /*v388*/, v252 /*v508*/
	s_set_vgpr_msb 20                       ;  msbs: dst=0 src0=0 src1=1 src2=1
	v_add3_u32 v3, v3, v187 /*v443*/, v214 /*v470*/
	s_set_vgpr_msb 0x45                     ;  msbs: dst=1 src0=1 src1=1 src2=0
	v_mul_i32_i24_e32 v187 /*v443*/, v131 /*v387*/, v253 /*v509*/
	s_set_vgpr_msb 20                       ;  msbs: dst=0 src0=0 src1=1 src2=1
	s_delay_alu instid0(VALU_DEP_2) | instskip(SKIP_1) | instid1(VALU_DEP_1)
	v_add3_u32 v3, v3, v215 /*v471*/, v216 /*v472*/
	s_set_vgpr_msb 4                        ;  msbs: dst=0 src0=0 src1=1 src2=0
	v_add3_u32 v3, v3, v217 /*v473*/, v38
	s_set_vgpr_msb 1                        ;  msbs: dst=0 src0=1 src1=0 src2=0
	v_mul_lo_u32 v38, v191 /*v447*/, v234
	s_set_vgpr_msb 0x45                     ;  msbs: dst=1 src0=1 src1=1 src2=0
	v_mul_i32_i24_e32 v191 /*v447*/, v141 /*v397*/, v254 /*v510*/
	s_set_vgpr_msb 0                        ;  msbs: dst=0 src0=0 src1=0 src2=0
	v_add3_u32 v3, v3, v40, v42
	s_set_vgpr_msb 5                        ;  msbs: dst=0 src0=1 src1=1 src2=0
	v_mul_i32_i24_e32 v40, v233 /*v489*/, v112 /*v368*/
	v_mul_i32_i24_e32 v42, v236 /*v492*/, v115 /*v371*/
	s_set_vgpr_msb 0                        ;  msbs: dst=0 src0=0 src1=0 src2=0
	v_add3_u32 v3, v3, v44, v46
	s_set_vgpr_msb 5                        ;  msbs: dst=0 src0=1 src1=1 src2=0
	v_mul_i32_i24_e32 v44, v237 /*v493*/, v116 /*v372*/
	s_set_vgpr_msb 64                       ;  msbs: dst=1 src0=0 src1=0 src2=0
	v_cvt_f32_i32_e32 v152 /*v408*/, v38
	s_set_vgpr_msb 5                        ;  msbs: dst=0 src0=1 src1=1 src2=0
	v_mul_i32_i24_e32 v38, v232 /*v488*/, v111 /*v367*/
	v_mul_i32_i24_e32 v46, v238 /*v494*/, v117 /*v373*/
	s_set_vgpr_msb 0                        ;  msbs: dst=0 src0=0 src1=0 src2=0
	v_add3_u32 v3, v3, v48, v52
	s_set_vgpr_msb 5                        ;  msbs: dst=0 src0=1 src1=1 src2=0
	v_mul_i32_i24_e32 v48, v239 /*v495*/, v118 /*v374*/
	v_mul_i32_i24_e32 v52, v240 /*v496*/, v119 /*v375*/
	s_set_vgpr_msb 0                        ;  msbs: dst=0 src0=0 src1=0 src2=0
	v_mul_lo_u32 v3, v3, v234
	s_set_vgpr_msb 64                       ;  msbs: dst=1 src0=0 src1=0 src2=0
	s_delay_alu instid0(VALU_DEP_1)
	v_cvt_f32_i32_e32 v153 /*v409*/, v3
	s_set_vgpr_msb 5                        ;  msbs: dst=0 src0=1 src1=1 src2=0
	v_mul_i32_i24_e32 v3, v230 /*v486*/, v110 /*v366*/
	s_set_vgpr_msb 0x45                     ;  msbs: dst=1 src0=1 src1=1 src2=0
	v_mul_i32_i24_e32 v230 /*v486*/, v133 /*v389*/, v255 /*v511*/
	v_pk_fma_f32 v[214:215] /*v[470:471]*/, v[194:195] /*v[450:451]*/, v[152:153] /*v[408:409]*/, 0 op_sel_hi:[1,1,0]
	s_set_vgpr_msb 5                        ;  msbs: dst=0 src0=1 src1=1 src2=0
	v_mad_i32_i24 v3, v231 /*v487*/, v109 /*v365*/, v3
	s_set_vgpr_msb 0x44                     ;  msbs: dst=1 src0=0 src1=1 src2=0
	v_pk_fma_f32 v[152:153] /*v[408:409]*/, v[106:107], v[196:197] /*v[452:453]*/, 0 op_sel_hi:[0,1,0]
	s_set_vgpr_msb 0                        ;  msbs: dst=0 src0=0 src1=0 src2=0
	s_delay_alu instid0(VALU_DEP_2)
	v_add3_u32 v3, v3, v38, v40
	s_set_vgpr_msb 5                        ;  msbs: dst=0 src0=1 src1=1 src2=0
	v_mul_i32_i24_e32 v38, v234 /*v490*/, v113 /*v369*/
	v_mul_i32_i24_e32 v40, v235 /*v491*/, v114 /*v370*/
	s_set_vgpr_msb 0x50                     ;  msbs: dst=1 src0=0 src1=0 src2=1
	v_pk_fma_f32 v[152:153] /*v[408:409]*/, v[110:111], v[0:1], v[152:153] /*v[408:409]*/ op_sel_hi:[0,1,1]
	s_set_vgpr_msb 0                        ;  msbs: dst=0 src0=0 src1=0 src2=0
	s_delay_alu instid0(VALU_DEP_2) | instskip(SKIP_1) | instid1(VALU_DEP_2)
	v_add3_u32 v3, v3, v38, v40
	s_set_vgpr_msb 0x41                     ;  msbs: dst=1 src0=1 src1=0 src2=0
	v_pk_mul_f32 v[216:217] /*v[472:473]*/, v[152:153] /*v[408:409]*/, v[96:97]
	s_set_vgpr_msb 0x45                     ;  msbs: dst=1 src0=1 src1=1 src2=0
	v_mul_i32_i24_e32 v152 /*v408*/, v130 /*v386*/, v250 /*v506*/
	v_mul_i32_i24_e32 v153 /*v409*/, v129 /*v385*/, v251 /*v507*/
	s_set_vgpr_msb 4                        ;  msbs: dst=0 src0=0 src1=1 src2=0
	v_ashrrev_i32_e32 v38, 24, v200 /*v456*/
	s_set_vgpr_msb 0                        ;  msbs: dst=0 src0=0 src1=0 src2=0
	v_add3_u32 v3, v3, v42, v44
	s_set_vgpr_msb 1                        ;  msbs: dst=0 src0=1 src1=0 src2=0
	v_bfe_i32 v42, v200 /*v456*/, 0, 8
	v_bfe_i32 v40, v200 /*v456*/, 16, 8
	s_set_vgpr_msb 0                        ;  msbs: dst=0 src0=0 src1=0 src2=0
	v_add3_u32 v3, v3, v46, v48
	s_set_vgpr_msb 4                        ;  msbs: dst=0 src0=0 src1=1 src2=0
	v_mul_i32_i24_e32 v44, v42, v24 /*v280*/
	v_mul_i32_i24_e32 v46, v40, v21 /*v277*/
	;; [unrolled: 1-line block ×3, first 2 shown]
	s_set_vgpr_msb 0                        ;  msbs: dst=0 src0=0 src1=0 src2=0
	v_add3_u32 v3, v3, v52, v148
	v_mul_i32_i24_e32 v52, v38, v210
	s_set_vgpr_msb 4                        ;  msbs: dst=0 src0=0 src1=1 src2=0
	v_ashrrev_i32_e32 v148, 24, v201 /*v457*/
	s_set_vgpr_msb 0                        ;  msbs: dst=0 src0=0 src1=0 src2=0
	v_add3_u32 v3, v3, v149, v150
	s_set_vgpr_msb 1                        ;  msbs: dst=0 src0=1 src1=0 src2=0
	v_bfe_i32 v150, v201 /*v457*/, 0, 8
	v_bfe_i32 v149, v201 /*v457*/, 16, 8
	s_set_vgpr_msb 0                        ;  msbs: dst=0 src0=0 src1=0 src2=0
	v_add3_u32 v3, v3, v151, v152
	s_set_vgpr_msb 4                        ;  msbs: dst=0 src0=0 src1=1 src2=0
	v_mul_i32_i24_e32 v151, v150, v34 /*v290*/
	s_set_vgpr_msb 0                        ;  msbs: dst=0 src0=0 src1=0 src2=0
	s_delay_alu instid0(VALU_DEP_2)
	v_add3_u32 v3, v3, v153, v154
	s_set_vgpr_msb 4                        ;  msbs: dst=0 src0=0 src1=1 src2=0
	v_mul_i32_i24_e32 v153, v149, v27 /*v283*/
	v_mul_i32_i24_e32 v154, v148, v38 /*v294*/
	s_set_vgpr_msb 0                        ;  msbs: dst=0 src0=0 src1=0 src2=0
	v_add3_u32 v3, v3, v155, v156
	v_mul_i32_i24_e32 v155, v150, v215
	s_set_vgpr_msb 20                       ;  msbs: dst=0 src0=0 src1=1 src2=1
	s_delay_alu instid0(VALU_DEP_2)
	v_add3_u32 v3, v3, v152 /*v408*/, v153 /*v409*/
	s_set_vgpr_msb 0x44                     ;  msbs: dst=1 src0=0 src1=1 src2=0
	v_and_b32_e32 v152 /*v408*/, 0xffff, v219 /*v475*/
	v_bfe_u32 v153 /*v409*/, v120, 20, 4
	s_set_vgpr_msb 20                       ;  msbs: dst=0 src0=0 src1=1 src2=1
	v_add3_u32 v3, v3, v154 /*v410*/, v187 /*v443*/
	s_set_vgpr_msb 0x44                     ;  msbs: dst=1 src0=0 src1=1 src2=0
	v_bfe_u32 v154 /*v410*/, v120, 4, 4
	v_mul_i32_i24_e32 v187 /*v443*/, v148, v83 /*v339*/
	s_set_vgpr_msb 20                       ;  msbs: dst=0 src0=0 src1=1 src2=1
	v_add3_u32 v3, v3, v191 /*v447*/, v230 /*v486*/
	s_set_vgpr_msb 0                        ;  msbs: dst=0 src0=0 src1=0 src2=0
	s_delay_alu instid0(VALU_DEP_1)
	v_add3_u32 v3, v3, v19, v21
	s_set_vgpr_msb 5                        ;  msbs: dst=0 src0=1 src1=1 src2=0
	v_mul_i32_i24_e32 v19, v153 /*v409*/, v157 /*v413*/
	v_mul_i32_i24_e32 v21, v143 /*v399*/, v180 /*v436*/
	s_set_vgpr_msb 0x44                     ;  msbs: dst=1 src0=0 src1=1 src2=0
	v_bfe_u32 v157 /*v413*/, v121, 4, 4
	v_mul_i32_i24_e32 v180 /*v436*/, v149, v73 /*v329*/
	s_set_vgpr_msb 0                        ;  msbs: dst=0 src0=0 src1=0 src2=0
	v_add3_u32 v3, v3, v9, v25
	s_set_vgpr_msb 4                        ;  msbs: dst=0 src0=0 src1=1 src2=0
	v_lshrrev_b16 v25, 8, v202 /*v458*/
	s_set_vgpr_msb 0                        ;  msbs: dst=0 src0=0 src1=0 src2=0
	s_delay_alu instid0(VALU_DEP_2)
	v_add3_u32 v9, v3, v29, v53
	s_set_vgpr_msb 5                        ;  msbs: dst=0 src0=1 src1=1 src2=0
	v_mul_i32_i24_e32 v3, v154 /*v410*/, v156 /*v412*/
	s_set_vgpr_msb 4                        ;  msbs: dst=0 src0=0 src1=1 src2=0
	v_mul_i32_i24_e32 v53, v38, v75 /*v331*/
	s_set_vgpr_msb 0x44                     ;  msbs: dst=1 src0=0 src1=1 src2=0
	v_and_b32_e32 v156 /*v412*/, 0xffff, v220 /*v476*/
	s_set_vgpr_msb 4                        ;  msbs: dst=0 src0=0 src1=1 src2=0
	v_bfe_i32 v25, v25, 0, 8
	v_lshrrev_b16 v29, 8, v203 /*v459*/
	s_set_vgpr_msb 5                        ;  msbs: dst=0 src0=1 src1=1 src2=0
	v_mad_i32_i24 v3, v152 /*v408*/, v155 /*v411*/, v3
	s_set_vgpr_msb 64                       ;  msbs: dst=1 src0=0 src1=0 src2=0
	v_bfe_u32 v155 /*v411*/, v121, 20, 4
	s_set_vgpr_msb 5                        ;  msbs: dst=0 src0=1 src1=1 src2=0
	v_mul_i32_i24_e32 v121, v134 /*v390*/, v179 /*v435*/
	s_set_vgpr_msb 0                        ;  msbs: dst=0 src0=0 src1=0 src2=0
	v_bfe_i32 v29, v29, 0, 8
	v_add3_u32 v3, v3, v19, v21
	s_set_vgpr_msb 5                        ;  msbs: dst=0 src0=1 src1=1 src2=0
	v_lshrrev_b16 v19, 8, v200 /*v456*/
	v_lshrrev_b16 v21, 8, v201 /*v457*/
	v_mul_i32_i24_e32 v120, v155 /*v411*/, v160 /*v416*/
	s_set_vgpr_msb 0x44                     ;  msbs: dst=1 src0=0 src1=1 src2=0
	v_mul_i32_i24_e32 v160 /*v416*/, v150, v79 /*v335*/
	s_set_vgpr_msb 4                        ;  msbs: dst=0 src0=0 src1=1 src2=0
	v_bfe_i32 v19, v19, 0, 8
	v_bfe_i32 v21, v21, 0, 8
	s_delay_alu instid0(VALU_DEP_2) | instskip(SKIP_1) | instid1(VALU_DEP_2)
	v_mad_i32_i24 v44, v19, v23 /*v279*/, v44
	s_set_vgpr_msb 0                        ;  msbs: dst=0 src0=0 src1=0 src2=0
	v_mul_i32_i24_e32 v156, v21, v218
	s_set_vgpr_msb 4                        ;  msbs: dst=0 src0=0 src1=1 src2=0
	v_mul_i32_i24_e32 v152, v21, v36 /*v292*/
	s_set_vgpr_msb 0x44                     ;  msbs: dst=1 src0=0 src1=1 src2=0
	v_mul_i32_i24_e32 v179 /*v435*/, v21, v81 /*v337*/
	s_set_vgpr_msb 4                        ;  msbs: dst=0 src0=0 src1=1 src2=0
	v_mul_i32_i24_e32 v21, v21, v156 /*v412*/
	s_set_vgpr_msb 0                        ;  msbs: dst=0 src0=0 src1=0 src2=0
	v_add3_u32 v44, v44, v46, v48
	v_mul_i32_i24_e32 v46, v42, v205
	v_mul_i32_i24_e32 v48, v40, v201
	s_delay_alu instid0(VALU_DEP_3) | instskip(NEXT) | instid1(VALU_DEP_3)
	v_add3_u32 v44, v44, v151, v152
	v_mad_i32_i24 v46, v19, v204, v46
	s_set_vgpr_msb 1                        ;  msbs: dst=0 src0=1 src1=0 src2=0
	v_bfe_i32 v152, v202 /*v458*/, 0, 8
	v_bfe_i32 v151, v202 /*v458*/, 16, 8
	s_set_vgpr_msb 0                        ;  msbs: dst=0 src0=0 src1=0 src2=0
	v_add3_u32 v44, v44, v153, v154
	v_add3_u32 v46, v46, v48, v52
	s_set_vgpr_msb 4                        ;  msbs: dst=0 src0=0 src1=1 src2=0
	v_mul_i32_i24_e32 v48, v42, v71 /*v327*/
	v_mul_i32_i24_e32 v52, v40, v65 /*v321*/
	;; [unrolled: 1-line block ×4, first 2 shown]
	s_set_vgpr_msb 0                        ;  msbs: dst=0 src0=0 src1=0 src2=0
	v_add3_u32 v46, v46, v155, v156
	s_set_vgpr_msb 4                        ;  msbs: dst=0 src0=0 src1=1 src2=0
	v_mad_i32_i24 v48, v19, v69 /*v325*/, v48
	v_mul_i32_i24_e32 v155, v151, v37 /*v293*/
	v_mul_i32_i24_e32 v40, v40, v153 /*v409*/
	s_set_vgpr_msb 0                        ;  msbs: dst=0 src0=0 src1=0 src2=0
	v_add3_u32 v44, v44, v153, v154
	s_set_vgpr_msb 1                        ;  msbs: dst=0 src0=1 src1=0 src2=0
	v_bfe_i32 v154, v203 /*v459*/, 0, 8
	s_set_vgpr_msb 0                        ;  msbs: dst=0 src0=0 src1=0 src2=0
	v_add3_u32 v48, v48, v52, v53
	s_set_vgpr_msb 5                        ;  msbs: dst=0 src0=1 src1=1 src2=0
	v_mul_i32_i24_e32 v52, v157 /*v413*/, v158 /*v414*/
	v_mul_i32_i24_e32 v53, v156 /*v412*/, v159 /*v415*/
	s_set_vgpr_msb 64                       ;  msbs: dst=1 src0=0 src1=0 src2=0
	v_mul_i32_i24_e32 v158 /*v414*/, v149, v208
	v_mul_i32_i24_e32 v159 /*v415*/, v148, v221
	s_set_vgpr_msb 20                       ;  msbs: dst=0 src0=0 src1=1 src2=1
	v_add3_u32 v48, v48, v160 /*v416*/, v179 /*v435*/
	s_set_vgpr_msb 64                       ;  msbs: dst=1 src0=0 src1=0 src2=0
	v_bfe_u32 v160 /*v416*/, v118, 4, 4
	s_set_vgpr_msb 0                        ;  msbs: dst=0 src0=0 src1=0 src2=0
	v_add3_u32 v3, v3, v52, v53
	s_set_vgpr_msb 20                       ;  msbs: dst=0 src0=0 src1=1 src2=1
	v_mul_i32_i24_e32 v52, v150, v157 /*v413*/
	v_add3_u32 v46, v46, v158 /*v414*/, v159 /*v415*/
	s_set_vgpr_msb 0x44                     ;  msbs: dst=1 src0=0 src1=1 src2=0
	v_and_b32_e32 v159 /*v415*/, 0xffff, v221 /*v477*/
	v_bfe_u32 v158 /*v414*/, v118, 20, 4
	s_set_vgpr_msb 0                        ;  msbs: dst=0 src0=0 src1=0 src2=0
	v_add3_u32 v3, v3, v120, v121
	s_set_vgpr_msb 5                        ;  msbs: dst=0 src0=1 src1=1 src2=0
	v_mul_i32_i24_e32 v118, v160 /*v416*/, v161 /*v417*/
	v_ashrrev_i32_e32 v150, 24, v202 /*v458*/
	v_mul_i32_i24_e32 v121, v159 /*v415*/, v162 /*v418*/
	s_set_vgpr_msb 64                       ;  msbs: dst=1 src0=0 src1=0 src2=0
	v_mul_i32_i24_e32 v161 /*v417*/, v152, v222
	v_mul_i32_i24_e32 v162 /*v418*/, v25, v223
	s_set_vgpr_msb 4                        ;  msbs: dst=0 src0=0 src1=1 src2=0
	v_mul_i32_i24_e32 v53, v149, v155 /*v411*/
	v_mul_i32_i24_e32 v120, v148, v134 /*v390*/
	s_set_vgpr_msb 5                        ;  msbs: dst=0 src0=1 src1=1 src2=0
	v_mul_i32_i24_e32 v148, v158 /*v414*/, v163 /*v419*/
	v_mul_i32_i24_e32 v149, v135 /*v391*/, v178 /*v434*/
	s_set_vgpr_msb 64                       ;  msbs: dst=1 src0=0 src1=0 src2=0
	v_mul_i32_i24_e32 v163 /*v419*/, v151, v219
	v_mul_i32_i24_e32 v178 /*v434*/, v150, v226
	s_set_vgpr_msb 20                       ;  msbs: dst=0 src0=0 src1=1 src2=1
	v_add3_u32 v46, v46, v161 /*v417*/, v162 /*v418*/
	v_mul_i32_i24_e32 v156, v150, v45 /*v301*/
	s_set_vgpr_msb 0                        ;  msbs: dst=0 src0=0 src1=0 src2=0
	v_add3_u32 v3, v3, v118, v121
	s_set_vgpr_msb 0x44                     ;  msbs: dst=1 src0=0 src1=1 src2=0
	v_and_b32_e32 v162 /*v418*/, 0xffff, v222 /*v478*/
	s_set_vgpr_msb 20                       ;  msbs: dst=0 src0=0 src1=1 src2=1
	v_add3_u32 v48, v48, v180 /*v436*/, v187 /*v443*/
	v_add3_u32 v46, v46, v163 /*v419*/, v178 /*v434*/
	s_set_vgpr_msb 0x44                     ;  msbs: dst=1 src0=0 src1=1 src2=0
	v_bfe_u32 v163 /*v419*/, v119, 4, 4
	v_mul_i32_i24_e32 v179 /*v435*/, v152, v84 /*v340*/
	v_mul_i32_i24_e32 v180 /*v436*/, v25, v85 /*v341*/
	s_set_vgpr_msb 0                        ;  msbs: dst=0 src0=0 src1=0 src2=0
	v_add3_u32 v3, v3, v148, v149
	v_add3_u32 v44, v44, v155, v156
	s_set_vgpr_msb 4                        ;  msbs: dst=0 src0=0 src1=1 src2=0
	v_mul_i32_i24_e32 v118, v152, v160 /*v416*/
	s_set_vgpr_msb 64                       ;  msbs: dst=1 src0=0 src1=0 src2=0
	v_bfe_u32 v161 /*v417*/, v119, 20, 4
	s_set_vgpr_msb 5                        ;  msbs: dst=0 src0=1 src1=1 src2=0
	v_mul_i32_i24_e32 v119, v163 /*v419*/, v164 /*v420*/
	v_mul_i32_i24_e32 v149, v162 /*v418*/, v165 /*v421*/
	v_ashrrev_i32_e32 v152, 24, v203 /*v459*/
	v_bfe_i32 v153, v203 /*v459*/, 16, 8
	s_set_vgpr_msb 4                        ;  msbs: dst=0 src0=0 src1=1 src2=0
	v_mul_i32_i24_e32 v155, v154, v47 /*v303*/
	v_mul_i32_i24_e32 v156, v29, v49 /*v305*/
	s_set_vgpr_msb 0x44                     ;  msbs: dst=1 src0=0 src1=1 src2=0
	v_mul_i32_i24_e32 v187 /*v443*/, v151, v82 /*v338*/
	v_mul_i32_i24_e32 v191 /*v447*/, v150, v87 /*v343*/
	s_set_vgpr_msb 20                       ;  msbs: dst=0 src0=0 src1=1 src2=1
	v_add3_u32 v48, v48, v179 /*v435*/, v180 /*v436*/
	v_mul_i32_i24_e32 v121, v151, v158 /*v414*/
	v_mul_i32_i24_e32 v148, v150, v135 /*v391*/
	s_set_vgpr_msb 5                        ;  msbs: dst=0 src0=1 src1=1 src2=0
	v_mul_i32_i24_e32 v150, v161 /*v417*/, v166 /*v422*/
	v_mul_i32_i24_e32 v151, v136 /*v392*/, v177 /*v433*/
	s_set_vgpr_msb 0x44                     ;  msbs: dst=1 src0=0 src1=1 src2=0
	v_mul_i32_i24_e32 v164 /*v420*/, v153, v43 /*v299*/
	s_set_vgpr_msb 64                       ;  msbs: dst=1 src0=0 src1=0 src2=0
	v_mul_i32_i24_e32 v166 /*v422*/, v154, v229
	v_mul_i32_i24_e32 v177 /*v433*/, v29, v231
	s_set_vgpr_msb 0x44                     ;  msbs: dst=1 src0=0 src1=1 src2=0
	v_mul_i32_i24_e32 v180 /*v436*/, v154, v88 /*v344*/
	s_set_vgpr_msb 0                        ;  msbs: dst=0 src0=0 src1=0 src2=0
	v_add3_u32 v3, v3, v119, v149
	v_add3_u32 v44, v44, v155, v156
	s_set_vgpr_msb 4                        ;  msbs: dst=0 src0=0 src1=1 src2=0
	v_mul_i32_i24_e32 v119, v154, v163 /*v419*/
	v_ashrrev_i32_e32 v154, 24, v204 /*v460*/
	s_set_vgpr_msb 0x44                     ;  msbs: dst=1 src0=0 src1=1 src2=0
	v_mul_i32_i24_e32 v165 /*v421*/, v152, v51 /*v307*/
	s_set_vgpr_msb 20                       ;  msbs: dst=0 src0=0 src1=1 src2=1
	v_add3_u32 v46, v46, v166 /*v422*/, v177 /*v433*/
	s_set_vgpr_msb 64                       ;  msbs: dst=1 src0=0 src1=0 src2=0
	v_bfe_u32 v166 /*v422*/, v116, 4, 4
	s_set_vgpr_msb 1                        ;  msbs: dst=0 src0=1 src1=0 src2=0
	v_bfe_i32 v156, v204 /*v460*/, 0, 8
	s_set_vgpr_msb 0                        ;  msbs: dst=0 src0=0 src1=0 src2=0
	v_add3_u32 v3, v3, v150, v151
	s_set_vgpr_msb 20                       ;  msbs: dst=0 src0=0 src1=1 src2=1
	v_add3_u32 v44, v44, v164 /*v420*/, v165 /*v421*/
	s_set_vgpr_msb 0x44                     ;  msbs: dst=1 src0=0 src1=1 src2=0
	v_and_b32_e32 v165 /*v421*/, 0xffff, v223 /*v479*/
	v_bfe_u32 v164 /*v420*/, v116, 20, 4
	s_set_vgpr_msb 5                        ;  msbs: dst=0 src0=1 src1=1 src2=0
	v_mul_i32_i24_e32 v116, v166 /*v422*/, v167 /*v423*/
	v_bfe_i32 v155, v204 /*v460*/, 16, 8
	s_set_vgpr_msb 0x44                     ;  msbs: dst=1 src0=0 src1=1 src2=0
	v_mul_i32_i24_e32 v167 /*v423*/, v156, v54 /*v310*/
	s_set_vgpr_msb 5                        ;  msbs: dst=0 src0=1 src1=1 src2=0
	v_mul_i32_i24_e32 v151, v165 /*v421*/, v168 /*v424*/
	s_set_vgpr_msb 0x44                     ;  msbs: dst=1 src0=0 src1=1 src2=0
	v_mul_i32_i24_e32 v168 /*v424*/, v55, v56 /*v312*/
	s_set_vgpr_msb 20                       ;  msbs: dst=0 src0=0 src1=1 src2=1
	v_add3_u32 v48, v48, v187 /*v443*/, v191 /*v447*/
	s_set_vgpr_msb 64                       ;  msbs: dst=1 src0=0 src1=0 src2=0
	v_mul_i32_i24_e32 v178 /*v434*/, v153, v224
	v_mul_i32_i24_e32 v179 /*v435*/, v152, v233
	s_set_vgpr_msb 0x44                     ;  msbs: dst=1 src0=0 src1=1 src2=0
	v_mul_i32_i24_e32 v187 /*v443*/, v29, v89 /*v345*/
	v_mul_i32_i24_e32 v191 /*v447*/, v153, v86 /*v342*/
	;; [unrolled: 1-line block ×3, first 2 shown]
	s_set_vgpr_msb 4                        ;  msbs: dst=0 src0=0 src1=1 src2=0
	v_mul_i32_i24_e32 v149, v153, v161 /*v417*/
	v_mul_i32_i24_e32 v150, v152, v136 /*v392*/
	s_set_vgpr_msb 5                        ;  msbs: dst=0 src0=1 src1=1 src2=0
	v_mul_i32_i24_e32 v152, v164 /*v420*/, v169 /*v425*/
	v_mul_i32_i24_e32 v153, v137 /*v393*/, v176 /*v432*/
	s_set_vgpr_msb 0x44                     ;  msbs: dst=1 src0=0 src1=1 src2=0
	v_mul_i32_i24_e32 v169 /*v425*/, v155, v50 /*v306*/
	v_mul_i32_i24_e32 v176 /*v432*/, v154, v57 /*v313*/
	s_set_vgpr_msb 0                        ;  msbs: dst=0 src0=0 src1=0 src2=0
	v_add3_u32 v3, v3, v116, v151
	s_set_vgpr_msb 20                       ;  msbs: dst=0 src0=0 src1=1 src2=1
	v_add3_u32 v44, v44, v167 /*v423*/, v168 /*v424*/
	s_set_vgpr_msb 0x44                     ;  msbs: dst=1 src0=0 src1=1 src2=0
	v_and_b32_e32 v168 /*v424*/, 0xffff, v224 /*v480*/
	s_set_vgpr_msb 20                       ;  msbs: dst=0 src0=0 src1=1 src2=1
	v_add3_u32 v48, v48, v180 /*v436*/, v187 /*v443*/
	s_set_vgpr_msb 64                       ;  msbs: dst=1 src0=0 src1=0 src2=0
	v_bfe_u32 v167 /*v423*/, v117, 20, 4
	s_set_vgpr_msb 0                        ;  msbs: dst=0 src0=0 src1=0 src2=0
	v_add3_u32 v3, v3, v152, v153
	s_set_vgpr_msb 20                       ;  msbs: dst=0 src0=0 src1=1 src2=1
	v_add3_u32 v44, v44, v169 /*v425*/, v176 /*v432*/
	s_set_vgpr_msb 64                       ;  msbs: dst=1 src0=0 src1=0 src2=0
	v_bfe_u32 v169 /*v425*/, v117, 4, 4
	s_set_vgpr_msb 5                        ;  msbs: dst=0 src0=1 src1=1 src2=0
	v_mul_i32_i24_e32 v153, v168 /*v424*/, v171 /*v427*/
	s_set_vgpr_msb 0x41                     ;  msbs: dst=1 src0=1 src1=0 src2=0
	v_bfe_i32 v171 /*v427*/, v205 /*v461*/, 0, 8
	s_set_vgpr_msb 20                       ;  msbs: dst=0 src0=0 src1=1 src2=1
	v_add3_u32 v46, v46, v178 /*v434*/, v179 /*v435*/
	v_add3_u32 v48, v48, v191 /*v447*/, v200 /*v456*/
	s_set_vgpr_msb 64                       ;  msbs: dst=1 src0=0 src1=0 src2=0
	v_mul_i32_i24_e32 v177 /*v433*/, v156, v236
	v_mul_i32_i24_e32 v178 /*v434*/, v55, v238
	;; [unrolled: 1-line block ×4, first 2 shown]
	s_set_vgpr_msb 0x44                     ;  msbs: dst=1 src0=0 src1=1 src2=0
	v_mul_i32_i24_e32 v187 /*v443*/, v156, v92 /*v348*/
	v_mul_i32_i24_e32 v191 /*v447*/, v55, v93 /*v349*/
	;; [unrolled: 1-line block ×4, first 2 shown]
	s_set_vgpr_msb 4                        ;  msbs: dst=0 src0=0 src1=1 src2=0
	v_mul_i32_i24_e32 v151, v155, v164 /*v420*/
	v_mul_i32_i24_e32 v152, v154, v137 /*v393*/
	s_set_vgpr_msb 5                        ;  msbs: dst=0 src0=1 src1=1 src2=0
	v_mul_i32_i24_e32 v117, v169 /*v425*/, v170 /*v426*/
	v_mul_i32_i24_e32 v154, v167 /*v423*/, v172 /*v428*/
	;; [unrolled: 1-line block ×3, first 2 shown]
	s_set_vgpr_msb 0x45                     ;  msbs: dst=1 src0=1 src1=1 src2=0
	v_mul_i32_i24_e32 v172 /*v428*/, v171 /*v427*/, v58 /*v314*/
	s_set_vgpr_msb 0x44                     ;  msbs: dst=1 src0=0 src1=1 src2=0
	v_mul_i32_i24_e32 v175 /*v431*/, v141, v59 /*v315*/
	s_set_vgpr_msb 20                       ;  msbs: dst=0 src0=0 src1=1 src2=1
	v_add3_u32 v46, v46, v177 /*v433*/, v178 /*v434*/
	v_add3_u32 v48, v48, v187 /*v443*/, v191 /*v447*/
	s_set_vgpr_msb 0x41                     ;  msbs: dst=1 src0=1 src1=0 src2=0
	v_bfe_i32 v170 /*v426*/, v205 /*v461*/, 16, 8
	v_mul_i32_i24_e32 v178 /*v434*/, v171 /*v427*/, v242
	s_set_vgpr_msb 0x45                     ;  msbs: dst=1 src0=1 src1=1 src2=0
	v_mul_i32_i24_e32 v191 /*v447*/, v171 /*v427*/, v95 /*v351*/
	s_set_vgpr_msb 0                        ;  msbs: dst=0 src0=0 src1=0 src2=0
	v_add3_u32 v3, v3, v117, v153
	s_set_vgpr_msb 20                       ;  msbs: dst=0 src0=0 src1=1 src2=1
	v_add3_u32 v44, v44, v172 /*v428*/, v175 /*v431*/
	s_set_vgpr_msb 5                        ;  msbs: dst=0 src0=1 src1=1 src2=0
	v_mul_i32_i24_e32 v117, v171 /*v427*/, v169 /*v425*/
	s_set_vgpr_msb 0x44                     ;  msbs: dst=1 src0=0 src1=1 src2=0
	v_and_b32_e32 v171 /*v427*/, 0xffff, v225 /*v481*/
	v_bfe_u32 v172 /*v428*/, v2, 4, 4
	s_set_vgpr_msb 20                       ;  msbs: dst=0 src0=0 src1=1 src2=1
	v_add3_u32 v46, v46, v179 /*v435*/, v180 /*v436*/
	v_add3_u32 v48, v48, v200 /*v456*/, v201 /*v457*/
	v_mul_i32_i24_e32 v116, v156, v166 /*v422*/
	v_ashrrev_i32_e32 v156, 24, v205 /*v461*/
	s_set_vgpr_msb 0x45                     ;  msbs: dst=1 src0=1 src1=1 src2=0
	v_mul_i32_i24_e32 v176 /*v432*/, v170 /*v426*/, v64 /*v320*/
	s_set_vgpr_msb 0x41                     ;  msbs: dst=1 src0=1 src1=0 src2=0
	v_mul_i32_i24_e32 v180 /*v436*/, v170 /*v426*/, v245
	s_set_vgpr_msb 0x45                     ;  msbs: dst=1 src0=1 src1=1 src2=0
	v_mul_i32_i24_e32 v201 /*v457*/, v170 /*v426*/, v98 /*v354*/
	s_set_vgpr_msb 0                        ;  msbs: dst=0 src0=0 src1=0 src2=0
	v_add3_u32 v3, v3, v154, v155
	s_set_vgpr_msb 5                        ;  msbs: dst=0 src0=1 src1=1 src2=0
	v_mul_i32_i24_e32 v153, v170 /*v426*/, v167 /*v423*/
	s_set_vgpr_msb 64                       ;  msbs: dst=1 src0=0 src1=0 src2=0
	v_bfe_u32 v170 /*v426*/, v2, 20, 4
	s_set_vgpr_msb 1                        ;  msbs: dst=0 src0=1 src1=0 src2=0
	v_mul_i32_i24_e32 v2, v172 /*v428*/, v122
	v_mul_i32_i24_e32 v122, v171 /*v427*/, v123
	s_set_vgpr_msb 0x44                     ;  msbs: dst=1 src0=0 src1=1 src2=0
	v_mul_i32_i24_e32 v177 /*v433*/, v156, v61 /*v317*/
	s_set_vgpr_msb 5                        ;  msbs: dst=0 src0=1 src1=1 src2=0
	v_mul_i32_i24_e32 v155, v139 /*v395*/, v174 /*v430*/
	v_mul_i32_i24_e32 v123, v170 /*v426*/, v173 /*v429*/
	s_set_vgpr_msb 0x41                     ;  msbs: dst=1 src0=1 src1=0 src2=0
	v_bfe_i32 v174 /*v430*/, v206 /*v462*/, 0, 8
	s_set_vgpr_msb 0                        ;  msbs: dst=0 src0=0 src1=0 src2=0
	v_add3_u32 v2, v3, v2, v122
	s_set_vgpr_msb 64                       ;  msbs: dst=1 src0=0 src1=0 src2=0
	v_mul_i32_i24_e32 v179 /*v435*/, v141, v243
	v_mul_i32_i24_e32 v187 /*v443*/, v156, v244
	s_set_vgpr_msb 0x44                     ;  msbs: dst=1 src0=0 src1=1 src2=0
	v_mul_i32_i24_e32 v202 /*v458*/, v156, v97 /*v353*/
	s_set_vgpr_msb 20                       ;  msbs: dst=0 src0=0 src1=1 src2=1
	v_add3_u32 v44, v44, v176 /*v432*/, v177 /*v433*/
	v_mul_i32_i24_e32 v154, v156, v138 /*v394*/
	v_ashrrev_i32_e32 v156, 24, v206 /*v462*/
	s_set_vgpr_msb 0x45                     ;  msbs: dst=1 src0=1 src1=1 src2=0
	v_bfe_i32 v173 /*v429*/, v206 /*v462*/, 16, 8
	v_mul_i32_i24_e32 v175 /*v431*/, v174 /*v430*/, v66 /*v322*/
	s_set_vgpr_msb 0x44                     ;  msbs: dst=1 src0=0 src1=1 src2=0
	v_mul_i32_i24_e32 v176 /*v432*/, v142, v67 /*v323*/
	s_set_vgpr_msb 0                        ;  msbs: dst=0 src0=0 src1=0 src2=0
	v_add3_u32 v2, v2, v123, v155
	s_set_vgpr_msb 20                       ;  msbs: dst=0 src0=0 src1=1 src2=1
	v_add3_u32 v46, v46, v178 /*v434*/, v179 /*v435*/
	s_set_vgpr_msb 0x45                     ;  msbs: dst=1 src0=1 src1=1 src2=0
	v_mul_i32_i24_e32 v177 /*v433*/, v173 /*v429*/, v74 /*v330*/
	s_set_vgpr_msb 0x44                     ;  msbs: dst=1 src0=0 src1=1 src2=0
	v_mul_i32_i24_e32 v178 /*v434*/, v156, v70 /*v326*/
	s_set_vgpr_msb 21                       ;  msbs: dst=0 src0=1 src1=1 src2=1
	v_add3_u32 v3, v183 /*v439*/, v181 /*v437*/, v182 /*v438*/
	s_set_vgpr_msb 20                       ;  msbs: dst=0 src0=0 src1=1 src2=1
	v_add3_u32 v122, v2, v226 /*v482*/, v227 /*v483*/
	v_add3_u32 v2, v44, v175 /*v431*/, v176 /*v432*/
	s_set_vgpr_msb 0x44                     ;  msbs: dst=1 src0=0 src1=1 src2=0
	v_mul_i32_i24_e32 v200 /*v456*/, v141, v96 /*v352*/
	s_set_vgpr_msb 20                       ;  msbs: dst=0 src0=0 src1=1 src2=1
	v_add3_u32 v46, v46, v180 /*v436*/, v187 /*v443*/
	s_set_vgpr_msb 0x41                     ;  msbs: dst=1 src0=1 src1=0 src2=0
	v_mul_i32_i24_e32 v179 /*v435*/, v174 /*v430*/, v248
	s_set_vgpr_msb 64                       ;  msbs: dst=1 src0=0 src1=0 src2=0
	v_mul_i32_i24_e32 v180 /*v436*/, v142, v249
	s_set_vgpr_msb 20                       ;  msbs: dst=0 src0=0 src1=1 src2=1
	v_add3_u32 v2, v2, v177 /*v433*/, v178 /*v434*/
	v_add3_u32 v48, v48, v191 /*v447*/, v200 /*v456*/
	s_set_vgpr_msb 0x45                     ;  msbs: dst=1 src0=1 src1=1 src2=0
	v_mul_i32_i24_e32 v187 /*v443*/, v173 /*v429*/, v1 /*v257*/
	s_set_vgpr_msb 64                       ;  msbs: dst=1 src0=0 src1=0 src2=0
	v_mul_i32_i24_e32 v191 /*v447*/, v156, v252
	s_set_vgpr_msb 0x45                     ;  msbs: dst=1 src0=1 src1=1 src2=0
	v_mul_i32_i24_e32 v200 /*v456*/, v174 /*v430*/, v99 /*v355*/
	s_set_vgpr_msb 0                        ;  msbs: dst=0 src0=0 src1=0 src2=0
	v_add3_u32 v2, v2, v20, v22
	s_set_vgpr_msb 20                       ;  msbs: dst=0 src0=0 src1=1 src2=1
	v_add3_u32 v48, v48, v201 /*v457*/, v202 /*v458*/
	s_set_vgpr_msb 0x44                     ;  msbs: dst=1 src0=0 src1=1 src2=0
	v_mul_i32_i24_e32 v201 /*v457*/, v142, v100 /*v356*/
	s_set_vgpr_msb 0x45                     ;  msbs: dst=1 src0=1 src1=1 src2=0
	v_mul_i32_i24_e32 v202 /*v458*/, v173 /*v429*/, v103 /*v359*/
	s_set_vgpr_msb 0x44                     ;  msbs: dst=1 src0=0 src1=1 src2=0
	v_mul_i32_i24_e32 v203 /*v459*/, v156, v101 /*v357*/
	s_set_vgpr_msb 0                        ;  msbs: dst=0 src0=0 src1=0 src2=0
	v_add3_u32 v2, v2, v146, v147
	s_set_vgpr_msb 4                        ;  msbs: dst=0 src0=0 src1=1 src2=0
	v_mul_i32_i24_e32 v38, v38, v143 /*v399*/
	v_mul_i32_i24_e32 v25, v25, v159 /*v415*/
	;; [unrolled: 1-line block ×3, first 2 shown]
	v_mad_i32_i24 v19, v19, v152 /*v408*/, v21
	s_set_vgpr_msb 0                        ;  msbs: dst=0 src0=0 src1=0 src2=0
	v_mul_lo_u32 v20, v2, v103
	v_mul_lo_u32 v2, v3, v103
	s_set_vgpr_msb 4                        ;  msbs: dst=0 src0=0 src1=1 src2=0
	v_mad_i32_i24 v21, v42, v154 /*v410*/, v52
	v_mul_i32_i24_e32 v55, v55, v165 /*v421*/
	v_mul_i32_i24_e32 v141, v141, v168 /*v424*/
	s_set_vgpr_msb 0                        ;  msbs: dst=0 src0=0 src1=0 src2=0
	v_add3_u32 v19, v19, v25, v29
	s_set_vgpr_msb 4                        ;  msbs: dst=0 src0=0 src1=1 src2=0
	v_mul_i32_i24_e32 v22, v143, v145 /*v401*/
	s_set_vgpr_msb 0                        ;  msbs: dst=0 src0=0 src1=0 src2=0
	v_add3_u32 v21, v21, v118, v119
	v_add3_u32 v19, v19, v55, v141
	v_cvt_f32_i32_e32 v3, v20
	v_cvt_f32_i32_e32 v2, v2
	s_set_vgpr_msb 4                        ;  msbs: dst=0 src0=0 src1=1 src2=0
	v_mul_i32_i24_e32 v20, v156, v139 /*v395*/
	s_set_vgpr_msb 0                        ;  msbs: dst=0 src0=0 src1=0 src2=0
	v_add3_u32 v21, v21, v116, v117
	s_set_vgpr_msb 4                        ;  msbs: dst=0 src0=0 src1=1 src2=0
	v_pk_fma_f32 v[116:117], v[114:115], v[196:197] /*v[452:453]*/, 0 op_sel_hi:[0,1,0]
	s_set_vgpr_msb 17                       ;  msbs: dst=0 src0=1 src1=0 src2=1
	v_pk_fma_f32 v[2:3], v[192:193] /*v[448:449]*/, v[2:3], v[198:199] /*v[454:455]*/
	s_set_vgpr_msb 0                        ;  msbs: dst=0 src0=0 src1=0 src2=0
	s_delay_alu instid0(VALU_DEP_2) | instskip(SKIP_1) | instid1(VALU_DEP_2)
	v_pk_fma_f32 v[0:1], v[112:113], v[0:1], v[116:117] op_sel_hi:[0,1,1]
	s_set_vgpr_msb 16                       ;  msbs: dst=0 src0=0 src1=0 src2=1
	v_pk_fma_f32 v[2:3], v[2:3], v[4:5], v[208:209] /*v[464:465]*/ neg_lo:[0,0,1] neg_hi:[0,0,1]
	s_delay_alu instid0(VALU_DEP_2) | instskip(NEXT) | instid1(VALU_DEP_2)
	v_pk_mul_f32 v[0:1], v[0:1], v[98:99]
	v_pk_add_f32 v[68:69], v[68:69], v[2:3]
	s_set_vgpr_msb 20                       ;  msbs: dst=0 src0=0 src1=1 src2=1
	v_add3_u32 v2, v46, v179 /*v435*/, v180 /*v436*/
	s_set_vgpr_msb 21                       ;  msbs: dst=0 src0=1 src1=1 src2=1
	v_add3_u32 v3, v186 /*v442*/, v184 /*v440*/, v185 /*v441*/
	s_set_vgpr_msb 20                       ;  msbs: dst=0 src0=0 src1=1 src2=1
	s_delay_alu instid0(VALU_DEP_2) | instskip(SKIP_1) | instid1(VALU_DEP_1)
	v_add3_u32 v2, v2, v187 /*v443*/, v191 /*v447*/
	s_set_vgpr_msb 0                        ;  msbs: dst=0 src0=0 src1=0 src2=0
	v_add3_u32 v2, v2, v18, v24
	s_set_vgpr_msb 4                        ;  msbs: dst=0 src0=0 src1=1 src2=0
	v_mul_i32_i24_e32 v24, v145, v140 /*v396*/
	s_set_vgpr_msb 0                        ;  msbs: dst=0 src0=0 src1=0 src2=0
	s_delay_alu instid0(VALU_DEP_2)
	v_add3_u32 v2, v2, v26, v28
	v_add3_u32 v28, v38, v120, v148
	s_set_vgpr_msb 5                        ;  msbs: dst=0 src0=1 src1=1 src2=0
	v_mul_i32_i24_e32 v26, v207 /*v463*/, v148 /*v404*/
	s_set_vgpr_msb 0                        ;  msbs: dst=0 src0=0 src1=0 src2=0
	v_mul_lo_u32 v18, v2, v166
	v_mul_lo_u32 v2, v3, v166
	v_add3_u32 v28, v28, v150, v152
	s_delay_alu instid0(VALU_DEP_1) | instskip(NEXT) | instid1(VALU_DEP_4)
	v_add3_u32 v20, v28, v154, v20
	v_cvt_f32_i32_e32 v3, v18
	s_delay_alu instid0(VALU_DEP_4) | instskip(SKIP_1) | instid1(VALU_DEP_1)
	v_cvt_f32_i32_e32 v2, v2
	s_set_vgpr_msb 17                       ;  msbs: dst=0 src0=1 src1=0 src2=1
	v_pk_fma_f32 v[2:3], v[192:193] /*v[448:449]*/, v[2:3], v[210:211] /*v[466:467]*/
	s_set_vgpr_msb 16                       ;  msbs: dst=0 src0=0 src1=0 src2=1
	s_delay_alu instid0(VALU_DEP_1) | instskip(NEXT) | instid1(VALU_DEP_1)
	v_pk_fma_f32 v[2:3], v[2:3], v[6:7], v[212:213] /*v[468:469]*/ neg_lo:[0,0,1] neg_hi:[0,0,1]
	v_pk_add_f32 v[76:77], v[76:77], v[2:3]
	s_set_vgpr_msb 20                       ;  msbs: dst=0 src0=0 src1=1 src2=1
	v_add3_u32 v2, v48, v200 /*v456*/, v201 /*v457*/
	s_set_vgpr_msb 21                       ;  msbs: dst=0 src0=1 src1=1 src2=1
	v_add3_u32 v3, v190 /*v446*/, v188 /*v444*/, v189 /*v445*/
	s_set_vgpr_msb 20                       ;  msbs: dst=0 src0=0 src1=1 src2=1
	s_delay_alu instid0(VALU_DEP_2) | instskip(SKIP_1) | instid1(VALU_DEP_1)
	v_add3_u32 v2, v2, v202 /*v458*/, v203 /*v459*/
	s_set_vgpr_msb 0                        ;  msbs: dst=0 src0=0 src1=0 src2=0
	v_add3_u32 v2, v2, v30, v32
	v_add3_u32 v30, v40, v53, v121
	s_delay_alu instid0(VALU_DEP_2) | instskip(NEXT) | instid1(VALU_DEP_2)
	v_add3_u32 v2, v2, v34, v36
	v_add3_u32 v25, v30, v149, v151
	s_delay_alu instid0(VALU_DEP_2) | instskip(SKIP_1) | instid1(VALU_DEP_2)
	v_mul_lo_u32 v18, v2, v168
	v_mul_lo_u32 v2, v3, v168
	v_cvt_f32_i32_e32 v3, v18
	s_delay_alu instid0(VALU_DEP_2) | instskip(SKIP_3) | instid1(VALU_DEP_2)
	v_cvt_f32_i32_e32 v2, v2
	s_set_vgpr_msb 5                        ;  msbs: dst=0 src0=1 src1=1 src2=0
	v_mul_i32_i24_e32 v18, v173 /*v429*/, v170 /*v426*/
	s_set_vgpr_msb 17                       ;  msbs: dst=0 src0=1 src1=0 src2=1
	v_pk_fma_f32 v[2:3], v[192:193] /*v[448:449]*/, v[2:3], v[214:215] /*v[470:471]*/
	s_set_vgpr_msb 0                        ;  msbs: dst=0 src0=0 src1=0 src2=0
	s_delay_alu instid0(VALU_DEP_2) | instskip(SKIP_1) | instid1(VALU_DEP_2)
	v_add3_u32 v18, v25, v153, v18
	s_set_vgpr_msb 16                       ;  msbs: dst=0 src0=0 src1=0 src2=1
	v_pk_fma_f32 v[2:3], v[2:3], v[88:89], v[216:217] /*v[472:473]*/ neg_lo:[0,0,1] neg_hi:[0,0,1]
	s_delay_alu instid0(VALU_DEP_1)
	v_pk_add_f32 v[82:83], v[82:83], v[2:3]
	s_set_vgpr_msb 5                        ;  msbs: dst=0 src0=1 src1=1 src2=0
	v_mul_i32_i24_e32 v2, v174 /*v430*/, v172 /*v428*/
	s_set_vgpr_msb 4                        ;  msbs: dst=0 src0=0 src1=1 src2=0
	v_mul_i32_i24_e32 v3, v142, v171 /*v427*/
	s_set_vgpr_msb 0                        ;  msbs: dst=0 src0=0 src1=0 src2=0
	s_delay_alu instid0(VALU_DEP_2) | instskip(NEXT) | instid1(VALU_DEP_2)
	v_add3_u32 v2, v21, v2, v18
	v_add3_u32 v3, v19, v3, v20
	s_set_vgpr_msb 4                        ;  msbs: dst=0 src0=0 src1=1 src2=0
	v_mad_i32_i24 v19, v144, v146 /*v402*/, v24
	s_set_vgpr_msb 0                        ;  msbs: dst=0 src0=0 src1=0 src2=0
	s_delay_alu instid0(VALU_DEP_2)
	v_add3_u32 v18, v2, v3, v22
	s_set_vgpr_msb 5                        ;  msbs: dst=0 src0=1 src1=1 src2=0
	v_mul_lo_u32 v2, v218 /*v474*/, v108 /*v364*/
	s_set_vgpr_msb 4                        ;  msbs: dst=0 src0=0 src1=1 src2=0
	v_mul_lo_u32 v3, v9, v108 /*v364*/
	s_set_vgpr_msb 0                        ;  msbs: dst=0 src0=0 src1=0 src2=0
	v_add3_u32 v9, v18, v19, v26
	s_set_vgpr_msb 20                       ;  msbs: dst=0 src0=0 src1=1 src2=1
	v_add3_u32 v18, v122, v228 /*v484*/, v229 /*v485*/
	s_delay_alu instid0(VALU_DEP_2) | instskip(NEXT) | instid1(VALU_DEP_2)
	v_mul_lo_u32 v9, v9, v107 /*v363*/
	v_mul_lo_u32 v18, v18, v107 /*v363*/
	v_cvt_f32_i32_e32 v2, v2
	v_cvt_f32_i32_e32 v3, v3
	s_set_vgpr_msb 1                        ;  msbs: dst=0 src0=1 src1=0 src2=0
	s_delay_alu instid0(VALU_DEP_1) | instskip(SKIP_4) | instid1(VALU_DEP_1)
	v_pk_fma_f32 v[2:3], v[194:195] /*v[450:451]*/, v[2:3], 0 op_sel_hi:[1,1,0]
	s_set_vgpr_msb 0                        ;  msbs: dst=0 src0=0 src1=0 src2=0
	v_cvt_f32_i32_e32 v119, v9
	v_cvt_f32_i32_e32 v118, v18
	s_set_vgpr_msb 1                        ;  msbs: dst=0 src0=1 src1=0 src2=0
	v_pk_fma_f32 v[2:3], v[192:193] /*v[448:449]*/, v[118:119], v[2:3]
	s_set_vgpr_msb 0                        ;  msbs: dst=0 src0=0 src1=0 src2=0
	s_delay_alu instid0(VALU_DEP_1) | instskip(NEXT) | instid1(VALU_DEP_1)
	v_pk_fma_f32 v[0:1], v[2:3], v[90:91], v[0:1] neg_lo:[0,0,1] neg_hi:[0,0,1]
	v_pk_add_f32 v[86:87], v[86:87], v[0:1]
	v_or_b32_e32 v0, s8, v131
	s_delay_alu instid0(VALU_DEP_1)
	v_dual_lshlrev_b32 v9, 2, v0 :: v_dual_lshrrev_b32 v18, 1, v0
	ds_load_b128 v[0:3], v9 offset:16896
	ds_load_b128 v[116:119], v9 offset:16912
	;; [unrolled: 1-line block ×3, first 2 shown]
	s_set_vgpr_msb 64                       ;  msbs: dst=1 src0=0 src1=0 src2=0
	ds_load_b128 v[174:177] /*v[430:433]*/, v9 offset:16944
	s_wait_dscnt 0x3
	s_set_vgpr_msb 0                        ;  msbs: dst=0 src0=0 src1=0 src2=0
	v_bfe_i32 v9, v0, 0, 8
	v_bfe_i32 v19, v0, 8, 8
	v_bfe_i32 v20, v0, 16, 8
	v_ashrrev_i32_e32 v21, 24, v0
	s_wait_dscnt 0x2
	v_bfe_i32 v48, v117, 0, 8
	v_bfe_i32 v52, v117, 8, 8
	;; [unrolled: 1-line block ×3, first 2 shown]
	v_ashrrev_i32_e32 v55, 24, v117
	v_mul_i32_i24_e32 v117, v9, v202
	v_bfe_i32 v22, v1, 0, 8
	v_bfe_i32 v24, v1, 8, 8
	;; [unrolled: 1-line block ×3, first 2 shown]
	v_ashrrev_i32_e32 v26, 24, v1
	ds_load_b64 v[0:1], v18 offset:27200
	s_wait_dscnt 0x2
	v_bfe_i32 v18, v120, 0, 8
	v_bfe_i32 v147, v120, 8, 8
	;; [unrolled: 1-line block ×3, first 2 shown]
	v_ashrrev_i32_e32 v149, 24, v120
	v_bfe_i32 v153, v122, 0, 8
	v_bfe_i32 v154, v122, 8, 8
	;; [unrolled: 1-line block ×3, first 2 shown]
	v_ashrrev_i32_e32 v156, 24, v122
	v_mul_i32_i24_e32 v120, v20, v206
	v_mul_i32_i24_e32 v122, v21, v209
	v_mad_i32_i24 v117, v19, v200, v117
	v_bfe_i32 v28, v2, 0, 8
	v_bfe_i32 v29, v2, 8, 8
	s_set_vgpr_msb 64                       ;  msbs: dst=1 src0=0 src1=0 src2=0
	v_bfe_i32 v181 /*v437*/, v123, 0, 8
	v_bfe_i32 v182 /*v438*/, v123, 8, 8
	s_set_vgpr_msb 0                        ;  msbs: dst=0 src0=0 src1=0 src2=0
	v_add3_u32 v117, v117, v120, v122
	v_mul_i32_i24_e32 v120, v22, v211
	v_mul_i32_i24_e32 v122, v24, v214
	s_set_vgpr_msb 64                       ;  msbs: dst=1 src0=0 src1=0 src2=0
	v_bfe_i32 v183 /*v439*/, v123, 16, 8
	v_ashrrev_i32_e32 v184 /*v440*/, 24, v123
	s_set_vgpr_msb 0                        ;  msbs: dst=0 src0=0 src1=0 src2=0
	v_mul_i32_i24_e32 v123, v25, v216
	s_set_vgpr_msb 64                       ;  msbs: dst=1 src0=0 src1=0 src2=0
	v_mul_i32_i24_e32 v173 /*v429*/, v26, v220
	s_set_vgpr_msb 0                        ;  msbs: dst=0 src0=0 src1=0 src2=0
	v_add3_u32 v117, v117, v120, v122
	v_bfe_i32 v30, v2, 16, 8
	v_ashrrev_i32_e32 v32, 24, v2
	s_wait_dscnt 0x1
	s_set_vgpr_msb 0x41                     ;  msbs: dst=1 src0=1 src1=0 src2=0
	v_bfe_i32 v185 /*v441*/, v174 /*v430*/, 0, 8
	v_bfe_i32 v186 /*v442*/, v174 /*v430*/, 8, 8
	;; [unrolled: 1-line block ×3, first 2 shown]
	s_set_vgpr_msb 0x44                     ;  msbs: dst=1 src0=0 src1=1 src2=0
	v_ashrrev_i32_e32 v188 /*v444*/, 24, v174 /*v430*/
	s_set_vgpr_msb 0x41                     ;  msbs: dst=1 src0=1 src1=0 src2=0
	v_bfe_i32 v189 /*v445*/, v175 /*v431*/, 0, 8
	v_bfe_i32 v190 /*v446*/, v175 /*v431*/, 8, 8
	;; [unrolled: 1-line block ×3, first 2 shown]
	s_set_vgpr_msb 0x44                     ;  msbs: dst=1 src0=0 src1=1 src2=0
	v_dual_ashrrev_i32 v192 /*v448*/, 24, v175 /*v431*/ :: v_dual_ashrrev_i32 v196 /*v452*/, 24, v176 /*v432*/
	s_set_vgpr_msb 64                       ;  msbs: dst=1 src0=0 src1=0 src2=0
	v_mul_i32_i24_e32 v174 /*v430*/, v28, v225
	v_mul_i32_i24_e32 v175 /*v431*/, v29, v227
	s_set_vgpr_msb 16                       ;  msbs: dst=0 src0=0 src1=0 src2=1
	v_add3_u32 v117, v117, v123, v173 /*v429*/
	v_bfe_i32 v34, v3, 0, 8
	v_bfe_i32 v36, v3, 8, 8
	s_set_vgpr_msb 0x41                     ;  msbs: dst=1 src0=1 src1=0 src2=0
	v_bfe_i32 v193 /*v449*/, v176 /*v432*/, 0, 8
	v_bfe_i32 v194 /*v450*/, v176 /*v432*/, 8, 8
	;; [unrolled: 1-line block ×6, first 2 shown]
	s_set_vgpr_msb 0x44                     ;  msbs: dst=1 src0=0 src1=1 src2=0
	v_ashrrev_i32_e32 v200 /*v456*/, 24, v177 /*v433*/
	s_set_vgpr_msb 64                       ;  msbs: dst=1 src0=0 src1=0 src2=0
	v_mul_i32_i24_e32 v176 /*v432*/, v30, v228
	v_mul_i32_i24_e32 v177 /*v433*/, v32, v230
	s_set_vgpr_msb 20                       ;  msbs: dst=0 src0=0 src1=1 src2=1
	v_add3_u32 v117, v117, v174 /*v430*/, v175 /*v431*/
	v_bfe_i32 v38, v3, 16, 8
	s_set_vgpr_msb 0                        ;  msbs: dst=0 src0=0 src1=0 src2=0
	v_dual_ashrrev_i32 v3, 24, v3 :: v_dual_ashrrev_i32 v46, 24, v116
	s_set_vgpr_msb 64                       ;  msbs: dst=1 src0=0 src1=0 src2=0
	v_mul_i32_i24_e32 v178 /*v434*/, v34, v235
	v_mul_i32_i24_e32 v179 /*v435*/, v36, v237
	s_set_vgpr_msb 20                       ;  msbs: dst=0 src0=0 src1=1 src2=1
	v_add3_u32 v117, v117, v176 /*v432*/, v177 /*v433*/
	v_bfe_i32 v40, v116, 0, 8
	v_bfe_i32 v42, v116, 8, 8
	s_set_vgpr_msb 64                       ;  msbs: dst=1 src0=0 src1=0 src2=0
	v_mul_i32_i24_e32 v180 /*v436*/, v38, v239
	v_mul_i32_i24_e32 v201 /*v457*/, v3, v241
	s_set_vgpr_msb 20                       ;  msbs: dst=0 src0=0 src1=1 src2=1
	v_add3_u32 v117, v117, v178 /*v434*/, v179 /*v435*/
	v_bfe_i32 v44, v116, 16, 8
	s_set_vgpr_msb 64                       ;  msbs: dst=1 src0=0 src1=0 src2=0
	v_mul_i32_i24_e32 v202 /*v458*/, v40, v247
	v_mul_i32_i24_e32 v203 /*v459*/, v42, v251
	s_set_vgpr_msb 0x44                     ;  msbs: dst=1 src0=0 src1=1 src2=0
	v_mul_i32_i24_e32 v205 /*v461*/, v46, v0 /*v256*/
	s_set_vgpr_msb 20                       ;  msbs: dst=0 src0=0 src1=1 src2=1
	v_add3_u32 v117, v117, v180 /*v436*/, v201 /*v457*/
	s_set_vgpr_msb 64                       ;  msbs: dst=1 src0=0 src1=0 src2=0
	v_mul_i32_i24_e32 v204 /*v460*/, v44, v253
	s_set_vgpr_msb 0x41                     ;  msbs: dst=1 src0=1 src1=0 src2=0
	v_mul_i32_i24_e32 v206 /*v462*/, v9 /*v265*/, v48
	v_mul_i32_i24_e32 v207 /*v463*/, v4 /*v260*/, v52
	s_set_vgpr_msb 20                       ;  msbs: dst=0 src0=0 src1=1 src2=1
	v_bfe_i32 v141, v118, 0, 8
	v_add3_u32 v117, v117, v202 /*v458*/, v203 /*v459*/
	v_bfe_i32 v142, v118, 8, 8
	v_bfe_i32 v143, v118, 16, 8
	s_set_vgpr_msb 0                        ;  msbs: dst=0 src0=0 src1=0 src2=0
	v_ashrrev_i32_e32 v118, 24, v118
	s_set_vgpr_msb 0x41                     ;  msbs: dst=1 src0=1 src1=0 src2=0
	v_mul_i32_i24_e32 v208 /*v464*/, v13 /*v269*/, v53
	s_set_vgpr_msb 20                       ;  msbs: dst=0 src0=0 src1=1 src2=1
	v_add3_u32 v117, v117, v204 /*v460*/, v205 /*v461*/
	s_set_vgpr_msb 0x41                     ;  msbs: dst=1 src0=1 src1=0 src2=0
	v_mul_i32_i24_e32 v209 /*v465*/, v10 /*v266*/, v55
	v_mul_i32_i24_e32 v210 /*v466*/, v18 /*v274*/, v141
	v_mul_i32_i24_e32 v211 /*v467*/, v15 /*v271*/, v142
	s_set_vgpr_msb 20                       ;  msbs: dst=0 src0=0 src1=1 src2=1
	v_bfe_i32 v144, v119, 0, 8
	v_add3_u32 v117, v117, v206 /*v462*/, v207 /*v463*/
	v_bfe_i32 v145, v119, 8, 8
	s_set_vgpr_msb 0x41                     ;  msbs: dst=1 src0=1 src1=0 src2=0
	v_mul_i32_i24_e32 v212 /*v468*/, v22 /*v278*/, v143
	v_mul_i32_i24_e32 v213 /*v469*/, v19 /*v275*/, v118
	s_set_vgpr_msb 20                       ;  msbs: dst=0 src0=0 src1=1 src2=1
	v_bfe_i32 v146, v119, 16, 8
	v_add3_u32 v117, v117, v208 /*v464*/, v209 /*v465*/
	s_wait_dscnt 0x0
	s_set_vgpr_msb 0                        ;  msbs: dst=0 src0=0 src1=0 src2=0
	v_dual_ashrrev_i32 v119, 24, v119 :: v_dual_lshrrev_b32 v2, 16, v0
	s_set_vgpr_msb 0x41                     ;  msbs: dst=1 src0=1 src1=0 src2=0
	v_mul_i32_i24_e32 v214 /*v470*/, v31 /*v287*/, v144
	v_mul_i32_i24_e32 v215 /*v471*/, v26 /*v282*/, v145
	s_set_vgpr_msb 20                       ;  msbs: dst=0 src0=0 src1=1 src2=1
	v_add3_u32 v117, v117, v210 /*v466*/, v211 /*v467*/
	s_set_vgpr_msb 0x41                     ;  msbs: dst=1 src0=1 src1=0 src2=0
	v_mul_i32_i24_e32 v216 /*v472*/, v35 /*v291*/, v146
	v_mul_i32_i24_e32 v217 /*v473*/, v32 /*v288*/, v119
	s_set_vgpr_msb 20                       ;  msbs: dst=0 src0=0 src1=1 src2=1
	v_bfe_i32 v150, v121, 0, 8
	v_bfe_i32 v151, v121, 8, 8
	v_add3_u32 v117, v117, v212 /*v468*/, v213 /*v469*/
	v_bfe_i32 v152, v121, 16, 8
	s_set_vgpr_msb 0                        ;  msbs: dst=0 src0=0 src1=0 src2=0
	v_ashrrev_i32_e32 v121, 24, v121
	s_set_vgpr_msb 20                       ;  msbs: dst=0 src0=0 src1=1 src2=1
	v_mul_i32_i24_e32 v120, v148, v21 /*v277*/
	v_mul_i32_i24_e32 v122, v149, v29 /*v285*/
	v_add3_u32 v117, v117, v214 /*v470*/, v215 /*v471*/
	v_mul_i32_i24_e32 v123, v152, v27 /*v283*/
	s_set_vgpr_msb 0x54                     ;  msbs: dst=1 src0=0 src1=1 src2=1
	v_mul_i32_i24_e32 v174 /*v430*/, v121, v38 /*v294*/
	v_mul_i32_i24_e32 v175 /*v431*/, v153, v40 /*v296*/
	;; [unrolled: 1-line block ×3, first 2 shown]
	v_add3_u32 v173 /*v429*/, v117, v216 /*v472*/, v217 /*v473*/
	s_set_vgpr_msb 4                        ;  msbs: dst=0 src0=0 src1=1 src2=0
	v_mul_i32_i24_e32 v117, v18, v24 /*v280*/
	s_set_vgpr_msb 0                        ;  msbs: dst=0 src0=0 src1=0 src2=0
	v_lshrrev_b32_e32 v116, 16, v1
	s_set_vgpr_msb 0x44                     ;  msbs: dst=1 src0=0 src1=1 src2=0
	v_mul_i32_i24_e32 v177 /*v433*/, v155, v37 /*v293*/
	v_mul_i32_i24_e32 v180 /*v436*/, v156, v45 /*v301*/
	s_set_vgpr_msb 0x45                     ;  msbs: dst=1 src0=1 src1=1 src2=0
	v_mul_i32_i24_e32 v201 /*v457*/, v181 /*v437*/, v47 /*v303*/
	s_set_vgpr_msb 4                        ;  msbs: dst=0 src0=0 src1=1 src2=0
	v_mad_i32_i24 v117, v147, v23 /*v279*/, v117
	s_set_vgpr_msb 0x45                     ;  msbs: dst=1 src0=1 src1=1 src2=0
	v_mul_i32_i24_e32 v202 /*v458*/, v182 /*v438*/, v49 /*v305*/
	v_mul_i32_i24_e32 v203 /*v459*/, v183 /*v439*/, v43 /*v299*/
	;; [unrolled: 1-line block ×4, first 2 shown]
	s_set_vgpr_msb 0                        ;  msbs: dst=0 src0=0 src1=0 src2=0
	v_add3_u32 v117, v117, v120, v122
	s_set_vgpr_msb 4                        ;  msbs: dst=0 src0=0 src1=1 src2=0
	v_mul_i32_i24_e32 v120, v150, v34 /*v290*/
	v_mul_i32_i24_e32 v122, v151, v36 /*v292*/
	s_set_vgpr_msb 0x45                     ;  msbs: dst=1 src0=1 src1=1 src2=0
	v_mul_i32_i24_e32 v206 /*v462*/, v186 /*v442*/, v56 /*v312*/
	v_mul_i32_i24_e32 v207 /*v463*/, v187 /*v443*/, v50 /*v306*/
	;; [unrolled: 1-line block ×4, first 2 shown]
	s_set_vgpr_msb 0                        ;  msbs: dst=0 src0=0 src1=0 src2=0
	v_add3_u32 v117, v117, v120, v122
	s_set_vgpr_msb 0x45                     ;  msbs: dst=1 src0=1 src1=1 src2=0
	v_mul_i32_i24_e32 v210 /*v466*/, v59 /*v315*/, v190 /*v446*/
	v_mul_i32_i24_e32 v211 /*v467*/, v64 /*v320*/, v191 /*v447*/
	;; [unrolled: 1-line block ×4, first 2 shown]
	s_set_vgpr_msb 16                       ;  msbs: dst=0 src0=0 src1=0 src2=1
	v_add3_u32 v117, v117, v123, v174 /*v430*/
	s_set_vgpr_msb 0x45                     ;  msbs: dst=1 src0=1 src1=1 src2=0
	v_mul_i32_i24_e32 v214 /*v470*/, v67 /*v323*/, v194 /*v450*/
	v_mul_i32_i24_e32 v215 /*v471*/, v74 /*v330*/, v195 /*v451*/
	;; [unrolled: 1-line block ×4, first 2 shown]
	s_set_vgpr_msb 20                       ;  msbs: dst=0 src0=0 src1=1 src2=1
	v_add3_u32 v117, v117, v175 /*v431*/, v176 /*v432*/
	s_set_vgpr_msb 0x41                     ;  msbs: dst=1 src0=1 src1=0 src2=0
	v_mul_i32_i24_e32 v218 /*v474*/, v198 /*v454*/, v170
	s_set_vgpr_msb 0                        ;  msbs: dst=0 src0=0 src1=0 src2=0
	v_mul_i32_i24_e32 v120, v20, v175
	v_mul_i32_i24_e32 v122, v21, v176
	;; [unrolled: 1-line block ×3, first 2 shown]
	s_set_vgpr_msb 20                       ;  msbs: dst=0 src0=0 src1=1 src2=1
	v_add3_u32 v117, v117, v177 /*v433*/, v180 /*v436*/
	s_set_vgpr_msb 64                       ;  msbs: dst=1 src0=0 src1=0 src2=0
	v_mul_i32_i24_e32 v174 /*v430*/, v26, v180
	v_mul_i32_i24_e32 v175 /*v431*/, v28, v181
	;; [unrolled: 1-line block ×4, first 2 shown]
	s_set_vgpr_msb 20                       ;  msbs: dst=0 src0=0 src1=1 src2=1
	v_add3_u32 v117, v117, v201 /*v457*/, v202 /*v458*/
	s_set_vgpr_msb 64                       ;  msbs: dst=1 src0=0 src1=0 src2=0
	v_mul_i32_i24_e32 v201 /*v457*/, v32, v184
	v_mul_i32_i24_e32 v202 /*v458*/, v34, v185
	v_mul_i32_i24_e32 v219 /*v475*/, v207, v145
	v_mul_i32_i24_e32 v220 /*v476*/, v217, v146
	s_set_vgpr_msb 20                       ;  msbs: dst=0 src0=0 src1=1 src2=1
	v_add3_u32 v117, v117, v203 /*v459*/, v204 /*v460*/
	s_set_vgpr_msb 64                       ;  msbs: dst=1 src0=0 src1=0 src2=0
	v_mul_i32_i24_e32 v203 /*v459*/, v36, v186
	v_mul_i32_i24_e32 v204 /*v460*/, v38, v187
	;; [unrolled: 1-line block ×3, first 2 shown]
	s_set_vgpr_msb 0x45                     ;  msbs: dst=1 src0=1 src1=1 src2=0
	v_mul_i32_i24_e32 v222 /*v478*/, v198 /*v454*/, v7 /*v263*/
	s_set_vgpr_msb 20                       ;  msbs: dst=0 src0=0 src1=1 src2=1
	v_add3_u32 v117, v117, v205 /*v461*/, v206 /*v462*/
	s_set_vgpr_msb 64                       ;  msbs: dst=1 src0=0 src1=0 src2=0
	v_mul_i32_i24_e32 v205 /*v461*/, v3, v188
	v_mul_i32_i24_e32 v206 /*v462*/, v40, v189
	s_set_vgpr_msb 0x41                     ;  msbs: dst=1 src0=1 src1=0 src2=0
	v_mul_i32_i24_e32 v223 /*v479*/, v72 /*v328*/, v145
	v_mul_i32_i24_e32 v224 /*v480*/, v80 /*v336*/, v146
	s_set_vgpr_msb 20                       ;  msbs: dst=0 src0=0 src1=1 src2=1
	v_add3_u32 v117, v117, v207 /*v463*/, v208 /*v464*/
	s_set_vgpr_msb 64                       ;  msbs: dst=1 src0=0 src1=0 src2=0
	v_mul_i32_i24_e32 v207 /*v463*/, v42, v190
	v_mul_i32_i24_e32 v208 /*v464*/, v44, v191
	s_set_vgpr_msb 0x41                     ;  msbs: dst=1 src0=1 src1=0 src2=0
	v_mul_i32_i24_e32 v225 /*v481*/, v77 /*v333*/, v119
	s_set_vgpr_msb 1                        ;  msbs: dst=0 src0=1 src1=0 src2=0
	v_mul_i32_i24_e32 v119, v150 /*v406*/, v119
	s_set_vgpr_msb 20                       ;  msbs: dst=0 src0=0 src1=1 src2=1
	v_add3_u32 v117, v117, v209 /*v465*/, v210 /*v466*/
	s_set_vgpr_msb 64                       ;  msbs: dst=1 src0=0 src1=0 src2=0
	v_mul_i32_i24_e32 v209 /*v465*/, v46, v192
	v_mul_i32_i24_e32 v210 /*v466*/, v194, v48
	s_set_vgpr_msb 0x45                     ;  msbs: dst=1 src0=1 src1=1 src2=0
	v_mul_i32_i24_e32 v226 /*v482*/, v198 /*v454*/, v105 /*v361*/
	s_set_vgpr_msb 0x41                     ;  msbs: dst=1 src0=1 src1=0 src2=0
	v_mul_i32_i24_e32 v178 /*v434*/, v199 /*v455*/, v169
	s_set_vgpr_msb 20                       ;  msbs: dst=0 src0=0 src1=1 src2=1
	v_add3_u32 v117, v117, v211 /*v467*/, v212 /*v468*/
	s_set_vgpr_msb 64                       ;  msbs: dst=1 src0=0 src1=0 src2=0
	v_mul_i32_i24_e32 v211 /*v467*/, v193, v52
	v_mul_i32_i24_e32 v212 /*v468*/, v196, v53
	s_set_vgpr_msb 20                       ;  msbs: dst=0 src0=0 src1=1 src2=1
	v_add3_u32 v117, v117, v213 /*v469*/, v214 /*v470*/
	s_set_vgpr_msb 64                       ;  msbs: dst=1 src0=0 src1=0 src2=0
	v_mul_i32_i24_e32 v213 /*v469*/, v195, v55
	v_mul_i32_i24_e32 v214 /*v470*/, v198, v141
	;; [unrolled: 5-line block ×3, first 2 shown]
	s_set_vgpr_msb 0x54                     ;  msbs: dst=1 src0=0 src1=1 src2=1
	v_add3_u32 v180 /*v436*/, v117, v217 /*v473*/, v218 /*v474*/
	s_set_vgpr_msb 0                        ;  msbs: dst=0 src0=0 src1=0 src2=0
	v_mul_i32_i24_e32 v117, v9, v174
	s_set_vgpr_msb 64                       ;  msbs: dst=1 src0=0 src1=0 src2=0
	v_mul_i32_i24_e32 v217 /*v473*/, v199, v118
	v_mul_i32_i24_e32 v218 /*v474*/, v212, v144
	s_set_vgpr_msb 0                        ;  msbs: dst=0 src0=0 src1=0 src2=0
	v_mad_i32_i24 v117, v19, v173, v117
	s_delay_alu instid0(VALU_DEP_1) | instskip(SKIP_2) | instid1(VALU_DEP_1)
	v_add3_u32 v117, v117, v120, v122
	v_mul_i32_i24_e32 v120, v22, v177
	v_mul_i32_i24_e32 v122, v24, v178
	v_add3_u32 v117, v117, v120, v122
	v_mul_i32_i24_e32 v122, v148, v201
	s_set_vgpr_msb 16                       ;  msbs: dst=0 src0=0 src1=0 src2=1
	s_delay_alu instid0(VALU_DEP_2)
	v_add3_u32 v117, v117, v123, v174 /*v430*/
	v_mul_i32_i24_e32 v123, v149, v210
	s_set_vgpr_msb 64                       ;  msbs: dst=1 src0=0 src1=0 src2=0
	v_mul_i32_i24_e32 v174 /*v430*/, v152, v208
	s_set_vgpr_msb 20                       ;  msbs: dst=0 src0=0 src1=1 src2=1
	v_add3_u32 v117, v117, v175 /*v431*/, v176 /*v432*/
	s_set_vgpr_msb 0x41                     ;  msbs: dst=1 src0=1 src1=0 src2=0
	v_mul_i32_i24_e32 v175 /*v431*/, v199 /*v455*/, v254
	s_set_vgpr_msb 20                       ;  msbs: dst=0 src0=0 src1=1 src2=1
	s_delay_alu instid0(VALU_DEP_2)
	v_add3_u32 v117, v117, v177 /*v433*/, v201 /*v457*/
	s_set_vgpr_msb 64                       ;  msbs: dst=1 src0=0 src1=0 src2=0
	v_mul_i32_i24_e32 v177 /*v433*/, v121, v221
	v_mul_i32_i24_e32 v201 /*v457*/, v153, v222
	s_set_vgpr_msb 20                       ;  msbs: dst=0 src0=0 src1=1 src2=1
	v_add3_u32 v117, v117, v202 /*v458*/, v203 /*v459*/
	s_set_vgpr_msb 64                       ;  msbs: dst=1 src0=0 src1=0 src2=0
	v_mul_i32_i24_e32 v202 /*v458*/, v154, v223
	v_mul_i32_i24_e32 v203 /*v459*/, v155, v219
	s_set_vgpr_msb 20                       ;  msbs: dst=0 src0=0 src1=1 src2=1
	v_add3_u32 v117, v117, v204 /*v460*/, v205 /*v461*/
	s_set_vgpr_msb 64                       ;  msbs: dst=1 src0=0 src1=0 src2=0
	v_mul_i32_i24_e32 v204 /*v460*/, v156, v226
	s_set_vgpr_msb 0x41                     ;  msbs: dst=1 src0=1 src1=0 src2=0
	v_mul_i32_i24_e32 v205 /*v461*/, v181 /*v437*/, v229
	s_set_vgpr_msb 20                       ;  msbs: dst=0 src0=0 src1=1 src2=1
	v_add3_u32 v117, v117, v206 /*v462*/, v207 /*v463*/
	s_set_vgpr_msb 0x41                     ;  msbs: dst=1 src0=1 src1=0 src2=0
	v_mul_i32_i24_e32 v206 /*v462*/, v182 /*v438*/, v231
	v_mul_i32_i24_e32 v207 /*v463*/, v183 /*v439*/, v224
	s_set_vgpr_msb 20                       ;  msbs: dst=0 src0=0 src1=1 src2=1
	v_add3_u32 v117, v117, v208 /*v464*/, v209 /*v465*/
	s_set_vgpr_msb 0x41                     ;  msbs: dst=1 src0=1 src1=0 src2=0
	v_mul_i32_i24_e32 v208 /*v464*/, v184 /*v440*/, v233
	;; [unrolled: 5-line block ×4, first 2 shown]
	s_set_vgpr_msb 0x44                     ;  msbs: dst=1 src0=0 src1=1 src2=0
	v_mul_i32_i24_e32 v213 /*v469*/, v242, v189 /*v445*/
	s_set_vgpr_msb 20                       ;  msbs: dst=0 src0=0 src1=1 src2=1
	v_add3_u32 v117, v117, v214 /*v470*/, v215 /*v471*/
	s_set_vgpr_msb 0x44                     ;  msbs: dst=1 src0=0 src1=1 src2=0
	v_mul_i32_i24_e32 v214 /*v470*/, v243, v190 /*v446*/
	v_mul_i32_i24_e32 v215 /*v471*/, v245, v191 /*v447*/
	s_set_vgpr_msb 20                       ;  msbs: dst=0 src0=0 src1=1 src2=1
	v_add3_u32 v117, v117, v216 /*v472*/, v217 /*v473*/
	s_set_vgpr_msb 0x44                     ;  msbs: dst=1 src0=0 src1=1 src2=0
	v_mul_i32_i24_e32 v216 /*v472*/, v244, v192 /*v448*/
	;; [unrolled: 5-line block ×3, first 2 shown]
	s_set_vgpr_msb 0x45                     ;  msbs: dst=1 src0=1 src1=1 src2=0
	v_mul_i32_i24_e32 v219 /*v475*/, v1 /*v257*/, v195 /*v451*/
	s_set_vgpr_msb 20                       ;  msbs: dst=0 src0=0 src1=1 src2=1
	v_add3_u32 v120, v117, v220 /*v476*/, v221 /*v477*/
	s_set_vgpr_msb 0                        ;  msbs: dst=0 src0=0 src1=0 src2=0
	v_mul_i32_i24_e32 v117, v18, v205
	s_set_vgpr_msb 0x44                     ;  msbs: dst=1 src0=0 src1=1 src2=0
	v_mul_i32_i24_e32 v220 /*v476*/, v252, v196 /*v452*/
	s_set_vgpr_msb 0x45                     ;  msbs: dst=1 src0=1 src1=1 src2=0
	v_mul_i32_i24_e32 v221 /*v477*/, v197 /*v453*/, v5 /*v261*/
	s_set_vgpr_msb 0                        ;  msbs: dst=0 src0=0 src1=0 src2=0
	v_mad_i32_i24 v117, v147, v204, v117
	s_delay_alu instid0(VALU_DEP_1) | instskip(SKIP_2) | instid1(VALU_DEP_1)
	v_add3_u32 v117, v117, v122, v123
	v_mul_i32_i24_e32 v122, v150, v215
	v_mul_i32_i24_e32 v123, v151, v218
	v_add3_u32 v117, v117, v122, v123
	v_mul_i32_i24_e32 v122, v20, v255
	s_set_vgpr_msb 20                       ;  msbs: dst=0 src0=0 src1=1 src2=1
	v_mul_i32_i24_e32 v123, v21, v2 /*v258*/
	v_mul_i32_i24_e32 v20, v20, v111 /*v367*/
	;; [unrolled: 1-line block ×3, first 2 shown]
	v_add3_u32 v117, v117, v174 /*v430*/, v177 /*v433*/
	s_set_vgpr_msb 0x44                     ;  msbs: dst=1 src0=0 src1=1 src2=0
	v_mul_i32_i24_e32 v174 /*v430*/, v25, v8 /*v264*/
	s_set_vgpr_msb 20                       ;  msbs: dst=0 src0=0 src1=1 src2=1
	s_delay_alu instid0(VALU_DEP_2)
	v_add3_u32 v117, v117, v201 /*v457*/, v202 /*v458*/
	s_set_vgpr_msb 0x44                     ;  msbs: dst=1 src0=0 src1=1 src2=0
	v_mul_i32_i24_e32 v201 /*v457*/, v26, v12 /*v268*/
	v_mul_i32_i24_e32 v202 /*v458*/, v28, v14 /*v270*/
	s_set_vgpr_msb 20                       ;  msbs: dst=0 src0=0 src1=1 src2=1
	v_add3_u32 v117, v117, v203 /*v459*/, v204 /*v460*/
	s_set_vgpr_msb 0x44                     ;  msbs: dst=1 src0=0 src1=1 src2=0
	v_mul_i32_i24_e32 v203 /*v459*/, v29, v16 /*v272*/
	v_mul_i32_i24_e32 v204 /*v460*/, v30, v17 /*v273*/
	s_set_vgpr_msb 20                       ;  msbs: dst=0 src0=0 src1=1 src2=1
	;; [unrolled: 5-line block ×4, first 2 shown]
	v_add3_u32 v117, v117, v209 /*v465*/, v210 /*v466*/
	s_set_vgpr_msb 0x44                     ;  msbs: dst=1 src0=0 src1=1 src2=0
	v_mul_i32_i24_e32 v209 /*v465*/, v3, v33 /*v289*/
	s_set_vgpr_msb 4                        ;  msbs: dst=0 src0=0 src1=1 src2=0
	v_mul_i32_i24_e32 v3, v3, v124 /*v380*/
	s_set_vgpr_msb 0x44                     ;  msbs: dst=1 src0=0 src1=1 src2=0
	v_mul_i32_i24_e32 v210 /*v466*/, v40, v39 /*v295*/
	s_set_vgpr_msb 20                       ;  msbs: dst=0 src0=0 src1=1 src2=1
	v_add3_u32 v117, v117, v211 /*v467*/, v212 /*v468*/
	s_set_vgpr_msb 0x44                     ;  msbs: dst=1 src0=0 src1=1 src2=0
	v_mul_i32_i24_e32 v211 /*v467*/, v42, v41 /*v297*/
	v_mul_i32_i24_e32 v212 /*v468*/, v44, v44 /*v300*/
	s_set_vgpr_msb 20                       ;  msbs: dst=0 src0=0 src1=1 src2=1
	v_add3_u32 v117, v117, v213 /*v469*/, v214 /*v470*/
	s_set_vgpr_msb 0x44                     ;  msbs: dst=1 src0=0 src1=1 src2=0
	v_mul_i32_i24_e32 v213 /*v469*/, v46, v46 /*v302*/
	s_set_vgpr_msb 0x41                     ;  msbs: dst=1 src0=1 src1=0 src2=0
	v_mul_i32_i24_e32 v214 /*v470*/, v52 /*v308*/, v48
	s_set_vgpr_msb 20                       ;  msbs: dst=0 src0=0 src1=1 src2=1
	v_add3_u32 v117, v117, v215 /*v471*/, v216 /*v472*/
	s_set_vgpr_msb 0x41                     ;  msbs: dst=1 src0=1 src1=0 src2=0
	v_mul_i32_i24_e32 v215 /*v471*/, v48 /*v304*/, v52
	v_mul_i32_i24_e32 v216 /*v472*/, v55 /*v311*/, v53
	s_set_vgpr_msb 20                       ;  msbs: dst=0 src0=0 src1=1 src2=1
	v_add3_u32 v117, v117, v217 /*v473*/, v218 /*v474*/
	s_set_vgpr_msb 0x41                     ;  msbs: dst=1 src0=1 src1=0 src2=0
	v_mul_i32_i24_e32 v217 /*v473*/, v53 /*v309*/, v55
	;; [unrolled: 5-line block ×3, first 2 shown]
	v_mul_i32_i24_e32 v220 /*v476*/, v68 /*v324*/, v143
	s_set_vgpr_msb 0x54                     ;  msbs: dst=1 src0=0 src1=1 src2=1
	v_add3_u32 v177 /*v433*/, v117, v221 /*v477*/, v222 /*v478*/
	s_set_vgpr_msb 0                        ;  msbs: dst=0 src0=0 src1=0 src2=0
	v_mul_i32_i24_e32 v117, v9, v250
	s_set_vgpr_msb 4                        ;  msbs: dst=0 src0=0 src1=1 src2=0
	v_mul_i32_i24_e32 v9, v9, v110 /*v366*/
	s_set_vgpr_msb 0x41                     ;  msbs: dst=1 src0=1 src1=0 src2=0
	v_mul_i32_i24_e32 v221 /*v477*/, v63 /*v319*/, v118
	s_set_vgpr_msb 1                        ;  msbs: dst=0 src0=1 src1=0 src2=0
	v_mul_i32_i24_e32 v118, v142 /*v398*/, v118
	s_set_vgpr_msb 0x41                     ;  msbs: dst=1 src0=1 src1=0 src2=0
	v_mul_i32_i24_e32 v222 /*v478*/, v76 /*v332*/, v144
	s_set_vgpr_msb 0                        ;  msbs: dst=0 src0=0 src1=0 src2=0
	v_mad_i32_i24 v117, v19, v246, v117
	s_set_vgpr_msb 4                        ;  msbs: dst=0 src0=0 src1=1 src2=0
	v_mad_i32_i24 v9, v19, v109 /*v365*/, v9
	v_mul_i32_i24_e32 v19, v22, v113 /*v369*/
	s_set_vgpr_msb 0                        ;  msbs: dst=0 src0=0 src1=0 src2=0
	v_add3_u32 v117, v117, v122, v123
	s_delay_alu instid0(VALU_DEP_3)
	v_add3_u32 v9, v9, v20, v21
	s_set_vgpr_msb 4                        ;  msbs: dst=0 src0=0 src1=1 src2=0
	v_mul_i32_i24_e32 v20, v24, v114 /*v370*/
	v_mul_i32_i24_e32 v122, v22, v3 /*v259*/
	;; [unrolled: 1-line block ×5, first 2 shown]
	s_set_vgpr_msb 0                        ;  msbs: dst=0 src0=0 src1=0 src2=0
	v_add3_u32 v9, v9, v19, v20
	s_set_vgpr_msb 4                        ;  msbs: dst=0 src0=0 src1=1 src2=0
	v_mul_i32_i24_e32 v24, v28, v117 /*v373*/
	v_mul_i32_i24_e32 v25, v29, v118 /*v374*/
	;; [unrolled: 1-line block ×4, first 2 shown]
	s_set_vgpr_msb 0                        ;  msbs: dst=0 src0=0 src1=0 src2=0
	v_add3_u32 v9, v9, v21, v22
	s_set_vgpr_msb 4                        ;  msbs: dst=0 src0=0 src1=1 src2=0
	v_mul_i32_i24_e32 v29, v34, v121 /*v377*/
	v_mul_i32_i24_e32 v30, v36, v122 /*v378*/
	;; [unrolled: 1-line block ×3, first 2 shown]
	s_set_vgpr_msb 0                        ;  msbs: dst=0 src0=0 src1=0 src2=0
	v_add3_u32 v117, v117, v122, v123
	v_add3_u32 v9, v9, v24, v25
	s_set_vgpr_msb 4                        ;  msbs: dst=0 src0=0 src1=1 src2=0
	v_mul_i32_i24_e32 v122, v18, v71 /*v327*/
	s_set_vgpr_msb 1                        ;  msbs: dst=0 src0=1 src1=0 src2=0
	v_mul_i32_i24_e32 v19, v143 /*v399*/, v149
	v_mul_i32_i24_e32 v20, v155 /*v411*/, v152
	;; [unrolled: 1-line block ×3, first 2 shown]
	s_set_vgpr_msb 0                        ;  msbs: dst=0 src0=0 src1=0 src2=0
	v_add3_u32 v9, v9, v26, v28
	s_set_vgpr_msb 1                        ;  msbs: dst=0 src0=1 src1=0 src2=0
	v_mul_i32_i24_e32 v22, v160 /*v416*/, v153
	v_mul_i32_i24_e32 v24, v159 /*v415*/, v154
	s_set_vgpr_msb 20                       ;  msbs: dst=0 src0=0 src1=1 src2=1
	v_add3_u32 v117, v117, v174 /*v430*/, v201 /*v457*/
	s_set_vgpr_msb 1                        ;  msbs: dst=0 src0=1 src1=0 src2=0
	v_mul_i32_i24_e32 v25, v158 /*v414*/, v155
	s_set_vgpr_msb 0                        ;  msbs: dst=0 src0=0 src1=0 src2=0
	v_add3_u32 v9, v9, v29, v30
	s_set_vgpr_msb 1                        ;  msbs: dst=0 src0=1 src1=0 src2=0
	v_mul_i32_i24_e32 v26, v135 /*v391*/, v156
	s_set_vgpr_msb 5                        ;  msbs: dst=0 src0=1 src1=1 src2=0
	v_mul_i32_i24_e32 v28, v163 /*v419*/, v181 /*v437*/
	s_set_vgpr_msb 20                       ;  msbs: dst=0 src0=0 src1=1 src2=1
	v_add3_u32 v117, v117, v202 /*v458*/, v203 /*v459*/
	s_set_vgpr_msb 5                        ;  msbs: dst=0 src0=1 src1=1 src2=0
	v_mul_i32_i24_e32 v29, v162 /*v418*/, v182 /*v438*/
	s_set_vgpr_msb 0                        ;  msbs: dst=0 src0=0 src1=0 src2=0
	v_add3_u32 v3, v9, v32, v3
	s_set_vgpr_msb 1                        ;  msbs: dst=0 src0=1 src1=0 src2=0
	v_mul_i32_i24_e32 v9, v154 /*v410*/, v18
	v_mul_i32_i24_e32 v18, v153 /*v409*/, v148
	s_set_vgpr_msb 20                       ;  msbs: dst=0 src0=0 src1=1 src2=1
	v_add3_u32 v117, v117, v204 /*v460*/, v205 /*v461*/
	v_mul_i32_i24_e32 v34, v40, v125 /*v381*/
	v_mul_i32_i24_e32 v36, v42, v126 /*v382*/
	s_set_vgpr_msb 1                        ;  msbs: dst=0 src0=1 src1=0 src2=0
	v_mad_i32_i24 v9, v152 /*v408*/, v147, v9
	s_set_vgpr_msb 5                        ;  msbs: dst=0 src0=1 src1=1 src2=0
	v_mul_i32_i24_e32 v30, v161 /*v417*/, v183 /*v439*/
	v_mul_i32_i24_e32 v32, v136 /*v392*/, v184 /*v440*/
	s_set_vgpr_msb 20                       ;  msbs: dst=0 src0=0 src1=1 src2=1
	v_add3_u32 v117, v117, v206 /*v462*/, v207 /*v463*/
	v_mul_i32_i24_e32 v38, v44, v127 /*v383*/
	s_set_vgpr_msb 0                        ;  msbs: dst=0 src0=0 src1=0 src2=0
	v_add3_u32 v9, v9, v18, v19
	s_set_vgpr_msb 1                        ;  msbs: dst=0 src0=1 src1=0 src2=0
	v_mul_i32_i24_e32 v18, v157 /*v413*/, v150
	v_mul_i32_i24_e32 v19, v156 /*v412*/, v151
	s_set_vgpr_msb 4                        ;  msbs: dst=0 src0=0 src1=1 src2=0
	v_mul_i32_i24_e32 v40, v46, v128 /*v384*/
	s_set_vgpr_msb 0                        ;  msbs: dst=0 src0=0 src1=0 src2=0
	v_add3_u32 v3, v3, v34, v36
	s_set_vgpr_msb 5                        ;  msbs: dst=0 src0=1 src1=1 src2=0
	v_mul_i32_i24_e32 v34, v166 /*v422*/, v185 /*v441*/
	v_mul_i32_i24_e32 v36, v165 /*v421*/, v186 /*v442*/
	s_set_vgpr_msb 0                        ;  msbs: dst=0 src0=0 src1=0 src2=0
	v_add3_u32 v9, v9, v18, v19
	s_set_vgpr_msb 20                       ;  msbs: dst=0 src0=0 src1=1 src2=1
	v_add3_u32 v117, v117, v208 /*v464*/, v209 /*v465*/
	s_set_vgpr_msb 1                        ;  msbs: dst=0 src0=1 src1=0 src2=0
	v_mul_i32_i24_e32 v42, v130 /*v386*/, v48
	v_mul_i32_i24_e32 v44, v129 /*v385*/, v52
	s_set_vgpr_msb 0                        ;  msbs: dst=0 src0=0 src1=0 src2=0
	v_add3_u32 v3, v3, v38, v40
	v_add3_u32 v9, v9, v20, v21
	s_set_vgpr_msb 5                        ;  msbs: dst=0 src0=1 src1=1 src2=0
	v_mul_i32_i24_e32 v38, v164 /*v420*/, v187 /*v443*/
	v_mul_i32_i24_e32 v40, v137 /*v393*/, v188 /*v444*/
	s_set_vgpr_msb 20                       ;  msbs: dst=0 src0=0 src1=1 src2=1
	v_add3_u32 v117, v117, v210 /*v466*/, v211 /*v467*/
	s_set_vgpr_msb 1                        ;  msbs: dst=0 src0=1 src1=0 src2=0
	v_mul_i32_i24_e32 v46, v132 /*v388*/, v53
	s_set_vgpr_msb 0                        ;  msbs: dst=0 src0=0 src1=0 src2=0
	v_add3_u32 v9, v9, v22, v24
	s_set_vgpr_msb 1                        ;  msbs: dst=0 src0=1 src1=0 src2=0
	v_mul_i32_i24_e32 v48, v131 /*v387*/, v55
	s_set_vgpr_msb 0                        ;  msbs: dst=0 src0=0 src1=0 src2=0
	v_add3_u32 v3, v3, v42, v44
	s_set_vgpr_msb 5                        ;  msbs: dst=0 src0=1 src1=1 src2=0
	v_mul_i32_i24_e32 v42, v169 /*v425*/, v189 /*v445*/
	v_mul_i32_i24_e32 v44, v168 /*v424*/, v190 /*v446*/
	s_set_vgpr_msb 0                        ;  msbs: dst=0 src0=0 src1=0 src2=0
	v_add3_u32 v9, v9, v25, v26
	s_set_vgpr_msb 20                       ;  msbs: dst=0 src0=0 src1=1 src2=1
	v_add3_u32 v117, v117, v212 /*v468*/, v213 /*v469*/
	s_set_vgpr_msb 1                        ;  msbs: dst=0 src0=1 src1=0 src2=0
	v_mul_i32_i24_e32 v52, v141 /*v397*/, v141
	v_mul_i32_i24_e32 v53, v133 /*v389*/, v142
	s_set_vgpr_msb 0                        ;  msbs: dst=0 src0=0 src1=0 src2=0
	v_add3_u32 v3, v3, v46, v48
	v_add3_u32 v9, v9, v28, v29
	s_set_vgpr_msb 5                        ;  msbs: dst=0 src0=1 src1=1 src2=0
	v_mul_i32_i24_e32 v46, v167 /*v423*/, v191 /*v447*/
	v_mul_i32_i24_e32 v48, v138 /*v394*/, v192 /*v448*/
	s_set_vgpr_msb 20                       ;  msbs: dst=0 src0=0 src1=1 src2=1
	v_add3_u32 v117, v117, v214 /*v470*/, v215 /*v471*/
	s_set_vgpr_msb 1                        ;  msbs: dst=0 src0=1 src1=0 src2=0
	v_mul_i32_i24_e32 v55, v144 /*v400*/, v143
	s_set_vgpr_msb 0                        ;  msbs: dst=0 src0=0 src1=0 src2=0
	v_add3_u32 v9, v9, v30, v32
	v_add3_u32 v3, v3, v52, v53
	s_set_vgpr_msb 5                        ;  msbs: dst=0 src0=1 src1=1 src2=0
	v_mul_i32_i24_e32 v52, v172 /*v428*/, v193 /*v449*/
	v_mul_i32_i24_e32 v53, v171 /*v427*/, v194 /*v450*/
	s_set_vgpr_msb 20                       ;  msbs: dst=0 src0=0 src1=1 src2=1
	v_add3_u32 v117, v117, v216 /*v472*/, v217 /*v473*/
	s_set_vgpr_msb 0                        ;  msbs: dst=0 src0=0 src1=0 src2=0
	v_add3_u32 v9, v9, v34, v36
	s_set_vgpr_msb 0x44                     ;  msbs: dst=1 src0=0 src1=1 src2=0
	v_mul_i32_i24_e32 v204 /*v460*/, v121, v83 /*v339*/
	s_set_vgpr_msb 1                        ;  msbs: dst=0 src0=1 src1=0 src2=0
	v_mul_i32_i24_e32 v141, v149 /*v405*/, v144
	v_mul_i32_i24_e32 v142, v147 /*v403*/, v145
	s_set_vgpr_msb 0                        ;  msbs: dst=0 src0=0 src1=0 src2=0
	v_add3_u32 v3, v3, v55, v118
	v_add3_u32 v9, v9, v38, v40
	s_set_vgpr_msb 5                        ;  msbs: dst=0 src0=1 src1=1 src2=0
	v_mul_i32_i24_e32 v55, v170 /*v426*/, v195 /*v451*/
	v_mul_i32_i24_e32 v121, v139 /*v395*/, v196 /*v452*/
	s_set_vgpr_msb 20                       ;  msbs: dst=0 src0=0 src1=1 src2=1
	v_add3_u32 v117, v117, v218 /*v474*/, v219 /*v475*/
	s_set_vgpr_msb 0                        ;  msbs: dst=0 src0=0 src1=0 src2=0
	v_add3_u32 v3, v3, v141, v142
	v_add3_u32 v9, v9, v42, v44
	s_set_vgpr_msb 5                        ;  msbs: dst=0 src0=1 src1=1 src2=0
	v_mul_i32_i24_e32 v141, v197 /*v453*/, v145 /*v401*/
	v_mul_i32_i24_e32 v142, v198 /*v454*/, v146 /*v402*/
	s_set_vgpr_msb 20                       ;  msbs: dst=0 src0=0 src1=1 src2=1
	v_add3_u32 v117, v117, v220 /*v476*/, v221 /*v477*/
	v_mul_i32_i24_e32 v123, v148, v65 /*v321*/
	s_set_vgpr_msb 0                        ;  msbs: dst=0 src0=0 src1=0 src2=0
	v_add3_u32 v9, v9, v46, v48
	s_set_vgpr_msb 0x44                     ;  msbs: dst=1 src0=0 src1=1 src2=0
	v_mul_i32_i24_e32 v174 /*v430*/, v149, v75 /*v331*/
	s_set_vgpr_msb 4                        ;  msbs: dst=0 src0=0 src1=1 src2=0
	v_mad_i32_i24 v122, v147, v69 /*v325*/, v122
	s_set_vgpr_msb 20                       ;  msbs: dst=0 src0=0 src1=1 src2=1
	v_add3_u32 v117, v117, v222 /*v478*/, v223 /*v479*/
	s_set_vgpr_msb 0x45                     ;  msbs: dst=1 src0=1 src1=1 src2=0
	v_mul_i32_i24_e32 v210 /*v466*/, v182 /*v438*/, v89 /*v345*/
	s_set_vgpr_msb 0                        ;  msbs: dst=0 src0=0 src1=0 src2=0
	v_add3_u32 v9, v9, v52, v53
	s_set_vgpr_msb 0x45                     ;  msbs: dst=1 src0=1 src1=1 src2=0
	v_mul_i32_i24_e32 v211 /*v467*/, v183 /*v439*/, v86 /*v342*/
	v_mul_i32_i24_e32 v212 /*v468*/, v184 /*v440*/, v91 /*v347*/
	s_set_vgpr_msb 20                       ;  msbs: dst=0 src0=0 src1=1 src2=1
	v_add3_u32 v117, v117, v224 /*v480*/, v225 /*v481*/
	s_set_vgpr_msb 0x45                     ;  msbs: dst=1 src0=1 src1=1 src2=0
	v_mul_i32_i24_e32 v213 /*v469*/, v185 /*v441*/, v92 /*v348*/
	s_set_vgpr_msb 0                        ;  msbs: dst=0 src0=0 src1=0 src2=0
	v_add3_u32 v9, v9, v55, v121
	s_set_vgpr_msb 0x45                     ;  msbs: dst=1 src0=1 src1=1 src2=0
	v_mul_i32_i24_e32 v214 /*v470*/, v186 /*v442*/, v93 /*v349*/
	v_mul_i32_i24_e32 v215 /*v471*/, v187 /*v443*/, v90 /*v346*/
	;; [unrolled: 1-line block ×4, first 2 shown]
	s_set_vgpr_msb 0                        ;  msbs: dst=0 src0=0 src1=0 src2=0
	v_add3_u32 v121, v9, v141, v142
	v_or_b32_e32 v9, s8, v132
	s_set_vgpr_msb 0x45                     ;  msbs: dst=1 src0=1 src1=1 src2=0
	v_mul_i32_i24_e32 v218 /*v474*/, v96 /*v352*/, v190 /*v446*/
	v_mul_i32_i24_e32 v219 /*v475*/, v98 /*v354*/, v191 /*v447*/
	;; [unrolled: 1-line block ×4, first 2 shown]
	s_set_vgpr_msb 0                        ;  msbs: dst=0 src0=0 src1=0 src2=0
	v_dual_lshlrev_b32 v18, 2, v9 :: v_dual_lshrrev_b32 v9, 1, v9
	s_set_vgpr_msb 0x45                     ;  msbs: dst=1 src0=1 src1=1 src2=0
	v_mul_i32_i24_e32 v222 /*v478*/, v100 /*v356*/, v194 /*v450*/
	v_mul_i32_i24_e32 v223 /*v479*/, v103 /*v359*/, v195 /*v451*/
	;; [unrolled: 1-line block ×4, first 2 shown]
	s_set_vgpr_msb 0x50                     ;  msbs: dst=1 src0=0 src1=0 src2=1
	ds_load_b128 v[182:185] /*v[438:441]*/, v18 offset:16896
	ds_load_b128 v[186:189] /*v[442:445]*/, v18 offset:16912
	;; [unrolled: 1-line block ×4, first 2 shown]
	v_add3_u32 v174 /*v430*/, v122, v123, v174 /*v430*/
	s_set_vgpr_msb 0x44                     ;  msbs: dst=1 src0=0 src1=1 src2=0
	v_mul_i32_i24_e32 v201 /*v457*/, v150, v79 /*v335*/
	v_mul_i32_i24_e32 v202 /*v458*/, v151, v81 /*v337*/
	;; [unrolled: 1-line block ×6, first 2 shown]
	s_set_vgpr_msb 0x55                     ;  msbs: dst=1 src0=1 src1=1 src2=1
	v_add3_u32 v174 /*v430*/, v174 /*v430*/, v201 /*v457*/, v202 /*v458*/
	s_set_vgpr_msb 0x44                     ;  msbs: dst=1 src0=0 src1=1 src2=0
	v_mul_i32_i24_e32 v208 /*v464*/, v156, v87 /*v343*/
	s_set_vgpr_msb 0x45                     ;  msbs: dst=1 src0=1 src1=1 src2=0
	v_mul_i32_i24_e32 v209 /*v465*/, v181 /*v437*/, v88 /*v344*/
	s_set_vgpr_msb 1                        ;  msbs: dst=0 src0=1 src1=0 src2=0
	v_mul_i32_i24_e32 v143, v151 /*v407*/, v146
	s_set_vgpr_msb 5                        ;  msbs: dst=0 src0=1 src1=1 src2=0
	v_mul_i32_i24_e32 v122, v199 /*v455*/, v102 /*v358*/
	s_set_vgpr_msb 0x55                     ;  msbs: dst=1 src0=1 src1=1 src2=1
	v_add3_u32 v174 /*v430*/, v174 /*v430*/, v203 /*v459*/, v204 /*v460*/
	s_set_vgpr_msb 5                        ;  msbs: dst=0 src0=1 src1=1 src2=0
	v_mul_i32_i24_e32 v118, v199 /*v455*/, v140 /*v396*/
	s_set_vgpr_msb 0                        ;  msbs: dst=0 src0=0 src1=0 src2=0
	v_add3_u32 v3, v3, v143, v119
	s_wait_dscnt 0x3
	s_set_vgpr_msb 1                        ;  msbs: dst=0 src0=1 src1=0 src2=0
	v_bfe_i32 v18, v182 /*v438*/, 0, 8
	s_set_vgpr_msb 0x55                     ;  msbs: dst=1 src0=1 src1=1 src2=1
	v_add3_u32 v174 /*v430*/, v174 /*v430*/, v205 /*v461*/, v206 /*v462*/
	s_set_vgpr_msb 1                        ;  msbs: dst=0 src0=1 src1=0 src2=0
	v_bfe_i32 v19, v182 /*v438*/, 8, 8
	v_bfe_i32 v20, v182 /*v438*/, 16, 8
	s_set_vgpr_msb 4                        ;  msbs: dst=0 src0=0 src1=1 src2=0
	v_ashrrev_i32_e32 v21, 24, v182 /*v438*/
	s_set_vgpr_msb 1                        ;  msbs: dst=0 src0=1 src1=0 src2=0
	v_bfe_i32 v28, v184 /*v440*/, 0, 8
	s_set_vgpr_msb 0x55                     ;  msbs: dst=1 src0=1 src1=1 src2=1
	v_add3_u32 v174 /*v430*/, v174 /*v430*/, v207 /*v463*/, v208 /*v464*/
	s_set_vgpr_msb 1                        ;  msbs: dst=0 src0=1 src1=0 src2=0
	v_bfe_i32 v29, v184 /*v440*/, 8, 8
	v_bfe_i32 v30, v184 /*v440*/, 16, 8
	s_set_vgpr_msb 4                        ;  msbs: dst=0 src0=0 src1=1 src2=0
	v_dual_ashrrev_i32 v32, 24, v184 /*v440*/ :: v_dual_ashrrev_i32 v40, 24, v185 /*v441*/
	s_set_vgpr_msb 64                       ;  msbs: dst=1 src0=0 src1=0 src2=0
	v_mul_i32_i24_e32 v184 /*v440*/, v18, v202
	s_set_vgpr_msb 0x55                     ;  msbs: dst=1 src0=1 src1=1 src2=1
	v_add3_u32 v174 /*v430*/, v174 /*v430*/, v209 /*v465*/, v210 /*v466*/
	s_set_vgpr_msb 1                        ;  msbs: dst=0 src0=1 src1=0 src2=0
	v_bfe_i32 v22, v183 /*v439*/, 0, 8
	v_bfe_i32 v24, v183 /*v439*/, 8, 8
	;; [unrolled: 1-line block ×5, first 2 shown]
	s_wait_dscnt 0x2
	v_bfe_i32 v42, v186 /*v442*/, 0, 8
	v_bfe_i32 v44, v186 /*v442*/, 8, 8
	;; [unrolled: 1-line block ×3, first 2 shown]
	s_set_vgpr_msb 4                        ;  msbs: dst=0 src0=0 src1=1 src2=0
	v_dual_ashrrev_i32 v48, 24, v186 /*v442*/ :: v_dual_ashrrev_i32 v141, 24, v187 /*v443*/
	s_set_vgpr_msb 0x50                     ;  msbs: dst=1 src0=0 src1=0 src2=1
	v_mul_i32_i24_e32 v185 /*v441*/, v20, v206
	v_mul_i32_i24_e32 v186 /*v442*/, v21, v209
	v_mad_i32_i24 v184 /*v440*/, v19, v200, v184 /*v440*/
	s_set_vgpr_msb 0x55                     ;  msbs: dst=1 src0=1 src1=1 src2=1
	v_add3_u32 v174 /*v430*/, v174 /*v430*/, v211 /*v467*/, v212 /*v468*/
	s_set_vgpr_msb 1                        ;  msbs: dst=0 src0=1 src1=0 src2=0
	v_bfe_i32 v25, v183 /*v439*/, 16, 8
	s_set_vgpr_msb 4                        ;  msbs: dst=0 src0=0 src1=1 src2=0
	v_ashrrev_i32_e32 v26, 24, v183 /*v439*/
	s_set_vgpr_msb 1                        ;  msbs: dst=0 src0=1 src1=0 src2=0
	v_bfe_i32 v52, v187 /*v443*/, 0, 8
	s_set_vgpr_msb 0x55                     ;  msbs: dst=1 src0=1 src1=1 src2=1
	v_add3_u32 v184 /*v440*/, v184 /*v440*/, v185 /*v441*/, v186 /*v442*/
	s_set_vgpr_msb 64                       ;  msbs: dst=1 src0=0 src1=0 src2=0
	v_mul_i32_i24_e32 v185 /*v441*/, v22, v211
	v_mul_i32_i24_e32 v186 /*v442*/, v24, v214
	s_set_vgpr_msb 0x55                     ;  msbs: dst=1 src0=1 src1=1 src2=1
	v_add3_u32 v174 /*v430*/, v174 /*v430*/, v213 /*v469*/, v214 /*v470*/
	s_set_vgpr_msb 1                        ;  msbs: dst=0 src0=1 src1=0 src2=0
	v_bfe_i32 v53, v187 /*v443*/, 8, 8
	v_bfe_i32 v55, v187 /*v443*/, 16, 8
	;; [unrolled: 1-line block ×5, first 2 shown]
	s_set_vgpr_msb 4                        ;  msbs: dst=0 src0=0 src1=1 src2=0
	v_dual_ashrrev_i32 v145, 24, v188 /*v444*/ :: v_dual_ashrrev_i32 v149, 24, v189 /*v445*/
	s_set_vgpr_msb 64                       ;  msbs: dst=1 src0=0 src1=0 src2=0
	v_mul_i32_i24_e32 v187 /*v443*/, v25, v216
	v_mul_i32_i24_e32 v188 /*v444*/, v26, v220
	s_set_vgpr_msb 0x55                     ;  msbs: dst=1 src0=1 src1=1 src2=1
	v_add3_u32 v184 /*v440*/, v184 /*v440*/, v185 /*v441*/, v186 /*v442*/
	v_add3_u32 v174 /*v430*/, v174 /*v430*/, v215 /*v471*/, v216 /*v472*/
	s_set_vgpr_msb 1                        ;  msbs: dst=0 src0=1 src1=0 src2=0
	v_bfe_i32 v146, v189 /*v445*/, 0, 8
	v_bfe_i32 v147, v189 /*v445*/, 8, 8
	;; [unrolled: 1-line block ×3, first 2 shown]
	s_wait_dscnt 0x1
	v_bfe_i32 v150, v190 /*v446*/, 0, 8
	v_bfe_i32 v151, v190 /*v446*/, 8, 8
	;; [unrolled: 1-line block ×3, first 2 shown]
	s_set_vgpr_msb 4                        ;  msbs: dst=0 src0=0 src1=1 src2=0
	v_ashrrev_i32_e32 v153, 24, v190 /*v446*/
	s_set_vgpr_msb 64                       ;  msbs: dst=1 src0=0 src1=0 src2=0
	v_mul_i32_i24_e32 v189 /*v445*/, v28, v225
	v_mul_i32_i24_e32 v190 /*v446*/, v29, v227
	s_set_vgpr_msb 0x55                     ;  msbs: dst=1 src0=1 src1=1 src2=1
	v_add3_u32 v184 /*v440*/, v184 /*v440*/, v187 /*v443*/, v188 /*v444*/
	v_add3_u32 v174 /*v430*/, v174 /*v430*/, v217 /*v473*/, v218 /*v474*/
	s_set_vgpr_msb 1                        ;  msbs: dst=0 src0=1 src1=0 src2=0
	v_bfe_i32 v154, v191 /*v447*/, 0, 8
	v_bfe_i32 v155, v191 /*v447*/, 8, 8
	;; [unrolled: 1-line block ×3, first 2 shown]
	s_set_vgpr_msb 0x44                     ;  msbs: dst=1 src0=0 src1=1 src2=0
	v_ashrrev_i32_e32 v198 /*v454*/, 24, v191 /*v447*/
	s_set_vgpr_msb 64                       ;  msbs: dst=1 src0=0 src1=0 src2=0
	v_mul_i32_i24_e32 v191 /*v447*/, v30, v228
	v_mul_i32_i24_e32 v217 /*v473*/, v32, v230
	s_set_vgpr_msb 0x55                     ;  msbs: dst=1 src0=1 src1=1 src2=1
	v_add3_u32 v184 /*v440*/, v184 /*v440*/, v189 /*v445*/, v190 /*v446*/
	v_add3_u32 v174 /*v430*/, v174 /*v430*/, v219 /*v475*/, v220 /*v476*/
	s_set_vgpr_msb 64                       ;  msbs: dst=1 src0=0 src1=0 src2=0
	v_mul_i32_i24_e32 v218 /*v474*/, v34, v235
	v_mul_i32_i24_e32 v219 /*v475*/, v36, v237
	;; [unrolled: 1-line block ×3, first 2 shown]
	s_set_vgpr_msb 0x55                     ;  msbs: dst=1 src0=1 src1=1 src2=1
	v_add3_u32 v184 /*v440*/, v184 /*v440*/, v191 /*v447*/, v217 /*v473*/
	v_add3_u32 v174 /*v430*/, v174 /*v430*/, v221 /*v477*/, v222 /*v478*/
	s_set_vgpr_msb 64                       ;  msbs: dst=1 src0=0 src1=0 src2=0
	v_mul_i32_i24_e32 v221 /*v477*/, v40, v241
	v_mul_i32_i24_e32 v222 /*v478*/, v42, v247
	s_set_vgpr_msb 0x41                     ;  msbs: dst=1 src0=1 src1=0 src2=0
	v_mul_i32_i24_e32 v227 /*v483*/, v4 /*v260*/, v53
	s_set_vgpr_msb 0x55                     ;  msbs: dst=1 src0=1 src1=1 src2=1
	v_add3_u32 v184 /*v440*/, v184 /*v440*/, v218 /*v474*/, v219 /*v475*/
	v_add3_u32 v174 /*v430*/, v174 /*v430*/, v223 /*v479*/, v224 /*v480*/
	s_set_vgpr_msb 64                       ;  msbs: dst=1 src0=0 src1=0 src2=0
	v_mul_i32_i24_e32 v223 /*v479*/, v44, v251
	v_mul_i32_i24_e32 v224 /*v480*/, v46, v253
	s_set_vgpr_msb 0x41                     ;  msbs: dst=1 src0=1 src1=0 src2=0
	v_mul_i32_i24_e32 v228 /*v484*/, v13 /*v269*/, v55
	s_set_vgpr_msb 0x55                     ;  msbs: dst=1 src0=1 src1=1 src2=1
	v_add3_u32 v184 /*v440*/, v184 /*v440*/, v220 /*v476*/, v221 /*v477*/
	v_add3_u32 v174 /*v430*/, v174 /*v430*/, v225 /*v481*/, v226 /*v482*/
	s_set_vgpr_msb 0x44                     ;  msbs: dst=1 src0=0 src1=1 src2=0
	v_mul_i32_i24_e32 v225 /*v481*/, v48, v0 /*v256*/
	s_set_vgpr_msb 0x41                     ;  msbs: dst=1 src0=1 src1=0 src2=0
	v_mul_i32_i24_e32 v226 /*v482*/, v9 /*v265*/, v52
	v_mul_i32_i24_e32 v229 /*v485*/, v10 /*v266*/, v141
	s_set_vgpr_msb 0x55                     ;  msbs: dst=1 src0=1 src1=1 src2=1
	v_add3_u32 v184 /*v440*/, v184 /*v440*/, v222 /*v478*/, v223 /*v479*/
	s_set_vgpr_msb 0x41                     ;  msbs: dst=1 src0=1 src1=0 src2=0
	v_mul_i32_i24_e32 v230 /*v486*/, v18 /*v274*/, v142
	v_mul_i32_i24_e32 v231 /*v487*/, v15 /*v271*/, v143
	;; [unrolled: 1-line block ×4, first 2 shown]
	s_set_vgpr_msb 0x55                     ;  msbs: dst=1 src0=1 src1=1 src2=1
	v_add3_u32 v184 /*v440*/, v184 /*v440*/, v224 /*v480*/, v225 /*v481*/
	s_set_vgpr_msb 0x41                     ;  msbs: dst=1 src0=1 src1=0 src2=0
	v_mul_i32_i24_e32 v234 /*v490*/, v31 /*v287*/, v146
	v_mul_i32_i24_e32 v235 /*v491*/, v26 /*v282*/, v147
	;; [unrolled: 1-line block ×4, first 2 shown]
	s_set_vgpr_msb 0x55                     ;  msbs: dst=1 src0=1 src1=1 src2=1
	v_add3_u32 v184 /*v440*/, v184 /*v440*/, v226 /*v482*/, v227 /*v483*/
	s_set_vgpr_msb 0x44                     ;  msbs: dst=1 src0=0 src1=1 src2=0
	v_mul_i32_i24_e32 v185 /*v441*/, v152, v21 /*v277*/
	v_mul_i32_i24_e32 v186 /*v442*/, v153, v29 /*v285*/
	s_set_vgpr_msb 0x41                     ;  msbs: dst=1 src0=1 src1=0 src2=0
	v_mul_i32_i24_e32 v179 /*v435*/, v200 /*v456*/, v171
	s_set_vgpr_msb 0x55                     ;  msbs: dst=1 src0=1 src1=1 src2=1
	v_mul_i32_i24_e32 v176 /*v432*/, v200 /*v456*/, v11 /*v267*/
	v_add3_u32 v184 /*v440*/, v184 /*v440*/, v228 /*v484*/, v229 /*v485*/
	s_set_vgpr_msb 5                        ;  msbs: dst=0 src0=1 src1=1 src2=0
	v_mul_i32_i24_e32 v123, v200 /*v456*/, v106 /*v362*/
	v_mul_i32_i24_e32 v119, v200 /*v456*/, v148 /*v404*/
	s_set_vgpr_msb 0x55                     ;  msbs: dst=1 src0=1 src1=1 src2=1
	v_bfe_i32 v199 /*v455*/, v192 /*v448*/, 0, 8
	v_bfe_i32 v200 /*v456*/, v192 /*v448*/, 8, 8
	v_add3_u32 v184 /*v440*/, v184 /*v440*/, v230 /*v486*/, v231 /*v487*/
	s_set_vgpr_msb 0x44                     ;  msbs: dst=1 src0=0 src1=1 src2=0
	v_mul_i32_i24_e32 v187 /*v443*/, v156, v27 /*v283*/
	s_set_vgpr_msb 0x55                     ;  msbs: dst=1 src0=1 src1=1 src2=1
	v_mul_i32_i24_e32 v189 /*v445*/, v198 /*v454*/, v38 /*v294*/
	v_bfe_i32 v201 /*v457*/, v192 /*v448*/, 16, 8
	v_ashrrev_i32_e32 v192 /*v448*/, 24, v192 /*v448*/
	v_add3_u32 v184 /*v440*/, v184 /*v440*/, v232 /*v488*/, v233 /*v489*/
	v_mul_i32_i24_e32 v190 /*v446*/, v199 /*v455*/, v40 /*v296*/
	v_mul_i32_i24_e32 v191 /*v447*/, v200 /*v456*/, v42 /*v298*/
	v_bfe_i32 v202 /*v458*/, v193 /*v449*/, 0, 8
	v_bfe_i32 v203 /*v459*/, v193 /*v449*/, 8, 8
	v_add3_u32 v184 /*v440*/, v184 /*v440*/, v234 /*v490*/, v235 /*v491*/
	v_bfe_i32 v204 /*v460*/, v193 /*v449*/, 16, 8
	v_ashrrev_i32_e32 v193 /*v449*/, 24, v193 /*v449*/
	v_mul_i32_i24_e32 v217 /*v473*/, v201 /*v457*/, v37 /*v293*/
	v_mul_i32_i24_e32 v218 /*v474*/, v192 /*v448*/, v45 /*v301*/
	v_add3_u32 v188 /*v444*/, v184 /*v440*/, v236 /*v492*/, v237 /*v493*/
	s_set_vgpr_msb 0x44                     ;  msbs: dst=1 src0=0 src1=1 src2=0
	v_mul_i32_i24_e32 v184 /*v440*/, v150, v24 /*v280*/
	s_set_vgpr_msb 0x45                     ;  msbs: dst=1 src0=1 src1=1 src2=0
	v_mul_i32_i24_e32 v219 /*v475*/, v202 /*v458*/, v47 /*v303*/
	v_mul_i32_i24_e32 v220 /*v476*/, v203 /*v459*/, v49 /*v305*/
	s_wait_dscnt 0x0
	v_bfe_i32 v205 /*v461*/, v194 /*v450*/, 0, 8
	v_bfe_i32 v206 /*v462*/, v194 /*v450*/, 8, 8
	s_set_vgpr_msb 0x54                     ;  msbs: dst=1 src0=0 src1=1 src2=1
	v_mad_i32_i24 v184 /*v440*/, v151, v23 /*v279*/, v184 /*v440*/
	s_set_vgpr_msb 0x55                     ;  msbs: dst=1 src0=1 src1=1 src2=1
	v_mul_i32_i24_e32 v221 /*v477*/, v204 /*v460*/, v43 /*v299*/
	v_mul_i32_i24_e32 v222 /*v478*/, v193 /*v449*/, v51 /*v307*/
	v_bfe_i32 v207 /*v463*/, v194 /*v450*/, 16, 8
	v_ashrrev_i32_e32 v194 /*v450*/, 24, v194 /*v450*/
	v_add3_u32 v184 /*v440*/, v184 /*v440*/, v185 /*v441*/, v186 /*v442*/
	s_set_vgpr_msb 0x44                     ;  msbs: dst=1 src0=0 src1=1 src2=0
	v_mul_i32_i24_e32 v185 /*v441*/, v154, v34 /*v290*/
	v_mul_i32_i24_e32 v186 /*v442*/, v155, v36 /*v292*/
	s_set_vgpr_msb 0x45                     ;  msbs: dst=1 src0=1 src1=1 src2=0
	v_mul_i32_i24_e32 v223 /*v479*/, v205 /*v461*/, v54 /*v310*/
	v_mul_i32_i24_e32 v224 /*v480*/, v206 /*v462*/, v56 /*v312*/
	s_set_vgpr_msb 64                       ;  msbs: dst=1 src0=0 src1=0 src2=0
	ds_load_b64 v[182:183] /*v[438:439]*/, v9 offset:27200
	s_set_vgpr_msb 0x55                     ;  msbs: dst=1 src0=1 src1=1 src2=1
	v_bfe_i32 v208 /*v464*/, v195 /*v451*/, 0, 8
	v_add3_u32 v184 /*v440*/, v184 /*v440*/, v185 /*v441*/, v186 /*v442*/
	v_bfe_i32 v209 /*v465*/, v195 /*v451*/, 8, 8
	v_bfe_i32 v210 /*v466*/, v195 /*v451*/, 16, 8
	v_ashrrev_i32_e32 v195 /*v451*/, 24, v195 /*v451*/
	v_mul_i32_i24_e32 v225 /*v481*/, v207 /*v463*/, v50 /*v306*/
	v_add3_u32 v184 /*v440*/, v184 /*v440*/, v187 /*v443*/, v189 /*v445*/
	v_mul_i32_i24_e32 v226 /*v482*/, v194 /*v450*/, v57 /*v313*/
	v_mul_i32_i24_e32 v227 /*v483*/, v58 /*v314*/, v208 /*v464*/
	;; [unrolled: 1-line block ×3, first 2 shown]
	v_bfe_i32 v211 /*v467*/, v196 /*v452*/, 0, 8
	v_add3_u32 v184 /*v440*/, v184 /*v440*/, v190 /*v446*/, v191 /*v447*/
	v_bfe_i32 v212 /*v468*/, v196 /*v452*/, 8, 8
	v_mul_i32_i24_e32 v229 /*v485*/, v64 /*v320*/, v210 /*v466*/
	v_mul_i32_i24_e32 v230 /*v486*/, v61 /*v317*/, v195 /*v451*/
	v_bfe_i32 v213 /*v469*/, v196 /*v452*/, 16, 8
	v_add3_u32 v184 /*v440*/, v184 /*v440*/, v217 /*v473*/, v218 /*v474*/
	v_ashrrev_i32_e32 v196 /*v452*/, 24, v196 /*v452*/
	v_mul_i32_i24_e32 v231 /*v487*/, v66 /*v322*/, v211 /*v467*/
	v_mul_i32_i24_e32 v232 /*v488*/, v67 /*v323*/, v212 /*v468*/
	s_wait_dscnt 0x0
	s_set_vgpr_msb 4                        ;  msbs: dst=0 src0=0 src1=1 src2=0
	v_lshrrev_b32_e32 v9, 16, v182 /*v438*/
	s_set_vgpr_msb 0x55                     ;  msbs: dst=1 src0=1 src1=1 src2=1
	v_add3_u32 v184 /*v440*/, v184 /*v440*/, v219 /*v475*/, v220 /*v476*/
	v_bfe_i32 v214 /*v470*/, v197 /*v453*/, 0, 8
	v_bfe_i32 v215 /*v471*/, v197 /*v453*/, 8, 8
	;; [unrolled: 1-line block ×3, first 2 shown]
	v_ashrrev_i32_e32 v197 /*v453*/, 24, v197 /*v453*/
	v_add3_u32 v184 /*v440*/, v184 /*v440*/, v221 /*v477*/, v222 /*v478*/
	v_mul_i32_i24_e32 v233 /*v489*/, v74 /*v330*/, v213 /*v469*/
	v_mul_i32_i24_e32 v234 /*v490*/, v70 /*v326*/, v196 /*v452*/
	s_set_vgpr_msb 64                       ;  msbs: dst=1 src0=0 src1=0 src2=0
	v_cvt_f32_f16_e64 v187 /*v443*/, v9
	v_cvt_f32_f16_e64 v186 /*v442*/, v2
	s_set_vgpr_msb 0x55                     ;  msbs: dst=1 src0=1 src1=1 src2=1
	v_add3_u32 v184 /*v440*/, v184 /*v440*/, v223 /*v479*/, v224 /*v480*/
	s_set_vgpr_msb 1                        ;  msbs: dst=0 src0=1 src1=0 src2=0
	v_mul_lo_u32 v2, v173 /*v429*/, v167
	v_mul_lo_u32 v9, v188 /*v444*/, v167
	s_set_vgpr_msb 0x45                     ;  msbs: dst=1 src0=1 src1=1 src2=0
	v_mul_i32_i24_e32 v235 /*v491*/, v214 /*v470*/, v78 /*v334*/
	s_set_vgpr_msb 0x41                     ;  msbs: dst=1 src0=1 src1=0 src2=0
	v_mul_i32_i24_e32 v236 /*v492*/, v215 /*v471*/, v170
	s_set_vgpr_msb 0x55                     ;  msbs: dst=1 src0=1 src1=1 src2=1
	v_add3_u32 v184 /*v440*/, v184 /*v440*/, v225 /*v481*/, v226 /*v482*/
	s_set_vgpr_msb 0x41                     ;  msbs: dst=1 src0=1 src1=0 src2=0
	v_mul_i32_i24_e32 v237 /*v493*/, v216 /*v472*/, v169
	v_mul_i32_i24_e32 v238 /*v494*/, v197 /*v453*/, v171
	s_set_vgpr_msb 0x44                     ;  msbs: dst=1 src0=0 src1=1 src2=0
	v_lshrrev_b32_e32 v181 /*v437*/, 16, v183 /*v439*/
	s_set_vgpr_msb 0x55                     ;  msbs: dst=1 src0=1 src1=1 src2=1
	v_cvt_f32_f16_e64 v185 /*v441*/, v182 /*v438*/
	v_add3_u32 v184 /*v440*/, v184 /*v440*/, v227 /*v483*/, v228 /*v484*/
	s_set_vgpr_msb 64                       ;  msbs: dst=1 src0=0 src1=0 src2=0
	v_cvt_f32_f16_e64 v182 /*v438*/, v1
	v_cvt_f32_i32_e32 v188 /*v444*/, v2
	v_cvt_f32_i32_e32 v189 /*v445*/, v9
	s_set_vgpr_msb 21                       ;  msbs: dst=0 src0=1 src1=1 src2=1
	v_add3_u32 v9, v180 /*v436*/, v178 /*v434*/, v179 /*v435*/
	s_set_vgpr_msb 0x55                     ;  msbs: dst=1 src0=1 src1=1 src2=1
	v_add3_u32 v184 /*v440*/, v184 /*v440*/, v229 /*v485*/, v230 /*v486*/
	s_set_vgpr_msb 1                        ;  msbs: dst=0 src0=1 src1=0 src2=0
	v_cvt_f32_f16_e64 v1, v181 /*v437*/
	s_set_vgpr_msb 0x44                     ;  msbs: dst=1 src0=0 src1=1 src2=0
	v_pk_fma_f32 v[190:191] /*v[446:447]*/, v[100:101], v[186:187] /*v[442:443]*/, 0 op_sel_hi:[0,1,0]
	s_set_vgpr_msb 0x41                     ;  msbs: dst=1 src0=1 src1=0 src2=0
	v_cvt_f32_f16_e64 v183 /*v439*/, v183 /*v439*/
	s_set_vgpr_msb 0                        ;  msbs: dst=0 src0=0 src1=0 src2=0
	v_mul_lo_u32 v9, v9, v103
	s_set_vgpr_msb 0x55                     ;  msbs: dst=1 src0=1 src1=1 src2=1
	v_add3_u32 v184 /*v440*/, v184 /*v440*/, v231 /*v487*/, v232 /*v488*/
	s_set_vgpr_msb 64                       ;  msbs: dst=1 src0=0 src1=0 src2=0
	v_mul_i32_i24_e32 v173 /*v429*/, v25, v179
	v_mul_i32_i24_e32 v218 /*v474*/, v42, v189
	v_mul_i32_i24_e32 v219 /*v475*/, v44, v190
	v_mul_i32_i24_e32 v220 /*v476*/, v46, v191
	s_set_vgpr_msb 0x55                     ;  msbs: dst=1 src0=1 src1=1 src2=1
	v_add3_u32 v184 /*v440*/, v184 /*v440*/, v233 /*v489*/, v234 /*v490*/
	s_set_vgpr_msb 64                       ;  msbs: dst=1 src0=0 src1=0 src2=0
	v_mul_i32_i24_e32 v221 /*v477*/, v48, v192
	v_mul_i32_i24_e32 v222 /*v478*/, v194, v52
	;; [unrolled: 1-line block ×4, first 2 shown]
	s_set_vgpr_msb 0x55                     ;  msbs: dst=1 src0=1 src1=1 src2=1
	v_add3_u32 v217 /*v473*/, v184 /*v440*/, v235 /*v491*/, v236 /*v492*/
	s_set_vgpr_msb 64                       ;  msbs: dst=1 src0=0 src1=0 src2=0
	v_cvt_f32_f16_e64 v184 /*v440*/, v0
	s_set_vgpr_msb 0                        ;  msbs: dst=0 src0=0 src1=0 src2=0
	v_cvt_f32_f16_e32 v0, v116
	s_set_vgpr_msb 64                       ;  msbs: dst=1 src0=0 src1=0 src2=0
	v_cvt_f32_i32_e32 v178 /*v434*/, v9
	s_set_vgpr_msb 0                        ;  msbs: dst=0 src0=0 src1=0 src2=0
	v_mul_i32_i24_e32 v9, v20, v175
	s_set_vgpr_msb 21                       ;  msbs: dst=0 src0=1 src1=1 src2=1
	v_add3_u32 v2, v217 /*v473*/, v237 /*v493*/, v238 /*v494*/
	s_set_vgpr_msb 0x45                     ;  msbs: dst=1 src0=1 src1=1 src2=0
	v_pk_fma_f32 v[188:189] /*v[444:445]*/, v[184:185] /*v[440:441]*/, v[188:189] /*v[444:445]*/, 0 op_sel_hi:[1,1,0]
	s_set_vgpr_msb 0x50                     ;  msbs: dst=1 src0=0 src1=0 src2=1
	v_pk_fma_f32 v[180:181] /*v[436:437]*/, v[102:103], v[0:1], v[190:191] /*v[446:447]*/ op_sel_hi:[0,1,1]
	s_set_vgpr_msb 0                        ;  msbs: dst=0 src0=0 src1=0 src2=0
	v_mul_i32_i24_e32 v116, v21, v176
	s_set_vgpr_msb 64                       ;  msbs: dst=1 src0=0 src1=0 src2=0
	v_mul_i32_i24_e32 v190 /*v446*/, v36, v186
	s_set_vgpr_msb 0                        ;  msbs: dst=0 src0=0 src1=0 src2=0
	v_mul_lo_u32 v2, v2, v103
	s_set_vgpr_msb 64                       ;  msbs: dst=1 src0=0 src1=0 src2=0
	v_mul_i32_i24_e32 v191 /*v447*/, v38, v187
	s_set_vgpr_msb 0x41                     ;  msbs: dst=1 src0=1 src1=0 src2=0
	v_pk_mul_f32 v[180:181] /*v[436:437]*/, v[180:181] /*v[436:437]*/, v[92:93]
	s_set_vgpr_msb 64                       ;  msbs: dst=1 src0=0 src1=0 src2=0
	v_mul_i32_i24_e32 v217 /*v473*/, v40, v188
	v_mul_i32_i24_e32 v225 /*v481*/, v195, v141
	;; [unrolled: 1-line block ×8, first 2 shown]
	v_cvt_f32_i32_e32 v179 /*v435*/, v2
	s_set_vgpr_msb 0                        ;  msbs: dst=0 src0=0 src1=0 src2=0
	v_mul_i32_i24_e32 v2, v18, v174
	s_set_vgpr_msb 64                       ;  msbs: dst=1 src0=0 src1=0 src2=0
	v_mul_i32_i24_e32 v232 /*v488*/, v217, v148
	v_mul_i32_i24_e32 v233 /*v489*/, v213, v149
	s_set_vgpr_msb 0x55                     ;  msbs: dst=1 src0=1 src1=1 src2=1
	v_mul_i32_i24_e32 v234 /*v490*/, v197 /*v453*/, v11 /*v267*/
	v_pk_fma_f32 v[178:179] /*v[434:435]*/, v[182:183] /*v[438:439]*/, v[178:179] /*v[434:435]*/, v[188:189] /*v[444:445]*/
	s_set_vgpr_msb 0                        ;  msbs: dst=0 src0=0 src1=0 src2=0
	v_mad_i32_i24 v2, v19, v173, v2
	s_set_vgpr_msb 64                       ;  msbs: dst=1 src0=0 src1=0 src2=0
	v_mul_i32_i24_e32 v188 /*v444*/, v32, v184
	v_mul_i32_i24_e32 v189 /*v445*/, v34, v185
	s_set_vgpr_msb 0x51                     ;  msbs: dst=1 src0=1 src1=0 src2=1
	v_pk_fma_f32 v[178:179] /*v[434:435]*/, v[178:179] /*v[434:435]*/, v[4:5], v[180:181] /*v[436:437]*/ neg_lo:[0,0,1] neg_hi:[0,0,1]
	s_set_vgpr_msb 0                        ;  msbs: dst=0 src0=0 src1=0 src2=0
	v_add3_u32 v2, v2, v9, v116
	v_mul_i32_i24_e32 v9, v22, v177
	v_mul_i32_i24_e32 v116, v24, v178
	s_set_vgpr_msb 64                       ;  msbs: dst=1 src0=0 src1=0 src2=0
	v_mul_i32_i24_e32 v180 /*v436*/, v29, v182
	s_set_vgpr_msb 4                        ;  msbs: dst=0 src0=0 src1=1 src2=0
	v_pk_add_f32 v[62:63], v[62:63], v[178:179] /*v[434:435]*/
	s_set_vgpr_msb 64                       ;  msbs: dst=1 src0=0 src1=0 src2=0
	v_mul_i32_i24_e32 v178 /*v434*/, v26, v180
	v_mul_i32_i24_e32 v179 /*v435*/, v28, v181
	s_set_vgpr_msb 0                        ;  msbs: dst=0 src0=0 src1=0 src2=0
	v_add3_u32 v2, v2, v9, v116
	v_mul_i32_i24_e32 v9, v150, v205
	v_mul_i32_i24_e32 v116, v152, v201
	s_set_vgpr_msb 64                       ;  msbs: dst=1 src0=0 src1=0 src2=0
	v_mul_i32_i24_e32 v181 /*v437*/, v30, v183
	s_set_vgpr_msb 20                       ;  msbs: dst=0 src0=0 src1=1 src2=1
	v_add3_u32 v2, v2, v173 /*v429*/, v178 /*v434*/
	s_set_vgpr_msb 64                       ;  msbs: dst=1 src0=0 src1=0 src2=0
	v_mul_i32_i24_e32 v173 /*v429*/, v153, v210
	s_set_vgpr_msb 0                        ;  msbs: dst=0 src0=0 src1=0 src2=0
	v_mad_i32_i24 v9, v151, v204, v9
	s_set_vgpr_msb 64                       ;  msbs: dst=1 src0=0 src1=0 src2=0
	v_mul_i32_i24_e32 v178 /*v434*/, v156, v208
	s_set_vgpr_msb 20                       ;  msbs: dst=0 src0=0 src1=1 src2=1
	v_add3_u32 v2, v2, v179 /*v435*/, v180 /*v436*/
	s_set_vgpr_msb 0x41                     ;  msbs: dst=1 src0=1 src1=0 src2=0
	v_mul_i32_i24_e32 v179 /*v435*/, v198 /*v454*/, v221
	s_set_vgpr_msb 16                       ;  msbs: dst=0 src0=0 src1=0 src2=1
	v_add3_u32 v9, v9, v116, v173 /*v429*/
	v_mul_i32_i24_e32 v116, v154, v215
	s_set_vgpr_msb 64                       ;  msbs: dst=1 src0=0 src1=0 src2=0
	v_mul_i32_i24_e32 v173 /*v429*/, v155, v218
	s_set_vgpr_msb 20                       ;  msbs: dst=0 src0=0 src1=1 src2=1
	v_add3_u32 v2, v2, v181 /*v437*/, v188 /*v444*/
	s_set_vgpr_msb 0x41                     ;  msbs: dst=1 src0=1 src1=0 src2=0
	v_mul_i32_i24_e32 v180 /*v436*/, v199 /*v455*/, v222
	v_mul_i32_i24_e32 v181 /*v437*/, v200 /*v456*/, v223
	;; [unrolled: 1-line block ×3, first 2 shown]
	s_set_vgpr_msb 16                       ;  msbs: dst=0 src0=0 src1=0 src2=1
	v_add3_u32 v9, v9, v116, v173 /*v429*/
	s_set_vgpr_msb 20                       ;  msbs: dst=0 src0=0 src1=1 src2=1
	v_add3_u32 v2, v2, v189 /*v445*/, v190 /*v446*/
	s_set_vgpr_msb 0x41                     ;  msbs: dst=1 src0=1 src1=0 src2=0
	v_mul_i32_i24_e32 v189 /*v445*/, v192 /*v448*/, v226
	v_mul_i32_i24_e32 v190 /*v446*/, v202 /*v458*/, v229
	s_set_vgpr_msb 0                        ;  msbs: dst=0 src0=0 src1=0 src2=0
	v_mul_lo_u32 v116, v120, v172
	s_set_vgpr_msb 20                       ;  msbs: dst=0 src0=0 src1=1 src2=1
	v_add3_u32 v9, v9, v178 /*v434*/, v179 /*v435*/
	v_add3_u32 v2, v2, v191 /*v447*/, v217 /*v473*/
	s_set_vgpr_msb 0x41                     ;  msbs: dst=1 src0=1 src1=0 src2=0
	v_mul_i32_i24_e32 v191 /*v447*/, v203 /*v459*/, v231
	v_mul_i32_i24_e32 v217 /*v473*/, v204 /*v460*/, v224
	s_set_vgpr_msb 20                       ;  msbs: dst=0 src0=0 src1=1 src2=1
	v_mul_i32_i24_e32 v120, v25, v8 /*v264*/
	v_add3_u32 v9, v9, v180 /*v436*/, v181 /*v437*/
	v_add3_u32 v2, v2, v218 /*v474*/, v219 /*v475*/
	s_set_vgpr_msb 0x41                     ;  msbs: dst=1 src0=1 src1=0 src2=0
	v_mul_i32_i24_e32 v218 /*v474*/, v193 /*v449*/, v233
	v_mul_i32_i24_e32 v219 /*v475*/, v205 /*v461*/, v236
	s_set_vgpr_msb 0x44                     ;  msbs: dst=1 src0=0 src1=1 src2=0
	v_pk_fma_f32 v[180:181] /*v[436:437]*/, v[104:105], v[186:187] /*v[442:443]*/, 0 op_sel_hi:[0,1,0]
	s_set_vgpr_msb 20                       ;  msbs: dst=0 src0=0 src1=1 src2=1
	v_add3_u32 v9, v9, v188 /*v444*/, v189 /*v445*/
	v_add3_u32 v2, v2, v220 /*v476*/, v221 /*v477*/
	s_set_vgpr_msb 0x41                     ;  msbs: dst=1 src0=1 src1=0 src2=0
	v_mul_i32_i24_e32 v220 /*v476*/, v206 /*v462*/, v238
	v_mul_i32_i24_e32 v221 /*v477*/, v207 /*v463*/, v232
	s_set_vgpr_msb 64                       ;  msbs: dst=1 src0=0 src1=0 src2=0
	v_cvt_f32_i32_e32 v178 /*v434*/, v116
	s_set_vgpr_msb 20                       ;  msbs: dst=0 src0=0 src1=1 src2=1
	v_add3_u32 v9, v9, v190 /*v446*/, v191 /*v447*/
	v_add3_u32 v2, v2, v222 /*v478*/, v223 /*v479*/
	s_set_vgpr_msb 0x41                     ;  msbs: dst=1 src0=1 src1=0 src2=0
	v_mul_i32_i24_e32 v222 /*v478*/, v194 /*v450*/, v240
	s_set_vgpr_msb 0x44                     ;  msbs: dst=1 src0=0 src1=1 src2=0
	v_mul_i32_i24_e32 v223 /*v479*/, v242, v208 /*v464*/
	s_set_vgpr_msb 20                       ;  msbs: dst=0 src0=0 src1=1 src2=1
	v_mul_i32_i24_e32 v116, v21, v2 /*v258*/
	v_add3_u32 v9, v9, v217 /*v473*/, v218 /*v474*/
	v_add3_u32 v2, v2, v224 /*v480*/, v225 /*v481*/
	s_set_vgpr_msb 0x44                     ;  msbs: dst=1 src0=0 src1=1 src2=0
	v_mul_i32_i24_e32 v224 /*v480*/, v243, v209 /*v465*/
	v_mul_i32_i24_e32 v225 /*v481*/, v245, v210 /*v466*/
	;; [unrolled: 1-line block ×3, first 2 shown]
	s_set_vgpr_msb 20                       ;  msbs: dst=0 src0=0 src1=1 src2=1
	v_add3_u32 v9, v9, v219 /*v475*/, v220 /*v476*/
	v_add3_u32 v2, v2, v226 /*v482*/, v227 /*v483*/
	s_set_vgpr_msb 0x44                     ;  msbs: dst=1 src0=0 src1=1 src2=0
	v_mul_i32_i24_e32 v226 /*v482*/, v244, v195 /*v451*/
	v_mul_i32_i24_e32 v227 /*v483*/, v248, v211 /*v467*/
	;; [unrolled: 1-line block ×3, first 2 shown]
	s_set_vgpr_msb 20                       ;  msbs: dst=0 src0=0 src1=1 src2=1
	v_add3_u32 v9, v9, v221 /*v477*/, v222 /*v478*/
	v_add3_u32 v2, v2, v228 /*v484*/, v229 /*v485*/
	s_set_vgpr_msb 0x44                     ;  msbs: dst=1 src0=0 src1=1 src2=0
	v_mul_i32_i24_e32 v228 /*v484*/, v249, v212 /*v468*/
	s_set_vgpr_msb 0x45                     ;  msbs: dst=1 src0=1 src1=1 src2=0
	v_mul_i32_i24_e32 v229 /*v485*/, v1 /*v257*/, v213 /*v469*/
	s_set_vgpr_msb 0x44                     ;  msbs: dst=1 src0=0 src1=1 src2=0
	v_mul_i32_i24_e32 v189 /*v445*/, v42, v39 /*v295*/
	s_set_vgpr_msb 20                       ;  msbs: dst=0 src0=0 src1=1 src2=1
	v_add3_u32 v9, v9, v223 /*v479*/, v224 /*v480*/
	v_add3_u32 v2, v2, v230 /*v486*/, v231 /*v487*/
	s_set_vgpr_msb 0x44                     ;  msbs: dst=1 src0=0 src1=1 src2=0
	v_mul_i32_i24_e32 v230 /*v486*/, v252, v196 /*v452*/
	s_set_vgpr_msb 0x45                     ;  msbs: dst=1 src0=1 src1=1 src2=0
	v_mul_i32_i24_e32 v231 /*v487*/, v214 /*v470*/, v5 /*v261*/
	s_set_vgpr_msb 0x44                     ;  msbs: dst=1 src0=0 src1=1 src2=0
	v_mul_i32_i24_e32 v190 /*v446*/, v44, v41 /*v297*/
	s_set_vgpr_msb 20                       ;  msbs: dst=0 src0=0 src1=1 src2=1
	v_add3_u32 v9, v9, v225 /*v481*/, v226 /*v482*/
	v_add3_u32 v2, v2, v232 /*v488*/, v233 /*v489*/
	s_set_vgpr_msb 0x45                     ;  msbs: dst=1 src0=1 src1=1 src2=0
	v_mul_i32_i24_e32 v232 /*v488*/, v215 /*v471*/, v7 /*v263*/
	s_set_vgpr_msb 0x41                     ;  msbs: dst=1 src0=1 src1=0 src2=0
	v_mul_i32_i24_e32 v233 /*v489*/, v216 /*v472*/, v254
	s_set_vgpr_msb 0x44                     ;  msbs: dst=1 src0=0 src1=1 src2=0
	v_mul_i32_i24_e32 v191 /*v447*/, v46, v44 /*v300*/
	s_set_vgpr_msb 20                       ;  msbs: dst=0 src0=0 src1=1 src2=1
	v_add3_u32 v9, v9, v227 /*v483*/, v228 /*v484*/
	s_set_vgpr_msb 0                        ;  msbs: dst=0 src0=0 src1=0 src2=0
	v_mul_lo_u32 v2, v2, v172
	s_set_vgpr_msb 0x44                     ;  msbs: dst=1 src0=0 src1=1 src2=0
	v_mul_i32_i24_e32 v217 /*v473*/, v48, v46 /*v302*/
	s_set_vgpr_msb 0x41                     ;  msbs: dst=1 src0=1 src1=0 src2=0
	v_mul_i32_i24_e32 v218 /*v474*/, v52 /*v308*/, v52
	v_mul_i32_i24_e32 v219 /*v475*/, v48 /*v304*/, v53
	s_set_vgpr_msb 20                       ;  msbs: dst=0 src0=0 src1=1 src2=1
	v_add3_u32 v9, v9, v229 /*v485*/, v230 /*v486*/
	s_set_vgpr_msb 0x41                     ;  msbs: dst=1 src0=1 src1=0 src2=0
	v_mul_i32_i24_e32 v220 /*v476*/, v55 /*v311*/, v55
	v_mul_i32_i24_e32 v221 /*v477*/, v53 /*v309*/, v141
	;; [unrolled: 1-line block ×4, first 2 shown]
	s_set_vgpr_msb 20                       ;  msbs: dst=0 src0=0 src1=1 src2=1
	v_add3_u32 v9, v9, v231 /*v487*/, v232 /*v488*/
	s_set_vgpr_msb 0x41                     ;  msbs: dst=1 src0=1 src1=0 src2=0
	v_mul_i32_i24_e32 v224 /*v480*/, v68 /*v324*/, v144
	s_set_vgpr_msb 64                       ;  msbs: dst=1 src0=0 src1=0 src2=0
	v_cvt_f32_i32_e32 v179 /*v435*/, v2
	s_set_vgpr_msb 0x41                     ;  msbs: dst=1 src0=1 src1=0 src2=0
	v_mul_i32_i24_e32 v225 /*v481*/, v63 /*v319*/, v145
	v_mul_i32_i24_e32 v226 /*v482*/, v76 /*v332*/, v146
	s_set_vgpr_msb 20                       ;  msbs: dst=0 src0=0 src1=1 src2=1
	v_add3_u32 v2, v9, v233 /*v489*/, v234 /*v490*/
	s_set_vgpr_msb 21                       ;  msbs: dst=0 src0=1 src1=1 src2=1
	v_add3_u32 v9, v177 /*v433*/, v175 /*v431*/, v176 /*v432*/
	s_set_vgpr_msb 0x45                     ;  msbs: dst=1 src0=1 src1=1 src2=0
	v_pk_fma_f32 v[178:179] /*v[434:435]*/, v[184:185] /*v[440:441]*/, v[178:179] /*v[434:435]*/, 0 op_sel_hi:[1,1,0]
	s_set_vgpr_msb 0x44                     ;  msbs: dst=1 src0=0 src1=1 src2=0
	v_mul_i32_i24_e32 v175 /*v431*/, v28, v14 /*v270*/
	s_set_vgpr_msb 0x41                     ;  msbs: dst=1 src0=1 src1=0 src2=0
	v_mul_i32_i24_e32 v227 /*v483*/, v72 /*v328*/, v147
	s_set_vgpr_msb 0                        ;  msbs: dst=0 src0=0 src1=0 src2=0
	v_mul_lo_u32 v2, v2, v166
	v_mul_lo_u32 v9, v9, v166
	s_set_vgpr_msb 0x41                     ;  msbs: dst=1 src0=1 src1=0 src2=0
	v_mul_i32_i24_e32 v228 /*v484*/, v80 /*v336*/, v148
	v_mul_i32_i24_e32 v229 /*v485*/, v77 /*v333*/, v149
	s_set_vgpr_msb 0x45                     ;  msbs: dst=1 src0=1 src1=1 src2=0
	v_mul_i32_i24_e32 v230 /*v486*/, v197 /*v453*/, v106 /*v362*/
	s_set_vgpr_msb 64                       ;  msbs: dst=1 src0=0 src1=0 src2=0
	v_cvt_f32_i32_e32 v177 /*v433*/, v2
	v_cvt_f32_i32_e32 v176 /*v432*/, v9
	s_set_vgpr_msb 0                        ;  msbs: dst=0 src0=0 src1=0 src2=0
	v_mul_i32_i24_e32 v2, v18, v250
	v_mul_i32_i24_e32 v9, v20, v255
	s_set_vgpr_msb 0x55                     ;  msbs: dst=1 src0=1 src1=1 src2=1
	v_pk_fma_f32 v[176:177] /*v[432:433]*/, v[182:183] /*v[438:439]*/, v[176:177] /*v[432:433]*/, v[178:179] /*v[434:435]*/
	s_set_vgpr_msb 0x50                     ;  msbs: dst=1 src0=0 src1=0 src2=1
	v_pk_fma_f32 v[178:179] /*v[434:435]*/, v[108:109], v[0:1], v[180:181] /*v[436:437]*/ op_sel_hi:[0,1,1]
	s_set_vgpr_msb 0                        ;  msbs: dst=0 src0=0 src1=0 src2=0
	v_mad_i32_i24 v2, v19, v246, v2
	s_set_vgpr_msb 0x44                     ;  msbs: dst=1 src0=0 src1=1 src2=0
	v_mul_i32_i24_e32 v180 /*v436*/, v36, v28 /*v284*/
	v_mul_i32_i24_e32 v181 /*v437*/, v38, v30 /*v286*/
	s_set_vgpr_msb 0x41                     ;  msbs: dst=1 src0=1 src1=0 src2=0
	v_pk_mul_f32 v[178:179] /*v[434:435]*/, v[178:179] /*v[434:435]*/, v[94:95]
	s_set_vgpr_msb 0                        ;  msbs: dst=0 src0=0 src1=0 src2=0
	v_add3_u32 v2, v2, v9, v116
	s_set_vgpr_msb 4                        ;  msbs: dst=0 src0=0 src1=1 src2=0
	v_mul_i32_i24_e32 v9, v22, v3 /*v259*/
	v_mul_i32_i24_e32 v116, v24, v6 /*v262*/
	s_set_vgpr_msb 0x51                     ;  msbs: dst=1 src0=1 src1=0 src2=1
	v_pk_fma_f32 v[176:177] /*v[432:433]*/, v[176:177] /*v[432:433]*/, v[6:7], v[178:179] /*v[434:435]*/ neg_lo:[0,0,1] neg_hi:[0,0,1]
	s_set_vgpr_msb 0x44                     ;  msbs: dst=1 src0=0 src1=1 src2=0
	v_mul_i32_i24_e32 v178 /*v434*/, v32, v20 /*v276*/
	v_mul_i32_i24_e32 v179 /*v435*/, v34, v25 /*v281*/
	s_set_vgpr_msb 0                        ;  msbs: dst=0 src0=0 src1=0 src2=0
	v_add3_u32 v2, v2, v9, v116
	s_set_vgpr_msb 4                        ;  msbs: dst=0 src0=0 src1=1 src2=0
	v_mul_i32_i24_e32 v9, v150, v71 /*v327*/
	v_pk_add_f32 v[70:71], v[70:71], v[176:177] /*v[432:433]*/
	s_set_vgpr_msb 0x44                     ;  msbs: dst=1 src0=0 src1=1 src2=0
	v_mul_i32_i24_e32 v176 /*v432*/, v29, v16 /*v272*/
	s_set_vgpr_msb 4                        ;  msbs: dst=0 src0=0 src1=1 src2=0
	v_mul_i32_i24_e32 v116, v152, v65 /*v321*/
	s_set_vgpr_msb 16                       ;  msbs: dst=0 src0=0 src1=0 src2=1
	v_add3_u32 v2, v2, v120, v173 /*v429*/
	s_set_vgpr_msb 4                        ;  msbs: dst=0 src0=0 src1=1 src2=0
	v_mul_i32_i24_e32 v120, v153, v75 /*v331*/
	v_mad_i32_i24 v9, v151, v69 /*v325*/, v9
	s_set_vgpr_msb 0x44                     ;  msbs: dst=1 src0=0 src1=1 src2=0
	v_mul_i32_i24_e32 v177 /*v433*/, v30, v17 /*v273*/
	v_mul_i32_i24_e32 v173 /*v429*/, v156, v73 /*v329*/
	s_set_vgpr_msb 20                       ;  msbs: dst=0 src0=0 src1=1 src2=1
	v_add3_u32 v2, v2, v175 /*v431*/, v176 /*v432*/
	s_set_vgpr_msb 0x45                     ;  msbs: dst=1 src0=1 src1=1 src2=0
	v_mul_i32_i24_e32 v175 /*v431*/, v198 /*v454*/, v83 /*v339*/
	s_set_vgpr_msb 0                        ;  msbs: dst=0 src0=0 src1=0 src2=0
	v_add3_u32 v9, v9, v116, v120
	s_set_vgpr_msb 20                       ;  msbs: dst=0 src0=0 src1=1 src2=1
	v_mul_i32_i24_e32 v116, v154, v79 /*v335*/
	v_mul_i32_i24_e32 v120, v155, v81 /*v337*/
	v_add3_u32 v2, v2, v177 /*v433*/, v178 /*v434*/
	s_set_vgpr_msb 0x45                     ;  msbs: dst=1 src0=1 src1=1 src2=0
	v_mul_i32_i24_e32 v176 /*v432*/, v199 /*v455*/, v84 /*v340*/
	v_mul_i32_i24_e32 v177 /*v433*/, v200 /*v456*/, v85 /*v341*/
	;; [unrolled: 1-line block ×3, first 2 shown]
	s_set_vgpr_msb 0                        ;  msbs: dst=0 src0=0 src1=0 src2=0
	v_add3_u32 v9, v9, v116, v120
	s_set_vgpr_msb 20                       ;  msbs: dst=0 src0=0 src1=1 src2=1
	v_add3_u32 v2, v2, v179 /*v435*/, v180 /*v436*/
	s_set_vgpr_msb 0x45                     ;  msbs: dst=1 src0=1 src1=1 src2=0
	v_mul_i32_i24_e32 v179 /*v435*/, v192 /*v448*/, v87 /*v343*/
	v_mul_i32_i24_e32 v180 /*v436*/, v202 /*v458*/, v88 /*v344*/
	s_set_vgpr_msb 0                        ;  msbs: dst=0 src0=0 src1=0 src2=0
	v_mul_lo_u32 v116, v117, v234
	s_set_vgpr_msb 20                       ;  msbs: dst=0 src0=0 src1=1 src2=1
	v_add3_u32 v9, v9, v173 /*v429*/, v175 /*v431*/
	v_add3_u32 v2, v2, v181 /*v437*/, v188 /*v444*/
	s_set_vgpr_msb 0x45                     ;  msbs: dst=1 src0=1 src1=1 src2=0
	v_mul_i32_i24_e32 v181 /*v437*/, v203 /*v459*/, v89 /*v345*/
	v_mul_i32_i24_e32 v188 /*v444*/, v204 /*v460*/, v86 /*v342*/
	s_set_vgpr_msb 1                        ;  msbs: dst=0 src0=1 src1=0 src2=0
	v_mul_i32_i24_e32 v120, v151 /*v407*/, v148
	s_set_vgpr_msb 20                       ;  msbs: dst=0 src0=0 src1=1 src2=1
	v_add3_u32 v9, v9, v176 /*v432*/, v177 /*v433*/
	v_add3_u32 v2, v2, v189 /*v445*/, v190 /*v446*/
	s_set_vgpr_msb 0x45                     ;  msbs: dst=1 src0=1 src1=1 src2=0
	v_mul_i32_i24_e32 v189 /*v445*/, v193 /*v449*/, v91 /*v347*/
	v_mul_i32_i24_e32 v190 /*v446*/, v205 /*v461*/, v92 /*v348*/
	s_set_vgpr_msb 0x44                     ;  msbs: dst=1 src0=0 src1=1 src2=0
	v_pk_fma_f32 v[176:177] /*v[432:433]*/, v[106:107], v[186:187] /*v[442:443]*/, 0 op_sel_hi:[0,1,0]
	s_set_vgpr_msb 20                       ;  msbs: dst=0 src0=0 src1=1 src2=1
	v_add3_u32 v9, v9, v178 /*v434*/, v179 /*v435*/
	v_add3_u32 v2, v2, v191 /*v447*/, v217 /*v473*/
	s_set_vgpr_msb 0x45                     ;  msbs: dst=1 src0=1 src1=1 src2=0
	v_mul_i32_i24_e32 v191 /*v447*/, v206 /*v462*/, v93 /*v349*/
	v_mul_i32_i24_e32 v217 /*v473*/, v207 /*v463*/, v90 /*v346*/
	s_set_vgpr_msb 20                       ;  msbs: dst=0 src0=0 src1=1 src2=1
	v_cvt_f32_i32_e32 v116, v116
	v_add3_u32 v9, v9, v180 /*v436*/, v181 /*v437*/
	v_add3_u32 v2, v2, v218 /*v474*/, v219 /*v475*/
	s_set_vgpr_msb 0x45                     ;  msbs: dst=1 src0=1 src1=1 src2=0
	v_mul_i32_i24_e32 v218 /*v474*/, v194 /*v450*/, v94 /*v350*/
	v_mul_i32_i24_e32 v219 /*v475*/, v95 /*v351*/, v208 /*v464*/
	s_set_vgpr_msb 20                       ;  msbs: dst=0 src0=0 src1=1 src2=1
	v_add3_u32 v9, v9, v188 /*v444*/, v189 /*v445*/
	v_add3_u32 v2, v2, v220 /*v476*/, v221 /*v477*/
	s_set_vgpr_msb 0x45                     ;  msbs: dst=1 src0=1 src1=1 src2=0
	v_mul_i32_i24_e32 v220 /*v476*/, v96 /*v352*/, v209 /*v465*/
	v_mul_i32_i24_e32 v221 /*v477*/, v98 /*v354*/, v210 /*v466*/
	s_set_vgpr_msb 20                       ;  msbs: dst=0 src0=0 src1=1 src2=1
	v_add3_u32 v9, v9, v190 /*v446*/, v191 /*v447*/
	v_add3_u32 v2, v2, v222 /*v478*/, v223 /*v479*/
	s_set_vgpr_msb 0x45                     ;  msbs: dst=1 src0=1 src1=1 src2=0
	v_mul_i32_i24_e32 v222 /*v478*/, v97 /*v353*/, v195 /*v451*/
	v_mul_i32_i24_e32 v223 /*v479*/, v99 /*v355*/, v211 /*v467*/
	s_set_vgpr_msb 20                       ;  msbs: dst=0 src0=0 src1=1 src2=1
	v_add3_u32 v9, v9, v217 /*v473*/, v218 /*v474*/
	v_add3_u32 v2, v2, v224 /*v480*/, v225 /*v481*/
	s_set_vgpr_msb 0x45                     ;  msbs: dst=1 src0=1 src1=1 src2=0
	v_mul_i32_i24_e32 v224 /*v480*/, v100 /*v356*/, v212 /*v468*/
	v_mul_i32_i24_e32 v225 /*v481*/, v103 /*v359*/, v213 /*v469*/
	s_set_vgpr_msb 20                       ;  msbs: dst=0 src0=0 src1=1 src2=1
	v_add3_u32 v9, v9, v219 /*v475*/, v220 /*v476*/
	v_add3_u32 v2, v2, v226 /*v482*/, v227 /*v483*/
	s_set_vgpr_msb 0x45                     ;  msbs: dst=1 src0=1 src1=1 src2=0
	v_mul_i32_i24_e32 v226 /*v482*/, v101 /*v357*/, v196 /*v452*/
	v_mul_i32_i24_e32 v227 /*v483*/, v214 /*v470*/, v104 /*v360*/
	s_set_vgpr_msb 20                       ;  msbs: dst=0 src0=0 src1=1 src2=1
	v_add3_u32 v9, v9, v221 /*v477*/, v222 /*v478*/
	v_add3_u32 v2, v2, v228 /*v484*/, v229 /*v485*/
	s_set_vgpr_msb 0x45                     ;  msbs: dst=1 src0=1 src1=1 src2=0
	v_mul_i32_i24_e32 v228 /*v484*/, v215 /*v471*/, v105 /*v361*/
	v_mul_i32_i24_e32 v229 /*v485*/, v216 /*v472*/, v102 /*v358*/
	s_set_vgpr_msb 20                       ;  msbs: dst=0 src0=0 src1=1 src2=1
	v_add3_u32 v9, v9, v223 /*v479*/, v224 /*v480*/
	s_set_vgpr_msb 0                        ;  msbs: dst=0 src0=0 src1=0 src2=0
	v_mul_lo_u32 v2, v2, v234
	s_set_vgpr_msb 20                       ;  msbs: dst=0 src0=0 src1=1 src2=1
	s_delay_alu instid0(VALU_DEP_2) | instskip(NEXT) | instid1(VALU_DEP_1)
	v_add3_u32 v9, v9, v225 /*v481*/, v226 /*v482*/
	v_add3_u32 v9, v9, v227 /*v483*/, v228 /*v484*/
	s_delay_alu instid0(VALU_DEP_3) | instskip(NEXT) | instid1(VALU_DEP_2)
	v_cvt_f32_i32_e32 v117, v2
	v_add3_u32 v2, v9, v229 /*v485*/, v230 /*v486*/
	s_set_vgpr_msb 1                        ;  msbs: dst=0 src0=1 src1=0 src2=0
	v_add3_u32 v9, v174 /*v430*/, v122, v123
	s_delay_alu instid0(VALU_DEP_3) | instskip(SKIP_2) | instid1(VALU_DEP_3)
	v_pk_fma_f32 v[116:117], v[184:185] /*v[440:441]*/, v[116:117], 0 op_sel_hi:[1,1,0]
	s_set_vgpr_msb 0                        ;  msbs: dst=0 src0=0 src1=0 src2=0
	v_mul_lo_u32 v2, v2, v168
	v_mul_lo_u32 v9, v9, v168
	s_delay_alu instid0(VALU_DEP_2) | instskip(SKIP_2) | instid1(VALU_DEP_3)
	v_cvt_f32_i32_e32 v123, v2
	s_set_vgpr_msb 4                        ;  msbs: dst=0 src0=0 src1=1 src2=0
	v_mul_i32_i24_e32 v2, v18, v110 /*v366*/
	v_cvt_f32_i32_e32 v122, v9
	v_mul_i32_i24_e32 v9, v20, v111 /*v367*/
	v_mul_i32_i24_e32 v18, v21, v112 /*v368*/
	;; [unrolled: 1-line block ×3, first 2 shown]
	v_mad_i32_i24 v2, v19, v109 /*v365*/, v2
	v_mul_i32_i24_e32 v19, v25, v115 /*v371*/
	v_mul_i32_i24_e32 v21, v28, v117 /*v373*/
	;; [unrolled: 1-line block ×4, first 2 shown]
	s_set_vgpr_msb 0                        ;  msbs: dst=0 src0=0 src1=0 src2=0
	v_add3_u32 v2, v2, v9, v18
	s_set_vgpr_msb 4                        ;  msbs: dst=0 src0=0 src1=1 src2=0
	v_mul_i32_i24_e32 v9, v22, v113 /*v369*/
	v_mul_i32_i24_e32 v18, v24, v114 /*v370*/
	;; [unrolled: 1-line block ×6, first 2 shown]
	s_set_vgpr_msb 0                        ;  msbs: dst=0 src0=0 src1=0 src2=0
	v_add3_u32 v2, v2, v9, v18
	s_set_vgpr_msb 1                        ;  msbs: dst=0 src0=1 src1=0 src2=0
	v_mul_i32_i24_e32 v9, v154 /*v410*/, v150
	v_mul_i32_i24_e32 v18, v153 /*v409*/, v152
	s_set_vgpr_msb 4                        ;  msbs: dst=0 src0=0 src1=1 src2=0
	v_mul_i32_i24_e32 v30, v40, v124 /*v380*/
	v_mul_i32_i24_e32 v32, v42, v125 /*v381*/
	s_set_vgpr_msb 0                        ;  msbs: dst=0 src0=0 src1=0 src2=0
	v_add3_u32 v2, v2, v19, v20
	s_set_vgpr_msb 1                        ;  msbs: dst=0 src0=1 src1=0 src2=0
	v_mul_i32_i24_e32 v19, v143 /*v399*/, v153
	v_mad_i32_i24 v9, v152 /*v408*/, v151, v9
	v_mul_i32_i24_e32 v20, v155 /*v411*/, v156
	s_set_vgpr_msb 4                        ;  msbs: dst=0 src0=0 src1=1 src2=0
	v_mul_i32_i24_e32 v34, v44, v126 /*v382*/
	s_set_vgpr_msb 0                        ;  msbs: dst=0 src0=0 src1=0 src2=0
	v_add3_u32 v2, v2, v21, v22
	s_set_vgpr_msb 5                        ;  msbs: dst=0 src0=1 src1=1 src2=0
	v_mul_i32_i24_e32 v21, v134 /*v390*/, v198 /*v454*/
	s_set_vgpr_msb 0                        ;  msbs: dst=0 src0=0 src1=0 src2=0
	v_add3_u32 v9, v9, v18, v19
	s_set_vgpr_msb 1                        ;  msbs: dst=0 src0=1 src1=0 src2=0
	v_mul_i32_i24_e32 v18, v157 /*v413*/, v154
	v_mul_i32_i24_e32 v19, v156 /*v412*/, v155
	s_set_vgpr_msb 0                        ;  msbs: dst=0 src0=0 src1=0 src2=0
	v_add3_u32 v2, v2, v24, v25
	s_set_vgpr_msb 5                        ;  msbs: dst=0 src0=1 src1=1 src2=0
	v_mul_i32_i24_e32 v22, v160 /*v416*/, v199 /*v455*/
	v_mul_i32_i24_e32 v24, v159 /*v415*/, v200 /*v456*/
	;; [unrolled: 1-line block ×3, first 2 shown]
	s_set_vgpr_msb 0                        ;  msbs: dst=0 src0=0 src1=0 src2=0
	v_add3_u32 v9, v9, v18, v19
	v_add3_u32 v2, v2, v26, v28
	s_set_vgpr_msb 5                        ;  msbs: dst=0 src0=1 src1=1 src2=0
	v_mul_i32_i24_e32 v26, v135 /*v391*/, v192 /*v448*/
	s_set_vgpr_msb 4                        ;  msbs: dst=0 src0=0 src1=1 src2=0
	v_mul_i32_i24_e32 v36, v46, v127 /*v383*/
	v_mul_i32_i24_e32 v38, v48, v128 /*v384*/
	s_set_vgpr_msb 0                        ;  msbs: dst=0 src0=0 src1=0 src2=0
	v_add3_u32 v9, v9, v20, v21
	v_add3_u32 v2, v2, v29, v30
	s_set_vgpr_msb 5                        ;  msbs: dst=0 src0=1 src1=1 src2=0
	v_mul_i32_i24_e32 v28, v163 /*v419*/, v202 /*v458*/
	v_mul_i32_i24_e32 v29, v162 /*v418*/, v203 /*v459*/
	s_set_vgpr_msb 1                        ;  msbs: dst=0 src0=1 src1=0 src2=0
	v_mul_i32_i24_e32 v40, v130 /*v386*/, v52
	s_set_vgpr_msb 0                        ;  msbs: dst=0 src0=0 src1=0 src2=0
	v_add3_u32 v9, v9, v22, v24
	v_add3_u32 v2, v2, v32, v34
	s_set_vgpr_msb 1                        ;  msbs: dst=0 src0=1 src1=0 src2=0
	v_mul_i32_i24_e32 v42, v129 /*v385*/, v53
	s_set_vgpr_msb 5                        ;  msbs: dst=0 src0=1 src1=1 src2=0
	v_mul_i32_i24_e32 v30, v161 /*v417*/, v204 /*v460*/
	v_mul_i32_i24_e32 v32, v136 /*v392*/, v193 /*v449*/
	s_set_vgpr_msb 0                        ;  msbs: dst=0 src0=0 src1=0 src2=0
	v_add3_u32 v9, v9, v25, v26
	v_add3_u32 v2, v2, v36, v38
	s_set_vgpr_msb 1                        ;  msbs: dst=0 src0=1 src1=0 src2=0
	v_pk_fma_f32 v[116:117], v[182:183] /*v[438:439]*/, v[122:123], v[116:117]
	s_set_vgpr_msb 16                       ;  msbs: dst=0 src0=0 src1=0 src2=1
	v_pk_fma_f32 v[122:123], v[110:111], v[0:1], v[176:177] /*v[432:433]*/ op_sel_hi:[0,1,1]
	s_set_vgpr_msb 1                        ;  msbs: dst=0 src0=1 src1=0 src2=0
	v_mul_i32_i24_e32 v44, v132 /*v388*/, v55
	s_set_vgpr_msb 0                        ;  msbs: dst=0 src0=0 src1=0 src2=0
	v_add3_u32 v9, v9, v28, v29
	s_set_vgpr_msb 1                        ;  msbs: dst=0 src0=1 src1=0 src2=0
	v_mul_i32_i24_e32 v46, v131 /*v387*/, v141
	s_set_vgpr_msb 0                        ;  msbs: dst=0 src0=0 src1=0 src2=0
	v_add3_u32 v2, v2, v40, v42
	s_set_vgpr_msb 5                        ;  msbs: dst=0 src0=1 src1=1 src2=0
	v_mul_i32_i24_e32 v34, v166 /*v422*/, v205 /*v461*/
	v_mul_i32_i24_e32 v36, v165 /*v421*/, v206 /*v462*/
	s_set_vgpr_msb 0                        ;  msbs: dst=0 src0=0 src1=0 src2=0
	v_add3_u32 v9, v9, v30, v32
	v_pk_mul_f32 v[122:123], v[122:123], v[96:97]
	s_set_vgpr_msb 1                        ;  msbs: dst=0 src0=1 src1=0 src2=0
	v_mul_i32_i24_e32 v48, v141 /*v397*/, v142
	v_mul_i32_i24_e32 v52, v133 /*v389*/, v143
	s_set_vgpr_msb 0                        ;  msbs: dst=0 src0=0 src1=0 src2=0
	v_add3_u32 v2, v2, v44, v46
	s_set_vgpr_msb 5                        ;  msbs: dst=0 src0=1 src1=1 src2=0
	v_mul_i32_i24_e32 v38, v164 /*v420*/, v207 /*v463*/
	v_mul_i32_i24_e32 v40, v137 /*v393*/, v194 /*v450*/
	s_set_vgpr_msb 0                        ;  msbs: dst=0 src0=0 src1=0 src2=0
	v_add3_u32 v9, v9, v34, v36
	v_pk_fma_f32 v[116:117], v[116:117], v[88:89], v[122:123] neg_lo:[0,0,1] neg_hi:[0,0,1]
	s_set_vgpr_msb 1                        ;  msbs: dst=0 src0=1 src1=0 src2=0
	v_mul_i32_i24_e32 v53, v144 /*v400*/, v144
	v_mul_i32_i24_e32 v55, v142 /*v398*/, v145
	s_set_vgpr_msb 0                        ;  msbs: dst=0 src0=0 src1=0 src2=0
	v_add3_u32 v2, v2, v48, v52
	s_set_vgpr_msb 5                        ;  msbs: dst=0 src0=1 src1=1 src2=0
	v_mul_i32_i24_e32 v42, v169 /*v425*/, v208 /*v464*/
	v_mul_i32_i24_e32 v44, v168 /*v424*/, v209 /*v465*/
	s_set_vgpr_msb 0                        ;  msbs: dst=0 src0=0 src1=0 src2=0
	v_add3_u32 v9, v9, v38, v40
	v_pk_add_f32 v[78:79], v[78:79], v[116:117]
	s_set_vgpr_msb 1                        ;  msbs: dst=0 src0=1 src1=0 src2=0
	v_mul_i32_i24_e32 v116, v149 /*v405*/, v146
	v_mul_i32_i24_e32 v117, v147 /*v403*/, v147
	s_set_vgpr_msb 0                        ;  msbs: dst=0 src0=0 src1=0 src2=0
	v_add3_u32 v2, v2, v53, v55
	s_set_vgpr_msb 5                        ;  msbs: dst=0 src0=1 src1=1 src2=0
	v_mul_i32_i24_e32 v46, v167 /*v423*/, v210 /*v466*/
	v_mul_i32_i24_e32 v48, v138 /*v394*/, v195 /*v451*/
	s_set_vgpr_msb 0                        ;  msbs: dst=0 src0=0 src1=0 src2=0
	v_add3_u32 v9, v9, v42, v44
	s_set_vgpr_msb 1                        ;  msbs: dst=0 src0=1 src1=0 src2=0
	v_mul_i32_i24_e32 v122, v150 /*v406*/, v149
	s_set_vgpr_msb 0                        ;  msbs: dst=0 src0=0 src1=0 src2=0
	v_add3_u32 v2, v2, v116, v117
	s_set_vgpr_msb 5                        ;  msbs: dst=0 src0=1 src1=1 src2=0
	v_mul_i32_i24_e32 v52, v172 /*v428*/, v211 /*v467*/
	v_mul_i32_i24_e32 v53, v171 /*v427*/, v212 /*v468*/
	s_set_vgpr_msb 0                        ;  msbs: dst=0 src0=0 src1=0 src2=0
	v_add3_u32 v9, v9, v46, v48
	s_set_vgpr_msb 5                        ;  msbs: dst=0 src0=1 src1=1 src2=0
	v_mul_i32_i24_e32 v55, v170 /*v426*/, v213 /*v469*/
	s_set_vgpr_msb 0                        ;  msbs: dst=0 src0=0 src1=0 src2=0
	v_add3_u32 v2, v2, v120, v122
	s_set_vgpr_msb 5                        ;  msbs: dst=0 src0=1 src1=1 src2=0
	v_mul_i32_i24_e32 v116, v139 /*v395*/, v196 /*v452*/
	s_set_vgpr_msb 4                        ;  msbs: dst=0 src0=0 src1=1 src2=0
	v_mul_lo_u32 v18, v3, v108 /*v364*/
	s_set_vgpr_msb 0                        ;  msbs: dst=0 src0=0 src1=0 src2=0
	v_add3_u32 v9, v9, v52, v53
	s_set_vgpr_msb 5                        ;  msbs: dst=0 src0=1 src1=1 src2=0
	v_mul_i32_i24_e32 v117, v214 /*v470*/, v145 /*v401*/
	s_set_vgpr_msb 4                        ;  msbs: dst=0 src0=0 src1=1 src2=0
	v_mul_lo_u32 v2, v2, v108 /*v364*/
	s_set_vgpr_msb 5                        ;  msbs: dst=0 src0=1 src1=1 src2=0
	v_mul_i32_i24_e32 v120, v215 /*v471*/, v146 /*v402*/
	v_mul_i32_i24_e32 v122, v216 /*v472*/, v140 /*v396*/
	s_set_vgpr_msb 0                        ;  msbs: dst=0 src0=0 src1=0 src2=0
	v_add3_u32 v9, v9, v55, v116
	s_set_vgpr_msb 5                        ;  msbs: dst=0 src0=1 src1=1 src2=0
	v_mul_i32_i24_e32 v123, v197 /*v453*/, v148 /*v404*/
	s_set_vgpr_msb 0                        ;  msbs: dst=0 src0=0 src1=0 src2=0
	s_delay_alu instid0(VALU_DEP_2)
	v_add3_u32 v9, v9, v117, v120
	s_set_vgpr_msb 4                        ;  msbs: dst=0 src0=0 src1=1 src2=0
	v_pk_fma_f32 v[116:117], v[114:115], v[186:187] /*v[442:443]*/, 0 op_sel_hi:[0,1,0]
	v_cvt_f32_i32_e32 v3, v2
	v_cvt_f32_i32_e32 v2, v18
	s_set_vgpr_msb 0                        ;  msbs: dst=0 src0=0 src1=0 src2=0
	v_add3_u32 v9, v9, v122, v123
	v_add3_u32 v18, v121, v118, v119
	v_pk_fma_f32 v[0:1], v[112:113], v[0:1], v[116:117] op_sel_hi:[0,1,1]
	s_set_vgpr_msb 1                        ;  msbs: dst=0 src0=1 src1=0 src2=0
	v_pk_fma_f32 v[2:3], v[184:185] /*v[440:441]*/, v[2:3], 0 op_sel_hi:[1,1,0]
	s_set_vgpr_msb 4                        ;  msbs: dst=0 src0=0 src1=1 src2=0
	v_mul_lo_u32 v9, v9, v107 /*v363*/
	v_mul_lo_u32 v18, v18, v107 /*v363*/
	s_set_vgpr_msb 0                        ;  msbs: dst=0 src0=0 src1=0 src2=0
	v_pk_mul_f32 v[0:1], v[0:1], v[98:99]
	s_delay_alu instid0(VALU_DEP_3) | instskip(NEXT) | instid1(VALU_DEP_3)
	v_cvt_f32_i32_e32 v119, v9
	v_cvt_f32_i32_e32 v118, v18
	s_set_vgpr_msb 1                        ;  msbs: dst=0 src0=1 src1=0 src2=0
	s_delay_alu instid0(VALU_DEP_1) | instskip(SKIP_1) | instid1(VALU_DEP_1)
	v_pk_fma_f32 v[2:3], v[182:183] /*v[438:439]*/, v[118:119], v[2:3]
	s_set_vgpr_msb 0                        ;  msbs: dst=0 src0=0 src1=0 src2=0
	v_pk_fma_f32 v[0:1], v[2:3], v[90:91], v[0:1] neg_lo:[0,0,1] neg_hi:[0,0,1]
	s_delay_alu instid0(VALU_DEP_1) | instskip(SKIP_1) | instid1(VALU_DEP_1)
	v_pk_add_f32 v[84:85], v[84:85], v[0:1]
	v_or_b32_e32 v0, s8, v133
	v_dual_lshlrev_b32 v9, 2, v0 :: v_dual_lshrrev_b32 v18, 1, v0
	ds_load_b128 v[0:3], v9 offset:16896
	ds_load_b128 v[116:119], v9 offset:16912
	;; [unrolled: 1-line block ×3, first 2 shown]
	s_set_vgpr_msb 64                       ;  msbs: dst=1 src0=0 src1=0 src2=0
	ds_load_b128 v[174:177] /*v[430:433]*/, v9 offset:16944
	s_wait_dscnt 0x3
	s_set_vgpr_msb 0                        ;  msbs: dst=0 src0=0 src1=0 src2=0
	v_bfe_i32 v9, v0, 0, 8
	v_bfe_i32 v19, v0, 8, 8
	;; [unrolled: 1-line block ×3, first 2 shown]
	v_ashrrev_i32_e32 v21, 24, v0
	s_wait_dscnt 0x2
	v_dual_ashrrev_i32 v46, 24, v116 :: v_dual_ashrrev_i32 v55, 24, v117
	v_bfe_i32 v48, v117, 0, 8
	v_bfe_i32 v52, v117, 8, 8
	;; [unrolled: 1-line block ×3, first 2 shown]
	v_mul_i32_i24_e32 v117, v9, v202
	v_bfe_i32 v22, v1, 0, 8
	v_bfe_i32 v24, v1, 8, 8
	v_bfe_i32 v25, v1, 16, 8
	v_ashrrev_i32_e32 v26, 24, v1
	v_bfe_i32 v34, v3, 0, 8
	v_bfe_i32 v36, v3, 8, 8
	;; [unrolled: 1-line block ×3, first 2 shown]
	v_ashrrev_i32_e32 v3, 24, v3
	ds_load_b64 v[0:1], v18 offset:27200
	s_wait_dscnt 0x2
	v_bfe_i32 v18, v120, 0, 8
	v_bfe_i32 v147, v120, 8, 8
	;; [unrolled: 1-line block ×3, first 2 shown]
	v_dual_ashrrev_i32 v149, 24, v120 :: v_dual_ashrrev_i32 v156, 24, v122
	v_bfe_i32 v153, v122, 0, 8
	v_bfe_i32 v154, v122, 8, 8
	;; [unrolled: 1-line block ×3, first 2 shown]
	v_mul_i32_i24_e32 v120, v20, v206
	v_mul_i32_i24_e32 v122, v21, v209
	v_mad_i32_i24 v117, v19, v200, v117
	v_bfe_i32 v28, v2, 0, 8
	v_bfe_i32 v29, v2, 8, 8
	s_set_vgpr_msb 64                       ;  msbs: dst=1 src0=0 src1=0 src2=0
	v_bfe_i32 v181 /*v437*/, v123, 0, 8
	v_bfe_i32 v182 /*v438*/, v123, 8, 8
	s_set_vgpr_msb 0                        ;  msbs: dst=0 src0=0 src1=0 src2=0
	v_add3_u32 v117, v117, v120, v122
	v_mul_i32_i24_e32 v120, v22, v211
	v_mul_i32_i24_e32 v122, v24, v214
	s_set_vgpr_msb 64                       ;  msbs: dst=1 src0=0 src1=0 src2=0
	v_bfe_i32 v183 /*v439*/, v123, 16, 8
	v_ashrrev_i32_e32 v184 /*v440*/, 24, v123
	s_set_vgpr_msb 0                        ;  msbs: dst=0 src0=0 src1=0 src2=0
	v_mul_i32_i24_e32 v123, v25, v216
	s_set_vgpr_msb 64                       ;  msbs: dst=1 src0=0 src1=0 src2=0
	v_mul_i32_i24_e32 v173 /*v429*/, v26, v220
	s_set_vgpr_msb 0                        ;  msbs: dst=0 src0=0 src1=0 src2=0
	v_add3_u32 v117, v117, v120, v122
	v_bfe_i32 v30, v2, 16, 8
	v_ashrrev_i32_e32 v32, 24, v2
	s_wait_dscnt 0x1
	s_set_vgpr_msb 0x41                     ;  msbs: dst=1 src0=1 src1=0 src2=0
	v_bfe_i32 v185 /*v441*/, v174 /*v430*/, 0, 8
	v_bfe_i32 v186 /*v442*/, v174 /*v430*/, 8, 8
	;; [unrolled: 1-line block ×3, first 2 shown]
	s_set_vgpr_msb 0x44                     ;  msbs: dst=1 src0=0 src1=1 src2=0
	v_ashrrev_i32_e32 v188 /*v444*/, 24, v174 /*v430*/
	s_set_vgpr_msb 0x41                     ;  msbs: dst=1 src0=1 src1=0 src2=0
	v_bfe_i32 v189 /*v445*/, v175 /*v431*/, 0, 8
	v_bfe_i32 v190 /*v446*/, v175 /*v431*/, 8, 8
	;; [unrolled: 1-line block ×3, first 2 shown]
	s_set_vgpr_msb 0x44                     ;  msbs: dst=1 src0=0 src1=1 src2=0
	v_dual_ashrrev_i32 v192 /*v448*/, 24, v175 /*v431*/ :: v_dual_ashrrev_i32 v196 /*v452*/, 24, v176 /*v432*/
	s_set_vgpr_msb 64                       ;  msbs: dst=1 src0=0 src1=0 src2=0
	v_mul_i32_i24_e32 v174 /*v430*/, v28, v225
	v_mul_i32_i24_e32 v175 /*v431*/, v29, v227
	s_set_vgpr_msb 16                       ;  msbs: dst=0 src0=0 src1=0 src2=1
	v_add3_u32 v117, v117, v123, v173 /*v429*/
	s_set_vgpr_msb 0x41                     ;  msbs: dst=1 src0=1 src1=0 src2=0
	v_bfe_i32 v193 /*v449*/, v176 /*v432*/, 0, 8
	v_bfe_i32 v194 /*v450*/, v176 /*v432*/, 8, 8
	;; [unrolled: 1-line block ×6, first 2 shown]
	s_set_vgpr_msb 0x44                     ;  msbs: dst=1 src0=0 src1=1 src2=0
	v_ashrrev_i32_e32 v200 /*v456*/, 24, v177 /*v433*/
	s_set_vgpr_msb 64                       ;  msbs: dst=1 src0=0 src1=0 src2=0
	v_mul_i32_i24_e32 v176 /*v432*/, v30, v228
	v_mul_i32_i24_e32 v177 /*v433*/, v32, v230
	s_set_vgpr_msb 20                       ;  msbs: dst=0 src0=0 src1=1 src2=1
	v_add3_u32 v117, v117, v174 /*v430*/, v175 /*v431*/
	s_set_vgpr_msb 64                       ;  msbs: dst=1 src0=0 src1=0 src2=0
	v_mul_i32_i24_e32 v178 /*v434*/, v34, v235
	v_mul_i32_i24_e32 v179 /*v435*/, v36, v237
	s_set_vgpr_msb 20                       ;  msbs: dst=0 src0=0 src1=1 src2=1
	v_bfe_i32 v40, v116, 0, 8
	v_bfe_i32 v42, v116, 8, 8
	v_add3_u32 v117, v117, v176 /*v432*/, v177 /*v433*/
	s_set_vgpr_msb 64                       ;  msbs: dst=1 src0=0 src1=0 src2=0
	v_mul_i32_i24_e32 v180 /*v436*/, v38, v239
	v_mul_i32_i24_e32 v201 /*v457*/, v3, v241
	s_set_vgpr_msb 0                        ;  msbs: dst=0 src0=0 src1=0 src2=0
	v_bfe_i32 v44, v116, 16, 8
	s_set_vgpr_msb 64                       ;  msbs: dst=1 src0=0 src1=0 src2=0
	v_mul_i32_i24_e32 v202 /*v458*/, v40, v247
	s_set_vgpr_msb 20                       ;  msbs: dst=0 src0=0 src1=1 src2=1
	v_add3_u32 v117, v117, v178 /*v434*/, v179 /*v435*/
	s_set_vgpr_msb 64                       ;  msbs: dst=1 src0=0 src1=0 src2=0
	v_mul_i32_i24_e32 v203 /*v459*/, v42, v251
	s_set_vgpr_msb 0x44                     ;  msbs: dst=1 src0=0 src1=1 src2=0
	v_mul_i32_i24_e32 v205 /*v461*/, v46, v0 /*v256*/
	s_set_vgpr_msb 64                       ;  msbs: dst=1 src0=0 src1=0 src2=0
	v_mul_i32_i24_e32 v204 /*v460*/, v44, v253
	s_set_vgpr_msb 0x41                     ;  msbs: dst=1 src0=1 src1=0 src2=0
	v_mul_i32_i24_e32 v206 /*v462*/, v9 /*v265*/, v48
	s_set_vgpr_msb 20                       ;  msbs: dst=0 src0=0 src1=1 src2=1
	v_add3_u32 v117, v117, v180 /*v436*/, v201 /*v457*/
	s_set_vgpr_msb 0x41                     ;  msbs: dst=1 src0=1 src1=0 src2=0
	v_mul_i32_i24_e32 v207 /*v463*/, v4 /*v260*/, v52
	s_set_vgpr_msb 0                        ;  msbs: dst=0 src0=0 src1=0 src2=0
	v_bfe_i32 v141, v118, 0, 8
	v_bfe_i32 v142, v118, 8, 8
	s_set_vgpr_msb 0x41                     ;  msbs: dst=1 src0=1 src1=0 src2=0
	v_mul_i32_i24_e32 v208 /*v464*/, v13 /*v269*/, v53
	s_set_vgpr_msb 20                       ;  msbs: dst=0 src0=0 src1=1 src2=1
	v_add3_u32 v117, v117, v202 /*v458*/, v203 /*v459*/
	s_set_vgpr_msb 0x41                     ;  msbs: dst=1 src0=1 src1=0 src2=0
	v_mul_i32_i24_e32 v209 /*v465*/, v10 /*v266*/, v55
	s_set_vgpr_msb 0                        ;  msbs: dst=0 src0=0 src1=0 src2=0
	v_bfe_i32 v143, v118, 16, 8
	v_ashrrev_i32_e32 v118, 24, v118
	s_set_vgpr_msb 0x41                     ;  msbs: dst=1 src0=1 src1=0 src2=0
	v_mul_i32_i24_e32 v210 /*v466*/, v18 /*v274*/, v141
	s_set_vgpr_msb 20                       ;  msbs: dst=0 src0=0 src1=1 src2=1
	v_add3_u32 v117, v117, v204 /*v460*/, v205 /*v461*/
	s_set_vgpr_msb 0x41                     ;  msbs: dst=1 src0=1 src1=0 src2=0
	v_mul_i32_i24_e32 v211 /*v467*/, v15 /*v271*/, v142
	s_set_vgpr_msb 20                       ;  msbs: dst=0 src0=0 src1=1 src2=1
	v_bfe_i32 v144, v119, 0, 8
	v_bfe_i32 v145, v119, 8, 8
	;; [unrolled: 1-line block ×3, first 2 shown]
	v_add3_u32 v117, v117, v206 /*v462*/, v207 /*v463*/
	s_set_vgpr_msb 0                        ;  msbs: dst=0 src0=0 src1=0 src2=0
	v_ashrrev_i32_e32 v119, 24, v119
	s_set_vgpr_msb 0x41                     ;  msbs: dst=1 src0=1 src1=0 src2=0
	v_mul_i32_i24_e32 v212 /*v468*/, v22 /*v278*/, v143
	v_mul_i32_i24_e32 v213 /*v469*/, v19 /*v275*/, v118
	;; [unrolled: 1-line block ×3, first 2 shown]
	s_set_vgpr_msb 20                       ;  msbs: dst=0 src0=0 src1=1 src2=1
	v_add3_u32 v117, v117, v208 /*v464*/, v209 /*v465*/
	s_set_vgpr_msb 0x41                     ;  msbs: dst=1 src0=1 src1=0 src2=0
	v_mul_i32_i24_e32 v215 /*v471*/, v26 /*v282*/, v145
	v_mul_i32_i24_e32 v216 /*v472*/, v35 /*v291*/, v146
	v_mul_i32_i24_e32 v217 /*v473*/, v32 /*v288*/, v119
	s_set_vgpr_msb 20                       ;  msbs: dst=0 src0=0 src1=1 src2=1
	v_bfe_i32 v150, v121, 0, 8
	v_add3_u32 v117, v117, v210 /*v466*/, v211 /*v467*/
	v_bfe_i32 v151, v121, 8, 8
	v_mul_i32_i24_e32 v120, v148, v21 /*v277*/
	v_mul_i32_i24_e32 v122, v149, v29 /*v285*/
	s_wait_dscnt 0x0
	s_set_vgpr_msb 0                        ;  msbs: dst=0 src0=0 src1=0 src2=0
	v_lshrrev_b32_e32 v2, 16, v0
	s_set_vgpr_msb 20                       ;  msbs: dst=0 src0=0 src1=1 src2=1
	v_add3_u32 v117, v117, v212 /*v468*/, v213 /*v469*/
	v_bfe_i32 v152, v121, 16, 8
	s_set_vgpr_msb 0                        ;  msbs: dst=0 src0=0 src1=0 src2=0
	v_ashrrev_i32_e32 v121, 24, v121
	s_set_vgpr_msb 0x44                     ;  msbs: dst=1 src0=0 src1=1 src2=0
	v_mul_i32_i24_e32 v175 /*v431*/, v153, v40 /*v296*/
	v_mul_i32_i24_e32 v176 /*v432*/, v154, v42 /*v298*/
	s_set_vgpr_msb 20                       ;  msbs: dst=0 src0=0 src1=1 src2=1
	v_add3_u32 v117, v117, v214 /*v470*/, v215 /*v471*/
	v_mul_i32_i24_e32 v123, v152, v27 /*v283*/
	s_set_vgpr_msb 0x54                     ;  msbs: dst=1 src0=0 src1=1 src2=1
	v_mul_i32_i24_e32 v174 /*v430*/, v121, v38 /*v294*/
	v_mul_i32_i24_e32 v177 /*v433*/, v155, v37 /*v293*/
	;; [unrolled: 1-line block ×3, first 2 shown]
	v_add3_u32 v173 /*v429*/, v117, v216 /*v472*/, v217 /*v473*/
	s_set_vgpr_msb 4                        ;  msbs: dst=0 src0=0 src1=1 src2=0
	v_mul_i32_i24_e32 v117, v18, v24 /*v280*/
	s_set_vgpr_msb 0x45                     ;  msbs: dst=1 src0=1 src1=1 src2=0
	v_mul_i32_i24_e32 v201 /*v457*/, v181 /*v437*/, v47 /*v303*/
	v_mul_i32_i24_e32 v202 /*v458*/, v182 /*v438*/, v49 /*v305*/
	v_mul_i32_i24_e32 v203 /*v459*/, v183 /*v439*/, v43 /*v299*/
	v_mul_i32_i24_e32 v204 /*v460*/, v184 /*v440*/, v51 /*v307*/
	s_set_vgpr_msb 4                        ;  msbs: dst=0 src0=0 src1=1 src2=0
	v_mad_i32_i24 v117, v147, v23 /*v279*/, v117
	s_set_vgpr_msb 0x45                     ;  msbs: dst=1 src0=1 src1=1 src2=0
	v_mul_i32_i24_e32 v205 /*v461*/, v185 /*v441*/, v54 /*v310*/
	v_mul_i32_i24_e32 v206 /*v462*/, v186 /*v442*/, v56 /*v312*/
	;; [unrolled: 1-line block ×4, first 2 shown]
	s_set_vgpr_msb 0                        ;  msbs: dst=0 src0=0 src1=0 src2=0
	v_add3_u32 v117, v117, v120, v122
	s_set_vgpr_msb 4                        ;  msbs: dst=0 src0=0 src1=1 src2=0
	v_mul_i32_i24_e32 v120, v150, v34 /*v290*/
	v_mul_i32_i24_e32 v122, v151, v36 /*v292*/
	s_set_vgpr_msb 0x45                     ;  msbs: dst=1 src0=1 src1=1 src2=0
	v_mul_i32_i24_e32 v209 /*v465*/, v58 /*v314*/, v189 /*v445*/
	v_mul_i32_i24_e32 v210 /*v466*/, v59 /*v315*/, v190 /*v446*/
	;; [unrolled: 1-line block ×4, first 2 shown]
	s_set_vgpr_msb 0                        ;  msbs: dst=0 src0=0 src1=0 src2=0
	v_add3_u32 v117, v117, v120, v122
	s_set_vgpr_msb 0x45                     ;  msbs: dst=1 src0=1 src1=1 src2=0
	v_mul_i32_i24_e32 v213 /*v469*/, v66 /*v322*/, v193 /*v449*/
	v_mul_i32_i24_e32 v214 /*v470*/, v67 /*v323*/, v194 /*v450*/
	;; [unrolled: 1-line block ×4, first 2 shown]
	s_set_vgpr_msb 16                       ;  msbs: dst=0 src0=0 src1=0 src2=1
	v_add3_u32 v117, v117, v123, v174 /*v430*/
	s_set_vgpr_msb 0x45                     ;  msbs: dst=1 src0=1 src1=1 src2=0
	v_mul_i32_i24_e32 v217 /*v473*/, v197 /*v453*/, v78 /*v334*/
	s_set_vgpr_msb 0x41                     ;  msbs: dst=1 src0=1 src1=0 src2=0
	v_mul_i32_i24_e32 v218 /*v474*/, v198 /*v454*/, v170
	s_set_vgpr_msb 0                        ;  msbs: dst=0 src0=0 src1=0 src2=0
	v_mul_i32_i24_e32 v120, v20, v175
	v_mul_i32_i24_e32 v122, v21, v176
	s_set_vgpr_msb 20                       ;  msbs: dst=0 src0=0 src1=1 src2=1
	v_add3_u32 v117, v117, v175 /*v431*/, v176 /*v432*/
	s_set_vgpr_msb 0                        ;  msbs: dst=0 src0=0 src1=0 src2=0
	v_mul_i32_i24_e32 v123, v25, v179
	s_set_vgpr_msb 64                       ;  msbs: dst=1 src0=0 src1=0 src2=0
	v_mul_i32_i24_e32 v174 /*v430*/, v26, v180
	v_mul_i32_i24_e32 v175 /*v431*/, v28, v181
	;; [unrolled: 1-line block ×3, first 2 shown]
	s_set_vgpr_msb 20                       ;  msbs: dst=0 src0=0 src1=1 src2=1
	v_add3_u32 v117, v117, v177 /*v433*/, v180 /*v436*/
	s_set_vgpr_msb 64                       ;  msbs: dst=1 src0=0 src1=0 src2=0
	v_mul_i32_i24_e32 v177 /*v433*/, v30, v183
	v_mul_i32_i24_e32 v219 /*v475*/, v207, v145
	;; [unrolled: 1-line block ×4, first 2 shown]
	s_set_vgpr_msb 20                       ;  msbs: dst=0 src0=0 src1=1 src2=1
	v_add3_u32 v117, v117, v201 /*v457*/, v202 /*v458*/
	s_set_vgpr_msb 64                       ;  msbs: dst=1 src0=0 src1=0 src2=0
	v_mul_i32_i24_e32 v201 /*v457*/, v32, v184
	v_mul_i32_i24_e32 v202 /*v458*/, v34, v185
	s_set_vgpr_msb 0x45                     ;  msbs: dst=1 src0=1 src1=1 src2=0
	v_mul_i32_i24_e32 v222 /*v478*/, v198 /*v454*/, v7 /*v263*/
	s_set_vgpr_msb 0                        ;  msbs: dst=0 src0=0 src1=0 src2=0
	v_lshrrev_b32_e32 v116, 16, v1
	s_set_vgpr_msb 20                       ;  msbs: dst=0 src0=0 src1=1 src2=1
	v_add3_u32 v117, v117, v203 /*v459*/, v204 /*v460*/
	s_set_vgpr_msb 64                       ;  msbs: dst=1 src0=0 src1=0 src2=0
	v_mul_i32_i24_e32 v203 /*v459*/, v36, v186
	v_mul_i32_i24_e32 v204 /*v460*/, v38, v187
	s_set_vgpr_msb 0x41                     ;  msbs: dst=1 src0=1 src1=0 src2=0
	v_mul_i32_i24_e32 v223 /*v479*/, v72 /*v328*/, v145
	v_mul_i32_i24_e32 v224 /*v480*/, v80 /*v336*/, v146
	s_set_vgpr_msb 20                       ;  msbs: dst=0 src0=0 src1=1 src2=1
	v_add3_u32 v117, v117, v205 /*v461*/, v206 /*v462*/
	s_set_vgpr_msb 64                       ;  msbs: dst=1 src0=0 src1=0 src2=0
	v_mul_i32_i24_e32 v205 /*v461*/, v3, v188
	v_mul_i32_i24_e32 v206 /*v462*/, v40, v189
	s_set_vgpr_msb 0x41                     ;  msbs: dst=1 src0=1 src1=0 src2=0
	v_mul_i32_i24_e32 v225 /*v481*/, v77 /*v333*/, v119
	s_set_vgpr_msb 1                        ;  msbs: dst=0 src0=1 src1=0 src2=0
	v_mul_i32_i24_e32 v119, v150 /*v406*/, v119
	s_set_vgpr_msb 20                       ;  msbs: dst=0 src0=0 src1=1 src2=1
	v_add3_u32 v117, v117, v207 /*v463*/, v208 /*v464*/
	s_set_vgpr_msb 64                       ;  msbs: dst=1 src0=0 src1=0 src2=0
	v_mul_i32_i24_e32 v207 /*v463*/, v42, v190
	v_mul_i32_i24_e32 v208 /*v464*/, v44, v191
	s_set_vgpr_msb 0x45                     ;  msbs: dst=1 src0=1 src1=1 src2=0
	v_mul_i32_i24_e32 v226 /*v482*/, v198 /*v454*/, v105 /*v361*/
	s_set_vgpr_msb 0x41                     ;  msbs: dst=1 src0=1 src1=0 src2=0
	v_mul_i32_i24_e32 v178 /*v434*/, v199 /*v455*/, v169
	s_set_vgpr_msb 20                       ;  msbs: dst=0 src0=0 src1=1 src2=1
	v_add3_u32 v117, v117, v209 /*v465*/, v210 /*v466*/
	s_set_vgpr_msb 64                       ;  msbs: dst=1 src0=0 src1=0 src2=0
	v_mul_i32_i24_e32 v209 /*v465*/, v46, v192
	v_mul_i32_i24_e32 v210 /*v466*/, v194, v48
	s_set_vgpr_msb 20                       ;  msbs: dst=0 src0=0 src1=1 src2=1
	v_add3_u32 v117, v117, v211 /*v467*/, v212 /*v468*/
	s_set_vgpr_msb 64                       ;  msbs: dst=1 src0=0 src1=0 src2=0
	v_mul_i32_i24_e32 v211 /*v467*/, v193, v52
	v_mul_i32_i24_e32 v212 /*v468*/, v196, v53
	;; [unrolled: 5-line block ×4, first 2 shown]
	s_set_vgpr_msb 0x54                     ;  msbs: dst=1 src0=0 src1=1 src2=1
	v_add3_u32 v180 /*v436*/, v117, v217 /*v473*/, v218 /*v474*/
	s_set_vgpr_msb 0                        ;  msbs: dst=0 src0=0 src1=0 src2=0
	v_mul_i32_i24_e32 v117, v9, v174
	s_set_vgpr_msb 64                       ;  msbs: dst=1 src0=0 src1=0 src2=0
	v_mul_i32_i24_e32 v217 /*v473*/, v199, v118
	v_mul_i32_i24_e32 v218 /*v474*/, v212, v144
	s_set_vgpr_msb 0                        ;  msbs: dst=0 src0=0 src1=0 src2=0
	v_mad_i32_i24 v117, v19, v173, v117
	s_delay_alu instid0(VALU_DEP_1) | instskip(SKIP_2) | instid1(VALU_DEP_1)
	v_add3_u32 v117, v117, v120, v122
	v_mul_i32_i24_e32 v120, v22, v177
	v_mul_i32_i24_e32 v122, v24, v178
	v_add3_u32 v117, v117, v120, v122
	v_mul_i32_i24_e32 v122, v148, v201
	s_set_vgpr_msb 16                       ;  msbs: dst=0 src0=0 src1=0 src2=1
	s_delay_alu instid0(VALU_DEP_2)
	v_add3_u32 v117, v117, v123, v174 /*v430*/
	v_mul_i32_i24_e32 v123, v149, v210
	s_set_vgpr_msb 64                       ;  msbs: dst=1 src0=0 src1=0 src2=0
	v_mul_i32_i24_e32 v174 /*v430*/, v152, v208
	s_set_vgpr_msb 20                       ;  msbs: dst=0 src0=0 src1=1 src2=1
	v_add3_u32 v117, v117, v175 /*v431*/, v176 /*v432*/
	s_set_vgpr_msb 0x41                     ;  msbs: dst=1 src0=1 src1=0 src2=0
	v_mul_i32_i24_e32 v175 /*v431*/, v199 /*v455*/, v254
	s_set_vgpr_msb 20                       ;  msbs: dst=0 src0=0 src1=1 src2=1
	s_delay_alu instid0(VALU_DEP_2)
	v_add3_u32 v117, v117, v177 /*v433*/, v201 /*v457*/
	s_set_vgpr_msb 64                       ;  msbs: dst=1 src0=0 src1=0 src2=0
	v_mul_i32_i24_e32 v177 /*v433*/, v121, v221
	v_mul_i32_i24_e32 v201 /*v457*/, v153, v222
	s_set_vgpr_msb 20                       ;  msbs: dst=0 src0=0 src1=1 src2=1
	v_add3_u32 v117, v117, v202 /*v458*/, v203 /*v459*/
	s_set_vgpr_msb 64                       ;  msbs: dst=1 src0=0 src1=0 src2=0
	v_mul_i32_i24_e32 v202 /*v458*/, v154, v223
	v_mul_i32_i24_e32 v203 /*v459*/, v155, v219
	s_set_vgpr_msb 20                       ;  msbs: dst=0 src0=0 src1=1 src2=1
	v_add3_u32 v117, v117, v204 /*v460*/, v205 /*v461*/
	s_set_vgpr_msb 64                       ;  msbs: dst=1 src0=0 src1=0 src2=0
	v_mul_i32_i24_e32 v204 /*v460*/, v156, v226
	s_set_vgpr_msb 0x41                     ;  msbs: dst=1 src0=1 src1=0 src2=0
	v_mul_i32_i24_e32 v205 /*v461*/, v181 /*v437*/, v229
	s_set_vgpr_msb 20                       ;  msbs: dst=0 src0=0 src1=1 src2=1
	v_add3_u32 v117, v117, v206 /*v462*/, v207 /*v463*/
	s_set_vgpr_msb 0x41                     ;  msbs: dst=1 src0=1 src1=0 src2=0
	v_mul_i32_i24_e32 v206 /*v462*/, v182 /*v438*/, v231
	v_mul_i32_i24_e32 v207 /*v463*/, v183 /*v439*/, v224
	s_set_vgpr_msb 20                       ;  msbs: dst=0 src0=0 src1=1 src2=1
	v_add3_u32 v117, v117, v208 /*v464*/, v209 /*v465*/
	s_set_vgpr_msb 0x41                     ;  msbs: dst=1 src0=1 src1=0 src2=0
	v_mul_i32_i24_e32 v208 /*v464*/, v184 /*v440*/, v233
	;; [unrolled: 5-line block ×4, first 2 shown]
	s_set_vgpr_msb 0x44                     ;  msbs: dst=1 src0=0 src1=1 src2=0
	v_mul_i32_i24_e32 v213 /*v469*/, v242, v189 /*v445*/
	s_set_vgpr_msb 20                       ;  msbs: dst=0 src0=0 src1=1 src2=1
	v_add3_u32 v117, v117, v214 /*v470*/, v215 /*v471*/
	s_set_vgpr_msb 0x44                     ;  msbs: dst=1 src0=0 src1=1 src2=0
	v_mul_i32_i24_e32 v214 /*v470*/, v243, v190 /*v446*/
	v_mul_i32_i24_e32 v215 /*v471*/, v245, v191 /*v447*/
	s_set_vgpr_msb 20                       ;  msbs: dst=0 src0=0 src1=1 src2=1
	v_add3_u32 v117, v117, v216 /*v472*/, v217 /*v473*/
	s_set_vgpr_msb 0x44                     ;  msbs: dst=1 src0=0 src1=1 src2=0
	v_mul_i32_i24_e32 v216 /*v472*/, v244, v192 /*v448*/
	v_mul_i32_i24_e32 v217 /*v473*/, v248, v193 /*v449*/
	s_set_vgpr_msb 20                       ;  msbs: dst=0 src0=0 src1=1 src2=1
	v_add3_u32 v117, v117, v218 /*v474*/, v219 /*v475*/
	s_set_vgpr_msb 0x44                     ;  msbs: dst=1 src0=0 src1=1 src2=0
	v_mul_i32_i24_e32 v218 /*v474*/, v249, v194 /*v450*/
	s_set_vgpr_msb 0x45                     ;  msbs: dst=1 src0=1 src1=1 src2=0
	v_mul_i32_i24_e32 v219 /*v475*/, v1 /*v257*/, v195 /*v451*/
	s_set_vgpr_msb 20                       ;  msbs: dst=0 src0=0 src1=1 src2=1
	v_add3_u32 v120, v117, v220 /*v476*/, v221 /*v477*/
	s_set_vgpr_msb 0                        ;  msbs: dst=0 src0=0 src1=0 src2=0
	v_mul_i32_i24_e32 v117, v18, v205
	s_set_vgpr_msb 0x44                     ;  msbs: dst=1 src0=0 src1=1 src2=0
	v_mul_i32_i24_e32 v220 /*v476*/, v252, v196 /*v452*/
	s_set_vgpr_msb 0x45                     ;  msbs: dst=1 src0=1 src1=1 src2=0
	v_mul_i32_i24_e32 v221 /*v477*/, v197 /*v453*/, v5 /*v261*/
	s_set_vgpr_msb 0                        ;  msbs: dst=0 src0=0 src1=0 src2=0
	v_mad_i32_i24 v117, v147, v204, v117
	s_delay_alu instid0(VALU_DEP_1) | instskip(SKIP_2) | instid1(VALU_DEP_1)
	v_add3_u32 v117, v117, v122, v123
	v_mul_i32_i24_e32 v122, v150, v215
	v_mul_i32_i24_e32 v123, v151, v218
	v_add3_u32 v117, v117, v122, v123
	v_mul_i32_i24_e32 v122, v20, v255
	s_set_vgpr_msb 20                       ;  msbs: dst=0 src0=0 src1=1 src2=1
	v_mul_i32_i24_e32 v123, v21, v2 /*v258*/
	v_mul_i32_i24_e32 v20, v20, v111 /*v367*/
	;; [unrolled: 1-line block ×3, first 2 shown]
	v_add3_u32 v117, v117, v174 /*v430*/, v177 /*v433*/
	s_set_vgpr_msb 0x44                     ;  msbs: dst=1 src0=0 src1=1 src2=0
	v_mul_i32_i24_e32 v174 /*v430*/, v25, v8 /*v264*/
	s_set_vgpr_msb 20                       ;  msbs: dst=0 src0=0 src1=1 src2=1
	s_delay_alu instid0(VALU_DEP_2)
	v_add3_u32 v117, v117, v201 /*v457*/, v202 /*v458*/
	s_set_vgpr_msb 0x44                     ;  msbs: dst=1 src0=0 src1=1 src2=0
	v_mul_i32_i24_e32 v201 /*v457*/, v26, v12 /*v268*/
	v_mul_i32_i24_e32 v202 /*v458*/, v28, v14 /*v270*/
	s_set_vgpr_msb 20                       ;  msbs: dst=0 src0=0 src1=1 src2=1
	v_add3_u32 v117, v117, v203 /*v459*/, v204 /*v460*/
	s_set_vgpr_msb 0x44                     ;  msbs: dst=1 src0=0 src1=1 src2=0
	v_mul_i32_i24_e32 v203 /*v459*/, v29, v16 /*v272*/
	v_mul_i32_i24_e32 v204 /*v460*/, v30, v17 /*v273*/
	s_set_vgpr_msb 20                       ;  msbs: dst=0 src0=0 src1=1 src2=1
	;; [unrolled: 5-line block ×4, first 2 shown]
	v_add3_u32 v117, v117, v209 /*v465*/, v210 /*v466*/
	s_set_vgpr_msb 0x44                     ;  msbs: dst=1 src0=0 src1=1 src2=0
	v_mul_i32_i24_e32 v209 /*v465*/, v3, v33 /*v289*/
	s_set_vgpr_msb 4                        ;  msbs: dst=0 src0=0 src1=1 src2=0
	v_mul_i32_i24_e32 v3, v3, v124 /*v380*/
	s_set_vgpr_msb 0x44                     ;  msbs: dst=1 src0=0 src1=1 src2=0
	v_mul_i32_i24_e32 v210 /*v466*/, v40, v39 /*v295*/
	s_set_vgpr_msb 20                       ;  msbs: dst=0 src0=0 src1=1 src2=1
	v_add3_u32 v117, v117, v211 /*v467*/, v212 /*v468*/
	s_set_vgpr_msb 0x44                     ;  msbs: dst=1 src0=0 src1=1 src2=0
	v_mul_i32_i24_e32 v211 /*v467*/, v42, v41 /*v297*/
	v_mul_i32_i24_e32 v212 /*v468*/, v44, v44 /*v300*/
	s_set_vgpr_msb 20                       ;  msbs: dst=0 src0=0 src1=1 src2=1
	v_add3_u32 v117, v117, v213 /*v469*/, v214 /*v470*/
	s_set_vgpr_msb 0x44                     ;  msbs: dst=1 src0=0 src1=1 src2=0
	v_mul_i32_i24_e32 v213 /*v469*/, v46, v46 /*v302*/
	s_set_vgpr_msb 0x41                     ;  msbs: dst=1 src0=1 src1=0 src2=0
	v_mul_i32_i24_e32 v214 /*v470*/, v52 /*v308*/, v48
	s_set_vgpr_msb 20                       ;  msbs: dst=0 src0=0 src1=1 src2=1
	v_add3_u32 v117, v117, v215 /*v471*/, v216 /*v472*/
	s_set_vgpr_msb 0x41                     ;  msbs: dst=1 src0=1 src1=0 src2=0
	v_mul_i32_i24_e32 v215 /*v471*/, v48 /*v304*/, v52
	v_mul_i32_i24_e32 v216 /*v472*/, v55 /*v311*/, v53
	s_set_vgpr_msb 20                       ;  msbs: dst=0 src0=0 src1=1 src2=1
	v_add3_u32 v117, v117, v217 /*v473*/, v218 /*v474*/
	s_set_vgpr_msb 0x41                     ;  msbs: dst=1 src0=1 src1=0 src2=0
	v_mul_i32_i24_e32 v217 /*v473*/, v53 /*v309*/, v55
	;; [unrolled: 5-line block ×3, first 2 shown]
	v_mul_i32_i24_e32 v220 /*v476*/, v68 /*v324*/, v143
	s_set_vgpr_msb 0x54                     ;  msbs: dst=1 src0=0 src1=1 src2=1
	v_add3_u32 v177 /*v433*/, v117, v221 /*v477*/, v222 /*v478*/
	s_set_vgpr_msb 0                        ;  msbs: dst=0 src0=0 src1=0 src2=0
	v_mul_i32_i24_e32 v117, v9, v250
	s_set_vgpr_msb 4                        ;  msbs: dst=0 src0=0 src1=1 src2=0
	v_mul_i32_i24_e32 v9, v9, v110 /*v366*/
	s_set_vgpr_msb 0x41                     ;  msbs: dst=1 src0=1 src1=0 src2=0
	v_mul_i32_i24_e32 v221 /*v477*/, v63 /*v319*/, v118
	s_set_vgpr_msb 1                        ;  msbs: dst=0 src0=1 src1=0 src2=0
	v_mul_i32_i24_e32 v118, v142 /*v398*/, v118
	s_set_vgpr_msb 0x41                     ;  msbs: dst=1 src0=1 src1=0 src2=0
	v_mul_i32_i24_e32 v222 /*v478*/, v76 /*v332*/, v144
	s_set_vgpr_msb 0                        ;  msbs: dst=0 src0=0 src1=0 src2=0
	v_mad_i32_i24 v117, v19, v246, v117
	s_set_vgpr_msb 4                        ;  msbs: dst=0 src0=0 src1=1 src2=0
	v_mad_i32_i24 v9, v19, v109 /*v365*/, v9
	v_mul_i32_i24_e32 v19, v22, v113 /*v369*/
	s_set_vgpr_msb 0                        ;  msbs: dst=0 src0=0 src1=0 src2=0
	v_add3_u32 v117, v117, v122, v123
	s_delay_alu instid0(VALU_DEP_3)
	v_add3_u32 v9, v9, v20, v21
	s_set_vgpr_msb 4                        ;  msbs: dst=0 src0=0 src1=1 src2=0
	v_mul_i32_i24_e32 v20, v24, v114 /*v370*/
	v_mul_i32_i24_e32 v122, v22, v3 /*v259*/
	;; [unrolled: 1-line block ×5, first 2 shown]
	s_set_vgpr_msb 0                        ;  msbs: dst=0 src0=0 src1=0 src2=0
	v_add3_u32 v9, v9, v19, v20
	s_set_vgpr_msb 4                        ;  msbs: dst=0 src0=0 src1=1 src2=0
	v_mul_i32_i24_e32 v24, v28, v117 /*v373*/
	v_mul_i32_i24_e32 v25, v29, v118 /*v374*/
	;; [unrolled: 1-line block ×4, first 2 shown]
	s_set_vgpr_msb 0                        ;  msbs: dst=0 src0=0 src1=0 src2=0
	v_add3_u32 v9, v9, v21, v22
	s_set_vgpr_msb 4                        ;  msbs: dst=0 src0=0 src1=1 src2=0
	v_mul_i32_i24_e32 v29, v34, v121 /*v377*/
	v_mul_i32_i24_e32 v30, v36, v122 /*v378*/
	;; [unrolled: 1-line block ×3, first 2 shown]
	s_set_vgpr_msb 0                        ;  msbs: dst=0 src0=0 src1=0 src2=0
	v_add3_u32 v117, v117, v122, v123
	v_add3_u32 v9, v9, v24, v25
	s_set_vgpr_msb 4                        ;  msbs: dst=0 src0=0 src1=1 src2=0
	v_mul_i32_i24_e32 v122, v18, v71 /*v327*/
	s_set_vgpr_msb 1                        ;  msbs: dst=0 src0=1 src1=0 src2=0
	v_mul_i32_i24_e32 v19, v143 /*v399*/, v149
	v_mul_i32_i24_e32 v20, v155 /*v411*/, v152
	;; [unrolled: 1-line block ×3, first 2 shown]
	s_set_vgpr_msb 0                        ;  msbs: dst=0 src0=0 src1=0 src2=0
	v_add3_u32 v9, v9, v26, v28
	s_set_vgpr_msb 1                        ;  msbs: dst=0 src0=1 src1=0 src2=0
	v_mul_i32_i24_e32 v22, v160 /*v416*/, v153
	v_mul_i32_i24_e32 v24, v159 /*v415*/, v154
	s_set_vgpr_msb 20                       ;  msbs: dst=0 src0=0 src1=1 src2=1
	v_add3_u32 v117, v117, v174 /*v430*/, v201 /*v457*/
	s_set_vgpr_msb 1                        ;  msbs: dst=0 src0=1 src1=0 src2=0
	v_mul_i32_i24_e32 v25, v158 /*v414*/, v155
	s_set_vgpr_msb 0                        ;  msbs: dst=0 src0=0 src1=0 src2=0
	v_add3_u32 v9, v9, v29, v30
	s_set_vgpr_msb 1                        ;  msbs: dst=0 src0=1 src1=0 src2=0
	v_mul_i32_i24_e32 v26, v135 /*v391*/, v156
	s_set_vgpr_msb 5                        ;  msbs: dst=0 src0=1 src1=1 src2=0
	v_mul_i32_i24_e32 v28, v163 /*v419*/, v181 /*v437*/
	s_set_vgpr_msb 20                       ;  msbs: dst=0 src0=0 src1=1 src2=1
	v_add3_u32 v117, v117, v202 /*v458*/, v203 /*v459*/
	s_set_vgpr_msb 5                        ;  msbs: dst=0 src0=1 src1=1 src2=0
	v_mul_i32_i24_e32 v29, v162 /*v418*/, v182 /*v438*/
	s_set_vgpr_msb 0                        ;  msbs: dst=0 src0=0 src1=0 src2=0
	v_add3_u32 v3, v9, v32, v3
	s_set_vgpr_msb 1                        ;  msbs: dst=0 src0=1 src1=0 src2=0
	v_mul_i32_i24_e32 v9, v154 /*v410*/, v18
	v_mul_i32_i24_e32 v18, v153 /*v409*/, v148
	s_set_vgpr_msb 20                       ;  msbs: dst=0 src0=0 src1=1 src2=1
	v_add3_u32 v117, v117, v204 /*v460*/, v205 /*v461*/
	v_mul_i32_i24_e32 v34, v40, v125 /*v381*/
	v_mul_i32_i24_e32 v36, v42, v126 /*v382*/
	s_set_vgpr_msb 1                        ;  msbs: dst=0 src0=1 src1=0 src2=0
	v_mad_i32_i24 v9, v152 /*v408*/, v147, v9
	s_set_vgpr_msb 5                        ;  msbs: dst=0 src0=1 src1=1 src2=0
	v_mul_i32_i24_e32 v30, v161 /*v417*/, v183 /*v439*/
	v_mul_i32_i24_e32 v32, v136 /*v392*/, v184 /*v440*/
	s_set_vgpr_msb 20                       ;  msbs: dst=0 src0=0 src1=1 src2=1
	v_add3_u32 v117, v117, v206 /*v462*/, v207 /*v463*/
	v_mul_i32_i24_e32 v38, v44, v127 /*v383*/
	s_set_vgpr_msb 0                        ;  msbs: dst=0 src0=0 src1=0 src2=0
	v_add3_u32 v9, v9, v18, v19
	s_set_vgpr_msb 1                        ;  msbs: dst=0 src0=1 src1=0 src2=0
	v_mul_i32_i24_e32 v18, v157 /*v413*/, v150
	v_mul_i32_i24_e32 v19, v156 /*v412*/, v151
	s_set_vgpr_msb 4                        ;  msbs: dst=0 src0=0 src1=1 src2=0
	v_mul_i32_i24_e32 v40, v46, v128 /*v384*/
	s_set_vgpr_msb 0                        ;  msbs: dst=0 src0=0 src1=0 src2=0
	v_add3_u32 v3, v3, v34, v36
	s_set_vgpr_msb 5                        ;  msbs: dst=0 src0=1 src1=1 src2=0
	v_mul_i32_i24_e32 v34, v166 /*v422*/, v185 /*v441*/
	v_mul_i32_i24_e32 v36, v165 /*v421*/, v186 /*v442*/
	s_set_vgpr_msb 0                        ;  msbs: dst=0 src0=0 src1=0 src2=0
	v_add3_u32 v9, v9, v18, v19
	s_set_vgpr_msb 20                       ;  msbs: dst=0 src0=0 src1=1 src2=1
	v_add3_u32 v117, v117, v208 /*v464*/, v209 /*v465*/
	s_set_vgpr_msb 1                        ;  msbs: dst=0 src0=1 src1=0 src2=0
	v_mul_i32_i24_e32 v42, v130 /*v386*/, v48
	v_mul_i32_i24_e32 v44, v129 /*v385*/, v52
	s_set_vgpr_msb 0                        ;  msbs: dst=0 src0=0 src1=0 src2=0
	v_add3_u32 v3, v3, v38, v40
	v_add3_u32 v9, v9, v20, v21
	s_set_vgpr_msb 5                        ;  msbs: dst=0 src0=1 src1=1 src2=0
	v_mul_i32_i24_e32 v38, v164 /*v420*/, v187 /*v443*/
	v_mul_i32_i24_e32 v40, v137 /*v393*/, v188 /*v444*/
	s_set_vgpr_msb 20                       ;  msbs: dst=0 src0=0 src1=1 src2=1
	v_add3_u32 v117, v117, v210 /*v466*/, v211 /*v467*/
	s_set_vgpr_msb 1                        ;  msbs: dst=0 src0=1 src1=0 src2=0
	v_mul_i32_i24_e32 v46, v132 /*v388*/, v53
	s_set_vgpr_msb 0                        ;  msbs: dst=0 src0=0 src1=0 src2=0
	v_add3_u32 v9, v9, v22, v24
	s_set_vgpr_msb 1                        ;  msbs: dst=0 src0=1 src1=0 src2=0
	v_mul_i32_i24_e32 v48, v131 /*v387*/, v55
	s_set_vgpr_msb 0                        ;  msbs: dst=0 src0=0 src1=0 src2=0
	v_add3_u32 v3, v3, v42, v44
	s_set_vgpr_msb 5                        ;  msbs: dst=0 src0=1 src1=1 src2=0
	v_mul_i32_i24_e32 v42, v169 /*v425*/, v189 /*v445*/
	v_mul_i32_i24_e32 v44, v168 /*v424*/, v190 /*v446*/
	s_set_vgpr_msb 0                        ;  msbs: dst=0 src0=0 src1=0 src2=0
	v_add3_u32 v9, v9, v25, v26
	s_set_vgpr_msb 20                       ;  msbs: dst=0 src0=0 src1=1 src2=1
	v_add3_u32 v117, v117, v212 /*v468*/, v213 /*v469*/
	s_set_vgpr_msb 1                        ;  msbs: dst=0 src0=1 src1=0 src2=0
	v_mul_i32_i24_e32 v52, v141 /*v397*/, v141
	v_mul_i32_i24_e32 v53, v133 /*v389*/, v142
	s_set_vgpr_msb 0                        ;  msbs: dst=0 src0=0 src1=0 src2=0
	v_add3_u32 v3, v3, v46, v48
	v_add3_u32 v9, v9, v28, v29
	s_set_vgpr_msb 5                        ;  msbs: dst=0 src0=1 src1=1 src2=0
	v_mul_i32_i24_e32 v46, v167 /*v423*/, v191 /*v447*/
	v_mul_i32_i24_e32 v48, v138 /*v394*/, v192 /*v448*/
	s_set_vgpr_msb 20                       ;  msbs: dst=0 src0=0 src1=1 src2=1
	v_add3_u32 v117, v117, v214 /*v470*/, v215 /*v471*/
	s_set_vgpr_msb 1                        ;  msbs: dst=0 src0=1 src1=0 src2=0
	v_mul_i32_i24_e32 v55, v144 /*v400*/, v143
	s_set_vgpr_msb 0                        ;  msbs: dst=0 src0=0 src1=0 src2=0
	v_add3_u32 v9, v9, v30, v32
	v_add3_u32 v3, v3, v52, v53
	s_set_vgpr_msb 5                        ;  msbs: dst=0 src0=1 src1=1 src2=0
	v_mul_i32_i24_e32 v52, v172 /*v428*/, v193 /*v449*/
	v_mul_i32_i24_e32 v53, v171 /*v427*/, v194 /*v450*/
	s_set_vgpr_msb 20                       ;  msbs: dst=0 src0=0 src1=1 src2=1
	v_add3_u32 v117, v117, v216 /*v472*/, v217 /*v473*/
	s_set_vgpr_msb 0                        ;  msbs: dst=0 src0=0 src1=0 src2=0
	v_add3_u32 v9, v9, v34, v36
	s_set_vgpr_msb 0x44                     ;  msbs: dst=1 src0=0 src1=1 src2=0
	v_mul_i32_i24_e32 v204 /*v460*/, v121, v83 /*v339*/
	s_set_vgpr_msb 1                        ;  msbs: dst=0 src0=1 src1=0 src2=0
	v_mul_i32_i24_e32 v141, v149 /*v405*/, v144
	v_mul_i32_i24_e32 v142, v147 /*v403*/, v145
	s_set_vgpr_msb 0                        ;  msbs: dst=0 src0=0 src1=0 src2=0
	v_add3_u32 v3, v3, v55, v118
	v_add3_u32 v9, v9, v38, v40
	s_set_vgpr_msb 5                        ;  msbs: dst=0 src0=1 src1=1 src2=0
	v_mul_i32_i24_e32 v55, v170 /*v426*/, v195 /*v451*/
	v_mul_i32_i24_e32 v121, v139 /*v395*/, v196 /*v452*/
	s_set_vgpr_msb 20                       ;  msbs: dst=0 src0=0 src1=1 src2=1
	v_add3_u32 v117, v117, v218 /*v474*/, v219 /*v475*/
	s_set_vgpr_msb 0                        ;  msbs: dst=0 src0=0 src1=0 src2=0
	v_add3_u32 v3, v3, v141, v142
	v_add3_u32 v9, v9, v42, v44
	s_set_vgpr_msb 5                        ;  msbs: dst=0 src0=1 src1=1 src2=0
	v_mul_i32_i24_e32 v141, v197 /*v453*/, v145 /*v401*/
	v_mul_i32_i24_e32 v142, v198 /*v454*/, v146 /*v402*/
	s_set_vgpr_msb 20                       ;  msbs: dst=0 src0=0 src1=1 src2=1
	v_add3_u32 v117, v117, v220 /*v476*/, v221 /*v477*/
	v_mul_i32_i24_e32 v123, v148, v65 /*v321*/
	s_set_vgpr_msb 0                        ;  msbs: dst=0 src0=0 src1=0 src2=0
	v_add3_u32 v9, v9, v46, v48
	s_set_vgpr_msb 0x44                     ;  msbs: dst=1 src0=0 src1=1 src2=0
	v_mul_i32_i24_e32 v174 /*v430*/, v149, v75 /*v331*/
	s_set_vgpr_msb 4                        ;  msbs: dst=0 src0=0 src1=1 src2=0
	v_mad_i32_i24 v122, v147, v69 /*v325*/, v122
	s_set_vgpr_msb 20                       ;  msbs: dst=0 src0=0 src1=1 src2=1
	v_add3_u32 v117, v117, v222 /*v478*/, v223 /*v479*/
	s_set_vgpr_msb 0x45                     ;  msbs: dst=1 src0=1 src1=1 src2=0
	v_mul_i32_i24_e32 v210 /*v466*/, v182 /*v438*/, v89 /*v345*/
	s_set_vgpr_msb 0                        ;  msbs: dst=0 src0=0 src1=0 src2=0
	v_add3_u32 v9, v9, v52, v53
	s_set_vgpr_msb 0x45                     ;  msbs: dst=1 src0=1 src1=1 src2=0
	v_mul_i32_i24_e32 v211 /*v467*/, v183 /*v439*/, v86 /*v342*/
	v_mul_i32_i24_e32 v212 /*v468*/, v184 /*v440*/, v91 /*v347*/
	s_set_vgpr_msb 20                       ;  msbs: dst=0 src0=0 src1=1 src2=1
	v_add3_u32 v117, v117, v224 /*v480*/, v225 /*v481*/
	s_set_vgpr_msb 0x45                     ;  msbs: dst=1 src0=1 src1=1 src2=0
	v_mul_i32_i24_e32 v213 /*v469*/, v185 /*v441*/, v92 /*v348*/
	s_set_vgpr_msb 0                        ;  msbs: dst=0 src0=0 src1=0 src2=0
	v_add3_u32 v9, v9, v55, v121
	s_set_vgpr_msb 0x45                     ;  msbs: dst=1 src0=1 src1=1 src2=0
	v_mul_i32_i24_e32 v214 /*v470*/, v186 /*v442*/, v93 /*v349*/
	v_mul_i32_i24_e32 v215 /*v471*/, v187 /*v443*/, v90 /*v346*/
	;; [unrolled: 1-line block ×4, first 2 shown]
	s_set_vgpr_msb 0                        ;  msbs: dst=0 src0=0 src1=0 src2=0
	v_add3_u32 v121, v9, v141, v142
	v_or_b32_e32 v9, s8, v134
	s_set_vgpr_msb 0x45                     ;  msbs: dst=1 src0=1 src1=1 src2=0
	v_mul_i32_i24_e32 v218 /*v474*/, v96 /*v352*/, v190 /*v446*/
	v_mul_i32_i24_e32 v219 /*v475*/, v98 /*v354*/, v191 /*v447*/
	;; [unrolled: 1-line block ×4, first 2 shown]
	s_set_vgpr_msb 0                        ;  msbs: dst=0 src0=0 src1=0 src2=0
	v_dual_lshlrev_b32 v18, 2, v9 :: v_dual_lshrrev_b32 v9, 1, v9
	s_set_vgpr_msb 0x45                     ;  msbs: dst=1 src0=1 src1=1 src2=0
	v_mul_i32_i24_e32 v222 /*v478*/, v100 /*v356*/, v194 /*v450*/
	v_mul_i32_i24_e32 v223 /*v479*/, v103 /*v359*/, v195 /*v451*/
	v_mul_i32_i24_e32 v224 /*v480*/, v101 /*v357*/, v196 /*v452*/
	v_mul_i32_i24_e32 v225 /*v481*/, v197 /*v453*/, v104 /*v360*/
	s_set_vgpr_msb 0x50                     ;  msbs: dst=1 src0=0 src1=0 src2=1
	ds_load_b128 v[182:185] /*v[438:441]*/, v18 offset:16896
	ds_load_b128 v[186:189] /*v[442:445]*/, v18 offset:16912
	;; [unrolled: 1-line block ×4, first 2 shown]
	v_add3_u32 v174 /*v430*/, v122, v123, v174 /*v430*/
	s_set_vgpr_msb 0x44                     ;  msbs: dst=1 src0=0 src1=1 src2=0
	v_mul_i32_i24_e32 v201 /*v457*/, v150, v79 /*v335*/
	v_mul_i32_i24_e32 v202 /*v458*/, v151, v81 /*v337*/
	;; [unrolled: 1-line block ×6, first 2 shown]
	s_set_vgpr_msb 0x55                     ;  msbs: dst=1 src0=1 src1=1 src2=1
	v_add3_u32 v174 /*v430*/, v174 /*v430*/, v201 /*v457*/, v202 /*v458*/
	s_set_vgpr_msb 0x44                     ;  msbs: dst=1 src0=0 src1=1 src2=0
	v_mul_i32_i24_e32 v208 /*v464*/, v156, v87 /*v343*/
	s_set_vgpr_msb 0x45                     ;  msbs: dst=1 src0=1 src1=1 src2=0
	v_mul_i32_i24_e32 v209 /*v465*/, v181 /*v437*/, v88 /*v344*/
	s_set_vgpr_msb 1                        ;  msbs: dst=0 src0=1 src1=0 src2=0
	v_mul_i32_i24_e32 v143, v151 /*v407*/, v146
	s_set_vgpr_msb 5                        ;  msbs: dst=0 src0=1 src1=1 src2=0
	v_mul_i32_i24_e32 v122, v199 /*v455*/, v102 /*v358*/
	s_set_vgpr_msb 0x55                     ;  msbs: dst=1 src0=1 src1=1 src2=1
	v_add3_u32 v174 /*v430*/, v174 /*v430*/, v203 /*v459*/, v204 /*v460*/
	s_set_vgpr_msb 5                        ;  msbs: dst=0 src0=1 src1=1 src2=0
	v_mul_i32_i24_e32 v118, v199 /*v455*/, v140 /*v396*/
	s_set_vgpr_msb 0                        ;  msbs: dst=0 src0=0 src1=0 src2=0
	v_add3_u32 v3, v3, v143, v119
	s_wait_dscnt 0x3
	s_set_vgpr_msb 1                        ;  msbs: dst=0 src0=1 src1=0 src2=0
	v_bfe_i32 v18, v182 /*v438*/, 0, 8
	s_set_vgpr_msb 0x55                     ;  msbs: dst=1 src0=1 src1=1 src2=1
	v_add3_u32 v174 /*v430*/, v174 /*v430*/, v205 /*v461*/, v206 /*v462*/
	s_set_vgpr_msb 1                        ;  msbs: dst=0 src0=1 src1=0 src2=0
	v_bfe_i32 v19, v182 /*v438*/, 8, 8
	v_bfe_i32 v20, v182 /*v438*/, 16, 8
	s_set_vgpr_msb 4                        ;  msbs: dst=0 src0=0 src1=1 src2=0
	v_ashrrev_i32_e32 v21, 24, v182 /*v438*/
	s_set_vgpr_msb 1                        ;  msbs: dst=0 src0=1 src1=0 src2=0
	v_bfe_i32 v28, v184 /*v440*/, 0, 8
	s_set_vgpr_msb 0x55                     ;  msbs: dst=1 src0=1 src1=1 src2=1
	v_add3_u32 v174 /*v430*/, v174 /*v430*/, v207 /*v463*/, v208 /*v464*/
	s_set_vgpr_msb 1                        ;  msbs: dst=0 src0=1 src1=0 src2=0
	v_bfe_i32 v29, v184 /*v440*/, 8, 8
	v_bfe_i32 v30, v184 /*v440*/, 16, 8
	s_set_vgpr_msb 4                        ;  msbs: dst=0 src0=0 src1=1 src2=0
	v_dual_ashrrev_i32 v32, 24, v184 /*v440*/ :: v_dual_ashrrev_i32 v40, 24, v185 /*v441*/
	s_set_vgpr_msb 64                       ;  msbs: dst=1 src0=0 src1=0 src2=0
	v_mul_i32_i24_e32 v184 /*v440*/, v18, v202
	s_set_vgpr_msb 0x55                     ;  msbs: dst=1 src0=1 src1=1 src2=1
	v_add3_u32 v174 /*v430*/, v174 /*v430*/, v209 /*v465*/, v210 /*v466*/
	s_set_vgpr_msb 1                        ;  msbs: dst=0 src0=1 src1=0 src2=0
	v_bfe_i32 v22, v183 /*v439*/, 0, 8
	v_bfe_i32 v24, v183 /*v439*/, 8, 8
	;; [unrolled: 1-line block ×5, first 2 shown]
	s_wait_dscnt 0x2
	v_bfe_i32 v42, v186 /*v442*/, 0, 8
	v_bfe_i32 v44, v186 /*v442*/, 8, 8
	;; [unrolled: 1-line block ×3, first 2 shown]
	s_set_vgpr_msb 4                        ;  msbs: dst=0 src0=0 src1=1 src2=0
	v_dual_ashrrev_i32 v48, 24, v186 /*v442*/ :: v_dual_ashrrev_i32 v141, 24, v187 /*v443*/
	s_set_vgpr_msb 0x50                     ;  msbs: dst=1 src0=0 src1=0 src2=1
	v_mul_i32_i24_e32 v185 /*v441*/, v20, v206
	v_mul_i32_i24_e32 v186 /*v442*/, v21, v209
	v_mad_i32_i24 v184 /*v440*/, v19, v200, v184 /*v440*/
	s_set_vgpr_msb 0x55                     ;  msbs: dst=1 src0=1 src1=1 src2=1
	v_add3_u32 v174 /*v430*/, v174 /*v430*/, v211 /*v467*/, v212 /*v468*/
	s_set_vgpr_msb 1                        ;  msbs: dst=0 src0=1 src1=0 src2=0
	v_bfe_i32 v25, v183 /*v439*/, 16, 8
	s_set_vgpr_msb 4                        ;  msbs: dst=0 src0=0 src1=1 src2=0
	v_ashrrev_i32_e32 v26, 24, v183 /*v439*/
	s_set_vgpr_msb 1                        ;  msbs: dst=0 src0=1 src1=0 src2=0
	v_bfe_i32 v52, v187 /*v443*/, 0, 8
	s_set_vgpr_msb 0x55                     ;  msbs: dst=1 src0=1 src1=1 src2=1
	v_add3_u32 v184 /*v440*/, v184 /*v440*/, v185 /*v441*/, v186 /*v442*/
	s_set_vgpr_msb 64                       ;  msbs: dst=1 src0=0 src1=0 src2=0
	v_mul_i32_i24_e32 v185 /*v441*/, v22, v211
	v_mul_i32_i24_e32 v186 /*v442*/, v24, v214
	s_set_vgpr_msb 0x55                     ;  msbs: dst=1 src0=1 src1=1 src2=1
	v_add3_u32 v174 /*v430*/, v174 /*v430*/, v213 /*v469*/, v214 /*v470*/
	s_set_vgpr_msb 1                        ;  msbs: dst=0 src0=1 src1=0 src2=0
	v_bfe_i32 v53, v187 /*v443*/, 8, 8
	v_bfe_i32 v55, v187 /*v443*/, 16, 8
	;; [unrolled: 1-line block ×5, first 2 shown]
	s_set_vgpr_msb 4                        ;  msbs: dst=0 src0=0 src1=1 src2=0
	v_dual_ashrrev_i32 v145, 24, v188 /*v444*/ :: v_dual_ashrrev_i32 v149, 24, v189 /*v445*/
	s_set_vgpr_msb 64                       ;  msbs: dst=1 src0=0 src1=0 src2=0
	v_mul_i32_i24_e32 v187 /*v443*/, v25, v216
	v_mul_i32_i24_e32 v188 /*v444*/, v26, v220
	s_set_vgpr_msb 0x55                     ;  msbs: dst=1 src0=1 src1=1 src2=1
	v_add3_u32 v184 /*v440*/, v184 /*v440*/, v185 /*v441*/, v186 /*v442*/
	v_add3_u32 v174 /*v430*/, v174 /*v430*/, v215 /*v471*/, v216 /*v472*/
	s_set_vgpr_msb 1                        ;  msbs: dst=0 src0=1 src1=0 src2=0
	v_bfe_i32 v146, v189 /*v445*/, 0, 8
	v_bfe_i32 v147, v189 /*v445*/, 8, 8
	;; [unrolled: 1-line block ×3, first 2 shown]
	s_wait_dscnt 0x1
	v_bfe_i32 v150, v190 /*v446*/, 0, 8
	v_bfe_i32 v151, v190 /*v446*/, 8, 8
	;; [unrolled: 1-line block ×3, first 2 shown]
	s_set_vgpr_msb 4                        ;  msbs: dst=0 src0=0 src1=1 src2=0
	v_ashrrev_i32_e32 v153, 24, v190 /*v446*/
	s_set_vgpr_msb 64                       ;  msbs: dst=1 src0=0 src1=0 src2=0
	v_mul_i32_i24_e32 v189 /*v445*/, v28, v225
	v_mul_i32_i24_e32 v190 /*v446*/, v29, v227
	s_set_vgpr_msb 0x55                     ;  msbs: dst=1 src0=1 src1=1 src2=1
	v_add3_u32 v184 /*v440*/, v184 /*v440*/, v187 /*v443*/, v188 /*v444*/
	v_add3_u32 v174 /*v430*/, v174 /*v430*/, v217 /*v473*/, v218 /*v474*/
	s_set_vgpr_msb 1                        ;  msbs: dst=0 src0=1 src1=0 src2=0
	v_bfe_i32 v154, v191 /*v447*/, 0, 8
	v_bfe_i32 v155, v191 /*v447*/, 8, 8
	;; [unrolled: 1-line block ×3, first 2 shown]
	s_set_vgpr_msb 0x44                     ;  msbs: dst=1 src0=0 src1=1 src2=0
	v_ashrrev_i32_e32 v198 /*v454*/, 24, v191 /*v447*/
	s_set_vgpr_msb 64                       ;  msbs: dst=1 src0=0 src1=0 src2=0
	v_mul_i32_i24_e32 v191 /*v447*/, v30, v228
	v_mul_i32_i24_e32 v217 /*v473*/, v32, v230
	s_set_vgpr_msb 0x55                     ;  msbs: dst=1 src0=1 src1=1 src2=1
	v_add3_u32 v184 /*v440*/, v184 /*v440*/, v189 /*v445*/, v190 /*v446*/
	v_add3_u32 v174 /*v430*/, v174 /*v430*/, v219 /*v475*/, v220 /*v476*/
	s_set_vgpr_msb 64                       ;  msbs: dst=1 src0=0 src1=0 src2=0
	v_mul_i32_i24_e32 v218 /*v474*/, v34, v235
	v_mul_i32_i24_e32 v219 /*v475*/, v36, v237
	;; [unrolled: 1-line block ×3, first 2 shown]
	s_set_vgpr_msb 0x55                     ;  msbs: dst=1 src0=1 src1=1 src2=1
	v_add3_u32 v184 /*v440*/, v184 /*v440*/, v191 /*v447*/, v217 /*v473*/
	v_add3_u32 v174 /*v430*/, v174 /*v430*/, v221 /*v477*/, v222 /*v478*/
	s_set_vgpr_msb 64                       ;  msbs: dst=1 src0=0 src1=0 src2=0
	v_mul_i32_i24_e32 v221 /*v477*/, v40, v241
	v_mul_i32_i24_e32 v222 /*v478*/, v42, v247
	s_set_vgpr_msb 0x41                     ;  msbs: dst=1 src0=1 src1=0 src2=0
	v_mul_i32_i24_e32 v227 /*v483*/, v4 /*v260*/, v53
	s_set_vgpr_msb 0x55                     ;  msbs: dst=1 src0=1 src1=1 src2=1
	v_add3_u32 v184 /*v440*/, v184 /*v440*/, v218 /*v474*/, v219 /*v475*/
	v_add3_u32 v174 /*v430*/, v174 /*v430*/, v223 /*v479*/, v224 /*v480*/
	s_set_vgpr_msb 64                       ;  msbs: dst=1 src0=0 src1=0 src2=0
	v_mul_i32_i24_e32 v223 /*v479*/, v44, v251
	v_mul_i32_i24_e32 v224 /*v480*/, v46, v253
	s_set_vgpr_msb 0x41                     ;  msbs: dst=1 src0=1 src1=0 src2=0
	v_mul_i32_i24_e32 v228 /*v484*/, v13 /*v269*/, v55
	s_set_vgpr_msb 0x55                     ;  msbs: dst=1 src0=1 src1=1 src2=1
	v_add3_u32 v184 /*v440*/, v184 /*v440*/, v220 /*v476*/, v221 /*v477*/
	v_add3_u32 v174 /*v430*/, v174 /*v430*/, v225 /*v481*/, v226 /*v482*/
	s_set_vgpr_msb 0x44                     ;  msbs: dst=1 src0=0 src1=1 src2=0
	v_mul_i32_i24_e32 v225 /*v481*/, v48, v0 /*v256*/
	s_set_vgpr_msb 0x41                     ;  msbs: dst=1 src0=1 src1=0 src2=0
	v_mul_i32_i24_e32 v226 /*v482*/, v9 /*v265*/, v52
	v_mul_i32_i24_e32 v229 /*v485*/, v10 /*v266*/, v141
	s_set_vgpr_msb 0x55                     ;  msbs: dst=1 src0=1 src1=1 src2=1
	v_add3_u32 v184 /*v440*/, v184 /*v440*/, v222 /*v478*/, v223 /*v479*/
	s_set_vgpr_msb 0x41                     ;  msbs: dst=1 src0=1 src1=0 src2=0
	v_mul_i32_i24_e32 v230 /*v486*/, v18 /*v274*/, v142
	v_mul_i32_i24_e32 v231 /*v487*/, v15 /*v271*/, v143
	;; [unrolled: 1-line block ×4, first 2 shown]
	s_set_vgpr_msb 0x55                     ;  msbs: dst=1 src0=1 src1=1 src2=1
	v_add3_u32 v184 /*v440*/, v184 /*v440*/, v224 /*v480*/, v225 /*v481*/
	s_set_vgpr_msb 0x41                     ;  msbs: dst=1 src0=1 src1=0 src2=0
	v_mul_i32_i24_e32 v234 /*v490*/, v31 /*v287*/, v146
	v_mul_i32_i24_e32 v235 /*v491*/, v26 /*v282*/, v147
	;; [unrolled: 1-line block ×4, first 2 shown]
	s_set_vgpr_msb 0x55                     ;  msbs: dst=1 src0=1 src1=1 src2=1
	v_add3_u32 v184 /*v440*/, v184 /*v440*/, v226 /*v482*/, v227 /*v483*/
	s_set_vgpr_msb 0x44                     ;  msbs: dst=1 src0=0 src1=1 src2=0
	v_mul_i32_i24_e32 v185 /*v441*/, v152, v21 /*v277*/
	v_mul_i32_i24_e32 v186 /*v442*/, v153, v29 /*v285*/
	s_set_vgpr_msb 0x41                     ;  msbs: dst=1 src0=1 src1=0 src2=0
	v_mul_i32_i24_e32 v179 /*v435*/, v200 /*v456*/, v171
	s_set_vgpr_msb 0x55                     ;  msbs: dst=1 src0=1 src1=1 src2=1
	v_mul_i32_i24_e32 v176 /*v432*/, v200 /*v456*/, v11 /*v267*/
	v_add3_u32 v184 /*v440*/, v184 /*v440*/, v228 /*v484*/, v229 /*v485*/
	s_set_vgpr_msb 5                        ;  msbs: dst=0 src0=1 src1=1 src2=0
	v_mul_i32_i24_e32 v123, v200 /*v456*/, v106 /*v362*/
	v_mul_i32_i24_e32 v119, v200 /*v456*/, v148 /*v404*/
	s_set_vgpr_msb 0x55                     ;  msbs: dst=1 src0=1 src1=1 src2=1
	v_bfe_i32 v199 /*v455*/, v192 /*v448*/, 0, 8
	v_bfe_i32 v200 /*v456*/, v192 /*v448*/, 8, 8
	v_add3_u32 v184 /*v440*/, v184 /*v440*/, v230 /*v486*/, v231 /*v487*/
	s_set_vgpr_msb 0x44                     ;  msbs: dst=1 src0=0 src1=1 src2=0
	v_mul_i32_i24_e32 v187 /*v443*/, v156, v27 /*v283*/
	s_set_vgpr_msb 0x55                     ;  msbs: dst=1 src0=1 src1=1 src2=1
	v_mul_i32_i24_e32 v189 /*v445*/, v198 /*v454*/, v38 /*v294*/
	v_bfe_i32 v201 /*v457*/, v192 /*v448*/, 16, 8
	v_ashrrev_i32_e32 v192 /*v448*/, 24, v192 /*v448*/
	v_add3_u32 v184 /*v440*/, v184 /*v440*/, v232 /*v488*/, v233 /*v489*/
	v_mul_i32_i24_e32 v190 /*v446*/, v199 /*v455*/, v40 /*v296*/
	v_mul_i32_i24_e32 v191 /*v447*/, v200 /*v456*/, v42 /*v298*/
	v_bfe_i32 v202 /*v458*/, v193 /*v449*/, 0, 8
	v_bfe_i32 v203 /*v459*/, v193 /*v449*/, 8, 8
	v_add3_u32 v184 /*v440*/, v184 /*v440*/, v234 /*v490*/, v235 /*v491*/
	v_bfe_i32 v204 /*v460*/, v193 /*v449*/, 16, 8
	v_ashrrev_i32_e32 v193 /*v449*/, 24, v193 /*v449*/
	v_mul_i32_i24_e32 v217 /*v473*/, v201 /*v457*/, v37 /*v293*/
	v_mul_i32_i24_e32 v218 /*v474*/, v192 /*v448*/, v45 /*v301*/
	v_add3_u32 v188 /*v444*/, v184 /*v440*/, v236 /*v492*/, v237 /*v493*/
	s_set_vgpr_msb 0x44                     ;  msbs: dst=1 src0=0 src1=1 src2=0
	v_mul_i32_i24_e32 v184 /*v440*/, v150, v24 /*v280*/
	s_set_vgpr_msb 0x45                     ;  msbs: dst=1 src0=1 src1=1 src2=0
	v_mul_i32_i24_e32 v219 /*v475*/, v202 /*v458*/, v47 /*v303*/
	v_mul_i32_i24_e32 v220 /*v476*/, v203 /*v459*/, v49 /*v305*/
	s_wait_dscnt 0x0
	v_bfe_i32 v205 /*v461*/, v194 /*v450*/, 0, 8
	v_bfe_i32 v206 /*v462*/, v194 /*v450*/, 8, 8
	s_set_vgpr_msb 0x54                     ;  msbs: dst=1 src0=0 src1=1 src2=1
	v_mad_i32_i24 v184 /*v440*/, v151, v23 /*v279*/, v184 /*v440*/
	s_set_vgpr_msb 0x55                     ;  msbs: dst=1 src0=1 src1=1 src2=1
	v_mul_i32_i24_e32 v221 /*v477*/, v204 /*v460*/, v43 /*v299*/
	v_mul_i32_i24_e32 v222 /*v478*/, v193 /*v449*/, v51 /*v307*/
	v_bfe_i32 v207 /*v463*/, v194 /*v450*/, 16, 8
	v_ashrrev_i32_e32 v194 /*v450*/, 24, v194 /*v450*/
	v_add3_u32 v184 /*v440*/, v184 /*v440*/, v185 /*v441*/, v186 /*v442*/
	s_set_vgpr_msb 0x44                     ;  msbs: dst=1 src0=0 src1=1 src2=0
	v_mul_i32_i24_e32 v185 /*v441*/, v154, v34 /*v290*/
	v_mul_i32_i24_e32 v186 /*v442*/, v155, v36 /*v292*/
	s_set_vgpr_msb 0x45                     ;  msbs: dst=1 src0=1 src1=1 src2=0
	v_mul_i32_i24_e32 v223 /*v479*/, v205 /*v461*/, v54 /*v310*/
	v_mul_i32_i24_e32 v224 /*v480*/, v206 /*v462*/, v56 /*v312*/
	s_set_vgpr_msb 64                       ;  msbs: dst=1 src0=0 src1=0 src2=0
	ds_load_b64 v[182:183] /*v[438:439]*/, v9 offset:27200
	s_set_vgpr_msb 0x55                     ;  msbs: dst=1 src0=1 src1=1 src2=1
	v_bfe_i32 v208 /*v464*/, v195 /*v451*/, 0, 8
	v_add3_u32 v184 /*v440*/, v184 /*v440*/, v185 /*v441*/, v186 /*v442*/
	v_bfe_i32 v209 /*v465*/, v195 /*v451*/, 8, 8
	v_bfe_i32 v210 /*v466*/, v195 /*v451*/, 16, 8
	v_ashrrev_i32_e32 v195 /*v451*/, 24, v195 /*v451*/
	v_mul_i32_i24_e32 v225 /*v481*/, v207 /*v463*/, v50 /*v306*/
	v_add3_u32 v184 /*v440*/, v184 /*v440*/, v187 /*v443*/, v189 /*v445*/
	v_mul_i32_i24_e32 v226 /*v482*/, v194 /*v450*/, v57 /*v313*/
	v_mul_i32_i24_e32 v227 /*v483*/, v58 /*v314*/, v208 /*v464*/
	;; [unrolled: 1-line block ×3, first 2 shown]
	v_bfe_i32 v211 /*v467*/, v196 /*v452*/, 0, 8
	v_add3_u32 v184 /*v440*/, v184 /*v440*/, v190 /*v446*/, v191 /*v447*/
	v_bfe_i32 v212 /*v468*/, v196 /*v452*/, 8, 8
	v_mul_i32_i24_e32 v229 /*v485*/, v64 /*v320*/, v210 /*v466*/
	v_mul_i32_i24_e32 v230 /*v486*/, v61 /*v317*/, v195 /*v451*/
	v_bfe_i32 v213 /*v469*/, v196 /*v452*/, 16, 8
	v_add3_u32 v184 /*v440*/, v184 /*v440*/, v217 /*v473*/, v218 /*v474*/
	v_ashrrev_i32_e32 v196 /*v452*/, 24, v196 /*v452*/
	v_mul_i32_i24_e32 v231 /*v487*/, v66 /*v322*/, v211 /*v467*/
	v_mul_i32_i24_e32 v232 /*v488*/, v67 /*v323*/, v212 /*v468*/
	s_wait_dscnt 0x0
	s_set_vgpr_msb 4                        ;  msbs: dst=0 src0=0 src1=1 src2=0
	v_lshrrev_b32_e32 v9, 16, v182 /*v438*/
	s_set_vgpr_msb 0x55                     ;  msbs: dst=1 src0=1 src1=1 src2=1
	v_add3_u32 v184 /*v440*/, v184 /*v440*/, v219 /*v475*/, v220 /*v476*/
	v_bfe_i32 v214 /*v470*/, v197 /*v453*/, 0, 8
	v_bfe_i32 v215 /*v471*/, v197 /*v453*/, 8, 8
	;; [unrolled: 1-line block ×3, first 2 shown]
	v_ashrrev_i32_e32 v197 /*v453*/, 24, v197 /*v453*/
	v_add3_u32 v184 /*v440*/, v184 /*v440*/, v221 /*v477*/, v222 /*v478*/
	v_mul_i32_i24_e32 v233 /*v489*/, v74 /*v330*/, v213 /*v469*/
	v_mul_i32_i24_e32 v234 /*v490*/, v70 /*v326*/, v196 /*v452*/
	s_set_vgpr_msb 64                       ;  msbs: dst=1 src0=0 src1=0 src2=0
	v_cvt_f32_f16_e64 v187 /*v443*/, v9
	v_cvt_f32_f16_e64 v186 /*v442*/, v2
	s_set_vgpr_msb 0x55                     ;  msbs: dst=1 src0=1 src1=1 src2=1
	v_add3_u32 v184 /*v440*/, v184 /*v440*/, v223 /*v479*/, v224 /*v480*/
	s_set_vgpr_msb 1                        ;  msbs: dst=0 src0=1 src1=0 src2=0
	v_mul_lo_u32 v2, v173 /*v429*/, v167
	v_mul_lo_u32 v9, v188 /*v444*/, v167
	s_set_vgpr_msb 0x45                     ;  msbs: dst=1 src0=1 src1=1 src2=0
	v_mul_i32_i24_e32 v235 /*v491*/, v214 /*v470*/, v78 /*v334*/
	s_set_vgpr_msb 0x41                     ;  msbs: dst=1 src0=1 src1=0 src2=0
	v_mul_i32_i24_e32 v236 /*v492*/, v215 /*v471*/, v170
	s_set_vgpr_msb 0x55                     ;  msbs: dst=1 src0=1 src1=1 src2=1
	v_add3_u32 v184 /*v440*/, v184 /*v440*/, v225 /*v481*/, v226 /*v482*/
	s_set_vgpr_msb 0x41                     ;  msbs: dst=1 src0=1 src1=0 src2=0
	v_mul_i32_i24_e32 v237 /*v493*/, v216 /*v472*/, v169
	v_mul_i32_i24_e32 v238 /*v494*/, v197 /*v453*/, v171
	s_set_vgpr_msb 0x44                     ;  msbs: dst=1 src0=0 src1=1 src2=0
	v_lshrrev_b32_e32 v181 /*v437*/, 16, v183 /*v439*/
	s_set_vgpr_msb 0x55                     ;  msbs: dst=1 src0=1 src1=1 src2=1
	v_cvt_f32_f16_e64 v185 /*v441*/, v182 /*v438*/
	v_add3_u32 v184 /*v440*/, v184 /*v440*/, v227 /*v483*/, v228 /*v484*/
	s_set_vgpr_msb 64                       ;  msbs: dst=1 src0=0 src1=0 src2=0
	v_cvt_f32_f16_e64 v182 /*v438*/, v1
	v_cvt_f32_i32_e32 v188 /*v444*/, v2
	v_cvt_f32_i32_e32 v189 /*v445*/, v9
	s_set_vgpr_msb 21                       ;  msbs: dst=0 src0=1 src1=1 src2=1
	v_add3_u32 v9, v180 /*v436*/, v178 /*v434*/, v179 /*v435*/
	s_set_vgpr_msb 0x55                     ;  msbs: dst=1 src0=1 src1=1 src2=1
	v_add3_u32 v184 /*v440*/, v184 /*v440*/, v229 /*v485*/, v230 /*v486*/
	s_set_vgpr_msb 1                        ;  msbs: dst=0 src0=1 src1=0 src2=0
	v_cvt_f32_f16_e64 v1, v181 /*v437*/
	s_set_vgpr_msb 0x44                     ;  msbs: dst=1 src0=0 src1=1 src2=0
	v_pk_fma_f32 v[190:191] /*v[446:447]*/, v[100:101], v[186:187] /*v[442:443]*/, 0 op_sel_hi:[0,1,0]
	s_set_vgpr_msb 0x41                     ;  msbs: dst=1 src0=1 src1=0 src2=0
	v_cvt_f32_f16_e64 v183 /*v439*/, v183 /*v439*/
	s_set_vgpr_msb 0                        ;  msbs: dst=0 src0=0 src1=0 src2=0
	v_mul_lo_u32 v9, v9, v103
	s_set_vgpr_msb 0x55                     ;  msbs: dst=1 src0=1 src1=1 src2=1
	v_add3_u32 v184 /*v440*/, v184 /*v440*/, v231 /*v487*/, v232 /*v488*/
	s_set_vgpr_msb 64                       ;  msbs: dst=1 src0=0 src1=0 src2=0
	v_mul_i32_i24_e32 v173 /*v429*/, v25, v179
	v_mul_i32_i24_e32 v218 /*v474*/, v42, v189
	;; [unrolled: 1-line block ×4, first 2 shown]
	s_set_vgpr_msb 0x55                     ;  msbs: dst=1 src0=1 src1=1 src2=1
	v_add3_u32 v184 /*v440*/, v184 /*v440*/, v233 /*v489*/, v234 /*v490*/
	s_set_vgpr_msb 64                       ;  msbs: dst=1 src0=0 src1=0 src2=0
	v_mul_i32_i24_e32 v221 /*v477*/, v48, v192
	v_mul_i32_i24_e32 v222 /*v478*/, v194, v52
	v_mul_i32_i24_e32 v223 /*v479*/, v193, v53
	v_mul_i32_i24_e32 v224 /*v480*/, v196, v55
	s_set_vgpr_msb 0x55                     ;  msbs: dst=1 src0=1 src1=1 src2=1
	v_add3_u32 v217 /*v473*/, v184 /*v440*/, v235 /*v491*/, v236 /*v492*/
	s_set_vgpr_msb 64                       ;  msbs: dst=1 src0=0 src1=0 src2=0
	v_cvt_f32_f16_e64 v184 /*v440*/, v0
	s_set_vgpr_msb 0                        ;  msbs: dst=0 src0=0 src1=0 src2=0
	v_cvt_f32_f16_e32 v0, v116
	s_set_vgpr_msb 64                       ;  msbs: dst=1 src0=0 src1=0 src2=0
	v_cvt_f32_i32_e32 v178 /*v434*/, v9
	s_set_vgpr_msb 0                        ;  msbs: dst=0 src0=0 src1=0 src2=0
	v_mul_i32_i24_e32 v9, v20, v175
	s_set_vgpr_msb 21                       ;  msbs: dst=0 src0=1 src1=1 src2=1
	v_add3_u32 v2, v217 /*v473*/, v237 /*v493*/, v238 /*v494*/
	s_set_vgpr_msb 0x45                     ;  msbs: dst=1 src0=1 src1=1 src2=0
	v_pk_fma_f32 v[188:189] /*v[444:445]*/, v[184:185] /*v[440:441]*/, v[188:189] /*v[444:445]*/, 0 op_sel_hi:[1,1,0]
	s_set_vgpr_msb 0x50                     ;  msbs: dst=1 src0=0 src1=0 src2=1
	v_pk_fma_f32 v[180:181] /*v[436:437]*/, v[102:103], v[0:1], v[190:191] /*v[446:447]*/ op_sel_hi:[0,1,1]
	s_set_vgpr_msb 0                        ;  msbs: dst=0 src0=0 src1=0 src2=0
	v_mul_i32_i24_e32 v116, v21, v176
	s_set_vgpr_msb 64                       ;  msbs: dst=1 src0=0 src1=0 src2=0
	v_mul_i32_i24_e32 v190 /*v446*/, v36, v186
	s_set_vgpr_msb 0                        ;  msbs: dst=0 src0=0 src1=0 src2=0
	v_mul_lo_u32 v2, v2, v103
	s_set_vgpr_msb 64                       ;  msbs: dst=1 src0=0 src1=0 src2=0
	v_mul_i32_i24_e32 v191 /*v447*/, v38, v187
	s_set_vgpr_msb 0x41                     ;  msbs: dst=1 src0=1 src1=0 src2=0
	v_pk_mul_f32 v[180:181] /*v[436:437]*/, v[180:181] /*v[436:437]*/, v[92:93]
	s_set_vgpr_msb 64                       ;  msbs: dst=1 src0=0 src1=0 src2=0
	v_mul_i32_i24_e32 v217 /*v473*/, v40, v188
	v_mul_i32_i24_e32 v225 /*v481*/, v195, v141
	;; [unrolled: 1-line block ×8, first 2 shown]
	v_cvt_f32_i32_e32 v179 /*v435*/, v2
	s_set_vgpr_msb 0                        ;  msbs: dst=0 src0=0 src1=0 src2=0
	v_mul_i32_i24_e32 v2, v18, v174
	s_set_vgpr_msb 64                       ;  msbs: dst=1 src0=0 src1=0 src2=0
	v_mul_i32_i24_e32 v232 /*v488*/, v217, v148
	v_mul_i32_i24_e32 v233 /*v489*/, v213, v149
	s_set_vgpr_msb 0x55                     ;  msbs: dst=1 src0=1 src1=1 src2=1
	v_mul_i32_i24_e32 v234 /*v490*/, v197 /*v453*/, v11 /*v267*/
	v_pk_fma_f32 v[178:179] /*v[434:435]*/, v[182:183] /*v[438:439]*/, v[178:179] /*v[434:435]*/, v[188:189] /*v[444:445]*/
	s_set_vgpr_msb 0                        ;  msbs: dst=0 src0=0 src1=0 src2=0
	v_mad_i32_i24 v2, v19, v173, v2
	s_set_vgpr_msb 64                       ;  msbs: dst=1 src0=0 src1=0 src2=0
	v_mul_i32_i24_e32 v188 /*v444*/, v32, v184
	v_mul_i32_i24_e32 v189 /*v445*/, v34, v185
	s_set_vgpr_msb 0x51                     ;  msbs: dst=1 src0=1 src1=0 src2=1
	v_pk_fma_f32 v[178:179] /*v[434:435]*/, v[178:179] /*v[434:435]*/, v[4:5], v[180:181] /*v[436:437]*/ neg_lo:[0,0,1] neg_hi:[0,0,1]
	s_set_vgpr_msb 0                        ;  msbs: dst=0 src0=0 src1=0 src2=0
	v_add3_u32 v2, v2, v9, v116
	v_mul_i32_i24_e32 v9, v22, v177
	v_mul_i32_i24_e32 v116, v24, v178
	s_set_vgpr_msb 64                       ;  msbs: dst=1 src0=0 src1=0 src2=0
	v_mul_i32_i24_e32 v180 /*v436*/, v29, v182
	s_set_vgpr_msb 4                        ;  msbs: dst=0 src0=0 src1=1 src2=0
	v_pk_add_f32 v[58:59], v[58:59], v[178:179] /*v[434:435]*/
	s_set_vgpr_msb 64                       ;  msbs: dst=1 src0=0 src1=0 src2=0
	v_mul_i32_i24_e32 v178 /*v434*/, v26, v180
	v_mul_i32_i24_e32 v179 /*v435*/, v28, v181
	s_set_vgpr_msb 0                        ;  msbs: dst=0 src0=0 src1=0 src2=0
	v_add3_u32 v2, v2, v9, v116
	v_mul_i32_i24_e32 v9, v150, v205
	v_mul_i32_i24_e32 v116, v152, v201
	s_set_vgpr_msb 64                       ;  msbs: dst=1 src0=0 src1=0 src2=0
	v_mul_i32_i24_e32 v181 /*v437*/, v30, v183
	s_set_vgpr_msb 20                       ;  msbs: dst=0 src0=0 src1=1 src2=1
	v_add3_u32 v2, v2, v173 /*v429*/, v178 /*v434*/
	s_set_vgpr_msb 64                       ;  msbs: dst=1 src0=0 src1=0 src2=0
	v_mul_i32_i24_e32 v173 /*v429*/, v153, v210
	s_set_vgpr_msb 0                        ;  msbs: dst=0 src0=0 src1=0 src2=0
	v_mad_i32_i24 v9, v151, v204, v9
	s_set_vgpr_msb 64                       ;  msbs: dst=1 src0=0 src1=0 src2=0
	v_mul_i32_i24_e32 v178 /*v434*/, v156, v208
	s_set_vgpr_msb 20                       ;  msbs: dst=0 src0=0 src1=1 src2=1
	v_add3_u32 v2, v2, v179 /*v435*/, v180 /*v436*/
	s_set_vgpr_msb 0x41                     ;  msbs: dst=1 src0=1 src1=0 src2=0
	v_mul_i32_i24_e32 v179 /*v435*/, v198 /*v454*/, v221
	s_set_vgpr_msb 16                       ;  msbs: dst=0 src0=0 src1=0 src2=1
	v_add3_u32 v9, v9, v116, v173 /*v429*/
	v_mul_i32_i24_e32 v116, v154, v215
	s_set_vgpr_msb 64                       ;  msbs: dst=1 src0=0 src1=0 src2=0
	v_mul_i32_i24_e32 v173 /*v429*/, v155, v218
	s_set_vgpr_msb 20                       ;  msbs: dst=0 src0=0 src1=1 src2=1
	v_add3_u32 v2, v2, v181 /*v437*/, v188 /*v444*/
	s_set_vgpr_msb 0x41                     ;  msbs: dst=1 src0=1 src1=0 src2=0
	v_mul_i32_i24_e32 v180 /*v436*/, v199 /*v455*/, v222
	v_mul_i32_i24_e32 v181 /*v437*/, v200 /*v456*/, v223
	;; [unrolled: 1-line block ×3, first 2 shown]
	s_set_vgpr_msb 16                       ;  msbs: dst=0 src0=0 src1=0 src2=1
	v_add3_u32 v9, v9, v116, v173 /*v429*/
	s_set_vgpr_msb 20                       ;  msbs: dst=0 src0=0 src1=1 src2=1
	v_add3_u32 v2, v2, v189 /*v445*/, v190 /*v446*/
	s_set_vgpr_msb 0x41                     ;  msbs: dst=1 src0=1 src1=0 src2=0
	v_mul_i32_i24_e32 v189 /*v445*/, v192 /*v448*/, v226
	v_mul_i32_i24_e32 v190 /*v446*/, v202 /*v458*/, v229
	s_set_vgpr_msb 0                        ;  msbs: dst=0 src0=0 src1=0 src2=0
	v_mul_lo_u32 v116, v120, v172
	s_set_vgpr_msb 20                       ;  msbs: dst=0 src0=0 src1=1 src2=1
	v_add3_u32 v9, v9, v178 /*v434*/, v179 /*v435*/
	v_add3_u32 v2, v2, v191 /*v447*/, v217 /*v473*/
	s_set_vgpr_msb 0x41                     ;  msbs: dst=1 src0=1 src1=0 src2=0
	v_mul_i32_i24_e32 v191 /*v447*/, v203 /*v459*/, v231
	v_mul_i32_i24_e32 v217 /*v473*/, v204 /*v460*/, v224
	s_set_vgpr_msb 20                       ;  msbs: dst=0 src0=0 src1=1 src2=1
	v_mul_i32_i24_e32 v120, v25, v8 /*v264*/
	v_add3_u32 v9, v9, v180 /*v436*/, v181 /*v437*/
	v_add3_u32 v2, v2, v218 /*v474*/, v219 /*v475*/
	s_set_vgpr_msb 0x41                     ;  msbs: dst=1 src0=1 src1=0 src2=0
	v_mul_i32_i24_e32 v218 /*v474*/, v193 /*v449*/, v233
	v_mul_i32_i24_e32 v219 /*v475*/, v205 /*v461*/, v236
	s_set_vgpr_msb 0x44                     ;  msbs: dst=1 src0=0 src1=1 src2=0
	v_pk_fma_f32 v[180:181] /*v[436:437]*/, v[104:105], v[186:187] /*v[442:443]*/, 0 op_sel_hi:[0,1,0]
	s_set_vgpr_msb 20                       ;  msbs: dst=0 src0=0 src1=1 src2=1
	v_add3_u32 v9, v9, v188 /*v444*/, v189 /*v445*/
	v_add3_u32 v2, v2, v220 /*v476*/, v221 /*v477*/
	s_set_vgpr_msb 0x41                     ;  msbs: dst=1 src0=1 src1=0 src2=0
	v_mul_i32_i24_e32 v220 /*v476*/, v206 /*v462*/, v238
	v_mul_i32_i24_e32 v221 /*v477*/, v207 /*v463*/, v232
	s_set_vgpr_msb 64                       ;  msbs: dst=1 src0=0 src1=0 src2=0
	v_cvt_f32_i32_e32 v178 /*v434*/, v116
	s_set_vgpr_msb 20                       ;  msbs: dst=0 src0=0 src1=1 src2=1
	v_add3_u32 v9, v9, v190 /*v446*/, v191 /*v447*/
	v_add3_u32 v2, v2, v222 /*v478*/, v223 /*v479*/
	s_set_vgpr_msb 0x41                     ;  msbs: dst=1 src0=1 src1=0 src2=0
	v_mul_i32_i24_e32 v222 /*v478*/, v194 /*v450*/, v240
	s_set_vgpr_msb 0x44                     ;  msbs: dst=1 src0=0 src1=1 src2=0
	v_mul_i32_i24_e32 v223 /*v479*/, v242, v208 /*v464*/
	s_set_vgpr_msb 20                       ;  msbs: dst=0 src0=0 src1=1 src2=1
	v_mul_i32_i24_e32 v116, v21, v2 /*v258*/
	v_add3_u32 v9, v9, v217 /*v473*/, v218 /*v474*/
	v_add3_u32 v2, v2, v224 /*v480*/, v225 /*v481*/
	s_set_vgpr_msb 0x44                     ;  msbs: dst=1 src0=0 src1=1 src2=0
	v_mul_i32_i24_e32 v224 /*v480*/, v243, v209 /*v465*/
	v_mul_i32_i24_e32 v225 /*v481*/, v245, v210 /*v466*/
	;; [unrolled: 1-line block ×3, first 2 shown]
	s_set_vgpr_msb 20                       ;  msbs: dst=0 src0=0 src1=1 src2=1
	v_add3_u32 v9, v9, v219 /*v475*/, v220 /*v476*/
	v_add3_u32 v2, v2, v226 /*v482*/, v227 /*v483*/
	s_set_vgpr_msb 0x44                     ;  msbs: dst=1 src0=0 src1=1 src2=0
	v_mul_i32_i24_e32 v226 /*v482*/, v244, v195 /*v451*/
	v_mul_i32_i24_e32 v227 /*v483*/, v248, v211 /*v467*/
	;; [unrolled: 1-line block ×3, first 2 shown]
	s_set_vgpr_msb 20                       ;  msbs: dst=0 src0=0 src1=1 src2=1
	v_add3_u32 v9, v9, v221 /*v477*/, v222 /*v478*/
	v_add3_u32 v2, v2, v228 /*v484*/, v229 /*v485*/
	s_set_vgpr_msb 0x44                     ;  msbs: dst=1 src0=0 src1=1 src2=0
	v_mul_i32_i24_e32 v228 /*v484*/, v249, v212 /*v468*/
	s_set_vgpr_msb 0x45                     ;  msbs: dst=1 src0=1 src1=1 src2=0
	v_mul_i32_i24_e32 v229 /*v485*/, v1 /*v257*/, v213 /*v469*/
	s_set_vgpr_msb 0x44                     ;  msbs: dst=1 src0=0 src1=1 src2=0
	v_mul_i32_i24_e32 v189 /*v445*/, v42, v39 /*v295*/
	s_set_vgpr_msb 20                       ;  msbs: dst=0 src0=0 src1=1 src2=1
	v_add3_u32 v9, v9, v223 /*v479*/, v224 /*v480*/
	v_add3_u32 v2, v2, v230 /*v486*/, v231 /*v487*/
	s_set_vgpr_msb 0x44                     ;  msbs: dst=1 src0=0 src1=1 src2=0
	v_mul_i32_i24_e32 v230 /*v486*/, v252, v196 /*v452*/
	s_set_vgpr_msb 0x45                     ;  msbs: dst=1 src0=1 src1=1 src2=0
	v_mul_i32_i24_e32 v231 /*v487*/, v214 /*v470*/, v5 /*v261*/
	s_set_vgpr_msb 0x44                     ;  msbs: dst=1 src0=0 src1=1 src2=0
	v_mul_i32_i24_e32 v190 /*v446*/, v44, v41 /*v297*/
	s_set_vgpr_msb 20                       ;  msbs: dst=0 src0=0 src1=1 src2=1
	v_add3_u32 v9, v9, v225 /*v481*/, v226 /*v482*/
	v_add3_u32 v2, v2, v232 /*v488*/, v233 /*v489*/
	s_set_vgpr_msb 0x45                     ;  msbs: dst=1 src0=1 src1=1 src2=0
	v_mul_i32_i24_e32 v232 /*v488*/, v215 /*v471*/, v7 /*v263*/
	s_set_vgpr_msb 0x41                     ;  msbs: dst=1 src0=1 src1=0 src2=0
	v_mul_i32_i24_e32 v233 /*v489*/, v216 /*v472*/, v254
	s_set_vgpr_msb 0x44                     ;  msbs: dst=1 src0=0 src1=1 src2=0
	v_mul_i32_i24_e32 v191 /*v447*/, v46, v44 /*v300*/
	s_set_vgpr_msb 20                       ;  msbs: dst=0 src0=0 src1=1 src2=1
	v_add3_u32 v9, v9, v227 /*v483*/, v228 /*v484*/
	s_set_vgpr_msb 0                        ;  msbs: dst=0 src0=0 src1=0 src2=0
	v_mul_lo_u32 v2, v2, v172
	s_set_vgpr_msb 0x44                     ;  msbs: dst=1 src0=0 src1=1 src2=0
	v_mul_i32_i24_e32 v217 /*v473*/, v48, v46 /*v302*/
	s_set_vgpr_msb 0x41                     ;  msbs: dst=1 src0=1 src1=0 src2=0
	v_mul_i32_i24_e32 v218 /*v474*/, v52 /*v308*/, v52
	v_mul_i32_i24_e32 v219 /*v475*/, v48 /*v304*/, v53
	s_set_vgpr_msb 20                       ;  msbs: dst=0 src0=0 src1=1 src2=1
	v_add3_u32 v9, v9, v229 /*v485*/, v230 /*v486*/
	s_set_vgpr_msb 0x41                     ;  msbs: dst=1 src0=1 src1=0 src2=0
	v_mul_i32_i24_e32 v220 /*v476*/, v55 /*v311*/, v55
	v_mul_i32_i24_e32 v221 /*v477*/, v53 /*v309*/, v141
	;; [unrolled: 1-line block ×4, first 2 shown]
	s_set_vgpr_msb 20                       ;  msbs: dst=0 src0=0 src1=1 src2=1
	v_add3_u32 v9, v9, v231 /*v487*/, v232 /*v488*/
	s_set_vgpr_msb 0x41                     ;  msbs: dst=1 src0=1 src1=0 src2=0
	v_mul_i32_i24_e32 v224 /*v480*/, v68 /*v324*/, v144
	s_set_vgpr_msb 64                       ;  msbs: dst=1 src0=0 src1=0 src2=0
	v_cvt_f32_i32_e32 v179 /*v435*/, v2
	s_set_vgpr_msb 0x41                     ;  msbs: dst=1 src0=1 src1=0 src2=0
	v_mul_i32_i24_e32 v225 /*v481*/, v63 /*v319*/, v145
	v_mul_i32_i24_e32 v226 /*v482*/, v76 /*v332*/, v146
	s_set_vgpr_msb 20                       ;  msbs: dst=0 src0=0 src1=1 src2=1
	v_add3_u32 v2, v9, v233 /*v489*/, v234 /*v490*/
	s_set_vgpr_msb 21                       ;  msbs: dst=0 src0=1 src1=1 src2=1
	v_add3_u32 v9, v177 /*v433*/, v175 /*v431*/, v176 /*v432*/
	s_set_vgpr_msb 0x45                     ;  msbs: dst=1 src0=1 src1=1 src2=0
	v_pk_fma_f32 v[178:179] /*v[434:435]*/, v[184:185] /*v[440:441]*/, v[178:179] /*v[434:435]*/, 0 op_sel_hi:[1,1,0]
	s_set_vgpr_msb 0x44                     ;  msbs: dst=1 src0=0 src1=1 src2=0
	v_mul_i32_i24_e32 v175 /*v431*/, v28, v14 /*v270*/
	s_set_vgpr_msb 0x41                     ;  msbs: dst=1 src0=1 src1=0 src2=0
	v_mul_i32_i24_e32 v227 /*v483*/, v72 /*v328*/, v147
	s_set_vgpr_msb 0                        ;  msbs: dst=0 src0=0 src1=0 src2=0
	v_mul_lo_u32 v2, v2, v166
	v_mul_lo_u32 v9, v9, v166
	s_set_vgpr_msb 0x41                     ;  msbs: dst=1 src0=1 src1=0 src2=0
	v_mul_i32_i24_e32 v228 /*v484*/, v80 /*v336*/, v148
	v_mul_i32_i24_e32 v229 /*v485*/, v77 /*v333*/, v149
	s_set_vgpr_msb 0x45                     ;  msbs: dst=1 src0=1 src1=1 src2=0
	v_mul_i32_i24_e32 v230 /*v486*/, v197 /*v453*/, v106 /*v362*/
	s_set_vgpr_msb 64                       ;  msbs: dst=1 src0=0 src1=0 src2=0
	v_cvt_f32_i32_e32 v177 /*v433*/, v2
	v_cvt_f32_i32_e32 v176 /*v432*/, v9
	s_set_vgpr_msb 0                        ;  msbs: dst=0 src0=0 src1=0 src2=0
	v_mul_i32_i24_e32 v2, v18, v250
	v_mul_i32_i24_e32 v9, v20, v255
	s_set_vgpr_msb 0x55                     ;  msbs: dst=1 src0=1 src1=1 src2=1
	v_pk_fma_f32 v[176:177] /*v[432:433]*/, v[182:183] /*v[438:439]*/, v[176:177] /*v[432:433]*/, v[178:179] /*v[434:435]*/
	s_set_vgpr_msb 0x50                     ;  msbs: dst=1 src0=0 src1=0 src2=1
	v_pk_fma_f32 v[178:179] /*v[434:435]*/, v[108:109], v[0:1], v[180:181] /*v[436:437]*/ op_sel_hi:[0,1,1]
	s_set_vgpr_msb 0                        ;  msbs: dst=0 src0=0 src1=0 src2=0
	v_mad_i32_i24 v2, v19, v246, v2
	s_set_vgpr_msb 0x44                     ;  msbs: dst=1 src0=0 src1=1 src2=0
	v_mul_i32_i24_e32 v180 /*v436*/, v36, v28 /*v284*/
	v_mul_i32_i24_e32 v181 /*v437*/, v38, v30 /*v286*/
	s_set_vgpr_msb 0x41                     ;  msbs: dst=1 src0=1 src1=0 src2=0
	v_pk_mul_f32 v[178:179] /*v[434:435]*/, v[178:179] /*v[434:435]*/, v[94:95]
	s_set_vgpr_msb 0                        ;  msbs: dst=0 src0=0 src1=0 src2=0
	v_add3_u32 v2, v2, v9, v116
	s_set_vgpr_msb 4                        ;  msbs: dst=0 src0=0 src1=1 src2=0
	v_mul_i32_i24_e32 v9, v22, v3 /*v259*/
	v_mul_i32_i24_e32 v116, v24, v6 /*v262*/
	s_set_vgpr_msb 0x51                     ;  msbs: dst=1 src0=1 src1=0 src2=1
	v_pk_fma_f32 v[176:177] /*v[432:433]*/, v[176:177] /*v[432:433]*/, v[6:7], v[178:179] /*v[434:435]*/ neg_lo:[0,0,1] neg_hi:[0,0,1]
	s_set_vgpr_msb 0x44                     ;  msbs: dst=1 src0=0 src1=1 src2=0
	v_mul_i32_i24_e32 v178 /*v434*/, v32, v20 /*v276*/
	v_mul_i32_i24_e32 v179 /*v435*/, v34, v25 /*v281*/
	s_set_vgpr_msb 0                        ;  msbs: dst=0 src0=0 src1=0 src2=0
	v_add3_u32 v2, v2, v9, v116
	s_set_vgpr_msb 4                        ;  msbs: dst=0 src0=0 src1=1 src2=0
	v_mul_i32_i24_e32 v9, v150, v71 /*v327*/
	v_pk_add_f32 v[64:65], v[64:65], v[176:177] /*v[432:433]*/
	s_set_vgpr_msb 0x44                     ;  msbs: dst=1 src0=0 src1=1 src2=0
	v_mul_i32_i24_e32 v176 /*v432*/, v29, v16 /*v272*/
	s_set_vgpr_msb 4                        ;  msbs: dst=0 src0=0 src1=1 src2=0
	v_mul_i32_i24_e32 v116, v152, v65 /*v321*/
	s_set_vgpr_msb 16                       ;  msbs: dst=0 src0=0 src1=0 src2=1
	v_add3_u32 v2, v2, v120, v173 /*v429*/
	s_set_vgpr_msb 4                        ;  msbs: dst=0 src0=0 src1=1 src2=0
	v_mul_i32_i24_e32 v120, v153, v75 /*v331*/
	v_mad_i32_i24 v9, v151, v69 /*v325*/, v9
	s_set_vgpr_msb 0x44                     ;  msbs: dst=1 src0=0 src1=1 src2=0
	v_mul_i32_i24_e32 v177 /*v433*/, v30, v17 /*v273*/
	v_mul_i32_i24_e32 v173 /*v429*/, v156, v73 /*v329*/
	s_set_vgpr_msb 20                       ;  msbs: dst=0 src0=0 src1=1 src2=1
	v_add3_u32 v2, v2, v175 /*v431*/, v176 /*v432*/
	s_set_vgpr_msb 0x45                     ;  msbs: dst=1 src0=1 src1=1 src2=0
	v_mul_i32_i24_e32 v175 /*v431*/, v198 /*v454*/, v83 /*v339*/
	s_set_vgpr_msb 0                        ;  msbs: dst=0 src0=0 src1=0 src2=0
	v_add3_u32 v9, v9, v116, v120
	s_set_vgpr_msb 20                       ;  msbs: dst=0 src0=0 src1=1 src2=1
	v_mul_i32_i24_e32 v116, v154, v79 /*v335*/
	v_mul_i32_i24_e32 v120, v155, v81 /*v337*/
	v_add3_u32 v2, v2, v177 /*v433*/, v178 /*v434*/
	s_set_vgpr_msb 0x45                     ;  msbs: dst=1 src0=1 src1=1 src2=0
	v_mul_i32_i24_e32 v176 /*v432*/, v199 /*v455*/, v84 /*v340*/
	v_mul_i32_i24_e32 v177 /*v433*/, v200 /*v456*/, v85 /*v341*/
	;; [unrolled: 1-line block ×3, first 2 shown]
	s_set_vgpr_msb 0                        ;  msbs: dst=0 src0=0 src1=0 src2=0
	v_add3_u32 v9, v9, v116, v120
	s_set_vgpr_msb 20                       ;  msbs: dst=0 src0=0 src1=1 src2=1
	v_add3_u32 v2, v2, v179 /*v435*/, v180 /*v436*/
	s_set_vgpr_msb 0x45                     ;  msbs: dst=1 src0=1 src1=1 src2=0
	v_mul_i32_i24_e32 v179 /*v435*/, v192 /*v448*/, v87 /*v343*/
	v_mul_i32_i24_e32 v180 /*v436*/, v202 /*v458*/, v88 /*v344*/
	s_set_vgpr_msb 0                        ;  msbs: dst=0 src0=0 src1=0 src2=0
	v_mul_lo_u32 v116, v117, v234
	s_set_vgpr_msb 20                       ;  msbs: dst=0 src0=0 src1=1 src2=1
	v_add3_u32 v9, v9, v173 /*v429*/, v175 /*v431*/
	v_add3_u32 v2, v2, v181 /*v437*/, v188 /*v444*/
	s_set_vgpr_msb 0x45                     ;  msbs: dst=1 src0=1 src1=1 src2=0
	v_mul_i32_i24_e32 v181 /*v437*/, v203 /*v459*/, v89 /*v345*/
	v_mul_i32_i24_e32 v188 /*v444*/, v204 /*v460*/, v86 /*v342*/
	s_set_vgpr_msb 1                        ;  msbs: dst=0 src0=1 src1=0 src2=0
	v_mul_i32_i24_e32 v120, v151 /*v407*/, v148
	s_set_vgpr_msb 20                       ;  msbs: dst=0 src0=0 src1=1 src2=1
	v_add3_u32 v9, v9, v176 /*v432*/, v177 /*v433*/
	v_add3_u32 v2, v2, v189 /*v445*/, v190 /*v446*/
	s_set_vgpr_msb 0x45                     ;  msbs: dst=1 src0=1 src1=1 src2=0
	v_mul_i32_i24_e32 v189 /*v445*/, v193 /*v449*/, v91 /*v347*/
	v_mul_i32_i24_e32 v190 /*v446*/, v205 /*v461*/, v92 /*v348*/
	s_set_vgpr_msb 0x44                     ;  msbs: dst=1 src0=0 src1=1 src2=0
	v_pk_fma_f32 v[176:177] /*v[432:433]*/, v[106:107], v[186:187] /*v[442:443]*/, 0 op_sel_hi:[0,1,0]
	s_set_vgpr_msb 20                       ;  msbs: dst=0 src0=0 src1=1 src2=1
	v_add3_u32 v9, v9, v178 /*v434*/, v179 /*v435*/
	v_add3_u32 v2, v2, v191 /*v447*/, v217 /*v473*/
	s_set_vgpr_msb 0x45                     ;  msbs: dst=1 src0=1 src1=1 src2=0
	v_mul_i32_i24_e32 v191 /*v447*/, v206 /*v462*/, v93 /*v349*/
	v_mul_i32_i24_e32 v217 /*v473*/, v207 /*v463*/, v90 /*v346*/
	s_set_vgpr_msb 20                       ;  msbs: dst=0 src0=0 src1=1 src2=1
	v_cvt_f32_i32_e32 v116, v116
	v_add3_u32 v9, v9, v180 /*v436*/, v181 /*v437*/
	v_add3_u32 v2, v2, v218 /*v474*/, v219 /*v475*/
	s_set_vgpr_msb 0x45                     ;  msbs: dst=1 src0=1 src1=1 src2=0
	v_mul_i32_i24_e32 v218 /*v474*/, v194 /*v450*/, v94 /*v350*/
	v_mul_i32_i24_e32 v219 /*v475*/, v95 /*v351*/, v208 /*v464*/
	s_set_vgpr_msb 20                       ;  msbs: dst=0 src0=0 src1=1 src2=1
	v_add3_u32 v9, v9, v188 /*v444*/, v189 /*v445*/
	v_add3_u32 v2, v2, v220 /*v476*/, v221 /*v477*/
	s_set_vgpr_msb 0x45                     ;  msbs: dst=1 src0=1 src1=1 src2=0
	v_mul_i32_i24_e32 v220 /*v476*/, v96 /*v352*/, v209 /*v465*/
	v_mul_i32_i24_e32 v221 /*v477*/, v98 /*v354*/, v210 /*v466*/
	s_set_vgpr_msb 20                       ;  msbs: dst=0 src0=0 src1=1 src2=1
	v_add3_u32 v9, v9, v190 /*v446*/, v191 /*v447*/
	v_add3_u32 v2, v2, v222 /*v478*/, v223 /*v479*/
	s_set_vgpr_msb 0x45                     ;  msbs: dst=1 src0=1 src1=1 src2=0
	v_mul_i32_i24_e32 v222 /*v478*/, v97 /*v353*/, v195 /*v451*/
	v_mul_i32_i24_e32 v223 /*v479*/, v99 /*v355*/, v211 /*v467*/
	s_set_vgpr_msb 20                       ;  msbs: dst=0 src0=0 src1=1 src2=1
	v_add3_u32 v9, v9, v217 /*v473*/, v218 /*v474*/
	v_add3_u32 v2, v2, v224 /*v480*/, v225 /*v481*/
	s_set_vgpr_msb 0x45                     ;  msbs: dst=1 src0=1 src1=1 src2=0
	v_mul_i32_i24_e32 v224 /*v480*/, v100 /*v356*/, v212 /*v468*/
	v_mul_i32_i24_e32 v225 /*v481*/, v103 /*v359*/, v213 /*v469*/
	s_set_vgpr_msb 20                       ;  msbs: dst=0 src0=0 src1=1 src2=1
	v_add3_u32 v9, v9, v219 /*v475*/, v220 /*v476*/
	v_add3_u32 v2, v2, v226 /*v482*/, v227 /*v483*/
	s_set_vgpr_msb 0x45                     ;  msbs: dst=1 src0=1 src1=1 src2=0
	v_mul_i32_i24_e32 v226 /*v482*/, v101 /*v357*/, v196 /*v452*/
	v_mul_i32_i24_e32 v227 /*v483*/, v214 /*v470*/, v104 /*v360*/
	s_set_vgpr_msb 20                       ;  msbs: dst=0 src0=0 src1=1 src2=1
	v_add3_u32 v9, v9, v221 /*v477*/, v222 /*v478*/
	v_add3_u32 v2, v2, v228 /*v484*/, v229 /*v485*/
	s_set_vgpr_msb 0x45                     ;  msbs: dst=1 src0=1 src1=1 src2=0
	v_mul_i32_i24_e32 v228 /*v484*/, v215 /*v471*/, v105 /*v361*/
	v_mul_i32_i24_e32 v229 /*v485*/, v216 /*v472*/, v102 /*v358*/
	s_set_vgpr_msb 20                       ;  msbs: dst=0 src0=0 src1=1 src2=1
	v_add3_u32 v9, v9, v223 /*v479*/, v224 /*v480*/
	s_set_vgpr_msb 0                        ;  msbs: dst=0 src0=0 src1=0 src2=0
	v_mul_lo_u32 v2, v2, v234
	s_set_vgpr_msb 20                       ;  msbs: dst=0 src0=0 src1=1 src2=1
	s_delay_alu instid0(VALU_DEP_2) | instskip(NEXT) | instid1(VALU_DEP_1)
	v_add3_u32 v9, v9, v225 /*v481*/, v226 /*v482*/
	v_add3_u32 v9, v9, v227 /*v483*/, v228 /*v484*/
	s_delay_alu instid0(VALU_DEP_3) | instskip(NEXT) | instid1(VALU_DEP_2)
	v_cvt_f32_i32_e32 v117, v2
	v_add3_u32 v2, v9, v229 /*v485*/, v230 /*v486*/
	s_set_vgpr_msb 1                        ;  msbs: dst=0 src0=1 src1=0 src2=0
	v_add3_u32 v9, v174 /*v430*/, v122, v123
	s_delay_alu instid0(VALU_DEP_3) | instskip(SKIP_2) | instid1(VALU_DEP_3)
	v_pk_fma_f32 v[116:117], v[184:185] /*v[440:441]*/, v[116:117], 0 op_sel_hi:[1,1,0]
	s_set_vgpr_msb 0                        ;  msbs: dst=0 src0=0 src1=0 src2=0
	v_mul_lo_u32 v2, v2, v168
	v_mul_lo_u32 v9, v9, v168
	s_delay_alu instid0(VALU_DEP_2) | instskip(SKIP_2) | instid1(VALU_DEP_3)
	v_cvt_f32_i32_e32 v123, v2
	s_set_vgpr_msb 4                        ;  msbs: dst=0 src0=0 src1=1 src2=0
	v_mul_i32_i24_e32 v2, v18, v110 /*v366*/
	v_cvt_f32_i32_e32 v122, v9
	v_mul_i32_i24_e32 v9, v20, v111 /*v367*/
	v_mul_i32_i24_e32 v18, v21, v112 /*v368*/
	;; [unrolled: 1-line block ×3, first 2 shown]
	v_mad_i32_i24 v2, v19, v109 /*v365*/, v2
	v_mul_i32_i24_e32 v19, v25, v115 /*v371*/
	v_mul_i32_i24_e32 v21, v28, v117 /*v373*/
	;; [unrolled: 1-line block ×4, first 2 shown]
	s_set_vgpr_msb 0                        ;  msbs: dst=0 src0=0 src1=0 src2=0
	v_add3_u32 v2, v2, v9, v18
	s_set_vgpr_msb 4                        ;  msbs: dst=0 src0=0 src1=1 src2=0
	v_mul_i32_i24_e32 v9, v22, v113 /*v369*/
	v_mul_i32_i24_e32 v18, v24, v114 /*v370*/
	;; [unrolled: 1-line block ×6, first 2 shown]
	s_set_vgpr_msb 0                        ;  msbs: dst=0 src0=0 src1=0 src2=0
	v_add3_u32 v2, v2, v9, v18
	s_set_vgpr_msb 1                        ;  msbs: dst=0 src0=1 src1=0 src2=0
	v_mul_i32_i24_e32 v9, v154 /*v410*/, v150
	v_mul_i32_i24_e32 v18, v153 /*v409*/, v152
	s_set_vgpr_msb 4                        ;  msbs: dst=0 src0=0 src1=1 src2=0
	v_mul_i32_i24_e32 v30, v40, v124 /*v380*/
	v_mul_i32_i24_e32 v32, v42, v125 /*v381*/
	s_set_vgpr_msb 0                        ;  msbs: dst=0 src0=0 src1=0 src2=0
	v_add3_u32 v2, v2, v19, v20
	s_set_vgpr_msb 1                        ;  msbs: dst=0 src0=1 src1=0 src2=0
	v_mul_i32_i24_e32 v19, v143 /*v399*/, v153
	v_mad_i32_i24 v9, v152 /*v408*/, v151, v9
	v_mul_i32_i24_e32 v20, v155 /*v411*/, v156
	s_set_vgpr_msb 4                        ;  msbs: dst=0 src0=0 src1=1 src2=0
	v_mul_i32_i24_e32 v34, v44, v126 /*v382*/
	s_set_vgpr_msb 0                        ;  msbs: dst=0 src0=0 src1=0 src2=0
	v_add3_u32 v2, v2, v21, v22
	s_set_vgpr_msb 5                        ;  msbs: dst=0 src0=1 src1=1 src2=0
	v_mul_i32_i24_e32 v21, v134 /*v390*/, v198 /*v454*/
	s_set_vgpr_msb 0                        ;  msbs: dst=0 src0=0 src1=0 src2=0
	v_add3_u32 v9, v9, v18, v19
	s_set_vgpr_msb 1                        ;  msbs: dst=0 src0=1 src1=0 src2=0
	v_mul_i32_i24_e32 v18, v157 /*v413*/, v154
	v_mul_i32_i24_e32 v19, v156 /*v412*/, v155
	s_set_vgpr_msb 0                        ;  msbs: dst=0 src0=0 src1=0 src2=0
	v_add3_u32 v2, v2, v24, v25
	s_set_vgpr_msb 5                        ;  msbs: dst=0 src0=1 src1=1 src2=0
	v_mul_i32_i24_e32 v22, v160 /*v416*/, v199 /*v455*/
	v_mul_i32_i24_e32 v24, v159 /*v415*/, v200 /*v456*/
	;; [unrolled: 1-line block ×3, first 2 shown]
	s_set_vgpr_msb 0                        ;  msbs: dst=0 src0=0 src1=0 src2=0
	v_add3_u32 v9, v9, v18, v19
	v_add3_u32 v2, v2, v26, v28
	s_set_vgpr_msb 5                        ;  msbs: dst=0 src0=1 src1=1 src2=0
	v_mul_i32_i24_e32 v26, v135 /*v391*/, v192 /*v448*/
	s_set_vgpr_msb 4                        ;  msbs: dst=0 src0=0 src1=1 src2=0
	v_mul_i32_i24_e32 v36, v46, v127 /*v383*/
	v_mul_i32_i24_e32 v38, v48, v128 /*v384*/
	s_set_vgpr_msb 0                        ;  msbs: dst=0 src0=0 src1=0 src2=0
	v_add3_u32 v9, v9, v20, v21
	v_add3_u32 v2, v2, v29, v30
	s_set_vgpr_msb 5                        ;  msbs: dst=0 src0=1 src1=1 src2=0
	v_mul_i32_i24_e32 v28, v163 /*v419*/, v202 /*v458*/
	v_mul_i32_i24_e32 v29, v162 /*v418*/, v203 /*v459*/
	s_set_vgpr_msb 1                        ;  msbs: dst=0 src0=1 src1=0 src2=0
	v_mul_i32_i24_e32 v40, v130 /*v386*/, v52
	s_set_vgpr_msb 0                        ;  msbs: dst=0 src0=0 src1=0 src2=0
	v_add3_u32 v9, v9, v22, v24
	v_add3_u32 v2, v2, v32, v34
	s_set_vgpr_msb 1                        ;  msbs: dst=0 src0=1 src1=0 src2=0
	v_mul_i32_i24_e32 v42, v129 /*v385*/, v53
	s_set_vgpr_msb 5                        ;  msbs: dst=0 src0=1 src1=1 src2=0
	v_mul_i32_i24_e32 v30, v161 /*v417*/, v204 /*v460*/
	v_mul_i32_i24_e32 v32, v136 /*v392*/, v193 /*v449*/
	s_set_vgpr_msb 0                        ;  msbs: dst=0 src0=0 src1=0 src2=0
	v_add3_u32 v9, v9, v25, v26
	v_add3_u32 v2, v2, v36, v38
	s_set_vgpr_msb 1                        ;  msbs: dst=0 src0=1 src1=0 src2=0
	v_pk_fma_f32 v[116:117], v[182:183] /*v[438:439]*/, v[122:123], v[116:117]
	s_set_vgpr_msb 16                       ;  msbs: dst=0 src0=0 src1=0 src2=1
	v_pk_fma_f32 v[122:123], v[110:111], v[0:1], v[176:177] /*v[432:433]*/ op_sel_hi:[0,1,1]
	s_set_vgpr_msb 1                        ;  msbs: dst=0 src0=1 src1=0 src2=0
	v_mul_i32_i24_e32 v44, v132 /*v388*/, v55
	s_set_vgpr_msb 0                        ;  msbs: dst=0 src0=0 src1=0 src2=0
	v_add3_u32 v9, v9, v28, v29
	s_set_vgpr_msb 1                        ;  msbs: dst=0 src0=1 src1=0 src2=0
	v_mul_i32_i24_e32 v46, v131 /*v387*/, v141
	s_set_vgpr_msb 0                        ;  msbs: dst=0 src0=0 src1=0 src2=0
	v_add3_u32 v2, v2, v40, v42
	s_set_vgpr_msb 5                        ;  msbs: dst=0 src0=1 src1=1 src2=0
	v_mul_i32_i24_e32 v34, v166 /*v422*/, v205 /*v461*/
	v_mul_i32_i24_e32 v36, v165 /*v421*/, v206 /*v462*/
	s_set_vgpr_msb 0                        ;  msbs: dst=0 src0=0 src1=0 src2=0
	v_add3_u32 v9, v9, v30, v32
	v_pk_mul_f32 v[122:123], v[122:123], v[96:97]
	s_set_vgpr_msb 1                        ;  msbs: dst=0 src0=1 src1=0 src2=0
	v_mul_i32_i24_e32 v48, v141 /*v397*/, v142
	v_mul_i32_i24_e32 v52, v133 /*v389*/, v143
	s_set_vgpr_msb 0                        ;  msbs: dst=0 src0=0 src1=0 src2=0
	v_add3_u32 v2, v2, v44, v46
	s_set_vgpr_msb 5                        ;  msbs: dst=0 src0=1 src1=1 src2=0
	v_mul_i32_i24_e32 v38, v164 /*v420*/, v207 /*v463*/
	v_mul_i32_i24_e32 v40, v137 /*v393*/, v194 /*v450*/
	s_set_vgpr_msb 0                        ;  msbs: dst=0 src0=0 src1=0 src2=0
	v_add3_u32 v9, v9, v34, v36
	v_pk_fma_f32 v[116:117], v[116:117], v[88:89], v[122:123] neg_lo:[0,0,1] neg_hi:[0,0,1]
	s_set_vgpr_msb 1                        ;  msbs: dst=0 src0=1 src1=0 src2=0
	v_mul_i32_i24_e32 v53, v144 /*v400*/, v144
	v_mul_i32_i24_e32 v55, v142 /*v398*/, v145
	s_set_vgpr_msb 0                        ;  msbs: dst=0 src0=0 src1=0 src2=0
	v_add3_u32 v2, v2, v48, v52
	s_set_vgpr_msb 5                        ;  msbs: dst=0 src0=1 src1=1 src2=0
	v_mul_i32_i24_e32 v42, v169 /*v425*/, v208 /*v464*/
	v_mul_i32_i24_e32 v44, v168 /*v424*/, v209 /*v465*/
	s_set_vgpr_msb 0                        ;  msbs: dst=0 src0=0 src1=0 src2=0
	v_add3_u32 v9, v9, v38, v40
	v_pk_add_f32 v[72:73], v[72:73], v[116:117]
	s_set_vgpr_msb 1                        ;  msbs: dst=0 src0=1 src1=0 src2=0
	v_mul_i32_i24_e32 v116, v149 /*v405*/, v146
	v_mul_i32_i24_e32 v117, v147 /*v403*/, v147
	s_set_vgpr_msb 0                        ;  msbs: dst=0 src0=0 src1=0 src2=0
	v_add3_u32 v2, v2, v53, v55
	s_set_vgpr_msb 5                        ;  msbs: dst=0 src0=1 src1=1 src2=0
	v_mul_i32_i24_e32 v46, v167 /*v423*/, v210 /*v466*/
	v_mul_i32_i24_e32 v48, v138 /*v394*/, v195 /*v451*/
	s_set_vgpr_msb 0                        ;  msbs: dst=0 src0=0 src1=0 src2=0
	v_add3_u32 v9, v9, v42, v44
	s_set_vgpr_msb 1                        ;  msbs: dst=0 src0=1 src1=0 src2=0
	v_mul_i32_i24_e32 v122, v150 /*v406*/, v149
	s_set_vgpr_msb 0                        ;  msbs: dst=0 src0=0 src1=0 src2=0
	v_add3_u32 v2, v2, v116, v117
	s_set_vgpr_msb 5                        ;  msbs: dst=0 src0=1 src1=1 src2=0
	v_mul_i32_i24_e32 v52, v172 /*v428*/, v211 /*v467*/
	v_mul_i32_i24_e32 v53, v171 /*v427*/, v212 /*v468*/
	s_set_vgpr_msb 0                        ;  msbs: dst=0 src0=0 src1=0 src2=0
	v_add3_u32 v9, v9, v46, v48
	s_set_vgpr_msb 5                        ;  msbs: dst=0 src0=1 src1=1 src2=0
	v_mul_i32_i24_e32 v55, v170 /*v426*/, v213 /*v469*/
	s_set_vgpr_msb 0                        ;  msbs: dst=0 src0=0 src1=0 src2=0
	v_add3_u32 v2, v2, v120, v122
	s_set_vgpr_msb 5                        ;  msbs: dst=0 src0=1 src1=1 src2=0
	v_mul_i32_i24_e32 v116, v139 /*v395*/, v196 /*v452*/
	s_set_vgpr_msb 4                        ;  msbs: dst=0 src0=0 src1=1 src2=0
	v_mul_lo_u32 v18, v3, v108 /*v364*/
	s_set_vgpr_msb 0                        ;  msbs: dst=0 src0=0 src1=0 src2=0
	v_add3_u32 v9, v9, v52, v53
	s_set_vgpr_msb 5                        ;  msbs: dst=0 src0=1 src1=1 src2=0
	v_mul_i32_i24_e32 v117, v214 /*v470*/, v145 /*v401*/
	s_set_vgpr_msb 4                        ;  msbs: dst=0 src0=0 src1=1 src2=0
	v_mul_lo_u32 v2, v2, v108 /*v364*/
	s_set_vgpr_msb 5                        ;  msbs: dst=0 src0=1 src1=1 src2=0
	v_mul_i32_i24_e32 v120, v215 /*v471*/, v146 /*v402*/
	v_mul_i32_i24_e32 v122, v216 /*v472*/, v140 /*v396*/
	s_set_vgpr_msb 0                        ;  msbs: dst=0 src0=0 src1=0 src2=0
	v_add3_u32 v9, v9, v55, v116
	s_set_vgpr_msb 5                        ;  msbs: dst=0 src0=1 src1=1 src2=0
	v_mul_i32_i24_e32 v123, v197 /*v453*/, v148 /*v404*/
	s_set_vgpr_msb 0                        ;  msbs: dst=0 src0=0 src1=0 src2=0
	s_delay_alu instid0(VALU_DEP_2)
	v_add3_u32 v9, v9, v117, v120
	s_set_vgpr_msb 4                        ;  msbs: dst=0 src0=0 src1=1 src2=0
	v_pk_fma_f32 v[116:117], v[114:115], v[186:187] /*v[442:443]*/, 0 op_sel_hi:[0,1,0]
	v_cvt_f32_i32_e32 v3, v2
	v_cvt_f32_i32_e32 v2, v18
	s_set_vgpr_msb 0                        ;  msbs: dst=0 src0=0 src1=0 src2=0
	v_add3_u32 v9, v9, v122, v123
	v_add3_u32 v18, v121, v118, v119
	v_pk_fma_f32 v[0:1], v[112:113], v[0:1], v[116:117] op_sel_hi:[0,1,1]
	s_set_vgpr_msb 1                        ;  msbs: dst=0 src0=1 src1=0 src2=0
	v_pk_fma_f32 v[2:3], v[184:185] /*v[440:441]*/, v[2:3], 0 op_sel_hi:[1,1,0]
	s_set_vgpr_msb 4                        ;  msbs: dst=0 src0=0 src1=1 src2=0
	v_mul_lo_u32 v9, v9, v107 /*v363*/
	v_mul_lo_u32 v18, v18, v107 /*v363*/
	s_set_vgpr_msb 0                        ;  msbs: dst=0 src0=0 src1=0 src2=0
	v_pk_mul_f32 v[0:1], v[0:1], v[98:99]
	s_delay_alu instid0(VALU_DEP_3) | instskip(NEXT) | instid1(VALU_DEP_3)
	v_cvt_f32_i32_e32 v119, v9
	v_cvt_f32_i32_e32 v118, v18
	s_set_vgpr_msb 1                        ;  msbs: dst=0 src0=1 src1=0 src2=0
	s_delay_alu instid0(VALU_DEP_1) | instskip(SKIP_1) | instid1(VALU_DEP_1)
	v_pk_fma_f32 v[2:3], v[182:183] /*v[438:439]*/, v[118:119], v[2:3]
	s_set_vgpr_msb 0                        ;  msbs: dst=0 src0=0 src1=0 src2=0
	v_pk_fma_f32 v[0:1], v[2:3], v[90:91], v[0:1] neg_lo:[0,0,1] neg_hi:[0,0,1]
	s_delay_alu instid0(VALU_DEP_1) | instskip(SKIP_1) | instid1(VALU_DEP_1)
	v_pk_add_f32 v[80:81], v[80:81], v[0:1]
	v_or_b32_e32 v0, s8, v135
	v_dual_lshlrev_b32 v9, 2, v0 :: v_dual_lshrrev_b32 v18, 1, v0
	ds_load_b128 v[0:3], v9 offset:16896
	ds_load_b128 v[116:119], v9 offset:16912
	;; [unrolled: 1-line block ×3, first 2 shown]
	s_set_vgpr_msb 64                       ;  msbs: dst=1 src0=0 src1=0 src2=0
	ds_load_b128 v[174:177] /*v[430:433]*/, v9 offset:16944
	s_wait_dscnt 0x3
	s_set_vgpr_msb 0                        ;  msbs: dst=0 src0=0 src1=0 src2=0
	v_bfe_i32 v9, v0, 0, 8
	v_bfe_i32 v19, v0, 8, 8
	;; [unrolled: 1-line block ×3, first 2 shown]
	v_ashrrev_i32_e32 v0, 24, v0
	s_wait_dscnt 0x0
	s_set_vgpr_msb 0x41                     ;  msbs: dst=1 src0=1 src1=0 src2=0
	v_bfe_i32 v191 /*v447*/, v175 /*v431*/, 0, 8
	v_bfe_i32 v192 /*v448*/, v175 /*v431*/, 8, 8
	;; [unrolled: 1-line block ×3, first 2 shown]
	s_set_vgpr_msb 0x44                     ;  msbs: dst=1 src0=0 src1=1 src2=0
	v_dual_ashrrev_i32 v175 /*v431*/, 24, v175 /*v431*/ :: v_dual_ashrrev_i32 v197 /*v453*/, 24, v176 /*v432*/
	s_set_vgpr_msb 0x41                     ;  msbs: dst=1 src0=1 src1=0 src2=0
	v_bfe_i32 v194 /*v450*/, v176 /*v432*/, 0, 8
	v_bfe_i32 v195 /*v451*/, v176 /*v432*/, 8, 8
	v_bfe_i32 v196 /*v452*/, v176 /*v432*/, 16, 8
	s_set_vgpr_msb 64                       ;  msbs: dst=1 src0=0 src1=0 src2=0
	v_mul_i32_i24_e32 v176 /*v432*/, v9, v202
	s_set_vgpr_msb 0                        ;  msbs: dst=0 src0=0 src1=0 src2=0
	v_bfe_i32 v21, v1, 0, 8
	v_bfe_i32 v22, v1, 8, 8
	;; [unrolled: 1-line block ×5, first 2 shown]
	v_ashrrev_i32_e32 v2, 24, v2
	s_set_vgpr_msb 0x41                     ;  msbs: dst=1 src0=1 src1=0 src2=0
	v_bfe_i32 v198 /*v454*/, v177 /*v433*/, 0, 8
	v_bfe_i32 v199 /*v455*/, v177 /*v433*/, 8, 8
	;; [unrolled: 1-line block ×3, first 2 shown]
	s_set_vgpr_msb 0x44                     ;  msbs: dst=1 src0=0 src1=1 src2=0
	v_ashrrev_i32_e32 v201 /*v457*/, 24, v177 /*v433*/
	s_set_vgpr_msb 0x50                     ;  msbs: dst=1 src0=0 src1=0 src2=1
	v_mul_i32_i24_e32 v177 /*v433*/, v20, v206
	v_mul_i32_i24_e32 v178 /*v434*/, v0, v209
	v_mad_i32_i24 v176 /*v432*/, v19, v200, v176 /*v432*/
	s_set_vgpr_msb 0                        ;  msbs: dst=0 src0=0 src1=0 src2=0
	v_bfe_i32 v24, v1, 16, 8
	v_ashrrev_i32_e32 v1, 24, v1
	s_set_vgpr_msb 64                       ;  msbs: dst=1 src0=0 src1=0 src2=0
	v_mul_i32_i24_e32 v181 /*v437*/, v25, v225
	v_mul_i32_i24_e32 v182 /*v438*/, v26, v227
	s_set_vgpr_msb 0x55                     ;  msbs: dst=1 src0=1 src1=1 src2=1
	v_add3_u32 v176 /*v432*/, v176 /*v432*/, v177 /*v433*/, v178 /*v434*/
	s_set_vgpr_msb 64                       ;  msbs: dst=1 src0=0 src1=0 src2=0
	v_mul_i32_i24_e32 v177 /*v433*/, v21, v211
	v_mul_i32_i24_e32 v178 /*v434*/, v22, v214
	;; [unrolled: 1-line block ×4, first 2 shown]
	s_set_vgpr_msb 0                        ;  msbs: dst=0 src0=0 src1=0 src2=0
	v_bfe_i32 v29, v3, 0, 8
	v_bfe_i32 v30, v3, 8, 8
	s_set_vgpr_msb 0x55                     ;  msbs: dst=1 src0=1 src1=1 src2=1
	v_add3_u32 v176 /*v432*/, v176 /*v432*/, v177 /*v433*/, v178 /*v434*/
	s_set_vgpr_msb 64                       ;  msbs: dst=1 src0=0 src1=0 src2=0
	v_mul_i32_i24_e32 v183 /*v439*/, v28, v228
	v_mul_i32_i24_e32 v184 /*v440*/, v2, v230
	s_set_vgpr_msb 0                        ;  msbs: dst=0 src0=0 src1=0 src2=0
	v_bfe_i32 v32, v3, 16, 8
	v_dual_ashrrev_i32 v3, 24, v3 :: v_dual_ashrrev_i32 v40, 24, v116
	s_set_vgpr_msb 0x55                     ;  msbs: dst=1 src0=1 src1=1 src2=1
	v_add3_u32 v176 /*v432*/, v176 /*v432*/, v179 /*v435*/, v180 /*v436*/
	s_set_vgpr_msb 64                       ;  msbs: dst=1 src0=0 src1=0 src2=0
	v_mul_i32_i24_e32 v185 /*v441*/, v29, v235
	v_mul_i32_i24_e32 v186 /*v442*/, v30, v237
	s_set_vgpr_msb 0                        ;  msbs: dst=0 src0=0 src1=0 src2=0
	v_bfe_i32 v34, v116, 0, 8
	v_bfe_i32 v36, v116, 8, 8
	s_set_vgpr_msb 0x55                     ;  msbs: dst=1 src0=1 src1=1 src2=1
	v_add3_u32 v176 /*v432*/, v176 /*v432*/, v181 /*v437*/, v182 /*v438*/
	s_set_vgpr_msb 64                       ;  msbs: dst=1 src0=0 src1=0 src2=0
	v_mul_i32_i24_e32 v187 /*v443*/, v32, v239
	v_mul_i32_i24_e32 v189 /*v445*/, v3, v241
	s_set_vgpr_msb 0                        ;  msbs: dst=0 src0=0 src1=0 src2=0
	v_bfe_i32 v38, v116, 16, 8
	s_set_vgpr_msb 64                       ;  msbs: dst=1 src0=0 src1=0 src2=0
	v_mul_i32_i24_e32 v202 /*v458*/, v34, v247
	s_set_vgpr_msb 0x55                     ;  msbs: dst=1 src0=1 src1=1 src2=1
	v_add3_u32 v176 /*v432*/, v176 /*v432*/, v183 /*v439*/, v184 /*v440*/
	s_set_vgpr_msb 64                       ;  msbs: dst=1 src0=0 src1=0 src2=0
	v_mul_i32_i24_e32 v203 /*v459*/, v36, v251
	s_set_vgpr_msb 0                        ;  msbs: dst=0 src0=0 src1=0 src2=0
	v_bfe_i32 v42, v117, 0, 8
	v_bfe_i32 v44, v117, 8, 8
	s_set_vgpr_msb 64                       ;  msbs: dst=1 src0=0 src1=0 src2=0
	v_mul_i32_i24_e32 v204 /*v460*/, v38, v253
	s_set_vgpr_msb 0x55                     ;  msbs: dst=1 src0=1 src1=1 src2=1
	v_add3_u32 v176 /*v432*/, v176 /*v432*/, v185 /*v441*/, v186 /*v442*/
	s_set_vgpr_msb 0x44                     ;  msbs: dst=1 src0=0 src1=1 src2=0
	v_mul_i32_i24_e32 v205 /*v461*/, v40, v0 /*v256*/
	s_set_vgpr_msb 0                        ;  msbs: dst=0 src0=0 src1=0 src2=0
	v_bfe_i32 v46, v117, 16, 8
	v_dual_ashrrev_i32 v48, 24, v117 :: v_dual_ashrrev_i32 v141, 24, v118
	s_set_vgpr_msb 0x55                     ;  msbs: dst=1 src0=1 src1=1 src2=1
	v_add3_u32 v176 /*v432*/, v176 /*v432*/, v187 /*v443*/, v189 /*v445*/
	s_set_vgpr_msb 0x41                     ;  msbs: dst=1 src0=1 src1=0 src2=0
	v_mul_i32_i24_e32 v206 /*v462*/, v9 /*v265*/, v42
	v_mul_i32_i24_e32 v207 /*v463*/, v4 /*v260*/, v44
	s_set_vgpr_msb 0                        ;  msbs: dst=0 src0=0 src1=0 src2=0
	v_bfe_i32 v52, v118, 0, 8
	v_bfe_i32 v53, v118, 8, 8
	s_set_vgpr_msb 0x55                     ;  msbs: dst=1 src0=1 src1=1 src2=1
	v_add3_u32 v176 /*v432*/, v176 /*v432*/, v202 /*v458*/, v203 /*v459*/
	s_set_vgpr_msb 0                        ;  msbs: dst=0 src0=0 src1=0 src2=0
	ds_load_b64 v[116:117], v18 offset:27200
	s_set_vgpr_msb 0x41                     ;  msbs: dst=1 src0=1 src1=0 src2=0
	v_mul_i32_i24_e32 v208 /*v464*/, v13 /*v269*/, v46
	v_mul_i32_i24_e32 v209 /*v465*/, v10 /*v266*/, v48
	s_set_vgpr_msb 0                        ;  msbs: dst=0 src0=0 src1=0 src2=0
	v_bfe_i32 v55, v118, 16, 8
	s_set_vgpr_msb 0x55                     ;  msbs: dst=1 src0=1 src1=1 src2=1
	v_add3_u32 v176 /*v432*/, v176 /*v432*/, v204 /*v460*/, v205 /*v461*/
	s_set_vgpr_msb 0x41                     ;  msbs: dst=1 src0=1 src1=0 src2=0
	v_mul_i32_i24_e32 v210 /*v466*/, v18 /*v274*/, v52
	v_mul_i32_i24_e32 v211 /*v467*/, v15 /*v271*/, v53
	s_set_vgpr_msb 0                        ;  msbs: dst=0 src0=0 src1=0 src2=0
	v_bfe_i32 v142, v119, 0, 8
	v_bfe_i32 v143, v119, 8, 8
	s_set_vgpr_msb 0x55                     ;  msbs: dst=1 src0=1 src1=1 src2=1
	v_add3_u32 v176 /*v432*/, v176 /*v432*/, v206 /*v462*/, v207 /*v463*/
	s_set_vgpr_msb 0x41                     ;  msbs: dst=1 src0=1 src1=0 src2=0
	v_mul_i32_i24_e32 v212 /*v468*/, v22 /*v278*/, v55
	v_mul_i32_i24_e32 v213 /*v469*/, v19 /*v275*/, v141
	s_set_vgpr_msb 0                        ;  msbs: dst=0 src0=0 src1=0 src2=0
	v_bfe_i32 v144, v119, 16, 8
	v_ashrrev_i32_e32 v119, 24, v119
	s_set_vgpr_msb 0x55                     ;  msbs: dst=1 src0=1 src1=1 src2=1
	v_add3_u32 v176 /*v432*/, v176 /*v432*/, v208 /*v464*/, v209 /*v465*/
	s_set_vgpr_msb 0x41                     ;  msbs: dst=1 src0=1 src1=0 src2=0
	v_mul_i32_i24_e32 v214 /*v470*/, v31 /*v287*/, v142
	v_mul_i32_i24_e32 v215 /*v471*/, v26 /*v282*/, v143
	s_set_vgpr_msb 0                        ;  msbs: dst=0 src0=0 src1=0 src2=0
	v_bfe_i32 v18, v120, 0, 8
	s_set_vgpr_msb 0x41                     ;  msbs: dst=1 src0=1 src1=0 src2=0
	v_mul_i32_i24_e32 v216 /*v472*/, v35 /*v291*/, v144
	s_set_vgpr_msb 0x55                     ;  msbs: dst=1 src0=1 src1=1 src2=1
	v_add3_u32 v176 /*v432*/, v176 /*v432*/, v210 /*v466*/, v211 /*v467*/
	s_wait_dscnt 0x0
	s_set_vgpr_msb 0                        ;  msbs: dst=0 src0=0 src1=0 src2=0
	v_lshrrev_b32_e32 v118, 16, v116
	s_set_vgpr_msb 0x41                     ;  msbs: dst=1 src0=1 src1=0 src2=0
	v_mul_i32_i24_e32 v217 /*v473*/, v32 /*v288*/, v119
	s_set_vgpr_msb 0                        ;  msbs: dst=0 src0=0 src1=0 src2=0
	v_bfe_i32 v145, v120, 8, 8
	v_bfe_i32 v146, v120, 16, 8
	s_set_vgpr_msb 0x55                     ;  msbs: dst=1 src0=1 src1=1 src2=1
	v_add3_u32 v176 /*v432*/, v176 /*v432*/, v212 /*v468*/, v213 /*v469*/
	s_set_vgpr_msb 0                        ;  msbs: dst=0 src0=0 src1=0 src2=0
	v_ashrrev_i32_e32 v120, 24, v120
	v_bfe_i32 v147, v121, 0, 8
	v_bfe_i32 v148, v121, 8, 8
	;; [unrolled: 1-line block ×3, first 2 shown]
	s_set_vgpr_msb 0x55                     ;  msbs: dst=1 src0=1 src1=1 src2=1
	v_add3_u32 v176 /*v432*/, v176 /*v432*/, v214 /*v470*/, v215 /*v471*/
	s_set_vgpr_msb 0                        ;  msbs: dst=0 src0=0 src1=0 src2=0
	v_ashrrev_i32_e32 v121, 24, v121
	s_set_vgpr_msb 0x44                     ;  msbs: dst=1 src0=0 src1=1 src2=0
	v_mul_i32_i24_e32 v177 /*v433*/, v146, v21 /*v277*/
	v_mul_i32_i24_e32 v178 /*v434*/, v120, v29 /*v285*/
	s_set_vgpr_msb 0                        ;  msbs: dst=0 src0=0 src1=0 src2=0
	v_bfe_i32 v150, v122, 0, 8
	s_set_vgpr_msb 0x55                     ;  msbs: dst=1 src0=1 src1=1 src2=1
	v_add3_u32 v189 /*v445*/, v176 /*v432*/, v216 /*v472*/, v217 /*v473*/
	s_set_vgpr_msb 0x44                     ;  msbs: dst=1 src0=0 src1=1 src2=0
	v_mul_i32_i24_e32 v176 /*v432*/, v18, v24 /*v280*/
	s_set_vgpr_msb 0                        ;  msbs: dst=0 src0=0 src1=0 src2=0
	v_bfe_i32 v151, v122, 8, 8
	s_set_vgpr_msb 0x44                     ;  msbs: dst=1 src0=0 src1=1 src2=0
	v_mul_i32_i24_e32 v179 /*v435*/, v149, v27 /*v283*/
	v_mul_i32_i24_e32 v180 /*v436*/, v121, v38 /*v294*/
	s_set_vgpr_msb 0                        ;  msbs: dst=0 src0=0 src1=0 src2=0
	v_bfe_i32 v152, v122, 16, 8
	s_set_vgpr_msb 0x54                     ;  msbs: dst=1 src0=0 src1=1 src2=1
	v_mad_i32_i24 v176 /*v432*/, v145, v23 /*v279*/, v176 /*v432*/
	s_set_vgpr_msb 0                        ;  msbs: dst=0 src0=0 src1=0 src2=0
	v_ashrrev_i32_e32 v122, 24, v122
	s_set_vgpr_msb 0x44                     ;  msbs: dst=1 src0=0 src1=1 src2=0
	v_mul_i32_i24_e32 v181 /*v437*/, v150, v40 /*v296*/
	v_mul_i32_i24_e32 v182 /*v438*/, v151, v42 /*v298*/
	s_set_vgpr_msb 0                        ;  msbs: dst=0 src0=0 src1=0 src2=0
	v_bfe_i32 v153, v123, 0, 8
	s_set_vgpr_msb 0x55                     ;  msbs: dst=1 src0=1 src1=1 src2=1
	v_add3_u32 v176 /*v432*/, v176 /*v432*/, v177 /*v433*/, v178 /*v434*/
	s_set_vgpr_msb 0x44                     ;  msbs: dst=1 src0=0 src1=1 src2=0
	v_mul_i32_i24_e32 v177 /*v433*/, v147, v34 /*v290*/
	v_mul_i32_i24_e32 v178 /*v434*/, v148, v36 /*v292*/
	s_set_vgpr_msb 0                        ;  msbs: dst=0 src0=0 src1=0 src2=0
	v_bfe_i32 v154, v123, 8, 8
	v_bfe_i32 v155, v123, 16, 8
	v_ashrrev_i32_e32 v123, 24, v123
	s_set_vgpr_msb 0x44                     ;  msbs: dst=1 src0=0 src1=1 src2=0
	v_mul_i32_i24_e32 v183 /*v439*/, v152, v37 /*v293*/
	s_set_vgpr_msb 0x55                     ;  msbs: dst=1 src0=1 src1=1 src2=1
	v_add3_u32 v176 /*v432*/, v176 /*v432*/, v177 /*v433*/, v178 /*v434*/
	s_set_vgpr_msb 0x44                     ;  msbs: dst=1 src0=0 src1=1 src2=0
	v_mul_i32_i24_e32 v184 /*v440*/, v122, v45 /*v301*/
	v_mul_i32_i24_e32 v187 /*v443*/, v153, v47 /*v303*/
	v_mul_i32_i24_e32 v202 /*v458*/, v154, v49 /*v305*/
	s_set_vgpr_msb 1                        ;  msbs: dst=0 src0=1 src1=0 src2=0
	v_bfe_i32 v156, v174 /*v430*/, 0, 8
	s_set_vgpr_msb 0x55                     ;  msbs: dst=1 src0=1 src1=1 src2=1
	v_add3_u32 v176 /*v432*/, v176 /*v432*/, v179 /*v435*/, v180 /*v436*/
	v_bfe_i32 v173 /*v429*/, v174 /*v430*/, 8, 8
	s_set_vgpr_msb 0x44                     ;  msbs: dst=1 src0=0 src1=1 src2=0
	v_mul_i32_i24_e32 v203 /*v459*/, v155, v43 /*v299*/
	v_mul_i32_i24_e32 v204 /*v460*/, v123, v51 /*v307*/
	s_set_vgpr_msb 0x55                     ;  msbs: dst=1 src0=1 src1=1 src2=1
	v_bfe_i32 v190 /*v446*/, v174 /*v430*/, 16, 8
	v_add3_u32 v176 /*v432*/, v176 /*v432*/, v181 /*v437*/, v182 /*v438*/
	v_ashrrev_i32_e32 v174 /*v430*/, 24, v174 /*v430*/
	s_set_vgpr_msb 0x44                     ;  msbs: dst=1 src0=0 src1=1 src2=0
	v_mul_i32_i24_e32 v205 /*v461*/, v156, v54 /*v310*/
	s_set_vgpr_msb 0x55                     ;  msbs: dst=1 src0=1 src1=1 src2=1
	v_mul_i32_i24_e32 v206 /*v462*/, v173 /*v429*/, v56 /*v312*/
	v_mul_i32_i24_e32 v207 /*v463*/, v190 /*v446*/, v50 /*v306*/
	v_add3_u32 v176 /*v432*/, v176 /*v432*/, v183 /*v439*/, v184 /*v440*/
	v_mul_i32_i24_e32 v208 /*v464*/, v174 /*v430*/, v57 /*v313*/
	v_mul_i32_i24_e32 v209 /*v465*/, v58 /*v314*/, v191 /*v447*/
	v_mul_i32_i24_e32 v210 /*v466*/, v59 /*v315*/, v192 /*v448*/
	v_mul_i32_i24_e32 v211 /*v467*/, v64 /*v320*/, v193 /*v449*/
	v_add3_u32 v176 /*v432*/, v176 /*v432*/, v187 /*v443*/, v202 /*v458*/
	v_mul_i32_i24_e32 v212 /*v468*/, v61 /*v317*/, v175 /*v431*/
	v_mul_i32_i24_e32 v213 /*v469*/, v66 /*v322*/, v194 /*v450*/
	;; [unrolled: 5-line block ×3, first 2 shown]
	s_set_vgpr_msb 0x41                     ;  msbs: dst=1 src0=1 src1=0 src2=0
	v_mul_i32_i24_e32 v218 /*v474*/, v199 /*v455*/, v170
	s_set_vgpr_msb 64                       ;  msbs: dst=1 src0=0 src1=0 src2=0
	v_mul_i32_i24_e32 v177 /*v433*/, v20, v175
	s_set_vgpr_msb 0x55                     ;  msbs: dst=1 src0=1 src1=1 src2=1
	v_add3_u32 v176 /*v432*/, v176 /*v432*/, v205 /*v461*/, v206 /*v462*/
	s_set_vgpr_msb 64                       ;  msbs: dst=1 src0=0 src1=0 src2=0
	v_mul_i32_i24_e32 v178 /*v434*/, v0, v176
	v_mul_i32_i24_e32 v179 /*v435*/, v24, v179
	v_mul_i32_i24_e32 v180 /*v436*/, v1, v180
	v_mul_i32_i24_e32 v181 /*v437*/, v25, v181
	s_set_vgpr_msb 0x55                     ;  msbs: dst=1 src0=1 src1=1 src2=1
	v_add3_u32 v176 /*v432*/, v176 /*v432*/, v207 /*v463*/, v208 /*v464*/
	s_set_vgpr_msb 64                       ;  msbs: dst=1 src0=0 src1=0 src2=0
	v_mul_i32_i24_e32 v182 /*v438*/, v26, v182
	v_mul_i32_i24_e32 v183 /*v439*/, v28, v183
	v_mul_i32_i24_e32 v184 /*v440*/, v2, v184
	;; [unrolled: 7-line block ×7, first 2 shown]
	v_mul_i32_i24_e32 v221 /*v477*/, v213, v119
	s_set_vgpr_msb 0x45                     ;  msbs: dst=1 src0=1 src1=1 src2=0
	v_mul_i32_i24_e32 v222 /*v478*/, v199 /*v455*/, v7 /*v263*/
	s_set_vgpr_msb 0x50                     ;  msbs: dst=1 src0=0 src1=0 src2=1
	v_mad_i32_i24 v176 /*v432*/, v19, v173, v176 /*v432*/
	s_set_vgpr_msb 0x41                     ;  msbs: dst=1 src0=1 src1=0 src2=0
	v_mul_i32_i24_e32 v223 /*v479*/, v72 /*v328*/, v143
	v_mul_i32_i24_e32 v224 /*v480*/, v80 /*v336*/, v144
	;; [unrolled: 1-line block ×3, first 2 shown]
	s_set_vgpr_msb 0x55                     ;  msbs: dst=1 src0=1 src1=1 src2=1
	v_mul_i32_i24_e32 v226 /*v482*/, v199 /*v455*/, v105 /*v361*/
	v_add3_u32 v176 /*v432*/, v176 /*v432*/, v177 /*v433*/, v178 /*v434*/
	s_set_vgpr_msb 64                       ;  msbs: dst=1 src0=0 src1=0 src2=0
	v_mul_i32_i24_e32 v177 /*v433*/, v21, v177
	v_mul_i32_i24_e32 v178 /*v434*/, v22, v178
	s_set_vgpr_msb 1                        ;  msbs: dst=0 src0=1 src1=0 src2=0
	v_mul_i32_i24_e32 v119, v150 /*v406*/, v119
	s_set_vgpr_msb 0x41                     ;  msbs: dst=1 src0=1 src1=0 src2=0
	v_mul_i32_i24_e32 v185 /*v441*/, v200 /*v456*/, v169
	v_lshrrev_b32_e32 v188 /*v444*/, 16, v117
	s_set_vgpr_msb 0                        ;  msbs: dst=0 src0=0 src1=0 src2=0
	v_cvt_f32_f16_e32 v118, v118
	s_set_vgpr_msb 0x55                     ;  msbs: dst=1 src0=1 src1=1 src2=1
	v_add3_u32 v176 /*v432*/, v176 /*v432*/, v177 /*v433*/, v178 /*v434*/
	s_set_vgpr_msb 64                       ;  msbs: dst=1 src0=0 src1=0 src2=0
	v_mul_i32_i24_e32 v177 /*v433*/, v146, v201
	v_mul_i32_i24_e32 v178 /*v434*/, v120, v210
	s_set_vgpr_msb 0x55                     ;  msbs: dst=1 src0=1 src1=1 src2=1
	v_add3_u32 v176 /*v432*/, v176 /*v432*/, v179 /*v435*/, v180 /*v436*/
	s_set_vgpr_msb 64                       ;  msbs: dst=1 src0=0 src1=0 src2=0
	v_mul_i32_i24_e32 v179 /*v435*/, v149, v208
	v_mul_i32_i24_e32 v180 /*v436*/, v121, v221
	s_set_vgpr_msb 0x55                     ;  msbs: dst=1 src0=1 src1=1 src2=1
	v_add3_u32 v176 /*v432*/, v176 /*v432*/, v181 /*v437*/, v182 /*v438*/
	s_set_vgpr_msb 0x41                     ;  msbs: dst=1 src0=1 src1=0 src2=0
	v_mul_i32_i24_e32 v181 /*v437*/, v200 /*v456*/, v254
	s_set_vgpr_msb 0x55                     ;  msbs: dst=1 src0=1 src1=1 src2=1
	s_delay_alu instid0(VALU_DEP_2) | instskip(SKIP_3) | instid1(VALU_DEP_2)
	v_add3_u32 v176 /*v432*/, v176 /*v432*/, v183 /*v439*/, v184 /*v440*/
	s_set_vgpr_msb 64                       ;  msbs: dst=1 src0=0 src1=0 src2=0
	v_mul_i32_i24_e32 v183 /*v439*/, v150, v222
	s_set_vgpr_msb 0x55                     ;  msbs: dst=1 src0=1 src1=1 src2=1
	v_add3_u32 v176 /*v432*/, v176 /*v432*/, v202 /*v458*/, v203 /*v459*/
	s_set_vgpr_msb 64                       ;  msbs: dst=1 src0=0 src1=0 src2=0
	v_mul_i32_i24_e32 v202 /*v458*/, v151, v223
	v_mul_i32_i24_e32 v203 /*v459*/, v152, v219
	s_set_vgpr_msb 0x55                     ;  msbs: dst=1 src0=1 src1=1 src2=1
	v_add3_u32 v176 /*v432*/, v176 /*v432*/, v204 /*v460*/, v205 /*v461*/
	s_set_vgpr_msb 64                       ;  msbs: dst=1 src0=0 src1=0 src2=0
	v_mul_i32_i24_e32 v204 /*v460*/, v122, v226
	;; [unrolled: 5-line block ×4, first 2 shown]
	v_mul_i32_i24_e32 v209 /*v465*/, v156, v236
	s_set_vgpr_msb 0x55                     ;  msbs: dst=1 src0=1 src1=1 src2=1
	v_add3_u32 v176 /*v432*/, v176 /*v432*/, v210 /*v466*/, v211 /*v467*/
	s_set_vgpr_msb 0x41                     ;  msbs: dst=1 src0=1 src1=0 src2=0
	v_mul_i32_i24_e32 v210 /*v466*/, v173 /*v429*/, v238
	v_mul_i32_i24_e32 v211 /*v467*/, v190 /*v446*/, v232
	s_set_vgpr_msb 0x55                     ;  msbs: dst=1 src0=1 src1=1 src2=1
	v_add3_u32 v176 /*v432*/, v176 /*v432*/, v212 /*v468*/, v213 /*v469*/
	s_set_vgpr_msb 0x41                     ;  msbs: dst=1 src0=1 src1=0 src2=0
	v_mul_i32_i24_e32 v212 /*v468*/, v174 /*v430*/, v240
	s_set_vgpr_msb 0x44                     ;  msbs: dst=1 src0=0 src1=1 src2=0
	v_mul_i32_i24_e32 v213 /*v469*/, v242, v191 /*v447*/
	s_set_vgpr_msb 0x55                     ;  msbs: dst=1 src0=1 src1=1 src2=1
	v_add3_u32 v176 /*v432*/, v176 /*v432*/, v214 /*v470*/, v215 /*v471*/
	s_set_vgpr_msb 0x44                     ;  msbs: dst=1 src0=0 src1=1 src2=0
	v_mul_i32_i24_e32 v214 /*v470*/, v243, v192 /*v448*/
	v_mul_i32_i24_e32 v215 /*v471*/, v245, v193 /*v449*/
	s_set_vgpr_msb 0x55                     ;  msbs: dst=1 src0=1 src1=1 src2=1
	v_add3_u32 v176 /*v432*/, v176 /*v432*/, v216 /*v472*/, v217 /*v473*/
	s_set_vgpr_msb 0x44                     ;  msbs: dst=1 src0=0 src1=1 src2=0
	v_mul_i32_i24_e32 v216 /*v472*/, v244, v175 /*v431*/
	;; [unrolled: 5-line block ×3, first 2 shown]
	s_set_vgpr_msb 0x55                     ;  msbs: dst=1 src0=1 src1=1 src2=1
	v_mul_i32_i24_e32 v219 /*v475*/, v1 /*v257*/, v196 /*v452*/
	v_add3_u32 v184 /*v440*/, v176 /*v432*/, v220 /*v476*/, v221 /*v477*/
	s_set_vgpr_msb 64                       ;  msbs: dst=1 src0=0 src1=0 src2=0
	v_mul_i32_i24_e32 v176 /*v432*/, v18, v205
	s_set_vgpr_msb 0x44                     ;  msbs: dst=1 src0=0 src1=1 src2=0
	v_mul_i32_i24_e32 v220 /*v476*/, v252, v197 /*v453*/
	s_set_vgpr_msb 0x45                     ;  msbs: dst=1 src0=1 src1=1 src2=0
	v_mul_i32_i24_e32 v221 /*v477*/, v198 /*v454*/, v5 /*v261*/
	s_set_vgpr_msb 0x50                     ;  msbs: dst=1 src0=0 src1=0 src2=1
	v_mad_i32_i24 v176 /*v432*/, v145, v204, v176 /*v432*/
	s_set_vgpr_msb 0x55                     ;  msbs: dst=1 src0=1 src1=1 src2=1
	s_delay_alu instid0(VALU_DEP_1) | instskip(SKIP_4) | instid1(VALU_DEP_1)
	v_add3_u32 v176 /*v432*/, v176 /*v432*/, v177 /*v433*/, v178 /*v434*/
	s_set_vgpr_msb 64                       ;  msbs: dst=1 src0=0 src1=0 src2=0
	v_mul_i32_i24_e32 v177 /*v433*/, v147, v215
	v_mul_i32_i24_e32 v178 /*v434*/, v148, v218
	s_set_vgpr_msb 0x55                     ;  msbs: dst=1 src0=1 src1=1 src2=1
	v_add3_u32 v176 /*v432*/, v176 /*v432*/, v177 /*v433*/, v178 /*v434*/
	s_set_vgpr_msb 64                       ;  msbs: dst=1 src0=0 src1=0 src2=0
	v_mul_i32_i24_e32 v177 /*v433*/, v20, v255
	s_set_vgpr_msb 0x44                     ;  msbs: dst=1 src0=0 src1=1 src2=0
	v_mul_i32_i24_e32 v178 /*v434*/, v0, v2 /*v258*/
	s_set_vgpr_msb 4                        ;  msbs: dst=0 src0=0 src1=1 src2=0
	v_mul_i32_i24_e32 v20, v20, v111 /*v367*/
	v_mul_i32_i24_e32 v0, v0, v112 /*v368*/
	s_set_vgpr_msb 0x55                     ;  msbs: dst=1 src0=1 src1=1 src2=1
	v_add3_u32 v176 /*v432*/, v176 /*v432*/, v179 /*v435*/, v180 /*v436*/
	s_set_vgpr_msb 0x44                     ;  msbs: dst=1 src0=0 src1=1 src2=0
	v_mul_i32_i24_e32 v179 /*v435*/, v24, v8 /*v264*/
	v_mul_i32_i24_e32 v180 /*v436*/, v1, v12 /*v268*/
	s_set_vgpr_msb 4                        ;  msbs: dst=0 src0=0 src1=1 src2=0
	v_mul_i32_i24_e32 v1, v1, v116 /*v372*/
	s_set_vgpr_msb 0x55                     ;  msbs: dst=1 src0=1 src1=1 src2=1
	v_add3_u32 v176 /*v432*/, v176 /*v432*/, v183 /*v439*/, v202 /*v458*/
	s_set_vgpr_msb 0x44                     ;  msbs: dst=1 src0=0 src1=1 src2=0
	v_mul_i32_i24_e32 v202 /*v458*/, v25, v14 /*v270*/
	s_set_vgpr_msb 0x55                     ;  msbs: dst=1 src0=1 src1=1 src2=1
	s_delay_alu instid0(VALU_DEP_2)
	v_add3_u32 v176 /*v432*/, v176 /*v432*/, v203 /*v459*/, v204 /*v460*/
	s_set_vgpr_msb 0x44                     ;  msbs: dst=1 src0=0 src1=1 src2=0
	v_mul_i32_i24_e32 v203 /*v459*/, v26, v16 /*v272*/
	v_mul_i32_i24_e32 v204 /*v460*/, v28, v17 /*v273*/
	s_set_vgpr_msb 0x55                     ;  msbs: dst=1 src0=1 src1=1 src2=1
	v_add3_u32 v176 /*v432*/, v176 /*v432*/, v205 /*v461*/, v206 /*v462*/
	s_set_vgpr_msb 0x44                     ;  msbs: dst=1 src0=0 src1=1 src2=0
	v_mul_i32_i24_e32 v205 /*v461*/, v2, v20 /*v276*/
	v_mul_i32_i24_e32 v206 /*v462*/, v29, v25 /*v281*/
	s_set_vgpr_msb 4                        ;  msbs: dst=0 src0=0 src1=1 src2=0
	v_mul_i32_i24_e32 v2, v2, v120 /*v376*/
	s_set_vgpr_msb 0x55                     ;  msbs: dst=1 src0=1 src1=1 src2=1
	v_add3_u32 v176 /*v432*/, v176 /*v432*/, v207 /*v463*/, v208 /*v464*/
	s_set_vgpr_msb 0x44                     ;  msbs: dst=1 src0=0 src1=1 src2=0
	v_mul_i32_i24_e32 v207 /*v463*/, v30, v28 /*v284*/
	v_mul_i32_i24_e32 v208 /*v464*/, v32, v30 /*v286*/
	s_set_vgpr_msb 0x55                     ;  msbs: dst=1 src0=1 src1=1 src2=1
	v_add3_u32 v176 /*v432*/, v176 /*v432*/, v209 /*v465*/, v210 /*v466*/
	s_set_vgpr_msb 0x44                     ;  msbs: dst=1 src0=0 src1=1 src2=0
	v_mul_i32_i24_e32 v209 /*v465*/, v3, v33 /*v289*/
	v_mul_i32_i24_e32 v210 /*v466*/, v34, v39 /*v295*/
	s_set_vgpr_msb 4                        ;  msbs: dst=0 src0=0 src1=1 src2=0
	v_mul_i32_i24_e32 v3, v3, v124 /*v380*/
	s_set_vgpr_msb 0x55                     ;  msbs: dst=1 src0=1 src1=1 src2=1
	v_add3_u32 v176 /*v432*/, v176 /*v432*/, v211 /*v467*/, v212 /*v468*/
	s_set_vgpr_msb 0x44                     ;  msbs: dst=1 src0=0 src1=1 src2=0
	v_mul_i32_i24_e32 v211 /*v467*/, v36, v41 /*v297*/
	v_mul_i32_i24_e32 v212 /*v468*/, v38, v44 /*v300*/
	s_set_vgpr_msb 0x55                     ;  msbs: dst=1 src0=1 src1=1 src2=1
	v_add3_u32 v176 /*v432*/, v176 /*v432*/, v213 /*v469*/, v214 /*v470*/
	s_set_vgpr_msb 0x44                     ;  msbs: dst=1 src0=0 src1=1 src2=0
	v_mul_i32_i24_e32 v213 /*v469*/, v40, v46 /*v302*/
	s_set_vgpr_msb 0x41                     ;  msbs: dst=1 src0=1 src1=0 src2=0
	v_mul_i32_i24_e32 v214 /*v470*/, v52 /*v308*/, v42
	s_set_vgpr_msb 0x55                     ;  msbs: dst=1 src0=1 src1=1 src2=1
	v_add3_u32 v176 /*v432*/, v176 /*v432*/, v215 /*v471*/, v216 /*v472*/
	s_set_vgpr_msb 0x41                     ;  msbs: dst=1 src0=1 src1=0 src2=0
	v_mul_i32_i24_e32 v215 /*v471*/, v48 /*v304*/, v44
	v_mul_i32_i24_e32 v216 /*v472*/, v55 /*v311*/, v46
	s_set_vgpr_msb 0x55                     ;  msbs: dst=1 src0=1 src1=1 src2=1
	v_add3_u32 v176 /*v432*/, v176 /*v432*/, v217 /*v473*/, v218 /*v474*/
	s_set_vgpr_msb 0x41                     ;  msbs: dst=1 src0=1 src1=0 src2=0
	v_mul_i32_i24_e32 v217 /*v473*/, v53 /*v309*/, v48
	;; [unrolled: 5-line block ×3, first 2 shown]
	v_mul_i32_i24_e32 v220 /*v476*/, v68 /*v324*/, v55
	s_set_vgpr_msb 0x55                     ;  msbs: dst=1 src0=1 src1=1 src2=1
	v_add3_u32 v183 /*v439*/, v176 /*v432*/, v221 /*v477*/, v222 /*v478*/
	s_set_vgpr_msb 64                       ;  msbs: dst=1 src0=0 src1=0 src2=0
	v_mul_i32_i24_e32 v176 /*v432*/, v9, v250
	s_set_vgpr_msb 0x41                     ;  msbs: dst=1 src0=1 src1=0 src2=0
	v_mul_i32_i24_e32 v221 /*v477*/, v63 /*v319*/, v141
	v_mul_i32_i24_e32 v222 /*v478*/, v76 /*v332*/, v142
	s_set_vgpr_msb 4                        ;  msbs: dst=0 src0=0 src1=1 src2=0
	v_mul_i32_i24_e32 v9, v9, v110 /*v366*/
	s_set_vgpr_msb 0x50                     ;  msbs: dst=1 src0=0 src1=0 src2=1
	v_mad_i32_i24 v176 /*v432*/, v19, v246, v176 /*v432*/
	s_set_vgpr_msb 4                        ;  msbs: dst=0 src0=0 src1=1 src2=0
	s_delay_alu instid0(VALU_DEP_2)
	v_mad_i32_i24 v9, v19, v109 /*v365*/, v9
	v_mul_i32_i24_e32 v19, v22, v114 /*v370*/
	s_set_vgpr_msb 0x55                     ;  msbs: dst=1 src0=1 src1=1 src2=1
	v_add3_u32 v176 /*v432*/, v176 /*v432*/, v177 /*v433*/, v178 /*v434*/
	s_set_vgpr_msb 0x44                     ;  msbs: dst=1 src0=0 src1=1 src2=0
	v_mul_i32_i24_e32 v177 /*v433*/, v21, v3 /*v259*/
	v_mul_i32_i24_e32 v178 /*v434*/, v22, v6 /*v262*/
	s_set_vgpr_msb 0                        ;  msbs: dst=0 src0=0 src1=0 src2=0
	v_add3_u32 v0, v9, v20, v0
	s_set_vgpr_msb 4                        ;  msbs: dst=0 src0=0 src1=1 src2=0
	v_mul_i32_i24_e32 v9, v21, v113 /*v369*/
	v_mul_i32_i24_e32 v20, v24, v115 /*v371*/
	;; [unrolled: 1-line block ×3, first 2 shown]
	s_set_vgpr_msb 0x55                     ;  msbs: dst=1 src0=1 src1=1 src2=1
	v_add3_u32 v176 /*v432*/, v176 /*v432*/, v177 /*v433*/, v178 /*v434*/
	s_set_vgpr_msb 0x44                     ;  msbs: dst=1 src0=0 src1=1 src2=0
	v_mul_i32_i24_e32 v177 /*v433*/, v146, v65 /*v321*/
	v_mul_i32_i24_e32 v178 /*v434*/, v120, v75 /*v331*/
	s_set_vgpr_msb 0                        ;  msbs: dst=0 src0=0 src1=0 src2=0
	v_add3_u32 v0, v0, v9, v19
	s_set_vgpr_msb 4                        ;  msbs: dst=0 src0=0 src1=1 src2=0
	v_mul_i32_i24_e32 v22, v26, v118 /*v374*/
	s_set_vgpr_msb 0x55                     ;  msbs: dst=1 src0=1 src1=1 src2=1
	v_add3_u32 v176 /*v432*/, v176 /*v432*/, v179 /*v435*/, v180 /*v436*/
	s_set_vgpr_msb 0x44                     ;  msbs: dst=1 src0=0 src1=1 src2=0
	v_mul_i32_i24_e32 v179 /*v435*/, v147, v79 /*v335*/
	s_set_vgpr_msb 4                        ;  msbs: dst=0 src0=0 src1=1 src2=0
	v_mul_i32_i24_e32 v24, v28, v119 /*v375*/
	s_set_vgpr_msb 0                        ;  msbs: dst=0 src0=0 src1=0 src2=0
	v_add3_u32 v0, v0, v20, v1
	s_set_vgpr_msb 4                        ;  msbs: dst=0 src0=0 src1=1 src2=0
	v_mul_i32_i24_e32 v25, v29, v121 /*v377*/
	s_set_vgpr_msb 0x55                     ;  msbs: dst=1 src0=1 src1=1 src2=1
	v_add3_u32 v176 /*v432*/, v176 /*v432*/, v202 /*v458*/, v203 /*v459*/
	s_set_vgpr_msb 0x44                     ;  msbs: dst=1 src0=0 src1=1 src2=0
	v_mul_i32_i24_e32 v202 /*v458*/, v148, v81 /*v337*/
	v_mul_i32_i24_e32 v203 /*v459*/, v149, v73 /*v329*/
	s_set_vgpr_msb 0                        ;  msbs: dst=0 src0=0 src1=0 src2=0
	v_add3_u32 v0, v0, v21, v22
	s_set_vgpr_msb 4                        ;  msbs: dst=0 src0=0 src1=1 src2=0
	v_mul_i32_i24_e32 v26, v30, v122 /*v378*/
	s_set_vgpr_msb 0x55                     ;  msbs: dst=1 src0=1 src1=1 src2=1
	v_add3_u32 v176 /*v432*/, v176 /*v432*/, v204 /*v460*/, v205 /*v461*/
	s_set_vgpr_msb 0x44                     ;  msbs: dst=1 src0=0 src1=1 src2=0
	v_mul_i32_i24_e32 v204 /*v460*/, v121, v83 /*v339*/
	v_mul_i32_i24_e32 v205 /*v461*/, v150, v84 /*v340*/
	;; [unrolled: 9-line block ×4, first 2 shown]
	s_set_vgpr_msb 4                        ;  msbs: dst=0 src0=0 src1=1 src2=0
	v_mul_i32_i24_e32 v30, v36, v126 /*v382*/
	s_set_vgpr_msb 0                        ;  msbs: dst=0 src0=0 src1=0 src2=0
	v_add3_u32 v0, v0, v28, v3
	s_set_vgpr_msb 0x55                     ;  msbs: dst=1 src0=1 src1=1 src2=1
	v_add3_u32 v176 /*v432*/, v176 /*v432*/, v210 /*v466*/, v211 /*v467*/
	s_set_vgpr_msb 0x44                     ;  msbs: dst=1 src0=0 src1=1 src2=0
	v_mul_i32_i24_e32 v210 /*v466*/, v154, v89 /*v345*/
	v_mul_i32_i24_e32 v211 /*v467*/, v155, v86 /*v342*/
	s_set_vgpr_msb 4                        ;  msbs: dst=0 src0=0 src1=1 src2=0
	v_mul_i32_i24_e32 v32, v38, v127 /*v383*/
	v_mul_i32_i24_e32 v34, v40, v128 /*v384*/
	s_set_vgpr_msb 0x55                     ;  msbs: dst=1 src0=1 src1=1 src2=1
	v_add3_u32 v176 /*v432*/, v176 /*v432*/, v212 /*v468*/, v213 /*v469*/
	s_set_vgpr_msb 0x44                     ;  msbs: dst=1 src0=0 src1=1 src2=0
	v_mul_i32_i24_e32 v212 /*v468*/, v123, v91 /*v347*/
	v_mul_i32_i24_e32 v213 /*v469*/, v156, v92 /*v348*/
	s_set_vgpr_msb 0                        ;  msbs: dst=0 src0=0 src1=0 src2=0
	v_add3_u32 v0, v0, v29, v30
	s_set_vgpr_msb 1                        ;  msbs: dst=0 src0=1 src1=0 src2=0
	v_mul_i32_i24_e32 v36, v130 /*v386*/, v42
	s_set_vgpr_msb 0x55                     ;  msbs: dst=1 src0=1 src1=1 src2=1
	v_add3_u32 v176 /*v432*/, v176 /*v432*/, v214 /*v470*/, v215 /*v471*/
	v_mul_i32_i24_e32 v214 /*v470*/, v173 /*v429*/, v93 /*v349*/
	v_mul_i32_i24_e32 v215 /*v471*/, v190 /*v446*/, v90 /*v346*/
	s_set_vgpr_msb 1                        ;  msbs: dst=0 src0=1 src1=0 src2=0
	v_mul_i32_i24_e32 v38, v129 /*v385*/, v44
	s_set_vgpr_msb 0                        ;  msbs: dst=0 src0=0 src1=0 src2=0
	v_add3_u32 v0, v0, v32, v34
	s_set_vgpr_msb 0x55                     ;  msbs: dst=1 src0=1 src1=1 src2=1
	v_add3_u32 v176 /*v432*/, v176 /*v432*/, v216 /*v472*/, v217 /*v473*/
	v_mul_i32_i24_e32 v216 /*v472*/, v174 /*v430*/, v94 /*v350*/
	v_mul_i32_i24_e32 v217 /*v473*/, v95 /*v351*/, v191 /*v447*/
	s_set_vgpr_msb 1                        ;  msbs: dst=0 src0=1 src1=0 src2=0
	v_mul_i32_i24_e32 v40, v132 /*v388*/, v46
	v_mul_i32_i24_e32 v42, v131 /*v387*/, v48
	s_set_vgpr_msb 0x55                     ;  msbs: dst=1 src0=1 src1=1 src2=1
	v_add3_u32 v176 /*v432*/, v176 /*v432*/, v218 /*v474*/, v219 /*v475*/
	v_mul_i32_i24_e32 v218 /*v474*/, v96 /*v352*/, v192 /*v448*/
	s_set_vgpr_msb 0                        ;  msbs: dst=0 src0=0 src1=0 src2=0
	v_add3_u32 v0, v0, v36, v38
	s_set_vgpr_msb 0x45                     ;  msbs: dst=1 src0=1 src1=1 src2=0
	v_mul_i32_i24_e32 v219 /*v475*/, v98 /*v354*/, v193 /*v449*/
	s_set_vgpr_msb 1                        ;  msbs: dst=0 src0=1 src1=0 src2=0
	v_mul_i32_i24_e32 v44, v141 /*v397*/, v52
	s_set_vgpr_msb 0x55                     ;  msbs: dst=1 src0=1 src1=1 src2=1
	v_add3_u32 v176 /*v432*/, v176 /*v432*/, v220 /*v476*/, v221 /*v477*/
	v_mul_i32_i24_e32 v220 /*v476*/, v97 /*v353*/, v175 /*v431*/
	s_set_vgpr_msb 1                        ;  msbs: dst=0 src0=1 src1=0 src2=0
	v_mul_i32_i24_e32 v46, v133 /*v389*/, v53
	s_set_vgpr_msb 0                        ;  msbs: dst=0 src0=0 src1=0 src2=0
	v_add3_u32 v0, v0, v40, v42
	s_set_vgpr_msb 0x55                     ;  msbs: dst=1 src0=1 src1=1 src2=1
	v_mul_i32_i24_e32 v221 /*v477*/, v99 /*v355*/, v194 /*v450*/
	v_add3_u32 v176 /*v432*/, v176 /*v432*/, v222 /*v478*/, v223 /*v479*/
	v_mul_i32_i24_e32 v222 /*v478*/, v100 /*v356*/, v195 /*v451*/
	s_set_vgpr_msb 1                        ;  msbs: dst=0 src0=1 src1=0 src2=0
	v_mul_i32_i24_e32 v48, v144 /*v400*/, v55
	v_mul_i32_i24_e32 v52, v142 /*v398*/, v141
	s_set_vgpr_msb 0                        ;  msbs: dst=0 src0=0 src1=0 src2=0
	v_add3_u32 v0, v0, v44, v46
	s_set_vgpr_msb 0x55                     ;  msbs: dst=1 src0=1 src1=1 src2=1
	v_add3_u32 v180 /*v436*/, v176 /*v432*/, v224 /*v480*/, v225 /*v481*/
	s_set_vgpr_msb 0x44                     ;  msbs: dst=1 src0=0 src1=1 src2=0
	v_mul_i32_i24_e32 v176 /*v432*/, v18, v71 /*v327*/
	s_set_vgpr_msb 0x45                     ;  msbs: dst=1 src0=1 src1=1 src2=0
	v_mul_i32_i24_e32 v223 /*v479*/, v103 /*v359*/, v196 /*v452*/
	v_mul_i32_i24_e32 v224 /*v480*/, v101 /*v357*/, v197 /*v453*/
	s_set_vgpr_msb 1                        ;  msbs: dst=0 src0=1 src1=0 src2=0
	v_mul_i32_i24_e32 v53, v149 /*v405*/, v142
	v_mul_i32_i24_e32 v55, v147 /*v403*/, v143
	s_set_vgpr_msb 0x54                     ;  msbs: dst=1 src0=0 src1=1 src2=1
	v_mad_i32_i24 v176 /*v432*/, v145, v69 /*v325*/, v176 /*v432*/
	s_set_vgpr_msb 0                        ;  msbs: dst=0 src0=0 src1=0 src2=0
	v_add3_u32 v0, v0, v48, v52
	s_set_vgpr_msb 0x45                     ;  msbs: dst=1 src0=1 src1=1 src2=0
	v_mul_i32_i24_e32 v225 /*v481*/, v198 /*v454*/, v104 /*v360*/
	s_set_vgpr_msb 1                        ;  msbs: dst=0 src0=1 src1=0 src2=0
	v_mul_i32_i24_e32 v141, v151 /*v407*/, v144
	v_mul_i32_i24_e32 v1, v153 /*v409*/, v146
	s_set_vgpr_msb 0x55                     ;  msbs: dst=1 src0=1 src1=1 src2=1
	v_add3_u32 v176 /*v432*/, v176 /*v432*/, v177 /*v433*/, v178 /*v434*/
	s_set_vgpr_msb 0                        ;  msbs: dst=0 src0=0 src1=0 src2=0
	v_add3_u32 v0, v0, v53, v55
	s_set_vgpr_msb 1                        ;  msbs: dst=0 src0=1 src1=0 src2=0
	v_mul_i32_i24_e32 v2, v143 /*v399*/, v120
	v_mul_i32_i24_e32 v3, v155 /*v411*/, v149
	;; [unrolled: 1-line block ×3, first 2 shown]
	s_set_vgpr_msb 0x55                     ;  msbs: dst=1 src0=1 src1=1 src2=1
	v_add3_u32 v176 /*v432*/, v176 /*v432*/, v179 /*v435*/, v202 /*v458*/
	s_set_vgpr_msb 1                        ;  msbs: dst=0 src0=1 src1=0 src2=0
	v_mul_i32_i24_e32 v19, v159 /*v415*/, v151
	v_mul_i32_i24_e32 v20, v158 /*v414*/, v152
	;; [unrolled: 1-line block ×4, first 2 shown]
	s_set_vgpr_msb 0x55                     ;  msbs: dst=1 src0=1 src1=1 src2=1
	v_add3_u32 v176 /*v432*/, v176 /*v432*/, v203 /*v459*/, v204 /*v460*/
	s_set_vgpr_msb 1                        ;  msbs: dst=0 src0=1 src1=0 src2=0
	v_mul_i32_i24_e32 v24, v162 /*v418*/, v154
	v_mul_i32_i24_e32 v25, v161 /*v417*/, v155
	;; [unrolled: 1-line block ×4, first 2 shown]
	s_set_vgpr_msb 0x55                     ;  msbs: dst=1 src0=1 src1=1 src2=1
	v_add3_u32 v176 /*v432*/, v176 /*v432*/, v205 /*v461*/, v206 /*v462*/
	s_set_vgpr_msb 5                        ;  msbs: dst=0 src0=1 src1=1 src2=0
	v_mul_i32_i24_e32 v29, v165 /*v421*/, v173 /*v429*/
	v_mul_i32_i24_e32 v30, v164 /*v420*/, v190 /*v446*/
	v_mul_i32_i24_e32 v32, v137 /*v393*/, v174 /*v430*/
	v_mul_i32_i24_e32 v34, v169 /*v425*/, v191 /*v447*/
	s_set_vgpr_msb 0x55                     ;  msbs: dst=1 src0=1 src1=1 src2=1
	v_add3_u32 v176 /*v432*/, v176 /*v432*/, v207 /*v463*/, v208 /*v464*/
	s_set_vgpr_msb 5                        ;  msbs: dst=0 src0=1 src1=1 src2=0
	v_mul_i32_i24_e32 v36, v168 /*v424*/, v192 /*v448*/
	v_mul_i32_i24_e32 v38, v167 /*v423*/, v193 /*v449*/
	v_mul_i32_i24_e32 v40, v138 /*v394*/, v175 /*v431*/
	v_mul_i32_i24_e32 v42, v172 /*v428*/, v194 /*v450*/
	;; [unrolled: 7-line block ×3, first 2 shown]
	s_set_vgpr_msb 0x55                     ;  msbs: dst=1 src0=1 src1=1 src2=1
	v_add3_u32 v176 /*v432*/, v176 /*v432*/, v211 /*v467*/, v212 /*v468*/
	s_set_vgpr_msb 5                        ;  msbs: dst=0 src0=1 src1=1 src2=0
	v_mul_i32_i24_e32 v53, v199 /*v455*/, v146 /*v402*/
	s_set_vgpr_msb 0x55                     ;  msbs: dst=1 src0=1 src1=1 src2=1
	v_mul_i32_i24_e32 v177 /*v433*/, v200 /*v456*/, v102 /*v358*/
	v_mul_i32_i24_e32 v173 /*v429*/, v200 /*v456*/, v140 /*v396*/
	v_add3_u32 v176 /*v432*/, v176 /*v432*/, v213 /*v469*/, v214 /*v470*/
	s_delay_alu instid0(VALU_DEP_1) | instskip(NEXT) | instid1(VALU_DEP_1)
	v_add3_u32 v176 /*v432*/, v176 /*v432*/, v215 /*v471*/, v216 /*v472*/
	v_add3_u32 v176 /*v432*/, v176 /*v432*/, v217 /*v473*/, v218 /*v474*/
	s_delay_alu instid0(VALU_DEP_1) | instskip(NEXT) | instid1(VALU_DEP_1)
	v_add3_u32 v176 /*v432*/, v176 /*v432*/, v219 /*v475*/, v220 /*v476*/
	;; [unrolled: 3-line block ×3, first 2 shown]
	v_add3_u32 v179 /*v435*/, v176 /*v432*/, v225 /*v481*/, v226 /*v482*/
	s_set_vgpr_msb 64                       ;  msbs: dst=1 src0=0 src1=0 src2=0
	v_add3_u32 v176 /*v432*/, v0, v141, v119
	s_set_vgpr_msb 1                        ;  msbs: dst=0 src0=1 src1=0 src2=0
	v_mul_i32_i24_e32 v0, v154 /*v410*/, v18
	v_mul_i32_i24_e32 v18, v160 /*v416*/, v150
	s_delay_alu instid0(VALU_DEP_2) | instskip(SKIP_1) | instid1(VALU_DEP_1)
	v_mad_i32_i24 v0, v152 /*v408*/, v145, v0
	s_set_vgpr_msb 0                        ;  msbs: dst=0 src0=0 src1=0 src2=0
	v_add3_u32 v0, v0, v1, v2
	s_set_vgpr_msb 1                        ;  msbs: dst=0 src0=1 src1=0 src2=0
	v_mul_i32_i24_e32 v1, v157 /*v413*/, v147
	v_mul_i32_i24_e32 v2, v156 /*v412*/, v148
	s_set_vgpr_msb 0                        ;  msbs: dst=0 src0=0 src1=0 src2=0
	s_delay_alu instid0(VALU_DEP_1) | instskip(NEXT) | instid1(VALU_DEP_1)
	v_add3_u32 v0, v0, v1, v2
	v_add3_u32 v0, v0, v3, v9
	s_delay_alu instid0(VALU_DEP_1) | instskip(NEXT) | instid1(VALU_DEP_1)
	v_add3_u32 v0, v0, v18, v19
	v_add3_u32 v0, v0, v20, v21
	;; [unrolled: 3-line block ×6, first 2 shown]
	s_set_vgpr_msb 64                       ;  msbs: dst=1 src0=0 src1=0 src2=0
	s_delay_alu instid0(VALU_DEP_1) | instskip(SKIP_2) | instid1(VALU_DEP_1)
	v_add3_u32 v175 /*v431*/, v0, v52, v53
	s_set_vgpr_msb 0                        ;  msbs: dst=0 src0=0 src1=0 src2=0
	v_or_b32_e32 v0, s8, v136
	v_dual_lshlrev_b32 v1, 2, v0 :: v_dual_lshrrev_b32 v9, 1, v0
	ds_load_b128 v[120:123], v1 offset:16896
	s_set_vgpr_msb 64                       ;  msbs: dst=1 src0=0 src1=0 src2=0
	ds_load_b128 v[222:225] /*v[478:481]*/, v1 offset:16912
	ds_load_b128 v[232:235] /*v[488:491]*/, v1 offset:16928
	s_set_vgpr_msb 0                        ;  msbs: dst=0 src0=0 src1=0 src2=0
	ds_load_b128 v[0:3], v1 offset:16944
	s_wait_dscnt 0x3
	s_set_vgpr_msb 64                       ;  msbs: dst=1 src0=0 src1=0 src2=0
	v_bfe_i32 v219 /*v475*/, v120, 0, 8
	v_bfe_i32 v190 /*v446*/, v120, 8, 8
	;; [unrolled: 1-line block ×3, first 2 shown]
	v_ashrrev_i32_e32 v221 /*v477*/, 24, v120
	s_wait_dscnt 0x0
	v_dual_ashrrev_i32 v238 /*v494*/, 24, v0 :: v_dual_ashrrev_i32 v242 /*v498*/, 24, v1
	v_bfe_i32 v239 /*v495*/, v1, 0, 8
	v_bfe_i32 v240 /*v496*/, v1, 8, 8
	;; [unrolled: 1-line block ×3, first 2 shown]
	s_set_vgpr_msb 1                        ;  msbs: dst=0 src0=1 src1=0 src2=0
	v_mul_i32_i24_e32 v1, v219 /*v475*/, v202
	s_set_vgpr_msb 64                       ;  msbs: dst=1 src0=0 src1=0 src2=0
	v_bfe_i32 v191 /*v447*/, v121, 0, 8
	v_bfe_i32 v192 /*v448*/, v121, 8, 8
	;; [unrolled: 1-line block ×5, first 2 shown]
	v_dual_ashrrev_i32 v246 /*v502*/, 24, v2 :: v_dual_ashrrev_i32 v253 /*v509*/, 24, v3
	v_bfe_i32 v247 /*v503*/, v3, 0, 8
	v_bfe_i32 v251 /*v507*/, v3, 8, 8
	;; [unrolled: 1-line block ×3, first 2 shown]
	s_set_vgpr_msb 1                        ;  msbs: dst=0 src0=1 src1=0 src2=0
	v_mul_i32_i24_e32 v2, v220 /*v476*/, v206
	v_mul_i32_i24_e32 v3, v221 /*v477*/, v209
	v_mad_i32_i24 v1, v190 /*v446*/, v200, v1
	s_set_vgpr_msb 64                       ;  msbs: dst=1 src0=0 src1=0 src2=0
	v_bfe_i32 v193 /*v449*/, v121, 16, 8
	v_ashrrev_i32_e32 v194 /*v450*/, 24, v121
	v_bfe_i32 v195 /*v451*/, v122, 0, 8
	v_bfe_i32 v196 /*v452*/, v122, 8, 8
	s_set_vgpr_msb 0                        ;  msbs: dst=0 src0=0 src1=0 src2=0
	v_add3_u32 v1, v1, v2, v3
	s_set_vgpr_msb 1                        ;  msbs: dst=0 src0=1 src1=0 src2=0
	v_mul_i32_i24_e32 v2, v191 /*v447*/, v211
	v_mul_i32_i24_e32 v3, v192 /*v448*/, v214
	;; [unrolled: 1-line block ×4, first 2 shown]
	s_set_vgpr_msb 64                       ;  msbs: dst=1 src0=0 src1=0 src2=0
	v_bfe_i32 v197 /*v453*/, v122, 16, 8
	v_dual_ashrrev_i32 v198 /*v454*/, 24, v122 :: v_dual_ashrrev_i32 v202 /*v458*/, 24, v123
	s_set_vgpr_msb 0                        ;  msbs: dst=0 src0=0 src1=0 src2=0
	v_add3_u32 v1, v1, v2, v3
	s_set_vgpr_msb 1                        ;  msbs: dst=0 src0=1 src1=0 src2=0
	v_mul_i32_i24_e32 v20, v195 /*v451*/, v225
	v_mul_i32_i24_e32 v21, v196 /*v452*/, v227
	s_set_vgpr_msb 64                       ;  msbs: dst=1 src0=0 src1=0 src2=0
	v_bfe_i32 v199 /*v455*/, v123, 0, 8
	v_bfe_i32 v200 /*v456*/, v123, 8, 8
	s_set_vgpr_msb 0                        ;  msbs: dst=0 src0=0 src1=0 src2=0
	v_add3_u32 v1, v1, v18, v19
	s_set_vgpr_msb 1                        ;  msbs: dst=0 src0=1 src1=0 src2=0
	v_mul_i32_i24_e32 v22, v197 /*v453*/, v228
	v_mul_i32_i24_e32 v24, v198 /*v454*/, v230
	s_set_vgpr_msb 0x44                     ;  msbs: dst=1 src0=0 src1=1 src2=0
	v_ashrrev_i32_e32 v206 /*v462*/, 24, v222 /*v478*/
	s_set_vgpr_msb 0x41                     ;  msbs: dst=1 src0=1 src1=0 src2=0
	v_mul_i32_i24_e32 v186 /*v442*/, v201 /*v457*/, v171
	s_set_vgpr_msb 0                        ;  msbs: dst=0 src0=0 src1=0 src2=0
	v_add3_u32 v1, v1, v20, v21
	s_set_vgpr_msb 0x45                     ;  msbs: dst=1 src0=1 src1=1 src2=0
	v_mul_i32_i24_e32 v182 /*v438*/, v201 /*v457*/, v11 /*v267*/
	v_mul_i32_i24_e32 v178 /*v434*/, v201 /*v457*/, v106 /*v362*/
	;; [unrolled: 1-line block ×3, first 2 shown]
	s_set_vgpr_msb 64                       ;  msbs: dst=1 src0=0 src1=0 src2=0
	v_bfe_i32 v201 /*v457*/, v123, 16, 8
	s_set_vgpr_msb 1                        ;  msbs: dst=0 src0=1 src1=0 src2=0
	v_mul_i32_i24_e32 v25, v199 /*v455*/, v235
	v_mul_i32_i24_e32 v26, v200 /*v456*/, v237
	s_set_vgpr_msb 0                        ;  msbs: dst=0 src0=0 src1=0 src2=0
	v_add3_u32 v1, v1, v22, v24
	s_set_vgpr_msb 0x41                     ;  msbs: dst=1 src0=1 src1=0 src2=0
	v_bfe_i32 v203 /*v459*/, v222 /*v478*/, 0, 8
	v_bfe_i32 v204 /*v460*/, v222 /*v478*/, 8, 8
	s_set_vgpr_msb 1                        ;  msbs: dst=0 src0=1 src1=0 src2=0
	v_mul_i32_i24_e32 v28, v201 /*v457*/, v239
	v_mul_i32_i24_e32 v29, v202 /*v458*/, v241
	s_set_vgpr_msb 0                        ;  msbs: dst=0 src0=0 src1=0 src2=0
	v_add3_u32 v1, v1, v25, v26
	s_set_vgpr_msb 0x41                     ;  msbs: dst=1 src0=1 src1=0 src2=0
	v_bfe_i32 v205 /*v461*/, v222 /*v478*/, 16, 8
	s_set_vgpr_msb 1                        ;  msbs: dst=0 src0=1 src1=0 src2=0
	v_mul_i32_i24_e32 v30, v203 /*v459*/, v247
	v_mul_i32_i24_e32 v32, v204 /*v460*/, v251
	s_set_vgpr_msb 0x41                     ;  msbs: dst=1 src0=1 src1=0 src2=0
	v_bfe_i32 v207 /*v463*/, v223 /*v479*/, 0, 8
	s_set_vgpr_msb 0                        ;  msbs: dst=0 src0=0 src1=0 src2=0
	v_add3_u32 v1, v1, v28, v29
	s_set_vgpr_msb 0x41                     ;  msbs: dst=1 src0=1 src1=0 src2=0
	v_bfe_i32 v208 /*v464*/, v223 /*v479*/, 8, 8
	s_set_vgpr_msb 1                        ;  msbs: dst=0 src0=1 src1=0 src2=0
	v_mul_i32_i24_e32 v34, v205 /*v461*/, v253
	s_set_vgpr_msb 5                        ;  msbs: dst=0 src0=1 src1=1 src2=0
	v_mul_i32_i24_e32 v36, v206 /*v462*/, v0 /*v256*/
	s_set_vgpr_msb 0x41                     ;  msbs: dst=1 src0=1 src1=0 src2=0
	v_bfe_i32 v209 /*v465*/, v223 /*v479*/, 16, 8
	s_set_vgpr_msb 0                        ;  msbs: dst=0 src0=0 src1=0 src2=0
	v_add3_u32 v1, v1, v30, v32
	s_set_vgpr_msb 0x44                     ;  msbs: dst=1 src0=0 src1=1 src2=0
	v_dual_ashrrev_i32 v210 /*v466*/, 24, v223 /*v479*/ :: v_dual_ashrrev_i32 v214 /*v470*/, 24, v224 /*v480*/
	s_set_vgpr_msb 5                        ;  msbs: dst=0 src0=1 src1=1 src2=0
	v_mul_i32_i24_e32 v38, v9 /*v265*/, v207 /*v463*/
	v_mul_i32_i24_e32 v40, v4 /*v260*/, v208 /*v464*/
	s_set_vgpr_msb 0                        ;  msbs: dst=0 src0=0 src1=0 src2=0
	v_add3_u32 v1, v1, v34, v36
	s_set_vgpr_msb 0x41                     ;  msbs: dst=1 src0=1 src1=0 src2=0
	v_bfe_i32 v211 /*v467*/, v224 /*v480*/, 0, 8
	v_bfe_i32 v212 /*v468*/, v224 /*v480*/, 8, 8
	s_set_vgpr_msb 5                        ;  msbs: dst=0 src0=1 src1=1 src2=0
	v_mul_i32_i24_e32 v42, v13 /*v269*/, v209 /*v465*/
	v_mul_i32_i24_e32 v44, v10 /*v266*/, v210 /*v466*/
	s_set_vgpr_msb 0                        ;  msbs: dst=0 src0=0 src1=0 src2=0
	v_add3_u32 v1, v1, v38, v40
	s_set_vgpr_msb 0x41                     ;  msbs: dst=1 src0=1 src1=0 src2=0
	v_bfe_i32 v213 /*v469*/, v224 /*v480*/, 16, 8
	s_set_vgpr_msb 5                        ;  msbs: dst=0 src0=1 src1=1 src2=0
	v_mul_i32_i24_e32 v46, v18 /*v274*/, v211 /*v467*/
	v_mul_i32_i24_e32 v48, v15 /*v271*/, v212 /*v468*/
	s_set_vgpr_msb 0x41                     ;  msbs: dst=1 src0=1 src1=0 src2=0
	v_bfe_i32 v215 /*v471*/, v225 /*v481*/, 0, 8
	s_set_vgpr_msb 0                        ;  msbs: dst=0 src0=0 src1=0 src2=0
	v_add3_u32 v1, v1, v42, v44
	s_set_vgpr_msb 0x41                     ;  msbs: dst=1 src0=1 src1=0 src2=0
	v_bfe_i32 v216 /*v472*/, v225 /*v481*/, 8, 8
	s_set_vgpr_msb 5                        ;  msbs: dst=0 src0=1 src1=1 src2=0
	v_mul_i32_i24_e32 v52, v22 /*v278*/, v213 /*v469*/
	v_mul_i32_i24_e32 v53, v19 /*v275*/, v214 /*v470*/
	s_set_vgpr_msb 0x41                     ;  msbs: dst=1 src0=1 src1=0 src2=0
	v_bfe_i32 v217 /*v473*/, v225 /*v481*/, 16, 8
	s_set_vgpr_msb 0                        ;  msbs: dst=0 src0=0 src1=0 src2=0
	v_add3_u32 v1, v1, v46, v48
	s_set_vgpr_msb 0x44                     ;  msbs: dst=1 src0=0 src1=1 src2=0
	v_dual_ashrrev_i32 v218 /*v474*/, 24, v225 /*v481*/ :: v_dual_ashrrev_i32 v250 /*v506*/, 24, v232 /*v488*/
	s_set_vgpr_msb 5                        ;  msbs: dst=0 src0=1 src1=1 src2=0
	v_mul_i32_i24_e32 v55, v31 /*v287*/, v215 /*v471*/
	v_mul_i32_i24_e32 v119, v26 /*v282*/, v216 /*v472*/
	s_set_vgpr_msb 0                        ;  msbs: dst=0 src0=0 src1=0 src2=0
	v_add3_u32 v1, v1, v52, v53
	s_set_vgpr_msb 0x41                     ;  msbs: dst=1 src0=1 src1=0 src2=0
	v_bfe_i32 v248 /*v504*/, v232 /*v488*/, 0, 8
	s_set_vgpr_msb 5                        ;  msbs: dst=0 src0=1 src1=1 src2=0
	v_mul_i32_i24_e32 v120, v35 /*v291*/, v217 /*v473*/
	v_mul_i32_i24_e32 v121, v32 /*v288*/, v218 /*v474*/
	s_set_vgpr_msb 0x41                     ;  msbs: dst=1 src0=1 src1=0 src2=0
	v_bfe_i32 v222 /*v478*/, v232 /*v488*/, 8, 8
	s_set_vgpr_msb 0                        ;  msbs: dst=0 src0=0 src1=0 src2=0
	v_add3_u32 v1, v1, v55, v119
	s_set_vgpr_msb 0x41                     ;  msbs: dst=1 src0=1 src1=0 src2=0
	v_bfe_i32 v249 /*v505*/, v232 /*v488*/, 16, 8
	v_bfe_i32 v223 /*v479*/, v233 /*v489*/, 0, 8
	;; [unrolled: 1-line block ×3, first 2 shown]
	s_set_vgpr_msb 5                        ;  msbs: dst=0 src0=1 src1=1 src2=0
	v_mul_i32_i24_e32 v3, v250 /*v506*/, v29 /*v285*/
	s_set_vgpr_msb 0                        ;  msbs: dst=0 src0=0 src1=0 src2=0
	v_add3_u32 v18, v1, v120, v121
	s_set_vgpr_msb 5                        ;  msbs: dst=0 src0=1 src1=1 src2=0
	v_mul_i32_i24_e32 v1, v248 /*v504*/, v24 /*v280*/
	v_mul_i32_i24_e32 v2, v249 /*v505*/, v21 /*v277*/
	s_set_vgpr_msb 0x41                     ;  msbs: dst=1 src0=1 src1=0 src2=0
	v_bfe_i32 v225 /*v481*/, v233 /*v489*/, 16, 8
	s_set_vgpr_msb 0x44                     ;  msbs: dst=1 src0=0 src1=1 src2=0
	v_dual_ashrrev_i32 v226 /*v482*/, 24, v233 /*v489*/ :: v_dual_ashrrev_i32 v230 /*v486*/, 24, v234 /*v490*/
	s_set_vgpr_msb 5                        ;  msbs: dst=0 src0=1 src1=1 src2=0
	v_mad_i32_i24 v1, v222 /*v478*/, v23 /*v279*/, v1
	s_set_vgpr_msb 0x41                     ;  msbs: dst=1 src0=1 src1=0 src2=0
	v_bfe_i32 v227 /*v483*/, v234 /*v490*/, 0, 8
	v_bfe_i32 v228 /*v484*/, v234 /*v490*/, 8, 8
	s_set_vgpr_msb 5                        ;  msbs: dst=0 src0=1 src1=1 src2=0
	v_mul_i32_i24_e32 v19, v225 /*v481*/, v27 /*v283*/
	v_mul_i32_i24_e32 v20, v226 /*v482*/, v38 /*v294*/
	s_set_vgpr_msb 0                        ;  msbs: dst=0 src0=0 src1=0 src2=0
	v_add3_u32 v1, v1, v2, v3
	s_set_vgpr_msb 5                        ;  msbs: dst=0 src0=1 src1=1 src2=0
	v_mul_i32_i24_e32 v2, v223 /*v479*/, v34 /*v290*/
	v_mul_i32_i24_e32 v3, v224 /*v480*/, v36 /*v292*/
	s_set_vgpr_msb 0x41                     ;  msbs: dst=1 src0=1 src1=0 src2=0
	v_bfe_i32 v229 /*v485*/, v234 /*v490*/, 16, 8
	s_set_vgpr_msb 5                        ;  msbs: dst=0 src0=1 src1=1 src2=0
	v_mul_i32_i24_e32 v21, v227 /*v483*/, v40 /*v296*/
	v_mul_i32_i24_e32 v22, v228 /*v484*/, v42 /*v298*/
	s_set_vgpr_msb 0x41                     ;  msbs: dst=1 src0=1 src1=0 src2=0
	v_bfe_i32 v231 /*v487*/, v235 /*v491*/, 0, 8
	s_set_vgpr_msb 0                        ;  msbs: dst=0 src0=0 src1=0 src2=0
	v_add3_u32 v1, v1, v2, v3
	s_set_vgpr_msb 0x41                     ;  msbs: dst=1 src0=1 src1=0 src2=0
	v_bfe_i32 v232 /*v488*/, v235 /*v491*/, 8, 8
	s_set_vgpr_msb 5                        ;  msbs: dst=0 src0=1 src1=1 src2=0
	v_mul_i32_i24_e32 v24, v229 /*v485*/, v37 /*v293*/
	v_mul_i32_i24_e32 v25, v230 /*v486*/, v45 /*v301*/
	s_set_vgpr_msb 0x41                     ;  msbs: dst=1 src0=1 src1=0 src2=0
	v_bfe_i32 v233 /*v489*/, v235 /*v491*/, 16, 8
	s_set_vgpr_msb 0                        ;  msbs: dst=0 src0=0 src1=0 src2=0
	v_add3_u32 v1, v1, v19, v20
	s_set_vgpr_msb 0x44                     ;  msbs: dst=1 src0=0 src1=1 src2=0
	v_ashrrev_i32_e32 v234 /*v490*/, 24, v235 /*v491*/
	s_set_vgpr_msb 5                        ;  msbs: dst=0 src0=1 src1=1 src2=0
	v_mul_i32_i24_e32 v26, v231 /*v487*/, v47 /*v303*/
	v_mul_i32_i24_e32 v28, v232 /*v488*/, v49 /*v305*/
	s_set_vgpr_msb 64                       ;  msbs: dst=1 src0=0 src1=0 src2=0
	v_bfe_i32 v235 /*v491*/, v0, 0, 8
	s_set_vgpr_msb 0                        ;  msbs: dst=0 src0=0 src1=0 src2=0
	v_add3_u32 v1, v1, v21, v22
	s_set_vgpr_msb 64                       ;  msbs: dst=1 src0=0 src1=0 src2=0
	v_bfe_i32 v236 /*v492*/, v0, 8, 8
	s_set_vgpr_msb 5                        ;  msbs: dst=0 src0=1 src1=1 src2=0
	v_mul_i32_i24_e32 v29, v233 /*v489*/, v43 /*v299*/
	v_mul_i32_i24_e32 v30, v234 /*v490*/, v51 /*v307*/
	s_set_vgpr_msb 64                       ;  msbs: dst=1 src0=0 src1=0 src2=0
	v_bfe_i32 v237 /*v493*/, v0, 16, 8
	s_set_vgpr_msb 0                        ;  msbs: dst=0 src0=0 src1=0 src2=0
	v_add3_u32 v1, v1, v24, v25
	s_set_vgpr_msb 5                        ;  msbs: dst=0 src0=1 src1=1 src2=0
	v_mul_i32_i24_e32 v32, v235 /*v491*/, v54 /*v310*/
	v_mul_i32_i24_e32 v34, v236 /*v492*/, v56 /*v312*/
	;; [unrolled: 1-line block ×4, first 2 shown]
	s_set_vgpr_msb 0                        ;  msbs: dst=0 src0=0 src1=0 src2=0
	v_add3_u32 v1, v1, v26, v28
	ds_load_b64 v[122:123], v9 offset:27200
	s_set_vgpr_msb 5                        ;  msbs: dst=0 src0=1 src1=1 src2=0
	v_mul_i32_i24_e32 v40, v58 /*v314*/, v239 /*v495*/
	v_mul_i32_i24_e32 v42, v59 /*v315*/, v240 /*v496*/
	;; [unrolled: 1-line block ×3, first 2 shown]
	s_set_vgpr_msb 0                        ;  msbs: dst=0 src0=0 src1=0 src2=0
	v_add3_u32 v1, v1, v29, v30
	s_set_vgpr_msb 5                        ;  msbs: dst=0 src0=1 src1=1 src2=0
	v_mul_i32_i24_e32 v46, v61 /*v317*/, v242 /*v498*/
	v_mul_i32_i24_e32 v48, v66 /*v322*/, v243 /*v499*/
	;; [unrolled: 1-line block ×4, first 2 shown]
	s_set_vgpr_msb 0                        ;  msbs: dst=0 src0=0 src1=0 src2=0
	v_add3_u32 v1, v1, v32, v34
	s_set_vgpr_msb 5                        ;  msbs: dst=0 src0=1 src1=1 src2=0
	v_mul_i32_i24_e32 v55, v70 /*v326*/, v246 /*v502*/
	v_mul_i32_i24_e32 v119, v247 /*v503*/, v78 /*v334*/
	s_set_vgpr_msb 1                        ;  msbs: dst=0 src0=1 src1=0 src2=0
	v_mul_i32_i24_e32 v120, v251 /*v507*/, v170
	s_set_vgpr_msb 0                        ;  msbs: dst=0 src0=0 src1=0 src2=0
	v_mul_lo_u32 v18, v18, v167
	v_add3_u32 v1, v1, v36, v38
	s_set_vgpr_msb 1                        ;  msbs: dst=0 src0=1 src1=0 src2=0
	v_mul_i32_i24_e32 v141, v252 /*v508*/, v169
	v_mul_i32_i24_e32 v142, v253 /*v509*/, v171
	s_set_vgpr_msb 0                        ;  msbs: dst=0 src0=0 src1=0 src2=0
	v_cvt_f32_f16_e32 v2, v117
	s_set_vgpr_msb 1                        ;  msbs: dst=0 src0=1 src1=0 src2=0
	v_mul_i32_i24_e32 v20, v193 /*v449*/, v179
	s_set_vgpr_msb 0                        ;  msbs: dst=0 src0=0 src1=0 src2=0
	v_add3_u32 v1, v1, v40, v42
	s_wait_dscnt 0x0
	v_lshrrev_b32_e32 v9, 16, v122
	s_set_vgpr_msb 1                        ;  msbs: dst=0 src0=1 src1=0 src2=0
	v_mul_i32_i24_e32 v21, v194 /*v450*/, v180
	v_mul_i32_i24_e32 v22, v195 /*v451*/, v181
	;; [unrolled: 1-line block ×3, first 2 shown]
	s_set_vgpr_msb 0                        ;  msbs: dst=0 src0=0 src1=0 src2=0
	v_add3_u32 v1, v1, v44, v46
	v_cvt_f32_i32_e32 v117, v18
	s_set_vgpr_msb 21                       ;  msbs: dst=0 src0=1 src1=1 src2=1
	v_add3_u32 v18, v187 /*v443*/, v185 /*v441*/, v186 /*v442*/
	s_set_vgpr_msb 1                        ;  msbs: dst=0 src0=1 src1=0 src2=0
	v_mul_i32_i24_e32 v25, v197 /*v453*/, v183
	v_mul_i32_i24_e32 v26, v198 /*v454*/, v184
	s_set_vgpr_msb 0                        ;  msbs: dst=0 src0=0 src1=0 src2=0
	v_add3_u32 v1, v1, v48, v52
	s_set_vgpr_msb 1                        ;  msbs: dst=0 src0=1 src1=0 src2=0
	v_mul_i32_i24_e32 v28, v199 /*v455*/, v185
	s_set_vgpr_msb 0                        ;  msbs: dst=0 src0=0 src1=0 src2=0
	v_mul_lo_u32 v18, v18, v103
	s_set_vgpr_msb 1                        ;  msbs: dst=0 src0=1 src1=0 src2=0
	v_mul_i32_i24_e32 v29, v200 /*v456*/, v186
	v_mul_i32_i24_e32 v30, v201 /*v457*/, v187
	s_set_vgpr_msb 0                        ;  msbs: dst=0 src0=0 src1=0 src2=0
	v_add3_u32 v1, v1, v53, v55
	s_set_vgpr_msb 1                        ;  msbs: dst=0 src0=1 src1=0 src2=0
	v_mul_i32_i24_e32 v32, v202 /*v458*/, v188
	v_mul_i32_i24_e32 v34, v203 /*v459*/, v189
	;; [unrolled: 1-line block ×3, first 2 shown]
	v_lshrrev_b32_e32 v0, 16, v123
	s_set_vgpr_msb 0                        ;  msbs: dst=0 src0=0 src1=0 src2=0
	v_add3_u32 v19, v1, v119, v120
	v_cvt_f32_f16_e32 v119, v9
	s_set_vgpr_msb 1                        ;  msbs: dst=0 src0=1 src1=0 src2=0
	v_mul_lo_u32 v9, v189 /*v445*/, v167
	s_set_vgpr_msb 0                        ;  msbs: dst=0 src0=0 src1=0 src2=0
	v_cvt_f32_f16_e32 v120, v116
	v_cvt_f32_i32_e32 v170, v18
	s_set_vgpr_msb 1                        ;  msbs: dst=0 src0=1 src1=0 src2=0
	v_mul_i32_i24_e32 v18, v220 /*v476*/, v175
	v_mul_i32_i24_e32 v38, v205 /*v461*/, v191
	;; [unrolled: 1-line block ×3, first 2 shown]
	s_set_vgpr_msb 0                        ;  msbs: dst=0 src0=0 src1=0 src2=0
	v_cvt_f32_f16_e32 v121, v122
	v_cvt_f32_f16_e32 v3, v123
	;; [unrolled: 1-line block ×3, first 2 shown]
	s_set_vgpr_msb 1                        ;  msbs: dst=0 src0=1 src1=0 src2=0
	v_cvt_f32_f16_e64 v0, v188 /*v444*/
	s_set_vgpr_msb 0                        ;  msbs: dst=0 src0=0 src1=0 src2=0
	v_pk_fma_f32 v[122:123], v[100:101], v[118:119], 0 op_sel_hi:[0,1,0]
	v_cvt_f32_i32_e32 v116, v9
	v_add3_u32 v9, v19, v141, v142
	s_set_vgpr_msb 1                        ;  msbs: dst=0 src0=1 src1=0 src2=0
	v_mul_i32_i24_e32 v19, v221 /*v477*/, v176
	s_set_vgpr_msb 4                        ;  msbs: dst=0 src0=0 src1=1 src2=0
	v_mul_i32_i24_e32 v42, v194, v207 /*v463*/
	v_mul_i32_i24_e32 v44, v193, v208 /*v464*/
	s_set_vgpr_msb 0                        ;  msbs: dst=0 src0=0 src1=0 src2=0
	v_pk_fma_f32 v[116:117], v[120:121], v[116:117], 0 op_sel_hi:[1,1,0]
	v_mul_lo_u32 v9, v9, v103
	v_pk_fma_f32 v[102:103], v[102:103], v[0:1], v[122:123] op_sel_hi:[0,1,1]
	s_set_vgpr_msb 4                        ;  msbs: dst=0 src0=0 src1=1 src2=0
	v_mul_i32_i24_e32 v46, v196, v209 /*v465*/
	v_mul_i32_i24_e32 v48, v195, v210 /*v466*/
	;; [unrolled: 1-line block ×4, first 2 shown]
	s_set_vgpr_msb 0                        ;  msbs: dst=0 src0=0 src1=0 src2=0
	v_pk_mul_f32 v[102:103], v[102:103], v[92:93]
	s_set_vgpr_msb 4                        ;  msbs: dst=0 src0=0 src1=1 src2=0
	v_mul_i32_i24_e32 v55, v203, v213 /*v469*/
	v_mul_i32_i24_e32 v100, v199, v214 /*v470*/
	s_set_vgpr_msb 1                        ;  msbs: dst=0 src0=1 src1=0 src2=0
	v_mul_i32_i24_e32 v122, v252 /*v508*/, v254
	s_set_vgpr_msb 5                        ;  msbs: dst=0 src0=1 src1=1 src2=0
	v_mul_i32_i24_e32 v123, v253 /*v509*/, v11 /*v267*/
	s_set_vgpr_msb 0                        ;  msbs: dst=0 src0=0 src1=0 src2=0
	v_cvt_f32_i32_e32 v171, v9
	s_set_vgpr_msb 1                        ;  msbs: dst=0 src0=1 src1=0 src2=0
	v_mul_i32_i24_e32 v9, v219 /*v475*/, v174
	s_set_vgpr_msb 0                        ;  msbs: dst=0 src0=0 src1=0 src2=0
	s_delay_alu instid0(VALU_DEP_2) | instskip(SKIP_1) | instid1(VALU_DEP_2)
	v_pk_fma_f32 v[116:117], v[2:3], v[170:171], v[116:117]
	s_set_vgpr_msb 1                        ;  msbs: dst=0 src0=1 src1=0 src2=0
	v_mad_i32_i24 v9, v190 /*v446*/, v173, v9
	s_set_vgpr_msb 0                        ;  msbs: dst=0 src0=0 src1=0 src2=0
	s_delay_alu instid0(VALU_DEP_2) | instskip(NEXT) | instid1(VALU_DEP_2)
	v_pk_fma_f32 v[102:103], v[116:117], v[4:5], v[102:103] neg_lo:[0,0,1] neg_hi:[0,0,1]
	v_add3_u32 v9, v9, v18, v19
	s_set_vgpr_msb 1                        ;  msbs: dst=0 src0=1 src1=0 src2=0
	v_mul_i32_i24_e32 v18, v191 /*v447*/, v177
	v_mul_i32_i24_e32 v19, v192 /*v448*/, v178
	s_set_vgpr_msb 4                        ;  msbs: dst=0 src0=0 src1=1 src2=0
	v_mul_i32_i24_e32 v116, v217, v217 /*v473*/
	s_set_vgpr_msb 0                        ;  msbs: dst=0 src0=0 src1=0 src2=0
	v_pk_add_f32 v[50:51], v[50:51], v[102:103]
	s_set_vgpr_msb 4                        ;  msbs: dst=0 src0=0 src1=1 src2=0
	v_mul_i32_i24_e32 v102, v212, v215 /*v471*/
	v_mul_i32_i24_e32 v103, v207, v216 /*v472*/
	s_set_vgpr_msb 0                        ;  msbs: dst=0 src0=0 src1=0 src2=0
	v_add3_u32 v9, v9, v18, v19
	s_set_vgpr_msb 1                        ;  msbs: dst=0 src0=1 src1=0 src2=0
	v_mul_i32_i24_e32 v18, v248 /*v504*/, v205
	v_mul_i32_i24_e32 v19, v249 /*v505*/, v201
	s_set_vgpr_msb 4                        ;  msbs: dst=0 src0=0 src1=1 src2=0
	v_mul_i32_i24_e32 v117, v213, v218 /*v474*/
	s_set_vgpr_msb 0                        ;  msbs: dst=0 src0=0 src1=0 src2=0
	v_add3_u32 v9, v9, v20, v21
	s_set_vgpr_msb 1                        ;  msbs: dst=0 src0=1 src1=0 src2=0
	v_mul_i32_i24_e32 v20, v250 /*v506*/, v210
	v_mad_i32_i24 v18, v222 /*v478*/, v204, v18
	v_mul_i32_i24_e32 v21, v225 /*v481*/, v208
	s_set_vgpr_msb 0                        ;  msbs: dst=0 src0=0 src1=0 src2=0
	v_add3_u32 v9, v9, v22, v24
	s_set_vgpr_msb 1                        ;  msbs: dst=0 src0=1 src1=0 src2=0
	v_mul_i32_i24_e32 v22, v226 /*v482*/, v221
	s_set_vgpr_msb 0                        ;  msbs: dst=0 src0=0 src1=0 src2=0
	v_add3_u32 v18, v18, v19, v20
	s_set_vgpr_msb 1                        ;  msbs: dst=0 src0=1 src1=0 src2=0
	v_mul_i32_i24_e32 v19, v223 /*v479*/, v215
	v_mul_i32_i24_e32 v20, v224 /*v480*/, v218
	s_set_vgpr_msb 0                        ;  msbs: dst=0 src0=0 src1=0 src2=0
	v_add3_u32 v9, v9, v25, v26
	s_set_vgpr_msb 1                        ;  msbs: dst=0 src0=1 src1=0 src2=0
	v_mul_i32_i24_e32 v24, v227 /*v483*/, v222
	v_mul_i32_i24_e32 v25, v228 /*v484*/, v223
	;; [unrolled: 1-line block ×3, first 2 shown]
	s_set_vgpr_msb 0                        ;  msbs: dst=0 src0=0 src1=0 src2=0
	v_add3_u32 v18, v18, v19, v20
	v_add3_u32 v9, v9, v28, v29
	s_set_vgpr_msb 1                        ;  msbs: dst=0 src0=1 src1=0 src2=0
	v_mul_i32_i24_e32 v28, v230 /*v486*/, v226
	v_mul_i32_i24_e32 v29, v231 /*v487*/, v229
	v_mul_lo_u32 v19, v184 /*v440*/, v172
	s_set_vgpr_msb 0                        ;  msbs: dst=0 src0=0 src1=0 src2=0
	v_add3_u32 v18, v18, v21, v22
	v_add3_u32 v9, v9, v30, v32
	s_set_vgpr_msb 1                        ;  msbs: dst=0 src0=1 src1=0 src2=0
	v_mul_i32_i24_e32 v30, v232 /*v488*/, v231
	v_mul_i32_i24_e32 v32, v233 /*v489*/, v224
	s_set_vgpr_msb 5                        ;  msbs: dst=0 src0=1 src1=1 src2=0
	v_mul_i32_i24_e32 v20, v193 /*v449*/, v8 /*v264*/
	s_set_vgpr_msb 0                        ;  msbs: dst=0 src0=0 src1=0 src2=0
	v_add3_u32 v18, v18, v24, v25
	v_add3_u32 v9, v9, v34, v36
	s_set_vgpr_msb 1                        ;  msbs: dst=0 src0=1 src1=0 src2=0
	v_mul_i32_i24_e32 v34, v234 /*v490*/, v233
	v_mul_i32_i24_e32 v36, v235 /*v491*/, v236
	s_set_vgpr_msb 5                        ;  msbs: dst=0 src0=1 src1=1 src2=0
	v_mul_i32_i24_e32 v21, v194 /*v450*/, v12 /*v268*/
	;; [unrolled: 8-line block ×3, first 2 shown]
	s_set_vgpr_msb 0                        ;  msbs: dst=0 src0=0 src1=0 src2=0
	v_add3_u32 v18, v18, v29, v30
	v_add3_u32 v9, v9, v42, v44
	s_set_vgpr_msb 1                        ;  msbs: dst=0 src0=1 src1=0 src2=0
	v_mul_i32_i24_e32 v42, v238 /*v494*/, v240
	s_set_vgpr_msb 4                        ;  msbs: dst=0 src0=0 src1=1 src2=0
	v_mul_i32_i24_e32 v44, v242, v239 /*v495*/
	s_set_vgpr_msb 5                        ;  msbs: dst=0 src0=1 src1=1 src2=0
	v_mul_i32_i24_e32 v24, v196 /*v452*/, v16 /*v272*/
	s_set_vgpr_msb 0                        ;  msbs: dst=0 src0=0 src1=0 src2=0
	v_add3_u32 v18, v18, v32, v34
	v_add3_u32 v9, v9, v46, v48
	s_set_vgpr_msb 4                        ;  msbs: dst=0 src0=0 src1=1 src2=0
	v_mul_i32_i24_e32 v46, v243, v240 /*v496*/
	v_mul_i32_i24_e32 v48, v245, v241 /*v497*/
	s_set_vgpr_msb 5                        ;  msbs: dst=0 src0=1 src1=1 src2=0
	v_mul_i32_i24_e32 v25, v197 /*v453*/, v17 /*v273*/
	s_set_vgpr_msb 0                        ;  msbs: dst=0 src0=0 src1=0 src2=0
	v_add3_u32 v18, v18, v36, v38
	v_add3_u32 v9, v9, v52, v53
	s_set_vgpr_msb 4                        ;  msbs: dst=0 src0=0 src1=1 src2=0
	v_mul_i32_i24_e32 v52, v244, v242 /*v498*/
	;; [unrolled: 8-line block ×3, first 2 shown]
	s_set_vgpr_msb 5                        ;  msbs: dst=0 src0=1 src1=1 src2=0
	v_mul_i32_i24_e32 v100, v1 /*v257*/, v245 /*v501*/
	v_mul_i32_i24_e32 v28, v199 /*v455*/, v25 /*v281*/
	s_set_vgpr_msb 0                        ;  msbs: dst=0 src0=0 src1=0 src2=0
	v_add3_u32 v18, v18, v44, v46
	v_add3_u32 v9, v9, v102, v103
	s_set_vgpr_msb 4                        ;  msbs: dst=0 src0=0 src1=1 src2=0
	v_mul_i32_i24_e32 v102, v252, v246 /*v502*/
	s_set_vgpr_msb 5                        ;  msbs: dst=0 src0=1 src1=1 src2=0
	v_mul_i32_i24_e32 v103, v247 /*v503*/, v5 /*v261*/
	v_mul_i32_i24_e32 v29, v200 /*v456*/, v28 /*v284*/
	s_set_vgpr_msb 0                        ;  msbs: dst=0 src0=0 src1=0 src2=0
	v_add3_u32 v18, v18, v48, v52
	v_add3_u32 v9, v9, v116, v117
	s_set_vgpr_msb 5                        ;  msbs: dst=0 src0=1 src1=1 src2=0
	v_mul_i32_i24_e32 v116, v251 /*v507*/, v7 /*v263*/
	v_mul_i32_i24_e32 v30, v201 /*v457*/, v30 /*v286*/
	;; [unrolled: 1-line block ×3, first 2 shown]
	s_set_vgpr_msb 0                        ;  msbs: dst=0 src0=0 src1=0 src2=0
	v_add3_u32 v18, v18, v53, v55
	v_mul_lo_u32 v9, v9, v172
	s_set_vgpr_msb 5                        ;  msbs: dst=0 src0=1 src1=1 src2=0
	v_mul_i32_i24_e32 v34, v203 /*v459*/, v39 /*v295*/
	v_mul_i32_i24_e32 v36, v204 /*v460*/, v41 /*v297*/
	;; [unrolled: 1-line block ×3, first 2 shown]
	s_set_vgpr_msb 0                        ;  msbs: dst=0 src0=0 src1=0 src2=0
	v_add3_u32 v18, v18, v100, v102
	v_cvt_f32_i32_e32 v102, v19
	s_set_vgpr_msb 5                        ;  msbs: dst=0 src0=1 src1=1 src2=0
	v_mul_i32_i24_e32 v19, v221 /*v477*/, v2 /*v258*/
	v_mul_i32_i24_e32 v40, v206 /*v462*/, v46 /*v302*/
	;; [unrolled: 1-line block ×3, first 2 shown]
	s_set_vgpr_msb 0                        ;  msbs: dst=0 src0=0 src1=0 src2=0
	v_add3_u32 v18, v18, v103, v116
	v_pk_fma_f32 v[116:117], v[104:105], v[118:119], 0 op_sel_hi:[0,1,0]
	v_cvt_f32_i32_e32 v103, v9
	s_set_vgpr_msb 5                        ;  msbs: dst=0 src0=1 src1=1 src2=0
	v_mul_i32_i24_e32 v44, v48 /*v304*/, v208 /*v464*/
	v_mul_i32_i24_e32 v46, v55 /*v311*/, v209 /*v465*/
	s_set_vgpr_msb 0                        ;  msbs: dst=0 src0=0 src1=0 src2=0
	v_add3_u32 v9, v18, v122, v123
	s_set_vgpr_msb 21                       ;  msbs: dst=0 src0=1 src1=1 src2=1
	v_add3_u32 v18, v183 /*v439*/, v181 /*v437*/, v182 /*v438*/
	s_set_vgpr_msb 0                        ;  msbs: dst=0 src0=0 src1=0 src2=0
	v_pk_fma_f32 v[102:103], v[120:121], v[102:103], 0 op_sel_hi:[1,1,0]
	v_pk_fma_f32 v[116:117], v[108:109], v[0:1], v[116:117] op_sel_hi:[0,1,1]
	s_set_vgpr_msb 5                        ;  msbs: dst=0 src0=1 src1=1 src2=0
	v_mul_i32_i24_e32 v48, v53 /*v309*/, v210 /*v466*/
	s_set_vgpr_msb 0                        ;  msbs: dst=0 src0=0 src1=0 src2=0
	v_mul_lo_u32 v9, v9, v166
	v_mul_lo_u32 v18, v18, v166
	s_set_vgpr_msb 5                        ;  msbs: dst=0 src0=1 src1=1 src2=0
	v_mul_i32_i24_e32 v52, v62 /*v318*/, v211 /*v467*/
	s_set_vgpr_msb 0                        ;  msbs: dst=0 src0=0 src1=0 src2=0
	v_pk_mul_f32 v[116:117], v[116:117], v[94:95]
	s_set_vgpr_msb 5                        ;  msbs: dst=0 src0=1 src1=1 src2=0
	v_mul_i32_i24_e32 v53, v60 /*v316*/, v212 /*v468*/
	v_mul_i32_i24_e32 v55, v68 /*v324*/, v213 /*v469*/
	;; [unrolled: 1-line block ×5, first 2 shown]
	s_set_vgpr_msb 0                        ;  msbs: dst=0 src0=0 src1=0 src2=0
	v_cvt_f32_i32_e32 v123, v9
	s_set_vgpr_msb 1                        ;  msbs: dst=0 src0=1 src1=0 src2=0
	v_mul_i32_i24_e32 v9, v219 /*v475*/, v250
	s_set_vgpr_msb 0                        ;  msbs: dst=0 src0=0 src1=0 src2=0
	v_cvt_f32_i32_e32 v122, v18
	s_set_vgpr_msb 1                        ;  msbs: dst=0 src0=1 src1=0 src2=0
	v_mul_i32_i24_e32 v18, v220 /*v476*/, v255
	v_mad_i32_i24 v9, v190 /*v446*/, v246, v9
	s_set_vgpr_msb 0                        ;  msbs: dst=0 src0=0 src1=0 src2=0
	v_pk_fma_f32 v[102:103], v[2:3], v[122:123], v[102:103]
	s_set_vgpr_msb 5                        ;  msbs: dst=0 src0=1 src1=1 src2=0
	v_mul_i32_i24_e32 v122, v253 /*v509*/, v106 /*v362*/
	s_set_vgpr_msb 0                        ;  msbs: dst=0 src0=0 src1=0 src2=0
	v_add3_u32 v9, v9, v18, v19
	s_set_vgpr_msb 5                        ;  msbs: dst=0 src0=1 src1=1 src2=0
	v_mul_i32_i24_e32 v18, v191 /*v447*/, v3 /*v259*/
	v_mul_i32_i24_e32 v19, v192 /*v448*/, v6 /*v262*/
	s_set_vgpr_msb 0                        ;  msbs: dst=0 src0=0 src1=0 src2=0
	v_pk_fma_f32 v[102:103], v[102:103], v[6:7], v[116:117] neg_lo:[0,0,1] neg_hi:[0,0,1]
	v_pk_fma_f32 v[116:117], v[106:107], v[118:119], 0 op_sel_hi:[0,1,0]
	s_set_vgpr_msb 5                        ;  msbs: dst=0 src0=1 src1=1 src2=0
	v_mul_i32_i24_e32 v106, v150 /*v406*/, v218 /*v474*/
	s_set_vgpr_msb 0                        ;  msbs: dst=0 src0=0 src1=0 src2=0
	v_add3_u32 v9, v9, v18, v19
	s_set_vgpr_msb 5                        ;  msbs: dst=0 src0=1 src1=1 src2=0
	v_mul_i32_i24_e32 v18, v248 /*v504*/, v71 /*v327*/
	v_mul_i32_i24_e32 v19, v249 /*v505*/, v65 /*v321*/
	s_set_vgpr_msb 0                        ;  msbs: dst=0 src0=0 src1=0 src2=0
	v_pk_add_f32 v[60:61], v[60:61], v[102:103]
	s_set_vgpr_msb 5                        ;  msbs: dst=0 src0=1 src1=1 src2=0
	v_mul_i32_i24_e32 v102, v76 /*v332*/, v215 /*v471*/
	s_set_vgpr_msb 0                        ;  msbs: dst=0 src0=0 src1=0 src2=0
	v_add3_u32 v9, v9, v20, v21
	s_set_vgpr_msb 5                        ;  msbs: dst=0 src0=1 src1=1 src2=0
	v_mul_i32_i24_e32 v20, v250 /*v506*/, v75 /*v331*/
	v_mad_i32_i24 v18, v222 /*v478*/, v69 /*v325*/, v18
	v_mul_i32_i24_e32 v21, v225 /*v481*/, v73 /*v329*/
	v_mul_i32_i24_e32 v103, v72 /*v328*/, v216 /*v472*/
	s_set_vgpr_msb 0                        ;  msbs: dst=0 src0=0 src1=0 src2=0
	v_add3_u32 v9, v9, v22, v24
	s_set_vgpr_msb 5                        ;  msbs: dst=0 src0=1 src1=1 src2=0
	v_mul_i32_i24_e32 v22, v226 /*v482*/, v83 /*v339*/
	s_set_vgpr_msb 0                        ;  msbs: dst=0 src0=0 src1=0 src2=0
	v_add3_u32 v18, v18, v19, v20
	s_set_vgpr_msb 5                        ;  msbs: dst=0 src0=1 src1=1 src2=0
	v_mul_i32_i24_e32 v19, v223 /*v479*/, v79 /*v335*/
	v_mul_i32_i24_e32 v20, v224 /*v480*/, v81 /*v337*/
	s_set_vgpr_msb 0                        ;  msbs: dst=0 src0=0 src1=0 src2=0
	v_add3_u32 v9, v9, v25, v26
	s_set_vgpr_msb 5                        ;  msbs: dst=0 src0=1 src1=1 src2=0
	v_mul_i32_i24_e32 v24, v227 /*v483*/, v84 /*v340*/
	v_mul_i32_i24_e32 v25, v228 /*v484*/, v85 /*v341*/
	;; [unrolled: 1-line block ×3, first 2 shown]
	s_set_vgpr_msb 0                        ;  msbs: dst=0 src0=0 src1=0 src2=0
	v_add3_u32 v18, v18, v19, v20
	v_add3_u32 v9, v9, v28, v29
	s_set_vgpr_msb 5                        ;  msbs: dst=0 src0=1 src1=1 src2=0
	v_mul_i32_i24_e32 v28, v230 /*v486*/, v87 /*v343*/
	v_mul_i32_i24_e32 v29, v231 /*v487*/, v88 /*v344*/
	s_set_vgpr_msb 1                        ;  msbs: dst=0 src0=1 src1=0 src2=0
	v_mul_lo_u32 v19, v180 /*v436*/, v234
	s_set_vgpr_msb 0                        ;  msbs: dst=0 src0=0 src1=0 src2=0
	v_add3_u32 v18, v18, v21, v22
	v_add3_u32 v9, v9, v30, v32
	s_set_vgpr_msb 5                        ;  msbs: dst=0 src0=1 src1=1 src2=0
	v_mul_i32_i24_e32 v30, v232 /*v488*/, v89 /*v345*/
	v_mul_i32_i24_e32 v32, v233 /*v489*/, v86 /*v342*/
	v_mul_i32_i24_e32 v20, v193 /*v449*/, v115 /*v371*/
	s_set_vgpr_msb 0                        ;  msbs: dst=0 src0=0 src1=0 src2=0
	v_add3_u32 v18, v18, v24, v25
	v_add3_u32 v9, v9, v34, v36
	s_set_vgpr_msb 5                        ;  msbs: dst=0 src0=1 src1=1 src2=0
	v_mul_i32_i24_e32 v34, v234 /*v490*/, v91 /*v347*/
	v_mul_i32_i24_e32 v36, v235 /*v491*/, v92 /*v348*/
	v_mul_i32_i24_e32 v21, v194 /*v450*/, v116 /*v372*/
	;; [unrolled: 7-line block ×9, first 2 shown]
	s_set_vgpr_msb 0                        ;  msbs: dst=0 src0=0 src1=0 src2=0
	v_add3_u32 v18, v18, v53, v55
	v_mul_lo_u32 v9, v9, v234
	s_set_vgpr_msb 5                        ;  msbs: dst=0 src0=1 src1=1 src2=0
	v_mul_i32_i24_e32 v32, v202 /*v458*/, v124 /*v380*/
	v_mul_i32_i24_e32 v34, v203 /*v459*/, v125 /*v381*/
	;; [unrolled: 1-line block ×3, first 2 shown]
	s_set_vgpr_msb 0                        ;  msbs: dst=0 src0=0 src1=0 src2=0
	v_add3_u32 v18, v18, v100, v102
	v_cvt_f32_i32_e32 v102, v19
	s_set_vgpr_msb 5                        ;  msbs: dst=0 src0=1 src1=1 src2=0
	v_mul_i32_i24_e32 v19, v221 /*v477*/, v112 /*v368*/
	v_mul_i32_i24_e32 v38, v205 /*v461*/, v127 /*v383*/
	;; [unrolled: 1-line block ×3, first 2 shown]
	s_set_vgpr_msb 0                        ;  msbs: dst=0 src0=0 src1=0 src2=0
	v_add3_u32 v18, v18, v103, v104
	s_set_vgpr_msb 5                        ;  msbs: dst=0 src0=1 src1=1 src2=0
	v_mul_i32_i24_e32 v42, v130 /*v386*/, v207 /*v463*/
	s_set_vgpr_msb 0                        ;  msbs: dst=0 src0=0 src1=0 src2=0
	v_cvt_f32_i32_e32 v103, v9
	s_set_vgpr_msb 5                        ;  msbs: dst=0 src0=1 src1=1 src2=0
	v_mul_i32_i24_e32 v44, v129 /*v385*/, v208 /*v464*/
	s_set_vgpr_msb 0                        ;  msbs: dst=0 src0=0 src1=0 src2=0
	v_pk_fma_f32 v[116:117], v[110:111], v[0:1], v[116:117] op_sel_hi:[0,1,1]
	v_add3_u32 v9, v18, v108, v122
	s_set_vgpr_msb 21                       ;  msbs: dst=0 src0=1 src1=1 src2=1
	v_add3_u32 v18, v179 /*v435*/, v177 /*v433*/, v178 /*v434*/
	s_set_vgpr_msb 0                        ;  msbs: dst=0 src0=0 src1=0 src2=0
	v_pk_fma_f32 v[102:103], v[120:121], v[102:103], 0 op_sel_hi:[1,1,0]
	s_set_vgpr_msb 5                        ;  msbs: dst=0 src0=1 src1=1 src2=0
	v_mul_i32_i24_e32 v46, v132 /*v388*/, v209 /*v465*/
	v_mul_i32_i24_e32 v48, v131 /*v387*/, v210 /*v466*/
	s_set_vgpr_msb 0                        ;  msbs: dst=0 src0=0 src1=0 src2=0
	v_mul_lo_u32 v9, v9, v168
	v_mul_lo_u32 v18, v18, v168
	v_pk_mul_f32 v[116:117], v[116:117], v[96:97]
	s_set_vgpr_msb 5                        ;  msbs: dst=0 src0=1 src1=1 src2=0
	v_mul_i32_i24_e32 v52, v141 /*v397*/, v211 /*v467*/
	v_mul_i32_i24_e32 v53, v133 /*v389*/, v212 /*v468*/
	;; [unrolled: 1-line block ×6, first 2 shown]
	s_set_vgpr_msb 0                        ;  msbs: dst=0 src0=0 src1=0 src2=0
	v_cvt_f32_i32_e32 v123, v9
	s_set_vgpr_msb 5                        ;  msbs: dst=0 src0=1 src1=1 src2=0
	v_mul_i32_i24_e32 v9, v219 /*v475*/, v110 /*v366*/
	s_set_vgpr_msb 0                        ;  msbs: dst=0 src0=0 src1=0 src2=0
	v_cvt_f32_i32_e32 v122, v18
	s_set_vgpr_msb 5                        ;  msbs: dst=0 src0=1 src1=1 src2=0
	v_mul_i32_i24_e32 v18, v220 /*v476*/, v111 /*v367*/
	v_mad_i32_i24 v9, v190 /*v446*/, v109 /*v365*/, v9
	s_set_vgpr_msb 0                        ;  msbs: dst=0 src0=0 src1=0 src2=0
	v_pk_fma_f32 v[102:103], v[2:3], v[122:123], v[102:103]
	s_delay_alu instid0(VALU_DEP_2)
	v_add3_u32 v9, v9, v18, v19
	s_set_vgpr_msb 5                        ;  msbs: dst=0 src0=1 src1=1 src2=0
	v_mul_i32_i24_e32 v18, v191 /*v447*/, v113 /*v369*/
	v_mul_i32_i24_e32 v19, v192 /*v448*/, v114 /*v370*/
	s_set_vgpr_msb 0                        ;  msbs: dst=0 src0=0 src1=0 src2=0
	v_pk_fma_f32 v[102:103], v[102:103], v[88:89], v[116:117] neg_lo:[0,0,1] neg_hi:[0,0,1]
	v_pk_fma_f32 v[116:117], v[114:115], v[118:119], 0 op_sel_hi:[0,1,0]
	s_delay_alu instid0(VALU_DEP_3)
	v_add3_u32 v9, v9, v18, v19
	s_set_vgpr_msb 5                        ;  msbs: dst=0 src0=1 src1=1 src2=0
	v_mul_i32_i24_e32 v18, v154 /*v410*/, v248 /*v504*/
	v_mul_i32_i24_e32 v19, v153 /*v409*/, v249 /*v505*/
	s_set_vgpr_msb 0                        ;  msbs: dst=0 src0=0 src1=0 src2=0
	v_pk_add_f32 v[66:67], v[66:67], v[102:103]
	s_set_vgpr_msb 5                        ;  msbs: dst=0 src0=1 src1=1 src2=0
	v_mul_i32_i24_e32 v102, v149 /*v405*/, v215 /*v471*/
	s_set_vgpr_msb 0                        ;  msbs: dst=0 src0=0 src1=0 src2=0
	v_add3_u32 v9, v9, v20, v21
	s_set_vgpr_msb 5                        ;  msbs: dst=0 src0=1 src1=1 src2=0
	v_mul_i32_i24_e32 v20, v143 /*v399*/, v250 /*v506*/
	v_mad_i32_i24 v18, v152 /*v408*/, v222 /*v478*/, v18
	v_mul_i32_i24_e32 v21, v155 /*v411*/, v225 /*v481*/
	v_mul_i32_i24_e32 v103, v147 /*v403*/, v216 /*v472*/
	s_set_vgpr_msb 0                        ;  msbs: dst=0 src0=0 src1=0 src2=0
	v_add3_u32 v9, v9, v22, v24
	s_set_vgpr_msb 5                        ;  msbs: dst=0 src0=1 src1=1 src2=0
	v_mul_i32_i24_e32 v22, v134 /*v390*/, v226 /*v482*/
	s_set_vgpr_msb 0                        ;  msbs: dst=0 src0=0 src1=0 src2=0
	v_add3_u32 v18, v18, v19, v20
	s_set_vgpr_msb 5                        ;  msbs: dst=0 src0=1 src1=1 src2=0
	v_mul_i32_i24_e32 v19, v157 /*v413*/, v223 /*v479*/
	v_mul_i32_i24_e32 v20, v156 /*v412*/, v224 /*v480*/
	s_set_vgpr_msb 0                        ;  msbs: dst=0 src0=0 src1=0 src2=0
	v_add3_u32 v9, v9, v25, v26
	s_set_vgpr_msb 5                        ;  msbs: dst=0 src0=1 src1=1 src2=0
	v_mul_i32_i24_e32 v24, v160 /*v416*/, v227 /*v483*/
	v_mul_i32_i24_e32 v25, v159 /*v415*/, v228 /*v484*/
	;; [unrolled: 1-line block ×3, first 2 shown]
	s_set_vgpr_msb 0                        ;  msbs: dst=0 src0=0 src1=0 src2=0
	v_add3_u32 v18, v18, v19, v20
	v_add3_u32 v9, v9, v28, v29
	s_set_vgpr_msb 5                        ;  msbs: dst=0 src0=1 src1=1 src2=0
	v_mul_i32_i24_e32 v28, v135 /*v391*/, v230 /*v486*/
	v_mul_i32_i24_e32 v29, v163 /*v419*/, v231 /*v487*/
	v_mul_lo_u32 v19, v176 /*v432*/, v108 /*v364*/
	s_set_vgpr_msb 0                        ;  msbs: dst=0 src0=0 src1=0 src2=0
	v_add3_u32 v18, v18, v21, v22
	v_add3_u32 v9, v9, v30, v32
	s_set_vgpr_msb 5                        ;  msbs: dst=0 src0=1 src1=1 src2=0
	v_mul_i32_i24_e32 v30, v162 /*v418*/, v232 /*v488*/
	v_mul_i32_i24_e32 v32, v161 /*v417*/, v233 /*v489*/
	s_set_vgpr_msb 0                        ;  msbs: dst=0 src0=0 src1=0 src2=0
	v_pk_fma_f32 v[0:1], v[112:113], v[0:1], v[116:117] op_sel_hi:[0,1,1]
	v_add3_u32 v18, v18, v24, v25
	v_add3_u32 v9, v9, v34, v36
	s_set_vgpr_msb 5                        ;  msbs: dst=0 src0=1 src1=1 src2=0
	v_mul_i32_i24_e32 v34, v136 /*v392*/, v234 /*v490*/
	v_mul_i32_i24_e32 v36, v166 /*v422*/, v235 /*v491*/
	s_set_vgpr_msb 0                        ;  msbs: dst=0 src0=0 src1=0 src2=0
	v_pk_mul_f32 v[0:1], v[0:1], v[98:99]
	v_add3_u32 v18, v18, v26, v28
	v_add3_u32 v9, v9, v38, v40
	s_set_vgpr_msb 5                        ;  msbs: dst=0 src0=1 src1=1 src2=0
	v_mul_i32_i24_e32 v38, v165 /*v421*/, v236 /*v492*/
	v_mul_i32_i24_e32 v40, v164 /*v420*/, v237 /*v493*/
	s_set_vgpr_msb 0                        ;  msbs: dst=0 src0=0 src1=0 src2=0
	v_add3_u32 v18, v18, v29, v30
	v_add3_u32 v9, v9, v42, v44
	s_set_vgpr_msb 5                        ;  msbs: dst=0 src0=1 src1=1 src2=0
	v_mul_i32_i24_e32 v42, v137 /*v393*/, v238 /*v494*/
	v_mul_i32_i24_e32 v44, v169 /*v425*/, v239 /*v495*/
	s_set_vgpr_msb 0                        ;  msbs: dst=0 src0=0 src1=0 src2=0
	;; [unrolled: 6-line block ×7, first 2 shown]
	v_add3_u32 v18, v18, v53, v55
	s_set_vgpr_msb 4                        ;  msbs: dst=0 src0=0 src1=1 src2=0
	v_mul_lo_u32 v9, v9, v108 /*v364*/
	s_set_vgpr_msb 0                        ;  msbs: dst=0 src0=0 src1=0 src2=0
	s_delay_alu instid0(VALU_DEP_2) | instskip(SKIP_1) | instid1(VALU_DEP_2)
	v_add3_u32 v18, v18, v100, v102
	v_cvt_f32_i32_e32 v102, v19
	v_add3_u32 v18, v18, v103, v104
	s_delay_alu instid0(VALU_DEP_4) | instskip(NEXT) | instid1(VALU_DEP_2)
	v_cvt_f32_i32_e32 v103, v9
	v_add3_u32 v9, v18, v106, v108
	s_set_vgpr_msb 21                       ;  msbs: dst=0 src0=1 src1=1 src2=1
	v_add3_u32 v18, v175 /*v431*/, v173 /*v429*/, v174 /*v430*/
	s_set_vgpr_msb 0                        ;  msbs: dst=0 src0=0 src1=0 src2=0
	v_pk_fma_f32 v[102:103], v[120:121], v[102:103], 0 op_sel_hi:[1,1,0]
	s_set_vgpr_msb 4                        ;  msbs: dst=0 src0=0 src1=1 src2=0
	v_mul_lo_u32 v9, v9, v107 /*v363*/
	v_mul_lo_u32 v18, v18, v107 /*v363*/
	s_delay_alu instid0(VALU_DEP_2) | instskip(NEXT) | instid1(VALU_DEP_2)
	v_cvt_f32_i32_e32 v119, v9
	v_cvt_f32_i32_e32 v118, v18
	s_set_vgpr_msb 0                        ;  msbs: dst=0 src0=0 src1=0 src2=0
	s_delay_alu instid0(VALU_DEP_1) | instskip(NEXT) | instid1(VALU_DEP_1)
	v_pk_fma_f32 v[2:3], v[2:3], v[118:119], v[102:103]
	v_pk_fma_f32 v[0:1], v[2:3], v[90:91], v[0:1] neg_lo:[0,0,1] neg_hi:[0,0,1]
	s_delay_alu instid0(VALU_DEP_1)
	v_pk_add_f32 v[74:75], v[74:75], v[0:1]
	s_cbranch_vccnz .LBB152_6
; %bb.7:                                ;   in Loop: Header=BB152_5 Depth=1
	v_add_nc_u32_e32 v9, s4, v49
	v_add_nc_u32_e32 v21, 4, v101
	s_barrier_signal -1
	s_barrier_wait -1
	s_delay_alu instid0(VALU_DEP_2) | instskip(SKIP_2) | instid1(VALU_DEP_3)
	v_dual_add_nc_u32 v6, v9, v47 :: v_dual_add_nc_u32 v19, v9, v41
	v_dual_add_nc_u32 v0, v9, v33 :: v_dual_add_nc_u32 v2, v9, v35
	;; [unrolled: 1-line block ×3, first 2 shown]
	v_mad_nc_i64_i32 v[6:7], v6, 36, v[12:13]
	s_delay_alu instid0(VALU_DEP_3)
	v_mad_nc_i64_i32 v[0:1], v0, 36, v[12:13]
	v_dual_add_nc_u32 v20, v9, v43 :: v_dual_add_nc_u32 v9, v9, v45
	v_mad_nc_i64_i32 v[2:3], v2, 36, v[12:13]
	v_mad_nc_i64_i32 v[4:5], v4, 36, v[12:13]
	;; [unrolled: 1-line block ×6, first 2 shown]
	v_mad_nc_u64_u32 v[96:97], v21, 36, s[10:11]
	s_clause 0x8
	global_load_b32 v9, v[6:7], off offset:4
	global_load_b32 v18, v[0:1], off offset:4
	;; [unrolled: 1-line block ×8, first 2 shown]
	global_load_b32 v26, v[96:97], off
	s_mov_b32 s4, 16
	s_wait_loadcnt 0x8
	ds_store_b32 v124, v9
	s_wait_loadcnt 0x7
	ds_store_b32 v57, v18
	;; [unrolled: 2-line block ×9, first 2 shown]
	s_wait_dscnt 0x0
	s_barrier_signal -1
	s_barrier_wait -1
	ds_load_b32 v0, v126
	ds_load_b32 v1, v127 offset:128
	ds_load_b32 v2, v128 offset:256
	;; [unrolled: 1-line block ×3, first 2 shown]
	s_wait_dscnt 0x3
	v_cvt_f32_f16_e32 v88, v0
	v_lshrrev_b32_e32 v0, 16, v0
	s_wait_dscnt 0x2
	v_cvt_f32_f16_e32 v90, v1
	s_wait_dscnt 0x0
	v_dual_lshrrev_b32 v1, 16, v1 :: v_dual_lshrrev_b32 v4, 16, v3
	v_cvt_f32_f16_e32 v92, v2
	v_lshrrev_b32_e32 v2, 16, v2
	v_cvt_f32_f16_e32 v94, v3
	v_cvt_f32_f16_e32 v96, v0
	;; [unrolled: 1-line block ×5, first 2 shown]
	v_dual_mov_b32 v89, v88 :: v_dual_mov_b32 v91, v90
	v_dual_mov_b32 v93, v92 :: v_dual_mov_b32 v95, v94
	;; [unrolled: 1-line block ×3, first 2 shown]
	s_delay_alu instid0(VALU_DEP_4)
	v_dual_mov_b32 v101, v100 :: v_dual_mov_b32 v103, v102
.LBB152_8:                              ;   Parent Loop BB152_5 Depth=1
                                        ; =>  This Inner Loop Header: Depth=2
	s_lshr_b32 s5, s4, 2
	s_lshl_b32 s8, s4, 2
	s_and_b32 s9, s5, 0x3ffffffe
	s_lshl_b32 s5, s4, 1
	s_addk_co_i32 s9, 0x6200
	s_and_b32 s5, s5, 16
	v_add3_u32 v9, s9, v164, v157
	v_or_b32_e32 v0, s5, v23
	s_delay_alu instid0(VALU_DEP_1)
	v_lshlrev_b32_e32 v1, 2, v0
	s_set_vgpr_msb 64                       ;  msbs: dst=1 src0=0 src1=0 src2=0
	v_lshrrev_b32_e32 v159 /*v415*/, 1, v0
	s_set_vgpr_msb 0                        ;  msbs: dst=0 src0=0 src1=0 src2=0
	ds_load_b128 v[4:7], v1 offset:16896
	ds_load_b128 v[116:119], v1 offset:16912
	ds_load_b128 v[120:123], v1 offset:16928
	ds_load_b128 v[0:3], v1 offset:16944
	s_wait_dscnt 0x3
	s_set_vgpr_msb 64                       ;  msbs: dst=1 src0=0 src1=0 src2=0
	v_bfe_i32 v14 /*v270*/, v4, 0, 8
	v_bfe_i32 v18 /*v274*/, v4, 8, 8
	;; [unrolled: 1-line block ×3, first 2 shown]
	v_dual_ashrrev_i32 v33 /*v289*/, 24, v4 :: v_dual_ashrrev_i32 v26 /*v282*/, 24, v6
	s_set_vgpr_msb 0                        ;  msbs: dst=0 src0=0 src1=0 src2=0
	v_add_nc_u32_e32 v4, s8, v160
	s_wait_dscnt 0x1
	s_set_vgpr_msb 64                       ;  msbs: dst=1 src0=0 src1=0 src2=0
	v_dual_ashrrev_i32 v168 /*v424*/, 24, v119 :: v_dual_ashrrev_i32 v180 /*v436*/, 24, v120
	v_bfe_i32 v152 /*v408*/, v120, 0, 8
	v_bfe_i32 v151 /*v407*/, v120, 8, 8
	;; [unrolled: 1-line block ×6, first 2 shown]
	v_dual_ashrrev_i32 v178 /*v434*/, 24, v121 :: v_dual_ashrrev_i32 v177 /*v433*/, 24, v122
	s_set_vgpr_msb 0                        ;  msbs: dst=0 src0=0 src1=0 src2=0
	ds_load_2addr_b32 v[120:121], v4 offset1:1
	s_wait_dscnt 0x1
	s_set_vgpr_msb 64                       ;  msbs: dst=1 src0=0 src1=0 src2=0
	v_dual_ashrrev_i32 v176 /*v432*/, 24, v123 :: v_dual_ashrrev_i32 v174 /*v430*/, 24, v0
	v_bfe_i32 v162 /*v418*/, v0, 0, 8
	v_bfe_i32 v163 /*v419*/, v0, 8, 8
	;; [unrolled: 1-line block ×6, first 2 shown]
	v_ashrrev_i32_e32 v22 /*v278*/, 24, v5
	v_bfe_i32 v165 /*v421*/, v1, 0, 8
	v_bfe_i32 v166 /*v422*/, v1, 8, 8
	;; [unrolled: 1-line block ×3, first 2 shown]
	v_dual_ashrrev_i32 v173 /*v429*/, 24, v1 :: v_dual_ashrrev_i32 v172 /*v428*/, 24, v2
	v_bfe_i32 v23 /*v279*/, v6, 0, 8
	v_bfe_i32 v24 /*v280*/, v6, 8, 8
	;; [unrolled: 1-line block ×5, first 2 shown]
	s_wait_dscnt 0x0
	v_dual_lshrrev_b32 v142 /*v398*/, 28, v120 :: v_dual_bitop2_b32 v110 /*v366*/, 15, v120 bitop3:0x40
	v_bfe_u32 v109 /*v365*/, v120, 8, 4
	v_bfe_u32 v111 /*v367*/, v120, 16, 4
	;; [unrolled: 1-line block ×3, first 2 shown]
	s_set_vgpr_msb 5                        ;  msbs: dst=0 src0=1 src1=1 src2=0
	v_mul_i32_i24_e32 v0, v110 /*v366*/, v14 /*v270*/
	s_set_vgpr_msb 64                       ;  msbs: dst=1 src0=0 src1=0 src2=0
	v_dual_lshrrev_b32 v134 /*v390*/, 28, v121 :: v_dual_bitop2_b32 v113 /*v369*/, 15, v121 bitop3:0x40
	s_set_vgpr_msb 5                        ;  msbs: dst=0 src0=1 src1=1 src2=0
	v_mul_i32_i24_e32 v1, v111 /*v367*/, v17 /*v273*/
	v_mul_i32_i24_e32 v5, v112 /*v368*/, v33 /*v289*/
	v_mad_i32_i24 v0, v109 /*v365*/, v18 /*v274*/, v0
	s_set_vgpr_msb 64                       ;  msbs: dst=1 src0=0 src1=0 src2=0
	v_bfe_u32 v114 /*v370*/, v121, 8, 4
	v_bfe_u32 v115 /*v371*/, v121, 16, 4
	;; [unrolled: 1-line block ×3, first 2 shown]
	v_bfe_i32 v29 /*v285*/, v7, 16, 8
	s_set_vgpr_msb 0                        ;  msbs: dst=0 src0=0 src1=0 src2=0
	v_add3_u32 v0, v0, v1, v5
	s_set_vgpr_msb 5                        ;  msbs: dst=0 src0=1 src1=1 src2=0
	v_mul_i32_i24_e32 v1, v113 /*v369*/, v19 /*v275*/
	v_mul_i32_i24_e32 v5, v114 /*v370*/, v20 /*v276*/
	s_set_vgpr_msb 64                       ;  msbs: dst=1 src0=0 src1=0 src2=0
	v_dual_ashrrev_i32 v30 /*v286*/, 24, v7 :: v_dual_ashrrev_i32 v35 /*v291*/, 24, v116
	s_set_vgpr_msb 5                        ;  msbs: dst=0 src0=1 src1=1 src2=0
	v_mul_i32_i24_e32 v6, v115 /*v371*/, v21 /*v277*/
	v_mul_i32_i24_e32 v7, v116 /*v372*/, v22 /*v278*/
	s_set_vgpr_msb 0                        ;  msbs: dst=0 src0=0 src1=0 src2=0
	v_add3_u32 v0, v0, v5, v1
	s_set_vgpr_msb 64                       ;  msbs: dst=1 src0=0 src1=0 src2=0
	v_bfe_i32 v31 /*v287*/, v116, 0, 8
	v_bfe_i32 v32 /*v288*/, v116, 8, 8
	;; [unrolled: 1-line block ×4, first 2 shown]
	s_set_vgpr_msb 0                        ;  msbs: dst=0 src0=0 src1=0 src2=0
	v_add3_u32 v0, v0, v6, v7
	ds_load_2addr_b32 v[6:7], v4 offset0:2 offset1:3
	s_set_vgpr_msb 64                       ;  msbs: dst=1 src0=0 src1=0 src2=0
	v_bfe_i32 v37 /*v293*/, v117, 8, 8
	v_bfe_i32 v38 /*v294*/, v117, 16, 8
	v_dual_ashrrev_i32 v39 /*v295*/, 24, v117 :: v_dual_ashrrev_i32 v13 /*v269*/, 24, v118
	v_bfe_i32 v40 /*v296*/, v118, 0, 8
	v_bfe_i32 v41 /*v297*/, v118, 8, 8
	;; [unrolled: 1-line block ×3, first 2 shown]
	s_set_vgpr_msb 0                        ;  msbs: dst=0 src0=0 src1=0 src2=0
	v_bfe_i32 v170, v119, 0, 8
	v_bfe_i32 v169, v119, 8, 8
	s_set_vgpr_msb 64                       ;  msbs: dst=1 src0=0 src1=0 src2=0
	v_bfe_i32 v156 /*v412*/, v122, 0, 8
	v_bfe_i32 v157 /*v413*/, v122, 8, 8
	v_bfe_i32 v158 /*v414*/, v122, 16, 8
	v_bfe_i32 v160 /*v416*/, v123, 0, 8
	v_bfe_i32 v161 /*v417*/, v123, 8, 8
	v_bfe_i32 v175 /*v431*/, v123, 16, 8
	v_bfe_i32 v169 /*v425*/, v2, 0, 8
	v_bfe_i32 v170 /*v426*/, v2, 8, 8
	v_bfe_i32 v171 /*v427*/, v2, 16, 8
	s_set_vgpr_msb 0                        ;  msbs: dst=0 src0=0 src1=0 src2=0
	v_bfe_i32 v114, v119, 16, 8
	s_wait_dscnt 0x0
	s_set_vgpr_msb 64                       ;  msbs: dst=1 src0=0 src1=0 src2=0
	v_dual_lshrrev_b32 v135 /*v391*/, 28, v6 :: v_dual_bitop2_b32 v117 /*v373*/, 15, v6 bitop3:0x40
	v_bfe_u32 v118 /*v374*/, v6, 8, 4
	v_bfe_u32 v119 /*v375*/, v6, 16, 4
	;; [unrolled: 1-line block ×3, first 2 shown]
	s_set_vgpr_msb 5                        ;  msbs: dst=0 src0=1 src1=1 src2=0
	v_mul_i32_i24_e32 v1, v117 /*v373*/, v23 /*v279*/
	s_set_vgpr_msb 64                       ;  msbs: dst=1 src0=0 src1=0 src2=0
	v_dual_lshrrev_b32 v136 /*v392*/, 28, v7 :: v_dual_bitop2_b32 v121 /*v377*/, 15, v7 bitop3:0x40
	s_set_vgpr_msb 5                        ;  msbs: dst=0 src0=1 src1=1 src2=0
	v_mul_i32_i24_e32 v5, v118 /*v374*/, v24 /*v280*/
	v_mul_i32_i24_e32 v18, v119 /*v375*/, v25 /*v281*/
	;; [unrolled: 1-line block ×3, first 2 shown]
	s_set_vgpr_msb 64                       ;  msbs: dst=1 src0=0 src1=0 src2=0
	v_bfe_u32 v122 /*v378*/, v7, 8, 4
	v_bfe_u32 v123 /*v379*/, v7, 16, 4
	s_set_vgpr_msb 0                        ;  msbs: dst=0 src0=0 src1=0 src2=0
	v_add3_u32 v0, v0, v5, v1
	s_set_vgpr_msb 5                        ;  msbs: dst=0 src0=1 src1=1 src2=0
	v_mul_i32_i24_e32 v1, v121 /*v377*/, v27 /*v283*/
	s_set_vgpr_msb 64                       ;  msbs: dst=1 src0=0 src1=0 src2=0
	v_bfe_u32 v124 /*v380*/, v7, 24, 4
	s_set_vgpr_msb 5                        ;  msbs: dst=0 src0=1 src1=1 src2=0
	v_mul_i32_i24_e32 v5, v122 /*v378*/, v28 /*v284*/
	s_set_vgpr_msb 0                        ;  msbs: dst=0 src0=0 src1=0 src2=0
	v_bfe_i32 v112, v3, 8, 8
	v_add3_u32 v0, v0, v18, v19
	s_set_vgpr_msb 5                        ;  msbs: dst=0 src0=1 src1=1 src2=0
	v_mul_i32_i24_e32 v18, v123 /*v379*/, v29 /*v285*/
	v_mul_i32_i24_e32 v19, v124 /*v380*/, v30 /*v286*/
	s_set_vgpr_msb 0                        ;  msbs: dst=0 src0=0 src1=0 src2=0
	v_bfe_i32 v168, v3, 0, 8
	v_bfe_i32 v2, v3, 16, 8
	v_add3_u32 v0, v0, v5, v1
	v_ashrrev_i32_e32 v3, 24, v3
	s_delay_alu instid0(VALU_DEP_2)
	v_add3_u32 v5, v0, v18, v19
	ds_load_2addr_b32 v[0:1], v4 offset0:4 offset1:5
	s_wait_dscnt 0x0
	s_set_vgpr_msb 64                       ;  msbs: dst=1 src0=0 src1=0 src2=0
	v_dual_lshrrev_b32 v137 /*v393*/, 28, v0 :: v_dual_bitop2_b32 v125 /*v381*/, 15, v0 bitop3:0x40
	v_bfe_u32 v126 /*v382*/, v0, 8, 4
	v_bfe_u32 v127 /*v383*/, v0, 24, 4
	;; [unrolled: 1-line block ×3, first 2 shown]
	s_set_vgpr_msb 5                        ;  msbs: dst=0 src0=1 src1=1 src2=0
	v_mul_i32_i24_e32 v18, v125 /*v381*/, v31 /*v287*/
	s_set_vgpr_msb 64                       ;  msbs: dst=1 src0=0 src1=0 src2=0
	v_bfe_u32 v129 /*v385*/, v1, 8, 4
	s_set_vgpr_msb 5                        ;  msbs: dst=0 src0=1 src1=1 src2=0
	v_mul_i32_i24_e32 v19, v126 /*v382*/, v32 /*v288*/
	v_mul_i32_i24_e32 v20, v35 /*v291*/, v127 /*v383*/
	;; [unrolled: 1-line block ×3, first 2 shown]
	s_set_vgpr_msb 64                       ;  msbs: dst=1 src0=0 src1=0 src2=0
	v_dual_lshrrev_b32 v138 /*v394*/, 28, v1 :: v_dual_bitop2_b32 v130 /*v386*/, 15, v1 bitop3:0x40
	s_set_vgpr_msb 0                        ;  msbs: dst=0 src0=0 src1=0 src2=0
	v_add3_u32 v5, v5, v19, v18
	s_set_vgpr_msb 5                        ;  msbs: dst=0 src0=1 src1=1 src2=0
	v_mul_i32_i24_e32 v19, v37 /*v293*/, v129 /*v385*/
	s_set_vgpr_msb 64                       ;  msbs: dst=1 src0=0 src1=0 src2=0
	v_bfe_u32 v131 /*v387*/, v1, 24, 4
	s_set_vgpr_msb 5                        ;  msbs: dst=0 src0=1 src1=1 src2=0
	v_mul_i32_i24_e32 v18, v36 /*v292*/, v130 /*v386*/
	s_set_vgpr_msb 64                       ;  msbs: dst=1 src0=0 src1=0 src2=0
	v_bfe_u32 v132 /*v388*/, v1, 16, 4
	s_set_vgpr_msb 0                        ;  msbs: dst=0 src0=0 src1=0 src2=0
	v_add3_u32 v5, v5, v21, v20
	s_set_vgpr_msb 5                        ;  msbs: dst=0 src0=1 src1=1 src2=0
	v_mul_i32_i24_e32 v20, v39 /*v295*/, v131 /*v387*/
	v_mul_i32_i24_e32 v21, v38 /*v294*/, v132 /*v388*/
	s_set_vgpr_msb 0                        ;  msbs: dst=0 src0=0 src1=0 src2=0
	v_add3_u32 v5, v5, v19, v18
	s_delay_alu instid0(VALU_DEP_1)
	v_add3_u32 v18, v5, v21, v20
	ds_load_2addr_b32 v[4:5], v4 offset0:6 offset1:7
	s_wait_dscnt 0x0
	s_set_vgpr_msb 64                       ;  msbs: dst=1 src0=0 src1=0 src2=0
	v_bfe_u32 v133 /*v389*/, v4, 8, 4
	v_dual_lshrrev_b32 v139 /*v395*/, 28, v4 :: v_dual_bitop2_b32 v140 /*v396*/, 15, v4 bitop3:0x40
	v_bfe_u32 v141 /*v397*/, v4, 24, 4
	v_bfe_u32 v144 /*v400*/, v4, 16, 4
	s_set_vgpr_msb 5                        ;  msbs: dst=0 src0=1 src1=1 src2=0
	v_mul_i32_i24_e32 v20, v41 /*v297*/, v133 /*v389*/
	v_mul_i32_i24_e32 v19, v40 /*v296*/, v140 /*v396*/
	s_set_vgpr_msb 64                       ;  msbs: dst=1 src0=0 src1=0 src2=0
	v_dual_lshrrev_b32 v78 /*v334*/, 28, v5 :: v_dual_bitop2_b32 v146 /*v402*/, 15, v5 bitop3:0x40
	s_set_vgpr_msb 5                        ;  msbs: dst=0 src0=1 src1=1 src2=0
	v_mul_i32_i24_e32 v21, v13 /*v269*/, v141 /*v397*/
	v_mul_i32_i24_e32 v22, v12 /*v268*/, v144 /*v400*/
	s_set_vgpr_msb 0                        ;  msbs: dst=0 src0=0 src1=0 src2=0
	v_add3_u32 v18, v18, v20, v19
	s_set_vgpr_msb 64                       ;  msbs: dst=1 src0=0 src1=0 src2=0
	v_bfe_u32 v147 /*v403*/, v5, 8, 4
	s_set_vgpr_msb 1                        ;  msbs: dst=0 src0=1 src1=0 src2=0
	v_mul_i32_i24_e32 v19, v146 /*v402*/, v170
	s_set_vgpr_msb 64                       ;  msbs: dst=1 src0=0 src1=0 src2=0
	v_bfe_u32 v148 /*v404*/, v5, 16, 4
	v_bfe_u32 v75 /*v331*/, v5, 24, 4
	s_set_vgpr_msb 0                        ;  msbs: dst=0 src0=0 src1=0 src2=0
	v_add3_u32 v18, v18, v22, v21
	s_set_vgpr_msb 1                        ;  msbs: dst=0 src0=1 src1=0 src2=0
	v_mul_i32_i24_e32 v20, v147 /*v403*/, v169
	s_set_vgpr_msb 64                       ;  msbs: dst=1 src0=0 src1=0 src2=0
	v_bfe_u32 v143 /*v399*/, v5, 4, 4
	v_bfe_u32 v145 /*v401*/, v5, 12, 4
	;; [unrolled: 1-line block ×3, first 2 shown]
	s_set_vgpr_msb 0                        ;  msbs: dst=0 src0=0 src1=0 src2=0
	v_add_nc_u32_e32 v5, s8, v161
	s_set_vgpr_msb 64                       ;  msbs: dst=1 src0=0 src1=0 src2=0
	v_add3_u32 v185 /*v441*/, v18, v20, v19
	s_set_vgpr_msb 0                        ;  msbs: dst=0 src0=0 src1=0 src2=0
	ds_load_u16 v18, v9
	ds_load_u16 v9, v9 offset:8
	s_set_vgpr_msb 0x41                     ;  msbs: dst=1 src0=1 src1=0 src2=0
	v_mul_i32_i24_e32 v184 /*v440*/, v148 /*v404*/, v114
	v_mul_i32_i24_e32 v182 /*v438*/, v145 /*v401*/, v112
	s_set_vgpr_msb 0                        ;  msbs: dst=0 src0=0 src1=0 src2=0
	ds_load_2addr_b32 v[122:123], v5 offset1:1
	ds_load_2addr_b32 v[166:167], v5 offset0:2 offset1:3
	ds_load_2addr_b32 v[174:175], v5 offset0:4 offset1:5
	;; [unrolled: 1-line block ×3, first 2 shown]
	s_set_vgpr_msb 0x41                     ;  msbs: dst=1 src0=1 src1=0 src2=0
	v_mul_i32_i24_e32 v181 /*v437*/, v143 /*v399*/, v168
	s_set_vgpr_msb 0x44                     ;  msbs: dst=1 src0=0 src1=1 src2=0
	v_mul_i32_i24_e32 v246 /*v502*/, v2, v79 /*v335*/
	s_set_vgpr_msb 0x41                     ;  msbs: dst=1 src0=1 src1=0 src2=0
	v_mul_i32_i24_e32 v248 /*v504*/, v78 /*v334*/, v3
	s_wait_dscnt 0x5
	s_set_vgpr_msb 0                        ;  msbs: dst=0 src0=0 src1=0 src2=0
	v_lshrrev_b16 v19, 8, v18
	s_set_vgpr_msb 64                       ;  msbs: dst=1 src0=0 src1=0 src2=0
	v_and_b32_e32 v76 /*v332*/, 0xff, v18
	s_set_vgpr_msb 0                        ;  msbs: dst=0 src0=0 src1=0 src2=0
	v_lshrrev_b32_e32 v18, 4, v120
	s_wait_dscnt 0x4
	v_cvt_f32_ubyte0_e32 v116, v9
	s_wait_dscnt 0x3
	v_dual_lshrrev_b32 v201, 28, v123 :: v_dual_lshrrev_b32 v193, 28, v122
	s_wait_dscnt 0x2
	v_lshrrev_b32_e32 v208, 28, v166
	v_lshrrev_b16 v18, 8, v18
	v_lshrrev_b32_e32 v213, 28, v167
	s_set_vgpr_msb 64                       ;  msbs: dst=1 src0=0 src1=0 src2=0
	v_and_b32_e32 v81 /*v337*/, 15, v122
	s_wait_dscnt 0x1
	s_set_vgpr_msb 0                        ;  msbs: dst=0 src0=0 src1=0 src2=0
	v_lshrrev_b32_e32 v218, 28, v174
	s_set_vgpr_msb 64                       ;  msbs: dst=1 src0=0 src1=0 src2=0
	v_bfe_u32 v80 /*v336*/, v122, 8, 4
	v_and_b32_e32 v149 /*v405*/, 15, v18
	s_set_vgpr_msb 0                        ;  msbs: dst=0 src0=0 src1=0 src2=0
	v_lshrrev_b32_e32 v18, 4, v121
	s_set_vgpr_msb 64                       ;  msbs: dst=1 src0=0 src1=0 src2=0
	v_bfe_u32 v82 /*v338*/, v122, 16, 4
	v_bfe_u32 v83 /*v339*/, v122, 24, 4
	v_and_b32_e32 v77 /*v333*/, 0xffff, v19
	v_and_b32_e32 v84 /*v340*/, 15, v123
	s_set_vgpr_msb 0                        ;  msbs: dst=0 src0=0 src1=0 src2=0
	v_lshrrev_b16 v18, 8, v18
	s_set_vgpr_msb 5                        ;  msbs: dst=0 src0=1 src1=1 src2=0
	v_mul_i32_i24_e32 v19, v82 /*v338*/, v17 /*v273*/
	v_mul_i32_i24_e32 v20, v83 /*v339*/, v33 /*v289*/
	s_set_vgpr_msb 64                       ;  msbs: dst=1 src0=0 src1=0 src2=0
	v_bfe_u32 v85 /*v341*/, v123, 8, 4
	v_bfe_u32 v86 /*v342*/, v123, 16, 4
	v_and_b32_e32 v190 /*v446*/, 15, v18
	s_set_vgpr_msb 0                        ;  msbs: dst=0 src0=0 src1=0 src2=0
	v_lshrrev_b32_e32 v18, 4, v6
	s_set_vgpr_msb 64                       ;  msbs: dst=1 src0=0 src1=0 src2=0
	v_bfe_u32 v87 /*v343*/, v123, 24, 4
	v_and_b32_e32 v88 /*v344*/, 15, v166
	s_set_vgpr_msb 5                        ;  msbs: dst=0 src0=1 src1=1 src2=0
	v_mul_i32_i24_e32 v21, v86 /*v342*/, v21 /*v277*/
	s_set_vgpr_msb 64                       ;  msbs: dst=1 src0=0 src1=0 src2=0
	v_bfe_u32 v89 /*v345*/, v166, 8, 4
	s_set_vgpr_msb 0                        ;  msbs: dst=0 src0=0 src1=0 src2=0
	v_lshrrev_b16 v18, 8, v18
	s_set_vgpr_msb 5                        ;  msbs: dst=0 src0=1 src1=1 src2=0
	v_mul_i32_i24_e32 v22, v87 /*v343*/, v22 /*v278*/
	s_set_vgpr_msb 64                       ;  msbs: dst=1 src0=0 src1=0 src2=0
	v_bfe_u32 v90 /*v346*/, v166, 16, 4
	v_bfe_u32 v91 /*v347*/, v166, 24, 4
	v_and_b32_e32 v92 /*v348*/, 15, v167
	v_and_b32_e32 v189 /*v445*/, 15, v18
	s_set_vgpr_msb 0                        ;  msbs: dst=0 src0=0 src1=0 src2=0
	v_lshrrev_b32_e32 v18, 4, v7
	s_set_vgpr_msb 64                       ;  msbs: dst=1 src0=0 src1=0 src2=0
	v_bfe_u32 v93 /*v349*/, v167, 8, 4
	v_bfe_u32 v94 /*v350*/, v167, 16, 4
	;; [unrolled: 1-line block ×3, first 2 shown]
	v_and_b32_e32 v96 /*v352*/, 15, v174
	s_set_vgpr_msb 0                        ;  msbs: dst=0 src0=0 src1=0 src2=0
	v_lshrrev_b16 v18, 8, v18
	s_set_vgpr_msb 64                       ;  msbs: dst=1 src0=0 src1=0 src2=0
	v_bfe_u32 v97 /*v353*/, v174, 8, 4
	v_bfe_u32 v98 /*v354*/, v174, 24, 4
	;; [unrolled: 1-line block ×4, first 2 shown]
	v_and_b32_e32 v188 /*v444*/, 15, v18
	s_set_vgpr_msb 0                        ;  msbs: dst=0 src0=0 src1=0 src2=0
	v_lshrrev_b32_e32 v18, 4, v0
	s_set_vgpr_msb 64                       ;  msbs: dst=1 src0=0 src1=0 src2=0
	v_and_b32_e32 v101 /*v357*/, 15, v175
	v_bfe_u32 v102 /*v358*/, v175, 24, 4
	v_bfe_u32 v103 /*v359*/, v175, 16, 4
	s_wait_dscnt 0x0
	v_bfe_u32 v104 /*v360*/, v176, 8, 4
	s_set_vgpr_msb 0                        ;  msbs: dst=0 src0=0 src1=0 src2=0
	v_lshrrev_b16 v18, 8, v18
	s_set_vgpr_msb 64                       ;  msbs: dst=1 src0=0 src1=0 src2=0
	v_and_b32_e32 v105 /*v361*/, 15, v176
	v_bfe_u32 v106 /*v362*/, v176, 24, 4
	v_bfe_u32 v107 /*v363*/, v176, 16, 4
	v_and_b32_e32 v108 /*v364*/, 15, v177
	v_and_b32_e32 v187 /*v443*/, 15, v18
	s_set_vgpr_msb 0                        ;  msbs: dst=0 src0=0 src1=0 src2=0
	v_lshrrev_b32_e32 v18, 4, v1
	s_set_vgpr_msb 5                        ;  msbs: dst=0 src0=1 src1=1 src2=0
	v_mul_i32_i24_e32 v5, v40 /*v296*/, v105 /*v361*/
	s_set_vgpr_msb 0                        ;  msbs: dst=0 src0=0 src1=0 src2=0
	v_bfe_u32 v195, v177, 8, 4
	v_cvt_f32_ubyte1_e32 v118, v9
	v_add3_u32 v9, s9, v165, v137
	v_lshrrev_b16 v18, 8, v18
	v_bfe_u32 v189, v122, 4, 4
	v_bfe_u32 v187, v122, 20, 4
	;; [unrolled: 1-line block ×4, first 2 shown]
	s_set_vgpr_msb 64                       ;  msbs: dst=1 src0=0 src1=0 src2=0
	v_and_b32_e32 v186 /*v442*/, 15, v18
	s_set_vgpr_msb 0                        ;  msbs: dst=0 src0=0 src1=0 src2=0
	v_lshrrev_b32_e32 v18, 4, v4
	v_bfe_u32 v199, v123, 12, 4
	v_bfe_u32 v191, v123, 20, 4
	s_set_vgpr_msb 4                        ;  msbs: dst=0 src0=0 src1=1 src2=0
	v_mul_i32_i24_e32 v24, v201, v178 /*v434*/
	v_bfe_u32 v203, v166, 4, 4
	s_set_vgpr_msb 0                        ;  msbs: dst=0 src0=0 src1=0 src2=0
	v_lshrrev_b16 v18, 8, v18
	v_bfe_u32 v206, v166, 12, 4
	v_bfe_u32 v200, v166, 20, 4
	s_set_vgpr_msb 4                        ;  msbs: dst=0 src0=0 src1=1 src2=0
	v_mul_i32_i24_e32 v29, v208, v177 /*v433*/
	v_mul_i32_i24_e32 v25, v203, v156 /*v412*/
	s_set_vgpr_msb 64                       ;  msbs: dst=1 src0=0 src1=0 src2=0
	v_and_b32_e32 v183 /*v439*/, 15, v18
	s_set_vgpr_msb 5                        ;  msbs: dst=0 src0=1 src1=1 src2=0
	v_mul_i32_i24_e32 v18, v81 /*v337*/, v14 /*v270*/
	s_set_vgpr_msb 4                        ;  msbs: dst=0 src0=0 src1=1 src2=0
	v_mul_i32_i24_e32 v26, v206, v157 /*v413*/
	v_mul_i32_i24_e32 v28, v200, v158 /*v414*/
	v_bfe_u32 v210, v167, 4, 4
	v_bfe_u32 v212, v167, 12, 4
	s_set_vgpr_msb 5                        ;  msbs: dst=0 src0=1 src1=1 src2=0
	v_mad_i32_i24 v18, v80 /*v336*/, v18 /*v274*/, v18
	s_set_vgpr_msb 4                        ;  msbs: dst=0 src0=0 src1=1 src2=0
	v_bfe_u32 v207, v167, 20, 4
	v_mul_i32_i24_e32 v36, v213, v176 /*v432*/
	v_mul_i32_i24_e32 v30, v210, v160 /*v416*/
	;; [unrolled: 1-line block ×3, first 2 shown]
	s_set_vgpr_msb 0                        ;  msbs: dst=0 src0=0 src1=0 src2=0
	v_add3_u32 v18, v18, v19, v20
	s_set_vgpr_msb 5                        ;  msbs: dst=0 src0=1 src1=1 src2=0
	v_mul_i32_i24_e32 v19, v84 /*v340*/, v19 /*v275*/
	v_mul_i32_i24_e32 v20, v85 /*v341*/, v20 /*v276*/
	s_set_vgpr_msb 4                        ;  msbs: dst=0 src0=0 src1=1 src2=0
	v_mul_i32_i24_e32 v34, v207, v175 /*v431*/
	v_bfe_u32 v216, v174, 4, 4
	v_bfe_u32 v217, v174, 12, 4
	v_bfe_u32 v220, v174, 20, 4
	s_set_vgpr_msb 0                        ;  msbs: dst=0 src0=0 src1=0 src2=0
	v_add3_u32 v18, v18, v20, v19
	s_set_vgpr_msb 5                        ;  msbs: dst=0 src0=1 src1=1 src2=0
	v_mul_i32_i24_e32 v19, v88 /*v344*/, v23 /*v279*/
	v_mul_i32_i24_e32 v20, v89 /*v345*/, v24 /*v280*/
	s_set_vgpr_msb 4                        ;  msbs: dst=0 src0=0 src1=1 src2=0
	v_mul_i32_i24_e32 v38, v216, v162 /*v418*/
	v_mul_i32_i24_e32 v40, v217, v163 /*v419*/
	s_set_vgpr_msb 0                        ;  msbs: dst=0 src0=0 src1=0 src2=0
	v_add3_u32 v18, v18, v21, v22
	s_set_vgpr_msb 5                        ;  msbs: dst=0 src0=1 src1=1 src2=0
	v_mul_i32_i24_e32 v21, v90 /*v346*/, v25 /*v281*/
	v_mul_i32_i24_e32 v22, v91 /*v347*/, v26 /*v282*/
	s_set_vgpr_msb 1                        ;  msbs: dst=0 src0=1 src1=0 src2=0
	v_mul_i32_i24_e32 v42, v174 /*v430*/, v218
	v_mul_i32_i24_e32 v44, v164 /*v420*/, v220
	s_set_vgpr_msb 0                        ;  msbs: dst=0 src0=0 src1=0 src2=0
	v_add3_u32 v18, v18, v20, v19
	s_set_vgpr_msb 5                        ;  msbs: dst=0 src0=1 src1=1 src2=0
	v_mul_i32_i24_e32 v19, v92 /*v348*/, v27 /*v283*/
	v_mul_i32_i24_e32 v20, v93 /*v349*/, v28 /*v284*/
	s_set_vgpr_msb 0                        ;  msbs: dst=0 src0=0 src1=0 src2=0
	v_bfe_u32 v221, v175, 4, 4
	v_bfe_u32 v222, v175, 12, 4
	v_add3_u32 v18, v18, v21, v22
	s_set_vgpr_msb 5                        ;  msbs: dst=0 src0=1 src1=1 src2=0
	v_mul_i32_i24_e32 v21, v94 /*v350*/, v29 /*v285*/
	v_mul_i32_i24_e32 v22, v95 /*v351*/, v30 /*v286*/
	s_set_vgpr_msb 1                        ;  msbs: dst=0 src0=1 src1=0 src2=0
	v_mul_i32_i24_e32 v48, v165 /*v421*/, v221
	v_mul_i32_i24_e32 v46, v166 /*v422*/, v222
	s_set_vgpr_msb 0                        ;  msbs: dst=0 src0=0 src1=0 src2=0
	v_add3_u32 v18, v18, v20, v19
	s_set_vgpr_msb 5                        ;  msbs: dst=0 src0=1 src1=1 src2=0
	v_mul_i32_i24_e32 v19, v96 /*v352*/, v31 /*v287*/
	v_mul_i32_i24_e32 v20, v97 /*v353*/, v32 /*v288*/
	s_set_vgpr_msb 0                        ;  msbs: dst=0 src0=0 src1=0 src2=0
	v_dual_lshrrev_b32 v224, 28, v175 :: v_dual_lshrrev_b32 v233, 28, v176
	v_add3_u32 v18, v18, v21, v22
	s_set_vgpr_msb 5                        ;  msbs: dst=0 src0=1 src1=1 src2=0
	v_mul_i32_i24_e32 v21, v35 /*v291*/, v98 /*v354*/
	v_mul_i32_i24_e32 v22, v34 /*v290*/, v99 /*v355*/
	s_set_vgpr_msb 0                        ;  msbs: dst=0 src0=0 src1=0 src2=0
	v_bfe_u32 v227, v175, 20, 4
	s_set_vgpr_msb 1                        ;  msbs: dst=0 src0=1 src1=0 src2=0
	v_mul_i32_i24_e32 v52, v173 /*v429*/, v224
	s_set_vgpr_msb 0                        ;  msbs: dst=0 src0=0 src1=0 src2=0
	v_add3_u32 v18, v18, v20, v19
	s_set_vgpr_msb 5                        ;  msbs: dst=0 src0=1 src1=1 src2=0
	v_mul_i32_i24_e32 v19, v36 /*v292*/, v101 /*v357*/
	v_mul_i32_i24_e32 v20, v37 /*v293*/, v100 /*v356*/
	s_set_vgpr_msb 1                        ;  msbs: dst=0 src0=1 src1=0 src2=0
	v_mul_i32_i24_e32 v53, v167 /*v423*/, v227
	s_set_vgpr_msb 0                        ;  msbs: dst=0 src0=0 src1=0 src2=0
	v_bfe_u32 v229, v176, 4, 4
	v_add3_u32 v18, v18, v22, v21
	s_set_vgpr_msb 5                        ;  msbs: dst=0 src0=1 src1=1 src2=0
	v_mul_i32_i24_e32 v21, v39 /*v295*/, v102 /*v358*/
	v_mul_i32_i24_e32 v22, v38 /*v294*/, v103 /*v359*/
	s_set_vgpr_msb 0                        ;  msbs: dst=0 src0=0 src1=0 src2=0
	v_bfe_u32 v230, v176, 12, 4
	s_set_vgpr_msb 1                        ;  msbs: dst=0 src0=1 src1=0 src2=0
	v_mul_i32_i24_e32 v106, v169 /*v425*/, v229
	s_set_vgpr_msb 0                        ;  msbs: dst=0 src0=0 src1=0 src2=0
	v_add3_u32 v18, v18, v20, v19
	s_set_vgpr_msb 5                        ;  msbs: dst=0 src0=1 src1=1 src2=0
	v_mul_i32_i24_e32 v19, v41 /*v297*/, v104 /*v360*/
	v_mul_i32_i24_e32 v20, v13 /*v269*/, v106 /*v362*/
	s_set_vgpr_msb 1                        ;  msbs: dst=0 src0=1 src1=0 src2=0
	v_mul_i32_i24_e32 v55, v170 /*v426*/, v230
	s_set_vgpr_msb 0                        ;  msbs: dst=0 src0=0 src1=0 src2=0
	v_bfe_u32 v236, v176, 20, 4
	v_add3_u32 v18, v18, v22, v21
	s_set_vgpr_msb 5                        ;  msbs: dst=0 src0=1 src1=1 src2=0
	v_mul_i32_i24_e32 v21, v12 /*v268*/, v107 /*v363*/
	s_set_vgpr_msb 4                        ;  msbs: dst=0 src0=0 src1=1 src2=0
	v_mul_i32_i24_e32 v22, v191, v155 /*v411*/
	s_set_vgpr_msb 1                        ;  msbs: dst=0 src0=1 src1=0 src2=0
	v_mul_i32_i24_e32 v108, v172 /*v428*/, v233
	v_mul_i32_i24_e32 v110, v171 /*v427*/, v236
	s_set_vgpr_msb 0                        ;  msbs: dst=0 src0=0 src1=0 src2=0
	v_add3_u32 v5, v18, v19, v5
	s_set_vgpr_msb 1                        ;  msbs: dst=0 src0=1 src1=0 src2=0
	v_mul_i32_i24_e32 v19, v108 /*v364*/, v170
	v_lshrrev_b32_e32 v117, 28, v177
	s_set_vgpr_msb 0                        ;  msbs: dst=0 src0=0 src1=0 src2=0
	v_bfe_u32 v197, v177, 16, 4
	v_bfe_u32 v171, v177, 24, 4
	v_add3_u32 v18, v5, v21, v20
	v_mul_i32_i24_e32 v20, v195, v169
	s_set_vgpr_msb 4                        ;  msbs: dst=0 src0=0 src1=1 src2=0
	v_mul_i32_i24_e32 v21, v193, v180 /*v436*/
	v_bfe_u32 v239, v177, 4, 4
	v_bfe_u32 v241, v177, 12, 4
	;; [unrolled: 1-line block ×3, first 2 shown]
	s_set_vgpr_msb 64                       ;  msbs: dst=1 src0=0 src1=0 src2=0
	v_add3_u32 v191 /*v447*/, v18, v20, v19
	s_set_vgpr_msb 4                        ;  msbs: dst=0 src0=0 src1=1 src2=0
	ds_load_u16 v18, v9
	ds_load_u16 v9, v9 offset:8
	v_mul_i32_i24_e32 v20, v187, v179 /*v435*/
	s_set_vgpr_msb 0                        ;  msbs: dst=0 src0=0 src1=0 src2=0
	v_mul_i32_i24_e32 v5, v197, v114
	s_set_vgpr_msb 64                       ;  msbs: dst=1 src0=0 src1=0 src2=0
	v_mul_i32_i24_e32 v193 /*v449*/, v241, v112
	v_mul_i32_i24_e32 v192 /*v448*/, v239, v168
	s_set_vgpr_msb 0x44                     ;  msbs: dst=1 src0=0 src1=1 src2=0
	v_and_b32_e32 v149 /*v405*/, 0xffff, v149 /*v405*/
	s_wait_dscnt 0x1
	s_set_vgpr_msb 0                        ;  msbs: dst=0 src0=0 src1=0 src2=0
	v_lshrrev_b16 v19, 8, v18
	v_and_b32_e32 v172, 0xff, v18
	s_set_vgpr_msb 4                        ;  msbs: dst=0 src0=0 src1=1 src2=0
	v_mul_i32_i24_e32 v18, v189, v152 /*v408*/
	s_wait_dscnt 0x0
	v_cvt_f32_ubyte0_e32 v104, v9
	s_set_vgpr_msb 0                        ;  msbs: dst=0 src0=0 src1=0 src2=0
	v_and_b32_e32 v122, 0xffff, v19
	s_set_vgpr_msb 4                        ;  msbs: dst=0 src0=0 src1=1 src2=0
	v_mad_i32_i24 v18, v188, v151 /*v407*/, v18
	s_set_vgpr_msb 0                        ;  msbs: dst=0 src0=0 src1=0 src2=0
	s_delay_alu instid0(VALU_DEP_1) | instskip(SKIP_4) | instid1(VALU_DEP_1)
	v_add3_u32 v18, v18, v20, v21
	s_set_vgpr_msb 4                        ;  msbs: dst=0 src0=0 src1=1 src2=0
	v_mul_i32_i24_e32 v20, v198, v153 /*v409*/
	v_mul_i32_i24_e32 v21, v199, v154 /*v410*/
	s_set_vgpr_msb 0                        ;  msbs: dst=0 src0=0 src1=0 src2=0
	v_add3_u32 v18, v18, v20, v21
	s_delay_alu instid0(VALU_DEP_1) | instskip(NEXT) | instid1(VALU_DEP_1)
	v_add3_u32 v18, v18, v22, v24
	v_add3_u32 v18, v18, v25, v26
	s_delay_alu instid0(VALU_DEP_1) | instskip(NEXT) | instid1(VALU_DEP_1)
	v_add3_u32 v18, v18, v28, v29
	;; [unrolled: 3-line block ×5, first 2 shown]
	v_add3_u32 v18, v18, v106, v55
	v_cvt_f32_ubyte1_e32 v106, v9
	v_add3_u32 v9, s9, v158, v138
	s_set_vgpr_msb 64                       ;  msbs: dst=1 src0=0 src1=0 src2=0
	s_delay_alu instid0(VALU_DEP_3)
	v_add3_u32 v194 /*v450*/, v18, v110, v108
	s_set_vgpr_msb 0                        ;  msbs: dst=0 src0=0 src1=0 src2=0
	v_add_nc_u32_e32 v18, s8, v162
	ds_load_2addr_b32 v[166:167], v18 offset1:1
	ds_load_2addr_b32 v[252:253], v18 offset0:2 offset1:3
	s_set_vgpr_msb 64                       ;  msbs: dst=1 src0=0 src1=0 src2=0
	ds_load_2addr_b32 v[4:5] /*v[260:261]*/, v18 offset0:4 offset1:5
	ds_load_2addr_b32 v[42:43] /*v[298:299]*/, v18 offset0:6 offset1:7
	s_wait_dscnt 0x3
	s_set_vgpr_msb 0                        ;  msbs: dst=0 src0=0 src1=0 src2=0
	v_dual_lshrrev_b32 v238, 28, v166 :: v_dual_bitop2_b32 v176, 15, v166 bitop3:0x40
	v_bfe_u32 v175, v166, 8, 4
	v_bfe_u32 v177, v166, 16, 4
	;; [unrolled: 1-line block ×3, first 2 shown]
	s_set_vgpr_msb 4                        ;  msbs: dst=0 src0=0 src1=1 src2=0
	v_mul_i32_i24_e32 v19, v176, v14 /*v270*/
	s_set_vgpr_msb 0                        ;  msbs: dst=0 src0=0 src1=0 src2=0
	v_dual_lshrrev_b32 v246, 28, v167 :: v_dual_bitop2_b32 v179, 15, v167 bitop3:0x40
	s_set_vgpr_msb 4                        ;  msbs: dst=0 src0=0 src1=1 src2=0
	v_mul_i32_i24_e32 v20, v177, v17 /*v273*/
	v_mul_i32_i24_e32 v21, v178, v33 /*v289*/
	v_mad_i32_i24 v19, v175, v18 /*v274*/, v19
	v_bfe_u32 v180, v167, 8, 4
	v_bfe_u32 v181, v167, 16, 4
	;; [unrolled: 1-line block ×3, first 2 shown]
	s_wait_dscnt 0x2
	s_set_vgpr_msb 0                        ;  msbs: dst=0 src0=0 src1=0 src2=0
	v_dual_lshrrev_b32 v250, 28, v252 :: v_dual_bitop2_b32 v183, 15, v252 bitop3:0x40
	v_add3_u32 v19, v19, v20, v21
	s_set_vgpr_msb 4                        ;  msbs: dst=0 src0=0 src1=1 src2=0
	v_mul_i32_i24_e32 v20, v179, v19 /*v275*/
	v_mul_i32_i24_e32 v21, v180, v20 /*v276*/
	;; [unrolled: 1-line block ×4, first 2 shown]
	v_bfe_u32 v184, v252, 8, 4
	v_bfe_u32 v185, v252, 16, 4
	s_set_vgpr_msb 0                        ;  msbs: dst=0 src0=0 src1=0 src2=0
	v_add3_u32 v19, v19, v21, v20
	s_set_vgpr_msb 4                        ;  msbs: dst=0 src0=0 src1=1 src2=0
	v_mul_i32_i24_e32 v20, v183, v23 /*v279*/
	v_bfe_u32 v186, v252, 24, 4
	v_mul_i32_i24_e32 v21, v184, v24 /*v280*/
	s_set_vgpr_msb 0                        ;  msbs: dst=0 src0=0 src1=0 src2=0
	v_and_b32_e32 v190, 15, v253
	v_add3_u32 v19, v19, v22, v24
	s_set_vgpr_msb 4                        ;  msbs: dst=0 src0=0 src1=1 src2=0
	v_mul_i32_i24_e32 v22, v185, v25 /*v281*/
	v_mul_i32_i24_e32 v24, v186, v26 /*v282*/
	v_bfe_u32 v192, v253, 8, 4
	v_bfe_u32 v194, v253, 16, 4
	s_set_vgpr_msb 0                        ;  msbs: dst=0 src0=0 src1=0 src2=0
	v_add3_u32 v19, v19, v21, v20
	v_bfe_u32 v196, v253, 24, 4
	v_bfe_u32 v245, v252, 20, 4
	s_set_vgpr_msb 4                        ;  msbs: dst=0 src0=0 src1=1 src2=0
	v_mul_i32_i24_e32 v21, v192, v28 /*v284*/
	v_bfe_u32 v247, v252, 4, 4
	s_set_vgpr_msb 0                        ;  msbs: dst=0 src0=0 src1=0 src2=0
	v_add3_u32 v19, v19, v22, v24
	v_bfe_u32 v248, v252, 12, 4
	v_bfe_u32 v249, v253, 20, 4
	;; [unrolled: 1-line block ×4, first 2 shown]
	v_lshrrev_b32_e32 v253, 28, v253
	s_set_vgpr_msb 4                        ;  msbs: dst=0 src0=0 src1=1 src2=0
	v_mul_i32_i24_e32 v20, v190, v27 /*v283*/
	v_mul_i32_i24_e32 v22, v194, v29 /*v285*/
	;; [unrolled: 1-line block ×3, first 2 shown]
	s_wait_dscnt 0x0
	v_dual_lshrrev_b32 v123, 28, v43 /*v299*/ :: v_dual_bitop2_b32 v202, 15, v4 /*v260*/ bitop3:0x40
	s_set_vgpr_msb 0                        ;  msbs: dst=0 src0=0 src1=0 src2=0
	v_add3_u32 v19, v19, v21, v20
	s_set_vgpr_msb 1                        ;  msbs: dst=0 src0=1 src1=0 src2=0
	v_bfe_u32 v204, v4 /*v260*/, 8, 4
	v_bfe_u32 v205, v4 /*v260*/, 24, 4
	s_set_vgpr_msb 4                        ;  msbs: dst=0 src0=0 src1=1 src2=0
	v_mul_i32_i24_e32 v20, v202, v31 /*v287*/
	s_set_vgpr_msb 1                        ;  msbs: dst=0 src0=1 src1=0 src2=0
	v_bfe_u32 v209, v4 /*v260*/, 16, 4
	s_set_vgpr_msb 0                        ;  msbs: dst=0 src0=0 src1=0 src2=0
	v_add3_u32 v19, v19, v22, v24
	s_set_vgpr_msb 4                        ;  msbs: dst=0 src0=0 src1=1 src2=0
	v_mul_i32_i24_e32 v21, v204, v32 /*v288*/
	s_set_vgpr_msb 1                        ;  msbs: dst=0 src0=1 src1=0 src2=0
	v_mul_i32_i24_e32 v22, v35 /*v291*/, v205
	v_bfe_u32 v211, v5 /*v261*/, 8, 4
	v_mul_i32_i24_e32 v24, v34 /*v290*/, v209
	s_set_vgpr_msb 4                        ;  msbs: dst=0 src0=0 src1=1 src2=0
	v_and_b32_e32 v214, 15, v5 /*v261*/
	s_set_vgpr_msb 0                        ;  msbs: dst=0 src0=0 src1=0 src2=0
	v_add3_u32 v19, v19, v21, v20
	s_set_vgpr_msb 1                        ;  msbs: dst=0 src0=1 src1=0 src2=0
	v_bfe_u32 v215, v5 /*v261*/, 24, 4
	v_mul_i32_i24_e32 v21, v37 /*v293*/, v211
	v_bfe_u32 v219, v5 /*v261*/, 16, 4
	v_mul_i32_i24_e32 v20, v36 /*v292*/, v214
	s_set_vgpr_msb 0                        ;  msbs: dst=0 src0=0 src1=0 src2=0
	v_add3_u32 v19, v19, v24, v22
	s_set_vgpr_msb 1                        ;  msbs: dst=0 src0=1 src1=0 src2=0
	v_mul_i32_i24_e32 v22, v39 /*v295*/, v215
	v_bfe_u32 v223, v42 /*v298*/, 8, 4
	v_mul_i32_i24_e32 v24, v38 /*v294*/, v219
	s_set_vgpr_msb 4                        ;  msbs: dst=0 src0=0 src1=1 src2=0
	v_and_b32_e32 v225, 15, v42 /*v298*/
	s_set_vgpr_msb 0                        ;  msbs: dst=0 src0=0 src1=0 src2=0
	v_add3_u32 v19, v19, v21, v20
	s_set_vgpr_msb 1                        ;  msbs: dst=0 src0=1 src1=0 src2=0
	v_bfe_u32 v226, v42 /*v298*/, 24, 4
	v_mul_i32_i24_e32 v20, v41 /*v297*/, v223
	v_bfe_u32 v231, v42 /*v298*/, 16, 4
	v_mul_i32_i24_e32 v18, v40 /*v296*/, v225
	s_set_vgpr_msb 0                        ;  msbs: dst=0 src0=0 src1=0 src2=0
	v_add3_u32 v19, v19, v24, v22
	s_set_vgpr_msb 1                        ;  msbs: dst=0 src0=1 src1=0 src2=0
	v_mul_i32_i24_e32 v21, v13 /*v269*/, v226
	s_set_vgpr_msb 4                        ;  msbs: dst=0 src0=0 src1=1 src2=0
	v_and_b32_e32 v237, 15, v43 /*v299*/
	s_set_vgpr_msb 1                        ;  msbs: dst=0 src0=1 src1=0 src2=0
	v_mul_i32_i24_e32 v22, v12 /*v268*/, v231
	v_bfe_u32 v240, v43 /*v299*/, 8, 4
	s_set_vgpr_msb 0                        ;  msbs: dst=0 src0=0 src1=0 src2=0
	v_add3_u32 v18, v19, v20, v18
	v_bfe_u32 v234, v166, 4, 4
	v_mul_i32_i24_e32 v19, v237, v170
	v_bfe_u32 v228, v166, 20, 4
	v_mul_i32_i24_e32 v20, v240, v169
	v_add3_u32 v18, v18, v22, v21
	v_bfe_u32 v232, v166, 12, 4
	s_set_vgpr_msb 4                        ;  msbs: dst=0 src0=0 src1=1 src2=0
	v_mul_i32_i24_e32 v21, v238, v180 /*v436*/
	v_bfe_u32 v243, v167, 4, 4
	v_bfe_u32 v244, v167, 12, 4
	s_set_vgpr_msb 64                       ;  msbs: dst=1 src0=0 src1=0 src2=0
	v_add3_u32 v196 /*v452*/, v18, v20, v19
	s_set_vgpr_msb 4                        ;  msbs: dst=0 src0=0 src1=1 src2=0
	ds_load_u16 v18, v9
	ds_load_u16 v9, v9 offset:8
	v_mul_i32_i24_e32 v20, v228, v179 /*v435*/
	v_bfe_u32 v235, v167, 20, 4
	v_mul_i32_i24_e32 v24, v246, v178 /*v434*/
	v_mul_i32_i24_e32 v25, v247, v156 /*v412*/
	v_mul_i32_i24_e32 v26, v248, v157 /*v413*/
	v_mul_i32_i24_e32 v28, v245, v158 /*v414*/
	v_mul_i32_i24_e32 v22, v235, v155 /*v411*/
	v_mul_i32_i24_e32 v29, v250, v177 /*v433*/
	v_mul_i32_i24_e32 v30, v251, v160 /*v416*/
	v_mul_i32_i24_e32 v32, v252, v161 /*v417*/
	v_mul_i32_i24_e32 v34, v249, v175 /*v431*/
	v_mul_i32_i24_e32 v36, v253, v176 /*v432*/
	s_set_vgpr_msb 1                        ;  msbs: dst=0 src0=1 src1=0 src2=0
	v_bfe_u32 v254, v4 /*v260*/, 4, 4
	v_bfe_u32 v255, v4 /*v260*/, 12, 4
	s_set_vgpr_msb 0x44                     ;  msbs: dst=1 src0=0 src1=1 src2=0
	v_lshrrev_b32_e32 v0 /*v256*/, 28, v4 /*v260*/
	s_set_vgpr_msb 0x41                     ;  msbs: dst=1 src0=1 src1=0 src2=0
	v_bfe_u32 v1 /*v257*/, v4 /*v260*/, 20, 4
	v_bfe_u32 v2 /*v258*/, v5 /*v261*/, 4, 4
	s_set_vgpr_msb 4                        ;  msbs: dst=0 src0=0 src1=1 src2=0
	v_mul_i32_i24_e32 v38, v254, v162 /*v418*/
	s_wait_dscnt 0x1
	s_set_vgpr_msb 0                        ;  msbs: dst=0 src0=0 src1=0 src2=0
	v_lshrrev_b16 v19, 8, v18
	v_and_b32_e32 v174, 0xff, v18
	s_set_vgpr_msb 4                        ;  msbs: dst=0 src0=0 src1=1 src2=0
	v_mul_i32_i24_e32 v18, v234, v152 /*v408*/
	v_mul_i32_i24_e32 v40, v255, v163 /*v419*/
	s_set_vgpr_msb 5                        ;  msbs: dst=0 src0=1 src1=1 src2=0
	v_mul_i32_i24_e32 v44, v164 /*v420*/, v1 /*v257*/
	s_set_vgpr_msb 0x41                     ;  msbs: dst=1 src0=1 src1=0 src2=0
	v_bfe_u32 v3 /*v259*/, v5 /*v261*/, 12, 4
	s_set_vgpr_msb 0x44                     ;  msbs: dst=1 src0=0 src1=1 src2=0
	v_lshrrev_b32_e32 v4 /*v260*/, 28, v5 /*v261*/
	s_set_vgpr_msb 4                        ;  msbs: dst=0 src0=0 src1=1 src2=0
	v_mad_i32_i24 v18, v232, v151 /*v407*/, v18
	s_set_vgpr_msb 5                        ;  msbs: dst=0 src0=1 src1=1 src2=0
	v_mul_i32_i24_e32 v42, v174 /*v430*/, v0 /*v256*/
	v_mul_i32_i24_e32 v48, v165 /*v421*/, v2 /*v258*/
	;; [unrolled: 1-line block ×3, first 2 shown]
	s_set_vgpr_msb 0x41                     ;  msbs: dst=1 src0=1 src1=0 src2=0
	v_bfe_u32 v5 /*v261*/, v5 /*v261*/, 20, 4
	s_set_vgpr_msb 0                        ;  msbs: dst=0 src0=0 src1=0 src2=0
	v_add3_u32 v18, v18, v20, v21
	s_set_vgpr_msb 4                        ;  msbs: dst=0 src0=0 src1=1 src2=0
	v_mul_i32_i24_e32 v20, v243, v153 /*v409*/
	v_mul_i32_i24_e32 v21, v244, v154 /*v410*/
	s_set_vgpr_msb 5                        ;  msbs: dst=0 src0=1 src1=1 src2=0
	v_mul_i32_i24_e32 v52, v173 /*v429*/, v4 /*v260*/
	v_mul_i32_i24_e32 v53, v167 /*v423*/, v5 /*v261*/
	s_set_vgpr_msb 0x41                     ;  msbs: dst=1 src0=1 src1=0 src2=0
	v_bfe_u32 v6 /*v262*/, v42 /*v298*/, 4, 4
	v_bfe_u32 v7 /*v263*/, v42 /*v298*/, 12, 4
	s_set_vgpr_msb 0                        ;  msbs: dst=0 src0=0 src1=0 src2=0
	v_add3_u32 v18, v18, v20, v21
	s_set_vgpr_msb 0x44                     ;  msbs: dst=1 src0=0 src1=1 src2=0
	v_lshrrev_b32_e32 v8 /*v264*/, 28, v42 /*v298*/
	s_set_vgpr_msb 0x41                     ;  msbs: dst=1 src0=1 src1=0 src2=0
	v_bfe_u32 v9 /*v265*/, v42 /*v298*/, 20, 4
	s_set_vgpr_msb 5                        ;  msbs: dst=0 src0=1 src1=1 src2=0
	v_mul_i32_i24_e32 v110, v169 /*v425*/, v6 /*v262*/
	v_mul_i32_i24_e32 v55, v170 /*v426*/, v7 /*v263*/
	s_set_vgpr_msb 0                        ;  msbs: dst=0 src0=0 src1=0 src2=0
	v_add3_u32 v18, v18, v22, v24
	s_set_vgpr_msb 5                        ;  msbs: dst=0 src0=1 src1=1 src2=0
	v_mul_i32_i24_e32 v141, v172 /*v428*/, v8 /*v264*/
	v_mul_i32_i24_e32 v142, v171 /*v427*/, v9 /*v265*/
	s_set_vgpr_msb 0                        ;  msbs: dst=0 src0=0 src1=0 src2=0
	v_and_b32_e32 v167, 0xffff, v19
	s_wait_dscnt 0x0
	v_cvt_f32_ubyte0_e32 v108, v9
	v_add3_u32 v18, v18, v25, v26
	s_set_vgpr_msb 1                        ;  msbs: dst=0 src0=1 src1=0 src2=0
	v_bfe_u32 v242, v43 /*v299*/, 16, 4
	v_bfe_u32 v173, v43 /*v299*/, 24, 4
	s_set_vgpr_msb 0x41                     ;  msbs: dst=1 src0=1 src1=0 src2=0
	v_bfe_u32 v10 /*v266*/, v43 /*v299*/, 4, 4
	v_bfe_u32 v11 /*v267*/, v43 /*v299*/, 12, 4
	s_set_vgpr_msb 0                        ;  msbs: dst=0 src0=0 src1=0 src2=0
	v_add3_u32 v18, v18, v28, v29
	s_set_vgpr_msb 1                        ;  msbs: dst=0 src0=1 src1=0 src2=0
	v_bfe_u32 v166, v43 /*v299*/, 20, 4
	s_set_vgpr_msb 64                       ;  msbs: dst=1 src0=0 src1=0 src2=0
	v_mul_i32_i24_e32 v195 /*v451*/, v242, v114
	s_set_vgpr_msb 0x41                     ;  msbs: dst=1 src0=1 src1=0 src2=0
	v_mul_i32_i24_e32 v197 /*v453*/, v10 /*v266*/, v168
	v_mul_i32_i24_e32 v198 /*v454*/, v11 /*v267*/, v112
	s_set_vgpr_msb 0                        ;  msbs: dst=0 src0=0 src1=0 src2=0
	v_add3_u32 v18, v18, v30, v32
	s_delay_alu instid0(VALU_DEP_1) | instskip(NEXT) | instid1(VALU_DEP_1)
	v_add3_u32 v18, v18, v34, v36
	v_add3_u32 v18, v18, v38, v40
	s_delay_alu instid0(VALU_DEP_1) | instskip(NEXT) | instid1(VALU_DEP_1)
	v_add3_u32 v18, v18, v44, v42
	;; [unrolled: 3-line block ×3, first 2 shown]
	v_add3_u32 v18, v18, v110, v55
	v_cvt_f32_ubyte1_e32 v110, v9
	v_add3_u32 v9, s9, v159, v139
	s_set_vgpr_msb 64                       ;  msbs: dst=1 src0=0 src1=0 src2=0
	s_delay_alu instid0(VALU_DEP_3)
	v_add3_u32 v199 /*v455*/, v18, v142, v141
	s_set_vgpr_msb 0                        ;  msbs: dst=0 src0=0 src1=0 src2=0
	v_add_nc_u32_e32 v18, s8, v163
	s_set_vgpr_msb 0x44                     ;  msbs: dst=1 src0=0 src1=1 src2=0
	ds_load_2addr_b32 v[52:53] /*v[308:309]*/, v18 offset1:1
	ds_load_2addr_b32 v[60:61] /*v[316:317]*/, v18 offset0:2 offset1:3
	ds_load_2addr_b32 v[68:69] /*v[324:325]*/, v18 offset0:4 offset1:5
	;; [unrolled: 1-line block ×3, first 2 shown]
	s_wait_dscnt 0x3
	v_and_b32_e32 v15 /*v271*/, 15, v52 /*v308*/
	s_set_vgpr_msb 0x41                     ;  msbs: dst=1 src0=1 src1=0 src2=0
	v_bfe_u32 v16 /*v272*/, v52 /*v308*/, 16, 4
	s_set_vgpr_msb 0x44                     ;  msbs: dst=1 src0=0 src1=1 src2=0
	v_lshrrev_b32_e32 v47 /*v303*/, 28, v52 /*v308*/
	s_set_vgpr_msb 0x41                     ;  msbs: dst=1 src0=1 src1=0 src2=0
	v_bfe_u32 v45 /*v301*/, v53 /*v309*/, 20, 4
	v_bfe_u32 v50 /*v306*/, v53 /*v309*/, 4, 4
	s_set_vgpr_msb 5                        ;  msbs: dst=0 src0=1 src1=1 src2=0
	v_mul_i32_i24_e32 v19, v15 /*v271*/, v14 /*v270*/
	s_set_vgpr_msb 0x41                     ;  msbs: dst=1 src0=1 src1=0 src2=0
	v_bfe_u32 v14 /*v270*/, v52 /*v308*/, 8, 4
	s_set_vgpr_msb 5                        ;  msbs: dst=0 src0=1 src1=1 src2=0
	v_mul_i32_i24_e32 v20, v16 /*v272*/, v17 /*v273*/
	s_set_vgpr_msb 0x41                     ;  msbs: dst=1 src0=1 src1=0 src2=0
	v_bfe_u32 v17 /*v273*/, v52 /*v308*/, 24, 4
	v_bfe_u32 v51 /*v307*/, v53 /*v309*/, 12, 4
	s_wait_dscnt 0x2
	s_set_vgpr_msb 0x44                     ;  msbs: dst=1 src0=0 src1=1 src2=0
	v_lshrrev_b32_e32 v57 /*v313*/, 28, v60 /*v316*/
	s_set_vgpr_msb 5                        ;  msbs: dst=0 src0=1 src1=1 src2=0
	v_mad_i32_i24 v19, v14 /*v270*/, v18 /*v274*/, v19
	s_set_vgpr_msb 0x44                     ;  msbs: dst=1 src0=0 src1=1 src2=0
	v_and_b32_e32 v18 /*v274*/, 15, v53 /*v309*/
	s_set_vgpr_msb 5                        ;  msbs: dst=0 src0=1 src1=1 src2=0
	v_mul_i32_i24_e32 v21, v17 /*v273*/, v33 /*v289*/
	s_wait_dscnt 0x1
	s_set_vgpr_msb 0x41                     ;  msbs: dst=1 src0=1 src1=0 src2=0
	v_bfe_u32 v33 /*v289*/, v68 /*v324*/, 16, 4
	s_set_vgpr_msb 0x44                     ;  msbs: dst=1 src0=0 src1=1 src2=0
	v_lshrrev_b32_e32 v63 /*v319*/, 28, v68 /*v324*/
	s_wait_dscnt 0x0
	s_set_vgpr_msb 0x41                     ;  msbs: dst=1 src0=1 src1=0 src2=0
	v_bfe_u32 v42 /*v298*/, v204 /*v460*/, 16, 4
	s_set_vgpr_msb 0x44                     ;  msbs: dst=1 src0=0 src1=1 src2=0
	v_lshrrev_b32_e32 v67 /*v323*/, 28, v69 /*v325*/
	s_set_vgpr_msb 0                        ;  msbs: dst=0 src0=0 src1=0 src2=0
	v_add3_u32 v19, v19, v20, v21
	s_set_vgpr_msb 5                        ;  msbs: dst=0 src0=1 src1=1 src2=0
	v_mul_i32_i24_e32 v20, v18 /*v274*/, v19 /*v275*/
	s_set_vgpr_msb 0x41                     ;  msbs: dst=1 src0=1 src1=0 src2=0
	v_bfe_u32 v19 /*v275*/, v53 /*v309*/, 8, 4
	s_set_vgpr_msb 0x44                     ;  msbs: dst=1 src0=0 src1=1 src2=0
	v_dual_lshrrev_b32 v71 /*v327*/, 28, v204 /*v460*/ :: v_dual_bitop2_b32 v46 /*v302*/, 15, v205 /*v461*/ bitop3:0x40
	s_set_vgpr_msb 0x41                     ;  msbs: dst=1 src0=1 src1=0 src2=0
	v_bfe_u32 v48 /*v304*/, v205 /*v461*/, 8, 4
	v_bfe_u32 v44 /*v300*/, v52 /*v308*/, 4, 4
	s_set_vgpr_msb 5                        ;  msbs: dst=0 src0=1 src1=1 src2=0
	v_mul_i32_i24_e32 v21, v19 /*v275*/, v20 /*v276*/
	s_set_vgpr_msb 0x41                     ;  msbs: dst=1 src0=1 src1=0 src2=0
	v_bfe_u32 v20 /*v276*/, v53 /*v309*/, 16, 4
	v_bfe_u32 v43 /*v299*/, v52 /*v308*/, 12, 4
	;; [unrolled: 1-line block ×4, first 2 shown]
	s_set_vgpr_msb 0                        ;  msbs: dst=0 src0=0 src1=0 src2=0
	v_add3_u32 v19, v19, v21, v20
	s_set_vgpr_msb 5                        ;  msbs: dst=0 src0=1 src1=1 src2=0
	v_mul_i32_i24_e32 v22, v20 /*v276*/, v21 /*v277*/
	s_set_vgpr_msb 0x41                     ;  msbs: dst=1 src0=1 src1=0 src2=0
	v_bfe_u32 v21 /*v277*/, v53 /*v309*/, 24, 4
	s_set_vgpr_msb 0x44                     ;  msbs: dst=1 src0=0 src1=1 src2=0
	v_lshrrev_b32_e32 v53 /*v309*/, 28, v53 /*v309*/
	s_set_vgpr_msb 5                        ;  msbs: dst=0 src0=1 src1=1 src2=0
	v_mul_i32_i24_e32 v25, v54 /*v310*/, v156 /*v412*/
	v_mul_i32_i24_e32 v26, v55 /*v311*/, v157 /*v413*/
	;; [unrolled: 1-line block ×4, first 2 shown]
	s_set_vgpr_msb 0x44                     ;  msbs: dst=1 src0=0 src1=1 src2=0
	v_and_b32_e32 v22 /*v278*/, 15, v60 /*v316*/
	s_set_vgpr_msb 0x41                     ;  msbs: dst=1 src0=1 src1=0 src2=0
	v_bfe_u32 v58 /*v314*/, v61 /*v317*/, 4, 4
	v_bfe_u32 v59 /*v315*/, v61 /*v317*/, 12, 4
	;; [unrolled: 1-line block ×3, first 2 shown]
	s_set_vgpr_msb 0                        ;  msbs: dst=0 src0=0 src1=0 src2=0
	v_add3_u32 v19, v19, v22, v24
	s_set_vgpr_msb 5                        ;  msbs: dst=0 src0=1 src1=1 src2=0
	v_mul_i32_i24_e32 v20, v22 /*v278*/, v23 /*v279*/
	s_set_vgpr_msb 0x41                     ;  msbs: dst=1 src0=1 src1=0 src2=0
	v_bfe_u32 v23 /*v279*/, v60 /*v316*/, 8, 4
	s_set_vgpr_msb 5                        ;  msbs: dst=0 src0=1 src1=1 src2=0
	v_mul_i32_i24_e32 v30, v58 /*v314*/, v160 /*v416*/
	v_mul_i32_i24_e32 v32, v59 /*v315*/, v161 /*v417*/
	;; [unrolled: 1-line block ×3, first 2 shown]
	s_set_vgpr_msb 0x41                     ;  msbs: dst=1 src0=1 src1=0 src2=0
	v_bfe_u32 v62 /*v318*/, v68 /*v324*/, 12, 4
	s_set_vgpr_msb 5                        ;  msbs: dst=0 src0=1 src1=1 src2=0
	v_mul_i32_i24_e32 v21, v23 /*v279*/, v24 /*v280*/
	s_set_vgpr_msb 0x41                     ;  msbs: dst=1 src0=1 src1=0 src2=0
	v_bfe_u32 v24 /*v280*/, v60 /*v316*/, 16, 4
	v_bfe_u32 v64 /*v320*/, v68 /*v324*/, 20, 4
	s_set_vgpr_msb 5                        ;  msbs: dst=0 src0=1 src1=1 src2=0
	v_mul_i32_i24_e32 v42, v174 /*v430*/, v63 /*v319*/
	v_mul_i32_i24_e32 v40, v62 /*v318*/, v163 /*v419*/
	s_set_vgpr_msb 0                        ;  msbs: dst=0 src0=0 src1=0 src2=0
	v_add3_u32 v19, v19, v21, v20
	s_set_vgpr_msb 5                        ;  msbs: dst=0 src0=1 src1=1 src2=0
	v_mul_i32_i24_e32 v22, v24 /*v280*/, v25 /*v281*/
	s_set_vgpr_msb 0x41                     ;  msbs: dst=1 src0=1 src1=0 src2=0
	v_bfe_u32 v25 /*v281*/, v60 /*v316*/, 24, 4
	s_set_vgpr_msb 5                        ;  msbs: dst=0 src0=1 src1=1 src2=0
	v_mul_i32_i24_e32 v44, v164 /*v420*/, v64 /*v320*/
	s_set_vgpr_msb 0x41                     ;  msbs: dst=1 src0=1 src1=0 src2=0
	v_bfe_u32 v65 /*v321*/, v69 /*v325*/, 4, 4
	v_bfe_u32 v66 /*v322*/, v69 /*v325*/, 12, 4
	s_set_vgpr_msb 5                        ;  msbs: dst=0 src0=1 src1=1 src2=0
	v_mul_i32_i24_e32 v52, v173 /*v429*/, v67 /*v323*/
	v_mul_i32_i24_e32 v24, v25 /*v281*/, v26 /*v282*/
	s_set_vgpr_msb 0x44                     ;  msbs: dst=1 src0=0 src1=1 src2=0
	v_and_b32_e32 v26 /*v282*/, 15, v61 /*v317*/
	s_set_vgpr_msb 5                        ;  msbs: dst=0 src0=1 src1=1 src2=0
	v_mul_i32_i24_e32 v48, v165 /*v421*/, v65 /*v321*/
	v_mul_i32_i24_e32 v46, v166 /*v422*/, v66 /*v322*/
	s_set_vgpr_msb 0x41                     ;  msbs: dst=1 src0=1 src1=0 src2=0
	v_bfe_u32 v70 /*v326*/, v204 /*v460*/, 12, 4
	s_set_vgpr_msb 0                        ;  msbs: dst=0 src0=0 src1=0 src2=0
	v_add3_u32 v19, v19, v22, v24
	s_set_vgpr_msb 5                        ;  msbs: dst=0 src0=1 src1=1 src2=0
	v_mul_i32_i24_e32 v20, v26 /*v282*/, v27 /*v283*/
	s_set_vgpr_msb 0x41                     ;  msbs: dst=1 src0=1 src1=0 src2=0
	v_bfe_u32 v27 /*v283*/, v61 /*v317*/, 8, 4
	v_bfe_u32 v49 /*v305*/, v205 /*v461*/, 16, 4
	s_set_vgpr_msb 5                        ;  msbs: dst=0 src0=1 src1=1 src2=0
	v_mul_i32_i24_e32 v55, v170 /*v426*/, v70 /*v326*/
	s_set_vgpr_msb 0x41                     ;  msbs: dst=1 src0=1 src1=0 src2=0
	v_bfe_u32 v72 /*v328*/, v204 /*v460*/, 20, 4
	v_bfe_u32 v74 /*v330*/, v205 /*v461*/, 12, 4
	s_set_vgpr_msb 5                        ;  msbs: dst=0 src0=1 src1=1 src2=0
	v_mul_i32_i24_e32 v21, v27 /*v283*/, v28 /*v284*/
	s_set_vgpr_msb 0x41                     ;  msbs: dst=1 src0=1 src1=0 src2=0
	v_bfe_u32 v28 /*v284*/, v61 /*v317*/, 16, 4
	v_mul_i32_i24_e32 v200 /*v456*/, v49 /*v305*/, v114
	s_set_vgpr_msb 5                        ;  msbs: dst=0 src0=1 src1=1 src2=0
	v_mul_i32_i24_e32 v142, v172 /*v428*/, v71 /*v327*/
	v_mul_i32_i24_e32 v143, v171 /*v427*/, v72 /*v328*/
	s_set_vgpr_msb 0                        ;  msbs: dst=0 src0=0 src1=0 src2=0
	v_add3_u32 v19, v19, v21, v20
	s_set_vgpr_msb 5                        ;  msbs: dst=0 src0=1 src1=1 src2=0
	v_mul_i32_i24_e32 v22, v28 /*v284*/, v29 /*v285*/
	s_set_vgpr_msb 0x41                     ;  msbs: dst=1 src0=1 src1=0 src2=0
	v_bfe_u32 v29 /*v285*/, v61 /*v317*/, 24, 4
	v_mul_i32_i24_e32 v203 /*v459*/, v74 /*v330*/, v112
	v_bfe_u32 v73 /*v329*/, v205 /*v461*/, 4, 4
	s_set_vgpr_msb 5                        ;  msbs: dst=0 src0=1 src1=1 src2=0
	s_delay_alu instid0(VALU_DEP_3)
	v_mul_i32_i24_e32 v24, v29 /*v285*/, v30 /*v286*/
	s_set_vgpr_msb 0x44                     ;  msbs: dst=1 src0=0 src1=1 src2=0
	v_and_b32_e32 v30 /*v286*/, 15, v68 /*v324*/
	s_set_vgpr_msb 0x41                     ;  msbs: dst=1 src0=1 src1=0 src2=0
	v_mul_i32_i24_e32 v202 /*v458*/, v73 /*v329*/, v168
	s_set_vgpr_msb 4                        ;  msbs: dst=0 src0=0 src1=1 src2=0
	v_lshrrev_b32_e32 v168, 28, v205 /*v461*/
	s_set_vgpr_msb 0                        ;  msbs: dst=0 src0=0 src1=0 src2=0
	v_add3_u32 v19, v19, v22, v24
	s_set_vgpr_msb 5                        ;  msbs: dst=0 src0=1 src1=1 src2=0
	v_mul_i32_i24_e32 v20, v30 /*v286*/, v31 /*v287*/
	s_set_vgpr_msb 0x41                     ;  msbs: dst=1 src0=1 src1=0 src2=0
	v_bfe_u32 v31 /*v287*/, v68 /*v324*/, 8, 4
	s_set_vgpr_msb 5                        ;  msbs: dst=0 src0=1 src1=1 src2=0
	v_mul_i32_i24_e32 v24, v34 /*v290*/, v33 /*v289*/
	s_set_vgpr_msb 0x41                     ;  msbs: dst=1 src0=1 src1=0 src2=0
	v_bfe_u32 v34 /*v290*/, v69 /*v325*/, 8, 4
	;; [unrolled: 4-line block ×3, first 2 shown]
	s_set_vgpr_msb 0                        ;  msbs: dst=0 src0=0 src1=0 src2=0
	s_delay_alu instid0(VALU_DEP_2) | instskip(SKIP_1) | instid1(VALU_DEP_2)
	v_add3_u32 v19, v19, v21, v20
	s_set_vgpr_msb 5                        ;  msbs: dst=0 src0=1 src1=1 src2=0
	v_mul_i32_i24_e32 v22, v35 /*v291*/, v32 /*v288*/
	s_set_vgpr_msb 0x44                     ;  msbs: dst=1 src0=0 src1=1 src2=0
	v_and_b32_e32 v35 /*v291*/, 15, v69 /*v325*/
	s_set_vgpr_msb 5                        ;  msbs: dst=0 src0=1 src1=1 src2=0
	v_mul_i32_i24_e32 v21, v37 /*v293*/, v34 /*v290*/
	s_set_vgpr_msb 0x41                     ;  msbs: dst=1 src0=1 src1=0 src2=0
	v_bfe_u32 v37 /*v293*/, v69 /*v325*/, 16, 4
	s_set_vgpr_msb 0                        ;  msbs: dst=0 src0=0 src1=0 src2=0
	v_add3_u32 v19, v19, v24, v22
	s_set_vgpr_msb 5                        ;  msbs: dst=0 src0=1 src1=1 src2=0
	v_mul_i32_i24_e32 v20, v36 /*v292*/, v35 /*v291*/
	s_set_vgpr_msb 0x41                     ;  msbs: dst=1 src0=1 src1=0 src2=0
	v_bfe_u32 v36 /*v292*/, v69 /*v325*/, 24, 4
	s_set_vgpr_msb 5                        ;  msbs: dst=0 src0=1 src1=1 src2=0
	v_mul_i32_i24_e32 v24, v38 /*v294*/, v37 /*v293*/
	s_set_vgpr_msb 0x41                     ;  msbs: dst=1 src0=1 src1=0 src2=0
	v_bfe_u32 v38 /*v294*/, v204 /*v460*/, 8, 4
	s_set_vgpr_msb 0                        ;  msbs: dst=0 src0=0 src1=0 src2=0
	v_add3_u32 v19, v19, v21, v20
	s_set_vgpr_msb 5                        ;  msbs: dst=0 src0=1 src1=1 src2=0
	v_mul_i32_i24_e32 v22, v39 /*v295*/, v36 /*v292*/
	s_set_vgpr_msb 0x44                     ;  msbs: dst=1 src0=0 src1=1 src2=0
	v_and_b32_e32 v39 /*v295*/, 15, v204 /*v460*/
	s_set_vgpr_msb 5                        ;  msbs: dst=0 src0=1 src1=1 src2=0
	v_mul_i32_i24_e32 v20, v41 /*v297*/, v38 /*v294*/
	s_set_vgpr_msb 0x41                     ;  msbs: dst=1 src0=1 src1=0 src2=0
	v_bfe_u32 v41 /*v297*/, v52 /*v308*/, 20, 4
	v_bfe_u32 v52 /*v308*/, v60 /*v316*/, 20, 4
	s_set_vgpr_msb 0                        ;  msbs: dst=0 src0=0 src1=0 src2=0
	v_add3_u32 v19, v19, v24, v22
	s_set_vgpr_msb 5                        ;  msbs: dst=0 src0=1 src1=1 src2=0
	v_mul_i32_i24_e32 v18, v40 /*v296*/, v39 /*v295*/
	s_set_vgpr_msb 0x41                     ;  msbs: dst=1 src0=1 src1=0 src2=0
	v_bfe_u32 v40 /*v296*/, v204 /*v460*/, 24, 4
	s_set_vgpr_msb 5                        ;  msbs: dst=0 src0=1 src1=1 src2=0
	v_mul_i32_i24_e32 v22, v12 /*v268*/, v42 /*v298*/
	v_mul_i32_i24_e32 v24, v53 /*v309*/, v178 /*v434*/
	;; [unrolled: 1-line block ×3, first 2 shown]
	s_set_vgpr_msb 0                        ;  msbs: dst=0 src0=0 src1=0 src2=0
	v_add3_u32 v18, v19, v20, v18
	s_set_vgpr_msb 5                        ;  msbs: dst=0 src0=1 src1=1 src2=0
	v_mul_i32_i24_e32 v21, v13 /*v269*/, v40 /*v296*/
	s_set_vgpr_msb 1                        ;  msbs: dst=0 src0=1 src1=0 src2=0
	v_mul_i32_i24_e32 v19, v46 /*v302*/, v170
	v_mul_i32_i24_e32 v20, v48 /*v304*/, v169
	s_set_vgpr_msb 0x44                     ;  msbs: dst=1 src0=0 src1=1 src2=0
	v_lshrrev_b32_e32 v60 /*v316*/, 28, v61 /*v317*/
	s_set_vgpr_msb 0x41                     ;  msbs: dst=1 src0=1 src1=0 src2=0
	v_bfe_u32 v61 /*v317*/, v68 /*v324*/, 4, 4
	s_set_vgpr_msb 0                        ;  msbs: dst=0 src0=0 src1=0 src2=0
	v_add3_u32 v18, v18, v22, v21
	s_set_vgpr_msb 5                        ;  msbs: dst=0 src0=1 src1=1 src2=0
	v_mul_i32_i24_e32 v21, v47 /*v303*/, v180 /*v436*/
	v_mul_i32_i24_e32 v22, v45 /*v301*/, v155 /*v411*/
	;; [unrolled: 1-line block ×4, first 2 shown]
	s_set_vgpr_msb 64                       ;  msbs: dst=1 src0=0 src1=0 src2=0
	v_add3_u32 v201 /*v457*/, v18, v20, v19
	s_set_vgpr_msb 0                        ;  msbs: dst=0 src0=0 src1=0 src2=0
	ds_load_u16 v18, v9
	ds_load_u16 v9, v9 offset:8
	s_set_vgpr_msb 5                        ;  msbs: dst=0 src0=1 src1=1 src2=0
	v_mul_i32_i24_e32 v20, v41 /*v297*/, v179 /*v435*/
	s_set_vgpr_msb 0x41                     ;  msbs: dst=1 src0=1 src1=0 src2=0
	v_bfe_u32 v68 /*v324*/, v69 /*v325*/, 20, 4
	v_bfe_u32 v69 /*v325*/, v204 /*v460*/, 4, 4
	;; [unrolled: 1-line block ×3, first 2 shown]
	s_set_vgpr_msb 1                        ;  msbs: dst=0 src0=1 src1=0 src2=0
	v_bfe_u32 v169, v205 /*v461*/, 20, 4
	s_set_vgpr_msb 0x45                     ;  msbs: dst=1 src0=1 src1=1 src2=0
	v_mul_i32_i24_e32 v178 /*v434*/, v134 /*v390*/, v178 /*v434*/
	s_set_vgpr_msb 5                        ;  msbs: dst=0 src0=1 src1=1 src2=0
	v_mul_i32_i24_e32 v53, v167 /*v423*/, v68 /*v324*/
	v_mul_i32_i24_e32 v141, v169 /*v425*/, v69 /*v325*/
	s_wait_dscnt 0x1
	s_set_vgpr_msb 0                        ;  msbs: dst=0 src0=0 src1=0 src2=0
	v_lshrrev_b16 v19, 8, v18
	s_set_vgpr_msb 64                       ;  msbs: dst=1 src0=0 src1=0 src2=0
	v_and_b32_e32 v13 /*v269*/, 0xff, v18
	s_set_vgpr_msb 5                        ;  msbs: dst=0 src0=1 src1=1 src2=0
	v_mul_i32_i24_e32 v18, v44 /*v300*/, v152 /*v408*/
	s_wait_dscnt 0x0
	s_set_vgpr_msb 0                        ;  msbs: dst=0 src0=0 src1=0 src2=0
	v_cvt_f32_ubyte0_e32 v114, v9
	v_cvt_f32_ubyte1_e32 v112, v9
	v_or_b32_e32 v9, s5, v130
	v_and_b32_e32 v170, 0xffff, v19
	s_set_vgpr_msb 5                        ;  msbs: dst=0 src0=1 src1=1 src2=0
	v_mad_i32_i24 v18, v43 /*v299*/, v151 /*v407*/, v18
	s_set_vgpr_msb 0                        ;  msbs: dst=0 src0=0 src1=0 src2=0
	s_delay_alu instid0(VALU_DEP_1) | instskip(SKIP_4) | instid1(VALU_DEP_1)
	v_add3_u32 v18, v18, v20, v21
	s_set_vgpr_msb 5                        ;  msbs: dst=0 src0=1 src1=1 src2=0
	v_mul_i32_i24_e32 v20, v50 /*v306*/, v153 /*v409*/
	v_mul_i32_i24_e32 v21, v51 /*v307*/, v154 /*v410*/
	s_set_vgpr_msb 0                        ;  msbs: dst=0 src0=0 src1=0 src2=0
	v_add3_u32 v18, v18, v20, v21
	s_delay_alu instid0(VALU_DEP_1) | instskip(NEXT) | instid1(VALU_DEP_1)
	v_add3_u32 v18, v18, v22, v24
	v_add3_u32 v18, v18, v25, v26
	s_delay_alu instid0(VALU_DEP_1) | instskip(NEXT) | instid1(VALU_DEP_1)
	v_add3_u32 v18, v18, v28, v29
	;; [unrolled: 3-line block ×5, first 2 shown]
	v_add3_u32 v18, v18, v141, v55
	s_set_vgpr_msb 64                       ;  msbs: dst=1 src0=0 src1=0 src2=0
	s_delay_alu instid0(VALU_DEP_1)
	v_add3_u32 v204 /*v460*/, v18, v143, v142
	s_set_vgpr_msb 0                        ;  msbs: dst=0 src0=0 src1=0 src2=0
	v_dual_lshlrev_b32 v18, 2, v9 :: v_dual_lshrrev_b32 v9, 1, v9
	s_set_vgpr_msb 64                       ;  msbs: dst=1 src0=0 src1=0 src2=0
	ds_load_b128 v[206:209] /*v[462:465]*/, v18 offset:16896
	ds_load_b128 v[210:213] /*v[466:469]*/, v18 offset:16912
	;; [unrolled: 1-line block ×4, first 2 shown]
	s_wait_dscnt 0x3
	s_set_vgpr_msb 1                        ;  msbs: dst=0 src0=1 src1=0 src2=0
	v_bfe_i32 v18, v206 /*v462*/, 0, 8
	v_bfe_i32 v19, v206 /*v462*/, 8, 8
	;; [unrolled: 1-line block ×3, first 2 shown]
	s_set_vgpr_msb 4                        ;  msbs: dst=0 src0=0 src1=1 src2=0
	v_ashrrev_i32_e32 v21, 24, v206 /*v462*/
	s_set_vgpr_msb 1                        ;  msbs: dst=0 src0=1 src1=0 src2=0
	v_bfe_i32 v22, v207 /*v463*/, 0, 8
	s_set_vgpr_msb 4                        ;  msbs: dst=0 src0=0 src1=1 src2=0
	v_mul_i32_i24_e32 v150, v18, v110 /*v366*/
	s_set_vgpr_msb 1                        ;  msbs: dst=0 src0=1 src1=0 src2=0
	v_bfe_i32 v24, v207 /*v463*/, 8, 8
	s_set_vgpr_msb 4                        ;  msbs: dst=0 src0=0 src1=1 src2=0
	v_mul_i32_i24_e32 v151, v20, v111 /*v367*/
	v_mul_i32_i24_e32 v152, v21, v112 /*v368*/
	s_set_vgpr_msb 1                        ;  msbs: dst=0 src0=1 src1=0 src2=0
	v_bfe_i32 v25, v207 /*v463*/, 16, 8
	s_set_vgpr_msb 4                        ;  msbs: dst=0 src0=0 src1=1 src2=0
	v_mad_i32_i24 v150, v19, v109 /*v365*/, v150
	v_dual_ashrrev_i32 v26, 24, v207 /*v463*/ :: v_dual_ashrrev_i32 v40, 24, v209 /*v465*/
	s_set_vgpr_msb 1                        ;  msbs: dst=0 src0=1 src1=0 src2=0
	v_bfe_i32 v28, v208 /*v464*/, 0, 8
	v_bfe_i32 v29, v208 /*v464*/, 8, 8
	s_set_vgpr_msb 0                        ;  msbs: dst=0 src0=0 src1=0 src2=0
	v_add3_u32 v150, v150, v151, v152
	s_set_vgpr_msb 4                        ;  msbs: dst=0 src0=0 src1=1 src2=0
	v_mul_i32_i24_e32 v151, v22, v113 /*v369*/
	v_mul_i32_i24_e32 v152, v24, v114 /*v370*/
	;; [unrolled: 1-line block ×4, first 2 shown]
	s_set_vgpr_msb 1                        ;  msbs: dst=0 src0=1 src1=0 src2=0
	v_bfe_i32 v30, v208 /*v464*/, 16, 8
	s_set_vgpr_msb 4                        ;  msbs: dst=0 src0=0 src1=1 src2=0
	v_ashrrev_i32_e32 v32, 24, v208 /*v464*/
	s_set_vgpr_msb 0                        ;  msbs: dst=0 src0=0 src1=0 src2=0
	v_add3_u32 v150, v150, v151, v152
	s_set_vgpr_msb 4                        ;  msbs: dst=0 src0=0 src1=1 src2=0
	v_mul_i32_i24_e32 v155, v28, v117 /*v373*/
	v_mul_i32_i24_e32 v156, v29, v118 /*v374*/
	s_set_vgpr_msb 0x44                     ;  msbs: dst=1 src0=0 src1=1 src2=0
	v_mul_i32_i24_e32 v150 /*v406*/, v30, v119 /*v375*/
	v_mul_i32_i24_e32 v205 /*v461*/, v32, v120 /*v376*/
	s_set_vgpr_msb 0                        ;  msbs: dst=0 src0=0 src1=0 src2=0
	v_add3_u32 v150, v150, v153, v154
	s_set_vgpr_msb 5                        ;  msbs: dst=0 src0=1 src1=1 src2=0
	v_mul_i32_i24_e32 v153, v142 /*v398*/, v180 /*v436*/
	v_bfe_i32 v34, v209 /*v465*/, 0, 8
	v_bfe_i32 v36, v209 /*v465*/, 8, 8
	;; [unrolled: 1-line block ×3, first 2 shown]
	s_set_vgpr_msb 0                        ;  msbs: dst=0 src0=0 src1=0 src2=0
	v_add3_u32 v150, v150, v155, v156
	s_wait_dscnt 0x2
	s_set_vgpr_msb 1                        ;  msbs: dst=0 src0=1 src1=0 src2=0
	v_bfe_i32 v42, v210 /*v466*/, 0, 8
	s_set_vgpr_msb 0x44                     ;  msbs: dst=1 src0=0 src1=1 src2=0
	v_mul_i32_i24_e32 v206 /*v462*/, v34, v121 /*v377*/
	v_mul_i32_i24_e32 v207 /*v463*/, v36, v122 /*v378*/
	s_set_vgpr_msb 1                        ;  msbs: dst=0 src0=1 src1=0 src2=0
	v_bfe_i32 v44, v210 /*v466*/, 8, 8
	s_set_vgpr_msb 20                       ;  msbs: dst=0 src0=0 src1=1 src2=1
	v_add3_u32 v150, v150, v150 /*v406*/, v205 /*v461*/
	s_set_vgpr_msb 64                       ;  msbs: dst=1 src0=0 src1=0 src2=0
	v_bfe_u32 v150 /*v406*/, v120, 20, 4
	s_set_vgpr_msb 0                        ;  msbs: dst=0 src0=0 src1=0 src2=0
	v_bfe_u32 v120, v120, 4, 4
	s_set_vgpr_msb 0x44                     ;  msbs: dst=1 src0=0 src1=1 src2=0
	v_mul_i32_i24_e32 v208 /*v464*/, v38, v123 /*v379*/
	v_mul_i32_i24_e32 v209 /*v465*/, v40, v124 /*v380*/
	s_set_vgpr_msb 20                       ;  msbs: dst=0 src0=0 src1=1 src2=1
	v_add3_u32 v150, v150, v206 /*v462*/, v207 /*v463*/
	s_set_vgpr_msb 5                        ;  msbs: dst=0 src0=1 src1=1 src2=0
	v_mul_i32_i24_e32 v152, v150 /*v406*/, v179 /*v435*/
	s_set_vgpr_msb 4                        ;  msbs: dst=0 src0=0 src1=1 src2=0
	v_mul_i32_i24_e32 v151, v120, v152 /*v408*/
	s_set_vgpr_msb 0x44                     ;  msbs: dst=1 src0=0 src1=1 src2=0
	v_and_b32_e32 v152 /*v408*/, 0xffff, v190 /*v446*/
	s_set_vgpr_msb 1                        ;  msbs: dst=0 src0=1 src1=0 src2=0
	v_bfe_i32 v46, v210 /*v466*/, 16, 8
	s_set_vgpr_msb 5                        ;  msbs: dst=0 src0=1 src1=1 src2=0
	v_dual_ashrrev_i32 v48, 24, v210 /*v466*/ :: v_dual_ashrrev_i32 v141, 24, v211 /*v467*/
	v_mad_i32_i24 v151, v149 /*v405*/, v151 /*v407*/, v151
	s_set_vgpr_msb 64                       ;  msbs: dst=1 src0=0 src1=0 src2=0
	v_bfe_u32 v151 /*v407*/, v121, 20, 4
	s_set_vgpr_msb 0                        ;  msbs: dst=0 src0=0 src1=0 src2=0
	v_bfe_u32 v121, v121, 4, 4
	s_set_vgpr_msb 0x45                     ;  msbs: dst=1 src0=1 src1=1 src2=0
	v_mul_i32_i24_e32 v154 /*v410*/, v152 /*v408*/, v154 /*v410*/
	s_set_vgpr_msb 1                        ;  msbs: dst=0 src0=1 src1=0 src2=0
	v_bfe_i32 v52, v211 /*v467*/, 0, 8
	s_set_vgpr_msb 0                        ;  msbs: dst=0 src0=0 src1=0 src2=0
	v_add3_u32 v151, v151, v152, v153
	s_set_vgpr_msb 0x45                     ;  msbs: dst=1 src0=1 src1=1 src2=0
	v_mul_i32_i24_e32 v155 /*v411*/, v151 /*v407*/, v155 /*v411*/
	s_set_vgpr_msb 0x44                     ;  msbs: dst=1 src0=0 src1=1 src2=0
	v_mul_i32_i24_e32 v153 /*v409*/, v121, v153 /*v409*/
	s_set_vgpr_msb 1                        ;  msbs: dst=0 src0=1 src1=0 src2=0
	v_bfe_i32 v53, v211 /*v467*/, 8, 8
	v_bfe_i32 v55, v211 /*v467*/, 16, 8
	s_set_vgpr_msb 0x44                     ;  msbs: dst=1 src0=0 src1=1 src2=0
	v_mul_i32_i24_e32 v210 /*v466*/, v42, v125 /*v381*/
	v_mul_i32_i24_e32 v211 /*v467*/, v44, v126 /*v382*/
	s_set_vgpr_msb 20                       ;  msbs: dst=0 src0=0 src1=1 src2=1
	v_add3_u32 v151, v151, v153 /*v409*/, v154 /*v410*/
	s_set_vgpr_msb 0x44                     ;  msbs: dst=1 src0=0 src1=1 src2=0
	v_and_b32_e32 v154 /*v410*/, 0xffff, v189 /*v445*/
	v_bfe_u32 v153 /*v409*/, v6, 20, 4
	s_set_vgpr_msb 20                       ;  msbs: dst=0 src0=0 src1=1 src2=1
	v_add3_u32 v150, v150, v208 /*v464*/, v209 /*v465*/
	s_set_vgpr_msb 1                        ;  msbs: dst=0 src0=1 src1=0 src2=0
	v_bfe_i32 v142, v212 /*v468*/, 0, 8
	s_set_vgpr_msb 20                       ;  msbs: dst=0 src0=0 src1=1 src2=1
	v_add3_u32 v151, v151, v155 /*v411*/, v178 /*v434*/
	s_set_vgpr_msb 64                       ;  msbs: dst=1 src0=0 src1=0 src2=0
	v_bfe_u32 v155 /*v411*/, v6, 4, 4
	s_set_vgpr_msb 1                        ;  msbs: dst=0 src0=1 src1=0 src2=0
	v_bfe_i32 v143, v212 /*v468*/, 8, 8
	v_bfe_i32 v144, v212 /*v468*/, 16, 8
	s_set_vgpr_msb 5                        ;  msbs: dst=0 src0=1 src1=1 src2=0
	v_dual_ashrrev_i32 v145, 24, v212 /*v468*/ :: v_dual_ashrrev_i32 v149, 24, v213 /*v469*/
	v_mul_i32_i24_e32 v6, v155 /*v411*/, v156 /*v412*/
	s_set_vgpr_msb 0x45                     ;  msbs: dst=1 src0=1 src1=1 src2=0
	v_mul_i32_i24_e32 v156 /*v412*/, v154 /*v410*/, v157 /*v413*/
	v_mul_i32_i24_e32 v157 /*v413*/, v153 /*v409*/, v158 /*v414*/
	;; [unrolled: 1-line block ×3, first 2 shown]
	s_set_vgpr_msb 1                        ;  msbs: dst=0 src0=1 src1=0 src2=0
	v_bfe_i32 v146, v213 /*v469*/, 0, 8
	v_bfe_i32 v147, v213 /*v469*/, 8, 8
	s_set_vgpr_msb 16                       ;  msbs: dst=0 src0=0 src1=0 src2=1
	v_add3_u32 v6, v151, v6, v156 /*v412*/
	s_set_vgpr_msb 1                        ;  msbs: dst=0 src0=1 src1=0 src2=0
	v_bfe_i32 v148, v213 /*v469*/, 16, 8
	s_set_vgpr_msb 0x41                     ;  msbs: dst=1 src0=1 src1=0 src2=0
	v_mul_i32_i24_e32 v212 /*v468*/, v128 /*v384*/, v46
	v_mul_i32_i24_e32 v213 /*v469*/, v127 /*v383*/, v48
	s_set_vgpr_msb 20                       ;  msbs: dst=0 src0=0 src1=1 src2=1
	v_add3_u32 v150, v150, v210 /*v466*/, v211 /*v467*/
	v_add3_u32 v6, v6, v157 /*v413*/, v158 /*v414*/
	s_set_vgpr_msb 0x44                     ;  msbs: dst=1 src0=0 src1=1 src2=0
	v_and_b32_e32 v157 /*v413*/, 0xffff, v188 /*v444*/
	v_bfe_u32 v158 /*v414*/, v7, 4, 4
	v_bfe_u32 v156 /*v412*/, v7, 20, 4
	s_set_vgpr_msb 0x41                     ;  msbs: dst=1 src0=1 src1=0 src2=0
	v_mul_i32_i24_e32 v222 /*v478*/, v130 /*v386*/, v52
	v_mul_i32_i24_e32 v223 /*v479*/, v129 /*v385*/, v53
	s_set_vgpr_msb 20                       ;  msbs: dst=0 src0=0 src1=1 src2=1
	v_add3_u32 v150, v150, v212 /*v468*/, v213 /*v469*/
	s_set_vgpr_msb 5                        ;  msbs: dst=0 src0=1 src1=1 src2=0
	v_mul_i32_i24_e32 v7, v158 /*v414*/, v160 /*v416*/
	s_set_vgpr_msb 0x45                     ;  msbs: dst=1 src0=1 src1=1 src2=0
	v_mul_i32_i24_e32 v160 /*v416*/, v157 /*v413*/, v161 /*v417*/
	v_mul_i32_i24_e32 v161 /*v417*/, v156 /*v412*/, v175 /*v431*/
	;; [unrolled: 1-line block ×3, first 2 shown]
	s_set_vgpr_msb 0x41                     ;  msbs: dst=1 src0=1 src1=0 src2=0
	v_mul_i32_i24_e32 v224 /*v480*/, v132 /*v388*/, v55
	v_mul_i32_i24_e32 v225 /*v481*/, v131 /*v387*/, v141
	s_set_vgpr_msb 16                       ;  msbs: dst=0 src0=0 src1=0 src2=1
	v_add3_u32 v6, v6, v7, v160 /*v416*/
	s_set_vgpr_msb 20                       ;  msbs: dst=0 src0=0 src1=1 src2=1
	v_add3_u32 v150, v150, v222 /*v478*/, v223 /*v479*/
	s_set_vgpr_msb 0x41                     ;  msbs: dst=1 src0=1 src1=0 src2=0
	v_mul_i32_i24_e32 v226 /*v482*/, v140 /*v396*/, v142
	v_mul_i32_i24_e32 v227 /*v483*/, v133 /*v389*/, v143
	;; [unrolled: 1-line block ×3, first 2 shown]
	s_set_vgpr_msb 0x54                     ;  msbs: dst=1 src0=0 src1=1 src2=1
	v_add3_u32 v175 /*v431*/, v6, v161 /*v417*/, v175 /*v431*/
	s_set_vgpr_msb 1                        ;  msbs: dst=0 src0=1 src1=0 src2=0
	ds_load_b64 v[6:7], v159 /*v415*/ offset:27200
	s_set_vgpr_msb 64                       ;  msbs: dst=1 src0=0 src1=0 src2=0
	ds_load_b64 v[160:161] /*v[416:417]*/, v9 offset:27200
	s_set_vgpr_msb 20                       ;  msbs: dst=0 src0=0 src1=1 src2=1
	v_add3_u32 v150, v150, v224 /*v480*/, v225 /*v481*/
	s_set_vgpr_msb 0x41                     ;  msbs: dst=1 src0=1 src1=0 src2=0
	v_mul_i32_i24_e32 v229 /*v485*/, v141 /*v397*/, v145
	s_set_vgpr_msb 0x44                     ;  msbs: dst=1 src0=0 src1=1 src2=0
	v_mul_i32_i24_e32 v230 /*v486*/, v146, v146 /*v402*/
	v_mul_i32_i24_e32 v231 /*v487*/, v147, v147 /*v403*/
	;; [unrolled: 1-line block ×3, first 2 shown]
	s_set_vgpr_msb 20                       ;  msbs: dst=0 src0=0 src1=1 src2=1
	v_add3_u32 v150, v150, v226 /*v482*/, v227 /*v483*/
	s_wait_dscnt 0x3
	v_ashrrev_i32_e32 v156, 24, v214 /*v470*/
	s_set_vgpr_msb 0x45                     ;  msbs: dst=1 src0=1 src1=1 src2=0
	v_mul_i32_i24_e32 v159 /*v415*/, v168 /*v424*/, v75 /*v331*/
	s_set_vgpr_msb 20                       ;  msbs: dst=0 src0=0 src1=1 src2=1
	v_lshrrev_b16 v153, 8, v215 /*v471*/
	v_lshrrev_b16 v152, 8, v214 /*v470*/
	v_add3_u32 v150, v150, v228 /*v484*/, v229 /*v485*/
	v_lshrrev_b16 v154, 8, v216 /*v472*/
	s_set_vgpr_msb 0x55                     ;  msbs: dst=1 src0=1 src1=1 src2=1
	v_add3_u32 v159 /*v415*/, v185 /*v441*/, v184 /*v440*/, v159 /*v415*/
	s_set_vgpr_msb 4                        ;  msbs: dst=0 src0=0 src1=1 src2=0
	v_lshrrev_b16 v155, 8, v217 /*v473*/
	s_set_vgpr_msb 0x41                     ;  msbs: dst=1 src0=1 src1=0 src2=0
	v_bfe_i32 v205 /*v461*/, v214 /*v470*/, 0, 8
	s_set_vgpr_msb 20                       ;  msbs: dst=0 src0=0 src1=1 src2=1
	v_add3_u32 v150, v150, v230 /*v486*/, v231 /*v487*/
	s_set_vgpr_msb 0x45                     ;  msbs: dst=1 src0=1 src1=1 src2=0
	v_dual_ashrrev_i32 v190 /*v446*/, 24, v215 /*v471*/ :: v_dual_ashrrev_i32 v223 /*v479*/, 24, v216 /*v472*/
	v_mul_lo_u32 v159 /*v415*/, v159 /*v415*/, v76 /*v332*/
	s_wait_dscnt 0x0
	v_cvt_f32_f16_e64 v177 /*v433*/, v160 /*v416*/
	s_set_vgpr_msb 4                        ;  msbs: dst=0 src0=0 src1=1 src2=0
	v_lshrrev_b32_e32 v9, 16, v160 /*v416*/
	s_set_vgpr_msb 0x44                     ;  msbs: dst=1 src0=0 src1=1 src2=0
	v_mul_i32_i24_e32 v160 /*v416*/, v149, v75 /*v331*/
	v_cvt_f32_f16_e64 v176 /*v432*/, v6
	s_set_vgpr_msb 0                        ;  msbs: dst=0 src0=0 src1=0 src2=0
	v_lshrrev_b32_e32 v6, 16, v6
	s_set_vgpr_msb 0x41                     ;  msbs: dst=1 src0=1 src1=0 src2=0
	v_cvt_f32_f16_e64 v189 /*v445*/, v161 /*v417*/
	s_set_vgpr_msb 64                       ;  msbs: dst=1 src0=0 src1=0 src2=0
	v_cvt_f32_f16_e64 v188 /*v444*/, v7
	s_set_vgpr_msb 20                       ;  msbs: dst=0 src0=0 src1=1 src2=1
	v_add3_u32 v150, v150, v232 /*v488*/, v160 /*v416*/
	v_bfe_i32 v153, v153, 0, 8
	s_set_vgpr_msb 64                       ;  msbs: dst=1 src0=0 src1=0 src2=0
	v_cvt_f32_f16_e64 v178 /*v434*/, v6
	s_set_vgpr_msb 0                        ;  msbs: dst=0 src0=0 src1=0 src2=0
	v_lshrrev_b32_e32 v6, 16, v7
	s_set_vgpr_msb 4                        ;  msbs: dst=0 src0=0 src1=1 src2=0
	v_lshrrev_b32_e32 v7, 16, v161 /*v417*/
	v_mul_lo_u32 v150, v150, v76 /*v332*/
	s_set_vgpr_msb 0x41                     ;  msbs: dst=1 src0=1 src1=0 src2=0
	v_cvt_f32_i32_e32 v160 /*v416*/, v159 /*v415*/
	s_set_vgpr_msb 64                       ;  msbs: dst=1 src0=0 src1=0 src2=0
	v_bfe_u32 v159 /*v415*/, v0, 20, 4
	s_set_vgpr_msb 0x41                     ;  msbs: dst=1 src0=1 src1=0 src2=0
	v_bfe_i32 v212 /*v468*/, v215 /*v471*/, 0, 8
	v_bfe_i32 v224 /*v480*/, v216 /*v472*/, 16, 8
	;; [unrolled: 1-line block ×3, first 2 shown]
	s_set_vgpr_msb 0                        ;  msbs: dst=0 src0=0 src1=0 src2=0
	v_bfe_i32 v152, v152, 0, 8
	s_set_vgpr_msb 0x41                     ;  msbs: dst=1 src0=1 src1=0 src2=0
	v_bfe_i32 v180 /*v436*/, v214 /*v470*/, 16, 8
	v_mul_i32_i24_e32 v208 /*v464*/, v205 /*v461*/, v120
	s_set_vgpr_msb 0x44                     ;  msbs: dst=1 src0=0 src1=1 src2=0
	v_mul_i32_i24_e32 v210 /*v466*/, v156, v142 /*v398*/
	s_set_vgpr_msb 0x41                     ;  msbs: dst=1 src0=1 src1=0 src2=0
	v_bfe_i32 v211 /*v467*/, v215 /*v471*/, 16, 8
	s_set_vgpr_msb 64                       ;  msbs: dst=1 src0=0 src1=0 src2=0
	v_cvt_f32_i32_e32 v161 /*v417*/, v150
	s_set_vgpr_msb 0x41                     ;  msbs: dst=1 src0=1 src1=0 src2=0
	v_mul_i32_i24_e32 v213 /*v469*/, v212 /*v468*/, v121
	s_set_vgpr_msb 0x44                     ;  msbs: dst=1 src0=0 src1=1 src2=0
	v_mul_i32_i24_e32 v214 /*v470*/, v153, v152 /*v408*/
	s_set_vgpr_msb 0x45                     ;  msbs: dst=1 src0=1 src1=1 src2=0
	v_mul_i32_i24_e32 v222 /*v478*/, v190 /*v446*/, v134 /*v390*/
	s_set_vgpr_msb 0                        ;  msbs: dst=0 src0=0 src1=0 src2=0
	v_bfe_i32 v154, v154, 0, 8
	s_set_vgpr_msb 0x45                     ;  msbs: dst=1 src0=1 src1=1 src2=0
	v_pk_fma_f32 v[184:185] /*v[440:441]*/, v[176:177] /*v[432:433]*/, v[160:161] /*v[416:417]*/, 0 op_sel_hi:[1,1,0]
	v_and_b32_e32 v160 /*v416*/, 0xffff, v187 /*v443*/
	s_set_vgpr_msb 64                       ;  msbs: dst=1 src0=0 src1=0 src2=0
	v_bfe_u32 v161 /*v417*/, v0, 4, 4
	s_set_vgpr_msb 5                        ;  msbs: dst=0 src0=1 src1=1 src2=0
	v_mul_i32_i24_e32 v151, v216 /*v472*/, v155 /*v411*/
	s_set_vgpr_msb 0x45                     ;  msbs: dst=1 src0=1 src1=1 src2=0
	v_mul_i32_i24_e32 v227 /*v483*/, v223 /*v479*/, v135 /*v391*/
	v_ashrrev_i32_e32 v228 /*v484*/, 24, v217 /*v473*/
	s_set_vgpr_msb 5                        ;  msbs: dst=0 src0=1 src1=1 src2=0
	v_mul_i32_i24_e32 v150, v160 /*v416*/, v163 /*v419*/
	v_mul_i32_i24_e32 v0, v161 /*v417*/, v162 /*v418*/
	s_set_vgpr_msb 0x45                     ;  msbs: dst=1 src0=1 src1=1 src2=0
	v_mul_i32_i24_e32 v162 /*v418*/, v159 /*v415*/, v164 /*v420*/
	v_mul_i32_i24_e32 v163 /*v419*/, v137 /*v393*/, v174 /*v430*/
	s_set_vgpr_msb 64                       ;  msbs: dst=1 src0=0 src1=0 src2=0
	v_bfe_u32 v164 /*v420*/, v1, 4, 4
	s_set_vgpr_msb 0x41                     ;  msbs: dst=1 src0=1 src1=0 src2=0
	v_bfe_i32 v229 /*v485*/, v217 /*v473*/, 16, 8
	s_set_vgpr_msb 1                        ;  msbs: dst=0 src0=1 src1=0 src2=0
	v_add3_u32 v0, v175 /*v431*/, v0, v150
	s_set_vgpr_msb 0                        ;  msbs: dst=0 src0=0 src1=0 src2=0
	v_bfe_i32 v155, v155, 0, 8
	s_set_vgpr_msb 0x41                     ;  msbs: dst=1 src0=1 src1=0 src2=0
	v_bfe_i32 v217 /*v473*/, v217 /*v473*/, 0, 8
	s_set_vgpr_msb 64                       ;  msbs: dst=1 src0=0 src1=0 src2=0
	v_cvt_f32_f16_e64 v179 /*v435*/, v9
	s_set_vgpr_msb 20                       ;  msbs: dst=0 src0=0 src1=1 src2=1
	v_lshrrev_b16 v9, 8, v218 /*v474*/
	v_add3_u32 v0, v0, v162 /*v418*/, v163 /*v419*/
	s_set_vgpr_msb 0x44                     ;  msbs: dst=1 src0=0 src1=1 src2=0
	v_and_b32_e32 v163 /*v419*/, 0xffff, v186 /*v442*/
	v_bfe_u32 v162 /*v418*/, v1, 20, 4
	s_set_vgpr_msb 5                        ;  msbs: dst=0 src0=1 src1=1 src2=0
	v_mul_i32_i24_e32 v1, v164 /*v420*/, v165 /*v421*/
	s_set_vgpr_msb 0x44                     ;  msbs: dst=1 src0=0 src1=1 src2=0
	v_lshrrev_b16 v235 /*v491*/, 8, v219 /*v475*/
	s_set_vgpr_msb 4                        ;  msbs: dst=0 src0=0 src1=1 src2=0
	v_ashrrev_i32_e32 v150, 24, v218 /*v474*/
	s_set_vgpr_msb 0x45                     ;  msbs: dst=1 src0=1 src1=1 src2=0
	v_mul_i32_i24_e32 v165 /*v421*/, v163 /*v419*/, v166 /*v422*/
	v_mul_i32_i24_e32 v166 /*v422*/, v162 /*v418*/, v167 /*v423*/
	;; [unrolled: 1-line block ×3, first 2 shown]
	v_bfe_i32 v175 /*v431*/, v218 /*v474*/, 0, 8
	v_mul_i32_i24_e32 v209 /*v465*/, v180 /*v436*/, v150 /*v406*/
	s_set_vgpr_msb 16                       ;  msbs: dst=0 src0=0 src1=0 src2=1
	v_add3_u32 v0, v0, v1, v165 /*v421*/
	s_set_vgpr_msb 64                       ;  msbs: dst=1 src0=0 src1=0 src2=0
	v_bfe_u32 v165 /*v421*/, v4, 20, 4
	s_set_vgpr_msb 0x45                     ;  msbs: dst=1 src0=1 src1=1 src2=0
	v_mul_i32_i24_e32 v215 /*v471*/, v211 /*v467*/, v151 /*v407*/
	s_set_vgpr_msb 0x44                     ;  msbs: dst=1 src0=0 src1=1 src2=0
	v_mul_i32_i24_e32 v225 /*v481*/, v154, v154 /*v410*/
	s_set_vgpr_msb 0x45                     ;  msbs: dst=1 src0=1 src1=1 src2=0
	v_mul_i32_i24_e32 v226 /*v482*/, v224 /*v480*/, v153 /*v409*/
	s_set_vgpr_msb 20                       ;  msbs: dst=0 src0=0 src1=1 src2=1
	v_add3_u32 v0, v0, v166 /*v422*/, v167 /*v423*/
	s_set_vgpr_msb 0x44                     ;  msbs: dst=1 src0=0 src1=1 src2=0
	v_and_b32_e32 v166 /*v422*/, 0xffff, v183 /*v439*/
	v_bfe_u32 v167 /*v423*/, v4, 4, 4
	s_set_vgpr_msb 0x45                     ;  msbs: dst=1 src0=1 src1=1 src2=0
	v_mul_i32_i24_e32 v230 /*v486*/, v217 /*v473*/, v158 /*v414*/
	s_set_vgpr_msb 0x44                     ;  msbs: dst=1 src0=0 src1=1 src2=0
	v_mul_i32_i24_e32 v231 /*v487*/, v155, v157 /*v413*/
	v_lshrrev_b16 v236 /*v492*/, 8, v220 /*v476*/
	s_set_vgpr_msb 0x41                     ;  msbs: dst=1 src0=1 src1=0 src2=0
	v_bfe_i32 v237 /*v493*/, v221 /*v477*/, 0, 8
	s_set_vgpr_msb 5                        ;  msbs: dst=0 src0=1 src1=1 src2=0
	v_mul_i32_i24_e32 v4, v167 /*v423*/, v169 /*v425*/
	s_set_vgpr_msb 0x45                     ;  msbs: dst=1 src0=1 src1=1 src2=0
	v_mul_i32_i24_e32 v169 /*v425*/, v166 /*v422*/, v170 /*v426*/
	v_bfe_i32 v238 /*v494*/, v221 /*v477*/, 8, 8
	v_bfe_i32 v239 /*v495*/, v221 /*v477*/, 16, 8
	v_ashrrev_i32_e32 v221 /*v477*/, 24, v221 /*v477*/
	v_bfe_i32 v174 /*v430*/, v218 /*v474*/, 16, 8
	s_set_vgpr_msb 0                        ;  msbs: dst=0 src0=0 src1=0 src2=0
	v_bfe_i32 v9, v9, 0, 8
	s_set_vgpr_msb 0x45                     ;  msbs: dst=1 src0=1 src1=1 src2=0
	v_mul_i32_i24_e32 v187 /*v443*/, v175 /*v431*/, v161 /*v417*/
	s_set_vgpr_msb 0x44                     ;  msbs: dst=1 src0=0 src1=1 src2=0
	v_mul_i32_i24_e32 v240 /*v496*/, v150, v137 /*v393*/
	v_ashrrev_i32_e32 v173 /*v429*/, 24, v219 /*v475*/
	s_set_vgpr_msb 0x45                     ;  msbs: dst=1 src0=1 src1=1 src2=0
	v_mul_i32_i24_e32 v234 /*v490*/, v228 /*v484*/, v136 /*v392*/
	v_bfe_i32 v186 /*v442*/, v219 /*v475*/, 16, 8
	v_bfe_i32 v235 /*v491*/, v235 /*v491*/, 0, 8
	;; [unrolled: 1-line block ×3, first 2 shown]
	v_mul_i32_i24_e32 v170 /*v426*/, v165 /*v421*/, v171 /*v427*/
	v_mul_i32_i24_e32 v171 /*v427*/, v139 /*v395*/, v172 /*v428*/
	v_ashrrev_i32_e32 v172 /*v428*/, 24, v220 /*v476*/
	v_bfe_i32 v183 /*v439*/, v220 /*v476*/, 16, 8
	v_bfe_i32 v220 /*v476*/, v220 /*v476*/, 0, 8
	s_set_vgpr_msb 16                       ;  msbs: dst=0 src0=0 src1=0 src2=1
	v_add3_u32 v0, v0, v4, v169 /*v425*/
	s_set_vgpr_msb 0x54                     ;  msbs: dst=1 src0=0 src1=1 src2=1
	v_mad_i32_i24 v214 /*v470*/, v152, v149 /*v405*/, v214 /*v470*/
	s_set_vgpr_msb 5                        ;  msbs: dst=0 src0=1 src1=1 src2=0
	v_add3_u32 v151, v208 /*v464*/, v213 /*v469*/, v151
	s_set_vgpr_msb 0x55                     ;  msbs: dst=1 src0=1 src1=1 src2=1
	v_add3_u32 v208 /*v464*/, v210 /*v466*/, v222 /*v478*/, v227 /*v483*/
	v_mul_i32_i24_e32 v233 /*v489*/, v229 /*v485*/, v156 /*v412*/
	s_set_vgpr_msb 0x44                     ;  msbs: dst=1 src0=0 src1=1 src2=0
	v_mul_i32_i24_e32 v218 /*v474*/, v9, v160 /*v416*/
	s_set_vgpr_msb 0x45                     ;  msbs: dst=1 src0=1 src1=1 src2=0
	v_mul_i32_i24_e32 v232 /*v488*/, v174 /*v430*/, v159 /*v415*/
	s_set_vgpr_msb 5                        ;  msbs: dst=0 src0=1 src1=1 src2=0
	v_mul_i32_i24_e32 v1, v219 /*v475*/, v164 /*v420*/
	s_set_vgpr_msb 0x45                     ;  msbs: dst=1 src0=1 src1=1 src2=0
	v_mul_i32_i24_e32 v241 /*v497*/, v235 /*v491*/, v163 /*v419*/
	v_mul_i32_i24_e32 v243 /*v499*/, v173 /*v429*/, v138 /*v394*/
	v_bfe_i32 v236 /*v492*/, v236 /*v492*/, 0, 8
	s_set_vgpr_msb 20                       ;  msbs: dst=0 src0=0 src1=1 src2=1
	v_add3_u32 v0, v0, v170 /*v426*/, v171 /*v427*/
	s_set_vgpr_msb 5                        ;  msbs: dst=0 src0=1 src1=1 src2=0
	v_mul_i32_i24_e32 v4, v220 /*v476*/, v167 /*v423*/
	s_set_vgpr_msb 0x55                     ;  msbs: dst=1 src0=1 src1=1 src2=1
	v_mul_i32_i24_e32 v171 /*v427*/, v172 /*v428*/, v139 /*v395*/
	v_add3_u32 v209 /*v465*/, v209 /*v465*/, v215 /*v471*/, v226 /*v482*/
	v_add3_u32 v210 /*v466*/, v214 /*v470*/, v225 /*v481*/, v231 /*v487*/
	;; [unrolled: 1-line block ×3, first 2 shown]
	s_set_vgpr_msb 20                       ;  msbs: dst=0 src0=0 src1=1 src2=1
	v_add3_u32 v151, v151, v230 /*v486*/, v187 /*v443*/
	s_set_vgpr_msb 0x55                     ;  msbs: dst=1 src0=1 src1=1 src2=1
	v_mul_i32_i24_e32 v242 /*v498*/, v186 /*v442*/, v162 /*v418*/
	v_mul_i32_i24_e32 v169 /*v425*/, v236 /*v492*/, v166 /*v422*/
	;; [unrolled: 1-line block ×3, first 2 shown]
	v_add3_u32 v187 /*v443*/, v209 /*v465*/, v233 /*v489*/, v232 /*v488*/
	v_add3_u32 v209 /*v465*/, v210 /*v466*/, v218 /*v474*/, v241 /*v497*/
	s_set_vgpr_msb 0                        ;  msbs: dst=0 src0=0 src1=0 src2=0
	v_add3_u32 v1, v151, v1, v4
	s_set_vgpr_msb 21                       ;  msbs: dst=0 src0=1 src1=1 src2=1
	v_add3_u32 v4, v208 /*v464*/, v243 /*v499*/, v171 /*v427*/
	s_set_vgpr_msb 0x55                     ;  msbs: dst=1 src0=1 src1=1 src2=1
	v_mul_i32_i24_e32 v244 /*v500*/, v237 /*v493*/, v143 /*v399*/
	v_add3_u32 v170 /*v426*/, v187 /*v443*/, v242 /*v498*/, v170 /*v426*/
	v_mul_i32_i24_e32 v245 /*v501*/, v238 /*v494*/, v145 /*v401*/
	v_mul_i32_i24_e32 v247 /*v503*/, v239 /*v495*/, v79 /*v335*/
	s_set_vgpr_msb 5                        ;  msbs: dst=0 src0=1 src1=1 src2=0
	v_add3_u32 v4, v209 /*v465*/, v169 /*v425*/, v4
	s_set_vgpr_msb 0x45                     ;  msbs: dst=1 src0=1 src1=1 src2=0
	v_mul_i32_i24_e32 v249 /*v505*/, v78 /*v334*/, v221 /*v477*/
	s_set_vgpr_msb 20                       ;  msbs: dst=0 src0=0 src1=1 src2=1
	v_add3_u32 v0, v0, v181 /*v437*/, v182 /*v438*/
	v_cvt_f32_f16_e32 v7, v7
	v_cvt_f32_f16_e32 v6, v6
	s_set_vgpr_msb 4                        ;  msbs: dst=0 src0=0 src1=1 src2=0
	v_add3_u32 v1, v1, v170 /*v426*/, v4
	s_set_vgpr_msb 0x44                     ;  msbs: dst=1 src0=0 src1=1 src2=0
	v_pk_fma_f32 v[206:207] /*v[462:463]*/, v[116:117], v[178:179] /*v[434:435]*/, 0 op_sel_hi:[0,1,0]
	s_set_vgpr_msb 20                       ;  msbs: dst=0 src0=0 src1=1 src2=1
	v_add3_u32 v0, v0, v246 /*v502*/, v248 /*v504*/
	v_mul_i32_i24_e32 v4, v21, v83 /*v339*/
	v_mul_i32_i24_e32 v151, v25, v86 /*v342*/
	v_add3_u32 v1, v1, v244 /*v500*/, v245 /*v501*/
	s_set_vgpr_msb 0x50                     ;  msbs: dst=1 src0=0 src1=0 src2=1
	v_pk_fma_f32 v[170:171] /*v[426:427]*/, v[118:119], v[6:7], v[206:207] /*v[462:463]*/ op_sel_hi:[0,1,1]
	s_set_vgpr_msb 4                        ;  msbs: dst=0 src0=0 src1=1 src2=0
	v_mul_lo_u32 v0, v0, v77 /*v333*/
	s_set_vgpr_msb 0x44                     ;  msbs: dst=1 src0=0 src1=1 src2=0
	v_mul_i32_i24_e32 v169 /*v425*/, v26, v87 /*v343*/
	v_mul_i32_i24_e32 v181 /*v437*/, v30, v90 /*v346*/
	s_set_vgpr_msb 20                       ;  msbs: dst=0 src0=0 src1=1 src2=1
	v_add3_u32 v1, v1, v247 /*v503*/, v249 /*v505*/
	s_set_vgpr_msb 0x41                     ;  msbs: dst=1 src0=1 src1=0 src2=0
	v_pk_mul_f32 v[170:171] /*v[426:427]*/, v[170:171] /*v[426:427]*/, v[96:97]
	s_set_vgpr_msb 0x44                     ;  msbs: dst=1 src0=0 src1=1 src2=0
	v_mul_i32_i24_e32 v182 /*v438*/, v32, v91 /*v347*/
	v_mul_i32_i24_e32 v187 /*v443*/, v38, v94 /*v350*/
	;; [unrolled: 1-line block ×3, first 2 shown]
	s_set_vgpr_msb 4                        ;  msbs: dst=0 src0=0 src1=1 src2=0
	v_mul_lo_u32 v1, v1, v77 /*v333*/
	s_set_vgpr_msb 0x44                     ;  msbs: dst=1 src0=0 src1=1 src2=0
	v_mul_i32_i24_e32 v207 /*v463*/, v42, v96 /*v352*/
	v_mul_i32_i24_e32 v208 /*v464*/, v44, v97 /*v353*/
	s_set_vgpr_msb 0                        ;  msbs: dst=0 src0=0 src1=0 src2=0
	v_cvt_f32_i32_e32 v0, v0
	s_set_vgpr_msb 0x41                     ;  msbs: dst=1 src0=1 src1=0 src2=0
	v_mul_i32_i24_e32 v209 /*v465*/, v99 /*v355*/, v46
	v_mul_i32_i24_e32 v210 /*v466*/, v98 /*v354*/, v48
	;; [unrolled: 1-line block ×7, first 2 shown]
	s_set_vgpr_msb 0                        ;  msbs: dst=0 src0=0 src1=0 src2=0
	v_cvt_f32_i32_e32 v1, v1
	s_set_vgpr_msb 0x41                     ;  msbs: dst=1 src0=1 src1=0 src2=0
	v_mul_i32_i24_e32 v225 /*v481*/, v104 /*v360*/, v143
	v_mul_i32_i24_e32 v226 /*v482*/, v107 /*v363*/, v144
	;; [unrolled: 1-line block ×3, first 2 shown]
	s_set_vgpr_msb 0x44                     ;  msbs: dst=1 src0=0 src1=1 src2=0
	v_mul_i32_i24_e32 v230 /*v486*/, v146, v108 /*v364*/
	s_set_vgpr_msb 17                       ;  msbs: dst=0 src0=1 src1=0 src2=1
	v_pk_fma_f32 v[0:1], v[188:189] /*v[444:445]*/, v[0:1], v[184:185] /*v[440:441]*/
	s_set_vgpr_msb 0x44                     ;  msbs: dst=1 src0=0 src1=1 src2=0
	v_mul_i32_i24_e32 v184 /*v440*/, v34, v92 /*v348*/
	v_mul_i32_i24_e32 v185 /*v441*/, v36, v93 /*v349*/
	s_set_vgpr_msb 64                       ;  msbs: dst=1 src0=0 src1=0 src2=0
	v_mul_i32_i24_e32 v231 /*v487*/, v147, v195
	v_mul_i32_i24_e32 v232 /*v488*/, v148, v197
	s_set_vgpr_msb 16                       ;  msbs: dst=0 src0=0 src1=0 src2=1
	v_pk_fma_f32 v[0:1], v[0:1], v[88:89], v[170:171] /*v[426:427]*/ neg_lo:[0,0,1] neg_hi:[0,0,1]
	s_set_vgpr_msb 0x44                     ;  msbs: dst=1 src0=0 src1=1 src2=0
	v_mul_i32_i24_e32 v170 /*v426*/, v28, v88 /*v344*/
	v_mul_i32_i24_e32 v171 /*v427*/, v29, v89 /*v345*/
	s_set_vgpr_msb 0x41                     ;  msbs: dst=1 src0=1 src1=0 src2=0
	v_mul_i32_i24_e32 v233 /*v489*/, v238 /*v494*/, v241
	s_set_vgpr_msb 0                        ;  msbs: dst=0 src0=0 src1=0 src2=0
	v_pk_add_f32 v[68:69], v[68:69], v[0:1]
	s_set_vgpr_msb 4                        ;  msbs: dst=0 src0=0 src1=1 src2=0
	v_mul_i32_i24_e32 v0, v18, v81 /*v337*/
	v_mul_i32_i24_e32 v1, v20, v82 /*v338*/
	s_delay_alu instid0(VALU_DEP_2) | instskip(SKIP_1) | instid1(VALU_DEP_1)
	v_mad_i32_i24 v0, v19, v80 /*v336*/, v0
	s_set_vgpr_msb 0                        ;  msbs: dst=0 src0=0 src1=0 src2=0
	v_add3_u32 v0, v0, v1, v4
	s_set_vgpr_msb 4                        ;  msbs: dst=0 src0=0 src1=1 src2=0
	v_mul_i32_i24_e32 v1, v22, v84 /*v340*/
	v_mul_i32_i24_e32 v4, v24, v85 /*v341*/
	s_set_vgpr_msb 0                        ;  msbs: dst=0 src0=0 src1=0 src2=0
	s_delay_alu instid0(VALU_DEP_1)
	v_add3_u32 v0, v0, v1, v4
	s_set_vgpr_msb 1                        ;  msbs: dst=0 src0=1 src1=0 src2=0
	v_mul_i32_i24_e32 v1, v205 /*v461*/, v189
	v_mul_i32_i24_e32 v4, v180 /*v436*/, v187
	s_set_vgpr_msb 16                       ;  msbs: dst=0 src0=0 src1=0 src2=1
	v_add3_u32 v0, v0, v151, v169 /*v425*/
	v_mul_i32_i24_e32 v151, v156, v193
	s_set_vgpr_msb 0                        ;  msbs: dst=0 src0=0 src1=0 src2=0
	v_mad_i32_i24 v1, v152, v188, v1
	s_set_vgpr_msb 0x41                     ;  msbs: dst=1 src0=1 src1=0 src2=0
	v_mul_i32_i24_e32 v169 /*v425*/, v211 /*v467*/, v191
	s_set_vgpr_msb 20                       ;  msbs: dst=0 src0=0 src1=1 src2=1
	v_add3_u32 v0, v0, v170 /*v426*/, v171 /*v427*/
	s_set_vgpr_msb 0x41                     ;  msbs: dst=1 src0=1 src1=0 src2=0
	v_mul_i32_i24_e32 v170 /*v426*/, v190 /*v446*/, v201
	s_set_vgpr_msb 0                        ;  msbs: dst=0 src0=0 src1=0 src2=0
	v_add3_u32 v1, v1, v4, v151
	s_set_vgpr_msb 1                        ;  msbs: dst=0 src0=1 src1=0 src2=0
	v_mul_i32_i24_e32 v4, v212 /*v468*/, v198
	s_set_vgpr_msb 0                        ;  msbs: dst=0 src0=0 src1=0 src2=0
	v_mul_i32_i24_e32 v151, v153, v199
	s_set_vgpr_msb 20                       ;  msbs: dst=0 src0=0 src1=1 src2=1
	v_add3_u32 v0, v0, v181 /*v437*/, v182 /*v438*/
	s_set_vgpr_msb 0x41                     ;  msbs: dst=1 src0=1 src1=0 src2=0
	v_mul_i32_i24_e32 v171 /*v427*/, v216 /*v472*/, v203
	s_set_vgpr_msb 64                       ;  msbs: dst=1 src0=0 src1=0 src2=0
	v_mul_i32_i24_e32 v181 /*v437*/, v154, v206
	s_set_vgpr_msb 0x41                     ;  msbs: dst=1 src0=1 src1=0 src2=0
	v_mul_i32_i24_e32 v182 /*v438*/, v224 /*v480*/, v200
	s_set_vgpr_msb 0                        ;  msbs: dst=0 src0=0 src1=0 src2=0
	v_add3_u32 v1, v1, v4, v151
	s_set_vgpr_msb 20                       ;  msbs: dst=0 src0=0 src1=1 src2=1
	v_add3_u32 v0, v0, v184 /*v440*/, v185 /*v441*/
	s_set_vgpr_msb 0x41                     ;  msbs: dst=1 src0=1 src1=0 src2=0
	v_mul_i32_i24_e32 v184 /*v440*/, v223 /*v479*/, v208
	v_mul_i32_i24_e32 v185 /*v441*/, v217 /*v473*/, v210
	s_set_vgpr_msb 0                        ;  msbs: dst=0 src0=0 src1=0 src2=0
	v_mul_i32_i24_e32 v4, v149, v171
	s_set_vgpr_msb 20                       ;  msbs: dst=0 src0=0 src1=1 src2=1
	v_add3_u32 v1, v1, v169 /*v425*/, v170 /*v426*/
	v_add3_u32 v0, v0, v187 /*v443*/, v206 /*v462*/
	s_set_vgpr_msb 64                       ;  msbs: dst=1 src0=0 src1=0 src2=0
	v_mul_i32_i24_e32 v187 /*v443*/, v155, v212
	s_set_vgpr_msb 0x41                     ;  msbs: dst=1 src0=1 src1=0 src2=0
	v_mul_i32_i24_e32 v206 /*v462*/, v229 /*v485*/, v207
	v_mul_i32_i24_e32 v169 /*v425*/, v239 /*v495*/, v119
	s_set_vgpr_msb 20                       ;  msbs: dst=0 src0=0 src1=1 src2=1
	v_add3_u32 v1, v1, v171 /*v427*/, v181 /*v437*/
	v_add3_u32 v0, v0, v207 /*v463*/, v208 /*v464*/
	s_set_vgpr_msb 0x41                     ;  msbs: dst=1 src0=1 src1=0 src2=0
	v_mul_i32_i24_e32 v207 /*v463*/, v228 /*v484*/, v213
	v_mul_i32_i24_e32 v208 /*v464*/, v175 /*v431*/, v216
	s_set_vgpr_msb 64                       ;  msbs: dst=1 src0=0 src1=0 src2=0
	v_mul_i32_i24_e32 v170 /*v426*/, v2, v119
	s_set_vgpr_msb 20                       ;  msbs: dst=0 src0=0 src1=1 src2=1
	v_add3_u32 v1, v1, v182 /*v438*/, v184 /*v440*/
	v_add3_u32 v0, v0, v209 /*v465*/, v210 /*v466*/
	s_set_vgpr_msb 64                       ;  msbs: dst=1 src0=0 src1=0 src2=0
	v_mul_i32_i24_e32 v209 /*v465*/, v9, v217
	s_set_vgpr_msb 0x41                     ;  msbs: dst=1 src0=1 src1=0 src2=0
	v_mul_i32_i24_e32 v210 /*v466*/, v174 /*v430*/, v220
	s_set_vgpr_msb 0x44                     ;  msbs: dst=1 src0=0 src1=1 src2=0
	v_mul_i32_i24_e32 v171 /*v427*/, v117, v221 /*v477*/
	s_set_vgpr_msb 20                       ;  msbs: dst=0 src0=0 src1=1 src2=1
	v_add3_u32 v1, v1, v185 /*v441*/, v187 /*v443*/
	v_add3_u32 v0, v0, v213 /*v469*/, v214 /*v470*/
	s_set_vgpr_msb 64                       ;  msbs: dst=1 src0=0 src1=0 src2=0
	v_mul_i32_i24_e32 v213 /*v469*/, v150, v218
	s_set_vgpr_msb 0x41                     ;  msbs: dst=1 src0=1 src1=0 src2=0
	v_mul_i32_i24_e32 v214 /*v470*/, v219 /*v475*/, v221
	s_set_vgpr_msb 64                       ;  msbs: dst=1 src0=0 src1=0 src2=0
	v_mul_i32_i24_e32 v181 /*v437*/, v117, v3
	s_set_vgpr_msb 20                       ;  msbs: dst=0 src0=0 src1=1 src2=1
	v_add3_u32 v1, v1, v206 /*v462*/, v207 /*v463*/
	v_add3_u32 v0, v0, v215 /*v471*/, v218 /*v474*/
	s_set_vgpr_msb 0x41                     ;  msbs: dst=1 src0=1 src1=0 src2=0
	v_mul_i32_i24_e32 v215 /*v471*/, v235 /*v491*/, v222
	v_mul_i32_i24_e32 v218 /*v474*/, v186 /*v442*/, v227
	s_set_vgpr_msb 0x55                     ;  msbs: dst=1 src0=1 src1=1 src2=1
	v_add3_u32 v182 /*v438*/, v194 /*v450*/, v192 /*v448*/, v193 /*v449*/
	s_set_vgpr_msb 20                       ;  msbs: dst=0 src0=0 src1=1 src2=1
	v_add3_u32 v1, v1, v208 /*v464*/, v209 /*v465*/
	v_add3_u32 v0, v0, v222 /*v478*/, v225 /*v481*/
	s_set_vgpr_msb 0x41                     ;  msbs: dst=1 src0=1 src1=0 src2=0
	v_mul_i32_i24_e32 v222 /*v478*/, v173 /*v429*/, v224
	v_mul_i32_i24_e32 v225 /*v481*/, v220 /*v476*/, v229
	s_set_vgpr_msb 0x55                     ;  msbs: dst=1 src0=1 src1=1 src2=1
	v_add3_u32 v170 /*v426*/, v182 /*v438*/, v170 /*v426*/, v181 /*v437*/
	s_set_vgpr_msb 20                       ;  msbs: dst=0 src0=0 src1=1 src2=1
	v_add3_u32 v1, v1, v210 /*v466*/, v213 /*v469*/
	v_add3_u32 v0, v0, v226 /*v482*/, v227 /*v483*/
	s_set_vgpr_msb 0x41                     ;  msbs: dst=1 src0=1 src1=0 src2=0
	v_mul_i32_i24_e32 v226 /*v482*/, v236 /*v492*/, v230
	v_mul_i32_i24_e32 v227 /*v483*/, v183 /*v439*/, v236
	s_set_vgpr_msb 64                       ;  msbs: dst=1 src0=0 src1=0 src2=0
	v_mul_i32_i24_e32 v181 /*v437*/, v32, v186
	s_set_vgpr_msb 20                       ;  msbs: dst=0 src0=0 src1=1 src2=1
	v_add3_u32 v1, v1, v214 /*v470*/, v215 /*v471*/
	v_add3_u32 v0, v0, v230 /*v486*/, v231 /*v487*/
	s_set_vgpr_msb 0x41                     ;  msbs: dst=1 src0=1 src1=0 src2=0
	v_mul_i32_i24_e32 v230 /*v486*/, v172 /*v428*/, v233
	v_mul_i32_i24_e32 v231 /*v487*/, v237 /*v493*/, v239
	s_set_vgpr_msb 64                       ;  msbs: dst=1 src0=0 src1=0 src2=0
	v_mul_i32_i24_e32 v182 /*v438*/, v34, v190
	s_set_vgpr_msb 20                       ;  msbs: dst=0 src0=0 src1=1 src2=1
	v_add3_u32 v1, v1, v218 /*v474*/, v222 /*v478*/
	s_set_vgpr_msb 4                        ;  msbs: dst=0 src0=0 src1=1 src2=0
	v_add3_u32 v0, v0, v232 /*v488*/, v4
	s_set_vgpr_msb 64                       ;  msbs: dst=1 src0=0 src1=0 src2=0
	v_mul_i32_i24_e32 v184 /*v440*/, v36, v192
	v_mul_i32_i24_e32 v185 /*v441*/, v38, v194
	;; [unrolled: 1-line block ×3, first 2 shown]
	s_set_vgpr_msb 20                       ;  msbs: dst=0 src0=0 src1=1 src2=1
	v_add3_u32 v1, v1, v225 /*v481*/, v226 /*v482*/
	s_set_vgpr_msb 0                        ;  msbs: dst=0 src0=0 src1=0 src2=0
	v_mul_lo_u32 v0, v0, v172
	s_set_vgpr_msb 64                       ;  msbs: dst=1 src0=0 src1=0 src2=0
	v_mul_i32_i24_e32 v192 /*v448*/, v44, v204
	v_mul_i32_i24_e32 v193 /*v449*/, v209, v46
	v_mul_i32_i24_e32 v194 /*v450*/, v205, v48
	s_set_vgpr_msb 20                       ;  msbs: dst=0 src0=0 src1=1 src2=1
	v_add3_u32 v151, v1, v227 /*v483*/, v230 /*v486*/
	s_set_vgpr_msb 1                        ;  msbs: dst=0 src0=1 src1=0 src2=0
	v_mul_i32_i24_e32 v1, v168 /*v424*/, v171
	s_set_vgpr_msb 64                       ;  msbs: dst=1 src0=0 src1=0 src2=0
	v_mul_i32_i24_e32 v206 /*v462*/, v214, v52
	v_mul_i32_i24_e32 v207 /*v463*/, v211, v53
	;; [unrolled: 1-line block ×3, first 2 shown]
	s_set_vgpr_msb 20                       ;  msbs: dst=0 src0=0 src1=1 src2=1
	v_add3_u32 v151, v151, v231 /*v487*/, v233 /*v489*/
	s_set_vgpr_msb 1                        ;  msbs: dst=0 src0=1 src1=0 src2=0
	v_add3_u32 v1, v191 /*v447*/, v5, v1
	s_set_vgpr_msb 64                       ;  msbs: dst=1 src0=0 src1=0 src2=0
	v_mul_i32_i24_e32 v191 /*v447*/, v42, v202
	v_mul_i32_i24_e32 v209 /*v465*/, v215, v141
	;; [unrolled: 1-line block ×3, first 2 shown]
	s_set_vgpr_msb 20                       ;  msbs: dst=0 src0=0 src1=1 src2=1
	v_add3_u32 v151, v151, v169 /*v425*/, v171 /*v427*/
	s_set_vgpr_msb 0                        ;  msbs: dst=0 src0=0 src1=0 src2=0
	v_mul_lo_u32 v4, v1, v172
	s_set_vgpr_msb 0x41                     ;  msbs: dst=1 src0=1 src1=0 src2=0
	v_mul_lo_u32 v169 /*v425*/, v170 /*v426*/, v122
	s_set_vgpr_msb 0                        ;  msbs: dst=0 src0=0 src1=0 src2=0
	v_cvt_f32_i32_e32 v1, v0
	s_set_vgpr_msb 64                       ;  msbs: dst=1 src0=0 src1=0 src2=0
	v_mul_i32_i24_e32 v213 /*v469*/, v223, v143
	s_set_vgpr_msb 0                        ;  msbs: dst=0 src0=0 src1=0 src2=0
	v_mul_lo_u32 v151, v151, v122
	s_set_vgpr_msb 64                       ;  msbs: dst=1 src0=0 src1=0 src2=0
	v_mul_i32_i24_e32 v214 /*v470*/, v231, v144
	v_mul_i32_i24_e32 v215 /*v471*/, v226, v145
	;; [unrolled: 1-line block ×5, first 2 shown]
	s_set_vgpr_msb 0x45                     ;  msbs: dst=1 src0=1 src1=1 src2=0
	v_mul_i32_i24_e32 v226 /*v482*/, v238 /*v494*/, v11 /*v267*/
	s_set_vgpr_msb 4                        ;  msbs: dst=0 src0=0 src1=1 src2=0
	v_cvt_f32_i32_e32 v0, v4
	v_pk_fma_f32 v[4:5], v[104:105], v[178:179] /*v[434:435]*/, 0 op_sel_hi:[0,1,0]
	s_set_vgpr_msb 0x41                     ;  msbs: dst=1 src0=1 src1=0 src2=0
	v_cvt_f32_i32_e32 v170 /*v426*/, v169 /*v425*/
	s_set_vgpr_msb 64                       ;  msbs: dst=1 src0=0 src1=0 src2=0
	v_mul_i32_i24_e32 v169 /*v425*/, v28, v183
	v_cvt_f32_i32_e32 v171 /*v427*/, v151
	s_set_vgpr_msb 1                        ;  msbs: dst=0 src0=1 src1=0 src2=0
	v_pk_fma_f32 v[0:1], v[176:177] /*v[432:433]*/, v[0:1], 0 op_sel_hi:[1,1,0]
	s_set_vgpr_msb 0                        ;  msbs: dst=0 src0=0 src1=0 src2=0
	v_pk_fma_f32 v[4:5], v[106:107], v[6:7], v[4:5] op_sel_hi:[0,1,1]
	v_mul_i32_i24_e32 v151, v26, v182
	s_set_vgpr_msb 5                        ;  msbs: dst=0 src0=1 src1=1 src2=0
	v_pk_fma_f32 v[0:1], v[188:189] /*v[444:445]*/, v[170:171] /*v[426:427]*/, v[0:1]
	s_set_vgpr_msb 0                        ;  msbs: dst=0 src0=0 src1=0 src2=0
	v_pk_mul_f32 v[4:5], v[4:5], v[98:99]
	s_set_vgpr_msb 64                       ;  msbs: dst=1 src0=0 src1=0 src2=0
	v_mul_i32_i24_e32 v170 /*v426*/, v29, v184
	v_mul_i32_i24_e32 v171 /*v427*/, v30, v185
	s_set_vgpr_msb 0                        ;  msbs: dst=0 src0=0 src1=0 src2=0
	v_pk_fma_f32 v[0:1], v[0:1], v[90:91], v[4:5] neg_lo:[0,0,1] neg_hi:[0,0,1]
	v_mul_i32_i24_e32 v4, v21, v178
	v_mul_i32_i24_e32 v5, v25, v181
	s_delay_alu instid0(VALU_DEP_3) | instskip(SKIP_2) | instid1(VALU_DEP_2)
	v_pk_add_f32 v[76:77], v[76:77], v[0:1]
	v_mul_i32_i24_e32 v0, v18, v176
	v_mul_i32_i24_e32 v1, v20, v177
	v_mad_i32_i24 v0, v19, v175, v0
	s_delay_alu instid0(VALU_DEP_1) | instskip(SKIP_2) | instid1(VALU_DEP_1)
	v_add3_u32 v0, v0, v1, v4
	v_mul_i32_i24_e32 v1, v22, v179
	v_mul_i32_i24_e32 v4, v24, v180
	v_add3_u32 v0, v0, v1, v4
	s_set_vgpr_msb 1                        ;  msbs: dst=0 src0=1 src1=0 src2=0
	v_mul_i32_i24_e32 v1, v205 /*v461*/, v234
	v_mul_i32_i24_e32 v4, v180 /*v436*/, v228
	s_set_vgpr_msb 0                        ;  msbs: dst=0 src0=0 src1=0 src2=0
	v_add3_u32 v0, v0, v5, v151
	v_mul_i32_i24_e32 v5, v156, v238
	v_mad_i32_i24 v1, v152, v232, v1
	s_set_vgpr_msb 1                        ;  msbs: dst=0 src0=1 src1=0 src2=0
	v_mul_i32_i24_e32 v151, v211 /*v467*/, v235
	s_set_vgpr_msb 20                       ;  msbs: dst=0 src0=0 src1=1 src2=1
	v_add3_u32 v0, v0, v169 /*v425*/, v170 /*v426*/
	s_set_vgpr_msb 0x41                     ;  msbs: dst=1 src0=1 src1=0 src2=0
	v_mul_i32_i24_e32 v169 /*v425*/, v190 /*v446*/, v246
	s_set_vgpr_msb 0                        ;  msbs: dst=0 src0=0 src1=0 src2=0
	v_add3_u32 v1, v1, v4, v5
	s_set_vgpr_msb 1                        ;  msbs: dst=0 src0=1 src1=0 src2=0
	v_mul_i32_i24_e32 v4, v212 /*v468*/, v243
	s_set_vgpr_msb 0                        ;  msbs: dst=0 src0=0 src1=0 src2=0
	v_mul_i32_i24_e32 v5, v153, v244
	s_set_vgpr_msb 20                       ;  msbs: dst=0 src0=0 src1=1 src2=1
	v_add3_u32 v0, v0, v171 /*v427*/, v181 /*v437*/
	s_set_vgpr_msb 0x41                     ;  msbs: dst=1 src0=1 src1=0 src2=0
	v_mul_i32_i24_e32 v170 /*v426*/, v216 /*v472*/, v247
	s_set_vgpr_msb 64                       ;  msbs: dst=1 src0=0 src1=0 src2=0
	v_mul_i32_i24_e32 v171 /*v427*/, v154, v248
	s_set_vgpr_msb 0x41                     ;  msbs: dst=1 src0=1 src1=0 src2=0
	v_mul_i32_i24_e32 v181 /*v437*/, v224 /*v480*/, v245
	s_set_vgpr_msb 0                        ;  msbs: dst=0 src0=0 src1=0 src2=0
	v_add3_u32 v1, v1, v4, v5
	s_set_vgpr_msb 20                       ;  msbs: dst=0 src0=0 src1=1 src2=1
	v_add3_u32 v0, v0, v182 /*v438*/, v184 /*v440*/
	s_set_vgpr_msb 0x41                     ;  msbs: dst=1 src0=1 src1=0 src2=0
	v_mul_i32_i24_e32 v182 /*v438*/, v223 /*v479*/, v250
	v_mul_i32_i24_e32 v184 /*v440*/, v217 /*v473*/, v251
	s_set_vgpr_msb 16                       ;  msbs: dst=0 src0=0 src1=0 src2=1
	v_mul_i32_i24_e32 v4, v149, v173
	v_add3_u32 v1, v1, v151, v169 /*v425*/
	s_set_vgpr_msb 20                       ;  msbs: dst=0 src0=0 src1=1 src2=1
	v_add3_u32 v0, v0, v185 /*v441*/, v187 /*v443*/
	s_set_vgpr_msb 64                       ;  msbs: dst=1 src0=0 src1=0 src2=0
	v_mul_i32_i24_e32 v185 /*v441*/, v155, v252
	s_set_vgpr_msb 0x41                     ;  msbs: dst=1 src0=1 src1=0 src2=0
	v_mul_i32_i24_e32 v187 /*v443*/, v229 /*v485*/, v249
	v_mul_i32_i24_e32 v169 /*v425*/, v239 /*v495*/, v166
	s_set_vgpr_msb 20                       ;  msbs: dst=0 src0=0 src1=1 src2=1
	v_add3_u32 v1, v1, v170 /*v426*/, v171 /*v427*/
	v_add3_u32 v0, v0, v191 /*v447*/, v192 /*v448*/
	s_set_vgpr_msb 0x41                     ;  msbs: dst=1 src0=1 src1=0 src2=0
	v_mul_i32_i24_e32 v191 /*v447*/, v228 /*v484*/, v253
	v_mul_i32_i24_e32 v192 /*v448*/, v175 /*v431*/, v254
	s_set_vgpr_msb 64                       ;  msbs: dst=1 src0=0 src1=0 src2=0
	v_mul_i32_i24_e32 v170 /*v426*/, v2, v166
	s_set_vgpr_msb 20                       ;  msbs: dst=0 src0=0 src1=1 src2=1
	v_add3_u32 v1, v1, v181 /*v437*/, v182 /*v438*/
	v_add3_u32 v0, v0, v193 /*v449*/, v194 /*v450*/
	s_set_vgpr_msb 64                       ;  msbs: dst=1 src0=0 src1=0 src2=0
	v_mul_i32_i24_e32 v193 /*v449*/, v9, v255
	s_set_vgpr_msb 0x45                     ;  msbs: dst=1 src0=1 src1=1 src2=0
	v_mul_i32_i24_e32 v194 /*v450*/, v174 /*v430*/, v1 /*v257*/
	s_set_vgpr_msb 0x44                     ;  msbs: dst=1 src0=0 src1=1 src2=0
	v_mul_i32_i24_e32 v171 /*v427*/, v123, v221 /*v477*/
	s_set_vgpr_msb 20                       ;  msbs: dst=0 src0=0 src1=1 src2=1
	v_add3_u32 v1, v1, v184 /*v440*/, v185 /*v441*/
	v_add3_u32 v0, v0, v206 /*v462*/, v207 /*v463*/
	s_set_vgpr_msb 0x44                     ;  msbs: dst=1 src0=0 src1=1 src2=0
	v_mul_i32_i24_e32 v206 /*v462*/, v150, v0 /*v256*/
	s_set_vgpr_msb 0x45                     ;  msbs: dst=1 src0=1 src1=1 src2=0
	v_mul_i32_i24_e32 v207 /*v463*/, v219 /*v475*/, v2 /*v258*/
	s_set_vgpr_msb 64                       ;  msbs: dst=1 src0=0 src1=0 src2=0
	v_mul_i32_i24_e32 v181 /*v437*/, v123, v3
	s_set_vgpr_msb 20                       ;  msbs: dst=0 src0=0 src1=1 src2=1
	v_add3_u32 v1, v1, v187 /*v443*/, v191 /*v447*/
	v_add3_u32 v0, v0, v208 /*v464*/, v209 /*v465*/
	s_set_vgpr_msb 0x55                     ;  msbs: dst=1 src0=1 src1=1 src2=1
	v_mul_i32_i24_e32 v208 /*v464*/, v235 /*v491*/, v3 /*v259*/
	v_mul_i32_i24_e32 v209 /*v465*/, v186 /*v442*/, v5 /*v261*/
	v_add3_u32 v182 /*v438*/, v199 /*v455*/, v197 /*v453*/, v198 /*v454*/
	s_set_vgpr_msb 20                       ;  msbs: dst=0 src0=0 src1=1 src2=1
	v_add3_u32 v1, v1, v192 /*v448*/, v193 /*v449*/
	v_add3_u32 v0, v0, v210 /*v466*/, v213 /*v469*/
	s_set_vgpr_msb 0x55                     ;  msbs: dst=1 src0=1 src1=1 src2=1
	v_mul_i32_i24_e32 v210 /*v466*/, v173 /*v429*/, v4 /*v260*/
	v_mul_i32_i24_e32 v213 /*v469*/, v220 /*v476*/, v6 /*v262*/
	v_add3_u32 v170 /*v426*/, v182 /*v438*/, v170 /*v426*/, v181 /*v437*/
	s_set_vgpr_msb 20                       ;  msbs: dst=0 src0=0 src1=1 src2=1
	v_add3_u32 v1, v1, v194 /*v450*/, v206 /*v462*/
	v_add3_u32 v0, v0, v214 /*v470*/, v215 /*v471*/
	s_set_vgpr_msb 0x45                     ;  msbs: dst=1 src0=1 src1=1 src2=0
	v_mul_i32_i24_e32 v214 /*v470*/, v236 /*v492*/, v7 /*v263*/
	v_mul_i32_i24_e32 v215 /*v471*/, v183 /*v439*/, v9 /*v265*/
	s_set_vgpr_msb 20                       ;  msbs: dst=0 src0=0 src1=1 src2=1
	v_mul_i32_i24_e32 v9, v9, v62 /*v318*/
	v_add3_u32 v1, v1, v207 /*v463*/, v208 /*v464*/
	v_add3_u32 v0, v0, v218 /*v474*/, v222 /*v478*/
	s_set_vgpr_msb 0x45                     ;  msbs: dst=1 src0=1 src1=1 src2=0
	v_mul_i32_i24_e32 v218 /*v474*/, v172 /*v428*/, v8 /*v264*/
	v_mul_i32_i24_e32 v222 /*v478*/, v237 /*v493*/, v10 /*v266*/
	s_set_vgpr_msb 0                        ;  msbs: dst=0 src0=0 src1=0 src2=0
	v_mul_i32_i24_e32 v2, v2, v169
	s_set_vgpr_msb 20                       ;  msbs: dst=0 src0=0 src1=1 src2=1
	v_add3_u32 v1, v1, v209 /*v465*/, v210 /*v466*/
	s_set_vgpr_msb 4                        ;  msbs: dst=0 src0=0 src1=1 src2=0
	v_add3_u32 v0, v0, v225 /*v481*/, v4
	s_set_vgpr_msb 0                        ;  msbs: dst=0 src0=0 src1=0 src2=0
	v_mul_i32_i24_e32 v3, v168, v3
	s_set_vgpr_msb 20                       ;  msbs: dst=0 src0=0 src1=1 src2=1
	v_add3_u32 v1, v1, v213 /*v469*/, v214 /*v470*/
	s_set_vgpr_msb 0                        ;  msbs: dst=0 src0=0 src1=0 src2=0
	v_mul_lo_u32 v0, v0, v174
	s_set_vgpr_msb 20                       ;  msbs: dst=0 src0=0 src1=1 src2=1
	s_delay_alu instid0(VALU_DEP_2) | instskip(SKIP_3) | instid1(VALU_DEP_2)
	v_add3_u32 v151, v1, v215 /*v471*/, v218 /*v474*/
	s_set_vgpr_msb 1                        ;  msbs: dst=0 src0=1 src1=0 src2=0
	v_mul_i32_i24_e32 v1, v168 /*v424*/, v173
	s_set_vgpr_msb 20                       ;  msbs: dst=0 src0=0 src1=1 src2=1
	v_add3_u32 v151, v151, v222 /*v478*/, v226 /*v482*/
	s_set_vgpr_msb 5                        ;  msbs: dst=0 src0=1 src1=1 src2=0
	s_delay_alu instid0(VALU_DEP_2) | instskip(SKIP_1) | instid1(VALU_DEP_2)
	v_add3_u32 v1, v196 /*v452*/, v195 /*v451*/, v1
	s_set_vgpr_msb 20                       ;  msbs: dst=0 src0=0 src1=1 src2=1
	v_add3_u32 v151, v151, v169 /*v425*/, v171 /*v427*/
	s_set_vgpr_msb 0                        ;  msbs: dst=0 src0=0 src1=0 src2=0
	s_delay_alu instid0(VALU_DEP_2)
	v_mul_lo_u32 v4, v1, v174
	s_set_vgpr_msb 0x41                     ;  msbs: dst=1 src0=1 src1=0 src2=0
	v_mul_lo_u32 v169 /*v425*/, v170 /*v426*/, v167
	s_set_vgpr_msb 0                        ;  msbs: dst=0 src0=0 src1=0 src2=0
	v_cvt_f32_i32_e32 v1, v0
	v_mul_lo_u32 v151, v151, v167
	s_delay_alu instid0(VALU_DEP_4)
	v_cvt_f32_i32_e32 v0, v4
	s_set_vgpr_msb 4                        ;  msbs: dst=0 src0=0 src1=1 src2=0
	v_pk_fma_f32 v[4:5], v[108:109], v[178:179] /*v[434:435]*/, 0 op_sel_hi:[0,1,0]
	s_set_vgpr_msb 0x41                     ;  msbs: dst=1 src0=1 src1=0 src2=0
	v_cvt_f32_i32_e32 v170 /*v426*/, v169 /*v425*/
	s_set_vgpr_msb 64                       ;  msbs: dst=1 src0=0 src1=0 src2=0
	s_delay_alu instid0(VALU_DEP_4)
	v_cvt_f32_i32_e32 v171 /*v427*/, v151
	s_set_vgpr_msb 1                        ;  msbs: dst=0 src0=1 src1=0 src2=0
	v_pk_fma_f32 v[0:1], v[176:177] /*v[432:433]*/, v[0:1], 0 op_sel_hi:[1,1,0]
	s_set_vgpr_msb 0                        ;  msbs: dst=0 src0=0 src1=0 src2=0
	v_pk_fma_f32 v[4:5], v[110:111], v[6:7], v[4:5] op_sel_hi:[0,1,1]
	s_set_vgpr_msb 5                        ;  msbs: dst=0 src0=1 src1=1 src2=0
	s_delay_alu instid0(VALU_DEP_2) | instskip(SKIP_1) | instid1(VALU_DEP_2)
	v_pk_fma_f32 v[0:1], v[188:189] /*v[444:445]*/, v[170:171] /*v[426:427]*/, v[0:1]
	s_set_vgpr_msb 0                        ;  msbs: dst=0 src0=0 src1=0 src2=0
	v_pk_mul_f32 v[4:5], v[4:5], v[100:101]
	s_delay_alu instid0(VALU_DEP_1)
	v_pk_fma_f32 v[0:1], v[0:1], v[92:93], v[4:5] neg_lo:[0,0,1] neg_hi:[0,0,1]
	s_set_vgpr_msb 4                        ;  msbs: dst=0 src0=0 src1=1 src2=0
	v_mul_i32_i24_e32 v4, v21, v17 /*v273*/
	v_mul_i32_i24_e32 v5, v25, v20 /*v276*/
	;; [unrolled: 1-line block ×4, first 2 shown]
	s_set_vgpr_msb 0                        ;  msbs: dst=0 src0=0 src1=0 src2=0
	v_pk_add_f32 v[82:83], v[82:83], v[0:1]
	s_set_vgpr_msb 4                        ;  msbs: dst=0 src0=0 src1=1 src2=0
	v_mul_i32_i24_e32 v0, v18, v15 /*v271*/
	v_mul_i32_i24_e32 v1, v20, v16 /*v272*/
	v_mul_i32_i24_e32 v18, v26, v21 /*v277*/
	v_mul_i32_i24_e32 v20, v29, v23 /*v279*/
	v_mul_i32_i24_e32 v26, v38, v28 /*v284*/
	v_mad_i32_i24 v0, v19, v14 /*v270*/, v0
	v_mul_i32_i24_e32 v19, v28, v22 /*v278*/
	v_mul_i32_i24_e32 v28, v40, v29 /*v285*/
	;; [unrolled: 1-line block ×4, first 2 shown]
	s_set_vgpr_msb 0                        ;  msbs: dst=0 src0=0 src1=0 src2=0
	v_add3_u32 v0, v0, v1, v4
	s_set_vgpr_msb 4                        ;  msbs: dst=0 src0=0 src1=1 src2=0
	v_mul_i32_i24_e32 v1, v22, v18 /*v274*/
	v_mul_i32_i24_e32 v4, v24, v19 /*v275*/
	;; [unrolled: 1-line block ×4, first 2 shown]
	s_set_vgpr_msb 1                        ;  msbs: dst=0 src0=1 src1=0 src2=0
	v_mul_i32_i24_e32 v32, v33 /*v289*/, v46
	v_mul_i32_i24_e32 v34, v32 /*v288*/, v48
	s_set_vgpr_msb 0                        ;  msbs: dst=0 src0=0 src1=0 src2=0
	v_add3_u32 v0, v0, v1, v4
	s_set_vgpr_msb 5                        ;  msbs: dst=0 src0=1 src1=1 src2=0
	v_mul_i32_i24_e32 v1, v205 /*v461*/, v44 /*v300*/
	v_mul_i32_i24_e32 v4, v180 /*v436*/, v41 /*v297*/
	s_set_vgpr_msb 1                        ;  msbs: dst=0 src0=1 src1=0 src2=0
	v_mul_i32_i24_e32 v36, v35 /*v291*/, v52
	v_mul_i32_i24_e32 v38, v34 /*v290*/, v53
	s_set_vgpr_msb 0                        ;  msbs: dst=0 src0=0 src1=0 src2=0
	v_add3_u32 v0, v0, v5, v18
	s_set_vgpr_msb 4                        ;  msbs: dst=0 src0=0 src1=1 src2=0
	v_mul_i32_i24_e32 v5, v156, v47 /*v303*/
	v_mad_i32_i24 v1, v152, v43 /*v299*/, v1
	s_set_vgpr_msb 5                        ;  msbs: dst=0 src0=1 src1=1 src2=0
	v_mul_i32_i24_e32 v18, v211 /*v467*/, v45 /*v301*/
	s_set_vgpr_msb 1                        ;  msbs: dst=0 src0=1 src1=0 src2=0
	v_mul_i32_i24_e32 v40, v37 /*v293*/, v55
	s_set_vgpr_msb 0                        ;  msbs: dst=0 src0=0 src1=0 src2=0
	v_add3_u32 v0, v0, v19, v20
	s_set_vgpr_msb 5                        ;  msbs: dst=0 src0=1 src1=1 src2=0
	v_mul_i32_i24_e32 v19, v190 /*v446*/, v53 /*v309*/
	s_set_vgpr_msb 0                        ;  msbs: dst=0 src0=0 src1=0 src2=0
	v_add3_u32 v1, v1, v4, v5
	s_set_vgpr_msb 5                        ;  msbs: dst=0 src0=1 src1=1 src2=0
	v_mul_i32_i24_e32 v4, v212 /*v468*/, v50 /*v306*/
	s_set_vgpr_msb 4                        ;  msbs: dst=0 src0=0 src1=1 src2=0
	v_mul_i32_i24_e32 v5, v153, v51 /*v307*/
	s_set_vgpr_msb 0                        ;  msbs: dst=0 src0=0 src1=0 src2=0
	v_add3_u32 v0, v0, v21, v22
	s_set_vgpr_msb 5                        ;  msbs: dst=0 src0=1 src1=1 src2=0
	v_mul_i32_i24_e32 v20, v216 /*v472*/, v54 /*v310*/
	s_set_vgpr_msb 4                        ;  msbs: dst=0 src0=0 src1=1 src2=0
	v_mul_i32_i24_e32 v21, v154, v55 /*v311*/
	s_set_vgpr_msb 5                        ;  msbs: dst=0 src0=1 src1=1 src2=0
	v_mul_i32_i24_e32 v22, v224 /*v480*/, v52 /*v308*/
	s_set_vgpr_msb 0                        ;  msbs: dst=0 src0=0 src1=0 src2=0
	v_add3_u32 v1, v1, v4, v5
	v_add3_u32 v0, v0, v24, v25
	s_set_vgpr_msb 5                        ;  msbs: dst=0 src0=1 src1=1 src2=0
	v_mul_i32_i24_e32 v24, v223 /*v479*/, v57 /*v313*/
	v_mul_i32_i24_e32 v25, v217 /*v473*/, v58 /*v314*/
	s_set_vgpr_msb 1                        ;  msbs: dst=0 src0=1 src1=0 src2=0
	v_mul_i32_i24_e32 v42, v36 /*v292*/, v141
	s_set_vgpr_msb 0                        ;  msbs: dst=0 src0=0 src1=0 src2=0
	v_add3_u32 v1, v1, v18, v19
	v_add3_u32 v0, v0, v26, v28
	s_set_vgpr_msb 4                        ;  msbs: dst=0 src0=0 src1=1 src2=0
	v_mul_i32_i24_e32 v26, v155, v59 /*v315*/
	s_set_vgpr_msb 5                        ;  msbs: dst=0 src0=1 src1=1 src2=0
	v_mul_i32_i24_e32 v28, v229 /*v485*/, v56 /*v312*/
	s_set_vgpr_msb 1                        ;  msbs: dst=0 src0=1 src1=0 src2=0
	v_mul_i32_i24_e32 v44, v39 /*v295*/, v142
	s_set_vgpr_msb 0                        ;  msbs: dst=0 src0=0 src1=0 src2=0
	v_add3_u32 v1, v1, v20, v21
	v_add3_u32 v0, v0, v29, v30
	s_set_vgpr_msb 5                        ;  msbs: dst=0 src0=1 src1=1 src2=0
	v_mul_i32_i24_e32 v29, v228 /*v484*/, v60 /*v316*/
	v_mul_i32_i24_e32 v30, v175 /*v431*/, v61 /*v317*/
	s_set_vgpr_msb 1                        ;  msbs: dst=0 src0=1 src1=0 src2=0
	v_mul_i32_i24_e32 v46, v38 /*v294*/, v143
	s_set_vgpr_msb 0                        ;  msbs: dst=0 src0=0 src1=0 src2=0
	v_add3_u32 v1, v1, v22, v24
	v_add3_u32 v0, v0, v32, v34
	s_set_vgpr_msb 5                        ;  msbs: dst=0 src0=1 src1=1 src2=0
	v_mul_i32_i24_e32 v32, v174 /*v430*/, v64 /*v320*/
	s_set_vgpr_msb 4                        ;  msbs: dst=0 src0=0 src1=1 src2=0
	v_mul_i32_i24_e32 v34, v150, v63 /*v319*/
	s_set_vgpr_msb 1                        ;  msbs: dst=0 src0=1 src1=0 src2=0
	v_mul_i32_i24_e32 v48, v42 /*v298*/, v144
	s_set_vgpr_msb 0                        ;  msbs: dst=0 src0=0 src1=0 src2=0
	v_add3_u32 v1, v1, v25, v26
	v_add3_u32 v0, v0, v36, v38
	s_set_vgpr_msb 5                        ;  msbs: dst=0 src0=1 src1=1 src2=0
	v_mul_i32_i24_e32 v36, v219 /*v475*/, v65 /*v321*/
	v_mul_i32_i24_e32 v38, v235 /*v491*/, v66 /*v322*/
	s_set_vgpr_msb 1                        ;  msbs: dst=0 src0=1 src1=0 src2=0
	v_mul_i32_i24_e32 v52, v40 /*v296*/, v145
	s_set_vgpr_msb 0                        ;  msbs: dst=0 src0=0 src1=0 src2=0
	v_add3_u32 v1, v1, v28, v29
	v_add3_u32 v0, v0, v40, v42
	s_set_vgpr_msb 5                        ;  msbs: dst=0 src0=1 src1=1 src2=0
	v_mul_i32_i24_e32 v40, v186 /*v442*/, v68 /*v324*/
	v_mul_i32_i24_e32 v42, v173 /*v429*/, v67 /*v323*/
	s_set_vgpr_msb 4                        ;  msbs: dst=0 src0=0 src1=1 src2=0
	v_mul_i32_i24_e32 v53, v146, v46 /*v302*/
	s_set_vgpr_msb 0                        ;  msbs: dst=0 src0=0 src1=0 src2=0
	v_add3_u32 v1, v1, v30, v9
	v_add3_u32 v0, v0, v44, v46
	s_set_vgpr_msb 5                        ;  msbs: dst=0 src0=1 src1=1 src2=0
	v_mul_i32_i24_e32 v44, v220 /*v476*/, v69 /*v325*/
	v_mul_i32_i24_e32 v46, v236 /*v492*/, v70 /*v326*/
	s_set_vgpr_msb 4                        ;  msbs: dst=0 src0=0 src1=1 src2=0
	v_mul_i32_i24_e32 v55, v147, v48 /*v304*/
	;; [unrolled: 8-line block ×4, first 2 shown]
	s_set_vgpr_msb 0                        ;  msbs: dst=0 src0=0 src1=0 src2=0
	v_add3_u32 v1, v1, v40, v42
	s_set_vgpr_msb 1                        ;  msbs: dst=0 src0=1 src1=0 src2=0
	v_mul_i32_i24_e32 v18, v239 /*v495*/, v169
	s_set_vgpr_msb 4                        ;  msbs: dst=0 src0=0 src1=1 src2=0
	v_mul_i32_i24_e32 v19, v168, v221 /*v477*/
	s_set_vgpr_msb 21                       ;  msbs: dst=0 src0=1 src1=1 src2=1
	v_add3_u32 v20, v204 /*v460*/, v202 /*v458*/, v203 /*v459*/
	s_set_vgpr_msb 0                        ;  msbs: dst=0 src0=0 src1=0 src2=0
	v_add3_u32 v0, v0, v141, v4
	v_add3_u32 v1, v1, v44, v46
	s_delay_alu instid0(VALU_DEP_3) | instskip(SKIP_1) | instid1(VALU_DEP_3)
	v_add3_u32 v2, v20, v2, v3
	s_set_vgpr_msb 4                        ;  msbs: dst=0 src0=0 src1=1 src2=0
	v_mul_lo_u32 v0, v0, v13 /*v269*/
	s_set_vgpr_msb 0                        ;  msbs: dst=0 src0=0 src1=0 src2=0
	v_add3_u32 v9, v1, v48, v52
	s_set_vgpr_msb 5                        ;  msbs: dst=0 src0=1 src1=1 src2=0
	v_mul_i32_i24_e32 v1, v168 /*v424*/, v12 /*v268*/
	s_set_vgpr_msb 0                        ;  msbs: dst=0 src0=0 src1=0 src2=0
	v_mul_lo_u32 v2, v2, v170
	v_add3_u32 v9, v9, v53, v55
	s_set_vgpr_msb 5                        ;  msbs: dst=0 src0=1 src1=1 src2=0
	v_add3_u32 v1, v201 /*v457*/, v200 /*v456*/, v1
	s_set_vgpr_msb 0                        ;  msbs: dst=0 src0=0 src1=0 src2=0
	s_delay_alu instid0(VALU_DEP_2) | instskip(SKIP_1) | instid1(VALU_DEP_2)
	v_add3_u32 v3, v9, v18, v19
	s_set_vgpr_msb 4                        ;  msbs: dst=0 src0=0 src1=1 src2=0
	v_mul_lo_u32 v4, v1, v13 /*v269*/
	v_cvt_f32_i32_e32 v1, v0
	v_cvt_f32_i32_e32 v2, v2
	s_set_vgpr_msb 0                        ;  msbs: dst=0 src0=0 src1=0 src2=0
	v_mul_lo_u32 v3, v3, v170
	s_delay_alu instid0(VALU_DEP_4) | instskip(SKIP_2) | instid1(VALU_DEP_3)
	v_cvt_f32_i32_e32 v0, v4
	s_set_vgpr_msb 4                        ;  msbs: dst=0 src0=0 src1=1 src2=0
	v_pk_fma_f32 v[4:5], v[114:115], v[178:179] /*v[434:435]*/, 0 op_sel_hi:[0,1,0]
	v_cvt_f32_i32_e32 v3, v3
	s_set_vgpr_msb 1                        ;  msbs: dst=0 src0=1 src1=0 src2=0
	v_pk_fma_f32 v[0:1], v[176:177] /*v[432:433]*/, v[0:1], 0 op_sel_hi:[1,1,0]
	s_delay_alu instid0(VALU_DEP_1) | instskip(SKIP_2) | instid1(VALU_DEP_1)
	v_pk_fma_f32 v[0:1], v[188:189] /*v[444:445]*/, v[2:3], v[0:1]
	s_set_vgpr_msb 0                        ;  msbs: dst=0 src0=0 src1=0 src2=0
	v_pk_fma_f32 v[2:3], v[112:113], v[6:7], v[4:5] op_sel_hi:[0,1,1]
	v_pk_mul_f32 v[2:3], v[2:3], v[102:103]
	s_delay_alu instid0(VALU_DEP_1) | instskip(NEXT) | instid1(VALU_DEP_1)
	v_pk_fma_f32 v[0:1], v[0:1], v[94:95], v[2:3] neg_lo:[0,0,1] neg_hi:[0,0,1]
	v_pk_add_f32 v[86:87], v[86:87], v[0:1]
	v_or_b32_e32 v0, s5, v131
	s_delay_alu instid0(VALU_DEP_1)
	v_dual_lshlrev_b32 v1, 2, v0 :: v_dual_lshrrev_b32 v5, 1, v0
	s_set_vgpr_msb 64                       ;  msbs: dst=1 src0=0 src1=0 src2=0
	ds_load_b128 v[168:171] /*v[424:427]*/, v1 offset:16896
	ds_load_b128 v[172:175] /*v[428:431]*/, v1 offset:16912
	;; [unrolled: 1-line block ×3, first 2 shown]
	s_set_vgpr_msb 0                        ;  msbs: dst=0 src0=0 src1=0 src2=0
	ds_load_b128 v[0:3], v1 offset:16944
	s_wait_dscnt 0x3
	s_set_vgpr_msb 1                        ;  msbs: dst=0 src0=1 src1=0 src2=0
	v_bfe_i32 v7, v168 /*v424*/, 0, 8
	v_bfe_i32 v9, v168 /*v424*/, 8, 8
	;; [unrolled: 1-line block ×3, first 2 shown]
	s_set_vgpr_msb 4                        ;  msbs: dst=0 src0=0 src1=1 src2=0
	v_dual_ashrrev_i32 v19, 24, v168 /*v424*/ :: v_dual_ashrrev_i32 v24, 24, v169 /*v425*/
	s_wait_dscnt 0x0
	s_set_vgpr_msb 64                       ;  msbs: dst=1 src0=0 src1=0 src2=0
	v_bfe_i32 v192 /*v448*/, v1, 0, 8
	v_bfe_i32 v193 /*v449*/, v1, 8, 8
	;; [unrolled: 1-line block ×3, first 2 shown]
	v_ashrrev_i32_e32 v195 /*v451*/, 24, v1
	s_set_vgpr_msb 4                        ;  msbs: dst=0 src0=0 src1=1 src2=0
	v_mul_i32_i24_e32 v1, v7, v110 /*v366*/
	s_set_vgpr_msb 1                        ;  msbs: dst=0 src0=1 src1=0 src2=0
	v_bfe_i32 v20, v169 /*v425*/, 0, 8
	v_bfe_i32 v21, v169 /*v425*/, 8, 8
	s_set_vgpr_msb 64                       ;  msbs: dst=1 src0=0 src1=0 src2=0
	v_bfe_i32 v196 /*v452*/, v2, 0, 8
	v_bfe_i32 v197 /*v453*/, v2, 8, 8
	;; [unrolled: 1-line block ×3, first 2 shown]
	v_ashrrev_i32_e32 v199 /*v455*/, 24, v2
	s_set_vgpr_msb 4                        ;  msbs: dst=0 src0=0 src1=1 src2=0
	v_mul_i32_i24_e32 v2, v18, v111 /*v367*/
	v_mul_i32_i24_e32 v6, v19, v112 /*v368*/
	v_mad_i32_i24 v1, v9, v109 /*v365*/, v1
	s_set_vgpr_msb 1                        ;  msbs: dst=0 src0=1 src1=0 src2=0
	v_bfe_i32 v22, v169 /*v425*/, 16, 8
	v_bfe_i32 v25, v170 /*v426*/, 0, 8
	;; [unrolled: 1-line block ×3, first 2 shown]
	s_set_vgpr_msb 4                        ;  msbs: dst=0 src0=0 src1=1 src2=0
	v_dual_ashrrev_i32 v29, 24, v170 /*v426*/ :: v_dual_ashrrev_i32 v36, 24, v171 /*v427*/
	s_set_vgpr_msb 0                        ;  msbs: dst=0 src0=0 src1=0 src2=0
	v_add3_u32 v1, v1, v2, v6
	s_set_vgpr_msb 4                        ;  msbs: dst=0 src0=0 src1=1 src2=0
	v_mul_i32_i24_e32 v2, v20, v113 /*v369*/
	v_mul_i32_i24_e32 v6, v21, v114 /*v370*/
	s_set_vgpr_msb 1                        ;  msbs: dst=0 src0=1 src1=0 src2=0
	v_bfe_i32 v30, v171 /*v427*/, 0, 8
	v_bfe_i32 v32, v171 /*v427*/, 8, 8
	;; [unrolled: 1-line block ×3, first 2 shown]
	s_set_vgpr_msb 0x44                     ;  msbs: dst=1 src0=0 src1=1 src2=0
	v_mul_i32_i24_e32 v169 /*v425*/, v22, v115 /*v371*/
	v_mul_i32_i24_e32 v171 /*v427*/, v24, v116 /*v372*/
	s_set_vgpr_msb 0                        ;  msbs: dst=0 src0=0 src1=0 src2=0
	v_add3_u32 v1, v1, v2, v6
	s_set_vgpr_msb 1                        ;  msbs: dst=0 src0=1 src1=0 src2=0
	v_bfe_i32 v28, v170 /*v426*/, 16, 8
	v_bfe_i32 v38, v172 /*v428*/, 0, 8
	;; [unrolled: 1-line block ×4, first 2 shown]
	s_set_vgpr_msb 4                        ;  msbs: dst=0 src0=0 src1=1 src2=0
	v_dual_ashrrev_i32 v44, 24, v172 /*v428*/ :: v_dual_ashrrev_i32 v53, 24, v173 /*v429*/
	s_set_vgpr_msb 1                        ;  msbs: dst=0 src0=1 src1=0 src2=0
	v_bfe_i32 v46, v173 /*v429*/, 0, 8
	v_bfe_i32 v48, v173 /*v429*/, 8, 8
	;; [unrolled: 1-line block ×3, first 2 shown]
	s_set_vgpr_msb 0x44                     ;  msbs: dst=1 src0=0 src1=1 src2=0
	v_mul_i32_i24_e32 v172 /*v428*/, v25, v117 /*v373*/
	v_mul_i32_i24_e32 v173 /*v429*/, v26, v118 /*v374*/
	s_set_vgpr_msb 20                       ;  msbs: dst=0 src0=0 src1=1 src2=1
	v_add3_u32 v1, v1, v169 /*v425*/, v171 /*v427*/
	s_set_vgpr_msb 1                        ;  msbs: dst=0 src0=1 src1=0 src2=0
	v_bfe_i32 v55, v174 /*v430*/, 0, 8
	v_bfe_i32 v141, v174 /*v430*/, 8, 8
	;; [unrolled: 1-line block ×3, first 2 shown]
	s_set_vgpr_msb 4                        ;  msbs: dst=0 src0=0 src1=1 src2=0
	v_dual_ashrrev_i32 v143, 24, v174 /*v430*/ :: v_dual_ashrrev_i32 v4, 24, v175 /*v431*/
	s_set_vgpr_msb 1                        ;  msbs: dst=0 src0=1 src1=0 src2=0
	v_bfe_i32 v144, v175 /*v431*/, 0, 8
	v_bfe_i32 v145, v175 /*v431*/, 8, 8
	;; [unrolled: 1-line block ×3, first 2 shown]
	s_set_vgpr_msb 0x44                     ;  msbs: dst=1 src0=0 src1=1 src2=0
	v_mul_i32_i24_e32 v174 /*v430*/, v28, v119 /*v375*/
	v_mul_i32_i24_e32 v175 /*v431*/, v29, v120 /*v376*/
	s_set_vgpr_msb 20                       ;  msbs: dst=0 src0=0 src1=1 src2=1
	v_add3_u32 v1, v1, v172 /*v428*/, v173 /*v429*/
	v_dual_ashrrev_i32 v150, 24, v176 /*v432*/ :: v_dual_ashrrev_i32 v154, 24, v177 /*v433*/
	s_set_vgpr_msb 1                        ;  msbs: dst=0 src0=1 src1=0 src2=0
	v_bfe_i32 v151, v177 /*v433*/, 0, 8
	v_bfe_i32 v152, v177 /*v433*/, 8, 8
	;; [unrolled: 1-line block ×5, first 2 shown]
	s_set_vgpr_msb 0x41                     ;  msbs: dst=1 src0=1 src1=0 src2=0
	v_bfe_i32 v168 /*v424*/, v178 /*v434*/, 16, 8
	s_set_vgpr_msb 0x44                     ;  msbs: dst=1 src0=0 src1=1 src2=0
	v_dual_ashrrev_i32 v170 /*v426*/, 24, v178 /*v434*/ :: v_dual_ashrrev_i32 v187 /*v443*/, 24, v179 /*v435*/
	v_mul_i32_i24_e32 v177 /*v433*/, v30, v121 /*v377*/
	v_mul_i32_i24_e32 v178 /*v434*/, v32, v122 /*v378*/
	s_set_vgpr_msb 20                       ;  msbs: dst=0 src0=0 src1=1 src2=1
	v_add3_u32 v1, v1, v174 /*v430*/, v175 /*v431*/
	s_set_vgpr_msb 0x41                     ;  msbs: dst=1 src0=1 src1=0 src2=0
	v_bfe_i32 v184 /*v440*/, v179 /*v435*/, 0, 8
	v_bfe_i32 v185 /*v441*/, v179 /*v435*/, 8, 8
	;; [unrolled: 1-line block ×3, first 2 shown]
	s_set_vgpr_msb 0x44                     ;  msbs: dst=1 src0=0 src1=1 src2=0
	v_mul_i32_i24_e32 v179 /*v435*/, v34, v123 /*v379*/
	v_mul_i32_i24_e32 v180 /*v436*/, v36, v124 /*v380*/
	s_set_vgpr_msb 20                       ;  msbs: dst=0 src0=0 src1=1 src2=1
	v_add3_u32 v1, v1, v177 /*v433*/, v178 /*v434*/
	s_set_vgpr_msb 0x44                     ;  msbs: dst=1 src0=0 src1=1 src2=0
	v_mul_i32_i24_e32 v181 /*v437*/, v38, v125 /*v381*/
	v_mul_i32_i24_e32 v182 /*v438*/, v40, v126 /*v382*/
	s_set_vgpr_msb 0x41                     ;  msbs: dst=1 src0=1 src1=0 src2=0
	v_mul_i32_i24_e32 v183 /*v439*/, v128 /*v384*/, v42
	v_mul_i32_i24_e32 v202 /*v458*/, v127 /*v383*/, v44
	s_set_vgpr_msb 20                       ;  msbs: dst=0 src0=0 src1=1 src2=1
	v_add3_u32 v1, v1, v179 /*v435*/, v180 /*v436*/
	s_set_vgpr_msb 0x41                     ;  msbs: dst=1 src0=1 src1=0 src2=0
	v_mul_i32_i24_e32 v203 /*v459*/, v130 /*v386*/, v46
	v_mul_i32_i24_e32 v204 /*v460*/, v129 /*v385*/, v48
	;; [unrolled: 1-line block ×4, first 2 shown]
	s_set_vgpr_msb 20                       ;  msbs: dst=0 src0=0 src1=1 src2=1
	v_add3_u32 v1, v1, v181 /*v437*/, v182 /*v438*/
	s_set_vgpr_msb 0x41                     ;  msbs: dst=1 src0=1 src1=0 src2=0
	v_mul_i32_i24_e32 v207 /*v463*/, v140 /*v396*/, v55
	v_mul_i32_i24_e32 v208 /*v464*/, v133 /*v389*/, v141
	;; [unrolled: 1-line block ×4, first 2 shown]
	s_set_vgpr_msb 20                       ;  msbs: dst=0 src0=0 src1=1 src2=1
	v_add3_u32 v1, v1, v183 /*v439*/, v202 /*v458*/
	s_set_vgpr_msb 1                        ;  msbs: dst=0 src0=1 src1=0 src2=0
	v_bfe_i32 v147, v176 /*v432*/, 0, 8
	s_set_vgpr_msb 0x44                     ;  msbs: dst=1 src0=0 src1=1 src2=0
	v_mul_i32_i24_e32 v211 /*v467*/, v144, v146 /*v402*/
	v_mul_i32_i24_e32 v212 /*v468*/, v145, v147 /*v403*/
	s_set_vgpr_msb 1                        ;  msbs: dst=0 src0=1 src1=0 src2=0
	v_bfe_i32 v148, v176 /*v432*/, 8, 8
	s_set_vgpr_msb 20                       ;  msbs: dst=0 src0=0 src1=1 src2=1
	v_add3_u32 v1, v1, v203 /*v459*/, v204 /*v460*/
	s_set_vgpr_msb 1                        ;  msbs: dst=0 src0=1 src1=0 src2=0
	v_bfe_i32 v149, v176 /*v432*/, 16, 8
	v_mul_i32_i24_e32 v6, v142 /*v398*/, v150
	s_set_vgpr_msb 0x41                     ;  msbs: dst=1 src0=1 src1=0 src2=0
	v_mul_i32_i24_e32 v169 /*v425*/, v151 /*v407*/, v153
	v_mul_i32_i24_e32 v171 /*v427*/, v134 /*v390*/, v154
	s_set_vgpr_msb 20                       ;  msbs: dst=0 src0=0 src1=1 src2=1
	v_add3_u32 v1, v1, v205 /*v461*/, v206 /*v462*/
	s_set_vgpr_msb 1                        ;  msbs: dst=0 src0=1 src1=0 src2=0
	v_mul_i32_i24_e32 v2, v150 /*v406*/, v149
	s_set_vgpr_msb 0x41                     ;  msbs: dst=1 src0=1 src1=0 src2=0
	v_mul_i32_i24_e32 v172 /*v428*/, v155 /*v411*/, v155
	v_mul_i32_i24_e32 v173 /*v429*/, v154 /*v410*/, v156
	s_set_vgpr_msb 0x45                     ;  msbs: dst=1 src0=1 src1=1 src2=0
	v_mul_i32_i24_e32 v174 /*v430*/, v153 /*v409*/, v168 /*v424*/
	s_set_vgpr_msb 20                       ;  msbs: dst=0 src0=0 src1=1 src2=1
	v_add3_u32 v1, v1, v207 /*v463*/, v208 /*v464*/
	s_set_vgpr_msb 0x45                     ;  msbs: dst=1 src0=1 src1=1 src2=0
	v_mul_i32_i24_e32 v175 /*v431*/, v135 /*v391*/, v170 /*v426*/
	v_mul_i32_i24_e32 v177 /*v433*/, v158 /*v414*/, v184 /*v440*/
	;; [unrolled: 1-line block ×3, first 2 shown]
	s_set_vgpr_msb 64                       ;  msbs: dst=1 src0=0 src1=0 src2=0
	v_bfe_i32 v188 /*v444*/, v0, 0, 8
	s_set_vgpr_msb 20                       ;  msbs: dst=0 src0=0 src1=1 src2=1
	v_add3_u32 v1, v1, v209 /*v465*/, v210 /*v466*/
	s_set_vgpr_msb 64                       ;  msbs: dst=1 src0=0 src1=0 src2=0
	v_bfe_i32 v189 /*v445*/, v0, 8, 8
	s_set_vgpr_msb 0x45                     ;  msbs: dst=1 src0=1 src1=1 src2=0
	v_mul_i32_i24_e32 v180 /*v436*/, v156 /*v412*/, v186 /*v442*/
	v_mul_i32_i24_e32 v183 /*v439*/, v136 /*v392*/, v187 /*v443*/
	s_set_vgpr_msb 0x54                     ;  msbs: dst=1 src0=0 src1=1 src2=1
	v_bfe_i32 v190 /*v446*/, v0, 16, 8
	v_add3_u32 v179 /*v435*/, v1, v211 /*v467*/, v212 /*v468*/
	s_set_vgpr_msb 0                        ;  msbs: dst=0 src0=0 src1=0 src2=0
	v_mul_i32_i24_e32 v1, v120, v147
	s_set_vgpr_msb 64                       ;  msbs: dst=1 src0=0 src1=0 src2=0
	v_ashrrev_i32_e32 v191 /*v447*/, 24, v0
	s_set_vgpr_msb 0x45                     ;  msbs: dst=1 src0=1 src1=1 src2=0
	v_mul_i32_i24_e32 v202 /*v458*/, v161 /*v417*/, v188 /*v444*/
	v_mul_i32_i24_e32 v203 /*v459*/, v160 /*v416*/, v189 /*v445*/
	;; [unrolled: 1-line block ×3, first 2 shown]
	s_set_vgpr_msb 1                        ;  msbs: dst=0 src0=1 src1=0 src2=0
	v_mad_i32_i24 v1, v149 /*v405*/, v148, v1
	s_set_vgpr_msb 0x45                     ;  msbs: dst=1 src0=1 src1=1 src2=0
	v_mul_i32_i24_e32 v205 /*v461*/, v137 /*v393*/, v191 /*v447*/
	v_mul_i32_i24_e32 v206 /*v462*/, v164 /*v420*/, v192 /*v448*/
	;; [unrolled: 1-line block ×4, first 2 shown]
	s_set_vgpr_msb 0                        ;  msbs: dst=0 src0=0 src1=0 src2=0
	v_add3_u32 v1, v1, v2, v6
	v_mul_i32_i24_e32 v2, v121, v151
	s_set_vgpr_msb 1                        ;  msbs: dst=0 src0=1 src1=0 src2=0
	v_mul_i32_i24_e32 v6, v152 /*v408*/, v152
	s_set_vgpr_msb 0x45                     ;  msbs: dst=1 src0=1 src1=1 src2=0
	v_mul_i32_i24_e32 v209 /*v465*/, v138 /*v394*/, v195 /*v451*/
	v_mul_i32_i24_e32 v210 /*v466*/, v167 /*v423*/, v196 /*v452*/
	;; [unrolled: 1-line block ×4, first 2 shown]
	s_set_vgpr_msb 0                        ;  msbs: dst=0 src0=0 src1=0 src2=0
	v_add3_u32 v1, v1, v2, v6
	s_set_vgpr_msb 0x45                     ;  msbs: dst=1 src0=1 src1=1 src2=0
	v_mul_i32_i24_e32 v213 /*v469*/, v139 /*v395*/, v199 /*v455*/
	s_set_vgpr_msb 4                        ;  msbs: dst=0 src0=0 src1=1 src2=0
	v_mul_i32_i24_e32 v2, v18, v82 /*v338*/
	v_mul_i32_i24_e32 v6, v19, v83 /*v339*/
	s_set_vgpr_msb 0x41                     ;  msbs: dst=1 src0=1 src1=0 src2=0
	v_mul_i32_i24_e32 v214 /*v470*/, v107 /*v363*/, v142
	s_set_vgpr_msb 20                       ;  msbs: dst=0 src0=0 src1=1 src2=1
	v_add3_u32 v1, v1, v169 /*v425*/, v171 /*v427*/
	s_set_vgpr_msb 0x44                     ;  msbs: dst=1 src0=0 src1=1 src2=0
	v_mul_i32_i24_e32 v169 /*v425*/, v22, v86 /*v342*/
	s_set_vgpr_msb 0x41                     ;  msbs: dst=1 src0=1 src1=0 src2=0
	v_mul_i32_i24_e32 v215 /*v471*/, v106 /*v362*/, v143
	s_set_vgpr_msb 0x44                     ;  msbs: dst=1 src0=0 src1=1 src2=0
	v_mul_i32_i24_e32 v216 /*v472*/, v144, v108 /*v364*/
	s_set_vgpr_msb 64                       ;  msbs: dst=1 src0=0 src1=0 src2=0
	v_mul_i32_i24_e32 v217 /*v473*/, v145, v195
	s_set_vgpr_msb 20                       ;  msbs: dst=0 src0=0 src1=1 src2=1
	v_add3_u32 v1, v1, v172 /*v428*/, v173 /*v429*/
	s_set_vgpr_msb 0x44                     ;  msbs: dst=1 src0=0 src1=1 src2=0
	v_mul_i32_i24_e32 v172 /*v428*/, v24, v87 /*v343*/
	v_mul_i32_i24_e32 v173 /*v429*/, v25, v88 /*v344*/
	;; [unrolled: 1-line block ×3, first 2 shown]
	s_set_vgpr_msb 64                       ;  msbs: dst=1 src0=0 src1=0 src2=0
	v_mul_i32_i24_e32 v219 /*v475*/, v231, v142
	s_set_vgpr_msb 20                       ;  msbs: dst=0 src0=0 src1=1 src2=1
	v_add3_u32 v1, v1, v174 /*v430*/, v175 /*v431*/
	s_set_vgpr_msb 0x44                     ;  msbs: dst=1 src0=0 src1=1 src2=0
	v_mul_i32_i24_e32 v174 /*v430*/, v26, v89 /*v345*/
	v_mul_i32_i24_e32 v175 /*v431*/, v28, v90 /*v346*/
	s_set_vgpr_msb 64                       ;  msbs: dst=1 src0=0 src1=0 src2=0
	v_mul_i32_i24_e32 v220 /*v476*/, v226, v143
	v_mul_i32_i24_e32 v221 /*v477*/, v144, v237
	s_set_vgpr_msb 20                       ;  msbs: dst=0 src0=0 src1=1 src2=1
	v_add3_u32 v1, v1, v177 /*v433*/, v178 /*v434*/
	s_set_vgpr_msb 0x44                     ;  msbs: dst=1 src0=0 src1=1 src2=0
	v_mul_i32_i24_e32 v177 /*v433*/, v29, v91 /*v347*/
	v_mul_i32_i24_e32 v178 /*v434*/, v30, v92 /*v348*/
	s_set_vgpr_msb 64                       ;  msbs: dst=1 src0=0 src1=0 src2=0
	v_mul_i32_i24_e32 v222 /*v478*/, v145, v240
	s_set_vgpr_msb 0x45                     ;  msbs: dst=1 src0=1 src1=1 src2=0
	v_mul_i32_i24_e32 v223 /*v479*/, v8 /*v264*/, v199 /*v455*/
	s_set_vgpr_msb 20                       ;  msbs: dst=0 src0=0 src1=1 src2=1
	v_add3_u32 v1, v1, v180 /*v436*/, v183 /*v439*/
	s_set_vgpr_msb 0x44                     ;  msbs: dst=1 src0=0 src1=1 src2=0
	v_mul_i32_i24_e32 v180 /*v436*/, v32, v93 /*v349*/
	v_bfe_i32 v200 /*v456*/, v3, 0, 8
	v_bfe_i32 v201 /*v457*/, v3, 8, 8
	v_mul_i32_i24_e32 v176 /*v432*/, v146, v148 /*v404*/
	s_set_vgpr_msb 20                       ;  msbs: dst=0 src0=0 src1=1 src2=1
	v_add3_u32 v1, v1, v202 /*v458*/, v203 /*v459*/
	s_set_vgpr_msb 0x44                     ;  msbs: dst=1 src0=0 src1=1 src2=0
	v_mul_i32_i24_e32 v202 /*v458*/, v34, v94 /*v350*/
	v_mul_i32_i24_e32 v203 /*v459*/, v36, v95 /*v351*/
	s_set_vgpr_msb 64                       ;  msbs: dst=1 src0=0 src1=0 src2=0
	v_mul_i32_i24_e32 v171 /*v427*/, v146, v197
	s_set_vgpr_msb 0x45                     ;  msbs: dst=1 src0=1 src1=1 src2=0
	v_mul_i32_i24_e32 v181 /*v437*/, v200 /*v456*/, v143 /*v399*/
	s_set_vgpr_msb 20                       ;  msbs: dst=0 src0=0 src1=1 src2=1
	v_add3_u32 v1, v1, v204 /*v460*/, v205 /*v461*/
	s_set_vgpr_msb 0x44                     ;  msbs: dst=1 src0=0 src1=1 src2=0
	v_mul_i32_i24_e32 v204 /*v460*/, v38, v96 /*v352*/
	v_mul_i32_i24_e32 v205 /*v461*/, v40, v97 /*v353*/
	s_set_vgpr_msb 0x45                     ;  msbs: dst=1 src0=1 src1=1 src2=0
	v_mul_i32_i24_e32 v182 /*v438*/, v201 /*v457*/, v145 /*v401*/
	s_set_vgpr_msb 20                       ;  msbs: dst=0 src0=0 src1=1 src2=1
	v_bfe_i32 v0, v3, 16, 8
	v_add3_u32 v1, v1, v206 /*v462*/, v207 /*v463*/
	s_set_vgpr_msb 0x41                     ;  msbs: dst=1 src0=1 src1=0 src2=0
	v_mul_i32_i24_e32 v206 /*v462*/, v99 /*v355*/, v42
	v_mul_i32_i24_e32 v207 /*v463*/, v98 /*v354*/, v44
	s_set_vgpr_msb 20                       ;  msbs: dst=0 src0=0 src1=1 src2=1
	v_add3_u32 v1, v1, v208 /*v464*/, v209 /*v465*/
	s_set_vgpr_msb 0x41                     ;  msbs: dst=1 src0=1 src1=0 src2=0
	v_mul_i32_i24_e32 v208 /*v464*/, v101 /*v357*/, v46
	v_mul_i32_i24_e32 v209 /*v465*/, v100 /*v356*/, v48
	s_set_vgpr_msb 20                       ;  msbs: dst=0 src0=0 src1=1 src2=1
	v_add3_u32 v1, v1, v210 /*v466*/, v211 /*v467*/
	s_set_vgpr_msb 0x41                     ;  msbs: dst=1 src0=1 src1=0 src2=0
	v_mul_i32_i24_e32 v210 /*v466*/, v103 /*v359*/, v52
	v_mul_i32_i24_e32 v211 /*v467*/, v102 /*v358*/, v53
	s_set_vgpr_msb 0x54                     ;  msbs: dst=1 src0=0 src1=1 src2=1
	v_add3_u32 v183 /*v439*/, v1, v212 /*v468*/, v213 /*v469*/
	s_set_vgpr_msb 4                        ;  msbs: dst=0 src0=0 src1=1 src2=0
	v_mul_i32_i24_e32 v1, v7, v81 /*v337*/
	s_set_vgpr_msb 0x41                     ;  msbs: dst=1 src0=1 src1=0 src2=0
	v_mul_i32_i24_e32 v212 /*v468*/, v105 /*v361*/, v55
	v_mul_i32_i24_e32 v213 /*v469*/, v104 /*v360*/, v141
	s_set_vgpr_msb 0x55                     ;  msbs: dst=1 src0=1 src1=1 src2=1
	v_add3_u32 v181 /*v437*/, v183 /*v439*/, v181 /*v437*/, v182 /*v438*/
	s_set_vgpr_msb 4                        ;  msbs: dst=0 src0=0 src1=1 src2=0
	v_mad_i32_i24 v1, v9, v80 /*v336*/, v1
	s_set_vgpr_msb 0                        ;  msbs: dst=0 src0=0 src1=0 src2=0
	s_delay_alu instid0(VALU_DEP_1) | instskip(SKIP_4) | instid1(VALU_DEP_1)
	v_add3_u32 v1, v1, v2, v6
	s_set_vgpr_msb 4                        ;  msbs: dst=0 src0=0 src1=1 src2=0
	v_mul_i32_i24_e32 v2, v20, v84 /*v340*/
	v_mul_i32_i24_e32 v6, v21, v85 /*v341*/
	s_set_vgpr_msb 0                        ;  msbs: dst=0 src0=0 src1=0 src2=0
	v_add3_u32 v1, v1, v2, v6
	v_mul_i32_i24_e32 v2, v149, v187
	v_mul_i32_i24_e32 v6, v150, v193
	s_set_vgpr_msb 20                       ;  msbs: dst=0 src0=0 src1=1 src2=1
	s_delay_alu instid0(VALU_DEP_3)
	v_add3_u32 v1, v1, v169 /*v425*/, v172 /*v428*/
	s_set_vgpr_msb 64                       ;  msbs: dst=1 src0=0 src1=0 src2=0
	v_mul_i32_i24_e32 v169 /*v425*/, v153, v191
	v_mul_i32_i24_e32 v172 /*v428*/, v154, v201
	s_set_vgpr_msb 20                       ;  msbs: dst=0 src0=0 src1=1 src2=1
	v_add3_u32 v1, v1, v173 /*v429*/, v174 /*v430*/
	s_set_vgpr_msb 64                       ;  msbs: dst=1 src0=0 src1=0 src2=0
	v_mul_i32_i24_e32 v173 /*v429*/, v155, v203
	s_set_vgpr_msb 20                       ;  msbs: dst=0 src0=0 src1=1 src2=1
	s_delay_alu instid0(VALU_DEP_2)
	v_add3_u32 v1, v1, v175 /*v431*/, v177 /*v433*/
	s_set_vgpr_msb 64                       ;  msbs: dst=1 src0=0 src1=0 src2=0
	v_mul_i32_i24_e32 v175 /*v431*/, v156, v206
	s_set_vgpr_msb 0x41                     ;  msbs: dst=1 src0=1 src1=0 src2=0
	v_mul_i32_i24_e32 v177 /*v433*/, v200 /*v456*/, v239
	s_set_vgpr_msb 20                       ;  msbs: dst=0 src0=0 src1=1 src2=1
	v_add3_u32 v1, v1, v178 /*v434*/, v180 /*v436*/
	s_set_vgpr_msb 0x41                     ;  msbs: dst=1 src0=1 src1=0 src2=0
	v_mul_i32_i24_e32 v180 /*v436*/, v168 /*v424*/, v200
	v_mul_i32_i24_e32 v178 /*v434*/, v201 /*v457*/, v241
	s_set_vgpr_msb 20                       ;  msbs: dst=0 src0=0 src1=1 src2=1
	v_add3_u32 v1, v1, v202 /*v458*/, v203 /*v459*/
	s_set_vgpr_msb 0x41                     ;  msbs: dst=1 src0=1 src1=0 src2=0
	v_mul_i32_i24_e32 v202 /*v458*/, v170 /*v426*/, v208
	;; [unrolled: 5-line block ×5, first 2 shown]
	s_set_vgpr_msb 0x44                     ;  msbs: dst=1 src0=0 src1=1 src2=0
	v_mul_i32_i24_e32 v209 /*v465*/, v220, v190 /*v446*/
	s_set_vgpr_msb 20                       ;  msbs: dst=0 src0=0 src1=1 src2=1
	v_add3_u32 v1, v1, v210 /*v466*/, v211 /*v467*/
	s_set_vgpr_msb 0x44                     ;  msbs: dst=1 src0=0 src1=1 src2=0
	v_mul_i32_i24_e32 v210 /*v466*/, v218, v191 /*v447*/
	v_mul_i32_i24_e32 v211 /*v467*/, v221, v192 /*v448*/
	s_set_vgpr_msb 20                       ;  msbs: dst=0 src0=0 src1=1 src2=1
	v_add3_u32 v1, v1, v212 /*v468*/, v213 /*v469*/
	s_set_vgpr_msb 0x44                     ;  msbs: dst=1 src0=0 src1=1 src2=0
	v_mul_i32_i24_e32 v212 /*v468*/, v222, v193 /*v449*/
	v_mul_i32_i24_e32 v213 /*v469*/, v227, v194 /*v450*/
	s_set_vgpr_msb 20                       ;  msbs: dst=0 src0=0 src1=1 src2=1
	v_add3_u32 v1, v1, v214 /*v470*/, v215 /*v471*/
	s_set_vgpr_msb 0x54                     ;  msbs: dst=1 src0=0 src1=1 src2=1
	v_mul_i32_i24_e32 v214 /*v470*/, v224, v195 /*v451*/
	v_mul_i32_i24_e32 v215 /*v471*/, v229, v196 /*v452*/
	s_delay_alu instid0(VALU_DEP_3)
	v_add3_u32 v174 /*v430*/, v1, v216 /*v472*/, v217 /*v473*/
	s_set_vgpr_msb 0                        ;  msbs: dst=0 src0=0 src1=0 src2=0
	v_mul_i32_i24_e32 v1, v147, v189
	s_set_vgpr_msb 0x44                     ;  msbs: dst=1 src0=0 src1=1 src2=0
	v_mul_i32_i24_e32 v216 /*v472*/, v230, v197 /*v453*/
	v_mul_i32_i24_e32 v217 /*v473*/, v236, v198 /*v454*/
	s_set_vgpr_msb 0                        ;  msbs: dst=0 src0=0 src1=0 src2=0
	v_mad_i32_i24 v1, v148, v188, v1
	s_delay_alu instid0(VALU_DEP_1) | instskip(SKIP_2) | instid1(VALU_DEP_1)
	v_add3_u32 v1, v1, v2, v6
	v_mul_i32_i24_e32 v2, v151, v198
	v_mul_i32_i24_e32 v6, v152, v199
	v_add3_u32 v1, v1, v2, v6
	v_mul_i32_i24_e32 v2, v18, v177
	v_mul_i32_i24_e32 v6, v19, v178
	s_set_vgpr_msb 20                       ;  msbs: dst=0 src0=0 src1=1 src2=1
	s_delay_alu instid0(VALU_DEP_3)
	v_add3_u32 v1, v1, v169 /*v425*/, v172 /*v428*/
	s_set_vgpr_msb 64                       ;  msbs: dst=1 src0=0 src1=0 src2=0
	v_mul_i32_i24_e32 v169 /*v425*/, v21, v180
	v_mul_i32_i24_e32 v172 /*v428*/, v22, v181
	s_set_vgpr_msb 20                       ;  msbs: dst=0 src0=0 src1=1 src2=1
	v_add3_u32 v1, v1, v173 /*v429*/, v175 /*v431*/
	s_set_vgpr_msb 64                       ;  msbs: dst=1 src0=0 src1=0 src2=0
	v_mul_i32_i24_e32 v173 /*v429*/, v24, v182
	v_mul_i32_i24_e32 v175 /*v431*/, v25, v183
	s_set_vgpr_msb 20                       ;  msbs: dst=0 src0=0 src1=1 src2=1
	v_add3_u32 v1, v1, v180 /*v436*/, v202 /*v458*/
	s_set_vgpr_msb 64                       ;  msbs: dst=1 src0=0 src1=0 src2=0
	v_mul_i32_i24_e32 v202 /*v458*/, v26, v184
	s_set_vgpr_msb 20                       ;  msbs: dst=0 src0=0 src1=1 src2=1
	s_delay_alu instid0(VALU_DEP_2)
	v_add3_u32 v1, v1, v203 /*v459*/, v204 /*v460*/
	s_set_vgpr_msb 64                       ;  msbs: dst=1 src0=0 src1=0 src2=0
	v_mul_i32_i24_e32 v203 /*v459*/, v28, v185
	v_mul_i32_i24_e32 v204 /*v460*/, v29, v186
	s_set_vgpr_msb 20                       ;  msbs: dst=0 src0=0 src1=1 src2=1
	v_add3_u32 v1, v1, v205 /*v461*/, v206 /*v462*/
	s_set_vgpr_msb 64                       ;  msbs: dst=1 src0=0 src1=0 src2=0
	v_mul_i32_i24_e32 v205 /*v461*/, v30, v190
	v_mul_i32_i24_e32 v206 /*v462*/, v32, v192
	s_set_vgpr_msb 20                       ;  msbs: dst=0 src0=0 src1=1 src2=1
	v_add3_u32 v1, v1, v207 /*v463*/, v208 /*v464*/
	s_set_vgpr_msb 64                       ;  msbs: dst=1 src0=0 src1=0 src2=0
	v_mul_i32_i24_e32 v207 /*v463*/, v34, v194
	v_mul_i32_i24_e32 v208 /*v464*/, v36, v196
	s_set_vgpr_msb 20                       ;  msbs: dst=0 src0=0 src1=1 src2=1
	v_add3_u32 v1, v1, v209 /*v465*/, v210 /*v466*/
	s_set_vgpr_msb 64                       ;  msbs: dst=1 src0=0 src1=0 src2=0
	v_mul_i32_i24_e32 v209 /*v465*/, v38, v202
	v_mul_i32_i24_e32 v210 /*v466*/, v40, v204
	s_set_vgpr_msb 20                       ;  msbs: dst=0 src0=0 src1=1 src2=1
	v_add3_u32 v1, v1, v211 /*v467*/, v212 /*v468*/
	s_set_vgpr_msb 64                       ;  msbs: dst=1 src0=0 src1=0 src2=0
	v_mul_i32_i24_e32 v211 /*v467*/, v209, v42
	v_mul_i32_i24_e32 v212 /*v468*/, v205, v44
	s_set_vgpr_msb 20                       ;  msbs: dst=0 src0=0 src1=1 src2=1
	v_add3_u32 v1, v1, v213 /*v469*/, v214 /*v470*/
	s_set_vgpr_msb 64                       ;  msbs: dst=1 src0=0 src1=0 src2=0
	v_mul_i32_i24_e32 v213 /*v469*/, v214, v46
	v_mul_i32_i24_e32 v214 /*v470*/, v211, v48
	s_set_vgpr_msb 20                       ;  msbs: dst=0 src0=0 src1=1 src2=1
	v_add3_u32 v1, v1, v215 /*v471*/, v216 /*v472*/
	s_set_vgpr_msb 64                       ;  msbs: dst=1 src0=0 src1=0 src2=0
	v_mul_i32_i24_e32 v215 /*v471*/, v219, v52
	v_mul_i32_i24_e32 v216 /*v472*/, v215, v53
	s_set_vgpr_msb 0x54                     ;  msbs: dst=1 src0=0 src1=1 src2=1
	v_add3_u32 v180 /*v436*/, v1, v217 /*v473*/, v218 /*v474*/
	s_set_vgpr_msb 0                        ;  msbs: dst=0 src0=0 src1=0 src2=0
	v_mul_i32_i24_e32 v1, v7, v176
	s_set_vgpr_msb 64                       ;  msbs: dst=1 src0=0 src1=0 src2=0
	v_mul_i32_i24_e32 v217 /*v473*/, v225, v55
	v_mul_i32_i24_e32 v218 /*v474*/, v223, v141
	s_set_vgpr_msb 0x55                     ;  msbs: dst=1 src0=1 src1=1 src2=1
	v_add3_u32 v177 /*v433*/, v180 /*v436*/, v177 /*v433*/, v178 /*v434*/
	s_set_vgpr_msb 0                        ;  msbs: dst=0 src0=0 src1=0 src2=0
	v_mad_i32_i24 v1, v9, v175, v1
	s_delay_alu instid0(VALU_DEP_1) | instskip(SKIP_3) | instid1(VALU_DEP_2)
	v_add3_u32 v1, v1, v2, v6
	v_mul_i32_i24_e32 v2, v20, v179
	v_mul_i32_i24_e32 v6, v146, v242
	s_set_vgpr_msb 16                       ;  msbs: dst=0 src0=0 src1=0 src2=1
	v_add3_u32 v1, v1, v2, v169 /*v425*/
	v_mul_i32_i24_e32 v2, v149, v228
	s_set_vgpr_msb 20                       ;  msbs: dst=0 src0=0 src1=1 src2=1
	s_delay_alu instid0(VALU_DEP_2)
	v_add3_u32 v1, v1, v172 /*v428*/, v173 /*v429*/
	s_set_vgpr_msb 64                       ;  msbs: dst=1 src0=0 src1=0 src2=0
	v_mul_i32_i24_e32 v172 /*v428*/, v150, v238
	s_set_vgpr_msb 0x45                     ;  msbs: dst=1 src0=1 src1=1 src2=0
	v_mul_i32_i24_e32 v173 /*v429*/, v201 /*v457*/, v11 /*v267*/
	s_set_vgpr_msb 20                       ;  msbs: dst=0 src0=0 src1=1 src2=1
	v_add3_u32 v1, v1, v175 /*v431*/, v202 /*v458*/
	s_set_vgpr_msb 64                       ;  msbs: dst=1 src0=0 src1=0 src2=0
	v_mul_i32_i24_e32 v175 /*v431*/, v152, v244
	v_mul_i32_i24_e32 v202 /*v458*/, v153, v235
	s_set_vgpr_msb 20                       ;  msbs: dst=0 src0=0 src1=1 src2=1
	v_add3_u32 v1, v1, v203 /*v459*/, v204 /*v460*/
	s_set_vgpr_msb 64                       ;  msbs: dst=1 src0=0 src1=0 src2=0
	v_mul_i32_i24_e32 v203 /*v459*/, v154, v246
	v_mul_i32_i24_e32 v204 /*v460*/, v155, v247
	s_set_vgpr_msb 20                       ;  msbs: dst=0 src0=0 src1=1 src2=1
	v_add3_u32 v1, v1, v205 /*v461*/, v206 /*v462*/
	s_set_vgpr_msb 64                       ;  msbs: dst=1 src0=0 src1=0 src2=0
	v_mul_i32_i24_e32 v205 /*v461*/, v156, v248
	s_set_vgpr_msb 0x41                     ;  msbs: dst=1 src0=1 src1=0 src2=0
	v_mul_i32_i24_e32 v206 /*v462*/, v168 /*v424*/, v245
	s_set_vgpr_msb 20                       ;  msbs: dst=0 src0=0 src1=1 src2=1
	v_add3_u32 v1, v1, v207 /*v463*/, v208 /*v464*/
	s_set_vgpr_msb 0x41                     ;  msbs: dst=1 src0=1 src1=0 src2=0
	v_mul_i32_i24_e32 v207 /*v463*/, v170 /*v426*/, v250
	v_mul_i32_i24_e32 v208 /*v464*/, v184 /*v440*/, v251
	s_set_vgpr_msb 20                       ;  msbs: dst=0 src0=0 src1=1 src2=1
	v_add3_u32 v1, v1, v209 /*v465*/, v210 /*v466*/
	s_set_vgpr_msb 0x41                     ;  msbs: dst=1 src0=1 src1=0 src2=0
	v_mul_i32_i24_e32 v209 /*v465*/, v185 /*v441*/, v252
	;; [unrolled: 5-line block ×4, first 2 shown]
	s_set_vgpr_msb 0x45                     ;  msbs: dst=1 src0=1 src1=1 src2=0
	v_mul_i32_i24_e32 v214 /*v470*/, v1 /*v257*/, v190 /*v446*/
	s_set_vgpr_msb 20                       ;  msbs: dst=0 src0=0 src1=1 src2=1
	v_add3_u32 v1, v1, v215 /*v471*/, v216 /*v472*/
	s_set_vgpr_msb 0x45                     ;  msbs: dst=1 src0=1 src1=1 src2=0
	v_mul_i32_i24_e32 v215 /*v471*/, v0 /*v256*/, v191 /*v447*/
	v_mul_i32_i24_e32 v216 /*v472*/, v2 /*v258*/, v192 /*v448*/
	s_set_vgpr_msb 20                       ;  msbs: dst=0 src0=0 src1=1 src2=1
	v_add3_u32 v1, v1, v217 /*v473*/, v218 /*v474*/
	s_set_vgpr_msb 0x45                     ;  msbs: dst=1 src0=1 src1=1 src2=0
	v_mul_i32_i24_e32 v217 /*v473*/, v3 /*v259*/, v193 /*v449*/
	;; [unrolled: 5-line block ×3, first 2 shown]
	v_mul_i32_i24_e32 v220 /*v476*/, v6 /*v262*/, v196 /*v452*/
	s_set_vgpr_msb 0x54                     ;  msbs: dst=1 src0=0 src1=1 src2=1
	v_add3_u32 v169 /*v425*/, v1, v221 /*v477*/, v222 /*v478*/
	s_set_vgpr_msb 0                        ;  msbs: dst=0 src0=0 src1=0 src2=0
	v_mul_i32_i24_e32 v1, v147, v234
	s_set_vgpr_msb 0x45                     ;  msbs: dst=1 src0=1 src1=1 src2=0
	v_mul_i32_i24_e32 v221 /*v477*/, v7 /*v263*/, v197 /*v453*/
	v_mul_i32_i24_e32 v222 /*v478*/, v9 /*v265*/, v198 /*v454*/
	s_set_vgpr_msb 0                        ;  msbs: dst=0 src0=0 src1=0 src2=0
	v_mad_i32_i24 v1, v148, v232, v1
	s_set_vgpr_msb 16                       ;  msbs: dst=0 src0=0 src1=0 src2=1
	s_delay_alu instid0(VALU_DEP_1) | instskip(SKIP_4) | instid1(VALU_DEP_2)
	v_add3_u32 v1, v1, v2, v172 /*v428*/
	v_mul_i32_i24_e32 v2, v151, v243
	s_set_vgpr_msb 0x45                     ;  msbs: dst=1 src0=1 src1=1 src2=0
	v_mul_i32_i24_e32 v172 /*v428*/, v200 /*v456*/, v10 /*v266*/
	s_set_vgpr_msb 16                       ;  msbs: dst=0 src0=0 src1=0 src2=1
	v_add3_u32 v1, v1, v2, v175 /*v431*/
	s_set_vgpr_msb 20                       ;  msbs: dst=0 src0=0 src1=1 src2=1
	v_mul_i32_i24_e32 v2, v18, v16 /*v272*/
	v_mul_i32_i24_e32 v18, v22, v20 /*v276*/
	;; [unrolled: 1-line block ×4, first 2 shown]
	v_add3_u32 v1, v1, v202 /*v458*/, v203 /*v459*/
	s_set_vgpr_msb 1                        ;  msbs: dst=0 src0=1 src1=0 src2=0
	v_mul_i32_i24_e32 v34, v33 /*v289*/, v42
	v_mul_i32_i24_e32 v42, v37 /*v293*/, v52
	;; [unrolled: 1-line block ×3, first 2 shown]
	s_set_vgpr_msb 20                       ;  msbs: dst=0 src0=0 src1=1 src2=1
	v_add3_u32 v1, v1, v204 /*v460*/, v205 /*v461*/
	s_delay_alu instid0(VALU_DEP_1) | instskip(NEXT) | instid1(VALU_DEP_1)
	v_add3_u32 v1, v1, v206 /*v462*/, v207 /*v463*/
	v_add3_u32 v1, v1, v208 /*v464*/, v209 /*v465*/
	s_delay_alu instid0(VALU_DEP_1) | instskip(NEXT) | instid1(VALU_DEP_1)
	v_add3_u32 v1, v1, v210 /*v466*/, v211 /*v467*/
	;; [unrolled: 3-line block ×4, first 2 shown]
	v_add3_u32 v1, v1, v220 /*v476*/, v221 /*v477*/
	s_set_vgpr_msb 0x54                     ;  msbs: dst=1 src0=0 src1=1 src2=1
	s_delay_alu instid0(VALU_DEP_1)
	v_add3_u32 v175 /*v431*/, v1, v222 /*v478*/, v223 /*v479*/
	s_set_vgpr_msb 4                        ;  msbs: dst=0 src0=0 src1=1 src2=0
	v_mul_i32_i24_e32 v1, v7, v15 /*v271*/
	v_mul_i32_i24_e32 v7, v19, v17 /*v273*/
	;; [unrolled: 1-line block ×5, first 2 shown]
	v_mad_i32_i24 v1, v9, v14 /*v270*/, v1
	v_mul_i32_i24_e32 v9, v21, v19 /*v275*/
	v_mul_i32_i24_e32 v21, v26, v23 /*v279*/
	;; [unrolled: 1-line block ×4, first 2 shown]
	s_set_vgpr_msb 0                        ;  msbs: dst=0 src0=0 src1=0 src2=0
	v_add3_u32 v2, v1, v2, v7
	s_set_vgpr_msb 4                        ;  msbs: dst=0 src0=0 src1=1 src2=0
	v_mul_i32_i24_e32 v7, v20, v18 /*v274*/
	v_mul_i32_i24_e32 v20, v25, v22 /*v278*/
	;; [unrolled: 1-line block ×4, first 2 shown]
	s_set_vgpr_msb 1                        ;  msbs: dst=0 src0=1 src1=0 src2=0
	v_mul_i32_i24_e32 v36, v32 /*v288*/, v44
	s_set_vgpr_msb 0                        ;  msbs: dst=0 src0=0 src1=0 src2=0
	v_add3_u32 v2, v2, v7, v9
	s_set_vgpr_msb 4                        ;  msbs: dst=0 src0=0 src1=1 src2=0
	v_mul_i32_i24_e32 v7, v147, v44 /*v300*/
	v_mul_i32_i24_e32 v9, v149, v41 /*v297*/
	s_set_vgpr_msb 1                        ;  msbs: dst=0 src0=1 src1=0 src2=0
	v_mul_i32_i24_e32 v38, v35 /*v291*/, v46
	v_mul_i32_i24_e32 v40, v34 /*v290*/, v48
	s_set_vgpr_msb 0                        ;  msbs: dst=0 src0=0 src1=0 src2=0
	v_add3_u32 v2, v2, v18, v19
	s_set_vgpr_msb 4                        ;  msbs: dst=0 src0=0 src1=1 src2=0
	v_mul_i32_i24_e32 v18, v150, v47 /*v303*/
	v_mad_i32_i24 v7, v148, v43 /*v299*/, v7
	v_mul_i32_i24_e32 v19, v152, v51 /*v307*/
	s_set_vgpr_msb 1                        ;  msbs: dst=0 src0=1 src1=0 src2=0
	v_mul_i32_i24_e32 v44, v36 /*v292*/, v53
	s_set_vgpr_msb 0                        ;  msbs: dst=0 src0=0 src1=0 src2=0
	v_add3_u32 v2, v2, v20, v21
	s_set_vgpr_msb 4                        ;  msbs: dst=0 src0=0 src1=1 src2=0
	v_mul_i32_i24_e32 v20, v153, v45 /*v301*/
	s_set_vgpr_msb 0                        ;  msbs: dst=0 src0=0 src1=0 src2=0
	v_add3_u32 v9, v7, v9, v18
	s_set_vgpr_msb 4                        ;  msbs: dst=0 src0=0 src1=1 src2=0
	v_mul_i32_i24_e32 v18, v151, v50 /*v306*/
	v_mul_i32_i24_e32 v21, v154, v53 /*v309*/
	s_set_vgpr_msb 0                        ;  msbs: dst=0 src0=0 src1=0 src2=0
	v_add3_u32 v2, v2, v22, v24
	s_set_vgpr_msb 4                        ;  msbs: dst=0 src0=0 src1=1 src2=0
	v_mul_i32_i24_e32 v22, v155, v54 /*v310*/
	v_mul_i32_i24_e32 v24, v156, v55 /*v311*/
	s_set_vgpr_msb 0                        ;  msbs: dst=0 src0=0 src1=0 src2=0
	v_add3_u32 v9, v9, v18, v19
	s_set_vgpr_msb 1                        ;  msbs: dst=0 src0=1 src1=0 src2=0
	v_mul_i32_i24_e32 v46, v39 /*v295*/, v55
	s_set_vgpr_msb 0                        ;  msbs: dst=0 src0=0 src1=0 src2=0
	v_add3_u32 v2, v2, v25, v26
	s_set_vgpr_msb 5                        ;  msbs: dst=0 src0=1 src1=1 src2=0
	v_mul_i32_i24_e32 v25, v168 /*v424*/, v52 /*v308*/
	v_mul_i32_i24_e32 v26, v170 /*v426*/, v57 /*v313*/
	s_set_vgpr_msb 0                        ;  msbs: dst=0 src0=0 src1=0 src2=0
	v_add3_u32 v9, v9, v20, v21
	s_set_vgpr_msb 1                        ;  msbs: dst=0 src0=1 src1=0 src2=0
	v_mul_i32_i24_e32 v48, v38 /*v294*/, v141
	s_set_vgpr_msb 0                        ;  msbs: dst=0 src0=0 src1=0 src2=0
	v_add3_u32 v2, v2, v28, v29
	s_set_vgpr_msb 5                        ;  msbs: dst=0 src0=1 src1=1 src2=0
	v_mul_i32_i24_e32 v28, v184 /*v440*/, v58 /*v314*/
	v_mul_i32_i24_e32 v29, v185 /*v441*/, v59 /*v315*/
	;; [unrolled: 9-line block ×3, first 2 shown]
	s_set_vgpr_msb 0                        ;  msbs: dst=0 src0=0 src1=0 src2=0
	v_add3_u32 v9, v9, v25, v26
	s_set_vgpr_msb 4                        ;  msbs: dst=0 src0=0 src1=1 src2=0
	v_mul_i32_i24_e32 v55, v144, v46 /*v302*/
	s_set_vgpr_msb 0                        ;  msbs: dst=0 src0=0 src1=0 src2=0
	v_add3_u32 v2, v2, v34, v36
	s_set_vgpr_msb 5                        ;  msbs: dst=0 src0=1 src1=1 src2=0
	v_mul_i32_i24_e32 v34, v188 /*v444*/, v61 /*v317*/
	v_mul_i32_i24_e32 v36, v189 /*v445*/, v62 /*v318*/
	s_set_vgpr_msb 0                        ;  msbs: dst=0 src0=0 src1=0 src2=0
	v_add3_u32 v9, v9, v28, v29
	s_set_vgpr_msb 4                        ;  msbs: dst=0 src0=0 src1=1 src2=0
	v_mul_i32_i24_e32 v141, v145, v48 /*v304*/
	s_set_vgpr_msb 0                        ;  msbs: dst=0 src0=0 src1=0 src2=0
	v_add3_u32 v2, v2, v38, v40
	s_set_vgpr_msb 5                        ;  msbs: dst=0 src0=1 src1=1 src2=0
	v_mul_i32_i24_e32 v38, v64 /*v320*/, v190 /*v446*/
	v_mul_i32_i24_e32 v40, v63 /*v319*/, v191 /*v447*/
	;; [unrolled: 9-line block ×3, first 2 shown]
	s_set_vgpr_msb 0                        ;  msbs: dst=0 src0=0 src1=0 src2=0
	v_add3_u32 v9, v9, v34, v36
	s_set_vgpr_msb 5                        ;  msbs: dst=0 src0=1 src1=1 src2=0
	v_mul_i32_i24_e32 v7, v200 /*v456*/, v73 /*v329*/
	s_set_vgpr_msb 0                        ;  msbs: dst=0 src0=0 src1=0 src2=0
	v_add3_u32 v2, v2, v46, v48
	s_set_vgpr_msb 5                        ;  msbs: dst=0 src0=1 src1=1 src2=0
	v_mul_i32_i24_e32 v46, v68 /*v324*/, v194 /*v450*/
	v_mul_i32_i24_e32 v48, v67 /*v323*/, v195 /*v451*/
	s_set_vgpr_msb 0                        ;  msbs: dst=0 src0=0 src1=0 src2=0
	v_add3_u32 v9, v9, v38, v40
	s_set_vgpr_msb 0x45                     ;  msbs: dst=1 src0=1 src1=1 src2=0
	v_mul_i32_i24_e32 v168 /*v424*/, v201 /*v457*/, v74 /*v330*/
	s_set_vgpr_msb 0                        ;  msbs: dst=0 src0=0 src1=0 src2=0
	v_add3_u32 v2, v2, v52, v53
	s_set_vgpr_msb 5                        ;  msbs: dst=0 src0=1 src1=1 src2=0
	v_mul_i32_i24_e32 v52, v69 /*v325*/, v196 /*v452*/
	v_mul_i32_i24_e32 v53, v70 /*v326*/, v197 /*v453*/
	s_set_vgpr_msb 0                        ;  msbs: dst=0 src0=0 src1=0 src2=0
	v_add3_u32 v9, v9, v42, v44
	s_set_vgpr_msb 0x55                     ;  msbs: dst=1 src0=1 src1=1 src2=1
	v_add3_u32 v172 /*v428*/, v175 /*v431*/, v172 /*v428*/, v173 /*v429*/
	s_set_vgpr_msb 0                        ;  msbs: dst=0 src0=0 src1=0 src2=0
	v_add3_u32 v2, v2, v55, v141
	s_set_vgpr_msb 5                        ;  msbs: dst=0 src0=1 src1=1 src2=0
	v_mul_i32_i24_e32 v55, v72 /*v328*/, v198 /*v454*/
	v_mul_i32_i24_e32 v141, v71 /*v327*/, v199 /*v455*/
	s_set_vgpr_msb 0                        ;  msbs: dst=0 src0=0 src1=0 src2=0
	v_add3_u32 v9, v9, v46, v48
	s_delay_alu instid0(VALU_DEP_1) | instskip(SKIP_1) | instid1(VALU_DEP_1)
	v_add3_u32 v9, v9, v52, v53
	s_set_vgpr_msb 64                       ;  msbs: dst=1 src0=0 src1=0 src2=0
	v_add3_u32 v170 /*v426*/, v9, v55, v141
	s_set_vgpr_msb 17                       ;  msbs: dst=0 src0=1 src1=0 src2=1
	v_or_b32_e32 v9, s5, v132
	s_delay_alu instid0(VALU_DEP_2) | instskip(NEXT) | instid1(VALU_DEP_2)
	v_add3_u32 v7, v170 /*v426*/, v7, v168 /*v424*/
	v_lshlrev_b32_e32 v18, 2, v9
	s_set_vgpr_msb 64                       ;  msbs: dst=1 src0=0 src1=0 src2=0
	ds_load_b128 v[184:187] /*v[440:443]*/, v18 offset:16896
	ds_load_b128 v[188:191] /*v[444:447]*/, v18 offset:16912
	;; [unrolled: 1-line block ×4, first 2 shown]
	s_set_vgpr_msb 1                        ;  msbs: dst=0 src0=1 src1=0 src2=0
	v_lshrrev_b32_e32 v9, 1, v9
	s_wait_dscnt 0x3
	v_bfe_i32 v18, v184 /*v440*/, 0, 8
	v_bfe_i32 v19, v184 /*v440*/, 8, 8
	;; [unrolled: 1-line block ×3, first 2 shown]
	s_set_vgpr_msb 4                        ;  msbs: dst=0 src0=0 src1=1 src2=0
	v_dual_ashrrev_i32 v21, 24, v184 /*v440*/ :: v_dual_ashrrev_i32 v26, 24, v185 /*v441*/
	s_set_vgpr_msb 0x44                     ;  msbs: dst=1 src0=0 src1=1 src2=0
	v_mul_i32_i24_e32 v184 /*v440*/, v18, v110 /*v366*/
	s_set_vgpr_msb 1                        ;  msbs: dst=0 src0=1 src1=0 src2=0
	v_bfe_i32 v22, v185 /*v441*/, 0, 8
	v_bfe_i32 v24, v185 /*v441*/, 8, 8
	;; [unrolled: 1-line block ×6, first 2 shown]
	s_set_vgpr_msb 4                        ;  msbs: dst=0 src0=0 src1=1 src2=0
	v_dual_ashrrev_i32 v32, 24, v186 /*v442*/ :: v_dual_ashrrev_i32 v40, 24, v187 /*v443*/
	s_set_vgpr_msb 0x54                     ;  msbs: dst=1 src0=0 src1=1 src2=1
	v_mul_i32_i24_e32 v185 /*v441*/, v20, v111 /*v367*/
	v_mul_i32_i24_e32 v186 /*v442*/, v21, v112 /*v368*/
	v_mad_i32_i24 v184 /*v440*/, v19, v109 /*v365*/, v184 /*v440*/
	s_set_vgpr_msb 1                        ;  msbs: dst=0 src0=1 src1=0 src2=0
	v_bfe_i32 v34, v187 /*v443*/, 0, 8
	v_bfe_i32 v36, v187 /*v443*/, 8, 8
	;; [unrolled: 1-line block ×3, first 2 shown]
	s_wait_dscnt 0x2
	v_bfe_i32 v42, v188 /*v444*/, 0, 8
	s_set_vgpr_msb 0x55                     ;  msbs: dst=1 src0=1 src1=1 src2=1
	v_add3_u32 v184 /*v440*/, v184 /*v440*/, v185 /*v441*/, v186 /*v442*/
	s_set_vgpr_msb 0x44                     ;  msbs: dst=1 src0=0 src1=1 src2=0
	v_mul_i32_i24_e32 v185 /*v441*/, v22, v113 /*v369*/
	v_mul_i32_i24_e32 v186 /*v442*/, v24, v114 /*v370*/
	s_set_vgpr_msb 1                        ;  msbs: dst=0 src0=1 src1=0 src2=0
	v_bfe_i32 v44, v188 /*v444*/, 8, 8
	v_bfe_i32 v46, v188 /*v444*/, 16, 8
	s_set_vgpr_msb 4                        ;  msbs: dst=0 src0=0 src1=1 src2=0
	v_dual_ashrrev_i32 v48, 24, v188 /*v444*/ :: v_dual_ashrrev_i32 v141, 24, v189 /*v445*/
	s_set_vgpr_msb 0x44                     ;  msbs: dst=1 src0=0 src1=1 src2=0
	v_mul_i32_i24_e32 v187 /*v443*/, v25, v115 /*v371*/
	v_mul_i32_i24_e32 v188 /*v444*/, v26, v116 /*v372*/
	s_set_vgpr_msb 0x55                     ;  msbs: dst=1 src0=1 src1=1 src2=1
	v_add3_u32 v184 /*v440*/, v184 /*v440*/, v185 /*v441*/, v186 /*v442*/
	s_set_vgpr_msb 1                        ;  msbs: dst=0 src0=1 src1=0 src2=0
	v_bfe_i32 v52, v189 /*v445*/, 0, 8
	v_bfe_i32 v53, v189 /*v445*/, 8, 8
	;; [unrolled: 1-line block ×6, first 2 shown]
	s_set_vgpr_msb 4                        ;  msbs: dst=0 src0=0 src1=1 src2=0
	v_dual_ashrrev_i32 v145, 24, v190 /*v446*/ :: v_dual_ashrrev_i32 v149, 24, v191 /*v447*/
	s_set_vgpr_msb 0x44                     ;  msbs: dst=1 src0=0 src1=1 src2=0
	v_mul_i32_i24_e32 v189 /*v445*/, v28, v117 /*v373*/
	v_mul_i32_i24_e32 v190 /*v446*/, v29, v118 /*v374*/
	s_set_vgpr_msb 0x55                     ;  msbs: dst=1 src0=1 src1=1 src2=1
	v_add3_u32 v184 /*v440*/, v184 /*v440*/, v187 /*v443*/, v188 /*v444*/
	s_set_vgpr_msb 1                        ;  msbs: dst=0 src0=1 src1=0 src2=0
	v_bfe_i32 v146, v191 /*v447*/, 0, 8
	v_bfe_i32 v147, v191 /*v447*/, 8, 8
	;; [unrolled: 1-line block ×3, first 2 shown]
	s_wait_dscnt 0x1
	v_bfe_i32 v150, v192 /*v448*/, 0, 8
	v_bfe_i32 v151, v192 /*v448*/, 8, 8
	v_bfe_i32 v152, v192 /*v448*/, 16, 8
	s_set_vgpr_msb 4                        ;  msbs: dst=0 src0=0 src1=1 src2=0
	v_ashrrev_i32_e32 v153, 24, v192 /*v448*/
	s_set_vgpr_msb 0x44                     ;  msbs: dst=1 src0=0 src1=1 src2=0
	v_mul_i32_i24_e32 v191 /*v447*/, v30, v119 /*v375*/
	v_mul_i32_i24_e32 v192 /*v448*/, v32, v120 /*v376*/
	s_set_vgpr_msb 0x55                     ;  msbs: dst=1 src0=1 src1=1 src2=1
	v_add3_u32 v184 /*v440*/, v184 /*v440*/, v189 /*v445*/, v190 /*v446*/
	s_set_vgpr_msb 1                        ;  msbs: dst=0 src0=1 src1=0 src2=0
	v_bfe_i32 v154, v193 /*v449*/, 0, 8
	v_bfe_i32 v155, v193 /*v449*/, 8, 8
	;; [unrolled: 1-line block ×3, first 2 shown]
	s_set_vgpr_msb 0x44                     ;  msbs: dst=1 src0=0 src1=1 src2=0
	v_dual_ashrrev_i32 v200 /*v456*/, 24, v193 /*v449*/ :: v_dual_ashrrev_i32 v204 /*v460*/, 24, v194 /*v450*/
	s_set_vgpr_msb 0x41                     ;  msbs: dst=1 src0=1 src1=0 src2=0
	v_bfe_i32 v201 /*v457*/, v194 /*v450*/, 0, 8
	v_bfe_i32 v202 /*v458*/, v194 /*v450*/, 8, 8
	;; [unrolled: 1-line block ×3, first 2 shown]
	s_set_vgpr_msb 0x44                     ;  msbs: dst=1 src0=0 src1=1 src2=0
	v_mul_i32_i24_e32 v193 /*v449*/, v34, v121 /*v377*/
	v_mul_i32_i24_e32 v194 /*v450*/, v36, v122 /*v378*/
	s_set_vgpr_msb 0x55                     ;  msbs: dst=1 src0=1 src1=1 src2=1
	v_add3_u32 v184 /*v440*/, v184 /*v440*/, v191 /*v447*/, v192 /*v448*/
	v_bfe_i32 v205 /*v461*/, v195 /*v451*/, 0, 8
	v_bfe_i32 v206 /*v462*/, v195 /*v451*/, 8, 8
	;; [unrolled: 1-line block ×3, first 2 shown]
	v_ashrrev_i32_e32 v208 /*v464*/, 24, v195 /*v451*/
	s_set_vgpr_msb 0x44                     ;  msbs: dst=1 src0=0 src1=1 src2=0
	v_mul_i32_i24_e32 v195 /*v451*/, v38, v123 /*v379*/
	v_mul_i32_i24_e32 v221 /*v477*/, v40, v124 /*v380*/
	s_set_vgpr_msb 0x55                     ;  msbs: dst=1 src0=1 src1=1 src2=1
	v_add3_u32 v184 /*v440*/, v184 /*v440*/, v193 /*v449*/, v194 /*v450*/
	s_set_vgpr_msb 0x44                     ;  msbs: dst=1 src0=0 src1=1 src2=0
	v_mul_i32_i24_e32 v222 /*v478*/, v42, v125 /*v381*/
	v_mul_i32_i24_e32 v223 /*v479*/, v44, v126 /*v382*/
	s_set_vgpr_msb 0x41                     ;  msbs: dst=1 src0=1 src1=0 src2=0
	v_mul_i32_i24_e32 v224 /*v480*/, v128 /*v384*/, v46
	v_mul_i32_i24_e32 v225 /*v481*/, v127 /*v383*/, v48
	s_set_vgpr_msb 0x55                     ;  msbs: dst=1 src0=1 src1=1 src2=1
	v_add3_u32 v184 /*v440*/, v184 /*v440*/, v195 /*v451*/, v221 /*v477*/
	s_set_vgpr_msb 0x41                     ;  msbs: dst=1 src0=1 src1=0 src2=0
	v_mul_i32_i24_e32 v226 /*v482*/, v130 /*v386*/, v52
	v_mul_i32_i24_e32 v227 /*v483*/, v129 /*v385*/, v53
	;; [unrolled: 1-line block ×4, first 2 shown]
	s_set_vgpr_msb 0x55                     ;  msbs: dst=1 src0=1 src1=1 src2=1
	v_add3_u32 v184 /*v440*/, v184 /*v440*/, v222 /*v478*/, v223 /*v479*/
	s_set_vgpr_msb 0x41                     ;  msbs: dst=1 src0=1 src1=0 src2=0
	v_mul_i32_i24_e32 v230 /*v486*/, v140 /*v396*/, v142
	v_mul_i32_i24_e32 v231 /*v487*/, v133 /*v389*/, v143
	;; [unrolled: 1-line block ×4, first 2 shown]
	s_set_vgpr_msb 0x55                     ;  msbs: dst=1 src0=1 src1=1 src2=1
	v_add3_u32 v184 /*v440*/, v184 /*v440*/, v224 /*v480*/, v225 /*v481*/
	s_set_vgpr_msb 0x44                     ;  msbs: dst=1 src0=0 src1=1 src2=0
	v_mul_i32_i24_e32 v234 /*v490*/, v146, v146 /*v402*/
	v_mul_i32_i24_e32 v235 /*v491*/, v147, v147 /*v403*/
	s_set_vgpr_msb 0x41                     ;  msbs: dst=1 src0=1 src1=0 src2=0
	v_mul_i32_i24_e32 v185 /*v441*/, v150 /*v406*/, v152
	v_mul_i32_i24_e32 v186 /*v442*/, v142 /*v398*/, v153
	s_set_vgpr_msb 0x55                     ;  msbs: dst=1 src0=1 src1=1 src2=1
	v_add3_u32 v184 /*v440*/, v184 /*v440*/, v226 /*v482*/, v227 /*v483*/
	s_set_vgpr_msb 0x41                     ;  msbs: dst=1 src0=1 src1=0 src2=0
	v_mul_i32_i24_e32 v187 /*v443*/, v151 /*v407*/, v156
	s_set_vgpr_msb 0x55                     ;  msbs: dst=1 src0=1 src1=1 src2=1
	v_mul_i32_i24_e32 v188 /*v444*/, v134 /*v390*/, v200 /*v456*/
	v_mul_i32_i24_e32 v189 /*v445*/, v155 /*v411*/, v201 /*v457*/
	;; [unrolled: 1-line block ×3, first 2 shown]
	v_add3_u32 v184 /*v440*/, v184 /*v440*/, v228 /*v484*/, v229 /*v485*/
	v_mul_i32_i24_e32 v191 /*v447*/, v153 /*v409*/, v203 /*v459*/
	v_mul_i32_i24_e32 v192 /*v448*/, v135 /*v391*/, v204 /*v460*/
	;; [unrolled: 1-line block ×4, first 2 shown]
	v_add3_u32 v184 /*v440*/, v184 /*v440*/, v230 /*v486*/, v231 /*v487*/
	s_wait_dscnt 0x0
	v_bfe_i32 v209 /*v465*/, v196 /*v452*/, 0, 8
	v_bfe_i32 v210 /*v466*/, v196 /*v452*/, 8, 8
	;; [unrolled: 1-line block ×3, first 2 shown]
	v_ashrrev_i32_e32 v196 /*v452*/, 24, v196 /*v452*/
	v_add3_u32 v184 /*v440*/, v184 /*v440*/, v232 /*v488*/, v233 /*v489*/
	v_mul_i32_i24_e32 v221 /*v477*/, v156 /*v412*/, v207 /*v463*/
	v_mul_i32_i24_e32 v222 /*v478*/, v136 /*v392*/, v208 /*v464*/
	;; [unrolled: 1-line block ×4, first 2 shown]
	v_add3_u32 v194 /*v450*/, v184 /*v440*/, v234 /*v490*/, v235 /*v491*/
	s_set_vgpr_msb 64                       ;  msbs: dst=1 src0=0 src1=0 src2=0
	v_mul_i32_i24_e32 v184 /*v440*/, v120, v150
	s_set_vgpr_msb 0x45                     ;  msbs: dst=1 src0=1 src1=1 src2=0
	v_bfe_i32 v212 /*v468*/, v197 /*v453*/, 0, 8
	v_bfe_i32 v213 /*v469*/, v197 /*v453*/, 8, 8
	v_mul_i32_i24_e32 v225 /*v481*/, v159 /*v415*/, v211 /*v467*/
	v_mul_i32_i24_e32 v226 /*v482*/, v137 /*v393*/, v196 /*v452*/
	s_set_vgpr_msb 0x51                     ;  msbs: dst=1 src0=1 src1=0 src2=1
	v_mad_i32_i24 v184 /*v440*/, v149 /*v405*/, v151, v184 /*v440*/
	v_bfe_i32 v214 /*v470*/, v197 /*v453*/, 16, 8
	s_set_vgpr_msb 0x55                     ;  msbs: dst=1 src0=1 src1=1 src2=1
	v_ashrrev_i32_e32 v197 /*v453*/, 24, v197 /*v453*/
	v_mul_i32_i24_e32 v227 /*v483*/, v164 /*v420*/, v212 /*v468*/
	v_mul_i32_i24_e32 v228 /*v484*/, v163 /*v419*/, v213 /*v469*/
	v_add3_u32 v184 /*v440*/, v184 /*v440*/, v185 /*v441*/, v186 /*v442*/
	s_set_vgpr_msb 64                       ;  msbs: dst=1 src0=0 src1=0 src2=0
	v_mul_i32_i24_e32 v185 /*v441*/, v121, v154
	s_set_vgpr_msb 0x41                     ;  msbs: dst=1 src0=1 src1=0 src2=0
	v_mul_i32_i24_e32 v186 /*v442*/, v152 /*v408*/, v155
	v_bfe_i32 v215 /*v471*/, v198 /*v454*/, 0, 8
	v_bfe_i32 v216 /*v472*/, v198 /*v454*/, 8, 8
	;; [unrolled: 1-line block ×3, first 2 shown]
	s_set_vgpr_msb 0x55                     ;  msbs: dst=1 src0=1 src1=1 src2=1
	v_ashrrev_i32_e32 v198 /*v454*/, 24, v198 /*v454*/
	v_add3_u32 v184 /*v440*/, v184 /*v440*/, v185 /*v441*/, v186 /*v442*/
	v_mul_i32_i24_e32 v229 /*v485*/, v162 /*v418*/, v214 /*v470*/
	v_mul_i32_i24_e32 v230 /*v486*/, v138 /*v394*/, v197 /*v453*/
	;; [unrolled: 1-line block ×4, first 2 shown]
	v_add3_u32 v184 /*v440*/, v184 /*v440*/, v187 /*v443*/, v188 /*v444*/
	v_mul_i32_i24_e32 v233 /*v489*/, v165 /*v421*/, v217 /*v473*/
	v_mul_i32_i24_e32 v234 /*v490*/, v139 /*v395*/, v198 /*v454*/
	v_bfe_i32 v218 /*v474*/, v199 /*v455*/, 0, 8
	v_bfe_i32 v219 /*v475*/, v199 /*v455*/, 8, 8
	v_add3_u32 v184 /*v440*/, v184 /*v440*/, v189 /*v445*/, v190 /*v446*/
	v_bfe_i32 v220 /*v476*/, v199 /*v455*/, 16, 8
	s_set_vgpr_msb 0x44                     ;  msbs: dst=1 src0=0 src1=1 src2=0
	v_mul_i32_i24_e32 v236 /*v492*/, v148, v148 /*v404*/
	s_set_vgpr_msb 0x55                     ;  msbs: dst=1 src0=1 src1=1 src2=1
	v_mul_i32_i24_e32 v235 /*v491*/, v218 /*v474*/, v143 /*v399*/
	v_mul_i32_i24_e32 v237 /*v493*/, v219 /*v475*/, v145 /*v401*/
	v_add3_u32 v184 /*v440*/, v184 /*v440*/, v191 /*v447*/, v192 /*v448*/
	s_set_vgpr_msb 0x41                     ;  msbs: dst=1 src0=1 src1=0 src2=0
	v_mul_i32_i24_e32 v238 /*v494*/, v219 /*v475*/, v241
	s_set_vgpr_msb 64                       ;  msbs: dst=1 src0=0 src1=0 src2=0
	v_mul_i32_i24_e32 v180 /*v436*/, v32, v186
	s_set_vgpr_msb 0x55                     ;  msbs: dst=1 src0=1 src1=1 src2=1
	v_add3_u32 v184 /*v440*/, v184 /*v440*/, v193 /*v449*/, v195 /*v451*/
	s_delay_alu instid0(VALU_DEP_1) | instskip(SKIP_3) | instid1(VALU_DEP_2)
	v_add3_u32 v184 /*v440*/, v184 /*v440*/, v221 /*v477*/, v222 /*v478*/
	s_set_vgpr_msb 0x44                     ;  msbs: dst=1 src0=0 src1=1 src2=0
	v_mul_i32_i24_e32 v222 /*v478*/, v40, v95 /*v351*/
	s_set_vgpr_msb 0x55                     ;  msbs: dst=1 src0=1 src1=1 src2=1
	v_add3_u32 v184 /*v440*/, v184 /*v440*/, v223 /*v479*/, v224 /*v480*/
	s_set_vgpr_msb 0x44                     ;  msbs: dst=1 src0=0 src1=1 src2=0
	v_mul_i32_i24_e32 v223 /*v479*/, v42, v96 /*v352*/
	v_mul_i32_i24_e32 v224 /*v480*/, v44, v97 /*v353*/
	s_set_vgpr_msb 0x55                     ;  msbs: dst=1 src0=1 src1=1 src2=1
	v_add3_u32 v184 /*v440*/, v184 /*v440*/, v225 /*v481*/, v226 /*v482*/
	s_set_vgpr_msb 0x41                     ;  msbs: dst=1 src0=1 src1=0 src2=0
	v_mul_i32_i24_e32 v225 /*v481*/, v99 /*v355*/, v46
	v_mul_i32_i24_e32 v226 /*v482*/, v98 /*v354*/, v48
	s_set_vgpr_msb 0x55                     ;  msbs: dst=1 src0=1 src1=1 src2=1
	v_add3_u32 v184 /*v440*/, v184 /*v440*/, v227 /*v483*/, v228 /*v484*/
	s_set_vgpr_msb 0x41                     ;  msbs: dst=1 src0=1 src1=0 src2=0
	v_mul_i32_i24_e32 v227 /*v483*/, v101 /*v357*/, v52
	v_mul_i32_i24_e32 v228 /*v484*/, v100 /*v356*/, v53
	;; [unrolled: 5-line block ×4, first 2 shown]
	s_set_vgpr_msb 0x55                     ;  msbs: dst=1 src0=1 src1=1 src2=1
	v_add3_u32 v221 /*v477*/, v184 /*v440*/, v233 /*v489*/, v234 /*v490*/
	s_set_vgpr_msb 64                       ;  msbs: dst=1 src0=0 src1=0 src2=0
	ds_load_b64 v[184:185] /*v[440:441]*/, v5 offset:27200
	ds_load_b64 v[186:187] /*v[442:443]*/, v9 offset:27200
	s_set_vgpr_msb 0x41                     ;  msbs: dst=1 src0=1 src1=0 src2=0
	v_mul_i32_i24_e32 v233 /*v489*/, v107 /*v363*/, v144
	v_mul_i32_i24_e32 v234 /*v490*/, v106 /*v362*/, v145
	s_set_vgpr_msb 0x55                     ;  msbs: dst=1 src0=1 src1=1 src2=1
	v_add3_u32 v182 /*v438*/, v221 /*v477*/, v235 /*v491*/, v237 /*v493*/
	s_set_vgpr_msb 0x44                     ;  msbs: dst=1 src0=0 src1=1 src2=0
	v_mul_i32_i24_e32 v221 /*v477*/, v38, v94 /*v350*/
	v_mul_i32_i24_e32 v235 /*v491*/, v146, v108 /*v364*/
	s_set_vgpr_msb 64                       ;  msbs: dst=1 src0=0 src1=0 src2=0
	v_mul_i32_i24_e32 v237 /*v493*/, v148, v197
	s_wait_dscnt 0x0
	s_set_vgpr_msb 4                        ;  msbs: dst=0 src0=0 src1=1 src2=0
	v_dual_lshrrev_b32 v5, 16, v184 /*v440*/ :: v_dual_lshrrev_b32 v9, 16, v186 /*v442*/
	s_set_vgpr_msb 0x41                     ;  msbs: dst=1 src0=1 src1=0 src2=0
	v_cvt_f32_f16_e64 v188 /*v444*/, v184 /*v440*/
	v_cvt_f32_f16_e64 v192 /*v448*/, v185 /*v441*/
	;; [unrolled: 1-line block ×4, first 2 shown]
	s_set_vgpr_msb 64                       ;  msbs: dst=1 src0=0 src1=0 src2=0
	v_cvt_f32_f16_e64 v191 /*v447*/, v9
	s_set_vgpr_msb 4                        ;  msbs: dst=0 src0=0 src1=1 src2=0
	v_ashrrev_i32_e32 v9, 24, v199 /*v455*/
	s_set_vgpr_msb 64                       ;  msbs: dst=1 src0=0 src1=0 src2=0
	v_cvt_f32_f16_e64 v190 /*v446*/, v5
	v_ashrrev_i32_e32 v199 /*v455*/, 24, v3
	s_set_vgpr_msb 4                        ;  msbs: dst=0 src0=0 src1=1 src2=0
	v_dual_lshrrev_b32 v3, 16, v185 /*v441*/ :: v_dual_lshrrev_b32 v5, 16, v187 /*v443*/
	s_set_vgpr_msb 64                       ;  msbs: dst=1 src0=0 src1=0 src2=0
	s_delay_alu instid0(VALU_DEP_1) | instskip(NEXT) | instid1(VALU_DEP_2)
	v_cvt_f32_f16_e64 v184 /*v440*/, v3
	v_cvt_f32_f16_e64 v185 /*v441*/, v5
	s_set_vgpr_msb 4                        ;  msbs: dst=0 src0=0 src1=1 src2=0
	v_mul_i32_i24_e32 v3, v4, v75 /*v331*/
	v_mul_i32_i24_e32 v5, v149, v75 /*v331*/
	s_set_vgpr_msb 5                        ;  msbs: dst=0 src0=1 src1=1 src2=0
	s_delay_alu instid0(VALU_DEP_2) | instskip(NEXT) | instid1(VALU_DEP_2)
	v_add3_u32 v3, v179 /*v435*/, v176 /*v432*/, v3
	v_add3_u32 v5, v194 /*v450*/, v236 /*v492*/, v5
	s_set_vgpr_msb 0x45                     ;  msbs: dst=1 src0=1 src1=1 src2=0
	v_mul_i32_i24_e32 v176 /*v432*/, v78 /*v334*/, v199 /*v455*/
	s_set_vgpr_msb 0x41                     ;  msbs: dst=1 src0=1 src1=0 src2=0
	v_mul_i32_i24_e32 v179 /*v435*/, v78 /*v334*/, v9
	s_set_vgpr_msb 0x44                     ;  msbs: dst=1 src0=0 src1=1 src2=0
	v_pk_fma_f32 v[194:195] /*v[450:451]*/, v[116:117], v[190:191] /*v[446:447]*/, 0 op_sel_hi:[0,1,0]
	s_set_vgpr_msb 4                        ;  msbs: dst=0 src0=0 src1=1 src2=0
	v_mul_lo_u32 v3, v3, v76 /*v332*/
	v_mul_lo_u32 v5, v5, v76 /*v332*/
	s_set_vgpr_msb 64                       ;  msbs: dst=1 src0=0 src1=0 src2=0
	v_mul_i32_i24_e32 v236 /*v492*/, v147, v195
	s_delay_alu instid0(VALU_DEP_3) | instskip(NEXT) | instid1(VALU_DEP_3)
	v_cvt_f32_i32_e32 v186 /*v442*/, v3
	v_cvt_f32_i32_e32 v187 /*v443*/, v5
	s_set_vgpr_msb 4                        ;  msbs: dst=0 src0=0 src1=1 src2=0
	v_mul_i32_i24_e32 v3, v0, v79 /*v335*/
	s_set_vgpr_msb 5                        ;  msbs: dst=0 src0=1 src1=1 src2=0
	v_mul_i32_i24_e32 v5, v220 /*v476*/, v79 /*v335*/
	s_set_vgpr_msb 0x45                     ;  msbs: dst=1 src0=1 src1=1 src2=0
	v_pk_fma_f32 v[186:187] /*v[442:443]*/, v[188:189] /*v[444:445]*/, v[186:187] /*v[442:443]*/, 0 op_sel_hi:[1,1,0]
	s_set_vgpr_msb 17                       ;  msbs: dst=0 src0=1 src1=0 src2=1
	v_add3_u32 v3, v181 /*v437*/, v3, v176 /*v432*/
	v_add3_u32 v5, v182 /*v438*/, v5, v179 /*v435*/
	s_set_vgpr_msb 0x44                     ;  msbs: dst=1 src0=0 src1=1 src2=0
	v_mul_i32_i24_e32 v176 /*v432*/, v21, v83 /*v339*/
	v_mul_i32_i24_e32 v179 /*v435*/, v25, v86 /*v342*/
	;; [unrolled: 1-line block ×3, first 2 shown]
	s_set_vgpr_msb 4                        ;  msbs: dst=0 src0=0 src1=1 src2=0
	v_mul_lo_u32 v3, v3, v77 /*v333*/
	v_mul_lo_u32 v5, v5, v77 /*v333*/
	s_set_vgpr_msb 64                       ;  msbs: dst=1 src0=0 src1=0 src2=0
	s_delay_alu instid0(VALU_DEP_2) | instskip(NEXT) | instid1(VALU_DEP_2)
	v_cvt_f32_i32_e32 v182 /*v438*/, v3
	v_cvt_f32_i32_e32 v183 /*v439*/, v5
	s_set_vgpr_msb 4                        ;  msbs: dst=0 src0=0 src1=1 src2=0
	v_mul_i32_i24_e32 v3, v18, v81 /*v337*/
	v_mul_i32_i24_e32 v5, v20, v82 /*v338*/
	s_set_vgpr_msb 0x55                     ;  msbs: dst=1 src0=1 src1=1 src2=1
	v_pk_fma_f32 v[182:183] /*v[438:439]*/, v[192:193] /*v[448:449]*/, v[182:183] /*v[438:439]*/, v[186:187] /*v[442:443]*/
	s_set_vgpr_msb 0x54                     ;  msbs: dst=1 src0=0 src1=1 src2=1
	v_pk_fma_f32 v[186:187] /*v[442:443]*/, v[118:119], v[184:185] /*v[440:441]*/, v[194:195] /*v[450:451]*/ op_sel_hi:[0,1,1]
	s_set_vgpr_msb 4                        ;  msbs: dst=0 src0=0 src1=1 src2=0
	v_mad_i32_i24 v3, v19, v80 /*v336*/, v3
	s_set_vgpr_msb 0x44                     ;  msbs: dst=1 src0=0 src1=1 src2=0
	v_mul_i32_i24_e32 v194 /*v450*/, v34, v92 /*v348*/
	v_mul_i32_i24_e32 v195 /*v451*/, v36, v93 /*v349*/
	s_set_vgpr_msb 0x41                     ;  msbs: dst=1 src0=1 src1=0 src2=0
	v_pk_mul_f32 v[186:187] /*v[442:443]*/, v[186:187] /*v[442:443]*/, v[96:97]
	s_set_vgpr_msb 16                       ;  msbs: dst=0 src0=0 src1=0 src2=1
	v_add3_u32 v3, v3, v5, v176 /*v432*/
	s_set_vgpr_msb 4                        ;  msbs: dst=0 src0=0 src1=1 src2=0
	v_mul_i32_i24_e32 v5, v22, v84 /*v340*/
	s_set_vgpr_msb 0x44                     ;  msbs: dst=1 src0=0 src1=1 src2=0
	v_mul_i32_i24_e32 v176 /*v432*/, v24, v85 /*v341*/
	s_set_vgpr_msb 0x51                     ;  msbs: dst=1 src0=1 src1=0 src2=1
	v_pk_fma_f32 v[182:183] /*v[438:439]*/, v[182:183] /*v[438:439]*/, v[88:89], v[186:187] /*v[442:443]*/ neg_lo:[0,0,1] neg_hi:[0,0,1]
	s_set_vgpr_msb 0x44                     ;  msbs: dst=1 src0=0 src1=1 src2=0
	v_mul_i32_i24_e32 v186 /*v442*/, v30, v90 /*v346*/
	v_mul_i32_i24_e32 v187 /*v443*/, v32, v91 /*v347*/
	s_set_vgpr_msb 16                       ;  msbs: dst=0 src0=0 src1=0 src2=1
	v_add3_u32 v3, v3, v5, v176 /*v432*/
	v_mul_i32_i24_e32 v5, v150, v189
	s_set_vgpr_msb 4                        ;  msbs: dst=0 src0=0 src1=1 src2=0
	v_pk_add_f32 v[62:63], v[62:63], v[182:183] /*v[438:439]*/
	s_set_vgpr_msb 0x44                     ;  msbs: dst=1 src0=0 src1=1 src2=0
	v_mul_i32_i24_e32 v182 /*v438*/, v28, v88 /*v344*/
	v_mul_i32_i24_e32 v183 /*v439*/, v29, v89 /*v345*/
	s_set_vgpr_msb 20                       ;  msbs: dst=0 src0=0 src1=1 src2=1
	v_add3_u32 v3, v3, v179 /*v435*/, v181 /*v437*/
	s_set_vgpr_msb 64                       ;  msbs: dst=1 src0=0 src1=0 src2=0
	v_mul_i32_i24_e32 v176 /*v432*/, v152, v187
	v_mul_i32_i24_e32 v179 /*v435*/, v153, v193
	s_set_vgpr_msb 0                        ;  msbs: dst=0 src0=0 src1=0 src2=0
	v_mad_i32_i24 v5, v151, v188, v5
	s_set_vgpr_msb 64                       ;  msbs: dst=1 src0=0 src1=0 src2=0
	v_mul_i32_i24_e32 v181 /*v437*/, v156, v191
	s_set_vgpr_msb 20                       ;  msbs: dst=0 src0=0 src1=1 src2=1
	v_add3_u32 v3, v3, v182 /*v438*/, v183 /*v439*/
	s_set_vgpr_msb 0x41                     ;  msbs: dst=1 src0=1 src1=0 src2=0
	v_mul_i32_i24_e32 v182 /*v438*/, v200 /*v456*/, v201
	v_mul_i32_i24_e32 v183 /*v439*/, v201 /*v457*/, v203
	s_set_vgpr_msb 20                       ;  msbs: dst=0 src0=0 src1=1 src2=1
	v_add3_u32 v5, v5, v176 /*v432*/, v179 /*v435*/
	s_set_vgpr_msb 64                       ;  msbs: dst=1 src0=0 src1=0 src2=0
	v_mul_i32_i24_e32 v176 /*v432*/, v154, v198
	s_set_vgpr_msb 20                       ;  msbs: dst=0 src0=0 src1=1 src2=1
	v_add3_u32 v3, v3, v186 /*v442*/, v187 /*v443*/
	s_set_vgpr_msb 64                       ;  msbs: dst=1 src0=0 src1=0 src2=0
	v_mul_i32_i24_e32 v179 /*v435*/, v155, v199
	s_set_vgpr_msb 0x41                     ;  msbs: dst=1 src0=1 src1=0 src2=0
	v_mul_i32_i24_e32 v186 /*v442*/, v202 /*v458*/, v206
	v_mul_i32_i24_e32 v187 /*v443*/, v203 /*v459*/, v200
	s_set_vgpr_msb 20                       ;  msbs: dst=0 src0=0 src1=1 src2=1
	v_add3_u32 v3, v3, v194 /*v450*/, v195 /*v451*/
	v_add3_u32 v5, v5, v176 /*v432*/, v179 /*v435*/
	s_set_vgpr_msb 0x41                     ;  msbs: dst=1 src0=1 src1=0 src2=0
	v_mul_i32_i24_e32 v194 /*v450*/, v204 /*v460*/, v208
	v_mul_i32_i24_e32 v195 /*v451*/, v205 /*v461*/, v210
	s_set_vgpr_msb 64                       ;  msbs: dst=1 src0=0 src1=0 src2=0
	v_mul_i32_i24_e32 v176 /*v432*/, v4, v171
	s_set_vgpr_msb 20                       ;  msbs: dst=0 src0=0 src1=1 src2=1
	v_add3_u32 v3, v3, v221 /*v477*/, v222 /*v478*/
	v_add3_u32 v5, v5, v181 /*v437*/, v182 /*v438*/
	s_set_vgpr_msb 0x41                     ;  msbs: dst=1 src0=1 src1=0 src2=0
	v_mul_i32_i24_e32 v221 /*v477*/, v206 /*v462*/, v212
	v_mul_i32_i24_e32 v222 /*v478*/, v207 /*v463*/, v207
	s_set_vgpr_msb 64                       ;  msbs: dst=1 src0=0 src1=0 src2=0
	v_mul_i32_i24_e32 v179 /*v435*/, v149, v171
	s_set_vgpr_msb 20                       ;  msbs: dst=0 src0=0 src1=1 src2=1
	v_add3_u32 v3, v3, v223 /*v479*/, v224 /*v480*/
	v_add3_u32 v5, v5, v183 /*v439*/, v186 /*v442*/
	s_set_vgpr_msb 0x41                     ;  msbs: dst=1 src0=1 src1=0 src2=0
	v_mul_i32_i24_e32 v223 /*v479*/, v208 /*v464*/, v213
	v_mul_i32_i24_e32 v224 /*v480*/, v209 /*v465*/, v216
	s_set_vgpr_msb 0x55                     ;  msbs: dst=1 src0=1 src1=1 src2=1
	v_add3_u32 v171 /*v427*/, v174 /*v430*/, v171 /*v427*/, v176 /*v432*/
	s_set_vgpr_msb 20                       ;  msbs: dst=0 src0=0 src1=1 src2=1
	v_add3_u32 v3, v3, v225 /*v481*/, v226 /*v482*/
	v_add3_u32 v5, v5, v187 /*v443*/, v194 /*v450*/
	s_set_vgpr_msb 0x41                     ;  msbs: dst=1 src0=1 src1=0 src2=0
	v_mul_i32_i24_e32 v225 /*v481*/, v210 /*v466*/, v217
	s_set_vgpr_msb 0x44                     ;  msbs: dst=1 src0=0 src1=1 src2=0
	v_mul_i32_i24_e32 v226 /*v482*/, v220, v211 /*v467*/
	s_set_vgpr_msb 0x41                     ;  msbs: dst=1 src0=1 src1=0 src2=0
	v_mul_lo_u32 v171 /*v427*/, v171 /*v427*/, v172
	s_set_vgpr_msb 20                       ;  msbs: dst=0 src0=0 src1=1 src2=1
	v_add3_u32 v3, v3, v227 /*v483*/, v228 /*v484*/
	v_add3_u32 v5, v5, v195 /*v451*/, v221 /*v477*/
	s_set_vgpr_msb 0x44                     ;  msbs: dst=1 src0=0 src1=1 src2=0
	v_mul_i32_i24_e32 v227 /*v483*/, v218, v196 /*v452*/
	v_mul_i32_i24_e32 v228 /*v484*/, v221, v212 /*v468*/
	;; [unrolled: 1-line block ×3, first 2 shown]
	s_set_vgpr_msb 20                       ;  msbs: dst=0 src0=0 src1=1 src2=1
	v_add3_u32 v3, v3, v229 /*v485*/, v230 /*v486*/
	v_add3_u32 v5, v5, v222 /*v478*/, v223 /*v479*/
	s_set_vgpr_msb 0x44                     ;  msbs: dst=1 src0=0 src1=1 src2=0
	v_mul_i32_i24_e32 v229 /*v485*/, v222, v213 /*v469*/
	v_mul_i32_i24_e32 v230 /*v486*/, v227, v214 /*v470*/
	s_set_vgpr_msb 64                       ;  msbs: dst=1 src0=0 src1=0 src2=0
	v_mul_i32_i24_e32 v176 /*v432*/, v117, v9
	s_set_vgpr_msb 20                       ;  msbs: dst=0 src0=0 src1=1 src2=1
	v_add3_u32 v3, v3, v231 /*v487*/, v232 /*v488*/
	v_add3_u32 v5, v5, v224 /*v480*/, v225 /*v481*/
	s_set_vgpr_msb 0x44                     ;  msbs: dst=1 src0=0 src1=1 src2=0
	v_mul_i32_i24_e32 v231 /*v487*/, v224, v197 /*v453*/
	v_mul_i32_i24_e32 v232 /*v488*/, v229, v215 /*v471*/
	s_set_vgpr_msb 0x41                     ;  msbs: dst=1 src0=1 src1=0 src2=0
	v_cvt_f32_i32_e32 v182 /*v438*/, v171 /*v427*/
	s_set_vgpr_msb 20                       ;  msbs: dst=0 src0=0 src1=1 src2=1
	v_add3_u32 v3, v3, v233 /*v489*/, v234 /*v490*/
	v_add3_u32 v5, v5, v226 /*v482*/, v227 /*v483*/
	s_set_vgpr_msb 0x44                     ;  msbs: dst=1 src0=0 src1=1 src2=0
	v_mul_i32_i24_e32 v233 /*v489*/, v230, v216 /*v472*/
	v_mul_i32_i24_e32 v234 /*v490*/, v236, v217 /*v473*/
	s_set_vgpr_msb 0x41                     ;  msbs: dst=1 src0=1 src1=0 src2=0
	v_mul_i32_i24_e32 v171 /*v427*/, v220 /*v476*/, v119
	s_set_vgpr_msb 20                       ;  msbs: dst=0 src0=0 src1=1 src2=1
	v_add3_u32 v3, v3, v235 /*v491*/, v236 /*v492*/
	v_add3_u32 v5, v5, v228 /*v484*/, v229 /*v485*/
	s_set_vgpr_msb 0x44                     ;  msbs: dst=1 src0=0 src1=1 src2=0
	v_mul_i32_i24_e32 v235 /*v491*/, v233, v198 /*v454*/
	s_set_vgpr_msb 0x41                     ;  msbs: dst=1 src0=1 src1=0 src2=0
	v_mul_i32_i24_e32 v236 /*v492*/, v218 /*v474*/, v239
	s_set_vgpr_msb 0x44                     ;  msbs: dst=1 src0=0 src1=1 src2=0
	v_pk_fma_f32 v[186:187] /*v[442:443]*/, v[104:105], v[190:191] /*v[446:447]*/, 0 op_sel_hi:[0,1,0]
	s_set_vgpr_msb 20                       ;  msbs: dst=0 src0=0 src1=1 src2=1
	v_add3_u32 v3, v3, v237 /*v493*/, v179 /*v435*/
	v_add3_u32 v5, v5, v230 /*v486*/, v231 /*v487*/
	s_set_vgpr_msb 64                       ;  msbs: dst=1 src0=0 src1=0 src2=0
	v_mul_i32_i24_e32 v181 /*v437*/, v34, v190
	v_mul_i32_i24_e32 v194 /*v450*/, v44, v204
	s_set_vgpr_msb 0x54                     ;  msbs: dst=1 src0=0 src1=1 src2=1
	v_pk_fma_f32 v[178:179] /*v[434:435]*/, v[106:107], v[184:185] /*v[440:441]*/, v[186:187] /*v[442:443]*/ op_sel_hi:[0,1,1]
	s_set_vgpr_msb 0                        ;  msbs: dst=0 src0=0 src1=0 src2=0
	v_mul_lo_u32 v3, v3, v172
	s_set_vgpr_msb 20                       ;  msbs: dst=0 src0=0 src1=1 src2=1
	v_add3_u32 v5, v5, v232 /*v488*/, v233 /*v489*/
	s_set_vgpr_msb 64                       ;  msbs: dst=1 src0=0 src1=0 src2=0
	v_mul_i32_i24_e32 v186 /*v442*/, v40, v196
	v_mul_i32_i24_e32 v187 /*v443*/, v42, v202
	s_set_vgpr_msb 0x41                     ;  msbs: dst=1 src0=1 src1=0 src2=0
	v_pk_mul_f32 v[178:179] /*v[434:435]*/, v[178:179] /*v[434:435]*/, v[98:99]
	s_set_vgpr_msb 64                       ;  msbs: dst=1 src0=0 src1=0 src2=0
	v_mul_i32_i24_e32 v195 /*v451*/, v209, v46
	s_set_vgpr_msb 20                       ;  msbs: dst=0 src0=0 src1=1 src2=1
	v_add3_u32 v5, v5, v234 /*v490*/, v235 /*v491*/
	s_set_vgpr_msb 64                       ;  msbs: dst=1 src0=0 src1=0 src2=0
	v_mul_i32_i24_e32 v221 /*v477*/, v205, v48
	v_mul_i32_i24_e32 v222 /*v478*/, v214, v52
	;; [unrolled: 1-line block ×4, first 2 shown]
	v_cvt_f32_i32_e32 v183 /*v439*/, v3
	s_set_vgpr_msb 0                        ;  msbs: dst=0 src0=0 src1=0 src2=0
	v_mul_i32_i24_e32 v3, v0, v119
	s_set_vgpr_msb 20                       ;  msbs: dst=0 src0=0 src1=1 src2=1
	v_add3_u32 v5, v5, v236 /*v492*/, v238 /*v494*/
	s_set_vgpr_msb 64                       ;  msbs: dst=1 src0=0 src1=0 src2=0
	v_mul_i32_i24_e32 v225 /*v481*/, v215, v141
	v_mul_i32_i24_e32 v226 /*v482*/, v225, v142
	s_set_vgpr_msb 0x45                     ;  msbs: dst=1 src0=1 src1=1 src2=0
	v_pk_fma_f32 v[182:183] /*v[438:439]*/, v[188:189] /*v[444:445]*/, v[182:183] /*v[438:439]*/, 0 op_sel_hi:[1,1,0]
	s_set_vgpr_msb 17                       ;  msbs: dst=0 src0=1 src1=0 src2=1
	v_add3_u32 v3, v177 /*v433*/, v3, v174 /*v430*/
	s_set_vgpr_msb 20                       ;  msbs: dst=0 src0=0 src1=1 src2=1
	v_add3_u32 v5, v5, v171 /*v427*/, v176 /*v432*/
	s_set_vgpr_msb 64                       ;  msbs: dst=1 src0=0 src1=0 src2=0
	v_mul_i32_i24_e32 v171 /*v427*/, v21, v178
	v_mul_i32_i24_e32 v174 /*v430*/, v25, v181
	;; [unrolled: 1-line block ×3, first 2 shown]
	s_set_vgpr_msb 0                        ;  msbs: dst=0 src0=0 src1=0 src2=0
	v_mul_lo_u32 v3, v3, v122
	v_mul_lo_u32 v5, v5, v122
	s_set_vgpr_msb 64                       ;  msbs: dst=1 src0=0 src1=0 src2=0
	v_mul_i32_i24_e32 v228 /*v484*/, v231, v144
	v_mul_i32_i24_e32 v229 /*v485*/, v226, v145
	;; [unrolled: 1-line block ×5, first 2 shown]
	s_set_vgpr_msb 0x45                     ;  msbs: dst=1 src0=1 src1=1 src2=0
	v_mul_i32_i24_e32 v233 /*v489*/, v219 /*v475*/, v11 /*v267*/
	s_set_vgpr_msb 64                       ;  msbs: dst=1 src0=0 src1=0 src2=0
	v_cvt_f32_i32_e32 v176 /*v432*/, v3
	v_cvt_f32_i32_e32 v177 /*v433*/, v5
	s_set_vgpr_msb 0                        ;  msbs: dst=0 src0=0 src1=0 src2=0
	v_mul_i32_i24_e32 v3, v18, v176
	v_mul_i32_i24_e32 v5, v20, v177
	s_set_vgpr_msb 0x55                     ;  msbs: dst=1 src0=1 src1=1 src2=1
	v_pk_fma_f32 v[176:177] /*v[432:433]*/, v[192:193] /*v[448:449]*/, v[176:177] /*v[432:433]*/, v[182:183] /*v[438:439]*/
	s_set_vgpr_msb 0                        ;  msbs: dst=0 src0=0 src1=0 src2=0
	v_mad_i32_i24 v3, v19, v175, v3
	s_set_vgpr_msb 64                       ;  msbs: dst=1 src0=0 src1=0 src2=0
	v_mul_i32_i24_e32 v182 /*v438*/, v36, v192
	v_mul_i32_i24_e32 v183 /*v439*/, v38, v194
	s_set_vgpr_msb 0x51                     ;  msbs: dst=1 src0=1 src1=0 src2=1
	v_pk_fma_f32 v[176:177] /*v[432:433]*/, v[176:177] /*v[432:433]*/, v[90:91], v[178:179] /*v[434:435]*/ neg_lo:[0,0,1] neg_hi:[0,0,1]
	s_set_vgpr_msb 16                       ;  msbs: dst=0 src0=0 src1=0 src2=1
	v_add3_u32 v3, v3, v5, v171 /*v427*/
	v_mul_i32_i24_e32 v5, v22, v179
	s_set_vgpr_msb 64                       ;  msbs: dst=1 src0=0 src1=0 src2=0
	v_mul_i32_i24_e32 v171 /*v427*/, v24, v180
	v_mul_i32_i24_e32 v178 /*v434*/, v29, v184
	s_set_vgpr_msb 4                        ;  msbs: dst=0 src0=0 src1=1 src2=0
	v_pk_add_f32 v[70:71], v[70:71], v[176:177] /*v[432:433]*/
	s_set_vgpr_msb 64                       ;  msbs: dst=1 src0=0 src1=0 src2=0
	v_mul_i32_i24_e32 v176 /*v432*/, v26, v182
	v_mul_i32_i24_e32 v177 /*v433*/, v28, v183
	s_set_vgpr_msb 16                       ;  msbs: dst=0 src0=0 src1=0 src2=1
	v_add3_u32 v3, v3, v5, v171 /*v427*/
	s_set_vgpr_msb 64                       ;  msbs: dst=1 src0=0 src1=0 src2=0
	v_mul_i32_i24_e32 v179 /*v435*/, v30, v185
	s_set_vgpr_msb 0                        ;  msbs: dst=0 src0=0 src1=0 src2=0
	v_mul_i32_i24_e32 v5, v150, v234
	s_set_vgpr_msb 64                       ;  msbs: dst=1 src0=0 src1=0 src2=0
	v_mul_i32_i24_e32 v171 /*v427*/, v152, v228
	s_set_vgpr_msb 20                       ;  msbs: dst=0 src0=0 src1=1 src2=1
	v_add3_u32 v3, v3, v174 /*v430*/, v176 /*v432*/
	s_set_vgpr_msb 64                       ;  msbs: dst=1 src0=0 src1=0 src2=0
	v_mul_i32_i24_e32 v174 /*v430*/, v153, v238
	s_set_vgpr_msb 0                        ;  msbs: dst=0 src0=0 src1=0 src2=0
	v_mad_i32_i24 v5, v151, v232, v5
	s_set_vgpr_msb 64                       ;  msbs: dst=1 src0=0 src1=0 src2=0
	v_mul_i32_i24_e32 v176 /*v432*/, v156, v235
	s_set_vgpr_msb 20                       ;  msbs: dst=0 src0=0 src1=1 src2=1
	v_add3_u32 v3, v3, v177 /*v433*/, v178 /*v434*/
	s_set_vgpr_msb 0x41                     ;  msbs: dst=1 src0=1 src1=0 src2=0
	v_mul_i32_i24_e32 v177 /*v433*/, v200 /*v456*/, v246
	s_set_vgpr_msb 20                       ;  msbs: dst=0 src0=0 src1=1 src2=1
	v_add3_u32 v5, v5, v171 /*v427*/, v174 /*v430*/
	s_set_vgpr_msb 64                       ;  msbs: dst=1 src0=0 src1=0 src2=0
	v_mul_i32_i24_e32 v171 /*v427*/, v154, v243
	v_mul_i32_i24_e32 v174 /*v430*/, v155, v244
	s_set_vgpr_msb 20                       ;  msbs: dst=0 src0=0 src1=1 src2=1
	v_add3_u32 v3, v3, v179 /*v435*/, v180 /*v436*/
	s_set_vgpr_msb 0x41                     ;  msbs: dst=1 src0=1 src1=0 src2=0
	v_mul_i32_i24_e32 v178 /*v434*/, v201 /*v457*/, v247
	v_mul_i32_i24_e32 v179 /*v435*/, v202 /*v458*/, v248
	;; [unrolled: 1-line block ×3, first 2 shown]
	s_set_vgpr_msb 20                       ;  msbs: dst=0 src0=0 src1=1 src2=1
	v_add3_u32 v5, v5, v171 /*v427*/, v174 /*v430*/
	v_add3_u32 v3, v3, v181 /*v437*/, v182 /*v438*/
	s_set_vgpr_msb 0x41                     ;  msbs: dst=1 src0=1 src1=0 src2=0
	v_mul_i32_i24_e32 v181 /*v437*/, v204 /*v460*/, v250
	v_mul_i32_i24_e32 v182 /*v438*/, v205 /*v461*/, v251
	s_set_vgpr_msb 64                       ;  msbs: dst=1 src0=0 src1=0 src2=0
	v_mul_i32_i24_e32 v174 /*v430*/, v149, v173
	s_set_vgpr_msb 20                       ;  msbs: dst=0 src0=0 src1=1 src2=1
	v_add3_u32 v5, v5, v176 /*v432*/, v177 /*v433*/
	v_add3_u32 v3, v3, v183 /*v439*/, v186 /*v442*/
	s_set_vgpr_msb 0x41                     ;  msbs: dst=1 src0=1 src1=0 src2=0
	v_mul_i32_i24_e32 v183 /*v439*/, v206 /*v462*/, v252
	v_mul_i32_i24_e32 v186 /*v442*/, v207 /*v463*/, v249
	s_set_vgpr_msb 64                       ;  msbs: dst=1 src0=0 src1=0 src2=0
	v_mul_i32_i24_e32 v171 /*v427*/, v4, v173
	s_set_vgpr_msb 20                       ;  msbs: dst=0 src0=0 src1=1 src2=1
	v_add3_u32 v5, v5, v178 /*v434*/, v179 /*v435*/
	v_add3_u32 v3, v3, v187 /*v443*/, v194 /*v450*/
	s_set_vgpr_msb 0x41                     ;  msbs: dst=1 src0=1 src1=0 src2=0
	v_mul_i32_i24_e32 v187 /*v443*/, v208 /*v464*/, v253
	v_mul_i32_i24_e32 v194 /*v450*/, v209 /*v465*/, v254
	s_set_vgpr_msb 17                       ;  msbs: dst=0 src0=1 src1=0 src2=1
	v_add3_u32 v6, v169 /*v425*/, v6, v171 /*v427*/
	s_set_vgpr_msb 20                       ;  msbs: dst=0 src0=0 src1=1 src2=1
	v_add3_u32 v5, v5, v180 /*v436*/, v181 /*v437*/
	v_add3_u32 v3, v3, v195 /*v451*/, v221 /*v477*/
	s_set_vgpr_msb 0x41                     ;  msbs: dst=1 src0=1 src1=0 src2=0
	v_mul_i32_i24_e32 v195 /*v451*/, v210 /*v466*/, v255
	s_set_vgpr_msb 0x45                     ;  msbs: dst=1 src0=1 src1=1 src2=0
	v_mul_i32_i24_e32 v221 /*v477*/, v1 /*v257*/, v211 /*v467*/
	s_set_vgpr_msb 0                        ;  msbs: dst=0 src0=0 src1=0 src2=0
	v_mul_lo_u32 v6, v6, v174
	s_set_vgpr_msb 20                       ;  msbs: dst=0 src0=0 src1=1 src2=1
	v_add3_u32 v5, v5, v182 /*v438*/, v183 /*v439*/
	v_add3_u32 v3, v3, v222 /*v478*/, v223 /*v479*/
	s_set_vgpr_msb 0x45                     ;  msbs: dst=1 src0=1 src1=1 src2=0
	v_mul_i32_i24_e32 v222 /*v478*/, v0 /*v256*/, v196 /*v452*/
	v_mul_i32_i24_e32 v223 /*v479*/, v2 /*v258*/, v212 /*v468*/
	s_set_vgpr_msb 0x44                     ;  msbs: dst=1 src0=0 src1=1 src2=0
	v_mul_i32_i24_e32 v169 /*v425*/, v123, v199 /*v455*/
	s_set_vgpr_msb 20                       ;  msbs: dst=0 src0=0 src1=1 src2=1
	v_add3_u32 v5, v5, v186 /*v442*/, v187 /*v443*/
	v_add3_u32 v3, v3, v224 /*v480*/, v225 /*v481*/
	s_set_vgpr_msb 0x45                     ;  msbs: dst=1 src0=1 src1=1 src2=0
	v_mul_i32_i24_e32 v224 /*v480*/, v3 /*v259*/, v213 /*v469*/
	v_mul_i32_i24_e32 v225 /*v481*/, v5 /*v261*/, v214 /*v470*/
	s_set_vgpr_msb 64                       ;  msbs: dst=1 src0=0 src1=0 src2=0
	v_mul_i32_i24_e32 v171 /*v427*/, v123, v9
	s_set_vgpr_msb 20                       ;  msbs: dst=0 src0=0 src1=1 src2=1
	v_add3_u32 v5, v5, v194 /*v450*/, v195 /*v451*/
	v_add3_u32 v3, v3, v226 /*v482*/, v227 /*v483*/
	s_set_vgpr_msb 0x45                     ;  msbs: dst=1 src0=1 src1=1 src2=0
	v_mul_i32_i24_e32 v226 /*v482*/, v4 /*v260*/, v197 /*v453*/
	v_mul_i32_i24_e32 v227 /*v483*/, v6 /*v262*/, v215 /*v471*/
	s_set_vgpr_msb 64                       ;  msbs: dst=1 src0=0 src1=0 src2=0
	v_cvt_f32_i32_e32 v176 /*v432*/, v6
	s_set_vgpr_msb 20                       ;  msbs: dst=0 src0=0 src1=1 src2=1
	v_add3_u32 v5, v5, v221 /*v477*/, v222 /*v478*/
	v_add3_u32 v3, v3, v228 /*v484*/, v229 /*v485*/
	s_set_vgpr_msb 0x45                     ;  msbs: dst=1 src0=1 src1=1 src2=0
	v_mul_i32_i24_e32 v228 /*v484*/, v7 /*v263*/, v216 /*v472*/
	v_mul_i32_i24_e32 v229 /*v485*/, v9 /*v265*/, v217 /*v473*/
	s_set_vgpr_msb 1                        ;  msbs: dst=0 src0=1 src1=0 src2=0
	v_mul_i32_i24_e32 v6, v220 /*v476*/, v166
	s_set_vgpr_msb 20                       ;  msbs: dst=0 src0=0 src1=1 src2=1
	v_add3_u32 v5, v5, v223 /*v479*/, v224 /*v480*/
	v_add3_u32 v3, v3, v230 /*v486*/, v231 /*v487*/
	s_set_vgpr_msb 0x45                     ;  msbs: dst=1 src0=1 src1=1 src2=0
	v_mul_i32_i24_e32 v230 /*v486*/, v8 /*v264*/, v198 /*v454*/
	v_mul_i32_i24_e32 v231 /*v487*/, v218 /*v474*/, v10 /*v266*/
	s_set_vgpr_msb 20                       ;  msbs: dst=0 src0=0 src1=1 src2=1
	v_mul_i32_i24_e32 v4, v4, v12 /*v268*/
	v_add3_u32 v5, v5, v225 /*v481*/, v226 /*v482*/
	v_add3_u32 v3, v3, v232 /*v488*/, v174 /*v430*/
	s_set_vgpr_msb 0                        ;  msbs: dst=0 src0=0 src1=0 src2=0
	v_mul_i32_i24_e32 v9, v168, v9
	s_set_vgpr_msb 0x44                     ;  msbs: dst=1 src0=0 src1=1 src2=0
	v_pk_fma_f32 v[178:179] /*v[434:435]*/, v[108:109], v[190:191] /*v[446:447]*/, 0 op_sel_hi:[0,1,0]
	s_set_vgpr_msb 0                        ;  msbs: dst=0 src0=0 src1=0 src2=0
	v_add3_u32 v1, v2, v1, v4
	s_set_vgpr_msb 20                       ;  msbs: dst=0 src0=0 src1=1 src2=1
	v_add3_u32 v5, v5, v227 /*v483*/, v228 /*v484*/
	s_set_vgpr_msb 0                        ;  msbs: dst=0 src0=0 src1=0 src2=0
	v_mul_lo_u32 v3, v3, v174
	s_set_vgpr_msb 0x54                     ;  msbs: dst=1 src0=0 src1=1 src2=1
	v_pk_fma_f32 v[174:175] /*v[430:431]*/, v[110:111], v[184:185] /*v[440:441]*/, v[178:179] /*v[434:435]*/ op_sel_hi:[0,1,1]
	s_set_vgpr_msb 20                       ;  msbs: dst=0 src0=0 src1=1 src2=1
	v_mul_lo_u32 v1, v1, v13 /*v269*/
	v_add3_u32 v5, v5, v229 /*v485*/, v230 /*v486*/
	s_set_vgpr_msb 0x41                     ;  msbs: dst=1 src0=1 src1=0 src2=0
	v_pk_mul_f32 v[174:175] /*v[430:431]*/, v[174:175] /*v[430:431]*/, v[100:101]
	s_set_vgpr_msb 20                       ;  msbs: dst=0 src0=0 src1=1 src2=1
	s_delay_alu instid0(VALU_DEP_2)
	v_add3_u32 v5, v5, v231 /*v487*/, v233 /*v489*/
	s_set_vgpr_msb 64                       ;  msbs: dst=1 src0=0 src1=0 src2=0
	v_cvt_f32_i32_e32 v177 /*v433*/, v3
	s_set_vgpr_msb 16                       ;  msbs: dst=0 src0=0 src1=0 src2=1
	v_mul_i32_i24_e32 v3, v0, v166
	v_mul_i32_i24_e32 v0, v0, v169
	v_add3_u32 v5, v5, v6, v171 /*v427*/
	s_set_vgpr_msb 4                        ;  msbs: dst=0 src0=0 src1=1 src2=0
	v_mul_i32_i24_e32 v6, v21, v17 /*v273*/
	v_mul_i32_i24_e32 v21, v29, v23 /*v279*/
	s_set_vgpr_msb 17                       ;  msbs: dst=0 src0=1 src1=0 src2=1
	v_add3_u32 v3, v172 /*v428*/, v3, v169 /*v425*/
	s_set_vgpr_msb 4                        ;  msbs: dst=0 src0=0 src1=1 src2=0
	v_mul_i32_i24_e32 v29, v40, v29 /*v285*/
	s_set_vgpr_msb 0                        ;  msbs: dst=0 src0=0 src1=0 src2=0
	v_mul_lo_u32 v5, v5, v167
	s_set_vgpr_msb 1                        ;  msbs: dst=0 src0=1 src1=0 src2=0
	v_mul_i32_i24_e32 v40, v34 /*v290*/, v53
	v_mul_i32_i24_e32 v53, v40 /*v296*/, v145
	s_set_vgpr_msb 0                        ;  msbs: dst=0 src0=0 src1=0 src2=0
	v_mul_lo_u32 v3, v3, v167
	s_set_vgpr_msb 0x45                     ;  msbs: dst=1 src0=1 src1=1 src2=0
	v_pk_fma_f32 v[176:177] /*v[432:433]*/, v[188:189] /*v[444:445]*/, v[176:177] /*v[432:433]*/, 0 op_sel_hi:[1,1,0]
	s_set_vgpr_msb 64                       ;  msbs: dst=1 src0=0 src1=0 src2=0
	v_cvt_f32_i32_e32 v173 /*v429*/, v5
	s_set_vgpr_msb 4                        ;  msbs: dst=0 src0=0 src1=1 src2=0
	v_mul_i32_i24_e32 v5, v20, v16 /*v272*/
	v_mul_i32_i24_e32 v20, v28, v22 /*v278*/
	s_set_vgpr_msb 64                       ;  msbs: dst=1 src0=0 src1=0 src2=0
	v_cvt_f32_i32_e32 v172 /*v428*/, v3
	s_set_vgpr_msb 4                        ;  msbs: dst=0 src0=0 src1=1 src2=0
	v_mul_i32_i24_e32 v3, v18, v15 /*v271*/
	v_mul_i32_i24_e32 v18, v25, v20 /*v276*/
	;; [unrolled: 1-line block ×4, first 2 shown]
	s_set_vgpr_msb 1                        ;  msbs: dst=0 src0=1 src1=0 src2=0
	v_mul_i32_i24_e32 v34, v33 /*v289*/, v46
	s_set_vgpr_msb 4                        ;  msbs: dst=0 src0=0 src1=1 src2=0
	v_mad_i32_i24 v3, v19, v14 /*v270*/, v3
	v_mul_i32_i24_e32 v19, v26, v21 /*v277*/
	v_mul_i32_i24_e32 v26, v36, v27 /*v283*/
	s_set_vgpr_msb 1                        ;  msbs: dst=0 src0=1 src1=0 src2=0
	v_mul_i32_i24_e32 v36, v32 /*v288*/, v48
	v_mul_i32_i24_e32 v38, v35 /*v291*/, v52
	s_set_vgpr_msb 0                        ;  msbs: dst=0 src0=0 src1=0 src2=0
	v_add3_u32 v3, v3, v5, v6
	s_set_vgpr_msb 4                        ;  msbs: dst=0 src0=0 src1=1 src2=0
	v_mul_i32_i24_e32 v5, v22, v18 /*v274*/
	v_mul_i32_i24_e32 v6, v24, v19 /*v275*/
	;; [unrolled: 1-line block ×6, first 2 shown]
	s_set_vgpr_msb 0                        ;  msbs: dst=0 src0=0 src1=0 src2=0
	v_add3_u32 v3, v3, v5, v6
	s_set_vgpr_msb 4                        ;  msbs: dst=0 src0=0 src1=1 src2=0
	v_mul_i32_i24_e32 v5, v150, v44 /*v300*/
	v_mul_i32_i24_e32 v6, v152, v41 /*v297*/
	s_set_vgpr_msb 1                        ;  msbs: dst=0 src0=1 src1=0 src2=0
	v_mul_i32_i24_e32 v42, v37 /*v293*/, v55
	v_mul_i32_i24_e32 v44, v36 /*v292*/, v141
	s_set_vgpr_msb 0                        ;  msbs: dst=0 src0=0 src1=0 src2=0
	v_add3_u32 v3, v3, v18, v19
	s_set_vgpr_msb 4                        ;  msbs: dst=0 src0=0 src1=1 src2=0
	v_mul_i32_i24_e32 v18, v153, v47 /*v303*/
	v_mad_i32_i24 v5, v151, v43 /*v299*/, v5
	v_mul_i32_i24_e32 v19, v156, v45 /*v301*/
	s_set_vgpr_msb 1                        ;  msbs: dst=0 src0=1 src1=0 src2=0
	v_mul_i32_i24_e32 v46, v39 /*v295*/, v142
	s_set_vgpr_msb 0                        ;  msbs: dst=0 src0=0 src1=0 src2=0
	v_add3_u32 v3, v3, v20, v21
	s_set_vgpr_msb 5                        ;  msbs: dst=0 src0=1 src1=1 src2=0
	v_mul_i32_i24_e32 v20, v200 /*v456*/, v53 /*v309*/
	s_set_vgpr_msb 0                        ;  msbs: dst=0 src0=0 src1=0 src2=0
	v_add3_u32 v5, v5, v6, v18
	s_set_vgpr_msb 4                        ;  msbs: dst=0 src0=0 src1=1 src2=0
	v_mul_i32_i24_e32 v6, v154, v50 /*v306*/
	v_mul_i32_i24_e32 v18, v155, v51 /*v307*/
	s_set_vgpr_msb 0                        ;  msbs: dst=0 src0=0 src1=0 src2=0
	v_add3_u32 v3, v3, v22, v24
	s_set_vgpr_msb 5                        ;  msbs: dst=0 src0=1 src1=1 src2=0
	v_mul_i32_i24_e32 v21, v201 /*v457*/, v54 /*v310*/
	v_mul_i32_i24_e32 v22, v202 /*v458*/, v55 /*v311*/
	;; [unrolled: 1-line block ×3, first 2 shown]
	s_set_vgpr_msb 0                        ;  msbs: dst=0 src0=0 src1=0 src2=0
	v_add3_u32 v5, v5, v6, v18
	v_add3_u32 v3, v3, v25, v26
	s_set_vgpr_msb 5                        ;  msbs: dst=0 src0=1 src1=1 src2=0
	v_mul_i32_i24_e32 v25, v204 /*v460*/, v57 /*v313*/
	v_mul_i32_i24_e32 v26, v205 /*v461*/, v58 /*v314*/
	s_set_vgpr_msb 1                        ;  msbs: dst=0 src0=1 src1=0 src2=0
	v_mul_i32_i24_e32 v48, v38 /*v294*/, v143
	s_set_vgpr_msb 0                        ;  msbs: dst=0 src0=0 src1=0 src2=0
	v_add3_u32 v5, v5, v19, v20
	v_add3_u32 v3, v3, v28, v29
	s_set_vgpr_msb 5                        ;  msbs: dst=0 src0=1 src1=1 src2=0
	v_mul_i32_i24_e32 v28, v206 /*v462*/, v59 /*v315*/
	v_mul_i32_i24_e32 v29, v207 /*v463*/, v56 /*v312*/
	s_set_vgpr_msb 1                        ;  msbs: dst=0 src0=1 src1=0 src2=0
	v_mul_i32_i24_e32 v52, v42 /*v298*/, v144
	s_set_vgpr_msb 0                        ;  msbs: dst=0 src0=0 src1=0 src2=0
	v_add3_u32 v5, v5, v21, v22
	v_add3_u32 v3, v3, v30, v32
	s_set_vgpr_msb 5                        ;  msbs: dst=0 src0=1 src1=1 src2=0
	v_mul_i32_i24_e32 v30, v208 /*v464*/, v60 /*v316*/
	v_mul_i32_i24_e32 v32, v209 /*v465*/, v61 /*v317*/
	s_set_vgpr_msb 4                        ;  msbs: dst=0 src0=0 src1=1 src2=0
	v_mul_i32_i24_e32 v55, v146, v46 /*v302*/
	s_set_vgpr_msb 0                        ;  msbs: dst=0 src0=0 src1=0 src2=0
	v_add3_u32 v5, v5, v24, v25
	v_add3_u32 v3, v3, v34, v36
	s_set_vgpr_msb 5                        ;  msbs: dst=0 src0=1 src1=1 src2=0
	v_mul_i32_i24_e32 v34, v210 /*v466*/, v62 /*v318*/
	v_mul_i32_i24_e32 v36, v64 /*v320*/, v211 /*v467*/
	s_set_vgpr_msb 4                        ;  msbs: dst=0 src0=0 src1=1 src2=0
	v_mul_i32_i24_e32 v141, v147, v48 /*v304*/
	;; [unrolled: 8-line block ×3, first 2 shown]
	s_set_vgpr_msb 0                        ;  msbs: dst=0 src0=0 src1=0 src2=0
	v_add3_u32 v5, v5, v29, v30
	v_add3_u32 v3, v3, v42, v44
	s_set_vgpr_msb 5                        ;  msbs: dst=0 src0=1 src1=1 src2=0
	v_mul_i32_i24_e32 v42, v66 /*v322*/, v213 /*v469*/
	v_mul_i32_i24_e32 v44, v68 /*v324*/, v214 /*v470*/
	;; [unrolled: 1-line block ×3, first 2 shown]
	s_set_vgpr_msb 0                        ;  msbs: dst=0 src0=0 src1=0 src2=0
	v_add3_u32 v5, v5, v32, v34
	v_add3_u32 v3, v3, v46, v48
	s_set_vgpr_msb 5                        ;  msbs: dst=0 src0=1 src1=1 src2=0
	v_mul_i32_i24_e32 v46, v67 /*v323*/, v197 /*v453*/
	v_mul_i32_i24_e32 v48, v69 /*v325*/, v215 /*v471*/
	s_set_vgpr_msb 4                        ;  msbs: dst=0 src0=0 src1=1 src2=0
	v_mul_i32_i24_e32 v18, v168, v199 /*v455*/
	s_set_vgpr_msb 0                        ;  msbs: dst=0 src0=0 src1=0 src2=0
	v_add3_u32 v5, v5, v36, v38
	v_add3_u32 v3, v3, v52, v53
	s_set_vgpr_msb 5                        ;  msbs: dst=0 src0=1 src1=1 src2=0
	v_mul_i32_i24_e32 v52, v70 /*v326*/, v216 /*v472*/
	v_mul_i32_i24_e32 v53, v72 /*v328*/, v217 /*v473*/
	s_set_vgpr_msb 0                        ;  msbs: dst=0 src0=0 src1=0 src2=0
	v_add3_u32 v0, v7, v0, v18
	v_add3_u32 v5, v5, v40, v42
	;; [unrolled: 1-line block ×3, first 2 shown]
	s_set_vgpr_msb 5                        ;  msbs: dst=0 src0=1 src1=1 src2=0
	v_mul_i32_i24_e32 v55, v71 /*v327*/, v198 /*v454*/
	v_mul_i32_i24_e32 v141, v218 /*v474*/, v73 /*v329*/
	s_set_vgpr_msb 0                        ;  msbs: dst=0 src0=0 src1=0 src2=0
	v_mul_lo_u32 v0, v0, v170
	v_add3_u32 v5, v5, v44, v46
	s_set_vgpr_msb 0x55                     ;  msbs: dst=1 src0=1 src1=1 src2=1
	v_pk_fma_f32 v[172:173] /*v[428:429]*/, v[192:193] /*v[448:449]*/, v[172:173] /*v[428:429]*/, v[176:177] /*v[432:433]*/
	s_set_vgpr_msb 0                        ;  msbs: dst=0 src0=0 src1=0 src2=0
	s_delay_alu instid0(VALU_DEP_2) | instskip(SKIP_1) | instid1(VALU_DEP_2)
	v_add3_u32 v5, v5, v48, v52
	s_set_vgpr_msb 0x51                     ;  msbs: dst=1 src0=1 src1=0 src2=1
	v_pk_fma_f32 v[172:173] /*v[428:429]*/, v[172:173] /*v[428:429]*/, v[92:93], v[174:175] /*v[430:431]*/ neg_lo:[0,0,1] neg_hi:[0,0,1]
	s_set_vgpr_msb 0                        ;  msbs: dst=0 src0=0 src1=0 src2=0
	s_delay_alu instid0(VALU_DEP_2)
	v_add3_u32 v6, v5, v53, v55
	s_set_vgpr_msb 4                        ;  msbs: dst=0 src0=0 src1=1 src2=0
	v_mul_i32_i24_e32 v5, v149, v12 /*v268*/
	v_cvt_f32_i32_e32 v0, v0
	v_pk_add_f32 v[78:79], v[78:79], v[172:173] /*v[428:429]*/
	s_set_vgpr_msb 0                        ;  msbs: dst=0 src0=0 src1=0 src2=0
	v_add3_u32 v6, v6, v141, v143
	v_add3_u32 v3, v3, v142, v5
	s_set_vgpr_msb 4                        ;  msbs: dst=0 src0=0 src1=1 src2=0
	v_pk_fma_f32 v[4:5], v[114:115], v[190:191] /*v[446:447]*/, 0 op_sel_hi:[0,1,0]
	s_delay_alu instid0(VALU_DEP_2) | instskip(NEXT) | instid1(VALU_DEP_1)
	v_mul_lo_u32 v2, v3, v13 /*v269*/
	v_cvt_f32_i32_e32 v3, v2
	v_cvt_f32_i32_e32 v2, v1
	s_set_vgpr_msb 1                        ;  msbs: dst=0 src0=1 src1=0 src2=0
	v_mul_i32_i24_e32 v1, v220 /*v476*/, v169
	s_delay_alu instid0(VALU_DEP_2) | instskip(SKIP_1) | instid1(VALU_DEP_2)
	v_pk_fma_f32 v[2:3], v[188:189] /*v[444:445]*/, v[2:3], 0 op_sel_hi:[1,1,0]
	s_set_vgpr_msb 0                        ;  msbs: dst=0 src0=0 src1=0 src2=0
	v_add3_u32 v1, v6, v1, v9
	s_delay_alu instid0(VALU_DEP_1) | instskip(NEXT) | instid1(VALU_DEP_1)
	v_mul_lo_u32 v1, v1, v170
	v_cvt_f32_i32_e32 v1, v1
	s_set_vgpr_msb 1                        ;  msbs: dst=0 src0=1 src1=0 src2=0
	s_delay_alu instid0(VALU_DEP_1) | instskip(SKIP_3) | instid1(VALU_DEP_1)
	v_pk_fma_f32 v[0:1], v[192:193] /*v[448:449]*/, v[0:1], v[2:3]
	s_set_vgpr_msb 4                        ;  msbs: dst=0 src0=0 src1=1 src2=0
	v_pk_fma_f32 v[2:3], v[112:113], v[184:185] /*v[440:441]*/, v[4:5] op_sel_hi:[0,1,1]
	s_set_vgpr_msb 0                        ;  msbs: dst=0 src0=0 src1=0 src2=0
	v_pk_mul_f32 v[2:3], v[2:3], v[102:103]
	s_delay_alu instid0(VALU_DEP_1) | instskip(NEXT) | instid1(VALU_DEP_1)
	v_pk_fma_f32 v[0:1], v[0:1], v[94:95], v[2:3] neg_lo:[0,0,1] neg_hi:[0,0,1]
	v_pk_add_f32 v[84:85], v[84:85], v[0:1]
	v_or_b32_e32 v0, s5, v133
	s_delay_alu instid0(VALU_DEP_1)
	v_dual_lshlrev_b32 v1, 2, v0 :: v_dual_lshrrev_b32 v5, 1, v0
	s_set_vgpr_msb 64                       ;  msbs: dst=1 src0=0 src1=0 src2=0
	ds_load_b128 v[168:171] /*v[424:427]*/, v1 offset:16896
	ds_load_b128 v[172:175] /*v[428:431]*/, v1 offset:16912
	;; [unrolled: 1-line block ×3, first 2 shown]
	s_set_vgpr_msb 0                        ;  msbs: dst=0 src0=0 src1=0 src2=0
	ds_load_b128 v[0:3], v1 offset:16944
	s_wait_dscnt 0x3
	s_set_vgpr_msb 1                        ;  msbs: dst=0 src0=1 src1=0 src2=0
	v_bfe_i32 v7, v168 /*v424*/, 0, 8
	v_bfe_i32 v9, v168 /*v424*/, 8, 8
	;; [unrolled: 1-line block ×3, first 2 shown]
	s_set_vgpr_msb 4                        ;  msbs: dst=0 src0=0 src1=1 src2=0
	v_dual_ashrrev_i32 v19, 24, v168 /*v424*/ :: v_dual_ashrrev_i32 v24, 24, v169 /*v425*/
	s_wait_dscnt 0x0
	s_set_vgpr_msb 64                       ;  msbs: dst=1 src0=0 src1=0 src2=0
	v_bfe_i32 v192 /*v448*/, v1, 0, 8
	v_bfe_i32 v193 /*v449*/, v1, 8, 8
	;; [unrolled: 1-line block ×3, first 2 shown]
	v_ashrrev_i32_e32 v195 /*v451*/, 24, v1
	s_set_vgpr_msb 4                        ;  msbs: dst=0 src0=0 src1=1 src2=0
	v_mul_i32_i24_e32 v1, v7, v110 /*v366*/
	s_set_vgpr_msb 1                        ;  msbs: dst=0 src0=1 src1=0 src2=0
	v_bfe_i32 v20, v169 /*v425*/, 0, 8
	v_bfe_i32 v21, v169 /*v425*/, 8, 8
	s_set_vgpr_msb 64                       ;  msbs: dst=1 src0=0 src1=0 src2=0
	v_bfe_i32 v196 /*v452*/, v2, 0, 8
	v_bfe_i32 v197 /*v453*/, v2, 8, 8
	;; [unrolled: 1-line block ×3, first 2 shown]
	v_ashrrev_i32_e32 v199 /*v455*/, 24, v2
	s_set_vgpr_msb 4                        ;  msbs: dst=0 src0=0 src1=1 src2=0
	v_mul_i32_i24_e32 v2, v18, v111 /*v367*/
	v_mul_i32_i24_e32 v6, v19, v112 /*v368*/
	v_mad_i32_i24 v1, v9, v109 /*v365*/, v1
	s_set_vgpr_msb 1                        ;  msbs: dst=0 src0=1 src1=0 src2=0
	v_bfe_i32 v22, v169 /*v425*/, 16, 8
	v_bfe_i32 v25, v170 /*v426*/, 0, 8
	;; [unrolled: 1-line block ×3, first 2 shown]
	s_set_vgpr_msb 4                        ;  msbs: dst=0 src0=0 src1=1 src2=0
	v_dual_ashrrev_i32 v29, 24, v170 /*v426*/ :: v_dual_ashrrev_i32 v36, 24, v171 /*v427*/
	s_set_vgpr_msb 0                        ;  msbs: dst=0 src0=0 src1=0 src2=0
	v_add3_u32 v1, v1, v2, v6
	s_set_vgpr_msb 4                        ;  msbs: dst=0 src0=0 src1=1 src2=0
	v_mul_i32_i24_e32 v2, v20, v113 /*v369*/
	v_mul_i32_i24_e32 v6, v21, v114 /*v370*/
	s_set_vgpr_msb 1                        ;  msbs: dst=0 src0=1 src1=0 src2=0
	v_bfe_i32 v30, v171 /*v427*/, 0, 8
	v_bfe_i32 v32, v171 /*v427*/, 8, 8
	;; [unrolled: 1-line block ×3, first 2 shown]
	s_set_vgpr_msb 0x44                     ;  msbs: dst=1 src0=0 src1=1 src2=0
	v_mul_i32_i24_e32 v169 /*v425*/, v22, v115 /*v371*/
	v_mul_i32_i24_e32 v171 /*v427*/, v24, v116 /*v372*/
	s_set_vgpr_msb 0                        ;  msbs: dst=0 src0=0 src1=0 src2=0
	v_add3_u32 v1, v1, v2, v6
	s_set_vgpr_msb 1                        ;  msbs: dst=0 src0=1 src1=0 src2=0
	v_bfe_i32 v28, v170 /*v426*/, 16, 8
	v_bfe_i32 v38, v172 /*v428*/, 0, 8
	;; [unrolled: 1-line block ×4, first 2 shown]
	s_set_vgpr_msb 4                        ;  msbs: dst=0 src0=0 src1=1 src2=0
	v_dual_ashrrev_i32 v44, 24, v172 /*v428*/ :: v_dual_ashrrev_i32 v53, 24, v173 /*v429*/
	s_set_vgpr_msb 1                        ;  msbs: dst=0 src0=1 src1=0 src2=0
	v_bfe_i32 v46, v173 /*v429*/, 0, 8
	v_bfe_i32 v48, v173 /*v429*/, 8, 8
	;; [unrolled: 1-line block ×3, first 2 shown]
	s_set_vgpr_msb 0x44                     ;  msbs: dst=1 src0=0 src1=1 src2=0
	v_mul_i32_i24_e32 v172 /*v428*/, v25, v117 /*v373*/
	v_mul_i32_i24_e32 v173 /*v429*/, v26, v118 /*v374*/
	s_set_vgpr_msb 20                       ;  msbs: dst=0 src0=0 src1=1 src2=1
	v_add3_u32 v1, v1, v169 /*v425*/, v171 /*v427*/
	s_set_vgpr_msb 1                        ;  msbs: dst=0 src0=1 src1=0 src2=0
	v_bfe_i32 v55, v174 /*v430*/, 0, 8
	v_bfe_i32 v141, v174 /*v430*/, 8, 8
	;; [unrolled: 1-line block ×3, first 2 shown]
	s_set_vgpr_msb 4                        ;  msbs: dst=0 src0=0 src1=1 src2=0
	v_dual_ashrrev_i32 v143, 24, v174 /*v430*/ :: v_dual_ashrrev_i32 v4, 24, v175 /*v431*/
	s_set_vgpr_msb 1                        ;  msbs: dst=0 src0=1 src1=0 src2=0
	v_bfe_i32 v144, v175 /*v431*/, 0, 8
	v_bfe_i32 v145, v175 /*v431*/, 8, 8
	;; [unrolled: 1-line block ×3, first 2 shown]
	s_set_vgpr_msb 0x44                     ;  msbs: dst=1 src0=0 src1=1 src2=0
	v_mul_i32_i24_e32 v174 /*v430*/, v28, v119 /*v375*/
	v_mul_i32_i24_e32 v175 /*v431*/, v29, v120 /*v376*/
	s_set_vgpr_msb 20                       ;  msbs: dst=0 src0=0 src1=1 src2=1
	v_add3_u32 v1, v1, v172 /*v428*/, v173 /*v429*/
	v_dual_ashrrev_i32 v150, 24, v176 /*v432*/ :: v_dual_ashrrev_i32 v154, 24, v177 /*v433*/
	s_set_vgpr_msb 1                        ;  msbs: dst=0 src0=1 src1=0 src2=0
	v_bfe_i32 v151, v177 /*v433*/, 0, 8
	v_bfe_i32 v152, v177 /*v433*/, 8, 8
	;; [unrolled: 1-line block ×5, first 2 shown]
	s_set_vgpr_msb 0x41                     ;  msbs: dst=1 src0=1 src1=0 src2=0
	v_bfe_i32 v168 /*v424*/, v178 /*v434*/, 16, 8
	s_set_vgpr_msb 0x44                     ;  msbs: dst=1 src0=0 src1=1 src2=0
	v_dual_ashrrev_i32 v170 /*v426*/, 24, v178 /*v434*/ :: v_dual_ashrrev_i32 v187 /*v443*/, 24, v179 /*v435*/
	v_mul_i32_i24_e32 v177 /*v433*/, v30, v121 /*v377*/
	v_mul_i32_i24_e32 v178 /*v434*/, v32, v122 /*v378*/
	s_set_vgpr_msb 20                       ;  msbs: dst=0 src0=0 src1=1 src2=1
	v_add3_u32 v1, v1, v174 /*v430*/, v175 /*v431*/
	s_set_vgpr_msb 0x41                     ;  msbs: dst=1 src0=1 src1=0 src2=0
	v_bfe_i32 v184 /*v440*/, v179 /*v435*/, 0, 8
	v_bfe_i32 v185 /*v441*/, v179 /*v435*/, 8, 8
	v_bfe_i32 v186 /*v442*/, v179 /*v435*/, 16, 8
	s_set_vgpr_msb 0x44                     ;  msbs: dst=1 src0=0 src1=1 src2=0
	v_mul_i32_i24_e32 v179 /*v435*/, v34, v123 /*v379*/
	v_mul_i32_i24_e32 v180 /*v436*/, v36, v124 /*v380*/
	s_set_vgpr_msb 20                       ;  msbs: dst=0 src0=0 src1=1 src2=1
	v_add3_u32 v1, v1, v177 /*v433*/, v178 /*v434*/
	s_set_vgpr_msb 0x44                     ;  msbs: dst=1 src0=0 src1=1 src2=0
	v_mul_i32_i24_e32 v181 /*v437*/, v38, v125 /*v381*/
	v_mul_i32_i24_e32 v182 /*v438*/, v40, v126 /*v382*/
	s_set_vgpr_msb 0x41                     ;  msbs: dst=1 src0=1 src1=0 src2=0
	v_mul_i32_i24_e32 v183 /*v439*/, v128 /*v384*/, v42
	v_mul_i32_i24_e32 v202 /*v458*/, v127 /*v383*/, v44
	s_set_vgpr_msb 20                       ;  msbs: dst=0 src0=0 src1=1 src2=1
	v_add3_u32 v1, v1, v179 /*v435*/, v180 /*v436*/
	s_set_vgpr_msb 0x41                     ;  msbs: dst=1 src0=1 src1=0 src2=0
	v_mul_i32_i24_e32 v203 /*v459*/, v130 /*v386*/, v46
	v_mul_i32_i24_e32 v204 /*v460*/, v129 /*v385*/, v48
	;; [unrolled: 1-line block ×4, first 2 shown]
	s_set_vgpr_msb 20                       ;  msbs: dst=0 src0=0 src1=1 src2=1
	v_add3_u32 v1, v1, v181 /*v437*/, v182 /*v438*/
	s_set_vgpr_msb 0x41                     ;  msbs: dst=1 src0=1 src1=0 src2=0
	v_mul_i32_i24_e32 v207 /*v463*/, v140 /*v396*/, v55
	v_mul_i32_i24_e32 v208 /*v464*/, v133 /*v389*/, v141
	;; [unrolled: 1-line block ×4, first 2 shown]
	s_set_vgpr_msb 20                       ;  msbs: dst=0 src0=0 src1=1 src2=1
	v_add3_u32 v1, v1, v183 /*v439*/, v202 /*v458*/
	s_set_vgpr_msb 1                        ;  msbs: dst=0 src0=1 src1=0 src2=0
	v_bfe_i32 v147, v176 /*v432*/, 0, 8
	s_set_vgpr_msb 0x44                     ;  msbs: dst=1 src0=0 src1=1 src2=0
	v_mul_i32_i24_e32 v211 /*v467*/, v144, v146 /*v402*/
	v_mul_i32_i24_e32 v212 /*v468*/, v145, v147 /*v403*/
	s_set_vgpr_msb 1                        ;  msbs: dst=0 src0=1 src1=0 src2=0
	v_bfe_i32 v148, v176 /*v432*/, 8, 8
	s_set_vgpr_msb 20                       ;  msbs: dst=0 src0=0 src1=1 src2=1
	v_add3_u32 v1, v1, v203 /*v459*/, v204 /*v460*/
	s_set_vgpr_msb 1                        ;  msbs: dst=0 src0=1 src1=0 src2=0
	v_bfe_i32 v149, v176 /*v432*/, 16, 8
	v_mul_i32_i24_e32 v6, v142 /*v398*/, v150
	s_set_vgpr_msb 0x41                     ;  msbs: dst=1 src0=1 src1=0 src2=0
	v_mul_i32_i24_e32 v169 /*v425*/, v151 /*v407*/, v153
	v_mul_i32_i24_e32 v171 /*v427*/, v134 /*v390*/, v154
	s_set_vgpr_msb 20                       ;  msbs: dst=0 src0=0 src1=1 src2=1
	v_add3_u32 v1, v1, v205 /*v461*/, v206 /*v462*/
	s_set_vgpr_msb 1                        ;  msbs: dst=0 src0=1 src1=0 src2=0
	v_mul_i32_i24_e32 v2, v150 /*v406*/, v149
	s_set_vgpr_msb 0x41                     ;  msbs: dst=1 src0=1 src1=0 src2=0
	v_mul_i32_i24_e32 v172 /*v428*/, v155 /*v411*/, v155
	v_mul_i32_i24_e32 v173 /*v429*/, v154 /*v410*/, v156
	s_set_vgpr_msb 0x45                     ;  msbs: dst=1 src0=1 src1=1 src2=0
	v_mul_i32_i24_e32 v174 /*v430*/, v153 /*v409*/, v168 /*v424*/
	s_set_vgpr_msb 20                       ;  msbs: dst=0 src0=0 src1=1 src2=1
	v_add3_u32 v1, v1, v207 /*v463*/, v208 /*v464*/
	s_set_vgpr_msb 0x45                     ;  msbs: dst=1 src0=1 src1=1 src2=0
	v_mul_i32_i24_e32 v175 /*v431*/, v135 /*v391*/, v170 /*v426*/
	v_mul_i32_i24_e32 v177 /*v433*/, v158 /*v414*/, v184 /*v440*/
	;; [unrolled: 1-line block ×3, first 2 shown]
	s_set_vgpr_msb 64                       ;  msbs: dst=1 src0=0 src1=0 src2=0
	v_bfe_i32 v188 /*v444*/, v0, 0, 8
	s_set_vgpr_msb 20                       ;  msbs: dst=0 src0=0 src1=1 src2=1
	v_add3_u32 v1, v1, v209 /*v465*/, v210 /*v466*/
	s_set_vgpr_msb 64                       ;  msbs: dst=1 src0=0 src1=0 src2=0
	v_bfe_i32 v189 /*v445*/, v0, 8, 8
	s_set_vgpr_msb 0x45                     ;  msbs: dst=1 src0=1 src1=1 src2=0
	v_mul_i32_i24_e32 v180 /*v436*/, v156 /*v412*/, v186 /*v442*/
	v_mul_i32_i24_e32 v183 /*v439*/, v136 /*v392*/, v187 /*v443*/
	s_set_vgpr_msb 0x54                     ;  msbs: dst=1 src0=0 src1=1 src2=1
	v_bfe_i32 v190 /*v446*/, v0, 16, 8
	v_add3_u32 v179 /*v435*/, v1, v211 /*v467*/, v212 /*v468*/
	s_set_vgpr_msb 0                        ;  msbs: dst=0 src0=0 src1=0 src2=0
	v_mul_i32_i24_e32 v1, v120, v147
	s_set_vgpr_msb 64                       ;  msbs: dst=1 src0=0 src1=0 src2=0
	v_ashrrev_i32_e32 v191 /*v447*/, 24, v0
	s_set_vgpr_msb 0x45                     ;  msbs: dst=1 src0=1 src1=1 src2=0
	v_mul_i32_i24_e32 v202 /*v458*/, v161 /*v417*/, v188 /*v444*/
	v_mul_i32_i24_e32 v203 /*v459*/, v160 /*v416*/, v189 /*v445*/
	;; [unrolled: 1-line block ×3, first 2 shown]
	s_set_vgpr_msb 1                        ;  msbs: dst=0 src0=1 src1=0 src2=0
	v_mad_i32_i24 v1, v149 /*v405*/, v148, v1
	s_set_vgpr_msb 0x45                     ;  msbs: dst=1 src0=1 src1=1 src2=0
	v_mul_i32_i24_e32 v205 /*v461*/, v137 /*v393*/, v191 /*v447*/
	v_mul_i32_i24_e32 v206 /*v462*/, v164 /*v420*/, v192 /*v448*/
	;; [unrolled: 1-line block ×4, first 2 shown]
	s_set_vgpr_msb 0                        ;  msbs: dst=0 src0=0 src1=0 src2=0
	v_add3_u32 v1, v1, v2, v6
	v_mul_i32_i24_e32 v2, v121, v151
	s_set_vgpr_msb 1                        ;  msbs: dst=0 src0=1 src1=0 src2=0
	v_mul_i32_i24_e32 v6, v152 /*v408*/, v152
	s_set_vgpr_msb 0x45                     ;  msbs: dst=1 src0=1 src1=1 src2=0
	v_mul_i32_i24_e32 v209 /*v465*/, v138 /*v394*/, v195 /*v451*/
	v_mul_i32_i24_e32 v210 /*v466*/, v167 /*v423*/, v196 /*v452*/
	;; [unrolled: 1-line block ×4, first 2 shown]
	s_set_vgpr_msb 0                        ;  msbs: dst=0 src0=0 src1=0 src2=0
	v_add3_u32 v1, v1, v2, v6
	s_set_vgpr_msb 0x45                     ;  msbs: dst=1 src0=1 src1=1 src2=0
	v_mul_i32_i24_e32 v213 /*v469*/, v139 /*v395*/, v199 /*v455*/
	s_set_vgpr_msb 4                        ;  msbs: dst=0 src0=0 src1=1 src2=0
	v_mul_i32_i24_e32 v2, v18, v82 /*v338*/
	v_mul_i32_i24_e32 v6, v19, v83 /*v339*/
	s_set_vgpr_msb 0x41                     ;  msbs: dst=1 src0=1 src1=0 src2=0
	v_mul_i32_i24_e32 v214 /*v470*/, v107 /*v363*/, v142
	s_set_vgpr_msb 20                       ;  msbs: dst=0 src0=0 src1=1 src2=1
	v_add3_u32 v1, v1, v169 /*v425*/, v171 /*v427*/
	s_set_vgpr_msb 0x44                     ;  msbs: dst=1 src0=0 src1=1 src2=0
	v_mul_i32_i24_e32 v169 /*v425*/, v22, v86 /*v342*/
	s_set_vgpr_msb 0x41                     ;  msbs: dst=1 src0=1 src1=0 src2=0
	v_mul_i32_i24_e32 v215 /*v471*/, v106 /*v362*/, v143
	s_set_vgpr_msb 0x44                     ;  msbs: dst=1 src0=0 src1=1 src2=0
	v_mul_i32_i24_e32 v216 /*v472*/, v144, v108 /*v364*/
	s_set_vgpr_msb 64                       ;  msbs: dst=1 src0=0 src1=0 src2=0
	v_mul_i32_i24_e32 v217 /*v473*/, v145, v195
	s_set_vgpr_msb 20                       ;  msbs: dst=0 src0=0 src1=1 src2=1
	v_add3_u32 v1, v1, v172 /*v428*/, v173 /*v429*/
	s_set_vgpr_msb 0x44                     ;  msbs: dst=1 src0=0 src1=1 src2=0
	v_mul_i32_i24_e32 v172 /*v428*/, v24, v87 /*v343*/
	v_mul_i32_i24_e32 v173 /*v429*/, v25, v88 /*v344*/
	;; [unrolled: 1-line block ×3, first 2 shown]
	s_set_vgpr_msb 64                       ;  msbs: dst=1 src0=0 src1=0 src2=0
	v_mul_i32_i24_e32 v219 /*v475*/, v231, v142
	s_set_vgpr_msb 20                       ;  msbs: dst=0 src0=0 src1=1 src2=1
	v_add3_u32 v1, v1, v174 /*v430*/, v175 /*v431*/
	s_set_vgpr_msb 0x44                     ;  msbs: dst=1 src0=0 src1=1 src2=0
	v_mul_i32_i24_e32 v174 /*v430*/, v26, v89 /*v345*/
	v_mul_i32_i24_e32 v175 /*v431*/, v28, v90 /*v346*/
	s_set_vgpr_msb 64                       ;  msbs: dst=1 src0=0 src1=0 src2=0
	v_mul_i32_i24_e32 v220 /*v476*/, v226, v143
	v_mul_i32_i24_e32 v221 /*v477*/, v144, v237
	s_set_vgpr_msb 20                       ;  msbs: dst=0 src0=0 src1=1 src2=1
	v_add3_u32 v1, v1, v177 /*v433*/, v178 /*v434*/
	s_set_vgpr_msb 0x44                     ;  msbs: dst=1 src0=0 src1=1 src2=0
	v_mul_i32_i24_e32 v177 /*v433*/, v29, v91 /*v347*/
	v_mul_i32_i24_e32 v178 /*v434*/, v30, v92 /*v348*/
	s_set_vgpr_msb 64                       ;  msbs: dst=1 src0=0 src1=0 src2=0
	v_mul_i32_i24_e32 v222 /*v478*/, v145, v240
	s_set_vgpr_msb 0x45                     ;  msbs: dst=1 src0=1 src1=1 src2=0
	v_mul_i32_i24_e32 v223 /*v479*/, v8 /*v264*/, v199 /*v455*/
	s_set_vgpr_msb 20                       ;  msbs: dst=0 src0=0 src1=1 src2=1
	v_add3_u32 v1, v1, v180 /*v436*/, v183 /*v439*/
	s_set_vgpr_msb 0x44                     ;  msbs: dst=1 src0=0 src1=1 src2=0
	v_mul_i32_i24_e32 v180 /*v436*/, v32, v93 /*v349*/
	v_bfe_i32 v200 /*v456*/, v3, 0, 8
	v_bfe_i32 v201 /*v457*/, v3, 8, 8
	v_mul_i32_i24_e32 v176 /*v432*/, v146, v148 /*v404*/
	s_set_vgpr_msb 20                       ;  msbs: dst=0 src0=0 src1=1 src2=1
	v_add3_u32 v1, v1, v202 /*v458*/, v203 /*v459*/
	s_set_vgpr_msb 0x44                     ;  msbs: dst=1 src0=0 src1=1 src2=0
	v_mul_i32_i24_e32 v202 /*v458*/, v34, v94 /*v350*/
	v_mul_i32_i24_e32 v203 /*v459*/, v36, v95 /*v351*/
	s_set_vgpr_msb 64                       ;  msbs: dst=1 src0=0 src1=0 src2=0
	v_mul_i32_i24_e32 v171 /*v427*/, v146, v197
	s_set_vgpr_msb 0x45                     ;  msbs: dst=1 src0=1 src1=1 src2=0
	v_mul_i32_i24_e32 v181 /*v437*/, v200 /*v456*/, v143 /*v399*/
	s_set_vgpr_msb 20                       ;  msbs: dst=0 src0=0 src1=1 src2=1
	v_add3_u32 v1, v1, v204 /*v460*/, v205 /*v461*/
	s_set_vgpr_msb 0x44                     ;  msbs: dst=1 src0=0 src1=1 src2=0
	v_mul_i32_i24_e32 v204 /*v460*/, v38, v96 /*v352*/
	v_mul_i32_i24_e32 v205 /*v461*/, v40, v97 /*v353*/
	s_set_vgpr_msb 0x45                     ;  msbs: dst=1 src0=1 src1=1 src2=0
	v_mul_i32_i24_e32 v182 /*v438*/, v201 /*v457*/, v145 /*v401*/
	s_set_vgpr_msb 20                       ;  msbs: dst=0 src0=0 src1=1 src2=1
	v_bfe_i32 v0, v3, 16, 8
	v_add3_u32 v1, v1, v206 /*v462*/, v207 /*v463*/
	s_set_vgpr_msb 0x41                     ;  msbs: dst=1 src0=1 src1=0 src2=0
	v_mul_i32_i24_e32 v206 /*v462*/, v99 /*v355*/, v42
	v_mul_i32_i24_e32 v207 /*v463*/, v98 /*v354*/, v44
	s_set_vgpr_msb 20                       ;  msbs: dst=0 src0=0 src1=1 src2=1
	v_add3_u32 v1, v1, v208 /*v464*/, v209 /*v465*/
	s_set_vgpr_msb 0x41                     ;  msbs: dst=1 src0=1 src1=0 src2=0
	v_mul_i32_i24_e32 v208 /*v464*/, v101 /*v357*/, v46
	v_mul_i32_i24_e32 v209 /*v465*/, v100 /*v356*/, v48
	s_set_vgpr_msb 20                       ;  msbs: dst=0 src0=0 src1=1 src2=1
	v_add3_u32 v1, v1, v210 /*v466*/, v211 /*v467*/
	s_set_vgpr_msb 0x41                     ;  msbs: dst=1 src0=1 src1=0 src2=0
	v_mul_i32_i24_e32 v210 /*v466*/, v103 /*v359*/, v52
	v_mul_i32_i24_e32 v211 /*v467*/, v102 /*v358*/, v53
	s_set_vgpr_msb 0x54                     ;  msbs: dst=1 src0=0 src1=1 src2=1
	v_add3_u32 v183 /*v439*/, v1, v212 /*v468*/, v213 /*v469*/
	s_set_vgpr_msb 4                        ;  msbs: dst=0 src0=0 src1=1 src2=0
	v_mul_i32_i24_e32 v1, v7, v81 /*v337*/
	s_set_vgpr_msb 0x41                     ;  msbs: dst=1 src0=1 src1=0 src2=0
	v_mul_i32_i24_e32 v212 /*v468*/, v105 /*v361*/, v55
	v_mul_i32_i24_e32 v213 /*v469*/, v104 /*v360*/, v141
	s_set_vgpr_msb 0x55                     ;  msbs: dst=1 src0=1 src1=1 src2=1
	v_add3_u32 v181 /*v437*/, v183 /*v439*/, v181 /*v437*/, v182 /*v438*/
	s_set_vgpr_msb 4                        ;  msbs: dst=0 src0=0 src1=1 src2=0
	v_mad_i32_i24 v1, v9, v80 /*v336*/, v1
	s_set_vgpr_msb 0                        ;  msbs: dst=0 src0=0 src1=0 src2=0
	s_delay_alu instid0(VALU_DEP_1) | instskip(SKIP_4) | instid1(VALU_DEP_1)
	v_add3_u32 v1, v1, v2, v6
	s_set_vgpr_msb 4                        ;  msbs: dst=0 src0=0 src1=1 src2=0
	v_mul_i32_i24_e32 v2, v20, v84 /*v340*/
	v_mul_i32_i24_e32 v6, v21, v85 /*v341*/
	s_set_vgpr_msb 0                        ;  msbs: dst=0 src0=0 src1=0 src2=0
	v_add3_u32 v1, v1, v2, v6
	v_mul_i32_i24_e32 v2, v149, v187
	v_mul_i32_i24_e32 v6, v150, v193
	s_set_vgpr_msb 20                       ;  msbs: dst=0 src0=0 src1=1 src2=1
	s_delay_alu instid0(VALU_DEP_3)
	v_add3_u32 v1, v1, v169 /*v425*/, v172 /*v428*/
	s_set_vgpr_msb 64                       ;  msbs: dst=1 src0=0 src1=0 src2=0
	v_mul_i32_i24_e32 v169 /*v425*/, v153, v191
	v_mul_i32_i24_e32 v172 /*v428*/, v154, v201
	s_set_vgpr_msb 20                       ;  msbs: dst=0 src0=0 src1=1 src2=1
	v_add3_u32 v1, v1, v173 /*v429*/, v174 /*v430*/
	s_set_vgpr_msb 64                       ;  msbs: dst=1 src0=0 src1=0 src2=0
	v_mul_i32_i24_e32 v173 /*v429*/, v155, v203
	s_set_vgpr_msb 20                       ;  msbs: dst=0 src0=0 src1=1 src2=1
	s_delay_alu instid0(VALU_DEP_2)
	v_add3_u32 v1, v1, v175 /*v431*/, v177 /*v433*/
	s_set_vgpr_msb 64                       ;  msbs: dst=1 src0=0 src1=0 src2=0
	v_mul_i32_i24_e32 v175 /*v431*/, v156, v206
	s_set_vgpr_msb 0x41                     ;  msbs: dst=1 src0=1 src1=0 src2=0
	v_mul_i32_i24_e32 v177 /*v433*/, v200 /*v456*/, v239
	s_set_vgpr_msb 20                       ;  msbs: dst=0 src0=0 src1=1 src2=1
	v_add3_u32 v1, v1, v178 /*v434*/, v180 /*v436*/
	s_set_vgpr_msb 0x41                     ;  msbs: dst=1 src0=1 src1=0 src2=0
	v_mul_i32_i24_e32 v180 /*v436*/, v168 /*v424*/, v200
	v_mul_i32_i24_e32 v178 /*v434*/, v201 /*v457*/, v241
	s_set_vgpr_msb 20                       ;  msbs: dst=0 src0=0 src1=1 src2=1
	v_add3_u32 v1, v1, v202 /*v458*/, v203 /*v459*/
	s_set_vgpr_msb 0x41                     ;  msbs: dst=1 src0=1 src1=0 src2=0
	v_mul_i32_i24_e32 v202 /*v458*/, v170 /*v426*/, v208
	;; [unrolled: 5-line block ×5, first 2 shown]
	s_set_vgpr_msb 0x44                     ;  msbs: dst=1 src0=0 src1=1 src2=0
	v_mul_i32_i24_e32 v209 /*v465*/, v220, v190 /*v446*/
	s_set_vgpr_msb 20                       ;  msbs: dst=0 src0=0 src1=1 src2=1
	v_add3_u32 v1, v1, v210 /*v466*/, v211 /*v467*/
	s_set_vgpr_msb 0x44                     ;  msbs: dst=1 src0=0 src1=1 src2=0
	v_mul_i32_i24_e32 v210 /*v466*/, v218, v191 /*v447*/
	v_mul_i32_i24_e32 v211 /*v467*/, v221, v192 /*v448*/
	s_set_vgpr_msb 20                       ;  msbs: dst=0 src0=0 src1=1 src2=1
	v_add3_u32 v1, v1, v212 /*v468*/, v213 /*v469*/
	s_set_vgpr_msb 0x44                     ;  msbs: dst=1 src0=0 src1=1 src2=0
	v_mul_i32_i24_e32 v212 /*v468*/, v222, v193 /*v449*/
	;; [unrolled: 5-line block ×3, first 2 shown]
	v_mul_i32_i24_e32 v215 /*v471*/, v229, v196 /*v452*/
	s_delay_alu instid0(VALU_DEP_3)
	v_add3_u32 v174 /*v430*/, v1, v216 /*v472*/, v217 /*v473*/
	s_set_vgpr_msb 0                        ;  msbs: dst=0 src0=0 src1=0 src2=0
	v_mul_i32_i24_e32 v1, v147, v189
	s_set_vgpr_msb 0x44                     ;  msbs: dst=1 src0=0 src1=1 src2=0
	v_mul_i32_i24_e32 v216 /*v472*/, v230, v197 /*v453*/
	v_mul_i32_i24_e32 v217 /*v473*/, v236, v198 /*v454*/
	s_set_vgpr_msb 0                        ;  msbs: dst=0 src0=0 src1=0 src2=0
	v_mad_i32_i24 v1, v148, v188, v1
	s_delay_alu instid0(VALU_DEP_1) | instskip(SKIP_2) | instid1(VALU_DEP_1)
	v_add3_u32 v1, v1, v2, v6
	v_mul_i32_i24_e32 v2, v151, v198
	v_mul_i32_i24_e32 v6, v152, v199
	v_add3_u32 v1, v1, v2, v6
	v_mul_i32_i24_e32 v2, v18, v177
	v_mul_i32_i24_e32 v6, v19, v178
	s_set_vgpr_msb 20                       ;  msbs: dst=0 src0=0 src1=1 src2=1
	s_delay_alu instid0(VALU_DEP_3)
	v_add3_u32 v1, v1, v169 /*v425*/, v172 /*v428*/
	s_set_vgpr_msb 64                       ;  msbs: dst=1 src0=0 src1=0 src2=0
	v_mul_i32_i24_e32 v169 /*v425*/, v21, v180
	v_mul_i32_i24_e32 v172 /*v428*/, v22, v181
	s_set_vgpr_msb 20                       ;  msbs: dst=0 src0=0 src1=1 src2=1
	v_add3_u32 v1, v1, v173 /*v429*/, v175 /*v431*/
	s_set_vgpr_msb 64                       ;  msbs: dst=1 src0=0 src1=0 src2=0
	v_mul_i32_i24_e32 v173 /*v429*/, v24, v182
	v_mul_i32_i24_e32 v175 /*v431*/, v25, v183
	s_set_vgpr_msb 20                       ;  msbs: dst=0 src0=0 src1=1 src2=1
	v_add3_u32 v1, v1, v180 /*v436*/, v202 /*v458*/
	s_set_vgpr_msb 64                       ;  msbs: dst=1 src0=0 src1=0 src2=0
	v_mul_i32_i24_e32 v202 /*v458*/, v26, v184
	s_set_vgpr_msb 20                       ;  msbs: dst=0 src0=0 src1=1 src2=1
	s_delay_alu instid0(VALU_DEP_2)
	v_add3_u32 v1, v1, v203 /*v459*/, v204 /*v460*/
	s_set_vgpr_msb 64                       ;  msbs: dst=1 src0=0 src1=0 src2=0
	v_mul_i32_i24_e32 v203 /*v459*/, v28, v185
	v_mul_i32_i24_e32 v204 /*v460*/, v29, v186
	s_set_vgpr_msb 20                       ;  msbs: dst=0 src0=0 src1=1 src2=1
	v_add3_u32 v1, v1, v205 /*v461*/, v206 /*v462*/
	s_set_vgpr_msb 64                       ;  msbs: dst=1 src0=0 src1=0 src2=0
	v_mul_i32_i24_e32 v205 /*v461*/, v30, v190
	v_mul_i32_i24_e32 v206 /*v462*/, v32, v192
	s_set_vgpr_msb 20                       ;  msbs: dst=0 src0=0 src1=1 src2=1
	;; [unrolled: 5-line block ×6, first 2 shown]
	v_add3_u32 v1, v1, v215 /*v471*/, v216 /*v472*/
	s_set_vgpr_msb 64                       ;  msbs: dst=1 src0=0 src1=0 src2=0
	v_mul_i32_i24_e32 v215 /*v471*/, v219, v52
	v_mul_i32_i24_e32 v216 /*v472*/, v215, v53
	s_set_vgpr_msb 0x54                     ;  msbs: dst=1 src0=0 src1=1 src2=1
	v_add3_u32 v180 /*v436*/, v1, v217 /*v473*/, v218 /*v474*/
	s_set_vgpr_msb 0                        ;  msbs: dst=0 src0=0 src1=0 src2=0
	v_mul_i32_i24_e32 v1, v7, v176
	s_set_vgpr_msb 64                       ;  msbs: dst=1 src0=0 src1=0 src2=0
	v_mul_i32_i24_e32 v217 /*v473*/, v225, v55
	v_mul_i32_i24_e32 v218 /*v474*/, v223, v141
	s_set_vgpr_msb 0x55                     ;  msbs: dst=1 src0=1 src1=1 src2=1
	v_add3_u32 v177 /*v433*/, v180 /*v436*/, v177 /*v433*/, v178 /*v434*/
	s_set_vgpr_msb 0                        ;  msbs: dst=0 src0=0 src1=0 src2=0
	v_mad_i32_i24 v1, v9, v175, v1
	s_delay_alu instid0(VALU_DEP_1) | instskip(SKIP_3) | instid1(VALU_DEP_2)
	v_add3_u32 v1, v1, v2, v6
	v_mul_i32_i24_e32 v2, v20, v179
	v_mul_i32_i24_e32 v6, v146, v242
	s_set_vgpr_msb 16                       ;  msbs: dst=0 src0=0 src1=0 src2=1
	v_add3_u32 v1, v1, v2, v169 /*v425*/
	v_mul_i32_i24_e32 v2, v149, v228
	s_set_vgpr_msb 20                       ;  msbs: dst=0 src0=0 src1=1 src2=1
	s_delay_alu instid0(VALU_DEP_2)
	v_add3_u32 v1, v1, v172 /*v428*/, v173 /*v429*/
	s_set_vgpr_msb 64                       ;  msbs: dst=1 src0=0 src1=0 src2=0
	v_mul_i32_i24_e32 v172 /*v428*/, v150, v238
	s_set_vgpr_msb 0x45                     ;  msbs: dst=1 src0=1 src1=1 src2=0
	v_mul_i32_i24_e32 v173 /*v429*/, v201 /*v457*/, v11 /*v267*/
	s_set_vgpr_msb 20                       ;  msbs: dst=0 src0=0 src1=1 src2=1
	v_add3_u32 v1, v1, v175 /*v431*/, v202 /*v458*/
	s_set_vgpr_msb 64                       ;  msbs: dst=1 src0=0 src1=0 src2=0
	v_mul_i32_i24_e32 v175 /*v431*/, v152, v244
	v_mul_i32_i24_e32 v202 /*v458*/, v153, v235
	s_set_vgpr_msb 20                       ;  msbs: dst=0 src0=0 src1=1 src2=1
	v_add3_u32 v1, v1, v203 /*v459*/, v204 /*v460*/
	s_set_vgpr_msb 64                       ;  msbs: dst=1 src0=0 src1=0 src2=0
	v_mul_i32_i24_e32 v203 /*v459*/, v154, v246
	v_mul_i32_i24_e32 v204 /*v460*/, v155, v247
	s_set_vgpr_msb 20                       ;  msbs: dst=0 src0=0 src1=1 src2=1
	v_add3_u32 v1, v1, v205 /*v461*/, v206 /*v462*/
	s_set_vgpr_msb 64                       ;  msbs: dst=1 src0=0 src1=0 src2=0
	v_mul_i32_i24_e32 v205 /*v461*/, v156, v248
	s_set_vgpr_msb 0x41                     ;  msbs: dst=1 src0=1 src1=0 src2=0
	v_mul_i32_i24_e32 v206 /*v462*/, v168 /*v424*/, v245
	s_set_vgpr_msb 20                       ;  msbs: dst=0 src0=0 src1=1 src2=1
	v_add3_u32 v1, v1, v207 /*v463*/, v208 /*v464*/
	s_set_vgpr_msb 0x41                     ;  msbs: dst=1 src0=1 src1=0 src2=0
	v_mul_i32_i24_e32 v207 /*v463*/, v170 /*v426*/, v250
	v_mul_i32_i24_e32 v208 /*v464*/, v184 /*v440*/, v251
	s_set_vgpr_msb 20                       ;  msbs: dst=0 src0=0 src1=1 src2=1
	v_add3_u32 v1, v1, v209 /*v465*/, v210 /*v466*/
	s_set_vgpr_msb 0x41                     ;  msbs: dst=1 src0=1 src1=0 src2=0
	v_mul_i32_i24_e32 v209 /*v465*/, v185 /*v441*/, v252
	;; [unrolled: 5-line block ×4, first 2 shown]
	s_set_vgpr_msb 0x45                     ;  msbs: dst=1 src0=1 src1=1 src2=0
	v_mul_i32_i24_e32 v214 /*v470*/, v1 /*v257*/, v190 /*v446*/
	s_set_vgpr_msb 20                       ;  msbs: dst=0 src0=0 src1=1 src2=1
	v_add3_u32 v1, v1, v215 /*v471*/, v216 /*v472*/
	s_set_vgpr_msb 0x45                     ;  msbs: dst=1 src0=1 src1=1 src2=0
	v_mul_i32_i24_e32 v215 /*v471*/, v0 /*v256*/, v191 /*v447*/
	v_mul_i32_i24_e32 v216 /*v472*/, v2 /*v258*/, v192 /*v448*/
	s_set_vgpr_msb 20                       ;  msbs: dst=0 src0=0 src1=1 src2=1
	v_add3_u32 v1, v1, v217 /*v473*/, v218 /*v474*/
	s_set_vgpr_msb 0x45                     ;  msbs: dst=1 src0=1 src1=1 src2=0
	v_mul_i32_i24_e32 v217 /*v473*/, v3 /*v259*/, v193 /*v449*/
	;; [unrolled: 5-line block ×3, first 2 shown]
	v_mul_i32_i24_e32 v220 /*v476*/, v6 /*v262*/, v196 /*v452*/
	s_set_vgpr_msb 0x54                     ;  msbs: dst=1 src0=0 src1=1 src2=1
	v_add3_u32 v169 /*v425*/, v1, v221 /*v477*/, v222 /*v478*/
	s_set_vgpr_msb 0                        ;  msbs: dst=0 src0=0 src1=0 src2=0
	v_mul_i32_i24_e32 v1, v147, v234
	s_set_vgpr_msb 0x45                     ;  msbs: dst=1 src0=1 src1=1 src2=0
	v_mul_i32_i24_e32 v221 /*v477*/, v7 /*v263*/, v197 /*v453*/
	v_mul_i32_i24_e32 v222 /*v478*/, v9 /*v265*/, v198 /*v454*/
	s_set_vgpr_msb 0                        ;  msbs: dst=0 src0=0 src1=0 src2=0
	v_mad_i32_i24 v1, v148, v232, v1
	s_set_vgpr_msb 16                       ;  msbs: dst=0 src0=0 src1=0 src2=1
	s_delay_alu instid0(VALU_DEP_1) | instskip(SKIP_4) | instid1(VALU_DEP_2)
	v_add3_u32 v1, v1, v2, v172 /*v428*/
	v_mul_i32_i24_e32 v2, v151, v243
	s_set_vgpr_msb 0x45                     ;  msbs: dst=1 src0=1 src1=1 src2=0
	v_mul_i32_i24_e32 v172 /*v428*/, v200 /*v456*/, v10 /*v266*/
	s_set_vgpr_msb 16                       ;  msbs: dst=0 src0=0 src1=0 src2=1
	v_add3_u32 v1, v1, v2, v175 /*v431*/
	s_set_vgpr_msb 20                       ;  msbs: dst=0 src0=0 src1=1 src2=1
	v_mul_i32_i24_e32 v2, v18, v16 /*v272*/
	v_mul_i32_i24_e32 v18, v22, v20 /*v276*/
	;; [unrolled: 1-line block ×4, first 2 shown]
	v_add3_u32 v1, v1, v202 /*v458*/, v203 /*v459*/
	s_set_vgpr_msb 1                        ;  msbs: dst=0 src0=1 src1=0 src2=0
	v_mul_i32_i24_e32 v34, v33 /*v289*/, v42
	v_mul_i32_i24_e32 v42, v37 /*v293*/, v52
	;; [unrolled: 1-line block ×3, first 2 shown]
	s_set_vgpr_msb 20                       ;  msbs: dst=0 src0=0 src1=1 src2=1
	v_add3_u32 v1, v1, v204 /*v460*/, v205 /*v461*/
	s_delay_alu instid0(VALU_DEP_1) | instskip(NEXT) | instid1(VALU_DEP_1)
	v_add3_u32 v1, v1, v206 /*v462*/, v207 /*v463*/
	v_add3_u32 v1, v1, v208 /*v464*/, v209 /*v465*/
	s_delay_alu instid0(VALU_DEP_1) | instskip(NEXT) | instid1(VALU_DEP_1)
	v_add3_u32 v1, v1, v210 /*v466*/, v211 /*v467*/
	;; [unrolled: 3-line block ×4, first 2 shown]
	v_add3_u32 v1, v1, v220 /*v476*/, v221 /*v477*/
	s_set_vgpr_msb 0x54                     ;  msbs: dst=1 src0=0 src1=1 src2=1
	s_delay_alu instid0(VALU_DEP_1)
	v_add3_u32 v175 /*v431*/, v1, v222 /*v478*/, v223 /*v479*/
	s_set_vgpr_msb 4                        ;  msbs: dst=0 src0=0 src1=1 src2=0
	v_mul_i32_i24_e32 v1, v7, v15 /*v271*/
	v_mul_i32_i24_e32 v7, v19, v17 /*v273*/
	;; [unrolled: 1-line block ×5, first 2 shown]
	v_mad_i32_i24 v1, v9, v14 /*v270*/, v1
	v_mul_i32_i24_e32 v9, v21, v19 /*v275*/
	v_mul_i32_i24_e32 v21, v26, v23 /*v279*/
	;; [unrolled: 1-line block ×4, first 2 shown]
	s_set_vgpr_msb 0                        ;  msbs: dst=0 src0=0 src1=0 src2=0
	v_add3_u32 v2, v1, v2, v7
	s_set_vgpr_msb 4                        ;  msbs: dst=0 src0=0 src1=1 src2=0
	v_mul_i32_i24_e32 v7, v20, v18 /*v274*/
	v_mul_i32_i24_e32 v20, v25, v22 /*v278*/
	;; [unrolled: 1-line block ×4, first 2 shown]
	s_set_vgpr_msb 1                        ;  msbs: dst=0 src0=1 src1=0 src2=0
	v_mul_i32_i24_e32 v36, v32 /*v288*/, v44
	s_set_vgpr_msb 0                        ;  msbs: dst=0 src0=0 src1=0 src2=0
	v_add3_u32 v2, v2, v7, v9
	s_set_vgpr_msb 4                        ;  msbs: dst=0 src0=0 src1=1 src2=0
	v_mul_i32_i24_e32 v7, v147, v44 /*v300*/
	v_mul_i32_i24_e32 v9, v149, v41 /*v297*/
	s_set_vgpr_msb 1                        ;  msbs: dst=0 src0=1 src1=0 src2=0
	v_mul_i32_i24_e32 v38, v35 /*v291*/, v46
	v_mul_i32_i24_e32 v40, v34 /*v290*/, v48
	s_set_vgpr_msb 0                        ;  msbs: dst=0 src0=0 src1=0 src2=0
	v_add3_u32 v2, v2, v18, v19
	s_set_vgpr_msb 4                        ;  msbs: dst=0 src0=0 src1=1 src2=0
	v_mul_i32_i24_e32 v18, v150, v47 /*v303*/
	v_mad_i32_i24 v7, v148, v43 /*v299*/, v7
	v_mul_i32_i24_e32 v19, v152, v51 /*v307*/
	s_set_vgpr_msb 1                        ;  msbs: dst=0 src0=1 src1=0 src2=0
	v_mul_i32_i24_e32 v44, v36 /*v292*/, v53
	s_set_vgpr_msb 0                        ;  msbs: dst=0 src0=0 src1=0 src2=0
	v_add3_u32 v2, v2, v20, v21
	s_set_vgpr_msb 4                        ;  msbs: dst=0 src0=0 src1=1 src2=0
	v_mul_i32_i24_e32 v20, v153, v45 /*v301*/
	s_set_vgpr_msb 0                        ;  msbs: dst=0 src0=0 src1=0 src2=0
	v_add3_u32 v9, v7, v9, v18
	s_set_vgpr_msb 4                        ;  msbs: dst=0 src0=0 src1=1 src2=0
	v_mul_i32_i24_e32 v18, v151, v50 /*v306*/
	v_mul_i32_i24_e32 v21, v154, v53 /*v309*/
	s_set_vgpr_msb 0                        ;  msbs: dst=0 src0=0 src1=0 src2=0
	v_add3_u32 v2, v2, v22, v24
	s_set_vgpr_msb 4                        ;  msbs: dst=0 src0=0 src1=1 src2=0
	v_mul_i32_i24_e32 v22, v155, v54 /*v310*/
	v_mul_i32_i24_e32 v24, v156, v55 /*v311*/
	s_set_vgpr_msb 0                        ;  msbs: dst=0 src0=0 src1=0 src2=0
	v_add3_u32 v9, v9, v18, v19
	s_set_vgpr_msb 1                        ;  msbs: dst=0 src0=1 src1=0 src2=0
	v_mul_i32_i24_e32 v46, v39 /*v295*/, v55
	s_set_vgpr_msb 0                        ;  msbs: dst=0 src0=0 src1=0 src2=0
	v_add3_u32 v2, v2, v25, v26
	s_set_vgpr_msb 5                        ;  msbs: dst=0 src0=1 src1=1 src2=0
	v_mul_i32_i24_e32 v25, v168 /*v424*/, v52 /*v308*/
	v_mul_i32_i24_e32 v26, v170 /*v426*/, v57 /*v313*/
	s_set_vgpr_msb 0                        ;  msbs: dst=0 src0=0 src1=0 src2=0
	v_add3_u32 v9, v9, v20, v21
	s_set_vgpr_msb 1                        ;  msbs: dst=0 src0=1 src1=0 src2=0
	v_mul_i32_i24_e32 v48, v38 /*v294*/, v141
	s_set_vgpr_msb 0                        ;  msbs: dst=0 src0=0 src1=0 src2=0
	v_add3_u32 v2, v2, v28, v29
	s_set_vgpr_msb 5                        ;  msbs: dst=0 src0=1 src1=1 src2=0
	v_mul_i32_i24_e32 v28, v184 /*v440*/, v58 /*v314*/
	v_mul_i32_i24_e32 v29, v185 /*v441*/, v59 /*v315*/
	;; [unrolled: 9-line block ×3, first 2 shown]
	s_set_vgpr_msb 0                        ;  msbs: dst=0 src0=0 src1=0 src2=0
	v_add3_u32 v9, v9, v25, v26
	s_set_vgpr_msb 4                        ;  msbs: dst=0 src0=0 src1=1 src2=0
	v_mul_i32_i24_e32 v55, v144, v46 /*v302*/
	s_set_vgpr_msb 0                        ;  msbs: dst=0 src0=0 src1=0 src2=0
	v_add3_u32 v2, v2, v34, v36
	s_set_vgpr_msb 5                        ;  msbs: dst=0 src0=1 src1=1 src2=0
	v_mul_i32_i24_e32 v34, v188 /*v444*/, v61 /*v317*/
	v_mul_i32_i24_e32 v36, v189 /*v445*/, v62 /*v318*/
	s_set_vgpr_msb 0                        ;  msbs: dst=0 src0=0 src1=0 src2=0
	v_add3_u32 v9, v9, v28, v29
	s_set_vgpr_msb 4                        ;  msbs: dst=0 src0=0 src1=1 src2=0
	v_mul_i32_i24_e32 v141, v145, v48 /*v304*/
	s_set_vgpr_msb 0                        ;  msbs: dst=0 src0=0 src1=0 src2=0
	v_add3_u32 v2, v2, v38, v40
	s_set_vgpr_msb 5                        ;  msbs: dst=0 src0=1 src1=1 src2=0
	v_mul_i32_i24_e32 v38, v64 /*v320*/, v190 /*v446*/
	v_mul_i32_i24_e32 v40, v63 /*v319*/, v191 /*v447*/
	s_set_vgpr_msb 0                        ;  msbs: dst=0 src0=0 src1=0 src2=0
	v_add3_u32 v9, v9, v30, v32
	s_set_vgpr_msb 4                        ;  msbs: dst=0 src0=0 src1=1 src2=0
	v_mul_i32_i24_e32 v1, v146, v49 /*v305*/
	s_set_vgpr_msb 0                        ;  msbs: dst=0 src0=0 src1=0 src2=0
	v_add3_u32 v2, v2, v42, v44
	s_set_vgpr_msb 5                        ;  msbs: dst=0 src0=1 src1=1 src2=0
	v_mul_i32_i24_e32 v42, v65 /*v321*/, v192 /*v448*/
	v_mul_i32_i24_e32 v44, v66 /*v322*/, v193 /*v449*/
	s_set_vgpr_msb 0                        ;  msbs: dst=0 src0=0 src1=0 src2=0
	v_add3_u32 v9, v9, v34, v36
	s_set_vgpr_msb 5                        ;  msbs: dst=0 src0=1 src1=1 src2=0
	v_mul_i32_i24_e32 v7, v200 /*v456*/, v73 /*v329*/
	s_set_vgpr_msb 0                        ;  msbs: dst=0 src0=0 src1=0 src2=0
	v_add3_u32 v2, v2, v46, v48
	s_set_vgpr_msb 5                        ;  msbs: dst=0 src0=1 src1=1 src2=0
	v_mul_i32_i24_e32 v46, v68 /*v324*/, v194 /*v450*/
	v_mul_i32_i24_e32 v48, v67 /*v323*/, v195 /*v451*/
	s_set_vgpr_msb 0                        ;  msbs: dst=0 src0=0 src1=0 src2=0
	v_add3_u32 v9, v9, v38, v40
	s_set_vgpr_msb 0x45                     ;  msbs: dst=1 src0=1 src1=1 src2=0
	v_mul_i32_i24_e32 v168 /*v424*/, v201 /*v457*/, v74 /*v330*/
	s_set_vgpr_msb 0                        ;  msbs: dst=0 src0=0 src1=0 src2=0
	v_add3_u32 v2, v2, v52, v53
	s_set_vgpr_msb 5                        ;  msbs: dst=0 src0=1 src1=1 src2=0
	v_mul_i32_i24_e32 v52, v69 /*v325*/, v196 /*v452*/
	v_mul_i32_i24_e32 v53, v70 /*v326*/, v197 /*v453*/
	s_set_vgpr_msb 0                        ;  msbs: dst=0 src0=0 src1=0 src2=0
	v_add3_u32 v9, v9, v42, v44
	s_set_vgpr_msb 0x55                     ;  msbs: dst=1 src0=1 src1=1 src2=1
	v_add3_u32 v172 /*v428*/, v175 /*v431*/, v172 /*v428*/, v173 /*v429*/
	s_set_vgpr_msb 0                        ;  msbs: dst=0 src0=0 src1=0 src2=0
	v_add3_u32 v2, v2, v55, v141
	s_set_vgpr_msb 5                        ;  msbs: dst=0 src0=1 src1=1 src2=0
	v_mul_i32_i24_e32 v55, v72 /*v328*/, v198 /*v454*/
	v_mul_i32_i24_e32 v141, v71 /*v327*/, v199 /*v455*/
	s_set_vgpr_msb 0                        ;  msbs: dst=0 src0=0 src1=0 src2=0
	v_add3_u32 v9, v9, v46, v48
	s_delay_alu instid0(VALU_DEP_1) | instskip(SKIP_1) | instid1(VALU_DEP_1)
	v_add3_u32 v9, v9, v52, v53
	s_set_vgpr_msb 64                       ;  msbs: dst=1 src0=0 src1=0 src2=0
	v_add3_u32 v170 /*v426*/, v9, v55, v141
	s_set_vgpr_msb 17                       ;  msbs: dst=0 src0=1 src1=0 src2=1
	v_or_b32_e32 v9, s5, v134
	s_delay_alu instid0(VALU_DEP_2) | instskip(NEXT) | instid1(VALU_DEP_2)
	v_add3_u32 v7, v170 /*v426*/, v7, v168 /*v424*/
	v_dual_lshlrev_b32 v18, 2, v9 :: v_dual_lshrrev_b32 v9, 1, v9
	s_set_vgpr_msb 64                       ;  msbs: dst=1 src0=0 src1=0 src2=0
	ds_load_b128 v[184:187] /*v[440:443]*/, v18 offset:16896
	ds_load_b128 v[188:191] /*v[444:447]*/, v18 offset:16912
	ds_load_b128 v[192:195] /*v[448:451]*/, v18 offset:16928
	ds_load_b128 v[196:199] /*v[452:455]*/, v18 offset:16944
	s_wait_dscnt 0x3
	s_set_vgpr_msb 1                        ;  msbs: dst=0 src0=1 src1=0 src2=0
	v_bfe_i32 v18, v184 /*v440*/, 0, 8
	v_bfe_i32 v19, v184 /*v440*/, 8, 8
	;; [unrolled: 1-line block ×3, first 2 shown]
	s_set_vgpr_msb 4                        ;  msbs: dst=0 src0=0 src1=1 src2=0
	v_dual_ashrrev_i32 v21, 24, v184 /*v440*/ :: v_dual_ashrrev_i32 v26, 24, v185 /*v441*/
	s_set_vgpr_msb 0x44                     ;  msbs: dst=1 src0=0 src1=1 src2=0
	v_mul_i32_i24_e32 v184 /*v440*/, v18, v110 /*v366*/
	s_set_vgpr_msb 1                        ;  msbs: dst=0 src0=1 src1=0 src2=0
	v_bfe_i32 v22, v185 /*v441*/, 0, 8
	v_bfe_i32 v24, v185 /*v441*/, 8, 8
	;; [unrolled: 1-line block ×6, first 2 shown]
	s_set_vgpr_msb 4                        ;  msbs: dst=0 src0=0 src1=1 src2=0
	v_dual_ashrrev_i32 v32, 24, v186 /*v442*/ :: v_dual_ashrrev_i32 v40, 24, v187 /*v443*/
	s_set_vgpr_msb 0x54                     ;  msbs: dst=1 src0=0 src1=1 src2=1
	v_mul_i32_i24_e32 v185 /*v441*/, v20, v111 /*v367*/
	v_mul_i32_i24_e32 v186 /*v442*/, v21, v112 /*v368*/
	v_mad_i32_i24 v184 /*v440*/, v19, v109 /*v365*/, v184 /*v440*/
	s_set_vgpr_msb 1                        ;  msbs: dst=0 src0=1 src1=0 src2=0
	v_bfe_i32 v34, v187 /*v443*/, 0, 8
	v_bfe_i32 v36, v187 /*v443*/, 8, 8
	;; [unrolled: 1-line block ×3, first 2 shown]
	s_wait_dscnt 0x2
	v_bfe_i32 v42, v188 /*v444*/, 0, 8
	s_set_vgpr_msb 0x55                     ;  msbs: dst=1 src0=1 src1=1 src2=1
	v_add3_u32 v184 /*v440*/, v184 /*v440*/, v185 /*v441*/, v186 /*v442*/
	s_set_vgpr_msb 0x44                     ;  msbs: dst=1 src0=0 src1=1 src2=0
	v_mul_i32_i24_e32 v185 /*v441*/, v22, v113 /*v369*/
	v_mul_i32_i24_e32 v186 /*v442*/, v24, v114 /*v370*/
	s_set_vgpr_msb 1                        ;  msbs: dst=0 src0=1 src1=0 src2=0
	v_bfe_i32 v44, v188 /*v444*/, 8, 8
	v_bfe_i32 v46, v188 /*v444*/, 16, 8
	s_set_vgpr_msb 4                        ;  msbs: dst=0 src0=0 src1=1 src2=0
	v_dual_ashrrev_i32 v48, 24, v188 /*v444*/ :: v_dual_ashrrev_i32 v141, 24, v189 /*v445*/
	s_set_vgpr_msb 0x44                     ;  msbs: dst=1 src0=0 src1=1 src2=0
	v_mul_i32_i24_e32 v187 /*v443*/, v25, v115 /*v371*/
	v_mul_i32_i24_e32 v188 /*v444*/, v26, v116 /*v372*/
	s_set_vgpr_msb 0x55                     ;  msbs: dst=1 src0=1 src1=1 src2=1
	v_add3_u32 v184 /*v440*/, v184 /*v440*/, v185 /*v441*/, v186 /*v442*/
	s_set_vgpr_msb 1                        ;  msbs: dst=0 src0=1 src1=0 src2=0
	v_bfe_i32 v52, v189 /*v445*/, 0, 8
	v_bfe_i32 v53, v189 /*v445*/, 8, 8
	;; [unrolled: 1-line block ×6, first 2 shown]
	s_set_vgpr_msb 4                        ;  msbs: dst=0 src0=0 src1=1 src2=0
	v_dual_ashrrev_i32 v145, 24, v190 /*v446*/ :: v_dual_ashrrev_i32 v149, 24, v191 /*v447*/
	s_set_vgpr_msb 0x44                     ;  msbs: dst=1 src0=0 src1=1 src2=0
	v_mul_i32_i24_e32 v189 /*v445*/, v28, v117 /*v373*/
	v_mul_i32_i24_e32 v190 /*v446*/, v29, v118 /*v374*/
	s_set_vgpr_msb 0x55                     ;  msbs: dst=1 src0=1 src1=1 src2=1
	v_add3_u32 v184 /*v440*/, v184 /*v440*/, v187 /*v443*/, v188 /*v444*/
	s_set_vgpr_msb 1                        ;  msbs: dst=0 src0=1 src1=0 src2=0
	v_bfe_i32 v146, v191 /*v447*/, 0, 8
	v_bfe_i32 v147, v191 /*v447*/, 8, 8
	;; [unrolled: 1-line block ×3, first 2 shown]
	s_wait_dscnt 0x1
	v_bfe_i32 v150, v192 /*v448*/, 0, 8
	v_bfe_i32 v151, v192 /*v448*/, 8, 8
	;; [unrolled: 1-line block ×3, first 2 shown]
	s_set_vgpr_msb 4                        ;  msbs: dst=0 src0=0 src1=1 src2=0
	v_ashrrev_i32_e32 v153, 24, v192 /*v448*/
	s_set_vgpr_msb 0x44                     ;  msbs: dst=1 src0=0 src1=1 src2=0
	v_mul_i32_i24_e32 v191 /*v447*/, v30, v119 /*v375*/
	v_mul_i32_i24_e32 v192 /*v448*/, v32, v120 /*v376*/
	s_set_vgpr_msb 0x55                     ;  msbs: dst=1 src0=1 src1=1 src2=1
	v_add3_u32 v184 /*v440*/, v184 /*v440*/, v189 /*v445*/, v190 /*v446*/
	s_set_vgpr_msb 1                        ;  msbs: dst=0 src0=1 src1=0 src2=0
	v_bfe_i32 v154, v193 /*v449*/, 0, 8
	v_bfe_i32 v155, v193 /*v449*/, 8, 8
	;; [unrolled: 1-line block ×3, first 2 shown]
	s_set_vgpr_msb 0x44                     ;  msbs: dst=1 src0=0 src1=1 src2=0
	v_dual_ashrrev_i32 v200 /*v456*/, 24, v193 /*v449*/ :: v_dual_ashrrev_i32 v204 /*v460*/, 24, v194 /*v450*/
	s_set_vgpr_msb 0x41                     ;  msbs: dst=1 src0=1 src1=0 src2=0
	v_bfe_i32 v201 /*v457*/, v194 /*v450*/, 0, 8
	v_bfe_i32 v202 /*v458*/, v194 /*v450*/, 8, 8
	v_bfe_i32 v203 /*v459*/, v194 /*v450*/, 16, 8
	s_set_vgpr_msb 0x44                     ;  msbs: dst=1 src0=0 src1=1 src2=0
	v_mul_i32_i24_e32 v193 /*v449*/, v34, v121 /*v377*/
	v_mul_i32_i24_e32 v194 /*v450*/, v36, v122 /*v378*/
	s_set_vgpr_msb 0x55                     ;  msbs: dst=1 src0=1 src1=1 src2=1
	v_add3_u32 v184 /*v440*/, v184 /*v440*/, v191 /*v447*/, v192 /*v448*/
	v_bfe_i32 v205 /*v461*/, v195 /*v451*/, 0, 8
	v_bfe_i32 v206 /*v462*/, v195 /*v451*/, 8, 8
	;; [unrolled: 1-line block ×3, first 2 shown]
	v_ashrrev_i32_e32 v208 /*v464*/, 24, v195 /*v451*/
	s_set_vgpr_msb 0x44                     ;  msbs: dst=1 src0=0 src1=1 src2=0
	v_mul_i32_i24_e32 v195 /*v451*/, v38, v123 /*v379*/
	v_mul_i32_i24_e32 v221 /*v477*/, v40, v124 /*v380*/
	s_set_vgpr_msb 0x55                     ;  msbs: dst=1 src0=1 src1=1 src2=1
	v_add3_u32 v184 /*v440*/, v184 /*v440*/, v193 /*v449*/, v194 /*v450*/
	s_set_vgpr_msb 0x44                     ;  msbs: dst=1 src0=0 src1=1 src2=0
	v_mul_i32_i24_e32 v222 /*v478*/, v42, v125 /*v381*/
	v_mul_i32_i24_e32 v223 /*v479*/, v44, v126 /*v382*/
	s_set_vgpr_msb 0x41                     ;  msbs: dst=1 src0=1 src1=0 src2=0
	v_mul_i32_i24_e32 v224 /*v480*/, v128 /*v384*/, v46
	v_mul_i32_i24_e32 v225 /*v481*/, v127 /*v383*/, v48
	s_set_vgpr_msb 0x55                     ;  msbs: dst=1 src0=1 src1=1 src2=1
	v_add3_u32 v184 /*v440*/, v184 /*v440*/, v195 /*v451*/, v221 /*v477*/
	s_set_vgpr_msb 0x41                     ;  msbs: dst=1 src0=1 src1=0 src2=0
	v_mul_i32_i24_e32 v226 /*v482*/, v130 /*v386*/, v52
	v_mul_i32_i24_e32 v227 /*v483*/, v129 /*v385*/, v53
	;; [unrolled: 1-line block ×4, first 2 shown]
	s_set_vgpr_msb 0x55                     ;  msbs: dst=1 src0=1 src1=1 src2=1
	v_add3_u32 v184 /*v440*/, v184 /*v440*/, v222 /*v478*/, v223 /*v479*/
	s_set_vgpr_msb 0x41                     ;  msbs: dst=1 src0=1 src1=0 src2=0
	v_mul_i32_i24_e32 v230 /*v486*/, v140 /*v396*/, v142
	v_mul_i32_i24_e32 v231 /*v487*/, v133 /*v389*/, v143
	;; [unrolled: 1-line block ×4, first 2 shown]
	s_set_vgpr_msb 0x55                     ;  msbs: dst=1 src0=1 src1=1 src2=1
	v_add3_u32 v184 /*v440*/, v184 /*v440*/, v224 /*v480*/, v225 /*v481*/
	s_set_vgpr_msb 0x44                     ;  msbs: dst=1 src0=0 src1=1 src2=0
	v_mul_i32_i24_e32 v234 /*v490*/, v146, v146 /*v402*/
	v_mul_i32_i24_e32 v235 /*v491*/, v147, v147 /*v403*/
	s_set_vgpr_msb 0x41                     ;  msbs: dst=1 src0=1 src1=0 src2=0
	v_mul_i32_i24_e32 v185 /*v441*/, v150 /*v406*/, v152
	v_mul_i32_i24_e32 v186 /*v442*/, v142 /*v398*/, v153
	s_set_vgpr_msb 0x55                     ;  msbs: dst=1 src0=1 src1=1 src2=1
	v_add3_u32 v184 /*v440*/, v184 /*v440*/, v226 /*v482*/, v227 /*v483*/
	s_set_vgpr_msb 0x41                     ;  msbs: dst=1 src0=1 src1=0 src2=0
	v_mul_i32_i24_e32 v187 /*v443*/, v151 /*v407*/, v156
	s_set_vgpr_msb 0x55                     ;  msbs: dst=1 src0=1 src1=1 src2=1
	v_mul_i32_i24_e32 v188 /*v444*/, v134 /*v390*/, v200 /*v456*/
	v_mul_i32_i24_e32 v189 /*v445*/, v155 /*v411*/, v201 /*v457*/
	;; [unrolled: 1-line block ×3, first 2 shown]
	v_add3_u32 v184 /*v440*/, v184 /*v440*/, v228 /*v484*/, v229 /*v485*/
	v_mul_i32_i24_e32 v191 /*v447*/, v153 /*v409*/, v203 /*v459*/
	v_mul_i32_i24_e32 v192 /*v448*/, v135 /*v391*/, v204 /*v460*/
	v_mul_i32_i24_e32 v193 /*v449*/, v158 /*v414*/, v205 /*v461*/
	v_mul_i32_i24_e32 v195 /*v451*/, v157 /*v413*/, v206 /*v462*/
	v_add3_u32 v184 /*v440*/, v184 /*v440*/, v230 /*v486*/, v231 /*v487*/
	s_wait_dscnt 0x0
	v_bfe_i32 v209 /*v465*/, v196 /*v452*/, 0, 8
	v_bfe_i32 v210 /*v466*/, v196 /*v452*/, 8, 8
	;; [unrolled: 1-line block ×3, first 2 shown]
	v_ashrrev_i32_e32 v196 /*v452*/, 24, v196 /*v452*/
	v_add3_u32 v184 /*v440*/, v184 /*v440*/, v232 /*v488*/, v233 /*v489*/
	v_mul_i32_i24_e32 v221 /*v477*/, v156 /*v412*/, v207 /*v463*/
	v_mul_i32_i24_e32 v222 /*v478*/, v136 /*v392*/, v208 /*v464*/
	;; [unrolled: 1-line block ×4, first 2 shown]
	v_add3_u32 v194 /*v450*/, v184 /*v440*/, v234 /*v490*/, v235 /*v491*/
	s_set_vgpr_msb 64                       ;  msbs: dst=1 src0=0 src1=0 src2=0
	v_mul_i32_i24_e32 v184 /*v440*/, v120, v150
	s_set_vgpr_msb 0x45                     ;  msbs: dst=1 src0=1 src1=1 src2=0
	v_bfe_i32 v212 /*v468*/, v197 /*v453*/, 0, 8
	v_bfe_i32 v213 /*v469*/, v197 /*v453*/, 8, 8
	v_mul_i32_i24_e32 v225 /*v481*/, v159 /*v415*/, v211 /*v467*/
	v_mul_i32_i24_e32 v226 /*v482*/, v137 /*v393*/, v196 /*v452*/
	s_set_vgpr_msb 0x51                     ;  msbs: dst=1 src0=1 src1=0 src2=1
	v_mad_i32_i24 v184 /*v440*/, v149 /*v405*/, v151, v184 /*v440*/
	v_bfe_i32 v214 /*v470*/, v197 /*v453*/, 16, 8
	s_set_vgpr_msb 0x55                     ;  msbs: dst=1 src0=1 src1=1 src2=1
	v_ashrrev_i32_e32 v197 /*v453*/, 24, v197 /*v453*/
	v_mul_i32_i24_e32 v227 /*v483*/, v164 /*v420*/, v212 /*v468*/
	v_mul_i32_i24_e32 v228 /*v484*/, v163 /*v419*/, v213 /*v469*/
	v_add3_u32 v184 /*v440*/, v184 /*v440*/, v185 /*v441*/, v186 /*v442*/
	s_set_vgpr_msb 64                       ;  msbs: dst=1 src0=0 src1=0 src2=0
	v_mul_i32_i24_e32 v185 /*v441*/, v121, v154
	s_set_vgpr_msb 0x41                     ;  msbs: dst=1 src0=1 src1=0 src2=0
	v_mul_i32_i24_e32 v186 /*v442*/, v152 /*v408*/, v155
	v_bfe_i32 v215 /*v471*/, v198 /*v454*/, 0, 8
	v_bfe_i32 v216 /*v472*/, v198 /*v454*/, 8, 8
	;; [unrolled: 1-line block ×3, first 2 shown]
	s_set_vgpr_msb 0x55                     ;  msbs: dst=1 src0=1 src1=1 src2=1
	v_ashrrev_i32_e32 v198 /*v454*/, 24, v198 /*v454*/
	v_add3_u32 v184 /*v440*/, v184 /*v440*/, v185 /*v441*/, v186 /*v442*/
	v_mul_i32_i24_e32 v229 /*v485*/, v162 /*v418*/, v214 /*v470*/
	v_mul_i32_i24_e32 v230 /*v486*/, v138 /*v394*/, v197 /*v453*/
	;; [unrolled: 1-line block ×4, first 2 shown]
	v_add3_u32 v184 /*v440*/, v184 /*v440*/, v187 /*v443*/, v188 /*v444*/
	v_mul_i32_i24_e32 v233 /*v489*/, v165 /*v421*/, v217 /*v473*/
	v_mul_i32_i24_e32 v234 /*v490*/, v139 /*v395*/, v198 /*v454*/
	v_bfe_i32 v218 /*v474*/, v199 /*v455*/, 0, 8
	v_bfe_i32 v219 /*v475*/, v199 /*v455*/, 8, 8
	v_add3_u32 v184 /*v440*/, v184 /*v440*/, v189 /*v445*/, v190 /*v446*/
	v_bfe_i32 v220 /*v476*/, v199 /*v455*/, 16, 8
	s_set_vgpr_msb 0x44                     ;  msbs: dst=1 src0=0 src1=1 src2=0
	v_mul_i32_i24_e32 v236 /*v492*/, v148, v148 /*v404*/
	s_set_vgpr_msb 0x55                     ;  msbs: dst=1 src0=1 src1=1 src2=1
	v_mul_i32_i24_e32 v235 /*v491*/, v218 /*v474*/, v143 /*v399*/
	v_mul_i32_i24_e32 v237 /*v493*/, v219 /*v475*/, v145 /*v401*/
	v_add3_u32 v184 /*v440*/, v184 /*v440*/, v191 /*v447*/, v192 /*v448*/
	s_set_vgpr_msb 0x41                     ;  msbs: dst=1 src0=1 src1=0 src2=0
	v_mul_i32_i24_e32 v238 /*v494*/, v219 /*v475*/, v241
	s_set_vgpr_msb 64                       ;  msbs: dst=1 src0=0 src1=0 src2=0
	v_mul_i32_i24_e32 v180 /*v436*/, v32, v186
	s_set_vgpr_msb 0x55                     ;  msbs: dst=1 src0=1 src1=1 src2=1
	v_add3_u32 v184 /*v440*/, v184 /*v440*/, v193 /*v449*/, v195 /*v451*/
	s_delay_alu instid0(VALU_DEP_1) | instskip(SKIP_3) | instid1(VALU_DEP_2)
	v_add3_u32 v184 /*v440*/, v184 /*v440*/, v221 /*v477*/, v222 /*v478*/
	s_set_vgpr_msb 0x44                     ;  msbs: dst=1 src0=0 src1=1 src2=0
	v_mul_i32_i24_e32 v222 /*v478*/, v40, v95 /*v351*/
	s_set_vgpr_msb 0x55                     ;  msbs: dst=1 src0=1 src1=1 src2=1
	v_add3_u32 v184 /*v440*/, v184 /*v440*/, v223 /*v479*/, v224 /*v480*/
	s_set_vgpr_msb 0x44                     ;  msbs: dst=1 src0=0 src1=1 src2=0
	v_mul_i32_i24_e32 v223 /*v479*/, v42, v96 /*v352*/
	v_mul_i32_i24_e32 v224 /*v480*/, v44, v97 /*v353*/
	s_set_vgpr_msb 0x55                     ;  msbs: dst=1 src0=1 src1=1 src2=1
	v_add3_u32 v184 /*v440*/, v184 /*v440*/, v225 /*v481*/, v226 /*v482*/
	s_set_vgpr_msb 0x41                     ;  msbs: dst=1 src0=1 src1=0 src2=0
	v_mul_i32_i24_e32 v225 /*v481*/, v99 /*v355*/, v46
	v_mul_i32_i24_e32 v226 /*v482*/, v98 /*v354*/, v48
	s_set_vgpr_msb 0x55                     ;  msbs: dst=1 src0=1 src1=1 src2=1
	v_add3_u32 v184 /*v440*/, v184 /*v440*/, v227 /*v483*/, v228 /*v484*/
	s_set_vgpr_msb 0x41                     ;  msbs: dst=1 src0=1 src1=0 src2=0
	v_mul_i32_i24_e32 v227 /*v483*/, v101 /*v357*/, v52
	v_mul_i32_i24_e32 v228 /*v484*/, v100 /*v356*/, v53
	;; [unrolled: 5-line block ×4, first 2 shown]
	s_set_vgpr_msb 0x55                     ;  msbs: dst=1 src0=1 src1=1 src2=1
	v_add3_u32 v221 /*v477*/, v184 /*v440*/, v233 /*v489*/, v234 /*v490*/
	s_set_vgpr_msb 64                       ;  msbs: dst=1 src0=0 src1=0 src2=0
	ds_load_b64 v[184:185] /*v[440:441]*/, v5 offset:27200
	ds_load_b64 v[186:187] /*v[442:443]*/, v9 offset:27200
	s_set_vgpr_msb 0x41                     ;  msbs: dst=1 src0=1 src1=0 src2=0
	v_mul_i32_i24_e32 v233 /*v489*/, v107 /*v363*/, v144
	v_mul_i32_i24_e32 v234 /*v490*/, v106 /*v362*/, v145
	s_set_vgpr_msb 0x55                     ;  msbs: dst=1 src0=1 src1=1 src2=1
	v_add3_u32 v182 /*v438*/, v221 /*v477*/, v235 /*v491*/, v237 /*v493*/
	s_set_vgpr_msb 0x44                     ;  msbs: dst=1 src0=0 src1=1 src2=0
	v_mul_i32_i24_e32 v221 /*v477*/, v38, v94 /*v350*/
	v_mul_i32_i24_e32 v235 /*v491*/, v146, v108 /*v364*/
	s_set_vgpr_msb 64                       ;  msbs: dst=1 src0=0 src1=0 src2=0
	v_mul_i32_i24_e32 v237 /*v493*/, v148, v197
	s_wait_dscnt 0x0
	s_set_vgpr_msb 4                        ;  msbs: dst=0 src0=0 src1=1 src2=0
	v_dual_lshrrev_b32 v5, 16, v184 /*v440*/ :: v_dual_lshrrev_b32 v9, 16, v186 /*v442*/
	s_set_vgpr_msb 0x41                     ;  msbs: dst=1 src0=1 src1=0 src2=0
	v_cvt_f32_f16_e64 v188 /*v444*/, v184 /*v440*/
	v_cvt_f32_f16_e64 v192 /*v448*/, v185 /*v441*/
	;; [unrolled: 1-line block ×4, first 2 shown]
	s_set_vgpr_msb 64                       ;  msbs: dst=1 src0=0 src1=0 src2=0
	v_cvt_f32_f16_e64 v191 /*v447*/, v9
	s_set_vgpr_msb 4                        ;  msbs: dst=0 src0=0 src1=1 src2=0
	v_ashrrev_i32_e32 v9, 24, v199 /*v455*/
	s_set_vgpr_msb 64                       ;  msbs: dst=1 src0=0 src1=0 src2=0
	v_cvt_f32_f16_e64 v190 /*v446*/, v5
	v_ashrrev_i32_e32 v199 /*v455*/, 24, v3
	s_set_vgpr_msb 4                        ;  msbs: dst=0 src0=0 src1=1 src2=0
	v_dual_lshrrev_b32 v3, 16, v185 /*v441*/ :: v_dual_lshrrev_b32 v5, 16, v187 /*v443*/
	s_set_vgpr_msb 64                       ;  msbs: dst=1 src0=0 src1=0 src2=0
	s_delay_alu instid0(VALU_DEP_1) | instskip(NEXT) | instid1(VALU_DEP_2)
	v_cvt_f32_f16_e64 v184 /*v440*/, v3
	v_cvt_f32_f16_e64 v185 /*v441*/, v5
	s_set_vgpr_msb 4                        ;  msbs: dst=0 src0=0 src1=1 src2=0
	v_mul_i32_i24_e32 v3, v4, v75 /*v331*/
	v_mul_i32_i24_e32 v5, v149, v75 /*v331*/
	s_set_vgpr_msb 5                        ;  msbs: dst=0 src0=1 src1=1 src2=0
	s_delay_alu instid0(VALU_DEP_2) | instskip(NEXT) | instid1(VALU_DEP_2)
	v_add3_u32 v3, v179 /*v435*/, v176 /*v432*/, v3
	v_add3_u32 v5, v194 /*v450*/, v236 /*v492*/, v5
	s_set_vgpr_msb 0x45                     ;  msbs: dst=1 src0=1 src1=1 src2=0
	v_mul_i32_i24_e32 v176 /*v432*/, v78 /*v334*/, v199 /*v455*/
	s_set_vgpr_msb 0x41                     ;  msbs: dst=1 src0=1 src1=0 src2=0
	v_mul_i32_i24_e32 v179 /*v435*/, v78 /*v334*/, v9
	s_set_vgpr_msb 0x44                     ;  msbs: dst=1 src0=0 src1=1 src2=0
	v_pk_fma_f32 v[194:195] /*v[450:451]*/, v[116:117], v[190:191] /*v[446:447]*/, 0 op_sel_hi:[0,1,0]
	s_set_vgpr_msb 4                        ;  msbs: dst=0 src0=0 src1=1 src2=0
	v_mul_lo_u32 v3, v3, v76 /*v332*/
	v_mul_lo_u32 v5, v5, v76 /*v332*/
	s_set_vgpr_msb 64                       ;  msbs: dst=1 src0=0 src1=0 src2=0
	v_mul_i32_i24_e32 v236 /*v492*/, v147, v195
	s_delay_alu instid0(VALU_DEP_3) | instskip(NEXT) | instid1(VALU_DEP_3)
	v_cvt_f32_i32_e32 v186 /*v442*/, v3
	v_cvt_f32_i32_e32 v187 /*v443*/, v5
	s_set_vgpr_msb 4                        ;  msbs: dst=0 src0=0 src1=1 src2=0
	v_mul_i32_i24_e32 v3, v0, v79 /*v335*/
	s_set_vgpr_msb 5                        ;  msbs: dst=0 src0=1 src1=1 src2=0
	v_mul_i32_i24_e32 v5, v220 /*v476*/, v79 /*v335*/
	s_set_vgpr_msb 0x45                     ;  msbs: dst=1 src0=1 src1=1 src2=0
	v_pk_fma_f32 v[186:187] /*v[442:443]*/, v[188:189] /*v[444:445]*/, v[186:187] /*v[442:443]*/, 0 op_sel_hi:[1,1,0]
	s_set_vgpr_msb 17                       ;  msbs: dst=0 src0=1 src1=0 src2=1
	v_add3_u32 v3, v181 /*v437*/, v3, v176 /*v432*/
	v_add3_u32 v5, v182 /*v438*/, v5, v179 /*v435*/
	s_set_vgpr_msb 0x44                     ;  msbs: dst=1 src0=0 src1=1 src2=0
	v_mul_i32_i24_e32 v176 /*v432*/, v21, v83 /*v339*/
	v_mul_i32_i24_e32 v179 /*v435*/, v25, v86 /*v342*/
	v_mul_i32_i24_e32 v181 /*v437*/, v26, v87 /*v343*/
	s_set_vgpr_msb 4                        ;  msbs: dst=0 src0=0 src1=1 src2=0
	v_mul_lo_u32 v3, v3, v77 /*v333*/
	v_mul_lo_u32 v5, v5, v77 /*v333*/
	s_set_vgpr_msb 64                       ;  msbs: dst=1 src0=0 src1=0 src2=0
	s_delay_alu instid0(VALU_DEP_2) | instskip(NEXT) | instid1(VALU_DEP_2)
	v_cvt_f32_i32_e32 v182 /*v438*/, v3
	v_cvt_f32_i32_e32 v183 /*v439*/, v5
	s_set_vgpr_msb 4                        ;  msbs: dst=0 src0=0 src1=1 src2=0
	v_mul_i32_i24_e32 v3, v18, v81 /*v337*/
	v_mul_i32_i24_e32 v5, v20, v82 /*v338*/
	s_set_vgpr_msb 0x55                     ;  msbs: dst=1 src0=1 src1=1 src2=1
	v_pk_fma_f32 v[182:183] /*v[438:439]*/, v[192:193] /*v[448:449]*/, v[182:183] /*v[438:439]*/, v[186:187] /*v[442:443]*/
	s_set_vgpr_msb 0x54                     ;  msbs: dst=1 src0=0 src1=1 src2=1
	v_pk_fma_f32 v[186:187] /*v[442:443]*/, v[118:119], v[184:185] /*v[440:441]*/, v[194:195] /*v[450:451]*/ op_sel_hi:[0,1,1]
	s_set_vgpr_msb 4                        ;  msbs: dst=0 src0=0 src1=1 src2=0
	v_mad_i32_i24 v3, v19, v80 /*v336*/, v3
	s_set_vgpr_msb 0x44                     ;  msbs: dst=1 src0=0 src1=1 src2=0
	v_mul_i32_i24_e32 v194 /*v450*/, v34, v92 /*v348*/
	v_mul_i32_i24_e32 v195 /*v451*/, v36, v93 /*v349*/
	s_set_vgpr_msb 0x41                     ;  msbs: dst=1 src0=1 src1=0 src2=0
	v_pk_mul_f32 v[186:187] /*v[442:443]*/, v[186:187] /*v[442:443]*/, v[96:97]
	s_set_vgpr_msb 16                       ;  msbs: dst=0 src0=0 src1=0 src2=1
	v_add3_u32 v3, v3, v5, v176 /*v432*/
	s_set_vgpr_msb 4                        ;  msbs: dst=0 src0=0 src1=1 src2=0
	v_mul_i32_i24_e32 v5, v22, v84 /*v340*/
	s_set_vgpr_msb 0x44                     ;  msbs: dst=1 src0=0 src1=1 src2=0
	v_mul_i32_i24_e32 v176 /*v432*/, v24, v85 /*v341*/
	s_set_vgpr_msb 0x51                     ;  msbs: dst=1 src0=1 src1=0 src2=1
	v_pk_fma_f32 v[182:183] /*v[438:439]*/, v[182:183] /*v[438:439]*/, v[88:89], v[186:187] /*v[442:443]*/ neg_lo:[0,0,1] neg_hi:[0,0,1]
	s_set_vgpr_msb 0x44                     ;  msbs: dst=1 src0=0 src1=1 src2=0
	v_mul_i32_i24_e32 v186 /*v442*/, v30, v90 /*v346*/
	v_mul_i32_i24_e32 v187 /*v443*/, v32, v91 /*v347*/
	s_set_vgpr_msb 16                       ;  msbs: dst=0 src0=0 src1=0 src2=1
	v_add3_u32 v3, v3, v5, v176 /*v432*/
	v_mul_i32_i24_e32 v5, v150, v189
	s_set_vgpr_msb 4                        ;  msbs: dst=0 src0=0 src1=1 src2=0
	v_pk_add_f32 v[58:59], v[58:59], v[182:183] /*v[438:439]*/
	s_set_vgpr_msb 0x44                     ;  msbs: dst=1 src0=0 src1=1 src2=0
	v_mul_i32_i24_e32 v182 /*v438*/, v28, v88 /*v344*/
	v_mul_i32_i24_e32 v183 /*v439*/, v29, v89 /*v345*/
	s_set_vgpr_msb 20                       ;  msbs: dst=0 src0=0 src1=1 src2=1
	v_add3_u32 v3, v3, v179 /*v435*/, v181 /*v437*/
	s_set_vgpr_msb 64                       ;  msbs: dst=1 src0=0 src1=0 src2=0
	v_mul_i32_i24_e32 v176 /*v432*/, v152, v187
	v_mul_i32_i24_e32 v179 /*v435*/, v153, v193
	s_set_vgpr_msb 0                        ;  msbs: dst=0 src0=0 src1=0 src2=0
	v_mad_i32_i24 v5, v151, v188, v5
	s_set_vgpr_msb 64                       ;  msbs: dst=1 src0=0 src1=0 src2=0
	v_mul_i32_i24_e32 v181 /*v437*/, v156, v191
	s_set_vgpr_msb 20                       ;  msbs: dst=0 src0=0 src1=1 src2=1
	v_add3_u32 v3, v3, v182 /*v438*/, v183 /*v439*/
	s_set_vgpr_msb 0x41                     ;  msbs: dst=1 src0=1 src1=0 src2=0
	v_mul_i32_i24_e32 v182 /*v438*/, v200 /*v456*/, v201
	v_mul_i32_i24_e32 v183 /*v439*/, v201 /*v457*/, v203
	s_set_vgpr_msb 20                       ;  msbs: dst=0 src0=0 src1=1 src2=1
	v_add3_u32 v5, v5, v176 /*v432*/, v179 /*v435*/
	s_set_vgpr_msb 64                       ;  msbs: dst=1 src0=0 src1=0 src2=0
	v_mul_i32_i24_e32 v176 /*v432*/, v154, v198
	s_set_vgpr_msb 20                       ;  msbs: dst=0 src0=0 src1=1 src2=1
	v_add3_u32 v3, v3, v186 /*v442*/, v187 /*v443*/
	s_set_vgpr_msb 64                       ;  msbs: dst=1 src0=0 src1=0 src2=0
	v_mul_i32_i24_e32 v179 /*v435*/, v155, v199
	s_set_vgpr_msb 0x41                     ;  msbs: dst=1 src0=1 src1=0 src2=0
	v_mul_i32_i24_e32 v186 /*v442*/, v202 /*v458*/, v206
	v_mul_i32_i24_e32 v187 /*v443*/, v203 /*v459*/, v200
	s_set_vgpr_msb 20                       ;  msbs: dst=0 src0=0 src1=1 src2=1
	v_add3_u32 v3, v3, v194 /*v450*/, v195 /*v451*/
	v_add3_u32 v5, v5, v176 /*v432*/, v179 /*v435*/
	s_set_vgpr_msb 0x41                     ;  msbs: dst=1 src0=1 src1=0 src2=0
	v_mul_i32_i24_e32 v194 /*v450*/, v204 /*v460*/, v208
	v_mul_i32_i24_e32 v195 /*v451*/, v205 /*v461*/, v210
	s_set_vgpr_msb 64                       ;  msbs: dst=1 src0=0 src1=0 src2=0
	v_mul_i32_i24_e32 v176 /*v432*/, v4, v171
	s_set_vgpr_msb 20                       ;  msbs: dst=0 src0=0 src1=1 src2=1
	v_add3_u32 v3, v3, v221 /*v477*/, v222 /*v478*/
	v_add3_u32 v5, v5, v181 /*v437*/, v182 /*v438*/
	s_set_vgpr_msb 0x41                     ;  msbs: dst=1 src0=1 src1=0 src2=0
	v_mul_i32_i24_e32 v221 /*v477*/, v206 /*v462*/, v212
	v_mul_i32_i24_e32 v222 /*v478*/, v207 /*v463*/, v207
	s_set_vgpr_msb 64                       ;  msbs: dst=1 src0=0 src1=0 src2=0
	v_mul_i32_i24_e32 v179 /*v435*/, v149, v171
	s_set_vgpr_msb 20                       ;  msbs: dst=0 src0=0 src1=1 src2=1
	v_add3_u32 v3, v3, v223 /*v479*/, v224 /*v480*/
	v_add3_u32 v5, v5, v183 /*v439*/, v186 /*v442*/
	s_set_vgpr_msb 0x41                     ;  msbs: dst=1 src0=1 src1=0 src2=0
	v_mul_i32_i24_e32 v223 /*v479*/, v208 /*v464*/, v213
	v_mul_i32_i24_e32 v224 /*v480*/, v209 /*v465*/, v216
	s_set_vgpr_msb 0x55                     ;  msbs: dst=1 src0=1 src1=1 src2=1
	v_add3_u32 v171 /*v427*/, v174 /*v430*/, v171 /*v427*/, v176 /*v432*/
	s_set_vgpr_msb 20                       ;  msbs: dst=0 src0=0 src1=1 src2=1
	v_add3_u32 v3, v3, v225 /*v481*/, v226 /*v482*/
	v_add3_u32 v5, v5, v187 /*v443*/, v194 /*v450*/
	s_set_vgpr_msb 0x41                     ;  msbs: dst=1 src0=1 src1=0 src2=0
	v_mul_i32_i24_e32 v225 /*v481*/, v210 /*v466*/, v217
	s_set_vgpr_msb 0x44                     ;  msbs: dst=1 src0=0 src1=1 src2=0
	v_mul_i32_i24_e32 v226 /*v482*/, v220, v211 /*v467*/
	s_set_vgpr_msb 0x41                     ;  msbs: dst=1 src0=1 src1=0 src2=0
	v_mul_lo_u32 v171 /*v427*/, v171 /*v427*/, v172
	s_set_vgpr_msb 20                       ;  msbs: dst=0 src0=0 src1=1 src2=1
	v_add3_u32 v3, v3, v227 /*v483*/, v228 /*v484*/
	v_add3_u32 v5, v5, v195 /*v451*/, v221 /*v477*/
	s_set_vgpr_msb 0x44                     ;  msbs: dst=1 src0=0 src1=1 src2=0
	v_mul_i32_i24_e32 v227 /*v483*/, v218, v196 /*v452*/
	v_mul_i32_i24_e32 v228 /*v484*/, v221, v212 /*v468*/
	;; [unrolled: 1-line block ×3, first 2 shown]
	s_set_vgpr_msb 20                       ;  msbs: dst=0 src0=0 src1=1 src2=1
	v_add3_u32 v3, v3, v229 /*v485*/, v230 /*v486*/
	v_add3_u32 v5, v5, v222 /*v478*/, v223 /*v479*/
	s_set_vgpr_msb 0x44                     ;  msbs: dst=1 src0=0 src1=1 src2=0
	v_mul_i32_i24_e32 v229 /*v485*/, v222, v213 /*v469*/
	v_mul_i32_i24_e32 v230 /*v486*/, v227, v214 /*v470*/
	s_set_vgpr_msb 64                       ;  msbs: dst=1 src0=0 src1=0 src2=0
	v_mul_i32_i24_e32 v176 /*v432*/, v117, v9
	s_set_vgpr_msb 20                       ;  msbs: dst=0 src0=0 src1=1 src2=1
	v_add3_u32 v3, v3, v231 /*v487*/, v232 /*v488*/
	v_add3_u32 v5, v5, v224 /*v480*/, v225 /*v481*/
	s_set_vgpr_msb 0x44                     ;  msbs: dst=1 src0=0 src1=1 src2=0
	v_mul_i32_i24_e32 v231 /*v487*/, v224, v197 /*v453*/
	v_mul_i32_i24_e32 v232 /*v488*/, v229, v215 /*v471*/
	s_set_vgpr_msb 0x41                     ;  msbs: dst=1 src0=1 src1=0 src2=0
	v_cvt_f32_i32_e32 v182 /*v438*/, v171 /*v427*/
	s_set_vgpr_msb 20                       ;  msbs: dst=0 src0=0 src1=1 src2=1
	v_add3_u32 v3, v3, v233 /*v489*/, v234 /*v490*/
	v_add3_u32 v5, v5, v226 /*v482*/, v227 /*v483*/
	s_set_vgpr_msb 0x44                     ;  msbs: dst=1 src0=0 src1=1 src2=0
	v_mul_i32_i24_e32 v233 /*v489*/, v230, v216 /*v472*/
	v_mul_i32_i24_e32 v234 /*v490*/, v236, v217 /*v473*/
	s_set_vgpr_msb 0x41                     ;  msbs: dst=1 src0=1 src1=0 src2=0
	v_mul_i32_i24_e32 v171 /*v427*/, v220 /*v476*/, v119
	s_set_vgpr_msb 20                       ;  msbs: dst=0 src0=0 src1=1 src2=1
	v_add3_u32 v3, v3, v235 /*v491*/, v236 /*v492*/
	v_add3_u32 v5, v5, v228 /*v484*/, v229 /*v485*/
	s_set_vgpr_msb 0x44                     ;  msbs: dst=1 src0=0 src1=1 src2=0
	v_mul_i32_i24_e32 v235 /*v491*/, v233, v198 /*v454*/
	s_set_vgpr_msb 0x41                     ;  msbs: dst=1 src0=1 src1=0 src2=0
	v_mul_i32_i24_e32 v236 /*v492*/, v218 /*v474*/, v239
	s_set_vgpr_msb 0x44                     ;  msbs: dst=1 src0=0 src1=1 src2=0
	v_pk_fma_f32 v[186:187] /*v[442:443]*/, v[104:105], v[190:191] /*v[446:447]*/, 0 op_sel_hi:[0,1,0]
	s_set_vgpr_msb 20                       ;  msbs: dst=0 src0=0 src1=1 src2=1
	v_add3_u32 v3, v3, v237 /*v493*/, v179 /*v435*/
	v_add3_u32 v5, v5, v230 /*v486*/, v231 /*v487*/
	s_set_vgpr_msb 64                       ;  msbs: dst=1 src0=0 src1=0 src2=0
	v_mul_i32_i24_e32 v181 /*v437*/, v34, v190
	v_mul_i32_i24_e32 v194 /*v450*/, v44, v204
	s_set_vgpr_msb 0x54                     ;  msbs: dst=1 src0=0 src1=1 src2=1
	v_pk_fma_f32 v[178:179] /*v[434:435]*/, v[106:107], v[184:185] /*v[440:441]*/, v[186:187] /*v[442:443]*/ op_sel_hi:[0,1,1]
	s_set_vgpr_msb 0                        ;  msbs: dst=0 src0=0 src1=0 src2=0
	v_mul_lo_u32 v3, v3, v172
	s_set_vgpr_msb 20                       ;  msbs: dst=0 src0=0 src1=1 src2=1
	v_add3_u32 v5, v5, v232 /*v488*/, v233 /*v489*/
	s_set_vgpr_msb 64                       ;  msbs: dst=1 src0=0 src1=0 src2=0
	v_mul_i32_i24_e32 v186 /*v442*/, v40, v196
	v_mul_i32_i24_e32 v187 /*v443*/, v42, v202
	s_set_vgpr_msb 0x41                     ;  msbs: dst=1 src0=1 src1=0 src2=0
	v_pk_mul_f32 v[178:179] /*v[434:435]*/, v[178:179] /*v[434:435]*/, v[98:99]
	s_set_vgpr_msb 64                       ;  msbs: dst=1 src0=0 src1=0 src2=0
	v_mul_i32_i24_e32 v195 /*v451*/, v209, v46
	s_set_vgpr_msb 20                       ;  msbs: dst=0 src0=0 src1=1 src2=1
	v_add3_u32 v5, v5, v234 /*v490*/, v235 /*v491*/
	s_set_vgpr_msb 64                       ;  msbs: dst=1 src0=0 src1=0 src2=0
	v_mul_i32_i24_e32 v221 /*v477*/, v205, v48
	v_mul_i32_i24_e32 v222 /*v478*/, v214, v52
	;; [unrolled: 1-line block ×4, first 2 shown]
	v_cvt_f32_i32_e32 v183 /*v439*/, v3
	s_set_vgpr_msb 0                        ;  msbs: dst=0 src0=0 src1=0 src2=0
	v_mul_i32_i24_e32 v3, v0, v119
	s_set_vgpr_msb 20                       ;  msbs: dst=0 src0=0 src1=1 src2=1
	v_add3_u32 v5, v5, v236 /*v492*/, v238 /*v494*/
	s_set_vgpr_msb 64                       ;  msbs: dst=1 src0=0 src1=0 src2=0
	v_mul_i32_i24_e32 v225 /*v481*/, v215, v141
	v_mul_i32_i24_e32 v226 /*v482*/, v225, v142
	s_set_vgpr_msb 0x45                     ;  msbs: dst=1 src0=1 src1=1 src2=0
	v_pk_fma_f32 v[182:183] /*v[438:439]*/, v[188:189] /*v[444:445]*/, v[182:183] /*v[438:439]*/, 0 op_sel_hi:[1,1,0]
	s_set_vgpr_msb 17                       ;  msbs: dst=0 src0=1 src1=0 src2=1
	v_add3_u32 v3, v177 /*v433*/, v3, v174 /*v430*/
	s_set_vgpr_msb 20                       ;  msbs: dst=0 src0=0 src1=1 src2=1
	v_add3_u32 v5, v5, v171 /*v427*/, v176 /*v432*/
	s_set_vgpr_msb 64                       ;  msbs: dst=1 src0=0 src1=0 src2=0
	v_mul_i32_i24_e32 v171 /*v427*/, v21, v178
	v_mul_i32_i24_e32 v174 /*v430*/, v25, v181
	;; [unrolled: 1-line block ×3, first 2 shown]
	s_set_vgpr_msb 0                        ;  msbs: dst=0 src0=0 src1=0 src2=0
	v_mul_lo_u32 v3, v3, v122
	v_mul_lo_u32 v5, v5, v122
	s_set_vgpr_msb 64                       ;  msbs: dst=1 src0=0 src1=0 src2=0
	v_mul_i32_i24_e32 v228 /*v484*/, v231, v144
	v_mul_i32_i24_e32 v229 /*v485*/, v226, v145
	;; [unrolled: 1-line block ×5, first 2 shown]
	s_set_vgpr_msb 0x45                     ;  msbs: dst=1 src0=1 src1=1 src2=0
	v_mul_i32_i24_e32 v233 /*v489*/, v219 /*v475*/, v11 /*v267*/
	s_set_vgpr_msb 64                       ;  msbs: dst=1 src0=0 src1=0 src2=0
	v_cvt_f32_i32_e32 v176 /*v432*/, v3
	v_cvt_f32_i32_e32 v177 /*v433*/, v5
	s_set_vgpr_msb 0                        ;  msbs: dst=0 src0=0 src1=0 src2=0
	v_mul_i32_i24_e32 v3, v18, v176
	v_mul_i32_i24_e32 v5, v20, v177
	s_set_vgpr_msb 0x55                     ;  msbs: dst=1 src0=1 src1=1 src2=1
	v_pk_fma_f32 v[176:177] /*v[432:433]*/, v[192:193] /*v[448:449]*/, v[176:177] /*v[432:433]*/, v[182:183] /*v[438:439]*/
	s_set_vgpr_msb 0                        ;  msbs: dst=0 src0=0 src1=0 src2=0
	v_mad_i32_i24 v3, v19, v175, v3
	s_set_vgpr_msb 64                       ;  msbs: dst=1 src0=0 src1=0 src2=0
	v_mul_i32_i24_e32 v182 /*v438*/, v36, v192
	v_mul_i32_i24_e32 v183 /*v439*/, v38, v194
	s_set_vgpr_msb 0x51                     ;  msbs: dst=1 src0=1 src1=0 src2=1
	v_pk_fma_f32 v[176:177] /*v[432:433]*/, v[176:177] /*v[432:433]*/, v[90:91], v[178:179] /*v[434:435]*/ neg_lo:[0,0,1] neg_hi:[0,0,1]
	s_set_vgpr_msb 16                       ;  msbs: dst=0 src0=0 src1=0 src2=1
	v_add3_u32 v3, v3, v5, v171 /*v427*/
	v_mul_i32_i24_e32 v5, v22, v179
	s_set_vgpr_msb 64                       ;  msbs: dst=1 src0=0 src1=0 src2=0
	v_mul_i32_i24_e32 v171 /*v427*/, v24, v180
	v_mul_i32_i24_e32 v178 /*v434*/, v29, v184
	s_set_vgpr_msb 4                        ;  msbs: dst=0 src0=0 src1=1 src2=0
	v_pk_add_f32 v[64:65], v[64:65], v[176:177] /*v[432:433]*/
	s_set_vgpr_msb 64                       ;  msbs: dst=1 src0=0 src1=0 src2=0
	v_mul_i32_i24_e32 v176 /*v432*/, v26, v182
	v_mul_i32_i24_e32 v177 /*v433*/, v28, v183
	s_set_vgpr_msb 16                       ;  msbs: dst=0 src0=0 src1=0 src2=1
	v_add3_u32 v3, v3, v5, v171 /*v427*/
	s_set_vgpr_msb 64                       ;  msbs: dst=1 src0=0 src1=0 src2=0
	v_mul_i32_i24_e32 v179 /*v435*/, v30, v185
	s_set_vgpr_msb 0                        ;  msbs: dst=0 src0=0 src1=0 src2=0
	v_mul_i32_i24_e32 v5, v150, v234
	s_set_vgpr_msb 64                       ;  msbs: dst=1 src0=0 src1=0 src2=0
	v_mul_i32_i24_e32 v171 /*v427*/, v152, v228
	s_set_vgpr_msb 20                       ;  msbs: dst=0 src0=0 src1=1 src2=1
	v_add3_u32 v3, v3, v174 /*v430*/, v176 /*v432*/
	s_set_vgpr_msb 64                       ;  msbs: dst=1 src0=0 src1=0 src2=0
	v_mul_i32_i24_e32 v174 /*v430*/, v153, v238
	s_set_vgpr_msb 0                        ;  msbs: dst=0 src0=0 src1=0 src2=0
	v_mad_i32_i24 v5, v151, v232, v5
	s_set_vgpr_msb 64                       ;  msbs: dst=1 src0=0 src1=0 src2=0
	v_mul_i32_i24_e32 v176 /*v432*/, v156, v235
	s_set_vgpr_msb 20                       ;  msbs: dst=0 src0=0 src1=1 src2=1
	v_add3_u32 v3, v3, v177 /*v433*/, v178 /*v434*/
	s_set_vgpr_msb 0x41                     ;  msbs: dst=1 src0=1 src1=0 src2=0
	v_mul_i32_i24_e32 v177 /*v433*/, v200 /*v456*/, v246
	s_set_vgpr_msb 20                       ;  msbs: dst=0 src0=0 src1=1 src2=1
	v_add3_u32 v5, v5, v171 /*v427*/, v174 /*v430*/
	s_set_vgpr_msb 64                       ;  msbs: dst=1 src0=0 src1=0 src2=0
	v_mul_i32_i24_e32 v171 /*v427*/, v154, v243
	v_mul_i32_i24_e32 v174 /*v430*/, v155, v244
	s_set_vgpr_msb 20                       ;  msbs: dst=0 src0=0 src1=1 src2=1
	v_add3_u32 v3, v3, v179 /*v435*/, v180 /*v436*/
	s_set_vgpr_msb 0x41                     ;  msbs: dst=1 src0=1 src1=0 src2=0
	v_mul_i32_i24_e32 v178 /*v434*/, v201 /*v457*/, v247
	v_mul_i32_i24_e32 v179 /*v435*/, v202 /*v458*/, v248
	;; [unrolled: 1-line block ×3, first 2 shown]
	s_set_vgpr_msb 20                       ;  msbs: dst=0 src0=0 src1=1 src2=1
	v_add3_u32 v5, v5, v171 /*v427*/, v174 /*v430*/
	v_add3_u32 v3, v3, v181 /*v437*/, v182 /*v438*/
	s_set_vgpr_msb 0x41                     ;  msbs: dst=1 src0=1 src1=0 src2=0
	v_mul_i32_i24_e32 v181 /*v437*/, v204 /*v460*/, v250
	v_mul_i32_i24_e32 v182 /*v438*/, v205 /*v461*/, v251
	s_set_vgpr_msb 64                       ;  msbs: dst=1 src0=0 src1=0 src2=0
	v_mul_i32_i24_e32 v174 /*v430*/, v149, v173
	s_set_vgpr_msb 20                       ;  msbs: dst=0 src0=0 src1=1 src2=1
	v_add3_u32 v5, v5, v176 /*v432*/, v177 /*v433*/
	v_add3_u32 v3, v3, v183 /*v439*/, v186 /*v442*/
	s_set_vgpr_msb 0x41                     ;  msbs: dst=1 src0=1 src1=0 src2=0
	v_mul_i32_i24_e32 v183 /*v439*/, v206 /*v462*/, v252
	v_mul_i32_i24_e32 v186 /*v442*/, v207 /*v463*/, v249
	s_set_vgpr_msb 64                       ;  msbs: dst=1 src0=0 src1=0 src2=0
	v_mul_i32_i24_e32 v171 /*v427*/, v4, v173
	s_set_vgpr_msb 20                       ;  msbs: dst=0 src0=0 src1=1 src2=1
	v_add3_u32 v5, v5, v178 /*v434*/, v179 /*v435*/
	v_add3_u32 v3, v3, v187 /*v443*/, v194 /*v450*/
	s_set_vgpr_msb 0x41                     ;  msbs: dst=1 src0=1 src1=0 src2=0
	v_mul_i32_i24_e32 v187 /*v443*/, v208 /*v464*/, v253
	v_mul_i32_i24_e32 v194 /*v450*/, v209 /*v465*/, v254
	s_set_vgpr_msb 17                       ;  msbs: dst=0 src0=1 src1=0 src2=1
	v_add3_u32 v6, v169 /*v425*/, v6, v171 /*v427*/
	s_set_vgpr_msb 20                       ;  msbs: dst=0 src0=0 src1=1 src2=1
	v_add3_u32 v5, v5, v180 /*v436*/, v181 /*v437*/
	v_add3_u32 v3, v3, v195 /*v451*/, v221 /*v477*/
	s_set_vgpr_msb 0x41                     ;  msbs: dst=1 src0=1 src1=0 src2=0
	v_mul_i32_i24_e32 v195 /*v451*/, v210 /*v466*/, v255
	s_set_vgpr_msb 0x45                     ;  msbs: dst=1 src0=1 src1=1 src2=0
	v_mul_i32_i24_e32 v221 /*v477*/, v1 /*v257*/, v211 /*v467*/
	s_set_vgpr_msb 0                        ;  msbs: dst=0 src0=0 src1=0 src2=0
	v_mul_lo_u32 v6, v6, v174
	s_set_vgpr_msb 20                       ;  msbs: dst=0 src0=0 src1=1 src2=1
	v_add3_u32 v5, v5, v182 /*v438*/, v183 /*v439*/
	v_add3_u32 v3, v3, v222 /*v478*/, v223 /*v479*/
	s_set_vgpr_msb 0x45                     ;  msbs: dst=1 src0=1 src1=1 src2=0
	v_mul_i32_i24_e32 v222 /*v478*/, v0 /*v256*/, v196 /*v452*/
	v_mul_i32_i24_e32 v223 /*v479*/, v2 /*v258*/, v212 /*v468*/
	s_set_vgpr_msb 0x44                     ;  msbs: dst=1 src0=0 src1=1 src2=0
	v_mul_i32_i24_e32 v169 /*v425*/, v123, v199 /*v455*/
	s_set_vgpr_msb 20                       ;  msbs: dst=0 src0=0 src1=1 src2=1
	v_add3_u32 v5, v5, v186 /*v442*/, v187 /*v443*/
	v_add3_u32 v3, v3, v224 /*v480*/, v225 /*v481*/
	s_set_vgpr_msb 0x45                     ;  msbs: dst=1 src0=1 src1=1 src2=0
	v_mul_i32_i24_e32 v224 /*v480*/, v3 /*v259*/, v213 /*v469*/
	v_mul_i32_i24_e32 v225 /*v481*/, v5 /*v261*/, v214 /*v470*/
	s_set_vgpr_msb 64                       ;  msbs: dst=1 src0=0 src1=0 src2=0
	v_mul_i32_i24_e32 v171 /*v427*/, v123, v9
	s_set_vgpr_msb 20                       ;  msbs: dst=0 src0=0 src1=1 src2=1
	v_add3_u32 v5, v5, v194 /*v450*/, v195 /*v451*/
	v_add3_u32 v3, v3, v226 /*v482*/, v227 /*v483*/
	s_set_vgpr_msb 0x45                     ;  msbs: dst=1 src0=1 src1=1 src2=0
	v_mul_i32_i24_e32 v226 /*v482*/, v4 /*v260*/, v197 /*v453*/
	v_mul_i32_i24_e32 v227 /*v483*/, v6 /*v262*/, v215 /*v471*/
	s_set_vgpr_msb 64                       ;  msbs: dst=1 src0=0 src1=0 src2=0
	v_cvt_f32_i32_e32 v176 /*v432*/, v6
	s_set_vgpr_msb 20                       ;  msbs: dst=0 src0=0 src1=1 src2=1
	v_add3_u32 v5, v5, v221 /*v477*/, v222 /*v478*/
	v_add3_u32 v3, v3, v228 /*v484*/, v229 /*v485*/
	s_set_vgpr_msb 0x45                     ;  msbs: dst=1 src0=1 src1=1 src2=0
	v_mul_i32_i24_e32 v228 /*v484*/, v7 /*v263*/, v216 /*v472*/
	v_mul_i32_i24_e32 v229 /*v485*/, v9 /*v265*/, v217 /*v473*/
	s_set_vgpr_msb 1                        ;  msbs: dst=0 src0=1 src1=0 src2=0
	v_mul_i32_i24_e32 v6, v220 /*v476*/, v166
	s_set_vgpr_msb 20                       ;  msbs: dst=0 src0=0 src1=1 src2=1
	v_add3_u32 v5, v5, v223 /*v479*/, v224 /*v480*/
	v_add3_u32 v3, v3, v230 /*v486*/, v231 /*v487*/
	s_set_vgpr_msb 0x45                     ;  msbs: dst=1 src0=1 src1=1 src2=0
	v_mul_i32_i24_e32 v230 /*v486*/, v8 /*v264*/, v198 /*v454*/
	v_mul_i32_i24_e32 v231 /*v487*/, v218 /*v474*/, v10 /*v266*/
	s_set_vgpr_msb 20                       ;  msbs: dst=0 src0=0 src1=1 src2=1
	v_mul_i32_i24_e32 v4, v4, v12 /*v268*/
	v_add3_u32 v5, v5, v225 /*v481*/, v226 /*v482*/
	v_add3_u32 v3, v3, v232 /*v488*/, v174 /*v430*/
	s_set_vgpr_msb 0                        ;  msbs: dst=0 src0=0 src1=0 src2=0
	v_mul_i32_i24_e32 v9, v168, v9
	s_set_vgpr_msb 0x44                     ;  msbs: dst=1 src0=0 src1=1 src2=0
	v_pk_fma_f32 v[178:179] /*v[434:435]*/, v[108:109], v[190:191] /*v[446:447]*/, 0 op_sel_hi:[0,1,0]
	s_set_vgpr_msb 0                        ;  msbs: dst=0 src0=0 src1=0 src2=0
	v_add3_u32 v1, v2, v1, v4
	s_set_vgpr_msb 20                       ;  msbs: dst=0 src0=0 src1=1 src2=1
	v_add3_u32 v5, v5, v227 /*v483*/, v228 /*v484*/
	s_set_vgpr_msb 0                        ;  msbs: dst=0 src0=0 src1=0 src2=0
	v_mul_lo_u32 v3, v3, v174
	s_set_vgpr_msb 0x54                     ;  msbs: dst=1 src0=0 src1=1 src2=1
	v_pk_fma_f32 v[174:175] /*v[430:431]*/, v[110:111], v[184:185] /*v[440:441]*/, v[178:179] /*v[434:435]*/ op_sel_hi:[0,1,1]
	s_set_vgpr_msb 20                       ;  msbs: dst=0 src0=0 src1=1 src2=1
	v_mul_lo_u32 v1, v1, v13 /*v269*/
	v_add3_u32 v5, v5, v229 /*v485*/, v230 /*v486*/
	s_set_vgpr_msb 0x41                     ;  msbs: dst=1 src0=1 src1=0 src2=0
	v_pk_mul_f32 v[174:175] /*v[430:431]*/, v[174:175] /*v[430:431]*/, v[100:101]
	s_set_vgpr_msb 20                       ;  msbs: dst=0 src0=0 src1=1 src2=1
	s_delay_alu instid0(VALU_DEP_2)
	v_add3_u32 v5, v5, v231 /*v487*/, v233 /*v489*/
	s_set_vgpr_msb 64                       ;  msbs: dst=1 src0=0 src1=0 src2=0
	v_cvt_f32_i32_e32 v177 /*v433*/, v3
	s_set_vgpr_msb 16                       ;  msbs: dst=0 src0=0 src1=0 src2=1
	v_mul_i32_i24_e32 v3, v0, v166
	v_mul_i32_i24_e32 v0, v0, v169
	v_add3_u32 v5, v5, v6, v171 /*v427*/
	s_set_vgpr_msb 4                        ;  msbs: dst=0 src0=0 src1=1 src2=0
	v_mul_i32_i24_e32 v6, v21, v17 /*v273*/
	v_mul_i32_i24_e32 v21, v29, v23 /*v279*/
	s_set_vgpr_msb 17                       ;  msbs: dst=0 src0=1 src1=0 src2=1
	v_add3_u32 v3, v172 /*v428*/, v3, v169 /*v425*/
	s_set_vgpr_msb 4                        ;  msbs: dst=0 src0=0 src1=1 src2=0
	v_mul_i32_i24_e32 v29, v40, v29 /*v285*/
	s_set_vgpr_msb 0                        ;  msbs: dst=0 src0=0 src1=0 src2=0
	v_mul_lo_u32 v5, v5, v167
	s_set_vgpr_msb 1                        ;  msbs: dst=0 src0=1 src1=0 src2=0
	v_mul_i32_i24_e32 v40, v34 /*v290*/, v53
	v_mul_i32_i24_e32 v53, v40 /*v296*/, v145
	s_set_vgpr_msb 0                        ;  msbs: dst=0 src0=0 src1=0 src2=0
	v_mul_lo_u32 v3, v3, v167
	s_set_vgpr_msb 0x45                     ;  msbs: dst=1 src0=1 src1=1 src2=0
	v_pk_fma_f32 v[176:177] /*v[432:433]*/, v[188:189] /*v[444:445]*/, v[176:177] /*v[432:433]*/, 0 op_sel_hi:[1,1,0]
	s_set_vgpr_msb 64                       ;  msbs: dst=1 src0=0 src1=0 src2=0
	v_cvt_f32_i32_e32 v173 /*v429*/, v5
	s_set_vgpr_msb 4                        ;  msbs: dst=0 src0=0 src1=1 src2=0
	v_mul_i32_i24_e32 v5, v20, v16 /*v272*/
	v_mul_i32_i24_e32 v20, v28, v22 /*v278*/
	s_set_vgpr_msb 64                       ;  msbs: dst=1 src0=0 src1=0 src2=0
	v_cvt_f32_i32_e32 v172 /*v428*/, v3
	s_set_vgpr_msb 4                        ;  msbs: dst=0 src0=0 src1=1 src2=0
	v_mul_i32_i24_e32 v3, v18, v15 /*v271*/
	v_mul_i32_i24_e32 v18, v25, v20 /*v276*/
	;; [unrolled: 1-line block ×4, first 2 shown]
	s_set_vgpr_msb 1                        ;  msbs: dst=0 src0=1 src1=0 src2=0
	v_mul_i32_i24_e32 v34, v33 /*v289*/, v46
	s_set_vgpr_msb 4                        ;  msbs: dst=0 src0=0 src1=1 src2=0
	v_mad_i32_i24 v3, v19, v14 /*v270*/, v3
	v_mul_i32_i24_e32 v19, v26, v21 /*v277*/
	v_mul_i32_i24_e32 v26, v36, v27 /*v283*/
	s_set_vgpr_msb 1                        ;  msbs: dst=0 src0=1 src1=0 src2=0
	v_mul_i32_i24_e32 v36, v32 /*v288*/, v48
	v_mul_i32_i24_e32 v38, v35 /*v291*/, v52
	s_set_vgpr_msb 0                        ;  msbs: dst=0 src0=0 src1=0 src2=0
	v_add3_u32 v3, v3, v5, v6
	s_set_vgpr_msb 4                        ;  msbs: dst=0 src0=0 src1=1 src2=0
	v_mul_i32_i24_e32 v5, v22, v18 /*v274*/
	v_mul_i32_i24_e32 v6, v24, v19 /*v275*/
	;; [unrolled: 1-line block ×6, first 2 shown]
	s_set_vgpr_msb 0                        ;  msbs: dst=0 src0=0 src1=0 src2=0
	v_add3_u32 v3, v3, v5, v6
	s_set_vgpr_msb 4                        ;  msbs: dst=0 src0=0 src1=1 src2=0
	v_mul_i32_i24_e32 v5, v150, v44 /*v300*/
	v_mul_i32_i24_e32 v6, v152, v41 /*v297*/
	s_set_vgpr_msb 1                        ;  msbs: dst=0 src0=1 src1=0 src2=0
	v_mul_i32_i24_e32 v42, v37 /*v293*/, v55
	v_mul_i32_i24_e32 v44, v36 /*v292*/, v141
	s_set_vgpr_msb 0                        ;  msbs: dst=0 src0=0 src1=0 src2=0
	v_add3_u32 v3, v3, v18, v19
	s_set_vgpr_msb 4                        ;  msbs: dst=0 src0=0 src1=1 src2=0
	v_mul_i32_i24_e32 v18, v153, v47 /*v303*/
	v_mad_i32_i24 v5, v151, v43 /*v299*/, v5
	v_mul_i32_i24_e32 v19, v156, v45 /*v301*/
	s_set_vgpr_msb 1                        ;  msbs: dst=0 src0=1 src1=0 src2=0
	v_mul_i32_i24_e32 v46, v39 /*v295*/, v142
	s_set_vgpr_msb 0                        ;  msbs: dst=0 src0=0 src1=0 src2=0
	v_add3_u32 v3, v3, v20, v21
	s_set_vgpr_msb 5                        ;  msbs: dst=0 src0=1 src1=1 src2=0
	v_mul_i32_i24_e32 v20, v200 /*v456*/, v53 /*v309*/
	s_set_vgpr_msb 0                        ;  msbs: dst=0 src0=0 src1=0 src2=0
	v_add3_u32 v5, v5, v6, v18
	s_set_vgpr_msb 4                        ;  msbs: dst=0 src0=0 src1=1 src2=0
	v_mul_i32_i24_e32 v6, v154, v50 /*v306*/
	v_mul_i32_i24_e32 v18, v155, v51 /*v307*/
	s_set_vgpr_msb 0                        ;  msbs: dst=0 src0=0 src1=0 src2=0
	v_add3_u32 v3, v3, v22, v24
	s_set_vgpr_msb 5                        ;  msbs: dst=0 src0=1 src1=1 src2=0
	v_mul_i32_i24_e32 v21, v201 /*v457*/, v54 /*v310*/
	v_mul_i32_i24_e32 v22, v202 /*v458*/, v55 /*v311*/
	;; [unrolled: 1-line block ×3, first 2 shown]
	s_set_vgpr_msb 0                        ;  msbs: dst=0 src0=0 src1=0 src2=0
	v_add3_u32 v5, v5, v6, v18
	v_add3_u32 v3, v3, v25, v26
	s_set_vgpr_msb 5                        ;  msbs: dst=0 src0=1 src1=1 src2=0
	v_mul_i32_i24_e32 v25, v204 /*v460*/, v57 /*v313*/
	v_mul_i32_i24_e32 v26, v205 /*v461*/, v58 /*v314*/
	s_set_vgpr_msb 1                        ;  msbs: dst=0 src0=1 src1=0 src2=0
	v_mul_i32_i24_e32 v48, v38 /*v294*/, v143
	s_set_vgpr_msb 0                        ;  msbs: dst=0 src0=0 src1=0 src2=0
	v_add3_u32 v5, v5, v19, v20
	v_add3_u32 v3, v3, v28, v29
	s_set_vgpr_msb 5                        ;  msbs: dst=0 src0=1 src1=1 src2=0
	v_mul_i32_i24_e32 v28, v206 /*v462*/, v59 /*v315*/
	v_mul_i32_i24_e32 v29, v207 /*v463*/, v56 /*v312*/
	s_set_vgpr_msb 1                        ;  msbs: dst=0 src0=1 src1=0 src2=0
	v_mul_i32_i24_e32 v52, v42 /*v298*/, v144
	s_set_vgpr_msb 0                        ;  msbs: dst=0 src0=0 src1=0 src2=0
	v_add3_u32 v5, v5, v21, v22
	v_add3_u32 v3, v3, v30, v32
	s_set_vgpr_msb 5                        ;  msbs: dst=0 src0=1 src1=1 src2=0
	v_mul_i32_i24_e32 v30, v208 /*v464*/, v60 /*v316*/
	v_mul_i32_i24_e32 v32, v209 /*v465*/, v61 /*v317*/
	s_set_vgpr_msb 4                        ;  msbs: dst=0 src0=0 src1=1 src2=0
	v_mul_i32_i24_e32 v55, v146, v46 /*v302*/
	s_set_vgpr_msb 0                        ;  msbs: dst=0 src0=0 src1=0 src2=0
	v_add3_u32 v5, v5, v24, v25
	v_add3_u32 v3, v3, v34, v36
	s_set_vgpr_msb 5                        ;  msbs: dst=0 src0=1 src1=1 src2=0
	v_mul_i32_i24_e32 v34, v210 /*v466*/, v62 /*v318*/
	v_mul_i32_i24_e32 v36, v64 /*v320*/, v211 /*v467*/
	s_set_vgpr_msb 4                        ;  msbs: dst=0 src0=0 src1=1 src2=0
	v_mul_i32_i24_e32 v141, v147, v48 /*v304*/
	;; [unrolled: 8-line block ×3, first 2 shown]
	s_set_vgpr_msb 0                        ;  msbs: dst=0 src0=0 src1=0 src2=0
	v_add3_u32 v5, v5, v29, v30
	v_add3_u32 v3, v3, v42, v44
	s_set_vgpr_msb 5                        ;  msbs: dst=0 src0=1 src1=1 src2=0
	v_mul_i32_i24_e32 v42, v66 /*v322*/, v213 /*v469*/
	v_mul_i32_i24_e32 v44, v68 /*v324*/, v214 /*v470*/
	;; [unrolled: 1-line block ×3, first 2 shown]
	s_set_vgpr_msb 0                        ;  msbs: dst=0 src0=0 src1=0 src2=0
	v_add3_u32 v5, v5, v32, v34
	v_add3_u32 v3, v3, v46, v48
	s_set_vgpr_msb 5                        ;  msbs: dst=0 src0=1 src1=1 src2=0
	v_mul_i32_i24_e32 v46, v67 /*v323*/, v197 /*v453*/
	v_mul_i32_i24_e32 v48, v69 /*v325*/, v215 /*v471*/
	s_set_vgpr_msb 4                        ;  msbs: dst=0 src0=0 src1=1 src2=0
	v_mul_i32_i24_e32 v18, v168, v199 /*v455*/
	s_set_vgpr_msb 0                        ;  msbs: dst=0 src0=0 src1=0 src2=0
	v_add3_u32 v5, v5, v36, v38
	v_add3_u32 v3, v3, v52, v53
	s_set_vgpr_msb 5                        ;  msbs: dst=0 src0=1 src1=1 src2=0
	v_mul_i32_i24_e32 v52, v70 /*v326*/, v216 /*v472*/
	v_mul_i32_i24_e32 v53, v72 /*v328*/, v217 /*v473*/
	s_set_vgpr_msb 0                        ;  msbs: dst=0 src0=0 src1=0 src2=0
	v_add3_u32 v0, v7, v0, v18
	v_add3_u32 v5, v5, v40, v42
	;; [unrolled: 1-line block ×3, first 2 shown]
	s_set_vgpr_msb 5                        ;  msbs: dst=0 src0=1 src1=1 src2=0
	v_mul_i32_i24_e32 v55, v71 /*v327*/, v198 /*v454*/
	v_mul_i32_i24_e32 v141, v218 /*v474*/, v73 /*v329*/
	s_set_vgpr_msb 0                        ;  msbs: dst=0 src0=0 src1=0 src2=0
	v_mul_lo_u32 v0, v0, v170
	v_add3_u32 v5, v5, v44, v46
	s_set_vgpr_msb 0x55                     ;  msbs: dst=1 src0=1 src1=1 src2=1
	v_pk_fma_f32 v[172:173] /*v[428:429]*/, v[192:193] /*v[448:449]*/, v[172:173] /*v[428:429]*/, v[176:177] /*v[432:433]*/
	s_set_vgpr_msb 0                        ;  msbs: dst=0 src0=0 src1=0 src2=0
	s_delay_alu instid0(VALU_DEP_2) | instskip(SKIP_1) | instid1(VALU_DEP_2)
	v_add3_u32 v5, v5, v48, v52
	s_set_vgpr_msb 0x51                     ;  msbs: dst=1 src0=1 src1=0 src2=1
	v_pk_fma_f32 v[172:173] /*v[428:429]*/, v[172:173] /*v[428:429]*/, v[92:93], v[174:175] /*v[430:431]*/ neg_lo:[0,0,1] neg_hi:[0,0,1]
	s_set_vgpr_msb 0                        ;  msbs: dst=0 src0=0 src1=0 src2=0
	s_delay_alu instid0(VALU_DEP_2)
	v_add3_u32 v6, v5, v53, v55
	s_set_vgpr_msb 4                        ;  msbs: dst=0 src0=0 src1=1 src2=0
	v_mul_i32_i24_e32 v5, v149, v12 /*v268*/
	v_cvt_f32_i32_e32 v0, v0
	v_pk_add_f32 v[72:73], v[72:73], v[172:173] /*v[428:429]*/
	s_set_vgpr_msb 0                        ;  msbs: dst=0 src0=0 src1=0 src2=0
	v_add3_u32 v6, v6, v141, v143
	v_add3_u32 v3, v3, v142, v5
	s_set_vgpr_msb 4                        ;  msbs: dst=0 src0=0 src1=1 src2=0
	v_pk_fma_f32 v[4:5], v[114:115], v[190:191] /*v[446:447]*/, 0 op_sel_hi:[0,1,0]
	s_delay_alu instid0(VALU_DEP_2) | instskip(NEXT) | instid1(VALU_DEP_1)
	v_mul_lo_u32 v2, v3, v13 /*v269*/
	v_cvt_f32_i32_e32 v3, v2
	v_cvt_f32_i32_e32 v2, v1
	s_set_vgpr_msb 1                        ;  msbs: dst=0 src0=1 src1=0 src2=0
	v_mul_i32_i24_e32 v1, v220 /*v476*/, v169
	s_delay_alu instid0(VALU_DEP_2) | instskip(SKIP_1) | instid1(VALU_DEP_2)
	v_pk_fma_f32 v[2:3], v[188:189] /*v[444:445]*/, v[2:3], 0 op_sel_hi:[1,1,0]
	s_set_vgpr_msb 0                        ;  msbs: dst=0 src0=0 src1=0 src2=0
	v_add3_u32 v1, v6, v1, v9
	s_delay_alu instid0(VALU_DEP_1) | instskip(NEXT) | instid1(VALU_DEP_1)
	v_mul_lo_u32 v1, v1, v170
	v_cvt_f32_i32_e32 v1, v1
	s_set_vgpr_msb 1                        ;  msbs: dst=0 src0=1 src1=0 src2=0
	s_delay_alu instid0(VALU_DEP_1) | instskip(SKIP_3) | instid1(VALU_DEP_1)
	v_pk_fma_f32 v[0:1], v[192:193] /*v[448:449]*/, v[0:1], v[2:3]
	s_set_vgpr_msb 4                        ;  msbs: dst=0 src0=0 src1=1 src2=0
	v_pk_fma_f32 v[2:3], v[112:113], v[184:185] /*v[440:441]*/, v[4:5] op_sel_hi:[0,1,1]
	s_set_vgpr_msb 0                        ;  msbs: dst=0 src0=0 src1=0 src2=0
	v_pk_mul_f32 v[2:3], v[2:3], v[102:103]
	s_delay_alu instid0(VALU_DEP_1) | instskip(NEXT) | instid1(VALU_DEP_1)
	v_pk_fma_f32 v[0:1], v[0:1], v[94:95], v[2:3] neg_lo:[0,0,1] neg_hi:[0,0,1]
	v_pk_add_f32 v[80:81], v[80:81], v[0:1]
	v_or_b32_e32 v0, s5, v135
	s_delay_alu instid0(VALU_DEP_1)
	v_lshlrev_b32_e32 v1, 2, v0
	s_set_vgpr_msb 64                       ;  msbs: dst=1 src0=0 src1=0 src2=0
	v_lshrrev_b32_e32 v248 /*v504*/, 1, v0
	s_set_vgpr_msb 0                        ;  msbs: dst=0 src0=0 src1=0 src2=0
	ds_load_b128 v[4:7], v1 offset:16896
	s_set_vgpr_msb 64                       ;  msbs: dst=1 src0=0 src1=0 src2=0
	ds_load_b128 v[168:171] /*v[424:427]*/, v1 offset:16912
	ds_load_b128 v[172:175] /*v[428:431]*/, v1 offset:16928
	s_set_vgpr_msb 0                        ;  msbs: dst=0 src0=0 src1=0 src2=0
	ds_load_b128 v[0:3], v1 offset:16944
	s_wait_dscnt 0x3
	v_bfe_i32 v9, v4, 0, 8
	v_bfe_i32 v18, v4, 8, 8
	;; [unrolled: 1-line block ×3, first 2 shown]
	v_ashrrev_i32_e32 v4, 24, v4
	s_wait_dscnt 0x1
	s_set_vgpr_msb 1                        ;  msbs: dst=0 src0=1 src1=0 src2=0
	v_bfe_i32 v148, v173 /*v429*/, 0, 8
	v_bfe_i32 v149, v173 /*v429*/, 8, 8
	;; [unrolled: 1-line block ×3, first 2 shown]
	s_set_vgpr_msb 4                        ;  msbs: dst=0 src0=0 src1=1 src2=0
	v_dual_ashrrev_i32 v151, 24, v173 /*v429*/ :: v_dual_ashrrev_i32 v155, 24, v174 /*v430*/
	s_set_vgpr_msb 0x44                     ;  msbs: dst=1 src0=0 src1=1 src2=0
	v_mul_i32_i24_e32 v173 /*v429*/, v9, v110 /*v366*/
	s_set_vgpr_msb 4                        ;  msbs: dst=0 src0=0 src1=1 src2=0
	v_bfe_i32 v20, v5, 0, 8
	v_bfe_i32 v21, v5, 8, 8
	v_dual_ashrrev_i32 v38, 24, v168 /*v424*/ :: v_dual_ashrrev_i32 v46, 24, v169 /*v425*/
	s_set_vgpr_msb 1                        ;  msbs: dst=0 src0=1 src1=0 src2=0
	v_bfe_i32 v40, v169 /*v425*/, 0, 8
	v_bfe_i32 v42, v169 /*v425*/, 8, 8
	;; [unrolled: 1-line block ×6, first 2 shown]
	s_set_vgpr_msb 4                        ;  msbs: dst=0 src0=0 src1=1 src2=0
	v_dual_ashrrev_i32 v55, 24, v170 /*v426*/ :: v_dual_ashrrev_i32 v147, 24, v172 /*v428*/
	s_set_vgpr_msb 1                        ;  msbs: dst=0 src0=1 src1=0 src2=0
	v_bfe_i32 v141, v171 /*v427*/, 0, 8
	v_bfe_i32 v142, v171 /*v427*/, 8, 8
	;; [unrolled: 1-line block ×3, first 2 shown]
	s_set_vgpr_msb 0x44                     ;  msbs: dst=1 src0=0 src1=1 src2=0
	v_ashrrev_i32_e32 v169 /*v425*/, 24, v171 /*v427*/
	s_set_vgpr_msb 1                        ;  msbs: dst=0 src0=1 src1=0 src2=0
	v_bfe_i32 v144, v172 /*v428*/, 0, 8
	v_bfe_i32 v145, v172 /*v428*/, 8, 8
	;; [unrolled: 1-line block ×7, first 2 shown]
	s_set_vgpr_msb 0x41                     ;  msbs: dst=1 src0=1 src1=0 src2=0
	v_bfe_i32 v170 /*v426*/, v175 /*v431*/, 8, 8
	v_bfe_i32 v171 /*v427*/, v175 /*v431*/, 16, 8
	s_set_vgpr_msb 0x54                     ;  msbs: dst=1 src0=0 src1=1 src2=1
	v_ashrrev_i32_e32 v172 /*v428*/, 24, v175 /*v431*/
	v_mul_i32_i24_e32 v174 /*v430*/, v19, v111 /*v367*/
	v_mul_i32_i24_e32 v175 /*v431*/, v4, v112 /*v368*/
	v_mad_i32_i24 v173 /*v429*/, v18, v109 /*v365*/, v173 /*v429*/
	s_set_vgpr_msb 0                        ;  msbs: dst=0 src0=0 src1=0 src2=0
	v_bfe_i32 v22, v5, 16, 8
	v_ashrrev_i32_e32 v5, 24, v5
	v_bfe_i32 v24, v6, 0, 8
	v_bfe_i32 v25, v6, 8, 8
	s_set_vgpr_msb 0x55                     ;  msbs: dst=1 src0=1 src1=1 src2=1
	v_add3_u32 v173 /*v429*/, v173 /*v429*/, v174 /*v430*/, v175 /*v431*/
	s_set_vgpr_msb 0x44                     ;  msbs: dst=1 src0=0 src1=1 src2=0
	v_mul_i32_i24_e32 v174 /*v430*/, v20, v113 /*v369*/
	v_mul_i32_i24_e32 v175 /*v431*/, v21, v114 /*v370*/
	;; [unrolled: 1-line block ×4, first 2 shown]
	s_set_vgpr_msb 0                        ;  msbs: dst=0 src0=0 src1=0 src2=0
	v_bfe_i32 v26, v6, 16, 8
	v_ashrrev_i32_e32 v6, 24, v6
	s_set_vgpr_msb 0x55                     ;  msbs: dst=1 src0=1 src1=1 src2=1
	v_add3_u32 v173 /*v429*/, v173 /*v429*/, v174 /*v430*/, v175 /*v431*/
	s_set_vgpr_msb 0x44                     ;  msbs: dst=1 src0=0 src1=1 src2=0
	v_mul_i32_i24_e32 v178 /*v434*/, v24, v117 /*v373*/
	v_mul_i32_i24_e32 v179 /*v435*/, v25, v118 /*v374*/
	s_set_vgpr_msb 0                        ;  msbs: dst=0 src0=0 src1=0 src2=0
	v_bfe_i32 v28, v7, 0, 8
	v_bfe_i32 v29, v7, 8, 8
	s_set_vgpr_msb 0x55                     ;  msbs: dst=1 src0=1 src1=1 src2=1
	v_add3_u32 v173 /*v429*/, v173 /*v429*/, v176 /*v432*/, v177 /*v433*/
	s_set_vgpr_msb 0x44                     ;  msbs: dst=1 src0=0 src1=1 src2=0
	v_mul_i32_i24_e32 v180 /*v436*/, v26, v119 /*v375*/
	v_mul_i32_i24_e32 v181 /*v437*/, v6, v120 /*v376*/
	s_set_vgpr_msb 0                        ;  msbs: dst=0 src0=0 src1=0 src2=0
	v_bfe_i32 v30, v7, 16, 8
	v_ashrrev_i32_e32 v7, 24, v7
	s_set_vgpr_msb 0x55                     ;  msbs: dst=1 src0=1 src1=1 src2=1
	v_add3_u32 v173 /*v429*/, v173 /*v429*/, v178 /*v434*/, v179 /*v435*/
	s_set_vgpr_msb 0x44                     ;  msbs: dst=1 src0=0 src1=1 src2=0
	v_mul_i32_i24_e32 v182 /*v438*/, v28, v121 /*v377*/
	v_mul_i32_i24_e32 v183 /*v439*/, v29, v122 /*v378*/
	s_set_vgpr_msb 1                        ;  msbs: dst=0 src0=1 src1=0 src2=0
	v_bfe_i32 v32, v168 /*v424*/, 0, 8
	v_bfe_i32 v34, v168 /*v424*/, 8, 8
	s_set_vgpr_msb 0x55                     ;  msbs: dst=1 src0=1 src1=1 src2=1
	v_add3_u32 v173 /*v429*/, v173 /*v429*/, v180 /*v436*/, v181 /*v437*/
	s_wait_dscnt 0x0
	s_set_vgpr_msb 64                       ;  msbs: dst=1 src0=0 src1=0 src2=0
	v_bfe_i32 v185 /*v441*/, v0, 0, 8
	v_bfe_i32 v186 /*v442*/, v0, 8, 8
	;; [unrolled: 1-line block ×3, first 2 shown]
	s_set_vgpr_msb 0                        ;  msbs: dst=0 src0=0 src1=0 src2=0
	v_ashrrev_i32_e32 v0, 24, v0
	s_set_vgpr_msb 0x44                     ;  msbs: dst=1 src0=0 src1=1 src2=0
	v_mul_i32_i24_e32 v184 /*v440*/, v30, v123 /*v379*/
	v_mul_i32_i24_e32 v196 /*v452*/, v7, v124 /*v380*/
	s_set_vgpr_msb 0x55                     ;  msbs: dst=1 src0=1 src1=1 src2=1
	v_add3_u32 v173 /*v429*/, v173 /*v429*/, v182 /*v438*/, v183 /*v439*/
	s_set_vgpr_msb 1                        ;  msbs: dst=0 src0=1 src1=0 src2=0
	v_bfe_i32 v36, v168 /*v424*/, 16, 8
	s_set_vgpr_msb 0x44                     ;  msbs: dst=1 src0=0 src1=1 src2=0
	v_mul_i32_i24_e32 v197 /*v453*/, v32, v125 /*v381*/
	v_mul_i32_i24_e32 v198 /*v454*/, v34, v126 /*v382*/
	s_set_vgpr_msb 0x41                     ;  msbs: dst=1 src0=1 src1=0 src2=0
	v_mul_i32_i24_e32 v200 /*v456*/, v127 /*v383*/, v38
	s_set_vgpr_msb 0x55                     ;  msbs: dst=1 src0=1 src1=1 src2=1
	v_add3_u32 v173 /*v429*/, v173 /*v429*/, v184 /*v440*/, v196 /*v452*/
	s_set_vgpr_msb 0x41                     ;  msbs: dst=1 src0=1 src1=0 src2=0
	v_mul_i32_i24_e32 v199 /*v455*/, v128 /*v384*/, v36
	v_mul_i32_i24_e32 v201 /*v457*/, v130 /*v386*/, v40
	;; [unrolled: 1-line block ×4, first 2 shown]
	s_set_vgpr_msb 0x55                     ;  msbs: dst=1 src0=1 src1=1 src2=1
	v_add3_u32 v173 /*v429*/, v173 /*v429*/, v197 /*v453*/, v198 /*v454*/
	s_set_vgpr_msb 0x41                     ;  msbs: dst=1 src0=1 src1=0 src2=0
	v_mul_i32_i24_e32 v204 /*v460*/, v131 /*v387*/, v46
	v_mul_i32_i24_e32 v205 /*v461*/, v140 /*v396*/, v48
	;; [unrolled: 1-line block ×4, first 2 shown]
	s_set_vgpr_msb 0x55                     ;  msbs: dst=1 src0=1 src1=1 src2=1
	v_add3_u32 v173 /*v429*/, v173 /*v429*/, v199 /*v455*/, v200 /*v456*/
	s_set_vgpr_msb 0x41                     ;  msbs: dst=1 src0=1 src1=0 src2=0
	v_mul_i32_i24_e32 v208 /*v464*/, v141 /*v397*/, v55
	s_set_vgpr_msb 0x44                     ;  msbs: dst=1 src0=0 src1=1 src2=0
	v_mul_i32_i24_e32 v209 /*v465*/, v141, v146 /*v402*/
	v_mul_i32_i24_e32 v210 /*v466*/, v142, v147 /*v403*/
	s_set_vgpr_msb 0x41                     ;  msbs: dst=1 src0=1 src1=0 src2=0
	v_mul_i32_i24_e32 v174 /*v430*/, v150 /*v406*/, v146
	s_set_vgpr_msb 0x55                     ;  msbs: dst=1 src0=1 src1=1 src2=1
	v_add3_u32 v173 /*v429*/, v173 /*v429*/, v201 /*v457*/, v202 /*v458*/
	s_set_vgpr_msb 0x41                     ;  msbs: dst=1 src0=1 src1=0 src2=0
	v_mul_i32_i24_e32 v175 /*v431*/, v142 /*v398*/, v147
	v_mul_i32_i24_e32 v176 /*v432*/, v151 /*v407*/, v150
	;; [unrolled: 1-line block ×4, first 2 shown]
	s_set_vgpr_msb 0x55                     ;  msbs: dst=1 src0=1 src1=1 src2=1
	v_add3_u32 v173 /*v429*/, v173 /*v429*/, v203 /*v459*/, v204 /*v460*/
	s_set_vgpr_msb 0x41                     ;  msbs: dst=1 src0=1 src1=0 src2=0
	v_mul_i32_i24_e32 v179 /*v435*/, v154 /*v410*/, v153
	v_mul_i32_i24_e32 v180 /*v436*/, v153 /*v409*/, v154
	;; [unrolled: 1-line block ×4, first 2 shown]
	s_set_vgpr_msb 0x55                     ;  msbs: dst=1 src0=1 src1=1 src2=1
	v_add3_u32 v173 /*v429*/, v173 /*v429*/, v205 /*v461*/, v206 /*v462*/
	v_mul_i32_i24_e32 v183 /*v439*/, v157 /*v413*/, v170 /*v426*/
	v_mul_i32_i24_e32 v184 /*v440*/, v156 /*v412*/, v171 /*v427*/
	;; [unrolled: 1-line block ×4, first 2 shown]
	v_add3_u32 v173 /*v429*/, v173 /*v429*/, v207 /*v463*/, v208 /*v464*/
	v_mul_i32_i24_e32 v198 /*v454*/, v160 /*v416*/, v186 /*v442*/
	s_set_vgpr_msb 64                       ;  msbs: dst=1 src0=0 src1=0 src2=0
	v_bfe_i32 v188 /*v444*/, v1, 0, 8
	v_bfe_i32 v189 /*v445*/, v1, 8, 8
	s_set_vgpr_msb 0x55                     ;  msbs: dst=1 src0=1 src1=1 src2=1
	v_mul_i32_i24_e32 v199 /*v455*/, v159 /*v415*/, v187 /*v443*/
	v_add3_u32 v250 /*v506*/, v173 /*v429*/, v209 /*v465*/, v210 /*v466*/
	s_set_vgpr_msb 64                       ;  msbs: dst=1 src0=0 src1=0 src2=0
	v_mul_i32_i24_e32 v173 /*v429*/, v120, v144
	s_set_vgpr_msb 0x41                     ;  msbs: dst=1 src0=1 src1=0 src2=0
	v_mul_i32_i24_e32 v200 /*v456*/, v137 /*v393*/, v0
	s_set_vgpr_msb 64                       ;  msbs: dst=1 src0=0 src1=0 src2=0
	v_bfe_i32 v190 /*v446*/, v1, 16, 8
	s_set_vgpr_msb 0                        ;  msbs: dst=0 src0=0 src1=0 src2=0
	v_ashrrev_i32_e32 v1, 24, v1
	s_set_vgpr_msb 0x45                     ;  msbs: dst=1 src0=1 src1=1 src2=0
	v_mul_i32_i24_e32 v201 /*v457*/, v164 /*v420*/, v188 /*v444*/
	s_set_vgpr_msb 0x51                     ;  msbs: dst=1 src0=1 src1=0 src2=1
	v_mad_i32_i24 v173 /*v429*/, v149 /*v405*/, v145, v173 /*v429*/
	s_set_vgpr_msb 0x45                     ;  msbs: dst=1 src0=1 src1=1 src2=0
	v_mul_i32_i24_e32 v202 /*v458*/, v163 /*v419*/, v189 /*v445*/
	s_set_vgpr_msb 64                       ;  msbs: dst=1 src0=0 src1=0 src2=0
	v_bfe_i32 v191 /*v447*/, v2, 0, 8
	v_bfe_i32 v192 /*v448*/, v2, 8, 8
	;; [unrolled: 1-line block ×3, first 2 shown]
	s_set_vgpr_msb 0x55                     ;  msbs: dst=1 src0=1 src1=1 src2=1
	v_add3_u32 v173 /*v429*/, v173 /*v429*/, v174 /*v430*/, v175 /*v431*/
	s_set_vgpr_msb 64                       ;  msbs: dst=1 src0=0 src1=0 src2=0
	v_mul_i32_i24_e32 v174 /*v430*/, v121, v148
	s_set_vgpr_msb 0x41                     ;  msbs: dst=1 src0=1 src1=0 src2=0
	v_mul_i32_i24_e32 v175 /*v431*/, v152 /*v408*/, v149
	s_set_vgpr_msb 0                        ;  msbs: dst=0 src0=0 src1=0 src2=0
	v_ashrrev_i32_e32 v2, 24, v2
	s_set_vgpr_msb 0x45                     ;  msbs: dst=1 src0=1 src1=1 src2=0
	v_mul_i32_i24_e32 v203 /*v459*/, v162 /*v418*/, v190 /*v446*/
	s_set_vgpr_msb 0x41                     ;  msbs: dst=1 src0=1 src1=0 src2=0
	v_mul_i32_i24_e32 v204 /*v460*/, v138 /*v394*/, v1
	s_set_vgpr_msb 0x55                     ;  msbs: dst=1 src0=1 src1=1 src2=1
	v_mul_i32_i24_e32 v205 /*v461*/, v167 /*v423*/, v191 /*v447*/
	v_add3_u32 v173 /*v429*/, v173 /*v429*/, v174 /*v430*/, v175 /*v431*/
	v_mul_i32_i24_e32 v206 /*v462*/, v166 /*v422*/, v192 /*v448*/
	v_mul_i32_i24_e32 v207 /*v463*/, v165 /*v421*/, v193 /*v449*/
	s_set_vgpr_msb 0x41                     ;  msbs: dst=1 src0=1 src1=0 src2=0
	v_mul_i32_i24_e32 v208 /*v464*/, v139 /*v395*/, v2
	s_set_vgpr_msb 0x44                     ;  msbs: dst=1 src0=0 src1=1 src2=0
	v_mul_i32_i24_e32 v174 /*v430*/, v19, v82 /*v338*/
	s_set_vgpr_msb 0x55                     ;  msbs: dst=1 src0=1 src1=1 src2=1
	v_add3_u32 v173 /*v429*/, v173 /*v429*/, v176 /*v432*/, v177 /*v433*/
	s_set_vgpr_msb 0x44                     ;  msbs: dst=1 src0=0 src1=1 src2=0
	v_mul_i32_i24_e32 v175 /*v431*/, v4, v83 /*v339*/
	v_mul_i32_i24_e32 v176 /*v432*/, v22, v86 /*v342*/
	;; [unrolled: 1-line block ×3, first 2 shown]
	s_set_vgpr_msb 0x41                     ;  msbs: dst=1 src0=1 src1=0 src2=0
	v_mul_i32_i24_e32 v209 /*v465*/, v106 /*v362*/, v55
	s_set_vgpr_msb 0x55                     ;  msbs: dst=1 src0=1 src1=1 src2=1
	v_add3_u32 v173 /*v429*/, v173 /*v429*/, v178 /*v434*/, v179 /*v435*/
	s_set_vgpr_msb 0x44                     ;  msbs: dst=1 src0=0 src1=1 src2=0
	v_mul_i32_i24_e32 v178 /*v434*/, v24, v88 /*v344*/
	v_mul_i32_i24_e32 v179 /*v435*/, v25, v89 /*v345*/
	;; [unrolled: 1-line block ×3, first 2 shown]
	s_set_vgpr_msb 64                       ;  msbs: dst=1 src0=0 src1=0 src2=0
	v_mul_i32_i24_e32 v211 /*v467*/, v142, v195
	s_set_vgpr_msb 0x55                     ;  msbs: dst=1 src0=1 src1=1 src2=1
	v_add3_u32 v173 /*v429*/, v173 /*v429*/, v180 /*v436*/, v181 /*v437*/
	s_set_vgpr_msb 0x44                     ;  msbs: dst=1 src0=0 src1=1 src2=0
	v_mul_i32_i24_e32 v180 /*v436*/, v26, v90 /*v346*/
	v_mul_i32_i24_e32 v181 /*v437*/, v6, v91 /*v347*/
	s_set_vgpr_msb 64                       ;  msbs: dst=1 src0=0 src1=0 src2=0
	v_mul_i32_i24_e32 v212 /*v468*/, v233, v2
	v_mul_i32_i24_e32 v213 /*v469*/, v231, v53
	s_set_vgpr_msb 0x55                     ;  msbs: dst=1 src0=1 src1=1 src2=1
	v_add3_u32 v173 /*v429*/, v173 /*v429*/, v182 /*v438*/, v183 /*v439*/
	s_set_vgpr_msb 0x44                     ;  msbs: dst=1 src0=0 src1=1 src2=0
	v_mul_i32_i24_e32 v182 /*v438*/, v28, v92 /*v348*/
	s_set_vgpr_msb 64                       ;  msbs: dst=1 src0=0 src1=0 src2=0
	v_mul_i32_i24_e32 v214 /*v470*/, v226, v55
	v_mul_i32_i24_e32 v215 /*v471*/, v141, v237
	;; [unrolled: 1-line block ×3, first 2 shown]
	s_set_vgpr_msb 0x55                     ;  msbs: dst=1 src0=1 src1=1 src2=1
	v_add3_u32 v173 /*v429*/, v173 /*v429*/, v184 /*v440*/, v196 /*v452*/
	s_set_vgpr_msb 0x44                     ;  msbs: dst=1 src0=0 src1=1 src2=0
	v_mul_i32_i24_e32 v184 /*v440*/, v29, v93 /*v349*/
	v_mul_i32_i24_e32 v196 /*v452*/, v30, v94 /*v350*/
	s_set_vgpr_msb 0x41                     ;  msbs: dst=1 src0=1 src1=0 src2=0
	v_mul_i32_i24_e32 v217 /*v473*/, v8 /*v264*/, v2
	s_set_vgpr_msb 1                        ;  msbs: dst=0 src0=1 src1=0 src2=0
	v_mul_i32_i24_e32 v2, v71 /*v327*/, v2
	s_set_vgpr_msb 0x55                     ;  msbs: dst=1 src0=1 src1=1 src2=1
	v_add3_u32 v173 /*v429*/, v173 /*v429*/, v197 /*v453*/, v198 /*v454*/
	s_set_vgpr_msb 0x44                     ;  msbs: dst=1 src0=0 src1=1 src2=0
	v_mul_i32_i24_e32 v197 /*v453*/, v7, v95 /*v351*/
	v_mul_i32_i24_e32 v198 /*v454*/, v32, v96 /*v352*/
	v_bfe_i32 v194 /*v450*/, v3, 0, 8
	v_bfe_i32 v195 /*v451*/, v3, 8, 8
	s_set_vgpr_msb 0x55                     ;  msbs: dst=1 src0=1 src1=1 src2=1
	v_add3_u32 v173 /*v429*/, v173 /*v429*/, v199 /*v455*/, v200 /*v456*/
	s_set_vgpr_msb 0x44                     ;  msbs: dst=1 src0=0 src1=1 src2=0
	v_mul_i32_i24_e32 v199 /*v455*/, v34, v97 /*v353*/
	s_set_vgpr_msb 0x41                     ;  msbs: dst=1 src0=1 src1=0 src2=0
	v_mul_i32_i24_e32 v200 /*v456*/, v99 /*v355*/, v36
	s_set_vgpr_msb 0x55                     ;  msbs: dst=1 src0=1 src1=1 src2=1
	v_mul_i32_i24_e32 v251 /*v507*/, v194 /*v450*/, v143 /*v399*/
	v_mul_i32_i24_e32 v252 /*v508*/, v195 /*v451*/, v145 /*v401*/
	v_add3_u32 v173 /*v429*/, v173 /*v429*/, v201 /*v457*/, v202 /*v458*/
	s_set_vgpr_msb 0x41                     ;  msbs: dst=1 src0=1 src1=0 src2=0
	v_mul_i32_i24_e32 v201 /*v457*/, v98 /*v354*/, v38
	v_mul_i32_i24_e32 v202 /*v458*/, v101 /*v357*/, v40
	s_set_vgpr_msb 0x44                     ;  msbs: dst=1 src0=0 src1=1 src2=0
	v_mul_i32_i24_e32 v249 /*v505*/, v143, v148 /*v404*/
	v_bfe_i32 v168 /*v424*/, v3, 16, 8
	s_set_vgpr_msb 0x55                     ;  msbs: dst=1 src0=1 src1=1 src2=1
	v_add3_u32 v173 /*v429*/, v173 /*v429*/, v203 /*v459*/, v204 /*v460*/
	s_set_vgpr_msb 0x41                     ;  msbs: dst=1 src0=1 src1=0 src2=0
	v_mul_i32_i24_e32 v203 /*v459*/, v100 /*v356*/, v42
	v_mul_i32_i24_e32 v204 /*v460*/, v103 /*v359*/, v44
	s_set_vgpr_msb 64                       ;  msbs: dst=1 src0=0 src1=0 src2=0
	v_mul_i32_i24_e32 v183 /*v439*/, v143, v197
	s_set_vgpr_msb 0x55                     ;  msbs: dst=1 src0=1 src1=1 src2=1
	v_add3_u32 v173 /*v429*/, v173 /*v429*/, v205 /*v461*/, v206 /*v462*/
	s_set_vgpr_msb 0x41                     ;  msbs: dst=1 src0=1 src1=0 src2=0
	v_mul_i32_i24_e32 v205 /*v461*/, v102 /*v358*/, v46
	v_mul_i32_i24_e32 v206 /*v462*/, v105 /*v361*/, v48
	s_set_vgpr_msb 0x55                     ;  msbs: dst=1 src0=1 src1=1 src2=1
	v_add3_u32 v253 /*v509*/, v173 /*v429*/, v207 /*v463*/, v208 /*v464*/
	s_set_vgpr_msb 0x44                     ;  msbs: dst=1 src0=0 src1=1 src2=0
	v_mul_i32_i24_e32 v173 /*v429*/, v9, v81 /*v337*/
	s_set_vgpr_msb 0x41                     ;  msbs: dst=1 src0=1 src1=0 src2=0
	v_mul_i32_i24_e32 v207 /*v463*/, v104 /*v360*/, v52
	v_mul_i32_i24_e32 v208 /*v464*/, v107 /*v363*/, v53
	s_set_vgpr_msb 0x54                     ;  msbs: dst=1 src0=0 src1=1 src2=1
	v_mad_i32_i24 v173 /*v429*/, v18, v80 /*v336*/, v173 /*v429*/
	s_set_vgpr_msb 0x55                     ;  msbs: dst=1 src0=1 src1=1 src2=1
	s_delay_alu instid0(VALU_DEP_1) | instskip(SKIP_4) | instid1(VALU_DEP_1)
	v_add3_u32 v173 /*v429*/, v173 /*v429*/, v174 /*v430*/, v175 /*v431*/
	s_set_vgpr_msb 0x44                     ;  msbs: dst=1 src0=0 src1=1 src2=0
	v_mul_i32_i24_e32 v174 /*v430*/, v20, v84 /*v340*/
	v_mul_i32_i24_e32 v175 /*v431*/, v21, v85 /*v341*/
	s_set_vgpr_msb 0x55                     ;  msbs: dst=1 src0=1 src1=1 src2=1
	v_add3_u32 v173 /*v429*/, v173 /*v429*/, v174 /*v430*/, v175 /*v431*/
	s_set_vgpr_msb 64                       ;  msbs: dst=1 src0=0 src1=0 src2=0
	v_mul_i32_i24_e32 v174 /*v430*/, v146, v187
	v_mul_i32_i24_e32 v175 /*v431*/, v147, v193
	s_set_vgpr_msb 0x55                     ;  msbs: dst=1 src0=1 src1=1 src2=1
	v_add3_u32 v173 /*v429*/, v173 /*v429*/, v176 /*v432*/, v177 /*v433*/
	s_set_vgpr_msb 64                       ;  msbs: dst=1 src0=0 src1=0 src2=0
	v_mul_i32_i24_e32 v176 /*v432*/, v150, v191
	v_mul_i32_i24_e32 v177 /*v433*/, v151, v201
	;; [unrolled: 5-line block ×3, first 2 shown]
	s_set_vgpr_msb 0x55                     ;  msbs: dst=1 src0=1 src1=1 src2=1
	v_add3_u32 v173 /*v429*/, v173 /*v429*/, v180 /*v436*/, v181 /*v437*/
	s_set_vgpr_msb 0x41                     ;  msbs: dst=1 src0=1 src1=0 src2=0
	v_mul_i32_i24_e32 v180 /*v436*/, v194 /*v450*/, v239
	v_mul_i32_i24_e32 v181 /*v437*/, v195 /*v451*/, v241
	s_set_vgpr_msb 0x55                     ;  msbs: dst=1 src0=1 src1=1 src2=1
	v_add3_u32 v173 /*v429*/, v173 /*v429*/, v182 /*v438*/, v184 /*v440*/
	s_set_vgpr_msb 64                       ;  msbs: dst=1 src0=0 src1=0 src2=0
	v_mul_i32_i24_e32 v182 /*v438*/, v154, v200
	s_set_vgpr_msb 0x55                     ;  msbs: dst=1 src0=1 src1=1 src2=1
	s_delay_alu instid0(VALU_DEP_2)
	v_add3_u32 v173 /*v429*/, v173 /*v429*/, v196 /*v452*/, v197 /*v453*/
	s_set_vgpr_msb 64                       ;  msbs: dst=1 src0=0 src1=0 src2=0
	v_mul_i32_i24_e32 v196 /*v452*/, v155, v208
	v_mul_i32_i24_e32 v197 /*v453*/, v156, v210
	s_set_vgpr_msb 0x55                     ;  msbs: dst=1 src0=1 src1=1 src2=1
	v_add3_u32 v173 /*v429*/, v173 /*v429*/, v198 /*v454*/, v199 /*v455*/
	s_set_vgpr_msb 0x41                     ;  msbs: dst=1 src0=1 src1=0 src2=0
	v_mul_i32_i24_e32 v198 /*v454*/, v170 /*v426*/, v212
	v_mul_i32_i24_e32 v199 /*v455*/, v171 /*v427*/, v207
	s_set_vgpr_msb 0x55                     ;  msbs: dst=1 src0=1 src1=1 src2=1
	v_add3_u32 v173 /*v429*/, v173 /*v429*/, v200 /*v456*/, v201 /*v457*/
	s_set_vgpr_msb 0x41                     ;  msbs: dst=1 src0=1 src1=0 src2=0
	v_mul_i32_i24_e32 v200 /*v456*/, v172 /*v428*/, v213
	v_mul_i32_i24_e32 v201 /*v457*/, v185 /*v441*/, v216
	s_set_vgpr_msb 0x55                     ;  msbs: dst=1 src0=1 src1=1 src2=1
	v_add3_u32 v173 /*v429*/, v173 /*v429*/, v202 /*v458*/, v203 /*v459*/
	s_set_vgpr_msb 0x41                     ;  msbs: dst=1 src0=1 src1=0 src2=0
	v_mul_i32_i24_e32 v202 /*v458*/, v186 /*v442*/, v217
	s_set_vgpr_msb 0x44                     ;  msbs: dst=1 src0=0 src1=1 src2=0
	v_mul_i32_i24_e32 v203 /*v459*/, v220, v187 /*v443*/
	s_set_vgpr_msb 0x55                     ;  msbs: dst=1 src0=1 src1=1 src2=1
	v_add3_u32 v173 /*v429*/, v173 /*v429*/, v204 /*v460*/, v205 /*v461*/
	s_set_vgpr_msb 64                       ;  msbs: dst=1 src0=0 src1=0 src2=0
	v_mul_i32_i24_e32 v204 /*v460*/, v218, v0
	s_set_vgpr_msb 0x44                     ;  msbs: dst=1 src0=0 src1=1 src2=0
	v_mul_i32_i24_e32 v205 /*v461*/, v221, v188 /*v444*/
	s_set_vgpr_msb 0x55                     ;  msbs: dst=1 src0=1 src1=1 src2=1
	v_add3_u32 v173 /*v429*/, v173 /*v429*/, v206 /*v462*/, v207 /*v463*/
	s_set_vgpr_msb 0x44                     ;  msbs: dst=1 src0=0 src1=1 src2=0
	v_mul_i32_i24_e32 v206 /*v462*/, v222, v189 /*v445*/
	v_mul_i32_i24_e32 v207 /*v463*/, v227, v190 /*v446*/
	s_set_vgpr_msb 0x55                     ;  msbs: dst=1 src0=1 src1=1 src2=1
	v_add3_u32 v173 /*v429*/, v173 /*v429*/, v208 /*v464*/, v209 /*v465*/
	s_set_vgpr_msb 64                       ;  msbs: dst=1 src0=0 src1=0 src2=0
	v_mul_i32_i24_e32 v208 /*v464*/, v224, v1
	s_set_vgpr_msb 0x44                     ;  msbs: dst=1 src0=0 src1=1 src2=0
	v_mul_i32_i24_e32 v209 /*v465*/, v229, v191 /*v447*/
	s_set_vgpr_msb 0x55                     ;  msbs: dst=1 src0=1 src1=1 src2=1
	v_add3_u32 v184 /*v440*/, v173 /*v429*/, v210 /*v466*/, v211 /*v467*/
	s_set_vgpr_msb 64                       ;  msbs: dst=1 src0=0 src1=0 src2=0
	v_mul_i32_i24_e32 v173 /*v429*/, v144, v189
	s_set_vgpr_msb 0x44                     ;  msbs: dst=1 src0=0 src1=1 src2=0
	v_mul_i32_i24_e32 v210 /*v466*/, v230, v192 /*v448*/
	v_mul_i32_i24_e32 v211 /*v467*/, v236, v193 /*v449*/
	s_set_vgpr_msb 0x50                     ;  msbs: dst=1 src0=0 src1=0 src2=1
	v_mad_i32_i24 v173 /*v429*/, v145, v188, v173 /*v429*/
	s_set_vgpr_msb 0x55                     ;  msbs: dst=1 src0=1 src1=1 src2=1
	s_delay_alu instid0(VALU_DEP_1) | instskip(SKIP_4) | instid1(VALU_DEP_1)
	v_add3_u32 v173 /*v429*/, v173 /*v429*/, v174 /*v430*/, v175 /*v431*/
	s_set_vgpr_msb 64                       ;  msbs: dst=1 src0=0 src1=0 src2=0
	v_mul_i32_i24_e32 v174 /*v430*/, v148, v198
	v_mul_i32_i24_e32 v175 /*v431*/, v149, v199
	s_set_vgpr_msb 0x55                     ;  msbs: dst=1 src0=1 src1=1 src2=1
	v_add3_u32 v173 /*v429*/, v173 /*v429*/, v174 /*v430*/, v175 /*v431*/
	s_set_vgpr_msb 64                       ;  msbs: dst=1 src0=0 src1=0 src2=0
	v_mul_i32_i24_e32 v174 /*v430*/, v19, v177
	v_mul_i32_i24_e32 v175 /*v431*/, v4, v178
	s_set_vgpr_msb 4                        ;  msbs: dst=0 src0=0 src1=1 src2=0
	v_mul_i32_i24_e32 v19, v19, v16 /*v272*/
	v_mul_i32_i24_e32 v4, v4, v17 /*v273*/
	s_set_vgpr_msb 0x55                     ;  msbs: dst=1 src0=1 src1=1 src2=1
	v_add3_u32 v173 /*v429*/, v173 /*v429*/, v176 /*v432*/, v177 /*v433*/
	s_set_vgpr_msb 64                       ;  msbs: dst=1 src0=0 src1=0 src2=0
	v_mul_i32_i24_e32 v176 /*v432*/, v22, v181
	v_mul_i32_i24_e32 v177 /*v433*/, v5, v182
	s_set_vgpr_msb 4                        ;  msbs: dst=0 src0=0 src1=1 src2=0
	v_mul_i32_i24_e32 v5, v5, v21 /*v277*/
	s_set_vgpr_msb 0x55                     ;  msbs: dst=1 src0=1 src1=1 src2=1
	v_add3_u32 v173 /*v429*/, v173 /*v429*/, v178 /*v434*/, v179 /*v435*/
	s_set_vgpr_msb 64                       ;  msbs: dst=1 src0=0 src1=0 src2=0
	v_mul_i32_i24_e32 v179 /*v435*/, v24, v183
	v_mul_i32_i24_e32 v178 /*v434*/, v143, v242
	s_set_vgpr_msb 0x55                     ;  msbs: dst=1 src0=1 src1=1 src2=1
	v_add3_u32 v173 /*v429*/, v173 /*v429*/, v182 /*v438*/, v196 /*v452*/
	s_set_vgpr_msb 64                       ;  msbs: dst=1 src0=0 src1=0 src2=0
	v_mul_i32_i24_e32 v196 /*v452*/, v25, v184
	s_set_vgpr_msb 0x55                     ;  msbs: dst=1 src0=1 src1=1 src2=1
	s_delay_alu instid0(VALU_DEP_2)
	v_add3_u32 v173 /*v429*/, v173 /*v429*/, v197 /*v453*/, v198 /*v454*/
	s_set_vgpr_msb 64                       ;  msbs: dst=1 src0=0 src1=0 src2=0
	v_mul_i32_i24_e32 v197 /*v453*/, v26, v185
	v_mul_i32_i24_e32 v198 /*v454*/, v6, v186
	s_set_vgpr_msb 4                        ;  msbs: dst=0 src0=0 src1=1 src2=0
	v_mul_i32_i24_e32 v6, v6, v25 /*v281*/
	s_set_vgpr_msb 0x55                     ;  msbs: dst=1 src0=1 src1=1 src2=1
	v_add3_u32 v173 /*v429*/, v173 /*v429*/, v199 /*v455*/, v200 /*v456*/
	s_set_vgpr_msb 64                       ;  msbs: dst=1 src0=0 src1=0 src2=0
	v_mul_i32_i24_e32 v199 /*v455*/, v28, v190
	v_mul_i32_i24_e32 v200 /*v456*/, v29, v192
	s_set_vgpr_msb 0x55                     ;  msbs: dst=1 src0=1 src1=1 src2=1
	v_add3_u32 v173 /*v429*/, v173 /*v429*/, v201 /*v457*/, v202 /*v458*/
	s_set_vgpr_msb 64                       ;  msbs: dst=1 src0=0 src1=0 src2=0
	v_mul_i32_i24_e32 v201 /*v457*/, v30, v194
	v_mul_i32_i24_e32 v202 /*v458*/, v7, v196
	s_set_vgpr_msb 4                        ;  msbs: dst=0 src0=0 src1=1 src2=0
	v_mul_i32_i24_e32 v7, v7, v29 /*v285*/
	s_set_vgpr_msb 0x55                     ;  msbs: dst=1 src0=1 src1=1 src2=1
	v_add3_u32 v173 /*v429*/, v173 /*v429*/, v203 /*v459*/, v204 /*v460*/
	s_set_vgpr_msb 64                       ;  msbs: dst=1 src0=0 src1=0 src2=0
	v_mul_i32_i24_e32 v203 /*v459*/, v32, v202
	v_mul_i32_i24_e32 v204 /*v460*/, v34, v204
	s_set_vgpr_msb 0x55                     ;  msbs: dst=1 src0=1 src1=1 src2=1
	v_add3_u32 v173 /*v429*/, v173 /*v429*/, v205 /*v461*/, v206 /*v462*/
	s_set_vgpr_msb 64                       ;  msbs: dst=1 src0=0 src1=0 src2=0
	v_mul_i32_i24_e32 v205 /*v461*/, v209, v36
	v_mul_i32_i24_e32 v206 /*v462*/, v205, v38
	;; [unrolled: 5-line block ×4, first 2 shown]
	s_set_vgpr_msb 0x55                     ;  msbs: dst=1 src0=1 src1=1 src2=1
	v_add3_u32 v182 /*v438*/, v173 /*v429*/, v211 /*v467*/, v212 /*v468*/
	s_set_vgpr_msb 64                       ;  msbs: dst=1 src0=0 src1=0 src2=0
	v_mul_i32_i24_e32 v173 /*v429*/, v9, v176
	s_set_vgpr_msb 4                        ;  msbs: dst=0 src0=0 src1=1 src2=0
	v_mul_i32_i24_e32 v9, v9, v15 /*v271*/
	s_set_vgpr_msb 0x50                     ;  msbs: dst=1 src0=0 src1=0 src2=1
	v_mul_i32_i24_e32 v211 /*v467*/, v225, v48
	v_mul_i32_i24_e32 v212 /*v468*/, v223, v52
	v_mad_i32_i24 v173 /*v429*/, v18, v175, v173 /*v429*/
	s_set_vgpr_msb 4                        ;  msbs: dst=0 src0=0 src1=1 src2=0
	v_mad_i32_i24 v9, v18, v14 /*v270*/, v9
	v_mul_i32_i24_e32 v18, v21, v19 /*v275*/
	s_set_vgpr_msb 0x55                     ;  msbs: dst=1 src0=1 src1=1 src2=1
	v_add3_u32 v173 /*v429*/, v173 /*v429*/, v174 /*v430*/, v175 /*v431*/
	s_set_vgpr_msb 64                       ;  msbs: dst=1 src0=0 src1=0 src2=0
	v_mul_i32_i24_e32 v174 /*v430*/, v20, v179
	v_mul_i32_i24_e32 v175 /*v431*/, v21, v180
	s_set_vgpr_msb 0                        ;  msbs: dst=0 src0=0 src1=0 src2=0
	v_add3_u32 v4, v9, v19, v4
	s_set_vgpr_msb 4                        ;  msbs: dst=0 src0=0 src1=1 src2=0
	v_mul_i32_i24_e32 v9, v20, v18 /*v274*/
	v_mul_i32_i24_e32 v19, v22, v20 /*v276*/
	;; [unrolled: 1-line block ×3, first 2 shown]
	s_set_vgpr_msb 0x55                     ;  msbs: dst=1 src0=1 src1=1 src2=1
	v_add3_u32 v173 /*v429*/, v173 /*v429*/, v174 /*v430*/, v175 /*v431*/
	s_set_vgpr_msb 4                        ;  msbs: dst=0 src0=0 src1=1 src2=0
	v_mul_i32_i24_e32 v21, v25, v23 /*v279*/
	s_set_vgpr_msb 0                        ;  msbs: dst=0 src0=0 src1=0 src2=0
	v_add3_u32 v4, v4, v9, v18
	s_set_vgpr_msb 4                        ;  msbs: dst=0 src0=0 src1=1 src2=0
	v_mul_i32_i24_e32 v22, v26, v24 /*v280*/
	v_mul_i32_i24_e32 v24, v28, v26 /*v282*/
	s_set_vgpr_msb 0x55                     ;  msbs: dst=1 src0=1 src1=1 src2=1
	v_add3_u32 v173 /*v429*/, v173 /*v429*/, v176 /*v432*/, v177 /*v433*/
	s_set_vgpr_msb 4                        ;  msbs: dst=0 src0=0 src1=1 src2=0
	v_mul_i32_i24_e32 v25, v29, v27 /*v283*/
	s_set_vgpr_msb 0                        ;  msbs: dst=0 src0=0 src1=0 src2=0
	v_add3_u32 v4, v4, v19, v5
	s_set_vgpr_msb 4                        ;  msbs: dst=0 src0=0 src1=1 src2=0
	v_mul_i32_i24_e32 v26, v30, v28 /*v284*/
	v_mul_i32_i24_e32 v28, v32, v30 /*v286*/
	s_set_vgpr_msb 0x55                     ;  msbs: dst=1 src0=1 src1=1 src2=1
	v_add3_u32 v173 /*v429*/, v173 /*v429*/, v179 /*v435*/, v196 /*v452*/
	s_set_vgpr_msb 4                        ;  msbs: dst=0 src0=0 src1=1 src2=0
	v_mul_i32_i24_e32 v29, v34, v31 /*v287*/
	s_set_vgpr_msb 0                        ;  msbs: dst=0 src0=0 src1=0 src2=0
	v_add3_u32 v4, v4, v20, v21
	s_set_vgpr_msb 1                        ;  msbs: dst=0 src0=1 src1=0 src2=0
	v_mul_i32_i24_e32 v30, v33 /*v289*/, v36
	v_mul_i32_i24_e32 v32, v32 /*v288*/, v38
	s_set_vgpr_msb 0x55                     ;  msbs: dst=1 src0=1 src1=1 src2=1
	v_add3_u32 v173 /*v429*/, v173 /*v429*/, v197 /*v453*/, v198 /*v454*/
	s_set_vgpr_msb 1                        ;  msbs: dst=0 src0=1 src1=0 src2=0
	v_mul_i32_i24_e32 v34, v35 /*v291*/, v40
	s_set_vgpr_msb 0                        ;  msbs: dst=0 src0=0 src1=0 src2=0
	v_add3_u32 v4, v4, v22, v6
	s_set_vgpr_msb 1                        ;  msbs: dst=0 src0=1 src1=0 src2=0
	v_mul_i32_i24_e32 v36, v34 /*v290*/, v42
	v_mul_i32_i24_e32 v38, v37 /*v293*/, v44
	s_set_vgpr_msb 0x55                     ;  msbs: dst=1 src0=1 src1=1 src2=1
	v_add3_u32 v173 /*v429*/, v173 /*v429*/, v199 /*v455*/, v200 /*v456*/
	s_set_vgpr_msb 1                        ;  msbs: dst=0 src0=1 src1=0 src2=0
	v_mul_i32_i24_e32 v40, v36 /*v292*/, v46
	s_set_vgpr_msb 0                        ;  msbs: dst=0 src0=0 src1=0 src2=0
	v_add3_u32 v4, v4, v24, v25
	s_set_vgpr_msb 1                        ;  msbs: dst=0 src0=1 src1=0 src2=0
	v_mul_i32_i24_e32 v42, v39 /*v295*/, v48
	v_mul_i32_i24_e32 v44, v38 /*v294*/, v52
	s_set_vgpr_msb 0x55                     ;  msbs: dst=1 src0=1 src1=1 src2=1
	v_add3_u32 v173 /*v429*/, v173 /*v429*/, v201 /*v457*/, v202 /*v458*/
	s_set_vgpr_msb 64                       ;  msbs: dst=1 src0=0 src1=0 src2=0
	v_mul_i32_i24_e32 v174 /*v430*/, v146, v228
	s_set_vgpr_msb 0                        ;  msbs: dst=0 src0=0 src1=0 src2=0
	v_add3_u32 v4, v4, v26, v7
	s_set_vgpr_msb 64                       ;  msbs: dst=1 src0=0 src1=0 src2=0
	v_mul_i32_i24_e32 v175 /*v431*/, v147, v238
	s_set_vgpr_msb 1                        ;  msbs: dst=0 src0=1 src1=0 src2=0
	v_mul_i32_i24_e32 v46, v42 /*v298*/, v53
	s_set_vgpr_msb 0x55                     ;  msbs: dst=1 src0=1 src1=1 src2=1
	v_add3_u32 v173 /*v429*/, v173 /*v429*/, v203 /*v459*/, v204 /*v460*/
	s_set_vgpr_msb 1                        ;  msbs: dst=0 src0=1 src1=0 src2=0
	v_mul_i32_i24_e32 v48, v40 /*v296*/, v55
	s_set_vgpr_msb 0                        ;  msbs: dst=0 src0=0 src1=0 src2=0
	v_add3_u32 v4, v4, v28, v29
	s_set_vgpr_msb 64                       ;  msbs: dst=1 src0=0 src1=0 src2=0
	v_mul_i32_i24_e32 v177 /*v433*/, v149, v244
	s_set_vgpr_msb 4                        ;  msbs: dst=0 src0=0 src1=1 src2=0
	v_mul_i32_i24_e32 v52, v141, v46 /*v302*/
	s_set_vgpr_msb 0x55                     ;  msbs: dst=1 src0=1 src1=1 src2=1
	v_add3_u32 v173 /*v429*/, v173 /*v429*/, v205 /*v461*/, v206 /*v462*/
	s_set_vgpr_msb 4                        ;  msbs: dst=0 src0=0 src1=1 src2=0
	v_mul_i32_i24_e32 v53, v142, v48 /*v304*/
	s_set_vgpr_msb 0                        ;  msbs: dst=0 src0=0 src1=0 src2=0
	v_add3_u32 v4, v4, v30, v32
	s_set_vgpr_msb 4                        ;  msbs: dst=0 src0=0 src1=1 src2=0
	v_mul_i32_i24_e32 v5, v146, v41 /*v297*/
	v_mul_i32_i24_e32 v6, v147, v47 /*v303*/
	s_set_vgpr_msb 0x55                     ;  msbs: dst=1 src0=1 src1=1 src2=1
	v_add3_u32 v173 /*v429*/, v173 /*v429*/, v207 /*v463*/, v208 /*v464*/
	s_set_vgpr_msb 4                        ;  msbs: dst=0 src0=0 src1=1 src2=0
	v_mul_i32_i24_e32 v7, v150, v45 /*v301*/
	s_set_vgpr_msb 0                        ;  msbs: dst=0 src0=0 src1=0 src2=0
	v_add3_u32 v4, v4, v34, v36
	s_set_vgpr_msb 4                        ;  msbs: dst=0 src0=0 src1=1 src2=0
	v_mul_i32_i24_e32 v9, v151, v53 /*v309*/
	;; [unrolled: 9-line block ×3, first 2 shown]
	v_mul_i32_i24_e32 v21, v155, v57 /*v313*/
	s_set_vgpr_msb 0x55                     ;  msbs: dst=1 src0=1 src1=1 src2=1
	v_add3_u32 v173 /*v429*/, v173 /*v429*/, v211 /*v467*/, v212 /*v468*/
	s_set_vgpr_msb 4                        ;  msbs: dst=0 src0=0 src1=1 src2=0
	v_mul_i32_i24_e32 v22, v156, v58 /*v314*/
	s_set_vgpr_msb 0                        ;  msbs: dst=0 src0=0 src1=0 src2=0
	v_add3_u32 v4, v4, v42, v44
	s_set_vgpr_msb 5                        ;  msbs: dst=0 src0=1 src1=1 src2=0
	v_mul_i32_i24_e32 v24, v170 /*v426*/, v59 /*v315*/
	v_mul_i32_i24_e32 v25, v171 /*v427*/, v56 /*v312*/
	s_set_vgpr_msb 0x55                     ;  msbs: dst=1 src0=1 src1=1 src2=1
	v_add3_u32 v173 /*v429*/, v173 /*v429*/, v213 /*v469*/, v214 /*v470*/
	s_set_vgpr_msb 5                        ;  msbs: dst=0 src0=1 src1=1 src2=0
	v_mul_i32_i24_e32 v26, v172 /*v428*/, v60 /*v316*/
	s_set_vgpr_msb 0                        ;  msbs: dst=0 src0=0 src1=0 src2=0
	v_add3_u32 v4, v4, v46, v48
	s_set_vgpr_msb 5                        ;  msbs: dst=0 src0=1 src1=1 src2=0
	v_mul_i32_i24_e32 v28, v185 /*v441*/, v61 /*v317*/
	v_mul_i32_i24_e32 v29, v186 /*v442*/, v62 /*v318*/
	s_set_vgpr_msb 0x55                     ;  msbs: dst=1 src0=1 src1=1 src2=1
	v_add3_u32 v179 /*v435*/, v173 /*v429*/, v215 /*v471*/, v216 /*v472*/
	s_set_vgpr_msb 64                       ;  msbs: dst=1 src0=0 src1=0 src2=0
	v_mul_i32_i24_e32 v173 /*v429*/, v144, v234
	s_set_vgpr_msb 0x41                     ;  msbs: dst=1 src0=1 src1=0 src2=0
	v_mul_i32_i24_e32 v209 /*v465*/, v0 /*v256*/, v0
	s_set_vgpr_msb 5                        ;  msbs: dst=0 src0=1 src1=1 src2=0
	v_mul_i32_i24_e32 v30, v64 /*v320*/, v187 /*v443*/
	s_set_vgpr_msb 1                        ;  msbs: dst=0 src0=1 src1=0 src2=0
	v_mul_i32_i24_e32 v0, v63 /*v319*/, v0
	s_set_vgpr_msb 0x50                     ;  msbs: dst=1 src0=0 src1=0 src2=1
	v_mul_i32_i24_e32 v196 /*v452*/, v150, v235
	v_mad_i32_i24 v173 /*v429*/, v145, v232, v173 /*v429*/
	v_mul_i32_i24_e32 v197 /*v453*/, v151, v246
	s_set_vgpr_msb 5                        ;  msbs: dst=0 src0=1 src1=1 src2=0
	v_mul_i32_i24_e32 v32, v65 /*v321*/, v188 /*v444*/
	v_mul_i32_i24_e32 v34, v66 /*v322*/, v189 /*v445*/
	s_set_vgpr_msb 64                       ;  msbs: dst=1 src0=0 src1=0 src2=0
	v_mul_i32_i24_e32 v198 /*v454*/, v152, v247
	s_set_vgpr_msb 0x55                     ;  msbs: dst=1 src0=1 src1=1 src2=1
	v_add3_u32 v173 /*v429*/, v173 /*v429*/, v174 /*v430*/, v175 /*v431*/
	s_set_vgpr_msb 64                       ;  msbs: dst=1 src0=0 src1=0 src2=0
	v_mul_i32_i24_e32 v174 /*v430*/, v148, v243
	v_mul_i32_i24_e32 v199 /*v455*/, v153, v248
	s_set_vgpr_msb 0x41                     ;  msbs: dst=1 src0=1 src1=0 src2=0
	v_mul_i32_i24_e32 v213 /*v469*/, v4 /*v260*/, v1
	s_set_vgpr_msb 5                        ;  msbs: dst=0 src0=1 src1=1 src2=0
	v_mul_i32_i24_e32 v36, v68 /*v324*/, v190 /*v446*/
	s_set_vgpr_msb 1                        ;  msbs: dst=0 src0=1 src1=0 src2=0
	v_mul_i32_i24_e32 v1, v67 /*v323*/, v1
	s_set_vgpr_msb 0x55                     ;  msbs: dst=1 src0=1 src1=1 src2=1
	v_add3_u32 v173 /*v429*/, v173 /*v429*/, v174 /*v430*/, v177 /*v433*/
	s_set_vgpr_msb 64                       ;  msbs: dst=1 src0=0 src1=0 src2=0
	v_add3_u32 v174 /*v430*/, v4, v52, v53
	s_set_vgpr_msb 4                        ;  msbs: dst=0 src0=0 src1=1 src2=0
	v_mul_i32_i24_e32 v4, v144, v44 /*v300*/
	s_set_vgpr_msb 64                       ;  msbs: dst=1 src0=0 src1=0 src2=0
	v_mul_i32_i24_e32 v200 /*v456*/, v154, v245
	v_mul_i32_i24_e32 v201 /*v457*/, v155, v250
	s_set_vgpr_msb 0x55                     ;  msbs: dst=1 src0=1 src1=1 src2=1
	v_add3_u32 v173 /*v429*/, v173 /*v429*/, v196 /*v452*/, v197 /*v453*/
	s_set_vgpr_msb 5                        ;  msbs: dst=0 src0=1 src1=1 src2=0
	v_mul_i32_i24_e32 v38, v69 /*v325*/, v191 /*v447*/
	s_set_vgpr_msb 4                        ;  msbs: dst=0 src0=0 src1=1 src2=0
	v_mad_i32_i24 v4, v145, v43 /*v299*/, v4
	s_set_vgpr_msb 5                        ;  msbs: dst=0 src0=1 src1=1 src2=0
	v_mul_i32_i24_e32 v40, v70 /*v326*/, v192 /*v448*/
	s_set_vgpr_msb 64                       ;  msbs: dst=1 src0=0 src1=0 src2=0
	v_mul_i32_i24_e32 v202 /*v458*/, v156, v251
	s_set_vgpr_msb 0x55                     ;  msbs: dst=1 src0=1 src1=1 src2=1
	v_add3_u32 v173 /*v429*/, v173 /*v429*/, v198 /*v454*/, v199 /*v455*/
	s_set_vgpr_msb 0x41                     ;  msbs: dst=1 src0=1 src1=0 src2=0
	v_mul_i32_i24_e32 v203 /*v459*/, v170 /*v426*/, v252
	s_set_vgpr_msb 0                        ;  msbs: dst=0 src0=0 src1=0 src2=0
	v_add3_u32 v4, v4, v5, v6
	s_set_vgpr_msb 4                        ;  msbs: dst=0 src0=0 src1=1 src2=0
	v_mul_i32_i24_e32 v5, v148, v50 /*v306*/
	v_mul_i32_i24_e32 v6, v149, v51 /*v307*/
	s_set_vgpr_msb 0x55                     ;  msbs: dst=1 src0=1 src1=1 src2=1
	v_add3_u32 v173 /*v429*/, v173 /*v429*/, v200 /*v456*/, v201 /*v457*/
	s_set_vgpr_msb 5                        ;  msbs: dst=0 src0=1 src1=1 src2=0
	v_mul_i32_i24_e32 v42, v72 /*v328*/, v193 /*v449*/
	s_set_vgpr_msb 0x41                     ;  msbs: dst=1 src0=1 src1=0 src2=0
	v_mul_i32_i24_e32 v204 /*v460*/, v171 /*v427*/, v249
	v_mul_i32_i24_e32 v205 /*v461*/, v172 /*v428*/, v253
	s_set_vgpr_msb 0                        ;  msbs: dst=0 src0=0 src1=0 src2=0
	v_add3_u32 v4, v4, v5, v6
	s_set_vgpr_msb 0x55                     ;  msbs: dst=1 src0=1 src1=1 src2=1
	v_add3_u32 v173 /*v429*/, v173 /*v429*/, v202 /*v458*/, v203 /*v459*/
	s_set_vgpr_msb 0x41                     ;  msbs: dst=1 src0=1 src1=0 src2=0
	v_mul_i32_i24_e32 v206 /*v462*/, v185 /*v441*/, v254
	v_mul_i32_i24_e32 v207 /*v463*/, v186 /*v442*/, v255
	s_set_vgpr_msb 0x45                     ;  msbs: dst=1 src0=1 src1=1 src2=0
	v_mul_i32_i24_e32 v208 /*v464*/, v1 /*v257*/, v187 /*v443*/
	s_set_vgpr_msb 0                        ;  msbs: dst=0 src0=0 src1=0 src2=0
	v_add3_u32 v4, v4, v7, v9
	s_set_vgpr_msb 0x55                     ;  msbs: dst=1 src0=1 src1=1 src2=1
	v_add3_u32 v173 /*v429*/, v173 /*v429*/, v204 /*v460*/, v205 /*v461*/
	v_mul_i32_i24_e32 v210 /*v466*/, v2 /*v258*/, v188 /*v444*/
	v_mul_i32_i24_e32 v211 /*v467*/, v3 /*v259*/, v189 /*v445*/
	v_mul_i32_i24_e32 v212 /*v468*/, v5 /*v261*/, v190 /*v446*/
	s_set_vgpr_msb 0                        ;  msbs: dst=0 src0=0 src1=0 src2=0
	v_add3_u32 v4, v4, v18, v19
	s_set_vgpr_msb 0x55                     ;  msbs: dst=1 src0=1 src1=1 src2=1
	v_add3_u32 v173 /*v429*/, v173 /*v429*/, v206 /*v462*/, v207 /*v463*/
	v_mul_i32_i24_e32 v214 /*v470*/, v6 /*v262*/, v191 /*v447*/
	v_mul_i32_i24_e32 v215 /*v471*/, v7 /*v263*/, v192 /*v448*/
	;; [unrolled: 7-line block ×3, first 2 shown]
	v_mul_i32_i24_e32 v170 /*v426*/, v194 /*v450*/, v73 /*v329*/
	s_set_vgpr_msb 0                        ;  msbs: dst=0 src0=0 src1=0 src2=0
	v_add3_u32 v4, v4, v22, v24
	s_set_vgpr_msb 0x55                     ;  msbs: dst=1 src0=1 src1=1 src2=1
	v_add3_u32 v173 /*v429*/, v173 /*v429*/, v210 /*v466*/, v211 /*v467*/
	v_mul_i32_i24_e32 v171 /*v427*/, v195 /*v451*/, v74 /*v330*/
	s_set_vgpr_msb 0                        ;  msbs: dst=0 src0=0 src1=0 src2=0
	v_add3_u32 v4, v4, v25, v26
	s_set_vgpr_msb 0x55                     ;  msbs: dst=1 src0=1 src1=1 src2=1
	v_add3_u32 v173 /*v429*/, v173 /*v429*/, v212 /*v468*/, v213 /*v469*/
	s_set_vgpr_msb 0                        ;  msbs: dst=0 src0=0 src1=0 src2=0
	s_delay_alu instid0(VALU_DEP_2) | instskip(SKIP_1) | instid1(VALU_DEP_2)
	v_add3_u32 v4, v4, v28, v29
	s_set_vgpr_msb 0x55                     ;  msbs: dst=1 src0=1 src1=1 src2=1
	v_add3_u32 v173 /*v429*/, v173 /*v429*/, v214 /*v470*/, v215 /*v471*/
	s_set_vgpr_msb 0                        ;  msbs: dst=0 src0=0 src1=0 src2=0
	s_delay_alu instid0(VALU_DEP_2) | instskip(SKIP_1) | instid1(VALU_DEP_2)
	v_add3_u32 v0, v4, v30, v0
	s_set_vgpr_msb 0x55                     ;  msbs: dst=1 src0=1 src1=1 src2=1
	v_add3_u32 v177 /*v433*/, v173 /*v429*/, v216 /*v472*/, v217 /*v473*/
	s_set_vgpr_msb 0x44                     ;  msbs: dst=1 src0=0 src1=1 src2=0
	v_mul_i32_i24_e32 v173 /*v429*/, v143, v49 /*v305*/
	s_set_vgpr_msb 0                        ;  msbs: dst=0 src0=0 src1=0 src2=0
	v_add3_u32 v0, v0, v32, v34
	s_delay_alu instid0(VALU_DEP_1) | instskip(NEXT) | instid1(VALU_DEP_1)
	v_add3_u32 v0, v0, v36, v1
	v_add3_u32 v0, v0, v38, v40
	s_set_vgpr_msb 64                       ;  msbs: dst=1 src0=0 src1=0 src2=0
	s_delay_alu instid0(VALU_DEP_1)
	v_add3_u32 v172 /*v428*/, v0, v42, v2
	s_set_vgpr_msb 0                        ;  msbs: dst=0 src0=0 src1=0 src2=0
	v_or_b32_e32 v0, s5, v136
	s_add_co_i32 s5, s4, 8
	s_cmp_lt_u32 s4, 24
	s_mov_b32 s4, s5
	s_delay_alu instid0(VALU_DEP_1)
	v_dual_lshlrev_b32 v1, 2, v0 :: v_dual_lshrrev_b32 v0, 1, v0
	s_set_vgpr_msb 64                       ;  msbs: dst=1 src0=0 src1=0 src2=0
	ds_load_b128 v[186:189] /*v[442:445]*/, v1 offset:16896
	ds_load_b128 v[190:193] /*v[446:449]*/, v1 offset:16912
	;; [unrolled: 1-line block ×3, first 2 shown]
	s_set_vgpr_msb 0                        ;  msbs: dst=0 src0=0 src1=0 src2=0
	ds_load_b128 v[4:7], v1 offset:16944
	s_wait_dscnt 0x3
	s_set_vgpr_msb 0x41                     ;  msbs: dst=1 src0=1 src1=0 src2=0
	v_bfe_i32 v245 /*v501*/, v186 /*v442*/, 0, 8
	v_bfe_i32 v217 /*v473*/, v186 /*v442*/, 8, 8
	;; [unrolled: 1-line block ×3, first 2 shown]
	s_set_vgpr_msb 0x44                     ;  msbs: dst=1 src0=0 src1=1 src2=0
	v_ashrrev_i32_e32 v247 /*v503*/, 24, v186 /*v442*/
	s_set_vgpr_msb 0x41                     ;  msbs: dst=1 src0=1 src1=0 src2=0
	v_bfe_i32 v218 /*v474*/, v187 /*v443*/, 0, 8
	s_set_vgpr_msb 5                        ;  msbs: dst=0 src0=1 src1=1 src2=0
	v_mul_i32_i24_e32 v1, v245 /*v501*/, v110 /*v366*/
	s_set_vgpr_msb 0x41                     ;  msbs: dst=1 src0=1 src1=0 src2=0
	v_bfe_i32 v219 /*v475*/, v187 /*v443*/, 8, 8
	s_wait_dscnt 0x0
	s_set_vgpr_msb 64                       ;  msbs: dst=1 src0=0 src1=0 src2=0
	v_bfe_i32 v200 /*v456*/, v4, 0, 8
	v_bfe_i32 v201 /*v457*/, v4, 8, 8
	;; [unrolled: 1-line block ×3, first 2 shown]
	v_ashrrev_i32_e32 v203 /*v459*/, 24, v4
	s_set_vgpr_msb 5                        ;  msbs: dst=0 src0=1 src1=1 src2=0
	v_mul_i32_i24_e32 v2, v246 /*v502*/, v111 /*v367*/
	v_mul_i32_i24_e32 v4, v247 /*v503*/, v112 /*v368*/
	v_mad_i32_i24 v1, v217 /*v473*/, v109 /*v365*/, v1
	s_set_vgpr_msb 0x41                     ;  msbs: dst=1 src0=1 src1=0 src2=0
	v_bfe_i32 v220 /*v476*/, v187 /*v443*/, 16, 8
	s_set_vgpr_msb 0x44                     ;  msbs: dst=1 src0=0 src1=1 src2=0
	v_dual_ashrrev_i32 v221 /*v477*/, 24, v187 /*v443*/ :: v_dual_ashrrev_i32 v229 /*v485*/, 24, v189 /*v445*/
	s_set_vgpr_msb 0x41                     ;  msbs: dst=1 src0=1 src1=0 src2=0
	v_bfe_i32 v222 /*v478*/, v188 /*v444*/, 0, 8
	s_set_vgpr_msb 0                        ;  msbs: dst=0 src0=0 src1=0 src2=0
	v_add3_u32 v1, v1, v2, v4
	s_set_vgpr_msb 5                        ;  msbs: dst=0 src0=1 src1=1 src2=0
	v_mul_i32_i24_e32 v2, v218 /*v474*/, v113 /*v369*/
	v_mul_i32_i24_e32 v4, v219 /*v475*/, v114 /*v370*/
	s_set_vgpr_msb 0x41                     ;  msbs: dst=1 src0=1 src1=0 src2=0
	v_bfe_i32 v223 /*v479*/, v188 /*v444*/, 8, 8
	s_set_vgpr_msb 64                       ;  msbs: dst=1 src0=0 src1=0 src2=0
	v_bfe_i32 v204 /*v460*/, v5, 0, 8
	v_bfe_i32 v205 /*v461*/, v5, 8, 8
	v_bfe_i32 v206 /*v462*/, v5, 16, 8
	v_ashrrev_i32_e32 v207 /*v463*/, 24, v5
	v_bfe_i32 v208 /*v464*/, v6, 0, 8
	v_bfe_i32 v209 /*v465*/, v6, 8, 8
	v_bfe_i32 v210 /*v466*/, v6, 16, 8
	v_ashrrev_i32_e32 v211 /*v467*/, 24, v6
	s_set_vgpr_msb 5                        ;  msbs: dst=0 src0=1 src1=1 src2=0
	v_mul_i32_i24_e32 v5, v220 /*v476*/, v115 /*v371*/
	v_mul_i32_i24_e32 v6, v221 /*v477*/, v116 /*v372*/
	s_set_vgpr_msb 0                        ;  msbs: dst=0 src0=0 src1=0 src2=0
	v_add3_u32 v1, v1, v2, v4
	s_set_vgpr_msb 0x41                     ;  msbs: dst=1 src0=1 src1=0 src2=0
	v_bfe_i32 v224 /*v480*/, v188 /*v444*/, 16, 8
	s_set_vgpr_msb 0x44                     ;  msbs: dst=1 src0=0 src1=1 src2=0
	v_ashrrev_i32_e32 v225 /*v481*/, 24, v188 /*v444*/
	s_set_vgpr_msb 5                        ;  msbs: dst=0 src0=1 src1=1 src2=0
	v_mul_i32_i24_e32 v9, v222 /*v478*/, v117 /*v373*/
	v_mul_i32_i24_e32 v18, v223 /*v479*/, v118 /*v374*/
	s_set_vgpr_msb 0                        ;  msbs: dst=0 src0=0 src1=0 src2=0
	v_add3_u32 v1, v1, v5, v6
	s_set_vgpr_msb 0x41                     ;  msbs: dst=1 src0=1 src1=0 src2=0
	v_bfe_i32 v226 /*v482*/, v189 /*v445*/, 0, 8
	v_bfe_i32 v227 /*v483*/, v189 /*v445*/, 8, 8
	s_set_vgpr_msb 5                        ;  msbs: dst=0 src0=1 src1=1 src2=0
	v_mul_i32_i24_e32 v19, v224 /*v480*/, v119 /*v375*/
	v_mul_i32_i24_e32 v20, v225 /*v481*/, v120 /*v376*/
	s_set_vgpr_msb 0                        ;  msbs: dst=0 src0=0 src1=0 src2=0
	v_add3_u32 v1, v1, v9, v18
	s_set_vgpr_msb 0x41                     ;  msbs: dst=1 src0=1 src1=0 src2=0
	v_bfe_i32 v228 /*v484*/, v189 /*v445*/, 16, 8
	s_set_vgpr_msb 5                        ;  msbs: dst=0 src0=1 src1=1 src2=0
	v_mul_i32_i24_e32 v21, v226 /*v482*/, v121 /*v377*/
	v_mul_i32_i24_e32 v22, v227 /*v483*/, v122 /*v378*/
	s_set_vgpr_msb 0x41                     ;  msbs: dst=1 src0=1 src1=0 src2=0
	v_bfe_i32 v230 /*v486*/, v190 /*v446*/, 0, 8
	s_set_vgpr_msb 0                        ;  msbs: dst=0 src0=0 src1=0 src2=0
	v_add3_u32 v1, v1, v19, v20
	s_set_vgpr_msb 0x41                     ;  msbs: dst=1 src0=1 src1=0 src2=0
	v_bfe_i32 v231 /*v487*/, v190 /*v446*/, 8, 8
	s_set_vgpr_msb 5                        ;  msbs: dst=0 src0=1 src1=1 src2=0
	v_mul_i32_i24_e32 v24, v228 /*v484*/, v123 /*v379*/
	v_mul_i32_i24_e32 v25, v229 /*v485*/, v124 /*v380*/
	s_set_vgpr_msb 0x41                     ;  msbs: dst=1 src0=1 src1=0 src2=0
	v_bfe_i32 v232 /*v488*/, v190 /*v446*/, 16, 8
	s_set_vgpr_msb 0                        ;  msbs: dst=0 src0=0 src1=0 src2=0
	v_add3_u32 v1, v1, v21, v22
	s_set_vgpr_msb 0x44                     ;  msbs: dst=1 src0=0 src1=1 src2=0
	v_dual_ashrrev_i32 v233 /*v489*/, 24, v190 /*v446*/ :: v_dual_ashrrev_i32 v237 /*v493*/, 24, v191 /*v447*/
	s_set_vgpr_msb 5                        ;  msbs: dst=0 src0=1 src1=1 src2=0
	v_mul_i32_i24_e32 v26, v230 /*v486*/, v125 /*v381*/
	v_mul_i32_i24_e32 v28, v231 /*v487*/, v126 /*v382*/
	s_set_vgpr_msb 0                        ;  msbs: dst=0 src0=0 src1=0 src2=0
	v_add3_u32 v1, v1, v24, v25
	s_set_vgpr_msb 0x41                     ;  msbs: dst=1 src0=1 src1=0 src2=0
	v_bfe_i32 v234 /*v490*/, v191 /*v447*/, 0, 8
	v_bfe_i32 v235 /*v491*/, v191 /*v447*/, 8, 8
	s_set_vgpr_msb 5                        ;  msbs: dst=0 src0=1 src1=1 src2=0
	v_mul_i32_i24_e32 v29, v128 /*v384*/, v232 /*v488*/
	v_mul_i32_i24_e32 v30, v127 /*v383*/, v233 /*v489*/
	s_set_vgpr_msb 0                        ;  msbs: dst=0 src0=0 src1=0 src2=0
	v_add3_u32 v1, v1, v26, v28
	s_set_vgpr_msb 0x41                     ;  msbs: dst=1 src0=1 src1=0 src2=0
	v_bfe_i32 v236 /*v492*/, v191 /*v447*/, 16, 8
	s_set_vgpr_msb 5                        ;  msbs: dst=0 src0=1 src1=1 src2=0
	v_mul_i32_i24_e32 v32, v130 /*v386*/, v234 /*v490*/
	v_mul_i32_i24_e32 v34, v129 /*v385*/, v235 /*v491*/
	s_set_vgpr_msb 0x41                     ;  msbs: dst=1 src0=1 src1=0 src2=0
	v_bfe_i32 v238 /*v494*/, v192 /*v448*/, 0, 8
	s_set_vgpr_msb 0                        ;  msbs: dst=0 src0=0 src1=0 src2=0
	v_add3_u32 v1, v1, v29, v30
	s_set_vgpr_msb 0x41                     ;  msbs: dst=1 src0=1 src1=0 src2=0
	v_bfe_i32 v239 /*v495*/, v192 /*v448*/, 8, 8
	s_set_vgpr_msb 5                        ;  msbs: dst=0 src0=1 src1=1 src2=0
	v_mul_i32_i24_e32 v36, v132 /*v388*/, v236 /*v492*/
	v_mul_i32_i24_e32 v38, v131 /*v387*/, v237 /*v493*/
	s_set_vgpr_msb 0x41                     ;  msbs: dst=1 src0=1 src1=0 src2=0
	v_bfe_i32 v240 /*v496*/, v192 /*v448*/, 16, 8
	s_set_vgpr_msb 0                        ;  msbs: dst=0 src0=0 src1=0 src2=0
	v_add3_u32 v1, v1, v32, v34
	s_set_vgpr_msb 0x44                     ;  msbs: dst=1 src0=0 src1=1 src2=0
	v_dual_ashrrev_i32 v241 /*v497*/, 24, v192 /*v448*/ :: v_dual_ashrrev_i32 v186 /*v442*/, 24, v193 /*v449*/
	s_set_vgpr_msb 5                        ;  msbs: dst=0 src0=1 src1=1 src2=0
	v_mul_i32_i24_e32 v40, v140 /*v396*/, v238 /*v494*/
	v_mul_i32_i24_e32 v42, v133 /*v389*/, v239 /*v495*/
	s_set_vgpr_msb 0                        ;  msbs: dst=0 src0=0 src1=0 src2=0
	v_add3_u32 v1, v1, v36, v38
	s_set_vgpr_msb 0x41                     ;  msbs: dst=1 src0=1 src1=0 src2=0
	v_bfe_i32 v242 /*v498*/, v193 /*v449*/, 0, 8
	v_bfe_i32 v243 /*v499*/, v193 /*v449*/, 8, 8
	s_set_vgpr_msb 5                        ;  msbs: dst=0 src0=1 src1=1 src2=0
	v_mul_i32_i24_e32 v44, v144 /*v400*/, v240 /*v496*/
	v_mul_i32_i24_e32 v46, v141 /*v397*/, v241 /*v497*/
	s_set_vgpr_msb 0                        ;  msbs: dst=0 src0=0 src1=0 src2=0
	v_add3_u32 v1, v1, v40, v42
	s_set_vgpr_msb 0x41                     ;  msbs: dst=1 src0=1 src1=0 src2=0
	v_bfe_i32 v214 /*v470*/, v196 /*v452*/, 0, 8
	s_set_vgpr_msb 5                        ;  msbs: dst=0 src0=1 src1=1 src2=0
	v_mul_i32_i24_e32 v48, v242 /*v498*/, v146 /*v402*/
	v_mul_i32_i24_e32 v52, v243 /*v499*/, v147 /*v403*/
	s_set_vgpr_msb 0x41                     ;  msbs: dst=1 src0=1 src1=0 src2=0
	v_bfe_i32 v187 /*v443*/, v196 /*v452*/, 8, 8
	s_set_vgpr_msb 0                        ;  msbs: dst=0 src0=0 src1=0 src2=0
	v_add3_u32 v1, v1, v44, v46
	s_set_vgpr_msb 0x41                     ;  msbs: dst=1 src0=1 src1=0 src2=0
	v_bfe_i32 v215 /*v471*/, v196 /*v452*/, 16, 8
	s_set_vgpr_msb 0x44                     ;  msbs: dst=1 src0=0 src1=1 src2=0
	v_dual_ashrrev_i32 v216 /*v472*/, 24, v196 /*v452*/ :: v_dual_ashrrev_i32 v191 /*v447*/, 24, v197 /*v453*/
	s_set_vgpr_msb 0x41                     ;  msbs: dst=1 src0=1 src1=0 src2=0
	v_bfe_i32 v188 /*v444*/, v197 /*v453*/, 0, 8
	s_set_vgpr_msb 0                        ;  msbs: dst=0 src0=0 src1=0 src2=0
	v_add3_u32 v6, v1, v48, v52
	s_set_vgpr_msb 4                        ;  msbs: dst=0 src0=0 src1=1 src2=0
	v_mul_i32_i24_e32 v1, v120, v214 /*v470*/
	s_set_vgpr_msb 0x41                     ;  msbs: dst=1 src0=1 src1=0 src2=0
	v_bfe_i32 v189 /*v445*/, v197 /*v453*/, 8, 8
	s_set_vgpr_msb 5                        ;  msbs: dst=0 src0=1 src1=1 src2=0
	v_mul_i32_i24_e32 v2, v150 /*v406*/, v215 /*v471*/
	v_mul_i32_i24_e32 v4, v142 /*v398*/, v216 /*v472*/
	s_set_vgpr_msb 0x41                     ;  msbs: dst=1 src0=1 src1=0 src2=0
	v_bfe_i32 v190 /*v446*/, v197 /*v453*/, 16, 8
	s_set_vgpr_msb 5                        ;  msbs: dst=0 src0=1 src1=1 src2=0
	v_mad_i32_i24 v1, v149 /*v405*/, v187 /*v443*/, v1
	s_set_vgpr_msb 0x41                     ;  msbs: dst=1 src0=1 src1=0 src2=0
	v_bfe_i32 v244 /*v500*/, v193 /*v449*/, 16, 8
	v_bfe_i32 v192 /*v448*/, v198 /*v454*/, 0, 8
	;; [unrolled: 1-line block ×3, first 2 shown]
	s_set_vgpr_msb 5                        ;  msbs: dst=0 src0=1 src1=1 src2=0
	v_mul_i32_i24_e32 v5, v151 /*v407*/, v190 /*v446*/
	s_set_vgpr_msb 0                        ;  msbs: dst=0 src0=0 src1=0 src2=0
	v_add3_u32 v1, v1, v2, v4
	s_set_vgpr_msb 4                        ;  msbs: dst=0 src0=0 src1=1 src2=0
	v_mul_i32_i24_e32 v2, v121, v188 /*v444*/
	s_set_vgpr_msb 5                        ;  msbs: dst=0 src0=1 src1=1 src2=0
	v_mul_i32_i24_e32 v4, v152 /*v408*/, v189 /*v445*/
	v_mul_i32_i24_e32 v9, v134 /*v390*/, v191 /*v447*/
	s_set_vgpr_msb 0x41                     ;  msbs: dst=1 src0=1 src1=0 src2=0
	v_bfe_i32 v194 /*v450*/, v198 /*v454*/, 16, 8
	s_set_vgpr_msb 0x44                     ;  msbs: dst=1 src0=0 src1=1 src2=0
	v_ashrrev_i32_e32 v195 /*v451*/, 24, v198 /*v454*/
	s_set_vgpr_msb 5                        ;  msbs: dst=0 src0=1 src1=1 src2=0
	v_mul_i32_i24_e32 v18, v155 /*v411*/, v192 /*v448*/
	s_set_vgpr_msb 0                        ;  msbs: dst=0 src0=0 src1=0 src2=0
	v_add3_u32 v1, v1, v2, v4
	s_set_vgpr_msb 5                        ;  msbs: dst=0 src0=1 src1=1 src2=0
	v_mul_i32_i24_e32 v19, v154 /*v410*/, v193 /*v449*/
	s_set_vgpr_msb 0x41                     ;  msbs: dst=1 src0=1 src1=0 src2=0
	v_bfe_i32 v196 /*v452*/, v199 /*v455*/, 0, 8
	v_bfe_i32 v197 /*v453*/, v199 /*v455*/, 8, 8
	v_bfe_i32 v198 /*v454*/, v199 /*v455*/, 16, 8
	s_set_vgpr_msb 0                        ;  msbs: dst=0 src0=0 src1=0 src2=0
	v_add3_u32 v1, v1, v5, v9
	s_set_vgpr_msb 0x44                     ;  msbs: dst=1 src0=0 src1=1 src2=0
	v_ashrrev_i32_e32 v199 /*v455*/, 24, v199 /*v455*/
	s_set_vgpr_msb 5                        ;  msbs: dst=0 src0=1 src1=1 src2=0
	v_mul_i32_i24_e32 v20, v153 /*v409*/, v194 /*v450*/
	v_mul_i32_i24_e32 v21, v135 /*v391*/, v195 /*v451*/
	v_mul_i32_i24_e32 v22, v158 /*v414*/, v196 /*v452*/
	s_set_vgpr_msb 0                        ;  msbs: dst=0 src0=0 src1=0 src2=0
	v_add3_u32 v1, v1, v18, v19
	s_set_vgpr_msb 5                        ;  msbs: dst=0 src0=1 src1=1 src2=0
	v_mul_i32_i24_e32 v24, v157 /*v413*/, v197 /*v453*/
	v_mul_i32_i24_e32 v25, v156 /*v412*/, v198 /*v454*/
	v_mul_i32_i24_e32 v26, v136 /*v392*/, v199 /*v455*/
	v_mul_i32_i24_e32 v28, v161 /*v417*/, v200 /*v456*/
	s_set_vgpr_msb 0                        ;  msbs: dst=0 src0=0 src1=0 src2=0
	v_add3_u32 v1, v1, v20, v21
	s_set_vgpr_msb 5                        ;  msbs: dst=0 src0=1 src1=1 src2=0
	v_mul_i32_i24_e32 v29, v160 /*v416*/, v201 /*v457*/
	;; [unrolled: 7-line block ×3, first 2 shown]
	s_set_vgpr_msb 0x41                     ;  msbs: dst=1 src0=1 src1=0 src2=0
	ds_load_b64 v[110:111] /*v[366:367]*/, v248 /*v504*/ offset:27200
	s_set_vgpr_msb 64                       ;  msbs: dst=1 src0=0 src1=0 src2=0
	ds_load_b64 v[112:113] /*v[368:369]*/, v0 offset:27200
	v_bfe_i32 v212 /*v468*/, v7, 0, 8
	v_bfe_i32 v213 /*v469*/, v7, 8, 8
	s_set_vgpr_msb 0                        ;  msbs: dst=0 src0=0 src1=0 src2=0
	v_add3_u32 v1, v1, v25, v26
	s_set_vgpr_msb 64                       ;  msbs: dst=1 src0=0 src1=0 src2=0
	v_bfe_i32 v185 /*v441*/, v7, 16, 8
	s_set_vgpr_msb 5                        ;  msbs: dst=0 src0=1 src1=1 src2=0
	v_mul_i32_i24_e32 v53, v244 /*v500*/, v148 /*v404*/
	s_set_vgpr_msb 64                       ;  msbs: dst=1 src0=0 src1=0 src2=0
	v_ashrrev_i32_e32 v109 /*v365*/, 24, v7
	s_set_vgpr_msb 5                        ;  msbs: dst=0 src0=1 src1=1 src2=0
	v_mul_i32_i24_e32 v7, v169 /*v425*/, v75 /*v331*/
	s_set_vgpr_msb 0                        ;  msbs: dst=0 src0=0 src1=0 src2=0
	v_add3_u32 v1, v1, v28, v29
	s_set_vgpr_msb 5                        ;  msbs: dst=0 src0=1 src1=1 src2=0
	v_mul_i32_i24_e32 v18, v186 /*v442*/, v75 /*v331*/
	v_mul_i32_i24_e32 v38, v162 /*v418*/, v206 /*v462*/
	;; [unrolled: 1-line block ×3, first 2 shown]
	v_add3_u32 v7, v250 /*v506*/, v249 /*v505*/, v7
	s_set_vgpr_msb 0                        ;  msbs: dst=0 src0=0 src1=0 src2=0
	v_add3_u32 v1, v1, v30, v32
	v_add3_u32 v6, v6, v53, v18
	s_set_vgpr_msb 5                        ;  msbs: dst=0 src0=1 src1=1 src2=0
	v_mul_i32_i24_e32 v42, v167 /*v423*/, v208 /*v464*/
	v_mul_i32_i24_e32 v44, v166 /*v422*/, v209 /*v465*/
	s_set_vgpr_msb 4                        ;  msbs: dst=0 src0=0 src1=1 src2=0
	v_mul_lo_u32 v18, v7, v76 /*v332*/
	s_set_vgpr_msb 0                        ;  msbs: dst=0 src0=0 src1=0 src2=0
	v_add3_u32 v1, v1, v34, v36
	s_set_vgpr_msb 4                        ;  msbs: dst=0 src0=0 src1=1 src2=0
	v_mul_lo_u32 v6, v6, v76 /*v332*/
	s_set_vgpr_msb 5                        ;  msbs: dst=0 src0=1 src1=1 src2=0
	v_mul_i32_i24_e32 v46, v165 /*v421*/, v210 /*v466*/
	v_mul_i32_i24_e32 v48, v139 /*v395*/, v211 /*v467*/
	;; [unrolled: 1-line block ×3, first 2 shown]
	s_set_vgpr_msb 0                        ;  msbs: dst=0 src0=0 src1=0 src2=0
	v_add3_u32 v1, v1, v38, v40
	s_set_vgpr_msb 5                        ;  msbs: dst=0 src0=1 src1=1 src2=0
	v_mul_i32_i24_e32 v55, v213 /*v469*/, v145 /*v401*/
	s_wait_dscnt 0x1
	v_cvt_f32_f16_e64 v120, v110 /*v366*/
	v_lshrrev_b32_e32 v0, 16, v110 /*v366*/
	s_set_vgpr_msb 64                       ;  msbs: dst=1 src0=0 src1=0 src2=0
	v_ashrrev_i32_e32 v110 /*v366*/, 24, v3
	s_set_vgpr_msb 0                        ;  msbs: dst=0 src0=0 src1=0 src2=0
	v_add3_u32 v1, v1, v42, v44
	s_set_vgpr_msb 5                        ;  msbs: dst=0 src0=1 src1=1 src2=0
	v_mul_i32_i24_e32 v19, v185 /*v441*/, v79 /*v335*/
	s_set_vgpr_msb 0                        ;  msbs: dst=0 src0=0 src1=0 src2=0
	v_cvt_f32_i32_e32 v7, v6
	v_cvt_f32_i32_e32 v6, v18
	s_set_vgpr_msb 5                        ;  msbs: dst=0 src0=1 src1=1 src2=0
	v_mul_i32_i24_e32 v18, v168 /*v424*/, v79 /*v335*/
	s_set_vgpr_msb 0                        ;  msbs: dst=0 src0=0 src1=0 src2=0
	v_add3_u32 v9, v1, v46, v48
	s_set_vgpr_msb 21                       ;  msbs: dst=0 src0=1 src1=1 src2=1
	v_mul_i32_i24_e32 v20, v78 /*v334*/, v110 /*v366*/
	v_mul_i32_i24_e32 v21, v78 /*v334*/, v109 /*v365*/
	v_add3_u32 v22, v253 /*v509*/, v251 /*v507*/, v252 /*v508*/
	s_wait_dscnt 0x0
	v_lshrrev_b32_e32 v1, 16, v112 /*v368*/
	s_set_vgpr_msb 0                        ;  msbs: dst=0 src0=0 src1=0 src2=0
	v_add3_u32 v9, v9, v52, v55
	s_set_vgpr_msb 1                        ;  msbs: dst=0 src0=1 src1=0 src2=0
	v_cvt_f32_f16_e64 v121, v112 /*v368*/
	s_set_vgpr_msb 0                        ;  msbs: dst=0 src0=0 src1=0 src2=0
	v_cvt_f32_f16_e32 v4, v0
	v_add3_u32 v18, v22, v18, v20
	v_cvt_f32_f16_e32 v5, v1
	v_add3_u32 v9, v9, v19, v21
	s_set_vgpr_msb 4                        ;  msbs: dst=0 src0=0 src1=1 src2=0
	v_dual_lshrrev_b32 v2, 16, v111 /*v367*/ :: v_dual_lshrrev_b32 v3, 16, v113 /*v369*/
	v_mul_lo_u32 v18, v18, v77 /*v333*/
	s_set_vgpr_msb 1                        ;  msbs: dst=0 src0=1 src1=0 src2=0
	v_cvt_f32_f16_e64 v1, v113 /*v369*/
	s_set_vgpr_msb 4                        ;  msbs: dst=0 src0=0 src1=1 src2=0
	v_mul_lo_u32 v9, v9, v77 /*v333*/
	s_set_vgpr_msb 1                        ;  msbs: dst=0 src0=1 src1=0 src2=0
	v_cvt_f32_f16_e64 v0, v111 /*v367*/
	s_set_vgpr_msb 0                        ;  msbs: dst=0 src0=0 src1=0 src2=0
	v_cvt_f32_f16_e32 v3, v3
	v_cvt_f32_f16_e32 v2, v2
	v_pk_fma_f32 v[6:7], v[120:121], v[6:7], 0 op_sel_hi:[1,1,0]
	s_set_vgpr_msb 64                       ;  msbs: dst=1 src0=0 src1=0 src2=0
	v_pk_fma_f32 v[112:113] /*v[368:369]*/, v[116:117], v[4:5], 0 op_sel_hi:[0,1,0]
	s_set_vgpr_msb 5                        ;  msbs: dst=0 src0=1 src1=1 src2=0
	v_mul_i32_i24_e32 v19, v221 /*v477*/, v87 /*v343*/
	v_mul_i32_i24_e32 v20, v222 /*v478*/, v88 /*v344*/
	;; [unrolled: 1-line block ×3, first 2 shown]
	s_set_vgpr_msb 64                       ;  msbs: dst=1 src0=0 src1=0 src2=0
	v_cvt_f32_i32_e32 v76 /*v332*/, v18
	s_set_vgpr_msb 5                        ;  msbs: dst=0 src0=1 src1=1 src2=0
	v_mul_i32_i24_e32 v18, v220 /*v476*/, v86 /*v342*/
	s_set_vgpr_msb 64                       ;  msbs: dst=1 src0=0 src1=0 src2=0
	v_cvt_f32_i32_e32 v77 /*v333*/, v9
	s_set_vgpr_msb 5                        ;  msbs: dst=0 src0=1 src1=1 src2=0
	v_mul_i32_i24_e32 v9, v247 /*v503*/, v83 /*v339*/
	v_mul_i32_i24_e32 v22, v224 /*v480*/, v90 /*v346*/
	;; [unrolled: 1-line block ×4, first 2 shown]
	s_set_vgpr_msb 4                        ;  msbs: dst=0 src0=0 src1=1 src2=0
	v_pk_fma_f32 v[6:7], v[0:1], v[76:77] /*v[332:333]*/, v[6:7]
	s_set_vgpr_msb 0x50                     ;  msbs: dst=1 src0=0 src1=0 src2=1
	v_pk_fma_f32 v[76:77] /*v[332:333]*/, v[118:119], v[2:3], v[112:113] /*v[368:369]*/ op_sel_hi:[0,1,1]
	s_set_vgpr_msb 5                        ;  msbs: dst=0 src0=1 src1=1 src2=0
	v_mul_i32_i24_e32 v26, v227 /*v483*/, v93 /*v349*/
	v_mul_i32_i24_e32 v28, v228 /*v484*/, v94 /*v350*/
	;; [unrolled: 1-line block ×4, first 2 shown]
	s_set_vgpr_msb 0x41                     ;  msbs: dst=1 src0=1 src1=0 src2=0
	v_pk_mul_f32 v[76:77] /*v[332:333]*/, v[76:77] /*v[332:333]*/, v[96:97]
	s_set_vgpr_msb 5                        ;  msbs: dst=0 src0=1 src1=1 src2=0
	v_mul_i32_i24_e32 v32, v231 /*v487*/, v97 /*v353*/
	v_mul_i32_i24_e32 v34, v99 /*v355*/, v232 /*v488*/
	;; [unrolled: 1-line block ×4, first 2 shown]
	s_set_vgpr_msb 16                       ;  msbs: dst=0 src0=0 src1=0 src2=1
	v_pk_fma_f32 v[6:7], v[6:7], v[88:89], v[76:77] /*v[332:333]*/ neg_lo:[0,0,1] neg_hi:[0,0,1]
	s_set_vgpr_msb 5                        ;  msbs: dst=0 src0=1 src1=1 src2=0
	v_mul_i32_i24_e32 v40, v100 /*v356*/, v235 /*v491*/
	v_mul_i32_i24_e32 v42, v103 /*v359*/, v236 /*v492*/
	;; [unrolled: 1-line block ×4, first 2 shown]
	s_set_vgpr_msb 0                        ;  msbs: dst=0 src0=0 src1=0 src2=0
	v_pk_add_f32 v[50:51], v[50:51], v[6:7]
	s_set_vgpr_msb 5                        ;  msbs: dst=0 src0=1 src1=1 src2=0
	v_mul_i32_i24_e32 v6, v245 /*v501*/, v81 /*v337*/
	v_mul_i32_i24_e32 v7, v246 /*v502*/, v82 /*v338*/
	;; [unrolled: 1-line block ×5, first 2 shown]
	v_mad_i32_i24 v6, v217 /*v473*/, v80 /*v336*/, v6
	v_mul_i32_i24_e32 v55, v242 /*v498*/, v108 /*v364*/
	s_set_vgpr_msb 1                        ;  msbs: dst=0 src0=1 src1=0 src2=0
	v_mul_i32_i24_e32 v116, v243 /*v499*/, v195
	v_mul_i32_i24_e32 v118, v244 /*v500*/, v197
	;; [unrolled: 1-line block ×3, first 2 shown]
	s_set_vgpr_msb 0                        ;  msbs: dst=0 src0=0 src1=0 src2=0
	v_add3_u32 v6, v6, v7, v9
	s_set_vgpr_msb 5                        ;  msbs: dst=0 src0=1 src1=1 src2=0
	v_mul_i32_i24_e32 v7, v218 /*v474*/, v84 /*v340*/
	v_mul_i32_i24_e32 v9, v219 /*v475*/, v85 /*v341*/
	s_set_vgpr_msb 0                        ;  msbs: dst=0 src0=0 src1=0 src2=0
	s_delay_alu instid0(VALU_DEP_1)
	v_add3_u32 v6, v6, v7, v9
	s_set_vgpr_msb 1                        ;  msbs: dst=0 src0=1 src1=0 src2=0
	v_mul_i32_i24_e32 v7, v214 /*v470*/, v189
	v_mul_i32_i24_e32 v9, v215 /*v471*/, v187
	s_set_vgpr_msb 0                        ;  msbs: dst=0 src0=0 src1=0 src2=0
	v_add3_u32 v6, v6, v18, v19
	s_set_vgpr_msb 1                        ;  msbs: dst=0 src0=1 src1=0 src2=0
	v_mul_i32_i24_e32 v18, v216 /*v472*/, v193
	v_mad_i32_i24 v7, v187 /*v443*/, v188, v7
	v_mul_i32_i24_e32 v19, v190 /*v446*/, v191
	s_set_vgpr_msb 0                        ;  msbs: dst=0 src0=0 src1=0 src2=0
	v_pk_fma_f32 v[188:189], v[104:105], v[4:5], 0 op_sel_hi:[0,1,0]
	v_add3_u32 v6, v6, v20, v21
	s_set_vgpr_msb 1                        ;  msbs: dst=0 src0=1 src1=0 src2=0
	v_mul_i32_i24_e32 v20, v191 /*v447*/, v201
	s_set_vgpr_msb 0                        ;  msbs: dst=0 src0=0 src1=0 src2=0
	v_add3_u32 v7, v7, v9, v18
	s_set_vgpr_msb 1                        ;  msbs: dst=0 src0=1 src1=0 src2=0
	v_mul_i32_i24_e32 v9, v188 /*v444*/, v198
	v_mul_i32_i24_e32 v18, v189 /*v445*/, v199
	s_set_vgpr_msb 0                        ;  msbs: dst=0 src0=0 src1=0 src2=0
	v_add3_u32 v6, v6, v22, v24
	s_set_vgpr_msb 1                        ;  msbs: dst=0 src0=1 src1=0 src2=0
	v_mul_i32_i24_e32 v21, v192 /*v448*/, v203
	v_mul_i32_i24_e32 v22, v193 /*v449*/, v206
	v_mul_i32_i24_e32 v24, v194 /*v450*/, v200
	s_set_vgpr_msb 0                        ;  msbs: dst=0 src0=0 src1=0 src2=0
	v_add3_u32 v7, v7, v9, v18
	v_add3_u32 v6, v6, v25, v26
	s_set_vgpr_msb 1                        ;  msbs: dst=0 src0=1 src1=0 src2=0
	v_mul_i32_i24_e32 v25, v195 /*v451*/, v208
	v_mul_i32_i24_e32 v26, v196 /*v452*/, v210
	v_mul_i32_i24_e32 v18, v186 /*v442*/, v171
	s_set_vgpr_msb 0                        ;  msbs: dst=0 src0=0 src1=0 src2=0
	v_add3_u32 v7, v7, v19, v20
	v_add3_u32 v6, v6, v28, v29
	s_set_vgpr_msb 1                        ;  msbs: dst=0 src0=1 src1=0 src2=0
	v_mul_i32_i24_e32 v28, v197 /*v453*/, v212
	v_mul_i32_i24_e32 v29, v198 /*v454*/, v207
	v_mul_i32_i24_e32 v19, v185 /*v441*/, v119
	s_set_vgpr_msb 0                        ;  msbs: dst=0 src0=0 src1=0 src2=0
	v_add3_u32 v7, v7, v21, v22
	v_add3_u32 v6, v6, v30, v32
	s_set_vgpr_msb 1                        ;  msbs: dst=0 src0=1 src1=0 src2=0
	v_mul_i32_i24_e32 v30, v199 /*v455*/, v213
	v_mul_i32_i24_e32 v32, v200 /*v456*/, v216
	s_set_vgpr_msb 4                        ;  msbs: dst=0 src0=0 src1=1 src2=0
	v_mul_i32_i24_e32 v20, v117, v110 /*v366*/
	s_set_vgpr_msb 0                        ;  msbs: dst=0 src0=0 src1=0 src2=0
	v_add3_u32 v7, v7, v24, v25
	v_add3_u32 v6, v6, v34, v36
	s_set_vgpr_msb 1                        ;  msbs: dst=0 src0=1 src1=0 src2=0
	v_mul_i32_i24_e32 v34, v201 /*v457*/, v217
	s_set_vgpr_msb 4                        ;  msbs: dst=0 src0=0 src1=1 src2=0
	v_mul_i32_i24_e32 v36, v220, v202 /*v458*/
	v_mul_i32_i24_e32 v21, v117, v109 /*v365*/
	s_set_vgpr_msb 0                        ;  msbs: dst=0 src0=0 src1=0 src2=0
	v_add3_u32 v7, v7, v26, v28
	v_add3_u32 v6, v6, v38, v40
	s_set_vgpr_msb 4                        ;  msbs: dst=0 src0=0 src1=1 src2=0
	v_mul_i32_i24_e32 v38, v218, v203 /*v459*/
	v_mul_i32_i24_e32 v40, v221, v204 /*v460*/
	s_set_vgpr_msb 21                       ;  msbs: dst=0 src0=1 src1=1 src2=1
	v_add3_u32 v22, v182 /*v438*/, v180 /*v436*/, v181 /*v437*/
	s_set_vgpr_msb 0                        ;  msbs: dst=0 src0=0 src1=0 src2=0
	v_add3_u32 v7, v7, v29, v30
	v_add3_u32 v6, v6, v42, v44
	s_set_vgpr_msb 4                        ;  msbs: dst=0 src0=0 src1=1 src2=0
	v_mul_i32_i24_e32 v42, v222, v205 /*v461*/
	v_mul_i32_i24_e32 v44, v227, v206 /*v462*/
	s_set_vgpr_msb 1                        ;  msbs: dst=0 src0=1 src1=0 src2=0
	v_mul_i32_i24_e32 v24, v225 /*v481*/, v186
	s_set_vgpr_msb 0                        ;  msbs: dst=0 src0=0 src1=0 src2=0
	v_add3_u32 v7, v7, v32, v34
	v_add3_u32 v6, v6, v46, v48
	s_set_vgpr_msb 4                        ;  msbs: dst=0 src0=0 src1=1 src2=0
	v_mul_i32_i24_e32 v46, v224, v207 /*v463*/
	v_mul_i32_i24_e32 v48, v229, v208 /*v464*/
	s_set_vgpr_msb 1                        ;  msbs: dst=0 src0=1 src1=0 src2=0
	v_mul_i32_i24_e32 v25, v226 /*v482*/, v190
	;; [unrolled: 8-line block ×3, first 2 shown]
	s_set_vgpr_msb 0                        ;  msbs: dst=0 src0=0 src1=0 src2=0
	v_add3_u32 v7, v7, v40, v42
	v_add3_u32 v6, v6, v55, v116
	s_set_vgpr_msb 4                        ;  msbs: dst=0 src0=0 src1=1 src2=0
	v_mul_i32_i24_e32 v55, v233, v211 /*v467*/
	s_set_vgpr_msb 1                        ;  msbs: dst=0 src0=1 src1=0 src2=0
	v_mul_i32_i24_e32 v116, v212 /*v468*/, v239
	v_mul_i32_i24_e32 v28, v228 /*v484*/, v194
	s_set_vgpr_msb 0                        ;  msbs: dst=0 src0=0 src1=0 src2=0
	v_add3_u32 v7, v7, v44, v46
	v_add3_u32 v6, v6, v118, v18
	s_set_vgpr_msb 1                        ;  msbs: dst=0 src0=1 src1=0 src2=0
	v_mul_i32_i24_e32 v29, v229 /*v485*/, v196
	v_mul_i32_i24_e32 v30, v230 /*v486*/, v202
	;; [unrolled: 1-line block ×3, first 2 shown]
	s_set_vgpr_msb 0                        ;  msbs: dst=0 src0=0 src1=0 src2=0
	v_add3_u32 v7, v7, v48, v52
	v_mul_lo_u32 v6, v6, v172
	s_set_vgpr_msb 4                        ;  msbs: dst=0 src0=0 src1=1 src2=0
	v_mul_i32_i24_e32 v34, v209, v232 /*v488*/
	v_mul_i32_i24_e32 v36, v205, v233 /*v489*/
	;; [unrolled: 1-line block ×3, first 2 shown]
	s_set_vgpr_msb 0                        ;  msbs: dst=0 src0=0 src1=0 src2=0
	v_add3_u32 v9, v7, v53, v55
	s_set_vgpr_msb 1                        ;  msbs: dst=0 src0=1 src1=0 src2=0
	v_mul_i32_i24_e32 v7, v169 /*v425*/, v171
	s_set_vgpr_msb 4                        ;  msbs: dst=0 src0=0 src1=1 src2=0
	v_mul_i32_i24_e32 v40, v211, v235 /*v491*/
	v_mul_i32_i24_e32 v42, v219, v236 /*v492*/
	;; [unrolled: 1-line block ×3, first 2 shown]
	s_set_vgpr_msb 0                        ;  msbs: dst=0 src0=0 src1=0 src2=0
	v_add3_u32 v9, v9, v116, v141
	s_set_vgpr_msb 5                        ;  msbs: dst=0 src0=1 src1=1 src2=0
	v_add3_u32 v7, v184 /*v440*/, v183 /*v439*/, v7
	s_set_vgpr_msb 4                        ;  msbs: dst=0 src0=0 src1=1 src2=0
	v_mul_i32_i24_e32 v46, v225, v238 /*v494*/
	v_mul_i32_i24_e32 v48, v223, v239 /*v495*/
	;; [unrolled: 1-line block ×3, first 2 shown]
	s_set_vgpr_msb 0                        ;  msbs: dst=0 src0=0 src1=0 src2=0
	v_add3_u32 v9, v9, v19, v21
	v_mul_lo_u32 v18, v7, v172
	v_cvt_f32_i32_e32 v7, v6
	s_set_vgpr_msb 1                        ;  msbs: dst=0 src0=1 src1=0 src2=0
	v_mul_i32_i24_e32 v19, v221 /*v477*/, v182
	v_mul_i32_i24_e32 v21, v223 /*v479*/, v184
	s_set_vgpr_msb 0                        ;  msbs: dst=0 src0=0 src1=0 src2=0
	v_mul_lo_u32 v9, v9, v122
	s_set_vgpr_msb 4                        ;  msbs: dst=0 src0=0 src1=1 src2=0
	v_mul_i32_i24_e32 v53, v226, v241 /*v497*/
	s_set_vgpr_msb 1                        ;  msbs: dst=0 src0=1 src1=0 src2=0
	v_mul_i32_i24_e32 v55, v242 /*v498*/, v237
	v_mul_i32_i24_e32 v104, v243 /*v499*/, v240
	s_set_vgpr_msb 5                        ;  msbs: dst=0 src0=1 src1=1 src2=0
	v_mul_i32_i24_e32 v118, v213 /*v469*/, v11 /*v267*/
	s_set_vgpr_msb 0                        ;  msbs: dst=0 src0=0 src1=0 src2=0
	v_cvt_f32_i32_e32 v6, v18
	s_set_vgpr_msb 1                        ;  msbs: dst=0 src0=1 src1=0 src2=0
	v_mul_i32_i24_e32 v18, v168 /*v424*/, v119
	s_set_vgpr_msb 0                        ;  msbs: dst=0 src0=0 src1=0 src2=0
	v_cvt_f32_i32_e32 v117, v9
	v_pk_fma_f32 v[6:7], v[120:121], v[6:7], 0 op_sel_hi:[1,1,0]
	s_delay_alu instid0(VALU_DEP_3)
	v_add3_u32 v18, v22, v18, v20
	s_set_vgpr_msb 1                        ;  msbs: dst=0 src0=1 src1=0 src2=0
	v_mul_i32_i24_e32 v9, v247 /*v503*/, v178
	v_mul_i32_i24_e32 v20, v222 /*v478*/, v183
	;; [unrolled: 1-line block ×3, first 2 shown]
	s_set_vgpr_msb 0                        ;  msbs: dst=0 src0=0 src1=0 src2=0
	v_mul_lo_u32 v18, v18, v122
	s_delay_alu instid0(VALU_DEP_1) | instskip(SKIP_3) | instid1(VALU_DEP_2)
	v_cvt_f32_i32_e32 v116, v18
	s_set_vgpr_msb 1                        ;  msbs: dst=0 src0=1 src1=0 src2=0
	v_mul_i32_i24_e32 v18, v220 /*v476*/, v181
	s_set_vgpr_msb 0                        ;  msbs: dst=0 src0=0 src1=0 src2=0
	v_pk_fma_f32 v[6:7], v[0:1], v[116:117], v[6:7]
	v_pk_fma_f32 v[116:117], v[106:107], v[2:3], v[188:189] op_sel_hi:[0,1,1]
	s_set_vgpr_msb 1                        ;  msbs: dst=0 src0=1 src1=0 src2=0
	v_mul_i32_i24_e32 v106, v244 /*v500*/, v242
	s_set_vgpr_msb 0                        ;  msbs: dst=0 src0=0 src1=0 src2=0
	s_delay_alu instid0(VALU_DEP_2) | instskip(NEXT) | instid1(VALU_DEP_1)
	v_pk_mul_f32 v[116:117], v[116:117], v[98:99]
	v_pk_fma_f32 v[6:7], v[6:7], v[90:91], v[116:117] neg_lo:[0,0,1] neg_hi:[0,0,1]
	v_pk_fma_f32 v[116:117], v[108:109], v[4:5], 0 op_sel_hi:[0,1,0]
	s_set_vgpr_msb 5                        ;  msbs: dst=0 src0=1 src1=1 src2=0
	v_mul_i32_i24_e32 v108, v213 /*v469*/, v74 /*v330*/
	s_set_vgpr_msb 0                        ;  msbs: dst=0 src0=0 src1=0 src2=0
	v_pk_fma_f32 v[4:5], v[114:115], v[4:5], 0 op_sel_hi:[0,1,0]
	v_pk_add_f32 v[60:61], v[60:61], v[6:7]
	s_set_vgpr_msb 1                        ;  msbs: dst=0 src0=1 src1=0 src2=0
	v_mul_i32_i24_e32 v6, v245 /*v501*/, v176
	v_mul_i32_i24_e32 v7, v246 /*v502*/, v177
	s_set_vgpr_msb 0                        ;  msbs: dst=0 src0=0 src1=0 src2=0
	v_pk_fma_f32 v[116:117], v[110:111], v[2:3], v[116:117] op_sel_hi:[0,1,1]
	v_pk_fma_f32 v[2:3], v[112:113], v[2:3], v[4:5] op_sel_hi:[0,1,1]
	s_set_vgpr_msb 1                        ;  msbs: dst=0 src0=1 src1=0 src2=0
	v_mad_i32_i24 v6, v217 /*v473*/, v175, v6
	s_set_vgpr_msb 0                        ;  msbs: dst=0 src0=0 src1=0 src2=0
	v_pk_mul_f32 v[116:117], v[116:117], v[100:101]
	v_pk_mul_f32 v[2:3], v[2:3], v[102:103]
	s_delay_alu instid0(VALU_DEP_3) | instskip(SKIP_4) | instid1(VALU_DEP_1)
	v_add3_u32 v6, v6, v7, v9
	s_set_vgpr_msb 1                        ;  msbs: dst=0 src0=1 src1=0 src2=0
	v_mul_i32_i24_e32 v7, v218 /*v474*/, v179
	v_mul_i32_i24_e32 v9, v219 /*v475*/, v180
	s_set_vgpr_msb 0                        ;  msbs: dst=0 src0=0 src1=0 src2=0
	v_add3_u32 v6, v6, v7, v9
	s_set_vgpr_msb 1                        ;  msbs: dst=0 src0=1 src1=0 src2=0
	v_mul_i32_i24_e32 v7, v214 /*v470*/, v234
	v_mul_i32_i24_e32 v9, v215 /*v471*/, v228
	s_set_vgpr_msb 0                        ;  msbs: dst=0 src0=0 src1=0 src2=0
	v_add3_u32 v6, v6, v18, v19
	s_set_vgpr_msb 1                        ;  msbs: dst=0 src0=1 src1=0 src2=0
	v_mul_i32_i24_e32 v18, v216 /*v472*/, v238
	v_mad_i32_i24 v7, v187 /*v443*/, v232, v7
	v_mul_i32_i24_e32 v19, v190 /*v446*/, v235
	s_set_vgpr_msb 0                        ;  msbs: dst=0 src0=0 src1=0 src2=0
	v_add3_u32 v6, v6, v20, v21
	s_set_vgpr_msb 1                        ;  msbs: dst=0 src0=1 src1=0 src2=0
	v_mul_i32_i24_e32 v20, v191 /*v447*/, v246
	s_set_vgpr_msb 0                        ;  msbs: dst=0 src0=0 src1=0 src2=0
	v_add3_u32 v7, v7, v9, v18
	s_set_vgpr_msb 1                        ;  msbs: dst=0 src0=1 src1=0 src2=0
	v_mul_i32_i24_e32 v9, v188 /*v444*/, v243
	v_mul_i32_i24_e32 v18, v189 /*v445*/, v244
	s_set_vgpr_msb 0                        ;  msbs: dst=0 src0=0 src1=0 src2=0
	v_add3_u32 v6, v6, v22, v24
	s_set_vgpr_msb 1                        ;  msbs: dst=0 src0=1 src1=0 src2=0
	v_mul_i32_i24_e32 v21, v192 /*v448*/, v247
	v_mul_i32_i24_e32 v22, v193 /*v449*/, v248
	v_mul_i32_i24_e32 v24, v194 /*v450*/, v245
	s_set_vgpr_msb 0                        ;  msbs: dst=0 src0=0 src1=0 src2=0
	v_add3_u32 v7, v7, v9, v18
	v_add3_u32 v6, v6, v25, v26
	s_set_vgpr_msb 1                        ;  msbs: dst=0 src0=1 src1=0 src2=0
	v_mul_i32_i24_e32 v25, v195 /*v451*/, v250
	v_mul_i32_i24_e32 v26, v196 /*v452*/, v251
	v_mul_i32_i24_e32 v18, v186 /*v442*/, v173
	s_set_vgpr_msb 0                        ;  msbs: dst=0 src0=0 src1=0 src2=0
	v_add3_u32 v7, v7, v19, v20
	;; [unrolled: 7-line block ×3, first 2 shown]
	v_add3_u32 v6, v6, v30, v32
	s_set_vgpr_msb 1                        ;  msbs: dst=0 src0=1 src1=0 src2=0
	v_mul_i32_i24_e32 v30, v199 /*v455*/, v253
	v_mul_i32_i24_e32 v32, v200 /*v456*/, v254
	s_set_vgpr_msb 4                        ;  msbs: dst=0 src0=0 src1=1 src2=0
	v_mul_i32_i24_e32 v20, v123, v110 /*v366*/
	s_set_vgpr_msb 0                        ;  msbs: dst=0 src0=0 src1=0 src2=0
	v_add3_u32 v7, v7, v24, v25
	v_add3_u32 v6, v6, v34, v36
	s_set_vgpr_msb 1                        ;  msbs: dst=0 src0=1 src1=0 src2=0
	v_mul_i32_i24_e32 v34, v201 /*v457*/, v255
	s_set_vgpr_msb 5                        ;  msbs: dst=0 src0=1 src1=1 src2=0
	v_mul_i32_i24_e32 v36, v1 /*v257*/, v202 /*v458*/
	s_set_vgpr_msb 4                        ;  msbs: dst=0 src0=0 src1=1 src2=0
	v_mul_i32_i24_e32 v21, v123, v109 /*v365*/
	s_set_vgpr_msb 0                        ;  msbs: dst=0 src0=0 src1=0 src2=0
	v_add3_u32 v7, v7, v26, v28
	v_add3_u32 v6, v6, v38, v40
	s_set_vgpr_msb 21                       ;  msbs: dst=0 src0=1 src1=1 src2=1
	v_mul_i32_i24_e32 v38, v0 /*v256*/, v203 /*v459*/
	v_mul_i32_i24_e32 v40, v2 /*v258*/, v204 /*v460*/
	v_add3_u32 v22, v177 /*v433*/, v175 /*v431*/, v176 /*v432*/
	s_set_vgpr_msb 0                        ;  msbs: dst=0 src0=0 src1=0 src2=0
	v_add3_u32 v7, v7, v29, v30
	v_add3_u32 v6, v6, v42, v44
	s_set_vgpr_msb 5                        ;  msbs: dst=0 src0=1 src1=1 src2=0
	v_mul_i32_i24_e32 v42, v3 /*v259*/, v205 /*v461*/
	v_mul_i32_i24_e32 v44, v5 /*v261*/, v206 /*v462*/
	v_mul_i32_i24_e32 v24, v225 /*v481*/, v25 /*v281*/
	s_set_vgpr_msb 0                        ;  msbs: dst=0 src0=0 src1=0 src2=0
	v_add3_u32 v7, v7, v32, v34
	v_add3_u32 v6, v6, v46, v48
	s_set_vgpr_msb 5                        ;  msbs: dst=0 src0=1 src1=1 src2=0
	v_mul_i32_i24_e32 v46, v4 /*v260*/, v207 /*v463*/
	v_mul_i32_i24_e32 v48, v6 /*v262*/, v208 /*v464*/
	v_mul_i32_i24_e32 v25, v226 /*v482*/, v26 /*v282*/
	;; [unrolled: 7-line block ×5, first 2 shown]
	s_set_vgpr_msb 0                        ;  msbs: dst=0 src0=0 src1=0 src2=0
	v_add3_u32 v7, v7, v48, v52
	v_mul_lo_u32 v6, v6, v174
	s_set_vgpr_msb 5                        ;  msbs: dst=0 src0=1 src1=1 src2=0
	v_mul_i32_i24_e32 v34, v33 /*v289*/, v232 /*v488*/
	v_mul_i32_i24_e32 v36, v32 /*v288*/, v233 /*v489*/
	;; [unrolled: 1-line block ×3, first 2 shown]
	s_set_vgpr_msb 0                        ;  msbs: dst=0 src0=0 src1=0 src2=0
	v_add3_u32 v9, v7, v53, v55
	s_set_vgpr_msb 1                        ;  msbs: dst=0 src0=1 src1=0 src2=0
	v_mul_i32_i24_e32 v7, v169 /*v425*/, v173
	s_set_vgpr_msb 5                        ;  msbs: dst=0 src0=1 src1=1 src2=0
	v_mul_i32_i24_e32 v40, v34 /*v290*/, v235 /*v491*/
	v_mul_i32_i24_e32 v42, v37 /*v293*/, v236 /*v492*/
	;; [unrolled: 1-line block ×3, first 2 shown]
	s_set_vgpr_msb 0                        ;  msbs: dst=0 src0=0 src1=0 src2=0
	v_add3_u32 v9, v9, v104, v118
	s_set_vgpr_msb 5                        ;  msbs: dst=0 src0=1 src1=1 src2=0
	v_add3_u32 v7, v179 /*v435*/, v178 /*v434*/, v7
	v_mul_i32_i24_e32 v46, v39 /*v295*/, v238 /*v494*/
	v_mul_i32_i24_e32 v48, v38 /*v294*/, v239 /*v495*/
	;; [unrolled: 1-line block ×3, first 2 shown]
	s_set_vgpr_msb 0                        ;  msbs: dst=0 src0=0 src1=0 src2=0
	v_add3_u32 v9, v9, v19, v21
	v_mul_lo_u32 v18, v7, v174
	v_cvt_f32_i32_e32 v7, v6
	s_set_vgpr_msb 5                        ;  msbs: dst=0 src0=1 src1=1 src2=0
	v_mul_i32_i24_e32 v19, v221 /*v477*/, v21 /*v277*/
	v_mul_i32_i24_e32 v21, v223 /*v479*/, v23 /*v279*/
	s_set_vgpr_msb 0                        ;  msbs: dst=0 src0=0 src1=0 src2=0
	v_mul_lo_u32 v9, v9, v167
	s_set_vgpr_msb 5                        ;  msbs: dst=0 src0=1 src1=1 src2=0
	v_mul_i32_i24_e32 v53, v40 /*v296*/, v241 /*v497*/
	v_mul_i32_i24_e32 v55, v242 /*v498*/, v46 /*v302*/
	;; [unrolled: 1-line block ×4, first 2 shown]
	s_set_vgpr_msb 0                        ;  msbs: dst=0 src0=0 src1=0 src2=0
	v_cvt_f32_i32_e32 v6, v18
	s_set_vgpr_msb 1                        ;  msbs: dst=0 src0=1 src1=0 src2=0
	v_mul_i32_i24_e32 v18, v168 /*v424*/, v166
	s_set_vgpr_msb 0                        ;  msbs: dst=0 src0=0 src1=0 src2=0
	v_cvt_f32_i32_e32 v119, v9
	v_pk_fma_f32 v[6:7], v[120:121], v[6:7], 0 op_sel_hi:[1,1,0]
	s_delay_alu instid0(VALU_DEP_3)
	v_add3_u32 v18, v22, v18, v20
	s_set_vgpr_msb 5                        ;  msbs: dst=0 src0=1 src1=1 src2=0
	v_mul_i32_i24_e32 v9, v247 /*v503*/, v17 /*v273*/
	v_mul_i32_i24_e32 v20, v222 /*v478*/, v22 /*v278*/
	;; [unrolled: 1-line block ×3, first 2 shown]
	s_set_vgpr_msb 0                        ;  msbs: dst=0 src0=0 src1=0 src2=0
	v_mul_lo_u32 v18, v18, v167
	s_delay_alu instid0(VALU_DEP_1) | instskip(SKIP_3) | instid1(VALU_DEP_2)
	v_cvt_f32_i32_e32 v118, v18
	s_set_vgpr_msb 5                        ;  msbs: dst=0 src0=1 src1=1 src2=0
	v_mul_i32_i24_e32 v18, v220 /*v476*/, v20 /*v276*/
	s_set_vgpr_msb 0                        ;  msbs: dst=0 src0=0 src1=0 src2=0
	v_pk_fma_f32 v[6:7], v[0:1], v[118:119], v[6:7]
	s_delay_alu instid0(VALU_DEP_1) | instskip(NEXT) | instid1(VALU_DEP_1)
	v_pk_fma_f32 v[6:7], v[6:7], v[92:93], v[116:117] neg_lo:[0,0,1] neg_hi:[0,0,1]
	v_pk_add_f32 v[66:67], v[66:67], v[6:7]
	s_set_vgpr_msb 5                        ;  msbs: dst=0 src0=1 src1=1 src2=0
	v_mul_i32_i24_e32 v6, v245 /*v501*/, v15 /*v271*/
	v_mul_i32_i24_e32 v7, v246 /*v502*/, v16 /*v272*/
	s_delay_alu instid0(VALU_DEP_2) | instskip(SKIP_1) | instid1(VALU_DEP_1)
	v_mad_i32_i24 v6, v217 /*v473*/, v14 /*v270*/, v6
	s_set_vgpr_msb 0                        ;  msbs: dst=0 src0=0 src1=0 src2=0
	v_add3_u32 v6, v6, v7, v9
	s_set_vgpr_msb 5                        ;  msbs: dst=0 src0=1 src1=1 src2=0
	v_mul_i32_i24_e32 v7, v218 /*v474*/, v18 /*v274*/
	v_mul_i32_i24_e32 v9, v219 /*v475*/, v19 /*v275*/
	s_set_vgpr_msb 0                        ;  msbs: dst=0 src0=0 src1=0 src2=0
	s_delay_alu instid0(VALU_DEP_1)
	v_add3_u32 v6, v6, v7, v9
	s_set_vgpr_msb 5                        ;  msbs: dst=0 src0=1 src1=1 src2=0
	v_mul_i32_i24_e32 v7, v214 /*v470*/, v44 /*v300*/
	v_mul_i32_i24_e32 v9, v215 /*v471*/, v41 /*v297*/
	s_set_vgpr_msb 0                        ;  msbs: dst=0 src0=0 src1=0 src2=0
	v_add3_u32 v6, v6, v18, v19
	s_set_vgpr_msb 5                        ;  msbs: dst=0 src0=1 src1=1 src2=0
	v_mul_i32_i24_e32 v18, v216 /*v472*/, v47 /*v303*/
	v_mad_i32_i24 v7, v187 /*v443*/, v43 /*v299*/, v7
	v_mul_i32_i24_e32 v19, v190 /*v446*/, v45 /*v301*/
	s_set_vgpr_msb 0                        ;  msbs: dst=0 src0=0 src1=0 src2=0
	v_add3_u32 v6, v6, v20, v21
	s_set_vgpr_msb 5                        ;  msbs: dst=0 src0=1 src1=1 src2=0
	v_mul_i32_i24_e32 v20, v191 /*v447*/, v53 /*v309*/
	s_set_vgpr_msb 0                        ;  msbs: dst=0 src0=0 src1=0 src2=0
	v_add3_u32 v7, v7, v9, v18
	s_set_vgpr_msb 5                        ;  msbs: dst=0 src0=1 src1=1 src2=0
	v_mul_i32_i24_e32 v9, v188 /*v444*/, v50 /*v306*/
	v_mul_i32_i24_e32 v18, v189 /*v445*/, v51 /*v307*/
	s_set_vgpr_msb 0                        ;  msbs: dst=0 src0=0 src1=0 src2=0
	v_add3_u32 v6, v6, v22, v24
	s_set_vgpr_msb 5                        ;  msbs: dst=0 src0=1 src1=1 src2=0
	v_mul_i32_i24_e32 v21, v192 /*v448*/, v54 /*v310*/
	v_mul_i32_i24_e32 v22, v193 /*v449*/, v55 /*v311*/
	;; [unrolled: 1-line block ×3, first 2 shown]
	s_set_vgpr_msb 0                        ;  msbs: dst=0 src0=0 src1=0 src2=0
	v_add3_u32 v7, v7, v9, v18
	v_add3_u32 v6, v6, v25, v26
	s_set_vgpr_msb 5                        ;  msbs: dst=0 src0=1 src1=1 src2=0
	v_mul_i32_i24_e32 v25, v195 /*v451*/, v57 /*v313*/
	v_mul_i32_i24_e32 v26, v196 /*v452*/, v58 /*v314*/
	;; [unrolled: 1-line block ×3, first 2 shown]
	s_set_vgpr_msb 0                        ;  msbs: dst=0 src0=0 src1=0 src2=0
	v_add3_u32 v7, v7, v19, v20
	v_add3_u32 v6, v6, v28, v29
	s_set_vgpr_msb 5                        ;  msbs: dst=0 src0=1 src1=1 src2=0
	v_mul_i32_i24_e32 v28, v197 /*v453*/, v59 /*v315*/
	v_mul_i32_i24_e32 v29, v198 /*v454*/, v56 /*v312*/
	s_set_vgpr_msb 1                        ;  msbs: dst=0 src0=1 src1=0 src2=0
	v_mul_i32_i24_e32 v19, v185 /*v441*/, v169
	s_set_vgpr_msb 0                        ;  msbs: dst=0 src0=0 src1=0 src2=0
	v_add3_u32 v7, v7, v21, v22
	v_add3_u32 v6, v6, v30, v32
	s_set_vgpr_msb 5                        ;  msbs: dst=0 src0=1 src1=1 src2=0
	v_mul_i32_i24_e32 v30, v199 /*v455*/, v60 /*v316*/
	v_mul_i32_i24_e32 v32, v200 /*v456*/, v61 /*v317*/
	s_set_vgpr_msb 4                        ;  msbs: dst=0 src0=0 src1=1 src2=0
	v_mul_i32_i24_e32 v20, v168, v110 /*v366*/
	s_set_vgpr_msb 0                        ;  msbs: dst=0 src0=0 src1=0 src2=0
	v_add3_u32 v7, v7, v24, v25
	v_add3_u32 v6, v6, v34, v36
	s_set_vgpr_msb 5                        ;  msbs: dst=0 src0=1 src1=1 src2=0
	v_mul_i32_i24_e32 v34, v201 /*v457*/, v62 /*v318*/
	v_mul_i32_i24_e32 v36, v64 /*v320*/, v202 /*v458*/
	s_set_vgpr_msb 4                        ;  msbs: dst=0 src0=0 src1=1 src2=0
	v_mul_i32_i24_e32 v21, v168, v109 /*v365*/
	s_set_vgpr_msb 0                        ;  msbs: dst=0 src0=0 src1=0 src2=0
	v_add3_u32 v7, v7, v26, v28
	v_add3_u32 v6, v6, v38, v40
	s_set_vgpr_msb 21                       ;  msbs: dst=0 src0=1 src1=1 src2=1
	v_mul_i32_i24_e32 v38, v63 /*v319*/, v203 /*v459*/
	v_mul_i32_i24_e32 v40, v65 /*v321*/, v204 /*v460*/
	v_add3_u32 v22, v172 /*v428*/, v170 /*v426*/, v171 /*v427*/
	s_set_vgpr_msb 0                        ;  msbs: dst=0 src0=0 src1=0 src2=0
	v_add3_u32 v7, v7, v29, v30
	v_add3_u32 v6, v6, v42, v44
	s_set_vgpr_msb 5                        ;  msbs: dst=0 src0=1 src1=1 src2=0
	v_mul_i32_i24_e32 v42, v66 /*v322*/, v205 /*v461*/
	v_mul_i32_i24_e32 v44, v68 /*v324*/, v206 /*v462*/
	s_set_vgpr_msb 0                        ;  msbs: dst=0 src0=0 src1=0 src2=0
	v_add3_u32 v7, v7, v32, v34
	v_add3_u32 v6, v6, v46, v48
	s_set_vgpr_msb 5                        ;  msbs: dst=0 src0=1 src1=1 src2=0
	v_mul_i32_i24_e32 v46, v67 /*v323*/, v207 /*v463*/
	v_mul_i32_i24_e32 v48, v69 /*v325*/, v208 /*v464*/
	;; [unrolled: 6-line block ×4, first 2 shown]
	s_set_vgpr_msb 0                        ;  msbs: dst=0 src0=0 src1=0 src2=0
	v_add3_u32 v7, v7, v44, v46
	v_add3_u32 v6, v6, v106, v18
	s_delay_alu instid0(VALU_DEP_2) | instskip(SKIP_1) | instid1(VALU_DEP_2)
	v_add3_u32 v7, v7, v48, v52
	s_set_vgpr_msb 4                        ;  msbs: dst=0 src0=0 src1=1 src2=0
	v_mul_lo_u32 v6, v6, v13 /*v269*/
	s_set_vgpr_msb 0                        ;  msbs: dst=0 src0=0 src1=0 src2=0
	s_delay_alu instid0(VALU_DEP_2) | instskip(SKIP_3) | instid1(VALU_DEP_2)
	v_add3_u32 v9, v7, v53, v55
	s_set_vgpr_msb 5                        ;  msbs: dst=0 src0=1 src1=1 src2=0
	v_mul_i32_i24_e32 v7, v169 /*v425*/, v12 /*v268*/
	s_set_vgpr_msb 0                        ;  msbs: dst=0 src0=0 src1=0 src2=0
	v_add3_u32 v9, v9, v104, v108
	s_set_vgpr_msb 5                        ;  msbs: dst=0 src0=1 src1=1 src2=0
	s_delay_alu instid0(VALU_DEP_2) | instskip(SKIP_1) | instid1(VALU_DEP_2)
	v_add3_u32 v7, v174 /*v430*/, v173 /*v429*/, v7
	s_set_vgpr_msb 0                        ;  msbs: dst=0 src0=0 src1=0 src2=0
	v_add3_u32 v9, v9, v19, v21
	s_set_vgpr_msb 4                        ;  msbs: dst=0 src0=0 src1=1 src2=0
	s_delay_alu instid0(VALU_DEP_2) | instskip(SKIP_3) | instid1(VALU_DEP_3)
	v_mul_lo_u32 v18, v7, v13 /*v269*/
	v_cvt_f32_i32_e32 v7, v6
	s_set_vgpr_msb 0                        ;  msbs: dst=0 src0=0 src1=0 src2=0
	v_mul_lo_u32 v9, v9, v170
	v_cvt_f32_i32_e32 v6, v18
	s_set_vgpr_msb 1                        ;  msbs: dst=0 src0=1 src1=0 src2=0
	v_mul_i32_i24_e32 v18, v168 /*v424*/, v169
	s_set_vgpr_msb 0                        ;  msbs: dst=0 src0=0 src1=0 src2=0
	s_delay_alu instid0(VALU_DEP_3) | instskip(SKIP_1) | instid1(VALU_DEP_3)
	v_cvt_f32_i32_e32 v117, v9
	v_pk_fma_f32 v[6:7], v[120:121], v[6:7], 0 op_sel_hi:[1,1,0]
	v_add3_u32 v18, v22, v18, v20
	s_delay_alu instid0(VALU_DEP_1) | instskip(NEXT) | instid1(VALU_DEP_1)
	v_mul_lo_u32 v18, v18, v170
	v_cvt_f32_i32_e32 v116, v18
	s_delay_alu instid0(VALU_DEP_1) | instskip(NEXT) | instid1(VALU_DEP_1)
	v_pk_fma_f32 v[0:1], v[0:1], v[116:117], v[6:7]
	v_pk_fma_f32 v[0:1], v[0:1], v[94:95], v[2:3] neg_lo:[0,0,1] neg_hi:[0,0,1]
	s_delay_alu instid0(VALU_DEP_1)
	v_pk_add_f32 v[74:75], v[74:75], v[0:1]
	s_cbranch_scc1 .LBB152_8
; %bb.9:                                ;   in Loop: Header=BB152_5 Depth=1
	s_add_co_i32 s2, s2, 1
	s_delay_alu instid0(SALU_CYCLE_1)
	s_cmp_eq_u32 s2, s7
	s_barrier_signal -1
	s_barrier_wait -1
	s_cbranch_scc0 .LBB152_5
; %bb.10:
	s_clause 0x2
	scratch_load_b32 v4, off, off offset:216 th:TH_LOAD_LU
	scratch_load_b32 v7, off, off offset:220 th:TH_LOAD_LU
	scratch_load_b32 v10, off, off offset:224
	v_cvt_pk_f16_f32 v22, v68, v69
	v_cvt_pk_f16_f32 v20, v76, v77
	;; [unrolled: 1-line block ×16, first 2 shown]
.LBB152_11:
	s_wait_xcnt 0x0
	s_mov_b32 s0, exec_lo
	s_wait_loadcnt 0x0
	v_cmpx_gt_u32_e64 s6, v10
	s_cbranch_execz .LBB152_62
; %bb.12:
	v_mul_lo_u32 v19, v10, s16
	v_add_nc_u32_e32 v0, s18, v7
	s_delay_alu instid0(VALU_DEP_1)
	v_cmp_gt_u32_e32 vcc_lo, s16, v0
	s_and_saveexec_b32 s0, vcc_lo
	s_cbranch_execz .LBB152_14
; %bb.13:
	s_delay_alu instid0(VALU_DEP_3)
	v_add_nc_u32_e32 v7, v0, v19
	s_wait_kmcnt 0x0
	global_store_b16 v7, v22, s[12:13] scale_offset
.LBB152_14:
	s_wait_xcnt 0x0
	s_or_b32 exec_lo, exec_lo, s0
	v_add_nc_u32_e32 v7, 32, v0
	s_delay_alu instid0(VALU_DEP_1)
	v_cmp_gt_u32_e64 s0, s16, v7
	s_and_saveexec_b32 s1, s0
	s_cbranch_execz .LBB152_16
; %bb.15:
	v_add_nc_u32_e32 v9, v7, v19
	s_wait_kmcnt 0x0
	global_store_b16 v9, v20, s[12:13] scale_offset
.LBB152_16:
	s_wait_xcnt 0x0
	s_or_b32 exec_lo, exec_lo, s1
	v_add_nc_u32_e32 v9, 64, v0
	s_delay_alu instid0(VALU_DEP_1)
	v_cmp_gt_u32_e64 s1, s16, v9
	s_and_saveexec_b32 s2, s1
	s_cbranch_execz .LBB152_18
; %bb.17:
	v_add_nc_u32_e32 v10, v9, v19
	s_wait_kmcnt 0x0
	global_store_b16 v10, v18, s[12:13] scale_offset
.LBB152_18:
	;; [unrolled: 12-line block ×3, first 2 shown]
	s_wait_xcnt 0x0
	s_or_b32 exec_lo, exec_lo, s3
	v_add3_u32 v19, v4, s17, 8
	s_delay_alu instid0(VALU_DEP_1)
	v_cmp_gt_u32_e64 s3, s6, v19
	s_and_b32 exec_lo, exec_lo, s3
	s_cbranch_execz .LBB152_62
; %bb.21:
	v_mul_lo_u32 v19, v19, s16
	s_and_saveexec_b32 s3, vcc_lo
	s_cbranch_execnz .LBB152_63
; %bb.22:
	s_or_b32 exec_lo, exec_lo, s3
	s_and_saveexec_b32 s3, s0
	s_cbranch_execnz .LBB152_64
.LBB152_23:
	s_or_b32 exec_lo, exec_lo, s3
	s_and_saveexec_b32 s3, s1
	s_cbranch_execnz .LBB152_65
.LBB152_24:
	s_or_b32 exec_lo, exec_lo, s3
	s_and_saveexec_b32 s3, s2
	s_cbranch_execz .LBB152_26
.LBB152_25:
	v_add_nc_u32_e32 v18, v19, v10
	s_wait_kmcnt 0x0
	global_store_d16_hi_b16 v18, v17, s[12:13] scale_offset
.LBB152_26:
	s_wait_xcnt 0x0
	s_or_b32 exec_lo, exec_lo, s3
	v_add3_u32 v17, v4, s17, 16
	s_delay_alu instid0(VALU_DEP_1)
	v_cmp_gt_u32_e64 s3, s6, v17
	s_and_b32 exec_lo, exec_lo, s3
	s_cbranch_execz .LBB152_62
; %bb.27:
	v_mul_lo_u32 v17, v17, s16
	s_and_saveexec_b32 s3, vcc_lo
	s_cbranch_execnz .LBB152_66
; %bb.28:
	s_or_b32 exec_lo, exec_lo, s3
	s_and_saveexec_b32 s3, s0
	s_cbranch_execnz .LBB152_67
.LBB152_29:
	s_or_b32 exec_lo, exec_lo, s3
	s_and_saveexec_b32 s3, s1
	s_cbranch_execnz .LBB152_68
.LBB152_30:
	s_or_b32 exec_lo, exec_lo, s3
	s_and_saveexec_b32 s3, s2
	s_cbranch_execz .LBB152_32
.LBB152_31:
	v_add_nc_u32_e32 v17, v17, v10
	s_wait_kmcnt 0x0
	global_store_b16 v17, v13, s[12:13] scale_offset
.LBB152_32:
	s_wait_xcnt 0x0
	s_or_b32 exec_lo, exec_lo, s3
	v_add3_u32 v17, v4, s17, 24
	s_delay_alu instid0(VALU_DEP_1)
	v_cmp_gt_u32_e64 s3, s6, v17
	s_and_b32 exec_lo, exec_lo, s3
	s_cbranch_execz .LBB152_62
; %bb.33:
	v_mul_lo_u32 v17, v17, s16
	s_and_saveexec_b32 s3, vcc_lo
	s_cbranch_execnz .LBB152_69
; %bb.34:
	s_or_b32 exec_lo, exec_lo, s3
	s_and_saveexec_b32 s3, s0
	s_cbranch_execnz .LBB152_70
.LBB152_35:
	s_or_b32 exec_lo, exec_lo, s3
	s_and_saveexec_b32 s3, s1
	s_cbranch_execnz .LBB152_71
.LBB152_36:
	s_or_b32 exec_lo, exec_lo, s3
	s_and_saveexec_b32 s3, s2
	s_cbranch_execz .LBB152_38
.LBB152_37:
	v_add_nc_u32_e32 v14, v17, v10
	s_wait_kmcnt 0x0
	global_store_d16_hi_b16 v14, v13, s[12:13] scale_offset
.LBB152_38:
	s_wait_xcnt 0x0
	s_or_b32 exec_lo, exec_lo, s3
	v_add3_u32 v13, v4, s17, 32
	s_delay_alu instid0(VALU_DEP_1)
	v_cmp_gt_u32_e64 s3, s6, v13
	s_and_b32 exec_lo, exec_lo, s3
	s_cbranch_execz .LBB152_62
; %bb.39:
	v_mul_lo_u32 v13, v13, s16
	s_and_saveexec_b32 s3, vcc_lo
	s_cbranch_execnz .LBB152_72
; %bb.40:
	s_or_b32 exec_lo, exec_lo, s3
	s_and_saveexec_b32 s3, s0
	s_cbranch_execnz .LBB152_73
.LBB152_41:
	s_or_b32 exec_lo, exec_lo, s3
	s_and_saveexec_b32 s3, s1
	s_cbranch_execnz .LBB152_74
.LBB152_42:
	s_or_b32 exec_lo, exec_lo, s3
	s_and_saveexec_b32 s3, s2
	s_cbranch_execz .LBB152_44
.LBB152_43:
	v_add_nc_u32_e32 v13, v13, v10
	s_wait_kmcnt 0x0
	global_store_b16 v13, v6, s[12:13] scale_offset
.LBB152_44:
	s_wait_xcnt 0x0
	s_or_b32 exec_lo, exec_lo, s3
	v_add3_u32 v13, v4, s17, 40
	s_delay_alu instid0(VALU_DEP_1)
	v_cmp_gt_u32_e64 s3, s6, v13
	s_and_b32 exec_lo, exec_lo, s3
	s_cbranch_execz .LBB152_62
; %bb.45:
	v_mul_lo_u32 v13, v13, s16
	s_and_saveexec_b32 s3, vcc_lo
	s_cbranch_execnz .LBB152_75
; %bb.46:
	s_or_b32 exec_lo, exec_lo, s3
	s_and_saveexec_b32 s3, s0
	s_cbranch_execnz .LBB152_76
.LBB152_47:
	s_or_b32 exec_lo, exec_lo, s3
	s_and_saveexec_b32 s3, s1
	s_cbranch_execnz .LBB152_77
.LBB152_48:
	s_or_b32 exec_lo, exec_lo, s3
	s_and_saveexec_b32 s3, s2
	s_cbranch_execz .LBB152_50
.LBB152_49:
	v_add_nc_u32_e32 v8, v13, v10
	s_wait_kmcnt 0x0
	global_store_d16_hi_b16 v8, v6, s[12:13] scale_offset
.LBB152_50:
	s_wait_xcnt 0x0
	s_or_b32 exec_lo, exec_lo, s3
	v_add3_u32 v6, v4, s17, 48
	s_delay_alu instid0(VALU_DEP_1)
	v_cmp_gt_u32_e64 s3, s6, v6
	s_and_b32 exec_lo, exec_lo, s3
	s_cbranch_execz .LBB152_62
; %bb.51:
	v_mul_lo_u32 v6, v6, s16
	s_and_saveexec_b32 s3, vcc_lo
	s_cbranch_execnz .LBB152_78
; %bb.52:
	s_or_b32 exec_lo, exec_lo, s3
	s_and_saveexec_b32 s3, s0
	s_cbranch_execnz .LBB152_79
.LBB152_53:
	s_or_b32 exec_lo, exec_lo, s3
	s_and_saveexec_b32 s3, s1
	s_cbranch_execnz .LBB152_80
.LBB152_54:
	s_or_b32 exec_lo, exec_lo, s3
	s_and_saveexec_b32 s3, s2
	s_cbranch_execz .LBB152_56
.LBB152_55:
	v_add_nc_u32_e32 v6, v6, v10
	s_wait_kmcnt 0x0
	global_store_b16 v6, v1, s[12:13] scale_offset
.LBB152_56:
	s_wait_xcnt 0x0
	s_or_b32 exec_lo, exec_lo, s3
	v_add3_u32 v4, v4, s17, 56
	s_delay_alu instid0(VALU_DEP_1)
	v_cmp_gt_u32_e64 s3, s6, v4
	s_and_b32 exec_lo, exec_lo, s3
	s_cbranch_execz .LBB152_62
; %bb.57:
	v_mul_lo_u32 v4, v4, s16
	s_and_saveexec_b32 s3, vcc_lo
	s_cbranch_execnz .LBB152_81
; %bb.58:
	s_or_b32 exec_lo, exec_lo, s3
	s_and_saveexec_b32 s3, s0
	s_cbranch_execnz .LBB152_82
.LBB152_59:
	s_or_b32 exec_lo, exec_lo, s3
	s_and_saveexec_b32 s0, s1
	s_cbranch_execnz .LBB152_83
.LBB152_60:
	s_or_b32 exec_lo, exec_lo, s0
	s_delay_alu instid0(SALU_CYCLE_1)
	s_and_b32 exec_lo, exec_lo, s2
	s_cbranch_execz .LBB152_62
.LBB152_61:
	v_add_nc_u32_e32 v0, v4, v10
	s_wait_kmcnt 0x0
	global_store_d16_hi_b16 v0, v1, s[12:13] scale_offset
.LBB152_62:
	s_sendmsg sendmsg(MSG_DEALLOC_VGPRS)
	s_endpgm
.LBB152_63:
	s_delay_alu instid0(VALU_DEP_1)
	v_add_nc_u32_e32 v21, v19, v0
	s_wait_kmcnt 0x0
	global_store_d16_hi_b16 v21, v22, s[12:13] scale_offset
	s_wait_xcnt 0x0
	s_or_b32 exec_lo, exec_lo, s3
	s_and_saveexec_b32 s3, s0
	s_cbranch_execz .LBB152_23
.LBB152_64:
	s_delay_alu instid0(VALU_DEP_1)
	v_add_nc_u32_e32 v21, v19, v7
	s_wait_kmcnt 0x0
	global_store_d16_hi_b16 v21, v20, s[12:13] scale_offset
	s_wait_xcnt 0x0
	s_or_b32 exec_lo, exec_lo, s3
	s_and_saveexec_b32 s3, s1
	s_cbranch_execz .LBB152_24
.LBB152_65:
	s_delay_alu instid0(VALU_DEP_1)
	v_add_nc_u32_e32 v20, v19, v9
	s_wait_kmcnt 0x0
	global_store_d16_hi_b16 v20, v18, s[12:13] scale_offset
	s_wait_xcnt 0x0
	s_or_b32 exec_lo, exec_lo, s3
	s_and_saveexec_b32 s3, s2
	s_cbranch_execnz .LBB152_25
	s_branch .LBB152_26
.LBB152_66:
	s_delay_alu instid0(VALU_DEP_1)
	v_add_nc_u32_e32 v18, v17, v0
	s_wait_kmcnt 0x0
	global_store_b16 v18, v16, s[12:13] scale_offset
	s_wait_xcnt 0x0
	s_or_b32 exec_lo, exec_lo, s3
	s_and_saveexec_b32 s3, s0
	s_cbranch_execz .LBB152_29
.LBB152_67:
	s_delay_alu instid0(VALU_DEP_1)
	v_add_nc_u32_e32 v18, v17, v7
	s_wait_kmcnt 0x0
	global_store_b16 v18, v15, s[12:13] scale_offset
	s_wait_xcnt 0x0
	s_or_b32 exec_lo, exec_lo, s3
	s_and_saveexec_b32 s3, s1
	s_cbranch_execz .LBB152_30
.LBB152_68:
	s_delay_alu instid0(VALU_DEP_1)
	v_add_nc_u32_e32 v18, v17, v9
	s_wait_kmcnt 0x0
	global_store_b16 v18, v14, s[12:13] scale_offset
	s_wait_xcnt 0x0
	s_or_b32 exec_lo, exec_lo, s3
	s_and_saveexec_b32 s3, s2
	s_cbranch_execnz .LBB152_31
	s_branch .LBB152_32
.LBB152_69:
	s_delay_alu instid0(VALU_DEP_1)
	v_add_nc_u32_e32 v18, v17, v0
	s_wait_kmcnt 0x0
	global_store_d16_hi_b16 v18, v16, s[12:13] scale_offset
	s_wait_xcnt 0x0
	s_or_b32 exec_lo, exec_lo, s3
	s_and_saveexec_b32 s3, s0
	s_cbranch_execz .LBB152_35
.LBB152_70:
	s_delay_alu instid0(VALU_DEP_1)
	v_add_nc_u32_e32 v16, v17, v7
	s_wait_kmcnt 0x0
	global_store_d16_hi_b16 v16, v15, s[12:13] scale_offset
	s_wait_xcnt 0x0
	s_or_b32 exec_lo, exec_lo, s3
	s_and_saveexec_b32 s3, s1
	s_cbranch_execz .LBB152_36
.LBB152_71:
	s_delay_alu instid0(VALU_DEP_1)
	v_add_nc_u32_e32 v15, v17, v9
	s_wait_kmcnt 0x0
	global_store_d16_hi_b16 v15, v14, s[12:13] scale_offset
	s_wait_xcnt 0x0
	s_or_b32 exec_lo, exec_lo, s3
	s_and_saveexec_b32 s3, s2
	s_cbranch_execnz .LBB152_37
	s_branch .LBB152_38
.LBB152_72:
	s_delay_alu instid0(VALU_DEP_1)
	v_add_nc_u32_e32 v14, v13, v0
	s_wait_kmcnt 0x0
	global_store_b16 v14, v12, s[12:13] scale_offset
	s_wait_xcnt 0x0
	s_or_b32 exec_lo, exec_lo, s3
	s_and_saveexec_b32 s3, s0
	s_cbranch_execz .LBB152_41
.LBB152_73:
	s_delay_alu instid0(VALU_DEP_1)
	v_add_nc_u32_e32 v14, v13, v7
	s_wait_kmcnt 0x0
	global_store_b16 v14, v11, s[12:13] scale_offset
	s_wait_xcnt 0x0
	s_or_b32 exec_lo, exec_lo, s3
	s_and_saveexec_b32 s3, s1
	s_cbranch_execz .LBB152_42
.LBB152_74:
	s_delay_alu instid0(VALU_DEP_1)
	v_add_nc_u32_e32 v14, v13, v9
	s_wait_kmcnt 0x0
	global_store_b16 v14, v8, s[12:13] scale_offset
	s_wait_xcnt 0x0
	s_or_b32 exec_lo, exec_lo, s3
	s_and_saveexec_b32 s3, s2
	s_cbranch_execnz .LBB152_43
	s_branch .LBB152_44
.LBB152_75:
	s_delay_alu instid0(VALU_DEP_1)
	v_add_nc_u32_e32 v14, v13, v0
	s_wait_kmcnt 0x0
	global_store_d16_hi_b16 v14, v12, s[12:13] scale_offset
	s_wait_xcnt 0x0
	s_or_b32 exec_lo, exec_lo, s3
	s_and_saveexec_b32 s3, s0
	s_cbranch_execz .LBB152_47
.LBB152_76:
	s_delay_alu instid0(VALU_DEP_1)
	v_add_nc_u32_e32 v12, v13, v7
	s_wait_kmcnt 0x0
	global_store_d16_hi_b16 v12, v11, s[12:13] scale_offset
	s_wait_xcnt 0x0
	s_or_b32 exec_lo, exec_lo, s3
	s_and_saveexec_b32 s3, s1
	s_cbranch_execz .LBB152_48
.LBB152_77:
	s_delay_alu instid0(VALU_DEP_1)
	v_add_nc_u32_e32 v11, v13, v9
	s_wait_kmcnt 0x0
	global_store_d16_hi_b16 v11, v8, s[12:13] scale_offset
	s_wait_xcnt 0x0
	s_or_b32 exec_lo, exec_lo, s3
	s_and_saveexec_b32 s3, s2
	s_cbranch_execnz .LBB152_49
	s_branch .LBB152_50
.LBB152_78:
	s_delay_alu instid0(VALU_DEP_1)
	v_add_nc_u32_e32 v8, v6, v0
	s_wait_kmcnt 0x0
	global_store_b16 v8, v5, s[12:13] scale_offset
	s_wait_xcnt 0x0
	s_or_b32 exec_lo, exec_lo, s3
	s_and_saveexec_b32 s3, s0
	s_cbranch_execz .LBB152_53
.LBB152_79:
	s_delay_alu instid0(VALU_DEP_1)
	v_add_nc_u32_e32 v8, v6, v7
	s_wait_kmcnt 0x0
	global_store_b16 v8, v3, s[12:13] scale_offset
	s_wait_xcnt 0x0
	s_or_b32 exec_lo, exec_lo, s3
	s_and_saveexec_b32 s3, s1
	s_cbranch_execz .LBB152_54
.LBB152_80:
	s_delay_alu instid0(VALU_DEP_1)
	v_add_nc_u32_e32 v8, v6, v9
	s_wait_kmcnt 0x0
	global_store_b16 v8, v2, s[12:13] scale_offset
	s_wait_xcnt 0x0
	s_or_b32 exec_lo, exec_lo, s3
	s_and_saveexec_b32 s3, s2
	s_cbranch_execnz .LBB152_55
	s_branch .LBB152_56
.LBB152_81:
	s_delay_alu instid0(VALU_DEP_1)
	v_add_nc_u32_e32 v0, v4, v0
	s_wait_kmcnt 0x0
	global_store_d16_hi_b16 v0, v5, s[12:13] scale_offset
	s_wait_xcnt 0x0
	s_or_b32 exec_lo, exec_lo, s3
	s_and_saveexec_b32 s3, s0
	s_cbranch_execz .LBB152_59
.LBB152_82:
	s_delay_alu instid0(VALU_DEP_1)
	v_add_nc_u32_e32 v0, v4, v7
	s_wait_kmcnt 0x0
	global_store_d16_hi_b16 v0, v3, s[12:13] scale_offset
	s_wait_xcnt 0x0
	s_or_b32 exec_lo, exec_lo, s3
	s_and_saveexec_b32 s0, s1
	s_cbranch_execz .LBB152_60
.LBB152_83:
	s_delay_alu instid0(VALU_DEP_1) | instskip(SKIP_4) | instid1(SALU_CYCLE_1)
	v_add_nc_u32_e32 v0, v4, v9
	s_wait_kmcnt 0x0
	global_store_d16_hi_b16 v0, v2, s[12:13] scale_offset
	s_wait_xcnt 0x0
	s_or_b32 exec_lo, exec_lo, s0
	s_and_b32 exec_lo, exec_lo, s2
	s_cbranch_execnz .LBB152_61
	s_branch .LBB152_62
	.section	.rodata,"a",@progbits
	.p2align	6, 0x0
	.amdhsa_kernel _ZL12mul_mat_q4_KIN3c104HalfELb1EEvPKvS3_PT_iiiii
		.amdhsa_group_segment_fixed_size 28752
		.amdhsa_private_segment_fixed_size 232
		.amdhsa_kernarg_size 44
		.amdhsa_user_sgpr_count 2
		.amdhsa_user_sgpr_dispatch_ptr 0
		.amdhsa_user_sgpr_queue_ptr 0
		.amdhsa_user_sgpr_kernarg_segment_ptr 1
		.amdhsa_user_sgpr_dispatch_id 0
		.amdhsa_user_sgpr_kernarg_preload_length 0
		.amdhsa_user_sgpr_kernarg_preload_offset 0
		.amdhsa_user_sgpr_private_segment_size 0
		.amdhsa_wavefront_size32 1
		.amdhsa_uses_dynamic_stack 0
		.amdhsa_enable_private_segment 1
		.amdhsa_system_sgpr_workgroup_id_x 1
		.amdhsa_system_sgpr_workgroup_id_y 1
		.amdhsa_system_sgpr_workgroup_id_z 0
		.amdhsa_system_sgpr_workgroup_info 0
		.amdhsa_system_vgpr_workitem_id 1
		.amdhsa_next_free_vgpr 512
		.amdhsa_next_free_sgpr 20
		.amdhsa_named_barrier_count 0
		.amdhsa_reserve_vcc 1
		.amdhsa_float_round_mode_32 0
		.amdhsa_float_round_mode_16_64 0
		.amdhsa_float_denorm_mode_32 3
		.amdhsa_float_denorm_mode_16_64 3
		.amdhsa_fp16_overflow 0
		.amdhsa_memory_ordered 1
		.amdhsa_forward_progress 1
		.amdhsa_inst_pref_size 255
		.amdhsa_round_robin_scheduling 0
		.amdhsa_exception_fp_ieee_invalid_op 0
		.amdhsa_exception_fp_denorm_src 0
		.amdhsa_exception_fp_ieee_div_zero 0
		.amdhsa_exception_fp_ieee_overflow 0
		.amdhsa_exception_fp_ieee_underflow 0
		.amdhsa_exception_fp_ieee_inexact 0
		.amdhsa_exception_int_div_zero 0
	.end_amdhsa_kernel
	.section	.text._ZL12mul_mat_q4_KIN3c104HalfELb1EEvPKvS3_PT_iiiii,"axG",@progbits,_ZL12mul_mat_q4_KIN3c104HalfELb1EEvPKvS3_PT_iiiii,comdat
.Lfunc_end152:
	.size	_ZL12mul_mat_q4_KIN3c104HalfELb1EEvPKvS3_PT_iiiii, .Lfunc_end152-_ZL12mul_mat_q4_KIN3c104HalfELb1EEvPKvS3_PT_iiiii
                                        ; -- End function
	.set _ZL12mul_mat_q4_KIN3c104HalfELb1EEvPKvS3_PT_iiiii.num_vgpr, 512
	.set _ZL12mul_mat_q4_KIN3c104HalfELb1EEvPKvS3_PT_iiiii.num_agpr, 0
	.set _ZL12mul_mat_q4_KIN3c104HalfELb1EEvPKvS3_PT_iiiii.numbered_sgpr, 20
	.set _ZL12mul_mat_q4_KIN3c104HalfELb1EEvPKvS3_PT_iiiii.num_named_barrier, 0
	.set _ZL12mul_mat_q4_KIN3c104HalfELb1EEvPKvS3_PT_iiiii.private_seg_size, 232
	.set _ZL12mul_mat_q4_KIN3c104HalfELb1EEvPKvS3_PT_iiiii.uses_vcc, 1
	.set _ZL12mul_mat_q4_KIN3c104HalfELb1EEvPKvS3_PT_iiiii.uses_flat_scratch, 1
	.set _ZL12mul_mat_q4_KIN3c104HalfELb1EEvPKvS3_PT_iiiii.has_dyn_sized_stack, 0
	.set _ZL12mul_mat_q4_KIN3c104HalfELb1EEvPKvS3_PT_iiiii.has_recursion, 0
	.set _ZL12mul_mat_q4_KIN3c104HalfELb1EEvPKvS3_PT_iiiii.has_indirect_call, 0
	.section	.AMDGPU.csdata,"",@progbits
; Kernel info:
; codeLenInByte = 76632
; TotalNumSgprs: 22
; NumVgprs: 512
; ScratchSize: 232
; MemoryBound: 0
; FloatMode: 240
; IeeeMode: 1
; LDSByteSize: 28752 bytes/workgroup (compile time only)
; SGPRBlocks: 0
; VGPRBlocks: 31
; NumSGPRsForWavesPerEU: 22
; NumVGPRsForWavesPerEU: 512
; NamedBarCnt: 0
; Occupancy: 2
; WaveLimiterHint : 0
; COMPUTE_PGM_RSRC2:SCRATCH_EN: 1
; COMPUTE_PGM_RSRC2:USER_SGPR: 2
; COMPUTE_PGM_RSRC2:TRAP_HANDLER: 0
; COMPUTE_PGM_RSRC2:TGID_X_EN: 1
; COMPUTE_PGM_RSRC2:TGID_Y_EN: 1
; COMPUTE_PGM_RSRC2:TGID_Z_EN: 0
; COMPUTE_PGM_RSRC2:TIDIG_COMP_CNT: 1
	.section	.text._ZL12mul_mat_q5_KIN3c104HalfELb0EEvPKvS3_PT_iiiii,"axG",@progbits,_ZL12mul_mat_q5_KIN3c104HalfELb0EEvPKvS3_PT_iiiii,comdat
	.globl	_ZL12mul_mat_q5_KIN3c104HalfELb0EEvPKvS3_PT_iiiii ; -- Begin function _ZL12mul_mat_q5_KIN3c104HalfELb0EEvPKvS3_PT_iiiii
	.p2align	8
	.type	_ZL12mul_mat_q5_KIN3c104HalfELb0EEvPKvS3_PT_iiiii,@function
_ZL12mul_mat_q5_KIN3c104HalfELb0EEvPKvS3_PT_iiiii: ; @_ZL12mul_mat_q5_KIN3c104HalfELb0EEvPKvS3_PT_iiiii
; %bb.0:
	s_clause 0x1
	s_load_b32 s10, s[0:1], 0x18
	s_load_b96 s[4:6], s[0:1], 0x20
	s_bfe_u32 s2, ttmp6, 0x4000c
	s_bfe_u32 s7, ttmp6, 0x40010
	s_add_co_i32 s2, s2, 1
	s_and_b32 s3, ttmp6, 15
	s_mul_i32 s2, ttmp9, s2
	s_add_co_i32 s7, s7, 1
	s_add_co_i32 s3, s3, s2
	s_mul_i32 s2, ttmp7, s7
	s_bfe_u32 s7, ttmp6, 0x40004
	s_getreg_b32 s8, hwreg(HW_REG_IB_STS2, 6, 4)
	s_add_co_i32 s7, s7, s2
	s_cmp_eq_u32 s8, 0
	v_bfe_u32 v29, v0, 10, 10
	s_cselect_b32 s7, ttmp7, s7
	v_and_b32_e32 v35, 0x3ff, v0
	s_cselect_b32 s2, ttmp9, s3
	s_lshl_b32 s7, s7, 6
	s_mov_b32 s3, 0
	s_wait_kmcnt 0x0
	s_cmp_gt_i32 s10, 0xff
	s_cbranch_scc1 .LBB153_2
; %bb.1:
	v_bfe_u32 v4, v0, 10, 10
	v_and_b32_e32 v7, 0x3ff, v0
	s_delay_alu instid0(VALU_DEP_2)
	v_add_nc_u32_e32 v37, s7, v4
	s_branch .LBB153_3
.LBB153_2:
	s_mov_b32 s3, -1
                                        ; implicit-def: $vgpr4
                                        ; implicit-def: $vgpr7
                                        ; implicit-def: $vgpr37
.LBB153_3:
	s_load_b64 s[8:9], s[0:1], 0x10
	v_dual_mov_b32 v1, 0 :: v_dual_mov_b32 v6, 0
	v_dual_mov_b32 v13, 0 :: v_dual_mov_b32 v17, 0
	;; [unrolled: 1-line block ×8, first 2 shown]
	s_lshl_b32 s14, s2, 7
	s_and_not1_b32 vcc_lo, exec_lo, s3
	s_mov_b32 s11, 0
	s_cbranch_vccnz .LBB153_11
; %bb.4:
	v_dual_add_nc_u32 v37, s7, v29 :: v_dual_bitop2_b32 v20, 7, v0 bitop3:0x40
	s_add_co_i32 s16, s4, -1
	v_mul_u32_u24_e32 v23, 0x41, v29
	v_cvt_f64_i32_e32 v[2:3], s16
	s_delay_alu instid0(VALU_DEP_3) | instskip(SKIP_2) | instid1(VALU_DEP_3)
	v_dual_add_nc_u32 v1, 8, v37 :: v_dual_add_nc_u32 v8, 16, v37
	v_dual_add_nc_u32 v10, 24, v37 :: v_dual_add_nc_u32 v14, 40, v37
	v_add_nc_u32_e32 v16, 48, v37
	v_cvt_f64_u32_e32 v[6:7], v1
	v_add_nc_u32_e32 v1, 32, v37
	v_cvt_f64_u32_e32 v[4:5], v37
	v_cvt_f64_u32_e32 v[8:9], v8
	;; [unrolled: 1-line block ×6, first 2 shown]
	v_dual_add_nc_u32 v1, 56, v37 :: v_dual_lshlrev_b32 v21, 3, v35
	v_lshlrev_b32_e32 v20, 2, v20
	v_bfe_u32 v22, v0, 2, 8
	s_ashr_i32 s12, s10, 31
	s_delay_alu instid0(VALU_DEP_3)
	v_cvt_f64_u32_e32 v[18:19], v1
	v_lshlrev_b32_e32 v1, 2, v35
	v_and_or_b32 v20, 0xc0, v21, v20
	s_lshr_b32 s12, s12, 24
	s_ashr_i32 s13, s5, 31
	s_add_co_i32 s10, s10, s12
	v_dual_mov_b32 v31, 0 :: v_dual_bitop2_b32 v32, 28, v1 bitop3:0x40
	v_lshl_add_u32 v43, v23, 2, v20
	s_ashr_i32 s15, s10, 8
	s_lshr_b32 s10, s13, 27
	v_dual_add_nc_u32 v38, 48, v29 :: v_dual_add_nc_u32 v40, 56, v29
	s_add_co_i32 s5, s5, s10
	v_add_nc_u32_e32 v20, 8, v29
	s_ashr_i32 s10, s5, 5
	s_lshl_b32 s5, s15, 3
	v_dual_mov_b32 v33, v31 :: v_dual_bitop2_b32 v39, 6, v22 bitop3:0x40
	v_dual_min_num_f64 v[6:7], v[6:7], v[2:3] :: v_dual_lshlrev_b32 v45, 5, v29
	v_min_num_f64_e32 v[4:5], v[4:5], v[2:3]
	v_dual_min_num_f64 v[8:9], v[8:9], v[2:3] :: v_dual_add_nc_u32 v21, 16, v29
	v_dual_min_num_f64 v[10:11], v[10:11], v[2:3] :: v_dual_add_nc_u32 v23, 24, v29
	;; [unrolled: 1-line block ×3, first 2 shown]
	v_dual_add_nc_u32 v24, v45, v35 :: v_dual_bitop2_b32 v26, 3, v0 bitop3:0x40
	v_min_num_f64_e32 v[14:15], v[14:15], v[2:3]
	v_dual_min_num_f64 v[16:17], v[16:17], v[2:3] :: v_dual_add_nc_u32 v36, 40, v29
	s_delay_alu instid0(VALU_DEP_3) | instskip(SKIP_3) | instid1(VALU_DEP_3)
	v_lshrrev_b32_e32 v27, 3, v24
	v_and_b32_e32 v24, 0x7f, v24
	v_dual_min_num_f64 v[2:3], v[18:19], v[2:3] :: v_dual_lshlrev_b32 v34, 3, v29
	v_cmp_gt_u32_e32 vcc_lo, 2, v26
	v_dual_lshlrev_b32 v27, 2, v24 :: v_dual_bitop2_b32 v19, 12, v27 bitop3:0x40
	v_dual_lshlrev_b32 v181, 5, v25 :: v_dual_lshlrev_b32 v182, 5, v36
	v_dual_lshlrev_b32 v183, 5, v38 :: v_dual_lshlrev_b32 v184, 5, v40
	s_delay_alu instid0(VALU_DEP_3)
	v_add3_u32 v47, v27, v19, 0xae40
	v_dual_add_nc_u32 v19, v22, v34 :: v_dual_bitop2_b32 v27, 4, v1 bitop3:0x40
	v_add_nc_u32_e32 v18, 0xfe, v26
	v_bfe_u32 v149, v0, 3, 7
	s_wait_xcnt 0x0
	s_load_b128 s[0:3], s[0:1], 0x0
	v_bfe_u32 v28, v0, 5, 5
	v_cvt_i32_f64_e32 v6, v[6:7]
	v_and_b32_e32 v18, 0xff, v18
	v_cvt_i32_f64_e32 v5, v[4:5]
	v_cvt_i32_f64_e32 v7, v[8:9]
	s_mul_i32 s12, s15, s14
	v_cvt_i32_f64_e32 v8, v[10:11]
	v_cndmask_b32_e32 v18, v18, v26, vcc_lo
	v_cvt_i32_f64_e32 v9, v[12:13]
	v_add_nc_u16 v12, v22, v34
	v_and_b32_e32 v10, 0x7f, v19
	v_mad_i32_i24 v34, s15, v29, s5
	v_cvt_i32_f64_e32 v11, v[14:15]
	v_cvt_i32_f64_e32 v13, v[16:17]
	v_lshlrev_b32_e32 v15, 2, v26
	v_lshrrev_b16 v12, 1, v12
	v_bitop3_b32 v14, v19, 64, 0x7f bitop3:0x6c
	v_cmp_ne_u32_e32 vcc_lo, 0, v26
	v_dual_lshlrev_b32 v53, 1, v18 :: v_dual_bitop2_b32 v16, 63, v19 bitop3:0x40
	v_lshl_or_b32 v17, v10, 4, v15
	v_and_b32_e32 v12, 60, v12
	v_cvt_i32_f64_e32 v2, v[2:3]
	v_lshrrev_b32_e32 v3, 1, v14
	v_add_co_ci_u32_e64 v4, null, 0, v18, vcc_lo
	v_or_b32_e32 v18, s7, v16
	v_lshl_or_b32 v19, v14, 4, v15
	s_delay_alu instid0(VALU_DEP_4)
	v_and_b32_e32 v3, 60, v3
	v_and_b32_e32 v22, 31, v0
	v_lshl_or_b32 v15, v16, 4, v15
	v_min_i32_e32 v18, s16, v18
	v_cmp_lt_u32_e32 vcc_lo, 1, v26
	v_mul_lo_u32 v65, s10, v6
	v_lshlrev_b32_e32 v6, 7, v20
	v_mul_lo_u32 v63, s10, v5
	v_lshlrev_b32_e32 v5, 7, v29
	v_add3_u32 v55, v17, v12, 0xa200
	v_add_nc_u32_e32 v12, 32, v35
	v_add3_u32 v57, v19, v3, 0xa200
	v_mul_lo_u32 v83, s10, v9
	v_lshlrev_b32_e32 v9, 7, v25
	v_mul_lo_u32 v67, s10, v7
	v_lshlrev_b32_e32 v7, 7, v21
	v_mul_lo_u32 v107, s10, v11
	v_lshlrev_b32_e32 v11, 7, v36
	v_mul_lo_u32 v109, s10, v13
	v_dual_add_nc_u32 v13, 64, v35 :: v_dual_add_nc_u32 v36, s5, v34
	v_dual_lshlrev_b32 v185, 4, v12 :: v_dual_lshlrev_b32 v16, 7, v38
	s_delay_alu instid0(VALU_DEP_2) | instskip(NEXT) | instid1(VALU_DEP_3)
	v_dual_lshrrev_b32 v137, 3, v12 :: v_dual_lshlrev_b32 v186, 4, v13
	v_add_nc_u32_e32 v38, s5, v36
	v_lshl_or_b32 v3, v22, 2, 0x8200
	v_mov_b32_e32 v41, v31
	v_add_nc_u32_e32 v61, 0xaa40, v15
	v_add_nc_u32_e32 v15, 0x60, v35
	s_delay_alu instid0(VALU_DEP_4) | instskip(SKIP_1) | instid1(VALU_DEP_3)
	v_dual_add_nc_u32 v42, s5, v38 :: v_dual_add_nc_u32 v190, v3, v7
	v_mul_lo_u32 v133, s10, v2
	v_dual_lshrrev_b32 v2, 3, v13 :: v_dual_lshrrev_b32 v17, 3, v15
	s_delay_alu instid0(VALU_DEP_3) | instskip(SKIP_2) | instid1(VALU_DEP_3)
	v_dual_add_nc_u32 v44, s5, v42 :: v_dual_add_nc_u32 v193, v3, v11
	v_lshlrev_b32_e32 v196, 2, v1
	v_mul_lo_u32 v71, s10, v8
	v_dual_lshlrev_b32 v8, 7, v23 :: v_dual_add_nc_u32 v46, s5, v44
	v_mad_u32 v59, v18, s10, v26
	v_dual_cndmask_b32 v51, 0, v27 :: v_dual_lshlrev_b32 v18, 7, v40
	s_delay_alu instid0(VALU_DEP_3) | instskip(SKIP_2) | instid1(VALU_DEP_3)
	v_dual_add_nc_u32 v50, s5, v46 :: v_dual_bitop2_b32 v22, 60, v137 bitop3:0x40
	v_dual_lshlrev_b32 v204, 2, v149 :: v_dual_bitop2_b32 v199, 1, v39 bitop3:0x54
	v_dual_lshlrev_b32 v19, 2, v28 :: v_dual_bitop2_b32 v26, 60, v2 bitop3:0x40
	v_dual_add_nc_u32 v52, s5, v50 :: v_dual_lshlrev_b32 v205, 2, v137
	v_dual_lshlrev_b32 v178, 5, v20 :: v_dual_bitop2_b32 v27, 60, v17 bitop3:0x40
	v_cndmask_b32_e64 v0, 0, 1, vcc_lo
	s_delay_alu instid0(VALU_DEP_3)
	v_add_nc_u32_e32 v60, s5, v52
	s_movk_i32 s10, 0x2080
	s_movk_i32 s16, 0x4100
	;; [unrolled: 1-line block ×3, first 2 shown]
	s_wait_kmcnt 0x0
	v_add_nc_u64_e32 v[86:87], s[2:3], v[32:33]
	v_add_nc_u32_e32 v62, s5, v60
	v_mov_b64_e32 v[84:85], 0
	v_mov_b64_e32 v[76:77], 0
	v_mov_b64_e32 v[72:73], 0
	v_mov_b64_e32 v[68:69], 0
	v_add_nc_u32_e32 v64, s5, v62
	v_mov_b64_e32 v[94:95], 0
	v_mov_b64_e32 v[88:89], 0
	v_mov_b64_e32 v[78:79], 0
	v_mov_b64_e32 v[74:75], 0
	;; [unrolled: 5-line block ×4, first 2 shown]
	v_add_nc_u32_e32 v82, s5, v70
	s_ashr_i32 s13, s12, 31
	v_and_b32_e32 v30, 0x7c, v1
	v_add3_u32 v159, v19, v1, 0xae40
	v_add3_u32 v161, v1, v22, 0xae40
	;; [unrolled: 1-line block ×4, first 2 shown]
	v_dual_lshlrev_b32 v179, 5, v21 :: v_dual_lshlrev_b32 v180, 5, v23
	v_dual_lshlrev_b32 v187, 4, v15 :: v_dual_lshlrev_b32 v40, 2, v4
	v_dual_add_nc_u32 v188, v3, v5 :: v_dual_add_nc_u32 v189, v3, v6
	v_dual_add_nc_u32 v191, v3, v8 :: v_dual_add_nc_u32 v192, v3, v9
	;; [unrolled: 1-line block ×3, first 2 shown]
	v_dual_mov_b32 v49, v31 :: v_dual_lshlrev_b32 v48, 2, v0
	v_dual_lshlrev_b32 v197, 2, v2 :: v_dual_lshlrev_b32 v198, 2, v17
	v_mul_i32_i24_e32 v54, s15, v24
	v_mul_i32_i24_e32 v56, s15, v10
	;; [unrolled: 1-line block ×3, first 2 shown]
	v_mul_u32_u24_e32 v200, 0x104, v35
	v_mad_u32_u24 v201, 0x104, v35, s10
	v_mad_u32_u24 v202, 0x104, v35, s16
	;; [unrolled: 1-line block ×3, first 2 shown]
	v_add_nc_u32_e32 v206, 0x800, v43
	v_add_nc_u32_e32 v207, 0x1000, v43
	;; [unrolled: 1-line block ×15, first 2 shown]
	v_mul_i32_i24_e32 v106, s15, v29
	v_add_nc_u32_e32 v108, s5, v82
	s_mul_u64 s[12:13], s[12:13], 0xb0
	s_mov_b32 s10, s11
	s_add_nc_u64 s[0:1], s[0:1], s[12:13]
.LBB153_5:                              ; =>This Loop Header: Depth=1
                                        ;     Child Loop BB153_6 Depth 2
                                        ;     Child Loop BB153_8 Depth 2
	s_mul_u64 s[12:13], s[10:11], 0xb0
	s_lshl_b32 s5, s10, 3
	s_add_nc_u64 s[12:13], s[0:1], s[12:13]
	s_mov_b32 s16, 0
	v_mad_nc_u64_u32 v[0:1], 0xb0, v28, s[12:13]
	v_mad_nc_u64_u32 v[2:3], 0xb0, v56, s[12:13]
	;; [unrolled: 1-line block ×3, first 2 shown]
	v_add_nc_u32_e32 v121, s5, v59
	s_delay_alu instid0(VALU_DEP_4)
	v_mad_nc_u64_u32 v[6:7], 0xb0, v106, v[0:1]
	v_mad_nc_u64_u32 v[8:9], 0xb0, v34, v[0:1]
	v_add_nc_u64_e32 v[24:25], v[2:3], v[40:41]
	v_add_nc_u64_e32 v[2:3], v[2:3], v[48:49]
	;; [unrolled: 1-line block ×4, first 2 shown]
	v_mad_nc_u64_u32 v[10:11], 0xb0, v36, v[0:1]
	v_mad_nc_u64_u32 v[12:13], 0xb0, v38, v[0:1]
	s_clause 0x3
	global_load_b32 v118, v[24:25], off offset:4
	global_load_b32 v119, v[26:27], off offset:4
	;; [unrolled: 1-line block ×4, first 2 shown]
	s_wait_xcnt 0x1
	v_add_nc_u64_e32 v[2:3], v[6:7], v[30:31]
	v_add_nc_u64_e32 v[6:7], v[6:7], v[32:33]
	;; [unrolled: 1-line block ×4, first 2 shown]
	v_mad_nc_u64_u32 v[14:15], 0xb0, v42, v[0:1]
	v_mad_nc_u64_u32 v[16:17], 0xb0, v44, v[0:1]
	;; [unrolled: 1-line block ×3, first 2 shown]
	s_clause 0x3
	global_load_b32 v123, v[2:3], off offset:48
	global_load_b32 v124, v[6:7], off offset:16
	;; [unrolled: 1-line block ×4, first 2 shown]
	v_add_nc_u64_e32 v[2:3], v[10:11], v[30:31]
	v_add_nc_u64_e32 v[6:7], v[10:11], v[32:33]
	;; [unrolled: 1-line block ×3, first 2 shown]
	s_wait_xcnt 0x0
	v_add_nc_u64_e32 v[8:9], v[12:13], v[32:33]
	v_mad_nc_u64_u32 v[20:21], 0xb0, v50, v[0:1]
	v_mad_nc_u64_u32 v[22:23], 0xb0, v52, v[0:1]
	;; [unrolled: 1-line block ×3, first 2 shown]
	s_clause 0x3
	global_load_b32 v125, v[2:3], off offset:48
	global_load_b32 v126, v[6:7], off offset:16
	;; [unrolled: 1-line block ×4, first 2 shown]
	s_wait_xcnt 0x3
	v_add_nc_u64_e32 v[2:3], v[14:15], v[30:31]
	s_wait_xcnt 0x2
	v_add_nc_u64_e32 v[6:7], v[14:15], v[32:33]
	;; [unrolled: 2-line block ×4, first 2 shown]
	v_mad_nc_u64_u32 v[112:113], 0xb0, v62, v[0:1]
	v_mad_nc_u64_u32 v[114:115], 0xb0, v64, v[0:1]
	;; [unrolled: 1-line block ×3, first 2 shown]
	s_clause 0x3
	global_load_b32 v129, v[2:3], off offset:48
	global_load_b32 v130, v[6:7], off offset:16
	;; [unrolled: 1-line block ×4, first 2 shown]
	s_wait_xcnt 0x3
	v_add_nc_u64_e32 v[2:3], v[18:19], v[30:31]
	s_wait_xcnt 0x2
	v_add_nc_u64_e32 v[6:7], v[18:19], v[32:33]
	;; [unrolled: 2-line block ×4, first 2 shown]
	v_mad_nc_u64_u32 v[4:5], 0xb0, v70, v[0:1]
	v_mad_nc_u64_u32 v[26:27], 0xb0, v82, v[0:1]
	;; [unrolled: 1-line block ×3, first 2 shown]
	s_clause 0x1
	global_load_b32 v20, v[2:3], off offset:48
	global_load_b32 v21, v[6:7], off offset:16
	s_wait_xcnt 0x1
	v_add_nc_u64_e32 v[2:3], v[22:23], v[30:31]
	s_wait_xcnt 0x0
	v_add_nc_u64_e32 v[6:7], v[22:23], v[32:33]
	s_clause 0x1
	global_load_b32 v22, v[10:11], off offset:48
	global_load_b32 v23, v[8:9], off offset:16
	s_wait_xcnt 0x1
	v_add_nc_u64_e32 v[10:11], v[110:111], v[30:31]
	s_wait_xcnt 0x0
	v_add_nc_u64_e32 v[8:9], v[110:111], v[32:33]
	v_mad_nc_u64_u32 v[18:19], v121, 36, s[2:3]
	s_clause 0x1
	global_load_b32 v110, v[2:3], off offset:48
	global_load_b32 v111, v[6:7], off offset:16
	s_wait_xcnt 0x1
	v_add_nc_u64_e32 v[2:3], v[112:113], v[30:31]
	s_wait_xcnt 0x0
	v_add_nc_u64_e32 v[6:7], v[112:113], v[32:33]
	s_clause 0x1
	global_load_b32 v112, v[10:11], off offset:48
	global_load_b32 v113, v[8:9], off offset:16
	s_wait_xcnt 0x1
	v_add_nc_u64_e32 v[10:11], v[114:115], v[30:31]
	s_wait_xcnt 0x0
	v_add_nc_u64_e32 v[8:9], v[114:115], v[32:33]
	;; [unrolled: 7-line block ×3, first 2 shown]
	s_clause 0x3
	global_load_b32 v24, v[10:11], off offset:48
	global_load_b32 v25, v[8:9], off offset:16
	;; [unrolled: 1-line block ×4, first 2 shown]
	s_wait_xcnt 0x3
	v_add_nc_u64_e32 v[10:11], v[4:5], v[30:31]
	v_add_nc_u64_e32 v[4:5], v[4:5], v[32:33]
	s_wait_xcnt 0x1
	v_add_nc_u64_e32 v[2:3], v[26:27], v[30:31]
	s_wait_xcnt 0x0
	v_add_nc_u64_e32 v[6:7], v[26:27], v[32:33]
	s_clause 0x1
	global_load_b32 v26, v[10:11], off offset:48
	global_load_b32 v27, v[4:5], off offset:16
	v_add_nc_u64_e32 v[8:9], v[0:1], v[30:31]
	v_add_nc_u64_e32 v[0:1], v[0:1], v[32:33]
	s_clause 0x3
	global_load_b32 v136, v[2:3], off offset:48
	global_load_b32 v138, v[6:7], off offset:16
	;; [unrolled: 1-line block ×4, first 2 shown]
	s_wait_xcnt 0x0
	v_add_nc_u32_e32 v0, s5, v149
	v_mad_nc_u64_u32 v[8:9], 0xb0, v54, s[12:13]
	s_mov_b32 s12, -1
	s_delay_alu instid0(VALU_DEP_2)
	v_dual_add_nc_u32 v1, v0, v63 :: v_dual_add_nc_u32 v10, v0, v65
	v_dual_add_nc_u32 v2, v0, v67 :: v_dual_add_nc_u32 v6, v0, v109
	v_add_nc_u32_e32 v4, v0, v83
	v_dual_add_nc_u32 v12, v0, v71 :: v_dual_add_nc_u32 v16, v0, v133
	v_add_nc_u32_e32 v14, v0, v107
	v_mad_nc_i64_i32 v[0:1], v1, 36, v[86:87]
	v_mad_nc_i64_i32 v[2:3], v2, 36, v[86:87]
	;; [unrolled: 1-line block ×8, first 2 shown]
	s_clause 0x3
	global_load_b32 v141, v[0:1], off offset:4
	global_load_b32 v142, v[2:3], off offset:4
	;; [unrolled: 1-line block ×4, first 2 shown]
	global_load_b32 v145, v[8:9], off
	s_clause 0x4
	global_load_b32 v146, v[10:11], off offset:4
	global_load_b32 v147, v[12:13], off offset:4
	;; [unrolled: 1-line block ×4, first 2 shown]
	global_load_b32 v151, v[18:19], off
	s_wait_loadcnt 0x2c
	s_wait_xcnt 0x9
	v_dual_ashrrev_i32 v0, v51, v118 :: v_dual_ashrrev_i32 v1, v51, v119
	s_wait_loadcnt 0x2a
	s_wait_xcnt 0x8
	v_dual_ashrrev_i32 v3, v53, v122 :: v_dual_ashrrev_i32 v2, v53, v120
	s_delay_alu instid0(VALU_DEP_2) | instskip(SKIP_1) | instid1(VALU_DEP_2)
	v_and_b32_e32 v0, 0xf0f0f0f, v0
	v_and_b32_e32 v1, 0xf0f0f0f, v1
	v_and_or_b32 v0, 0x30303030, v2, v0
	s_delay_alu instid0(VALU_DEP_2)
	v_and_or_b32 v1, 0x30303030, v3, v1
	s_wait_loadcnt 0x28
	s_wait_xcnt 0x7
	v_dual_lshrrev_b32 v3, 4, v123 :: v_dual_ashrrev_i32 v4, v39, v124
	s_wait_loadcnt 0x26
	s_wait_xcnt 0x5
	v_dual_ashrrev_i32 v5, v199, v124 :: v_dual_ashrrev_i32 v9, v199, v117
	v_dual_lshrrev_b32 v7, 4, v116 :: v_dual_ashrrev_i32 v8, v39, v117
	v_and_b32_e32 v6, 0xf0f0f0f, v116
	v_and_b32_e32 v2, 0xf0f0f0f, v123
	;; [unrolled: 1-line block ×3, first 2 shown]
	s_wait_loadcnt 0x24
	s_wait_xcnt 0x3
	v_dual_lshrrev_b32 v11, 4, v125 :: v_dual_ashrrev_i32 v12, v39, v126
	s_wait_loadcnt 0x23
	s_wait_xcnt 0x2
	v_dual_ashrrev_i32 v13, v199, v126 :: v_dual_lshrrev_b32 v15, 4, v127
	s_wait_loadcnt 0x22
	s_wait_xcnt 0x1
	v_ashrrev_i32_e32 v16, v39, v128
	v_ashrrev_i32_e32 v17, v199, v128
	v_and_b32_e32 v10, 0xf0f0f0f, v125
	v_and_b32_e32 v14, 0xf0f0f0f, v127
	v_dual_lshlrev_b32 v4, 4, v4 :: v_dual_lshlrev_b32 v13, 4, v13
	v_and_b32_e32 v7, 0xf0f0f0f, v7
	s_wait_loadcnt 0x20
	s_wait_xcnt 0x0
	v_dual_lshrrev_b32 v19, 4, v129 :: v_dual_ashrrev_i32 v116, v39, v130
	s_wait_loadcnt 0x1f
	v_dual_lshrrev_b32 v119, 4, v131 :: v_dual_ashrrev_i32 v117, v199, v130
	v_and_b32_e32 v18, 0xf0f0f0f, v129
	v_and_b32_e32 v118, 0xf0f0f0f, v131
	s_wait_loadcnt 0x1e
	v_ashrrev_i32_e32 v120, v39, v132
	v_ashrrev_i32_e32 v122, v199, v132
	v_dual_lshlrev_b32 v8, 4, v8 :: v_dual_lshlrev_b32 v17, 4, v17
	v_and_b32_e32 v11, 0xf0f0f0f, v11
	s_wait_loadcnt 0x1d
	v_and_b32_e32 v123, 0xf0f0f0f, v20
	s_wait_loadcnt 0x1c
	v_dual_lshrrev_b32 v20, 4, v20 :: v_dual_ashrrev_i32 v124, v39, v21
	v_ashrrev_i32_e32 v21, v199, v21
	s_wait_loadcnt 0x1b
	v_and_b32_e32 v125, 0xf0f0f0f, v22
	s_wait_loadcnt 0x1a
	v_dual_lshrrev_b32 v22, 4, v22 :: v_dual_ashrrev_i32 v126, v39, v23
	v_dual_ashrrev_i32 v23, v199, v23 :: v_dual_lshlrev_b32 v12, 4, v12
	v_lshlrev_b32_e32 v117, 4, v117
	s_wait_loadcnt 0x19
	v_and_b32_e32 v127, 0xf0f0f0f, v110
	s_wait_loadcnt 0x18
	v_dual_lshrrev_b32 v110, 4, v110 :: v_dual_ashrrev_i32 v128, v39, v111
	v_ashrrev_i32_e32 v111, v199, v111
	s_wait_loadcnt 0x17
	v_and_b32_e32 v129, 0xf0f0f0f, v112
	s_wait_loadcnt 0x16
	v_dual_lshrrev_b32 v112, 4, v112 :: v_dual_ashrrev_i32 v130, v39, v113
	v_ashrrev_i32_e32 v113, v199, v113
	;; [unrolled: 5-line block ×4, first 2 shown]
	v_lshlrev_b32_e32 v5, 4, v5
	s_wait_loadcnt 0x11
	v_and_b32_e32 v154, 0xf0f0f0f, v134
	s_wait_loadcnt 0x10
	v_dual_lshrrev_b32 v134, 4, v134 :: v_dual_ashrrev_i32 v155, v39, v135
	v_dual_ashrrev_i32 v135, v199, v135 :: v_dual_lshlrev_b32 v9, 4, v9
	v_and_b32_e32 v15, 0xf0f0f0f, v15
	v_dual_lshlrev_b32 v16, 4, v16 :: v_dual_lshlrev_b32 v122, 4, v122
	v_and_b32_e32 v19, 0xf0f0f0f, v19
	s_wait_loadcnt 0xf
	v_and_b32_e32 v156, 0xf0f0f0f, v26
	s_wait_loadcnt 0xe
	v_dual_lshrrev_b32 v26, 4, v26 :: v_dual_ashrrev_i32 v157, v39, v27
	v_ashrrev_i32_e32 v27, v199, v27
	s_wait_loadcnt 0xd
	v_and_b32_e32 v158, 0xf0f0f0f, v136
	s_wait_loadcnt 0xc
	v_dual_lshrrev_b32 v136, 4, v136 :: v_dual_ashrrev_i32 v160, v39, v138
	v_ashrrev_i32_e32 v138, v199, v138
	;; [unrolled: 5-line block ×3, first 2 shown]
	v_dual_lshlrev_b32 v116, 4, v116 :: v_dual_lshlrev_b32 v21, 4, v21
	v_and_b32_e32 v119, 0xf0f0f0f, v119
	v_dual_lshlrev_b32 v120, 4, v120 :: v_dual_lshlrev_b32 v126, 4, v126
	v_and_b32_e32 v20, 0xf0f0f0f, v20
	;; [unrolled: 2-line block ×3, first 2 shown]
	v_and_b32_e32 v110, 0xf0f0f0f, v110
	v_dual_lshlrev_b32 v128, 4, v128 :: v_dual_lshlrev_b32 v111, 4, v111
	v_and_b32_e32 v112, 0xf0f0f0f, v112
	v_dual_lshlrev_b32 v130, 4, v130 :: v_dual_lshlrev_b32 v113, 4, v113
	;; [unrolled: 2-line block ×4, first 2 shown]
	v_dual_lshlrev_b32 v25, 4, v25 :: v_dual_lshlrev_b32 v135, 4, v135
	v_and_b32_e32 v134, 0xf0f0f0f, v134
	v_and_b32_e32 v26, 0xf0f0f0f, v26
	v_dual_lshlrev_b32 v157, 4, v157 :: v_dual_lshlrev_b32 v27, 4, v27
	v_and_b32_e32 v136, 0xf0f0f0f, v136
	v_dual_lshlrev_b32 v160, 4, v160 :: v_dual_lshlrev_b32 v138, 4, v138
	;; [unrolled: 2-line block ×3, first 2 shown]
	v_and_or_b32 v2, 0x10101010, v4, v2
	v_and_or_b32 v3, 0x10101010, v5, v3
	;; [unrolled: 1-line block ×32, first 2 shown]
	ds_store_2addr_b32 v43, v2, v3 offset1:8
	ds_store_2addr_b32 v206, v4, v5 offset0:8 offset1:16
	ds_store_2addr_b32 v207, v6, v7 offset0:16 offset1:24
	ds_store_2addr_b32 v208, v8, v9 offset0:24 offset1:32
	ds_store_2addr_b32 v209, v10, v11 offset0:32 offset1:40
	ds_store_2addr_b32 v210, v12, v13 offset0:40 offset1:48
	ds_store_2addr_b32 v211, v14, v15 offset0:48 offset1:56
	ds_store_2addr_b32 v212, v16, v17 offset0:56 offset1:64
	ds_store_2addr_b32 v213, v18, v19 offset0:64 offset1:72
	ds_store_2addr_b32 v214, v20, v21 offset0:72 offset1:80
	ds_store_2addr_b32 v215, v22, v23 offset0:80 offset1:88
	ds_store_2addr_b32 v216, v110, v24 offset0:88 offset1:96
	ds_store_2addr_b32 v217, v25, v111 offset0:96 offset1:104
	ds_store_2addr_b32 v218, v112, v26 offset0:104 offset1:112
	ds_store_2addr_b32 v219, v27, v113 offset0:112 offset1:120
	ds_store_2addr_b32 v220, v114, v115 offset0:120 offset1:128
	ds_store_b32 v55, v0
	ds_store_b32 v57, v1
	s_wait_loadcnt 0x9
	ds_store_b32 v188, v141
	s_wait_loadcnt 0x8
	;; [unrolled: 2-line block ×10, first 2 shown]
	ds_store_b32 v61, v151
	s_wait_dscnt 0x0
	s_barrier_signal -1
	s_barrier_wait -1
	ds_load_b32 v0, v159
	ds_load_b32 v1, v161 offset:128
	ds_load_b32 v2, v176 offset:256
	;; [unrolled: 1-line block ×3, first 2 shown]
	s_wait_dscnt 0x3
	v_cvt_f32_f16_e32 v22, v0
	v_lshrrev_b32_e32 v0, 16, v0
	s_wait_dscnt 0x2
	v_cvt_f32_f16_e32 v24, v1
	v_lshrrev_b32_e32 v1, 16, v1
	s_wait_dscnt 0x1
	v_cvt_f32_f16_e32 v26, v2
	s_wait_dscnt 0x0
	v_dual_lshrrev_b32 v2, 16, v2 :: v_dual_lshrrev_b32 v4, 16, v3
	v_cvt_f32_f16_e32 v110, v3
	v_cvt_f32_f16_e32 v112, v0
	v_cvt_f32_f16_e32 v114, v1
	s_delay_alu instid0(VALU_DEP_4) | instskip(SKIP_4) | instid1(VALU_DEP_4)
	v_cvt_f32_f16_e32 v116, v2
	v_cvt_f32_f16_e32 v118, v4
	v_dual_mov_b32 v23, v22 :: v_dual_mov_b32 v25, v24
	v_dual_mov_b32 v27, v26 :: v_dual_mov_b32 v111, v110
	;; [unrolled: 1-line block ×4, first 2 shown]
.LBB153_6:                              ;   Parent Loop BB153_5 Depth=1
                                        ; =>  This Inner Loop Header: Depth=2
	s_lshl_b32 s13, s16, 1
	s_lshr_b32 s17, s16, 2
	v_or_b32_e32 v0, s13, v45
	s_lshl_b32 s16, s16, 3
	s_add_co_i32 s17, s17, 0xa200
	v_dual_add_nc_u32 v148, s16, v201 :: v_dual_add_nc_u32 v241, s16, v202
	s_delay_alu instid0(VALU_DEP_2)
	v_dual_lshlrev_b32 v1, 2, v0 :: v_dual_lshrrev_b32 v16, 1, v0
	v_add_nc_u32_e32 v255, s16, v203
	s_and_b32 vcc_lo, exec_lo, s12
	s_mov_b32 s12, 0
	ds_load_b128 v[8:11], v1 offset:33280
	ds_load_b128 v[12:15], v1 offset:33296
	;; [unrolled: 1-line block ×4, first 2 shown]
	ds_load_b64 v[170:171], v16 offset:43584
	v_add3_u32 v16, s17, v204, v196
	v_add_nc_u32_e32 v132, s16, v200
	s_mov_b32 s16, 8
	ds_load_2addr_b32 v[128:129], v132 offset1:1
	ds_load_2addr_b32 v[130:131], v132 offset0:2 offset1:3
	ds_load_2addr_b32 v[126:127], v132 offset0:4 offset1:5
	;; [unrolled: 1-line block ×3, first 2 shown]
	s_wait_dscnt 0x7
	v_perm_b32 v136, v13, v13, 0xc0c0100
	v_perm_b32 v13, v13, v13, 0xc0c0302
	;; [unrolled: 1-line block ×3, first 2 shown]
	s_wait_dscnt 0x4
	v_lshrrev_b32_e32 v248, 16, v171
	v_perm_b32 v173, v14, v14, 0xc0c0302
	v_perm_b32 v174, v15, v15, 0xc0c0100
	;; [unrolled: 1-line block ×3, first 2 shown]
	v_bfe_i32 v120, v4, 0, 8
	v_perm_b32 v160, v4, v4, 0xc0c0201
	v_perm_b32 v164, v5, v4, 0x6050403
	;; [unrolled: 1-line block ×9, first 2 shown]
	v_lshrrev_b32_e32 v17, 16, v170
	s_set_vgpr_msb 64                       ;  msbs: dst=1 src0=0 src1=0 src2=0
	v_cvt_f32_f16_e64 v14 /*v270*/, v170
	v_cvt_f32_f16_e64 v18 /*v274*/, v248
	s_wait_dscnt 0x1
	s_set_vgpr_msb 0                        ;  msbs: dst=0 src0=0 src1=0 src2=0
	v_perm_b32 v19, v127, v127, 0xc0c0100
	v_dot4_i32_iu8 v18, v128, v8, 0 neg_lo:[1,1,0]
	s_set_vgpr_msb 64                       ;  msbs: dst=1 src0=0 src1=0 src2=0
	v_cvt_f32_f16_e64 v16 /*v272*/, v17
	s_set_vgpr_msb 0                        ;  msbs: dst=0 src0=0 src1=0 src2=0
	s_delay_alu instid0(VALU_DEP_2) | instskip(NEXT) | instid1(VALU_DEP_1)
	v_dot4_i32_iu8 v18, v129, v9, v18 neg_lo:[1,1,0]
	v_dot4_i32_iu8 v18, v130, v10, v18 neg_lo:[1,1,0]
	s_delay_alu instid0(VALU_DEP_1) | instskip(NEXT) | instid1(VALU_DEP_1)
	v_dot4_i32_iu8 v18, v131, v11, v18 neg_lo:[1,1,0]
	v_dot4_i32_iu8 v18, v126, v12, v18 neg_lo:[1,1,0]
	s_delay_alu instid0(VALU_DEP_1) | instskip(SKIP_1) | instid1(VALU_DEP_1)
	v_dot4_i32_iu8 v18, v136, v19, v18 neg_lo:[1,1,0]
	v_perm_b32 v19, v127, v127, 0xc0c0302
	v_dot4_i32_iu8 v18, v13, v19, v18 neg_lo:[1,1,0]
	s_wait_dscnt 0x0
	v_perm_b32 v19, v124, v124, 0xc0c0100
	s_delay_alu instid0(VALU_DEP_1) | instskip(SKIP_1) | instid1(VALU_DEP_1)
	v_dot4_i32_iu8 v18, v172, v19, v18 neg_lo:[1,1,0]
	v_perm_b32 v19, v124, v124, 0xc0c0302
	v_dot4_i32_iu8 v14, v173, v19, v18 neg_lo:[1,1,0]
	v_perm_b32 v18, v125, v125, 0xc0c0100
	s_delay_alu instid0(VALU_DEP_1) | instskip(SKIP_1) | instid1(VALU_DEP_1)
	v_dot4_i32_iu8 v14, v174, v18, v14 neg_lo:[1,1,0]
	v_perm_b32 v18, v125, v125, 0xc0c0302
	v_dot4_i32_iu8 v249, v175, v18, v14 neg_lo:[1,1,0]
	ds_load_u16 v14, v16
	ds_load_u16 v134, v16 offset:8
	ds_load_2addr_b32 v[18:19], v132 offset0:8 offset1:9
	s_wait_dscnt 0x2
	v_lshrrev_b16 v135, 8, v14
	v_and_b32_e32 v123, 0xff, v14
	s_wait_dscnt 0x0
	v_bfe_i32 v221, v18, 0, 8
	v_perm_b32 v222, v18, v18, 0xc0c0201
	v_perm_b32 v224, v19, v18, 0x6050403
	v_cvt_f32_ubyte0_e32 v122, v134
	v_and_b32_e32 v223, 0xffff, v135
	v_mul_i32_i24_e32 v14, v221, v120
	v_mul_lo_u32 v17, v249, v123
	s_delay_alu instid0(VALU_DEP_2)
	v_dot4_i32_iu8 v138, v222, v160, v14 neg_lo:[1,1,0]
	ds_load_2addr_b32 v[20:21], v132 offset0:10 offset1:11
	ds_load_b32 v139, v132 offset:48
	ds_load_b96 v[14:16], v132 offset:51
	ds_load_i8 v250, v132 offset:63
	ds_load_2addr_b32 v[142:143], v148 offset1:1
	v_cvt_f32_ubyte1_e32 v132, v134
	v_dot4_i32_iu8 v18, v224, v164, v138 neg_lo:[1,1,0]
	s_wait_dscnt 0x4
	v_perm_b32 v225, v20, v19, 0x6050403
	v_perm_b32 v226, v21, v20, 0x6050403
	s_wait_dscnt 0x3
	v_perm_b32 v227, v139, v21, 0x6050403
	s_wait_dscnt 0x2
	v_perm_b32 v19, v14, v14, 0xc0c0100
	v_perm_b32 v21, v1, v0, 0xc0c0403
	v_dot4_i32_iu8 v18, v225, v165, v18 neg_lo:[1,1,0]
	ds_load_2addr_b32 v[144:145], v148 offset0:2 offset1:3
	ds_load_2addr_b32 v[140:141], v148 offset0:4 offset1:5
	;; [unrolled: 1-line block ×3, first 2 shown]
	v_bfe_i32 v147, v14, 0, 8
	v_dot4_i32_iu8 v18, v226, v166, v18 neg_lo:[1,1,0]
	s_delay_alu instid0(VALU_DEP_1) | instskip(NEXT) | instid1(VALU_DEP_1)
	v_dot4_i32_iu8 v18, v227, v167, v18 neg_lo:[1,1,0]
	v_dot4_i32_iu8 v18, v21, v19, v18 neg_lo:[1,1,0]
	v_perm_b32 v19, v14, v14, 0xc0c0302
	s_wait_dscnt 0x1
	v_perm_b32 v20, v141, v141, 0xc0c0100
	s_delay_alu instid0(VALU_DEP_2) | instskip(SKIP_1) | instid1(VALU_DEP_1)
	v_dot4_i32_iu8 v18, v168, v19, v18 neg_lo:[1,1,0]
	v_perm_b32 v19, v15, v15, 0xc0c0100
	v_dot4_i32_iu8 v18, v169, v19, v18 neg_lo:[1,1,0]
	v_perm_b32 v19, v15, v15, 0xc0c0302
	s_delay_alu instid0(VALU_DEP_1) | instskip(SKIP_2) | instid1(VALU_DEP_1)
	v_dot4_i32_iu8 v18, v228, v19, v18 neg_lo:[1,1,0]
	v_perm_b32 v19, v16, v16, 0xc0c0100
	s_set_vgpr_msb 64                       ;  msbs: dst=1 src0=0 src1=0 src2=0
	v_dot4_i32_iu8 v1 /*v257*/, v245, v19, v18 neg_lo:[1,1,0]
	s_set_vgpr_msb 0                        ;  msbs: dst=0 src0=0 src1=0 src2=0
	v_dot4_i32_iu8 v19, v142, v8, 0 neg_lo:[1,1,0]
	v_add3_u32 v18, s17, v205, v185
	s_delay_alu instid0(VALU_DEP_2) | instskip(NEXT) | instid1(VALU_DEP_1)
	v_dot4_i32_iu8 v19, v143, v9, v19 neg_lo:[1,1,0]
	v_dot4_i32_iu8 v19, v144, v10, v19 neg_lo:[1,1,0]
	s_delay_alu instid0(VALU_DEP_1) | instskip(NEXT) | instid1(VALU_DEP_1)
	v_dot4_i32_iu8 v19, v145, v11, v19 neg_lo:[1,1,0]
	v_dot4_i32_iu8 v19, v140, v12, v19 neg_lo:[1,1,0]
	s_delay_alu instid0(VALU_DEP_1) | instskip(SKIP_1) | instid1(VALU_DEP_1)
	v_dot4_i32_iu8 v19, v136, v20, v19 neg_lo:[1,1,0]
	v_perm_b32 v20, v141, v141, 0xc0c0302
	v_dot4_i32_iu8 v19, v13, v20, v19 neg_lo:[1,1,0]
	s_wait_dscnt 0x0
	v_perm_b32 v20, v138, v138, 0xc0c0100
	s_delay_alu instid0(VALU_DEP_1) | instskip(SKIP_1) | instid1(VALU_DEP_1)
	v_dot4_i32_iu8 v19, v172, v20, v19 neg_lo:[1,1,0]
	v_perm_b32 v20, v138, v138, 0xc0c0302
	v_dot4_i32_iu8 v19, v173, v20, v19 neg_lo:[1,1,0]
	v_perm_b32 v20, v139, v139, 0xc0c0100
	s_delay_alu instid0(VALU_DEP_1) | instskip(SKIP_1) | instid1(VALU_DEP_1)
	v_dot4_i32_iu8 v19, v174, v20, v19 neg_lo:[1,1,0]
	v_perm_b32 v20, v139, v139, 0xc0c0302
	v_dot4_i32_iu8 v251, v175, v20, v19 neg_lo:[1,1,0]
	ds_load_u16 v19, v18
	ds_load_u16 v152, v18 offset:8
	ds_load_2addr_b32 v[134:135], v148 offset0:8 offset1:9
	s_wait_dscnt 0x2
	v_lshrrev_b16 v153, 8, v19
	v_and_b32_e32 v229, 0xff, v19
	s_wait_dscnt 0x0
	v_bfe_i32 v230, v134, 0, 8
	v_perm_b32 v231, v134, v134, 0xc0c0201
	v_perm_b32 v233, v135, v134, 0x6050403
	v_cvt_f32_ubyte0_e32 v146, v152
	v_and_b32_e32 v236, 0xffff, v153
	v_mul_i32_i24_e32 v18, v230, v120
	s_delay_alu instid0(VALU_DEP_1)
	v_dot4_i32_iu8 v154, v231, v160, v18 neg_lo:[1,1,0]
	ds_load_2addr_b32 v[150:151], v148 offset0:10 offset1:11
	ds_load_b32 v155, v148 offset:48
	ds_load_b96 v[18:20], v148 offset:51
	s_set_vgpr_msb 64                       ;  msbs: dst=1 src0=0 src1=0 src2=0
	ds_load_i8 v13 /*v269*/, v148 offset:63
	s_set_vgpr_msb 0                        ;  msbs: dst=0 src0=0 src1=0 src2=0
	v_cvt_f32_ubyte1_e32 v148, v152
	v_dot4_i32_iu8 v134, v233, v164, v154 neg_lo:[1,1,0]
	s_wait_dscnt 0x3
	v_perm_b32 v234, v150, v135, 0x6050403
	v_perm_b32 v235, v151, v150, 0x6050403
	s_wait_dscnt 0x2
	v_perm_b32 v237, v155, v151, 0x6050403
	s_wait_dscnt 0x1
	v_perm_b32 v135, v18, v18, 0xc0c0100
	ds_load_2addr_b32 v[154:155], v241 offset1:1
	v_dot4_i32_iu8 v134, v234, v165, v134 neg_lo:[1,1,0]
	ds_load_2addr_b32 v[156:157], v241 offset0:2 offset1:3
	ds_load_2addr_b32 v[152:153], v241 offset0:4 offset1:5
	;; [unrolled: 1-line block ×3, first 2 shown]
	v_bfe_i32 v232, v18, 0, 8
	v_dot4_i32_iu8 v134, v235, v166, v134 neg_lo:[1,1,0]
	s_delay_alu instid0(VALU_DEP_1) | instskip(NEXT) | instid1(VALU_DEP_1)
	v_dot4_i32_iu8 v134, v237, v167, v134 neg_lo:[1,1,0]
	v_dot4_i32_iu8 v134, v21, v135, v134 neg_lo:[1,1,0]
	v_perm_b32 v135, v18, v18, 0xc0c0302
	s_wait_dscnt 0x1
	v_perm_b32 v158, v153, v153, 0xc0c0100
	s_delay_alu instid0(VALU_DEP_2) | instskip(SKIP_1) | instid1(VALU_DEP_1)
	v_dot4_i32_iu8 v134, v168, v135, v134 neg_lo:[1,1,0]
	v_perm_b32 v135, v19, v19, 0xc0c0100
	v_dot4_i32_iu8 v134, v169, v135, v134 neg_lo:[1,1,0]
	v_perm_b32 v135, v19, v19, 0xc0c0302
	s_delay_alu instid0(VALU_DEP_1) | instskip(SKIP_2) | instid1(VALU_DEP_1)
	v_dot4_i32_iu8 v134, v228, v135, v134 neg_lo:[1,1,0]
	v_perm_b32 v135, v20, v20, 0xc0c0100
	s_set_vgpr_msb 64                       ;  msbs: dst=1 src0=0 src1=0 src2=0
	v_dot4_i32_iu8 v30 /*v286*/, v245, v135, v134 neg_lo:[1,1,0]
	s_set_vgpr_msb 0                        ;  msbs: dst=0 src0=0 src1=0 src2=0
	v_dot4_i32_iu8 v135, v154, v8, 0 neg_lo:[1,1,0]
	v_add3_u32 v134, s17, v197, v186
	s_delay_alu instid0(VALU_DEP_2) | instskip(NEXT) | instid1(VALU_DEP_1)
	v_dot4_i32_iu8 v135, v155, v9, v135 neg_lo:[1,1,0]
	v_dot4_i32_iu8 v135, v156, v10, v135 neg_lo:[1,1,0]
	s_delay_alu instid0(VALU_DEP_1) | instskip(NEXT) | instid1(VALU_DEP_1)
	v_dot4_i32_iu8 v135, v157, v11, v135 neg_lo:[1,1,0]
	v_dot4_i32_iu8 v135, v152, v12, v135 neg_lo:[1,1,0]
	s_delay_alu instid0(VALU_DEP_1) | instskip(SKIP_1) | instid1(VALU_DEP_1)
	v_dot4_i32_iu8 v135, v136, v158, v135 neg_lo:[1,1,0]
	v_perm_b32 v158, v153, v153, 0xc0c0302
	v_dot4_i32_iu8 v135, v13, v158, v135 neg_lo:[1,1,0]
	s_wait_dscnt 0x0
	v_perm_b32 v158, v150, v150, 0xc0c0100
	s_delay_alu instid0(VALU_DEP_1) | instskip(SKIP_1) | instid1(VALU_DEP_1)
	v_dot4_i32_iu8 v135, v172, v158, v135 neg_lo:[1,1,0]
	v_perm_b32 v158, v150, v150, 0xc0c0302
	v_dot4_i32_iu8 v135, v173, v158, v135 neg_lo:[1,1,0]
	v_perm_b32 v158, v151, v151, 0xc0c0100
	s_delay_alu instid0(VALU_DEP_1) | instskip(SKIP_1) | instid1(VALU_DEP_1)
	v_dot4_i32_iu8 v135, v174, v158, v135 neg_lo:[1,1,0]
	v_perm_b32 v158, v151, v151, 0xc0c0302
	v_dot4_i32_iu8 v254, v175, v158, v135 neg_lo:[1,1,0]
	ds_load_u16 v135, v134
	ds_load_u16 v247, v134 offset:8
	s_wait_dscnt 0x1
	v_lshrrev_b16 v252, 8, v135
	v_and_b32_e32 v238, 0xff, v135
	ds_load_2addr_b32 v[134:135], v241 offset0:8 offset1:9
	s_wait_dscnt 0x1
	v_cvt_f32_ubyte0_e32 v158, v247
	s_wait_dscnt 0x0
	v_bfe_i32 v239, v134, 0, 8
	v_perm_b32 v240, v134, v134, 0xc0c0201
	v_perm_b32 v242, v135, v134, 0x6050403
	s_delay_alu instid0(VALU_DEP_3) | instskip(NEXT) | instid1(VALU_DEP_1)
	v_mul_i32_i24_e32 v120, v239, v120
	v_dot4_i32_iu8 v120, v240, v160, v120 neg_lo:[1,1,0]
	ds_load_2addr_b32 v[162:163], v241 offset0:10 offset1:11
	ds_load_b32 v160, v241 offset:48
	s_set_vgpr_msb 64                       ;  msbs: dst=1 src0=0 src1=0 src2=0
	ds_load_b96 v[10:12] /*v[266:268]*/, v241 offset:51
	ds_load_i8 v31 /*v287*/, v241 offset:63
	s_set_vgpr_msb 0                        ;  msbs: dst=0 src0=0 src1=0 src2=0
	v_dot4_i32_iu8 v120, v242, v164, v120 neg_lo:[1,1,0]
	s_wait_dscnt 0x3
	v_perm_b32 v243, v162, v135, 0x6050403
	v_perm_b32 v244, v163, v162, 0x6050403
	s_wait_dscnt 0x2
	v_perm_b32 v246, v160, v163, 0x6050403
	s_wait_dscnt 0x1
	s_set_vgpr_msb 5                        ;  msbs: dst=0 src0=1 src1=1 src2=0
	v_perm_b32 v134, v10 /*v266*/, v10 /*v266*/, 0xc0c0100
	s_set_vgpr_msb 0                        ;  msbs: dst=0 src0=0 src1=0 src2=0
	v_cvt_f32_ubyte1_e32 v160, v247
	v_dot4_i32_iu8 v120, v243, v165, v120 neg_lo:[1,1,0]
	s_set_vgpr_msb 1                        ;  msbs: dst=0 src0=1 src1=0 src2=0
	v_bfe_i32 v241, v10 /*v266*/, 0, 8
	s_set_vgpr_msb 0                        ;  msbs: dst=0 src0=0 src1=0 src2=0
	s_delay_alu instid0(VALU_DEP_2) | instskip(NEXT) | instid1(VALU_DEP_1)
	v_dot4_i32_iu8 v120, v244, v166, v120 neg_lo:[1,1,0]
	v_dot4_i32_iu8 v120, v246, v167, v120 neg_lo:[1,1,0]
	s_delay_alu instid0(VALU_DEP_1) | instskip(SKIP_3) | instid1(VALU_DEP_1)
	v_dot4_i32_iu8 v21, v21, v134, v120 neg_lo:[1,1,0]
	s_set_vgpr_msb 5                        ;  msbs: dst=0 src0=1 src1=1 src2=0
	v_perm_b32 v120, v10 /*v266*/, v10 /*v266*/, 0xc0c0302
	s_set_vgpr_msb 0                        ;  msbs: dst=0 src0=0 src1=0 src2=0
	v_dot4_i32_iu8 v21, v168, v120, v21 neg_lo:[1,1,0]
	s_set_vgpr_msb 5                        ;  msbs: dst=0 src0=1 src1=1 src2=0
	v_perm_b32 v120, v11 /*v267*/, v11 /*v267*/, 0xc0c0100
	s_set_vgpr_msb 0                        ;  msbs: dst=0 src0=0 src1=0 src2=0
	s_delay_alu instid0(VALU_DEP_1)
	v_dot4_i32_iu8 v21, v169, v120, v21 neg_lo:[1,1,0]
	ds_load_2addr_b32 v[168:169], v255 offset1:1
	ds_load_2addr_b32 v[166:167], v255 offset0:2 offset1:3
	ds_load_2addr_b32 v[164:165], v255 offset0:4 offset1:5
	;; [unrolled: 1-line block ×3, first 2 shown]
	s_set_vgpr_msb 5                        ;  msbs: dst=0 src0=1 src1=1 src2=0
	v_perm_b32 v120, v11 /*v267*/, v11 /*v267*/, 0xc0c0302
	s_set_vgpr_msb 0                        ;  msbs: dst=0 src0=0 src1=0 src2=0
	s_delay_alu instid0(VALU_DEP_1) | instskip(SKIP_3) | instid1(VALU_DEP_1)
	v_dot4_i32_iu8 v21, v228, v120, v21 neg_lo:[1,1,0]
	s_set_vgpr_msb 5                        ;  msbs: dst=0 src0=1 src1=1 src2=0
	v_perm_b32 v120, v12 /*v268*/, v12 /*v268*/, 0xc0c0100
	s_set_vgpr_msb 0                        ;  msbs: dst=0 src0=0 src1=0 src2=0
	v_dot4_i32_iu8 v21, v245, v120, v21 neg_lo:[1,1,0]
	v_add3_u32 v120, s17, v198, v187
	v_and_b32_e32 v245, 0xffff, v252
	s_wait_dscnt 0x3
	v_dot4_i32_iu8 v8, v168, v8, 0 neg_lo:[1,1,0]
	s_delay_alu instid0(VALU_DEP_1) | instskip(SKIP_2) | instid1(VALU_DEP_2)
	v_dot4_i32_iu8 v8, v169, v9, v8 neg_lo:[1,1,0]
	s_wait_dscnt 0x1
	v_perm_b32 v9, v165, v165, 0xc0c0100
	v_dot4_i32_iu8 v8, v166, v10, v8 neg_lo:[1,1,0]
	s_delay_alu instid0(VALU_DEP_1) | instskip(NEXT) | instid1(VALU_DEP_1)
	v_dot4_i32_iu8 v8, v167, v11, v8 neg_lo:[1,1,0]
	v_dot4_i32_iu8 v8, v164, v12, v8 neg_lo:[1,1,0]
	s_delay_alu instid0(VALU_DEP_1) | instskip(SKIP_1) | instid1(VALU_DEP_1)
	v_dot4_i32_iu8 v8, v136, v9, v8 neg_lo:[1,1,0]
	v_perm_b32 v9, v165, v165, 0xc0c0302
	v_dot4_i32_iu8 v8, v13, v9, v8 neg_lo:[1,1,0]
	s_wait_dscnt 0x0
	v_perm_b32 v9, v162, v162, 0xc0c0100
	s_delay_alu instid0(VALU_DEP_1) | instskip(SKIP_1) | instid1(VALU_DEP_1)
	v_dot4_i32_iu8 v8, v172, v9, v8 neg_lo:[1,1,0]
	v_perm_b32 v9, v162, v162, 0xc0c0302
	v_dot4_i32_iu8 v8, v173, v9, v8 neg_lo:[1,1,0]
	v_perm_b32 v9, v163, v163, 0xc0c0100
	s_delay_alu instid0(VALU_DEP_1) | instskip(SKIP_2) | instid1(VALU_DEP_1)
	v_dot4_i32_iu8 v8, v174, v9, v8 neg_lo:[1,1,0]
	v_perm_b32 v9, v163, v163, 0xc0c0302
	s_set_vgpr_msb 64                       ;  msbs: dst=1 src0=0 src1=0 src2=0
	v_dot4_i32_iu8 v32 /*v288*/, v175, v9, v8 neg_lo:[1,1,0]
	s_set_vgpr_msb 0                        ;  msbs: dst=0 src0=0 src1=0 src2=0
	ds_load_u16 v8, v120
	ds_load_u16 v9, v120 offset:8
	s_wait_dscnt 0x1
	v_lshrrev_b16 v10, 8, v8
	v_and_b32_e32 v247, 0xff, v8
	v_or_b32_e32 v8, s13, v178
	s_wait_dscnt 0x0
	v_cvt_f32_ubyte0_e32 v136, v9
	ds_load_2addr_b32 v[134:135], v255 offset0:14 offset1:15
	v_and_b32_e32 v228, 0xffff, v10
	v_cvt_f32_ubyte1_e32 v120, v9
	v_dual_lshlrev_b32 v12, 2, v8 :: v_dual_lshrrev_b32 v13, 1, v8
	ds_load_b128 v[8:11], v12 offset:33280
	ds_load_b128 v[172:175], v12 offset:33296
	s_set_vgpr_msb 64                       ;  msbs: dst=1 src0=0 src1=0 src2=0
	ds_load_b128 v[2:5] /*v[258:261]*/, v12 offset:33312
	ds_load_b128 v[6:9] /*v[262:265]*/, v12 offset:33328
	s_set_vgpr_msb 0                        ;  msbs: dst=0 src0=0 src1=0 src2=0
	ds_load_b64 v[12:13], v13 offset:43584
	s_wait_dscnt 0x5
	s_set_vgpr_msb 64                       ;  msbs: dst=1 src0=0 src1=0 src2=0
	v_bfe_i32 v33 /*v289*/, v135, 0, 8
	v_bfe_i32 v35 /*v291*/, v135, 16, 8
	;; [unrolled: 1-line block ×3, first 2 shown]
	v_ashrrev_i32_e32 v36 /*v292*/, 24, v135
	s_wait_dscnt 0x4
	v_dot4_i32_iu8 v0 /*v256*/, v8, v128, 0 neg_lo:[1,1,0]
	s_wait_dscnt 0x2
	s_set_vgpr_msb 4                        ;  msbs: dst=0 src0=0 src1=1 src2=0
	v_ashrrev_i32_e32 v248, 24, v3 /*v259*/
	s_set_vgpr_msb 1                        ;  msbs: dst=0 src0=1 src1=0 src2=0
	v_bfe_i32 v249, v3 /*v259*/, 16, 8
	s_wait_dscnt 0x0
	v_dual_lshrrev_b32 v252, 16, v12 :: v_dual_lshrrev_b32 v253, 16, v13
	s_set_vgpr_msb 0x50                     ;  msbs: dst=1 src0=0 src1=0 src2=1
	v_dot4_i32_iu8 v0 /*v256*/, v9, v129, v0 /*v256*/ neg_lo:[1,1,0]
	v_cvt_f32_f16_e64 v15 /*v271*/, v12
	s_set_vgpr_msb 0                        ;  msbs: dst=0 src0=0 src1=0 src2=0
	v_cvt_f32_f16_e64 v12, v171
	s_set_vgpr_msb 0x50                     ;  msbs: dst=1 src0=0 src1=0 src2=1
	v_cvt_f32_f16_e64 v17 /*v273*/, v252
	v_cvt_f32_f16_e64 v19 /*v275*/, v253
	v_dot4_i32_iu8 v0 /*v256*/, v10, v130, v0 /*v256*/ neg_lo:[1,1,0]
	s_set_vgpr_msb 0                        ;  msbs: dst=0 src0=0 src1=0 src2=0
	v_cvt_f32_f16_e32 v13, v13
	s_set_vgpr_msb 0x41                     ;  msbs: dst=1 src0=1 src1=0 src2=0
	v_bfe_i32 v37 /*v293*/, v9 /*v265*/, 0, 8
	v_bfe_i32 v39 /*v295*/, v9 /*v265*/, 16, 8
	;; [unrolled: 1-line block ×3, first 2 shown]
	s_set_vgpr_msb 0x50                     ;  msbs: dst=1 src0=0 src1=0 src2=1
	v_dot4_i32_iu8 v0 /*v256*/, v11, v131, v0 /*v256*/ neg_lo:[1,1,0]
	s_set_vgpr_msb 0x44                     ;  msbs: dst=1 src0=0 src1=1 src2=0
	v_ashrrev_i32_e32 v40 /*v296*/, 24, v9 /*v265*/
	s_set_vgpr_msb 0x50                     ;  msbs: dst=1 src0=0 src1=0 src2=1
	s_delay_alu instid0(VALU_DEP_2) | instskip(NEXT) | instid1(VALU_DEP_1)
	v_dot4_i32_iu8 v0 /*v256*/, v172, v126, v0 /*v256*/ neg_lo:[1,1,0]
	v_dot4_i32_iu8 v0 /*v256*/, v127, v173, v0 /*v256*/ neg_lo:[1,1,0]
	s_delay_alu instid0(VALU_DEP_1) | instskip(NEXT) | instid1(VALU_DEP_1)
	v_dot4_i32_iu8 v0 /*v256*/, v124, v174, v0 /*v256*/ neg_lo:[1,1,0]
	v_dot4_i32_iu8 v0 /*v256*/, v125, v175, v0 /*v256*/ neg_lo:[1,1,0]
	s_set_vgpr_msb 1                        ;  msbs: dst=0 src0=1 src1=0 src2=0
	s_delay_alu instid0(VALU_DEP_1) | instskip(SKIP_3) | instid1(VALU_DEP_2)
	v_mul_lo_u32 v170, v0 /*v256*/, v123
	s_set_vgpr_msb 64                       ;  msbs: dst=1 src0=0 src1=0 src2=0
	v_perm_b32 v0 /*v256*/, v16, v15, 0x4030201
	s_set_vgpr_msb 0                        ;  msbs: dst=0 src0=0 src1=0 src2=0
	v_cvt_f32_i32_e32 v171, v170
	v_cvt_f32_i32_e32 v170, v17
	v_dot4_i32_iu8 v17, v8, v142, 0 neg_lo:[1,1,0]
	s_set_vgpr_msb 1                        ;  msbs: dst=0 src0=1 src1=0 src2=0
	s_delay_alu instid0(VALU_DEP_2) | instskip(SKIP_1) | instid1(VALU_DEP_2)
	v_pk_fma_f32 v[252:253], v[14:15] /*v[270:271]*/, v[170:171], 0 op_sel_hi:[1,1,0]
	s_set_vgpr_msb 0                        ;  msbs: dst=0 src0=0 src1=0 src2=0
	v_dot4_i32_iu8 v17, v9, v143, v17 neg_lo:[1,1,0]
	s_set_vgpr_msb 4                        ;  msbs: dst=0 src0=0 src1=1 src2=0
	v_pk_fma_f32 v[170:171], v[122:123], v[16:17] /*v[272:273]*/, 0 op_sel_hi:[0,1,0]
	s_set_vgpr_msb 0                        ;  msbs: dst=0 src0=0 src1=0 src2=0
	s_delay_alu instid0(VALU_DEP_2) | instskip(SKIP_1) | instid1(VALU_DEP_2)
	v_dot4_i32_iu8 v17, v10, v144, v17 neg_lo:[1,1,0]
	s_set_vgpr_msb 4                        ;  msbs: dst=0 src0=0 src1=1 src2=0
	v_pk_fma_f32 v[170:171], v[132:133], v[18:19] /*v[274:275]*/, v[170:171] op_sel_hi:[0,1,1]
	s_set_vgpr_msb 0                        ;  msbs: dst=0 src0=0 src1=0 src2=0
	s_delay_alu instid0(VALU_DEP_2) | instskip(SKIP_1) | instid1(VALU_DEP_2)
	v_dot4_i32_iu8 v17, v11, v145, v17 neg_lo:[1,1,0]
	s_set_vgpr_msb 64                       ;  msbs: dst=1 src0=0 src1=0 src2=0
	v_pk_mul_f32 v[20:21] /*v[276:277]*/, v[170:171], v[112:113]
	s_set_vgpr_msb 0                        ;  msbs: dst=0 src0=0 src1=0 src2=0
	v_mul_lo_u32 v170, v251, v229
	s_set_vgpr_msb 1                        ;  msbs: dst=0 src0=1 src1=0 src2=0
	v_bfe_i32 v251, v3 /*v259*/, 0, 8
	s_set_vgpr_msb 0                        ;  msbs: dst=0 src0=0 src1=0 src2=0
	v_dot4_i32_iu8 v17, v172, v140, v17 neg_lo:[1,1,0]
	s_delay_alu instid0(VALU_DEP_1) | instskip(NEXT) | instid1(VALU_DEP_4)
	v_dot4_i32_iu8 v17, v141, v173, v17 neg_lo:[1,1,0]
	v_cvt_f32_i32_e32 v170, v170
	s_delay_alu instid0(VALU_DEP_2) | instskip(NEXT) | instid1(VALU_DEP_1)
	v_dot4_i32_iu8 v17, v138, v174, v17 neg_lo:[1,1,0]
	v_dot4_i32_iu8 v17, v139, v175, v17 neg_lo:[1,1,0]
	s_delay_alu instid0(VALU_DEP_1) | instskip(NEXT) | instid1(VALU_DEP_1)
	v_mul_lo_u32 v17, v17, v229
	v_cvt_f32_i32_e32 v171, v17
	v_dot4_i32_iu8 v17, v8, v154, 0 neg_lo:[1,1,0]
	v_dot4_i32_iu8 v8, v8, v168, 0 neg_lo:[1,1,0]
	s_set_vgpr_msb 0x41                     ;  msbs: dst=1 src0=1 src1=0 src2=0
	s_delay_alu instid0(VALU_DEP_3)
	v_pk_fma_f32 v[22:23] /*v[278:279]*/, v[14:15] /*v[270:271]*/, v[170:171], 0 op_sel_hi:[1,1,0]
	s_set_vgpr_msb 0                        ;  msbs: dst=0 src0=0 src1=0 src2=0
	v_dot4_i32_iu8 v17, v9, v155, v17 neg_lo:[1,1,0]
	s_set_vgpr_msb 4                        ;  msbs: dst=0 src0=0 src1=1 src2=0
	v_pk_fma_f32 v[170:171], v[146:147], v[16:17] /*v[272:273]*/, 0 op_sel_hi:[0,1,0]
	s_set_vgpr_msb 0                        ;  msbs: dst=0 src0=0 src1=0 src2=0
	v_dot4_i32_iu8 v8, v9, v169, v8 neg_lo:[1,1,0]
	v_dot4_i32_iu8 v17, v10, v156, v17 neg_lo:[1,1,0]
	s_set_vgpr_msb 4                        ;  msbs: dst=0 src0=0 src1=1 src2=0
	v_pk_fma_f32 v[170:171], v[148:149], v[18:19] /*v[274:275]*/, v[170:171] op_sel_hi:[0,1,1]
	s_set_vgpr_msb 0                        ;  msbs: dst=0 src0=0 src1=0 src2=0
	v_dot4_i32_iu8 v8, v10, v166, v8 neg_lo:[1,1,0]
	s_set_vgpr_msb 4                        ;  msbs: dst=0 src0=0 src1=1 src2=0
	v_lshrrev_b16 v10, 8, v3 /*v259*/
	s_set_vgpr_msb 0                        ;  msbs: dst=0 src0=0 src1=0 src2=0
	v_dot4_i32_iu8 v17, v11, v157, v17 neg_lo:[1,1,0]
	s_set_vgpr_msb 64                       ;  msbs: dst=1 src0=0 src1=0 src2=0
	v_pk_mul_f32 v[24:25] /*v[280:281]*/, v[170:171], v[114:115]
	s_set_vgpr_msb 0                        ;  msbs: dst=0 src0=0 src1=0 src2=0
	v_mul_lo_u32 v170, v254, v238
	v_dot4_i32_iu8 v8, v11, v167, v8 neg_lo:[1,1,0]
	s_set_vgpr_msb 1                        ;  msbs: dst=0 src0=1 src1=0 src2=0
	v_bfe_i32 v11, v2 /*v258*/, 0, 8
	s_set_vgpr_msb 0                        ;  msbs: dst=0 src0=0 src1=0 src2=0
	v_dot4_i32_iu8 v17, v172, v152, v17 neg_lo:[1,1,0]
	v_bfe_i32 v10, v10, 0, 8
	v_dot4_i32_iu8 v8, v172, v164, v8 neg_lo:[1,1,0]
	s_set_vgpr_msb 5                        ;  msbs: dst=0 src0=1 src1=1 src2=0
	v_perm_b32 v172, v2 /*v258*/, v2 /*v258*/, 0xc0c0201
	s_set_vgpr_msb 0                        ;  msbs: dst=0 src0=0 src1=0 src2=0
	v_dot4_i32_iu8 v17, v153, v173, v17 neg_lo:[1,1,0]
	v_cvt_f32_i32_e32 v170, v170
	v_dot4_i32_iu8 v8, v165, v173, v8 neg_lo:[1,1,0]
	s_delay_alu instid0(VALU_DEP_3) | instskip(SKIP_1) | instid1(VALU_DEP_3)
	v_dot4_i32_iu8 v17, v150, v174, v17 neg_lo:[1,1,0]
	v_mul_i32_i24_e32 v173, v11, v230
	v_dot4_i32_iu8 v8, v162, v174, v8 neg_lo:[1,1,0]
	s_delay_alu instid0(VALU_DEP_3) | instskip(NEXT) | instid1(VALU_DEP_3)
	v_dot4_i32_iu8 v17, v151, v175, v17 neg_lo:[1,1,0]
	v_dot4_i32_iu8 v173, v172, v231, v173 neg_lo:[1,1,0]
	s_delay_alu instid0(VALU_DEP_3) | instskip(NEXT) | instid1(VALU_DEP_3)
	v_dot4_i32_iu8 v8, v163, v175, v8 neg_lo:[1,1,0]
	v_mul_lo_u32 v17, v17, v238
	s_delay_alu instid0(VALU_DEP_1) | instskip(SKIP_3) | instid1(VALU_DEP_3)
	v_cvt_f32_i32_e32 v171, v17
	v_mul_i32_i24_e32 v17, v11, v221
	v_mul_i32_i24_e32 v11, v11, v239
	s_set_vgpr_msb 0x41                     ;  msbs: dst=1 src0=1 src1=0 src2=0
	v_pk_fma_f32 v[26:27] /*v[282:283]*/, v[14:15] /*v[270:271]*/, v[170:171], 0 op_sel_hi:[1,1,0]
	s_set_vgpr_msb 4                        ;  msbs: dst=0 src0=0 src1=1 src2=0
	v_pk_fma_f32 v[170:171], v[158:159], v[16:17] /*v[272:273]*/, 0 op_sel_hi:[0,1,0]
	s_set_vgpr_msb 0                        ;  msbs: dst=0 src0=0 src1=0 src2=0
	v_dot4_i32_iu8 v17, v172, v222, v17 neg_lo:[1,1,0]
	v_dot4_i32_iu8 v11, v172, v240, v11 neg_lo:[1,1,0]
	s_set_vgpr_msb 4                        ;  msbs: dst=0 src0=0 src1=1 src2=0
	v_pk_fma_f32 v[170:171], v[160:161], v[18:19] /*v[274:275]*/, v[170:171] op_sel_hi:[0,1,1]
	s_set_vgpr_msb 64                       ;  msbs: dst=1 src0=0 src1=0 src2=0
	s_delay_alu instid0(VALU_DEP_1)
	v_pk_mul_f32 v[28:29] /*v[284:285]*/, v[170:171], v[116:117]
	s_set_vgpr_msb 0                        ;  msbs: dst=0 src0=0 src1=0 src2=0
	ds_load_2addr_b32 v[170:171], v255 offset0:8 offset1:9
	s_wait_dscnt 0x0
	v_dot4_i32_iu8 v4, v170, v4, 0 neg_lo:[1,1,0]
	v_ashrrev_i32_e32 v172, 24, v171
	v_lshrrev_b16 v9, 8, v171
	v_bfe_i32 v174, v171, 16, 8
	v_bfe_i32 v175, v171, 0, 8
	v_dot4_i32_iu8 v4, v171, v5, v4 neg_lo:[1,1,0]
	s_set_vgpr_msb 5                        ;  msbs: dst=0 src0=1 src1=1 src2=0
	v_perm_b32 v5, v3 /*v259*/, v2 /*v258*/, 0x6050403
	s_set_vgpr_msb 64                       ;  msbs: dst=1 src0=0 src1=0 src2=0
	v_mul_i32_i24_e32 v41 /*v297*/, v248, v172
	s_set_vgpr_msb 0                        ;  msbs: dst=0 src0=0 src1=0 src2=0
	v_bfe_i32 v9, v9, 0, 8
	s_set_vgpr_msb 5                        ;  msbs: dst=0 src0=1 src1=1 src2=0
	v_perm_b32 v248, v11 /*v267*/, v10 /*v266*/, 0x4030201
	s_set_vgpr_msb 0                        ;  msbs: dst=0 src0=0 src1=0 src2=0
	v_dot4_i32_iu8 v254, v5, v233, v173 neg_lo:[1,1,0]
	ds_load_2addr_b32 v[172:173], v255 offset0:10 offset1:11
	v_dot4_i32_iu8 v17, v5, v224, v17 neg_lo:[1,1,0]
	v_dot4_i32_iu8 v5, v5, v242, v11 neg_lo:[1,1,0]
	v_mul_i32_i24_e32 v9, v10, v9
	v_mul_i32_i24_e32 v10, v249, v174
	v_mul_i32_i24_e32 v11, v251, v175
	v_perm_b32 v251, v19, v18, 0x4030201
	s_set_vgpr_msb 5                        ;  msbs: dst=0 src0=1 src1=1 src2=0
	v_perm_b32 v249, v31 /*v287*/, v12 /*v268*/, 0x4030201
	s_wait_dscnt 0x0
	s_set_vgpr_msb 0                        ;  msbs: dst=0 src0=0 src1=0 src2=0
	v_dot4_i32_iu8 v4, v172, v6, v4 neg_lo:[1,1,0]
	s_set_vgpr_msb 5                        ;  msbs: dst=0 src0=1 src1=1 src2=0
	v_perm_b32 v6, v4 /*v260*/, v3 /*v259*/, 0x6050403
	s_set_vgpr_msb 0                        ;  msbs: dst=0 src0=0 src1=0 src2=0
	s_delay_alu instid0(VALU_DEP_2) | instskip(NEXT) | instid1(VALU_DEP_2)
	v_dot4_i32_iu8 v4, v173, v7, v4 neg_lo:[1,1,0]
	v_dot4_i32_iu8 v17, v6, v225, v17 neg_lo:[1,1,0]
	;; [unrolled: 1-line block ×4, first 2 shown]
	s_set_vgpr_msb 5                        ;  msbs: dst=0 src0=1 src1=1 src2=0
	v_perm_b32 v6, v5 /*v261*/, v4 /*v260*/, 0x6050403
	s_set_vgpr_msb 0                        ;  msbs: dst=0 src0=0 src1=0 src2=0
	v_perm_b32 v254, v250, v16, 0x4030201
	s_delay_alu instid0(VALU_DEP_2)
	v_dot4_i32_iu8 v7, v6, v226, v17 neg_lo:[1,1,0]
	v_dot4_i32_iu8 v17, v6, v235, v174 neg_lo:[1,1,0]
	ds_load_2addr_b32 v[174:175], v255 offset0:12 offset1:13
	v_dot4_i32_iu8 v5, v6, v244, v5 neg_lo:[1,1,0]
	s_set_vgpr_msb 4                        ;  msbs: dst=0 src0=0 src1=1 src2=0
	v_ashrrev_i32_e32 v6, 24, v6 /*v262*/
	s_set_vgpr_msb 0                        ;  msbs: dst=0 src0=0 src1=0 src2=0
	v_perm_b32 v255, v15, v14, 0x4030201
	s_set_vgpr_msb 5                        ;  msbs: dst=0 src0=1 src1=1 src2=0
	v_perm_b32 v14, v8 /*v264*/, v7 /*v263*/, 0x7030c0c
	s_wait_dscnt 0x0
	s_set_vgpr_msb 0                        ;  msbs: dst=0 src0=0 src1=0 src2=0
	v_dot4_i32_iu8 v0, v174, v0, v4 neg_lo:[1,1,0]
	s_set_vgpr_msb 5                        ;  msbs: dst=0 src0=1 src1=1 src2=0
	v_perm_b32 v4, v6 /*v262*/, v5 /*v261*/, 0x6050403
	s_set_vgpr_msb 0                        ;  msbs: dst=0 src0=0 src1=0 src2=0
	s_delay_alu instid0(VALU_DEP_2) | instskip(NEXT) | instid1(VALU_DEP_2)
	v_dot4_i32_iu8 v0, v175, v1, v0 neg_lo:[1,1,0]
	v_dot4_i32_iu8 v7, v4, v227, v7 neg_lo:[1,1,0]
	;; [unrolled: 1-line block ×4, first 2 shown]
	s_delay_alu instid0(VALU_DEP_4) | instskip(NEXT) | instid1(VALU_DEP_4)
	v_dot4_i32_iu8 v2, v134, v2, v0 neg_lo:[1,1,0]
	v_mad_i32_i24 v7, v6, v147, v7
	s_delay_alu instid0(VALU_DEP_4) | instskip(NEXT) | instid1(VALU_DEP_4)
	v_mad_i32_i24 v17, v6, v232, v17
	v_mad_i32_i24 v4, v6, v241, v4
	v_perm_b32 v6, v3, v3, 0xc030201
	v_dot4_i32_iu8 v2, v135, v3, v2 neg_lo:[1,1,0]
	s_set_vgpr_msb 1                        ;  msbs: dst=0 src0=1 src1=0 src2=0
	v_dot4_i32_iu8 v1, v7 /*v263*/, v255, v7 neg_lo:[1,1,0]
	v_dot4_i32_iu8 v5, v7 /*v263*/, v251, v17 neg_lo:[1,1,0]
	;; [unrolled: 1-line block ×3, first 2 shown]
	s_set_vgpr_msb 0                        ;  msbs: dst=0 src0=0 src1=0 src2=0
	v_mul_lo_u32 v2, v2, v228
	s_set_vgpr_msb 5                        ;  msbs: dst=0 src0=1 src1=1 src2=0
	v_dot4_i32_iu8 v0, v8 /*v264*/, v0 /*v256*/, v1 neg_lo:[1,1,0]
	s_set_vgpr_msb 0                        ;  msbs: dst=0 src0=0 src1=0 src2=0
	v_perm_b32 v1, v250, v16, 0xc040302
	s_set_vgpr_msb 5                        ;  msbs: dst=0 src0=1 src1=1 src2=0
	v_perm_b32 v250, v12 /*v268*/, v11 /*v267*/, 0x4030201
	s_set_vgpr_msb 1                        ;  msbs: dst=0 src0=1 src1=0 src2=0
	v_dot4_i32_iu8 v0, v9 /*v265*/, v254, v0 neg_lo:[1,1,0]
	s_set_vgpr_msb 16                       ;  msbs: dst=0 src0=0 src1=0 src2=1
	v_dot4_i32_iu8 v1, v1, v6, v1 /*v257*/ neg_lo:[1,1,0]
	s_delay_alu instid0(VALU_DEP_2) | instskip(NEXT) | instid1(VALU_DEP_2)
	v_mul_lo_u32 v0, v0, v223
	v_mul_lo_u32 v7, v1, v223
	v_cvt_f32_i32_e32 v2, v2
	s_delay_alu instid0(VALU_DEP_3) | instskip(NEXT) | instid1(VALU_DEP_3)
	v_cvt_f32_i32_e32 v1, v0
	v_cvt_f32_i32_e32 v0, v7
	s_set_vgpr_msb 5                        ;  msbs: dst=0 src0=1 src1=1 src2=0
	v_perm_b32 v7, v4 /*v260*/, v2 /*v258*/, 0xc0c0602
	s_set_vgpr_msb 0                        ;  msbs: dst=0 src0=0 src1=0 src2=0
	s_delay_alu instid0(VALU_DEP_2)
	v_pk_fma_f32 v[0:1], v[12:13], v[0:1], v[252:253]
	v_perm_b32 v253, v20, v19, 0x4030201
	s_set_vgpr_msb 1                        ;  msbs: dst=0 src0=1 src1=0 src2=0
	v_perm_b32 v252, v13 /*v269*/, v20, 0x4030201
	s_set_vgpr_msb 16                       ;  msbs: dst=0 src0=0 src1=0 src2=1
	v_pk_fma_f32 v[0:1], v[0:1], v[22:23], v[20:21] /*v[276:277]*/ neg_lo:[0,0,1] neg_hi:[0,0,1]
	s_delay_alu instid0(VALU_DEP_1) | instskip(SKIP_3) | instid1(VALU_DEP_2)
	v_pk_add_f32 v[84:85], v[84:85], v[0:1]
	s_set_vgpr_msb 1                        ;  msbs: dst=0 src0=1 src1=0 src2=0
	v_dot4_i32_iu8 v0, v8 /*v264*/, v253, v5 neg_lo:[1,1,0]
	v_perm_b32 v1, v13 /*v269*/, v20, 0xc040302
	v_dot4_i32_iu8 v0, v9 /*v265*/, v252, v0 neg_lo:[1,1,0]
	s_set_vgpr_msb 16                       ;  msbs: dst=0 src0=0 src1=0 src2=1
	s_delay_alu instid0(VALU_DEP_2) | instskip(NEXT) | instid1(VALU_DEP_2)
	v_dot4_i32_iu8 v1, v1, v6, v30 /*v286*/ neg_lo:[1,1,0]
	v_mul_lo_u32 v0, v0, v236
	s_delay_alu instid0(VALU_DEP_2) | instskip(NEXT) | instid1(VALU_DEP_2)
	v_mul_lo_u32 v5, v1, v236
	v_cvt_f32_i32_e32 v1, v0
	s_delay_alu instid0(VALU_DEP_2) | instskip(SKIP_3) | instid1(VALU_DEP_2)
	v_cvt_f32_i32_e32 v0, v5
	s_set_vgpr_msb 5                        ;  msbs: dst=0 src0=1 src1=1 src2=0
	v_perm_b32 v5, v4 /*v260*/, v2 /*v258*/, 0xc0c0400
	s_set_vgpr_msb 16                       ;  msbs: dst=0 src0=0 src1=0 src2=1
	v_pk_fma_f32 v[0:1], v[12:13], v[0:1], v[22:23] /*v[278:279]*/
	s_delay_alu instid0(VALU_DEP_1) | instskip(NEXT) | instid1(VALU_DEP_1)
	v_pk_fma_f32 v[0:1], v[0:1], v[24:25], v[24:25] /*v[280:281]*/ neg_lo:[0,0,1] neg_hi:[0,0,1]
	v_pk_add_f32 v[94:95], v[94:95], v[0:1]
	s_set_vgpr_msb 1                        ;  msbs: dst=0 src0=1 src1=0 src2=0
	v_dot4_i32_iu8 v0, v8 /*v264*/, v250, v4 neg_lo:[1,1,0]
	s_set_vgpr_msb 5                        ;  msbs: dst=0 src0=1 src1=1 src2=0
	v_perm_b32 v1, v31 /*v287*/, v12 /*v268*/, 0xc040302
	s_set_vgpr_msb 1                        ;  msbs: dst=0 src0=1 src1=0 src2=0
	s_delay_alu instid0(VALU_DEP_2) | instskip(SKIP_1) | instid1(VALU_DEP_2)
	v_dot4_i32_iu8 v0, v9 /*v265*/, v249, v0 neg_lo:[1,1,0]
	s_set_vgpr_msb 0                        ;  msbs: dst=0 src0=0 src1=0 src2=0
	v_dot4_i32_iu8 v1, v1, v6, v21 neg_lo:[1,1,0]
	s_set_vgpr_msb 5                        ;  msbs: dst=0 src0=1 src1=1 src2=0
	v_mul_i32_i24_e32 v6, v40 /*v296*/, v36 /*v292*/
	s_set_vgpr_msb 16                       ;  msbs: dst=0 src0=0 src1=0 src2=1
	v_mul_lo_u32 v0, v0, v245
	v_mul_lo_u32 v4, v1, v245
	s_delay_alu instid0(VALU_DEP_2) | instskip(NEXT) | instid1(VALU_DEP_2)
	v_cvt_f32_i32_e32 v1, v0
	v_cvt_f32_i32_e32 v0, v4
	v_perm_b32 v4, v172, v170, 0xc0c0400
	s_delay_alu instid0(VALU_DEP_2) | instskip(SKIP_1) | instid1(VALU_DEP_2)
	v_pk_fma_f32 v[0:1], v[12:13], v[0:1], v[26:27] /*v[282:283]*/
	s_set_vgpr_msb 0                        ;  msbs: dst=0 src0=0 src1=0 src2=0
	v_dot4_i32_iu8 v4, v5, v4, v11 neg_lo:[1,1,0]
	v_perm_b32 v5, v172, v170, 0xc0c0602
	v_perm_b32 v11, v134, v175, 0x7030c0c
	s_set_vgpr_msb 16                       ;  msbs: dst=0 src0=0 src1=0 src2=1
	v_pk_fma_f32 v[0:1], v[0:1], v[26:27], v[28:29] /*v[284:285]*/ neg_lo:[0,0,1] neg_hi:[0,0,1]
	s_set_vgpr_msb 0                        ;  msbs: dst=0 src0=0 src1=0 src2=0
	v_dot4_i32_iu8 v5, v7, v5, v10 neg_lo:[1,1,0]
	v_perm_b32 v7, v172, v170, 0xc0c0501
	s_set_vgpr_msb 5                        ;  msbs: dst=0 src0=1 src1=1 src2=0
	v_perm_b32 v10, v4 /*v260*/, v2 /*v258*/, 0xc0c0501
	s_set_vgpr_msb 0                        ;  msbs: dst=0 src0=0 src1=0 src2=0
	v_pk_add_f32 v[100:101], v[100:101], v[0:1]
	s_set_vgpr_msb 5                        ;  msbs: dst=0 src0=1 src1=1 src2=0
	v_mul_i32_i24_e32 v0, v37 /*v293*/, v33 /*v289*/
	v_mul_i32_i24_e32 v1, v39 /*v295*/, v35 /*v291*/
	s_set_vgpr_msb 0                        ;  msbs: dst=0 src0=0 src1=0 src2=0
	v_dot4_i32_iu8 v7, v10, v7, v9 neg_lo:[1,1,0]
	v_perm_b32 v9, v172, v170, 0xc0c0703
	s_set_vgpr_msb 5                        ;  msbs: dst=0 src0=1 src1=1 src2=0
	v_perm_b32 v10, v4 /*v260*/, v2 /*v258*/, 0xc0c0703
	s_set_vgpr_msb 16                       ;  msbs: dst=0 src0=0 src1=0 src2=1
	s_delay_alu instid0(VALU_DEP_1) | instskip(SKIP_1) | instid1(VALU_DEP_1)
	v_dot4_i32_iu8 v9, v10, v9, v41 /*v297*/ neg_lo:[1,1,0]
	v_perm_b32 v10, v174, v173, 0xc0c0703
	v_or_b32_e32 v10, v11, v10
	s_set_vgpr_msb 5                        ;  msbs: dst=0 src0=1 src1=1 src2=0
	v_perm_b32 v11, v6 /*v262*/, v5 /*v261*/, 0xc0c0703
	s_set_vgpr_msb 0                        ;  msbs: dst=0 src0=0 src1=0 src2=0
	s_delay_alu instid0(VALU_DEP_1) | instskip(SKIP_3) | instid1(VALU_DEP_2)
	v_or_b32_e32 v11, v14, v11
	s_set_vgpr_msb 5                        ;  msbs: dst=0 src0=1 src1=1 src2=0
	v_perm_b32 v14, v8 /*v264*/, v7 /*v263*/, 0x5010c0c
	s_set_vgpr_msb 0                        ;  msbs: dst=0 src0=0 src1=0 src2=0
	v_dot4_i32_iu8 v9, v11, v10, v9 neg_lo:[1,1,0]
	v_perm_b32 v10, v174, v173, 0xc0c0501
	v_perm_b32 v11, v134, v175, 0x5010c0c
	s_delay_alu instid0(VALU_DEP_1) | instskip(SKIP_3) | instid1(VALU_DEP_1)
	v_or_b32_e32 v10, v11, v10
	s_set_vgpr_msb 5                        ;  msbs: dst=0 src0=1 src1=1 src2=0
	v_perm_b32 v11, v6 /*v262*/, v5 /*v261*/, 0xc0c0501
	s_set_vgpr_msb 0                        ;  msbs: dst=0 src0=0 src1=0 src2=0
	v_or_b32_e32 v11, v14, v11
	s_set_vgpr_msb 5                        ;  msbs: dst=0 src0=1 src1=1 src2=0
	v_perm_b32 v14, v8 /*v264*/, v7 /*v263*/, 0x6020c0c
	s_set_vgpr_msb 0                        ;  msbs: dst=0 src0=0 src1=0 src2=0
	s_delay_alu instid0(VALU_DEP_2) | instskip(SKIP_2) | instid1(VALU_DEP_1)
	v_dot4_i32_iu8 v7, v11, v10, v7 neg_lo:[1,1,0]
	v_perm_b32 v10, v174, v173, 0xc0c0602
	v_perm_b32 v11, v134, v175, 0x6020c0c
	v_or_b32_e32 v10, v11, v10
	s_set_vgpr_msb 5                        ;  msbs: dst=0 src0=1 src1=1 src2=0
	v_perm_b32 v11, v6 /*v262*/, v5 /*v261*/, 0xc0c0602
	s_set_vgpr_msb 0                        ;  msbs: dst=0 src0=0 src1=0 src2=0
	s_delay_alu instid0(VALU_DEP_1) | instskip(SKIP_3) | instid1(VALU_DEP_2)
	v_or_b32_e32 v11, v14, v11
	s_set_vgpr_msb 5                        ;  msbs: dst=0 src0=1 src1=1 src2=0
	v_perm_b32 v14, v8 /*v264*/, v7 /*v263*/, 0x4000c0c
	s_set_vgpr_msb 0                        ;  msbs: dst=0 src0=0 src1=0 src2=0
	v_dot4_i32_iu8 v5, v11, v10, v5 neg_lo:[1,1,0]
	v_perm_b32 v10, v174, v173, 0xc0c0400
	v_perm_b32 v11, v134, v175, 0x4000c0c
	s_delay_alu instid0(VALU_DEP_1) | instskip(SKIP_3) | instid1(VALU_DEP_1)
	v_or_b32_e32 v10, v11, v10
	s_set_vgpr_msb 5                        ;  msbs: dst=0 src0=1 src1=1 src2=0
	v_perm_b32 v11, v6 /*v262*/, v5 /*v261*/, 0xc0c0400
	s_set_vgpr_msb 0                        ;  msbs: dst=0 src0=0 src1=0 src2=0
	v_or_b32_e32 v11, v14, v11
	s_delay_alu instid0(VALU_DEP_1) | instskip(NEXT) | instid1(VALU_DEP_1)
	v_dot4_i32_iu8 v4, v11, v10, v4 neg_lo:[1,1,0]
	v_add_nc_u32_e32 v4, v4, v5
	v_add_nc_u32_e32 v5, v7, v9
	s_set_vgpr_msb 5                        ;  msbs: dst=0 src0=1 src1=1 src2=0
	v_mad_i32_i24 v9, v38 /*v294*/, v34 /*v290*/, v1
	s_set_vgpr_msb 0                        ;  msbs: dst=0 src0=0 src1=0 src2=0
	v_mul_lo_u32 v1, v8, v247
	v_add3_u32 v7, v4, v5, v0
	s_set_vgpr_msb 1                        ;  msbs: dst=0 src0=1 src1=0 src2=0
	v_mul_lo_u32 v0, v32 /*v288*/, v247
	s_set_vgpr_msb 4                        ;  msbs: dst=0 src0=0 src1=1 src2=0
	v_pk_fma_f32 v[4:5], v[136:137], v[16:17] /*v[272:273]*/, 0 op_sel_hi:[0,1,0]
	s_set_vgpr_msb 0                        ;  msbs: dst=0 src0=0 src1=0 src2=0
	v_add3_u32 v6, v7, v9, v6
	v_cvt_f32_i32_e32 v1, v1
	s_delay_alu instid0(VALU_DEP_2) | instskip(SKIP_2) | instid1(VALU_DEP_1)
	v_mul_lo_u32 v3, v6, v228
	v_cvt_f32_i32_e32 v0, v0
	s_set_vgpr_msb 1                        ;  msbs: dst=0 src0=1 src1=0 src2=0
	v_pk_fma_f32 v[0:1], v[14:15] /*v[270:271]*/, v[0:1], 0 op_sel_hi:[1,1,0]
	s_set_vgpr_msb 0                        ;  msbs: dst=0 src0=0 src1=0 src2=0
	s_delay_alu instid0(VALU_DEP_3) | instskip(NEXT) | instid1(VALU_DEP_1)
	v_cvt_f32_i32_e32 v3, v3
	v_pk_fma_f32 v[0:1], v[12:13], v[2:3], v[0:1]
	s_set_vgpr_msb 4                        ;  msbs: dst=0 src0=0 src1=1 src2=0
	v_pk_fma_f32 v[2:3], v[120:121], v[18:19] /*v[274:275]*/, v[4:5] op_sel_hi:[0,1,1]
	s_set_vgpr_msb 0                        ;  msbs: dst=0 src0=0 src1=0 src2=0
	s_delay_alu instid0(VALU_DEP_1) | instskip(NEXT) | instid1(VALU_DEP_1)
	v_pk_mul_f32 v[2:3], v[2:3], v[118:119]
	v_pk_fma_f32 v[0:1], v[0:1], v[110:111], v[2:3] neg_lo:[0,0,1] neg_hi:[0,0,1]
	s_delay_alu instid0(VALU_DEP_1) | instskip(SKIP_1) | instid1(VALU_DEP_1)
	v_pk_add_f32 v[104:105], v[104:105], v[0:1]
	v_or_b32_e32 v0, s13, v179
	v_dual_lshlrev_b32 v12, 2, v0 :: v_dual_lshrrev_b32 v16, 1, v0
	ds_load_b128 v[0:3], v12 offset:33280
	ds_load_b128 v[4:7], v12 offset:33296
	;; [unrolled: 1-line block ×4, first 2 shown]
	ds_load_b64 v[20:21], v16 offset:43584
	s_wait_dscnt 0x4
	v_dot4_i32_iu8 v18, v0, v128, 0 neg_lo:[1,1,0]
	s_wait_dscnt 0x2
	v_bfe_i32 v16, v8, 0, 8
	v_perm_b32 v19, v8, v8, 0xc0c0201
	s_set_vgpr_msb 64                       ;  msbs: dst=1 src0=0 src1=0 src2=0
	v_perm_b32 v2 /*v258*/, v9, v8, 0x6050403
	s_set_vgpr_msb 0                        ;  msbs: dst=0 src0=0 src1=0 src2=0
	v_dot4_i32_iu8 v18, v1, v129, v18 neg_lo:[1,1,0]
	s_set_vgpr_msb 64                       ;  msbs: dst=1 src0=0 src1=0 src2=0
	v_perm_b32 v3 /*v259*/, v10, v9, 0x6050403
	v_perm_b32 v4 /*v260*/, v11, v10, 0x6050403
	s_wait_dscnt 0x1
	v_perm_b32 v5 /*v261*/, v12, v11, 0x6050403
	s_set_vgpr_msb 0                        ;  msbs: dst=0 src0=0 src1=0 src2=0
	v_ashrrev_i32_e32 v17, 24, v12
	v_dot4_i32_iu8 v18, v2, v130, v18 neg_lo:[1,1,0]
	s_wait_dscnt 0x0
	s_set_vgpr_msb 64                       ;  msbs: dst=1 src0=0 src1=0 src2=0
	v_lshrrev_b32_e32 v1 /*v257*/, 16, v20
	s_set_vgpr_msb 0                        ;  msbs: dst=0 src0=0 src1=0 src2=0
	v_dot4_i32_iu8 v18, v3, v131, v18 neg_lo:[1,1,0]
	s_delay_alu instid0(VALU_DEP_1) | instskip(NEXT) | instid1(VALU_DEP_1)
	v_dot4_i32_iu8 v18, v4, v126, v18 neg_lo:[1,1,0]
	v_dot4_i32_iu8 v18, v127, v5, v18 neg_lo:[1,1,0]
	s_delay_alu instid0(VALU_DEP_1) | instskip(SKIP_1) | instid1(VALU_DEP_1)
	v_dot4_i32_iu8 v18, v124, v6, v18 neg_lo:[1,1,0]
	s_set_vgpr_msb 64                       ;  msbs: dst=1 src0=0 src1=0 src2=0
	v_dot4_i32_iu8 v7 /*v263*/, v125, v7, v18 neg_lo:[1,1,0]
	s_set_vgpr_msb 0                        ;  msbs: dst=0 src0=0 src1=0 src2=0
	v_mul_i32_i24_e32 v18, v16, v221
	s_delay_alu instid0(VALU_DEP_1) | instskip(SKIP_1) | instid1(VALU_DEP_1)
	v_dot4_i32_iu8 v18, v19, v222, v18 neg_lo:[1,1,0]
	s_set_vgpr_msb 1                        ;  msbs: dst=0 src0=1 src1=0 src2=0
	v_dot4_i32_iu8 v18, v2 /*v258*/, v224, v18 neg_lo:[1,1,0]
	s_delay_alu instid0(VALU_DEP_1) | instskip(NEXT) | instid1(VALU_DEP_1)
	v_dot4_i32_iu8 v18, v3 /*v259*/, v225, v18 neg_lo:[1,1,0]
	v_dot4_i32_iu8 v18, v4 /*v260*/, v226, v18 neg_lo:[1,1,0]
	s_delay_alu instid0(VALU_DEP_1) | instskip(SKIP_1) | instid1(VALU_DEP_1)
	v_dot4_i32_iu8 v18, v5 /*v261*/, v227, v18 neg_lo:[1,1,0]
	s_set_vgpr_msb 0                        ;  msbs: dst=0 src0=0 src1=0 src2=0
	v_mad_i32_i24 v18, v147, v17, v18
	s_delay_alu instid0(VALU_DEP_1) | instskip(SKIP_1) | instid1(VALU_DEP_1)
	v_dot4_i32_iu8 v18, v255, v13, v18 neg_lo:[1,1,0]
	s_set_vgpr_msb 0x41                     ;  msbs: dst=1 src0=1 src1=0 src2=0
	v_dot4_i32_iu8 v10 /*v266*/, v0 /*v256*/, v14, v18 neg_lo:[1,1,0]
	s_set_vgpr_msb 0                        ;  msbs: dst=0 src0=0 src1=0 src2=0
	v_dot4_i32_iu8 v18, v0, v142, 0 neg_lo:[1,1,0]
	s_set_vgpr_msb 0x50                     ;  msbs: dst=1 src0=0 src1=0 src2=1
	s_delay_alu instid0(VALU_DEP_2) | instskip(SKIP_1) | instid1(VALU_DEP_2)
	v_dot4_i32_iu8 v10 /*v266*/, v15, v254, v10 /*v266*/ neg_lo:[1,1,0]
	s_set_vgpr_msb 0                        ;  msbs: dst=0 src0=0 src1=0 src2=0
	v_dot4_i32_iu8 v18, v1, v143, v18 neg_lo:[1,1,0]
	s_set_vgpr_msb 0x41                     ;  msbs: dst=1 src0=1 src1=0 src2=0
	s_delay_alu instid0(VALU_DEP_2) | instskip(SKIP_1) | instid1(VALU_DEP_2)
	v_mul_lo_u32 v10 /*v266*/, v10 /*v266*/, v223
	s_set_vgpr_msb 0                        ;  msbs: dst=0 src0=0 src1=0 src2=0
	v_dot4_i32_iu8 v18, v2, v144, v18 neg_lo:[1,1,0]
	s_delay_alu instid0(VALU_DEP_1) | instskip(NEXT) | instid1(VALU_DEP_1)
	v_dot4_i32_iu8 v18, v3, v145, v18 neg_lo:[1,1,0]
	v_dot4_i32_iu8 v18, v4, v140, v18 neg_lo:[1,1,0]
	s_set_vgpr_msb 0x41                     ;  msbs: dst=1 src0=1 src1=0 src2=0
	s_delay_alu instid0(VALU_DEP_4) | instskip(SKIP_1) | instid1(VALU_DEP_2)
	v_cvt_f32_i32_e32 v10 /*v266*/, v10 /*v266*/
	s_set_vgpr_msb 0                        ;  msbs: dst=0 src0=0 src1=0 src2=0
	v_dot4_i32_iu8 v18, v141, v5, v18 neg_lo:[1,1,0]
	s_delay_alu instid0(VALU_DEP_1) | instskip(SKIP_1) | instid1(VALU_DEP_1)
	v_dot4_i32_iu8 v18, v138, v6, v18 neg_lo:[1,1,0]
	s_set_vgpr_msb 64                       ;  msbs: dst=1 src0=0 src1=0 src2=0
	v_dot4_i32_iu8 v12 /*v268*/, v139, v7, v18 neg_lo:[1,1,0]
	s_set_vgpr_msb 0                        ;  msbs: dst=0 src0=0 src1=0 src2=0
	v_mul_i32_i24_e32 v18, v16, v230
	v_mul_i32_i24_e32 v16, v16, v239
	s_delay_alu instid0(VALU_DEP_2) | instskip(NEXT) | instid1(VALU_DEP_2)
	v_dot4_i32_iu8 v18, v19, v231, v18 neg_lo:[1,1,0]
	v_dot4_i32_iu8 v16, v19, v240, v16 neg_lo:[1,1,0]
	s_set_vgpr_msb 1                        ;  msbs: dst=0 src0=1 src1=0 src2=0
	s_delay_alu instid0(VALU_DEP_2) | instskip(NEXT) | instid1(VALU_DEP_2)
	v_dot4_i32_iu8 v18, v2 /*v258*/, v233, v18 neg_lo:[1,1,0]
	v_dot4_i32_iu8 v16, v2 /*v258*/, v242, v16 neg_lo:[1,1,0]
	s_delay_alu instid0(VALU_DEP_2) | instskip(NEXT) | instid1(VALU_DEP_2)
	v_dot4_i32_iu8 v18, v3 /*v259*/, v234, v18 neg_lo:[1,1,0]
	v_dot4_i32_iu8 v16, v3 /*v259*/, v243, v16 neg_lo:[1,1,0]
	;; [unrolled: 3-line block ×4, first 2 shown]
	s_set_vgpr_msb 0                        ;  msbs: dst=0 src0=0 src1=0 src2=0
	s_delay_alu instid0(VALU_DEP_2) | instskip(NEXT) | instid1(VALU_DEP_2)
	v_mad_i32_i24 v18, v232, v17, v18
	v_mad_i32_i24 v16, v241, v17, v16
	s_delay_alu instid0(VALU_DEP_2) | instskip(NEXT) | instid1(VALU_DEP_2)
	v_dot4_i32_iu8 v18, v251, v13, v18 neg_lo:[1,1,0]
	v_dot4_i32_iu8 v16, v248, v13, v16 neg_lo:[1,1,0]
	s_set_vgpr_msb 64                       ;  msbs: dst=1 src0=0 src1=0 src2=0
	s_delay_alu instid0(VALU_DEP_2)
	v_dot4_i32_iu8 v13 /*v269*/, v253, v14, v18 neg_lo:[1,1,0]
	s_set_vgpr_msb 0                        ;  msbs: dst=0 src0=0 src1=0 src2=0
	v_dot4_i32_iu8 v18, v0, v154, 0 neg_lo:[1,1,0]
	v_dot4_i32_iu8 v0, v0, v168, 0 neg_lo:[1,1,0]
	s_set_vgpr_msb 64                       ;  msbs: dst=1 src0=0 src1=0 src2=0
	v_dot4_i32_iu8 v15 /*v271*/, v250, v14, v16 neg_lo:[1,1,0]
	s_set_vgpr_msb 0                        ;  msbs: dst=0 src0=0 src1=0 src2=0
	v_dot4_i32_iu8 v18, v1, v155, v18 neg_lo:[1,1,0]
	v_dot4_i32_iu8 v0, v1, v169, v0 neg_lo:[1,1,0]
	s_delay_alu instid0(VALU_DEP_2) | instskip(NEXT) | instid1(VALU_DEP_2)
	v_dot4_i32_iu8 v18, v2, v156, v18 neg_lo:[1,1,0]
	v_dot4_i32_iu8 v0, v2, v166, v0 neg_lo:[1,1,0]
	s_delay_alu instid0(VALU_DEP_2) | instskip(NEXT) | instid1(VALU_DEP_2)
	;; [unrolled: 3-line block ×5, first 2 shown]
	v_dot4_i32_iu8 v18, v150, v6, v18 neg_lo:[1,1,0]
	v_dot4_i32_iu8 v0, v162, v6, v0 neg_lo:[1,1,0]
	s_set_vgpr_msb 64                       ;  msbs: dst=1 src0=0 src1=0 src2=0
	s_delay_alu instid0(VALU_DEP_2) | instskip(NEXT) | instid1(VALU_DEP_2)
	v_dot4_i32_iu8 v14 /*v270*/, v151, v7, v18 neg_lo:[1,1,0]
	v_dot4_i32_iu8 v16 /*v272*/, v163, v7, v0 neg_lo:[1,1,0]
	s_set_vgpr_msb 0                        ;  msbs: dst=0 src0=0 src1=0 src2=0
	v_dot4_i32_iu8 v0, v170, v8, 0 neg_lo:[1,1,0]
	s_delay_alu instid0(VALU_DEP_1) | instskip(NEXT) | instid1(VALU_DEP_1)
	v_dot4_i32_iu8 v0, v171, v9, v0 neg_lo:[1,1,0]
	v_dot4_i32_iu8 v0, v172, v10, v0 neg_lo:[1,1,0]
	s_delay_alu instid0(VALU_DEP_1) | instskip(NEXT) | instid1(VALU_DEP_1)
	v_dot4_i32_iu8 v0, v173, v11, v0 neg_lo:[1,1,0]
	;; [unrolled: 3-line block ×3, first 2 shown]
	v_dot4_i32_iu8 v14, v134, v14, v0 neg_lo:[1,1,0]
	v_or_b32_e32 v0, s13, v180
	s_delay_alu instid0(VALU_DEP_1)
	v_dual_lshlrev_b32 v12, 2, v0 :: v_dual_lshrrev_b32 v13, 1, v0
	ds_load_b128 v[0:3], v12 offset:33280
	ds_load_b128 v[4:7], v12 offset:33296
	;; [unrolled: 1-line block ×4, first 2 shown]
	ds_load_b64 v[12:13], v13 offset:43584
	s_set_vgpr_msb 0x50                     ;  msbs: dst=1 src0=0 src1=0 src2=1
	v_lshrrev_b32_e32 v6 /*v262*/, 16, v21
	s_wait_dscnt 0x4
	v_dot4_i32_iu8 v2 /*v258*/, v0, v128, 0 neg_lo:[1,1,0]
	s_wait_dscnt 0x2
	v_bfe_i32 v17 /*v273*/, v8, 0, 8
	v_perm_b32 v19 /*v275*/, v8, v8, 0xc0c0201
	v_perm_b32 v20 /*v276*/, v9, v8, 0x6050403
	v_dot4_i32_iu8 v2 /*v258*/, v1, v129, v2 /*v258*/ neg_lo:[1,1,0]
	v_perm_b32 v21 /*v277*/, v10, v9, 0x6050403
	v_perm_b32 v22 /*v278*/, v11, v10, 0x6050403
	s_wait_dscnt 0x1
	v_perm_b32 v23 /*v279*/, v16, v11, 0x6050403
	s_wait_dscnt 0x0
	v_dual_ashrrev_i32 v18 /*v274*/, 24, v16 :: v_dual_lshrrev_b32 v8 /*v264*/, 16, v13
	v_dot4_i32_iu8 v2 /*v258*/, v2, v130, v2 /*v258*/ neg_lo:[1,1,0]
	v_lshrrev_b32_e32 v4 /*v260*/, 16, v12
	v_cvt_f32_f16_e64 v3 /*v259*/, v12
	s_set_vgpr_msb 0                        ;  msbs: dst=0 src0=0 src1=0 src2=0
	v_cvt_f32_f16_e32 v12, v21
	s_set_vgpr_msb 1                        ;  msbs: dst=0 src0=1 src1=0 src2=0
	v_cvt_f32_f16_e64 v21, v8 /*v264*/
	s_set_vgpr_msb 0x50                     ;  msbs: dst=1 src0=0 src1=0 src2=1
	v_dot4_i32_iu8 v2 /*v258*/, v3, v131, v2 /*v258*/ neg_lo:[1,1,0]
	s_set_vgpr_msb 0x41                     ;  msbs: dst=1 src0=1 src1=0 src2=0
	v_cvt_f32_f16_e64 v5 /*v261*/, v4 /*v260*/
	v_cvt_f32_f16_e64 v4 /*v260*/, v1 /*v257*/
	v_mul_lo_u32 v1 /*v257*/, v7 /*v263*/, v123
	s_set_vgpr_msb 0                        ;  msbs: dst=0 src0=0 src1=0 src2=0
	v_cvt_f32_f16_e32 v13, v13
	s_set_vgpr_msb 0x50                     ;  msbs: dst=1 src0=0 src1=0 src2=1
	v_dot4_i32_iu8 v2 /*v258*/, v4, v126, v2 /*v258*/ neg_lo:[1,1,0]
	s_delay_alu instid0(VALU_DEP_1) | instskip(NEXT) | instid1(VALU_DEP_1)
	v_dot4_i32_iu8 v2 /*v258*/, v127, v5, v2 /*v258*/ neg_lo:[1,1,0]
	v_dot4_i32_iu8 v2 /*v258*/, v124, v6, v2 /*v258*/ neg_lo:[1,1,0]
	s_delay_alu instid0(VALU_DEP_1) | instskip(SKIP_2) | instid1(VALU_DEP_1)
	v_dot4_i32_iu8 v9 /*v265*/, v125, v7, v2 /*v258*/ neg_lo:[1,1,0]
	s_set_vgpr_msb 0x51                     ;  msbs: dst=1 src0=1 src1=0 src2=1
	v_mul_i32_i24_e32 v2 /*v258*/, v17 /*v273*/, v221
	v_dot4_i32_iu8 v2 /*v258*/, v19 /*v275*/, v222, v2 /*v258*/ neg_lo:[1,1,0]
	s_delay_alu instid0(VALU_DEP_1) | instskip(NEXT) | instid1(VALU_DEP_1)
	v_dot4_i32_iu8 v2 /*v258*/, v20 /*v276*/, v224, v2 /*v258*/ neg_lo:[1,1,0]
	v_dot4_i32_iu8 v2 /*v258*/, v21 /*v277*/, v225, v2 /*v258*/ neg_lo:[1,1,0]
	s_delay_alu instid0(VALU_DEP_1) | instskip(NEXT) | instid1(VALU_DEP_1)
	v_dot4_i32_iu8 v2 /*v258*/, v22 /*v278*/, v226, v2 /*v258*/ neg_lo:[1,1,0]
	v_dot4_i32_iu8 v2 /*v258*/, v23 /*v279*/, v227, v2 /*v258*/ neg_lo:[1,1,0]
	s_set_vgpr_msb 0x54                     ;  msbs: dst=1 src0=0 src1=1 src2=1
	s_delay_alu instid0(VALU_DEP_1) | instskip(SKIP_1) | instid1(VALU_DEP_1)
	v_mad_i32_i24 v2 /*v258*/, v147, v18 /*v274*/, v2 /*v258*/
	s_set_vgpr_msb 0x50                     ;  msbs: dst=1 src0=0 src1=0 src2=1
	v_dot4_i32_iu8 v2 /*v258*/, v255, v17, v2 /*v258*/ neg_lo:[1,1,0]
	s_set_vgpr_msb 0x51                     ;  msbs: dst=1 src0=1 src1=0 src2=1
	s_delay_alu instid0(VALU_DEP_1)
	v_dot4_i32_iu8 v11 /*v267*/, v0 /*v256*/, v18, v2 /*v258*/ neg_lo:[1,1,0]
	s_set_vgpr_msb 64                       ;  msbs: dst=1 src0=0 src1=0 src2=0
	v_cvt_f32_f16_e64 v2 /*v258*/, v20
	s_set_vgpr_msb 1                        ;  msbs: dst=0 src0=1 src1=0 src2=0
	v_cvt_f32_f16_e64 v20, v6 /*v262*/
	s_set_vgpr_msb 0x41                     ;  msbs: dst=1 src0=1 src1=0 src2=0
	v_mul_lo_u32 v6 /*v262*/, v9 /*v265*/, v123
	s_set_vgpr_msb 0x44                     ;  msbs: dst=1 src0=0 src1=1 src2=0
	v_pk_fma_f32 v[8:9] /*v[264:265]*/, v[122:123], v[4:5] /*v[260:261]*/, 0 op_sel_hi:[0,1,0]
	s_set_vgpr_msb 0x50                     ;  msbs: dst=1 src0=0 src1=0 src2=1
	s_delay_alu instid0(VALU_DEP_1) | instskip(SKIP_1) | instid1(VALU_DEP_3)
	v_pk_fma_f32 v[8:9] /*v[264:265]*/, v[132:133], v[20:21], v[8:9] /*v[264:265]*/ op_sel_hi:[0,1,1]
	s_set_vgpr_msb 0x41                     ;  msbs: dst=1 src0=1 src1=0 src2=0
	v_cvt_f32_i32_e32 v7 /*v263*/, v6 /*v262*/
	v_cvt_f32_i32_e32 v6 /*v262*/, v1 /*v257*/
	s_set_vgpr_msb 0x50                     ;  msbs: dst=1 src0=0 src1=0 src2=1
	v_dot4_i32_iu8 v1 /*v257*/, v19, v254, v11 /*v267*/ neg_lo:[1,1,0]
	s_set_vgpr_msb 0x41                     ;  msbs: dst=1 src0=1 src1=0 src2=0
	v_pk_mul_f32 v[8:9] /*v[264:265]*/, v[8:9] /*v[264:265]*/, v[112:113]
	s_set_vgpr_msb 0x45                     ;  msbs: dst=1 src0=1 src1=1 src2=0
	v_pk_fma_f32 v[6:7] /*v[262:263]*/, v[2:3] /*v[258:259]*/, v[6:7] /*v[262:263]*/, 0 op_sel_hi:[1,1,0]
	s_set_vgpr_msb 0x41                     ;  msbs: dst=1 src0=1 src1=0 src2=0
	v_mul_lo_u32 v1 /*v257*/, v1 /*v257*/, v223
	s_delay_alu instid0(VALU_DEP_1) | instskip(SKIP_3) | instid1(VALU_DEP_2)
	v_cvt_f32_i32_e32 v11 /*v267*/, v1 /*v257*/
	s_set_vgpr_msb 64                       ;  msbs: dst=1 src0=0 src1=0 src2=0
	v_dot4_i32_iu8 v1 /*v257*/, v0, v142, 0 neg_lo:[1,1,0]
	s_set_vgpr_msb 0x54                     ;  msbs: dst=1 src0=0 src1=1 src2=1
	v_pk_fma_f32 v[6:7] /*v[262:263]*/, v[12:13], v[10:11] /*v[266:267]*/, v[6:7] /*v[262:263]*/
	s_set_vgpr_msb 0x50                     ;  msbs: dst=1 src0=0 src1=0 src2=1
	s_delay_alu instid0(VALU_DEP_2) | instskip(SKIP_1) | instid1(VALU_DEP_2)
	v_dot4_i32_iu8 v1 /*v257*/, v1, v143, v1 /*v257*/ neg_lo:[1,1,0]
	s_set_vgpr_msb 0x51                     ;  msbs: dst=1 src0=1 src1=0 src2=1
	v_pk_fma_f32 v[6:7] /*v[262:263]*/, v[6:7] /*v[262:263]*/, v[22:23], v[8:9] /*v[264:265]*/ neg_lo:[0,0,1] neg_hi:[0,0,1]
	s_set_vgpr_msb 0x50                     ;  msbs: dst=1 src0=0 src1=0 src2=1
	s_delay_alu instid0(VALU_DEP_2)
	v_dot4_i32_iu8 v1 /*v257*/, v2, v144, v1 /*v257*/ neg_lo:[1,1,0]
	s_set_vgpr_msb 0x44                     ;  msbs: dst=1 src0=0 src1=1 src2=0
	v_pk_fma_f32 v[8:9] /*v[264:265]*/, v[146:147], v[4:5] /*v[260:261]*/, 0 op_sel_hi:[0,1,0]
	s_set_vgpr_msb 4                        ;  msbs: dst=0 src0=0 src1=1 src2=0
	v_pk_add_f32 v[76:77], v[76:77], v[6:7] /*v[262:263]*/
	s_set_vgpr_msb 0x41                     ;  msbs: dst=1 src0=1 src1=0 src2=0
	v_mul_i32_i24_e32 v6 /*v262*/, v17 /*v273*/, v230
	s_set_vgpr_msb 0x50                     ;  msbs: dst=1 src0=0 src1=0 src2=1
	v_dot4_i32_iu8 v1 /*v257*/, v3, v145, v1 /*v257*/ neg_lo:[1,1,0]
	v_pk_fma_f32 v[8:9] /*v[264:265]*/, v[148:149], v[20:21], v[8:9] /*v[264:265]*/ op_sel_hi:[0,1,1]
	s_set_vgpr_msb 0x51                     ;  msbs: dst=1 src0=1 src1=0 src2=1
	v_dot4_i32_iu8 v6 /*v262*/, v19 /*v275*/, v231, v6 /*v262*/ neg_lo:[1,1,0]
	s_set_vgpr_msb 0x50                     ;  msbs: dst=1 src0=0 src1=0 src2=1
	v_dot4_i32_iu8 v1 /*v257*/, v4, v140, v1 /*v257*/ neg_lo:[1,1,0]
	s_set_vgpr_msb 0x51                     ;  msbs: dst=1 src0=1 src1=0 src2=1
	v_pk_mul_f32 v[8:9] /*v[264:265]*/, v[8:9] /*v[264:265]*/, v[114:115]
	v_dot4_i32_iu8 v6 /*v262*/, v20 /*v276*/, v233, v6 /*v262*/ neg_lo:[1,1,0]
	s_set_vgpr_msb 0x50                     ;  msbs: dst=1 src0=0 src1=0 src2=1
	v_dot4_i32_iu8 v1 /*v257*/, v141, v5, v1 /*v257*/ neg_lo:[1,1,0]
	s_set_vgpr_msb 0x51                     ;  msbs: dst=1 src0=1 src1=0 src2=1
	s_delay_alu instid0(VALU_DEP_2) | instskip(SKIP_1) | instid1(VALU_DEP_2)
	v_dot4_i32_iu8 v6 /*v262*/, v21 /*v277*/, v234, v6 /*v262*/ neg_lo:[1,1,0]
	s_set_vgpr_msb 0x50                     ;  msbs: dst=1 src0=0 src1=0 src2=1
	v_dot4_i32_iu8 v1 /*v257*/, v138, v6, v1 /*v257*/ neg_lo:[1,1,0]
	s_set_vgpr_msb 0x51                     ;  msbs: dst=1 src0=1 src1=0 src2=1
	s_delay_alu instid0(VALU_DEP_2) | instskip(SKIP_1) | instid1(VALU_DEP_2)
	v_dot4_i32_iu8 v6 /*v262*/, v22 /*v278*/, v235, v6 /*v262*/ neg_lo:[1,1,0]
	s_set_vgpr_msb 0x50                     ;  msbs: dst=1 src0=0 src1=0 src2=1
	v_dot4_i32_iu8 v1 /*v257*/, v139, v7, v1 /*v257*/ neg_lo:[1,1,0]
	s_set_vgpr_msb 0x51                     ;  msbs: dst=1 src0=1 src1=0 src2=1
	s_delay_alu instid0(VALU_DEP_2) | instskip(NEXT) | instid1(VALU_DEP_2)
	v_dot4_i32_iu8 v6 /*v262*/, v23 /*v279*/, v237, v6 /*v262*/ neg_lo:[1,1,0]
	v_mul_lo_u32 v1 /*v257*/, v1 /*v257*/, v229
	s_set_vgpr_msb 0x54                     ;  msbs: dst=1 src0=0 src1=1 src2=1
	s_delay_alu instid0(VALU_DEP_2) | instskip(SKIP_1) | instid1(VALU_DEP_1)
	v_mad_i32_i24 v6 /*v262*/, v232, v18 /*v274*/, v6 /*v262*/
	s_set_vgpr_msb 0x50                     ;  msbs: dst=1 src0=0 src1=0 src2=1
	v_dot4_i32_iu8 v6 /*v262*/, v251, v17, v6 /*v262*/ neg_lo:[1,1,0]
	s_set_vgpr_msb 0x41                     ;  msbs: dst=1 src0=1 src1=0 src2=0
	s_delay_alu instid0(VALU_DEP_3) | instskip(SKIP_1) | instid1(VALU_DEP_2)
	v_cvt_f32_i32_e32 v7 /*v263*/, v1 /*v257*/
	s_set_vgpr_msb 0x50                     ;  msbs: dst=1 src0=0 src1=0 src2=1
	v_dot4_i32_iu8 v10 /*v266*/, v253, v18, v6 /*v262*/ neg_lo:[1,1,0]
	s_set_vgpr_msb 0x41                     ;  msbs: dst=1 src0=1 src1=0 src2=0
	v_mul_lo_u32 v6 /*v262*/, v12 /*v268*/, v229
	s_set_vgpr_msb 0x50                     ;  msbs: dst=1 src0=0 src1=0 src2=1
	s_delay_alu instid0(VALU_DEP_2) | instskip(SKIP_2) | instid1(VALU_DEP_2)
	v_dot4_i32_iu8 v1 /*v257*/, v19, v252, v10 /*v266*/ neg_lo:[1,1,0]
	v_dot4_i32_iu8 v10 /*v266*/, v15, v252, v13 /*v269*/ neg_lo:[1,1,0]
	s_set_vgpr_msb 0x41                     ;  msbs: dst=1 src0=1 src1=0 src2=0
	v_mul_lo_u32 v1 /*v257*/, v1 /*v257*/, v236
	s_delay_alu instid0(VALU_DEP_2) | instskip(SKIP_2) | instid1(VALU_DEP_1)
	v_mul_lo_u32 v10 /*v266*/, v10 /*v266*/, v236
	v_cvt_f32_i32_e32 v6 /*v262*/, v6 /*v262*/
	s_set_vgpr_msb 0x45                     ;  msbs: dst=1 src0=1 src1=1 src2=0
	v_pk_fma_f32 v[6:7] /*v[262:263]*/, v[2:3] /*v[258:259]*/, v[6:7] /*v[262:263]*/, 0 op_sel_hi:[1,1,0]
	s_delay_alu instid0(VALU_DEP_4) | instskip(NEXT) | instid1(VALU_DEP_4)
	v_cvt_f32_i32_e32 v11 /*v267*/, v1 /*v257*/
	v_cvt_f32_i32_e32 v10 /*v266*/, v10 /*v266*/
	s_set_vgpr_msb 64                       ;  msbs: dst=1 src0=0 src1=0 src2=0
	v_dot4_i32_iu8 v1 /*v257*/, v0, v154, 0 neg_lo:[1,1,0]
	s_set_vgpr_msb 0                        ;  msbs: dst=0 src0=0 src1=0 src2=0
	v_dot4_i32_iu8 v0, v0, v168, 0 neg_lo:[1,1,0]
	s_set_vgpr_msb 0x54                     ;  msbs: dst=1 src0=0 src1=1 src2=1
	v_pk_fma_f32 v[6:7] /*v[262:263]*/, v[12:13], v[10:11] /*v[266:267]*/, v[6:7] /*v[262:263]*/
	s_set_vgpr_msb 0x50                     ;  msbs: dst=1 src0=0 src1=0 src2=1
	v_dot4_i32_iu8 v1 /*v257*/, v1, v155, v1 /*v257*/ neg_lo:[1,1,0]
	s_set_vgpr_msb 0                        ;  msbs: dst=0 src0=0 src1=0 src2=0
	v_dot4_i32_iu8 v0, v1, v169, v0 neg_lo:[1,1,0]
	v_dot4_i32_iu8 v1, v170, v8, 0 neg_lo:[1,1,0]
	s_set_vgpr_msb 0x51                     ;  msbs: dst=1 src0=1 src1=0 src2=1
	v_pk_fma_f32 v[6:7] /*v[262:263]*/, v[6:7] /*v[262:263]*/, v[24:25], v[8:9] /*v[264:265]*/ neg_lo:[0,0,1] neg_hi:[0,0,1]
	s_set_vgpr_msb 0x50                     ;  msbs: dst=1 src0=0 src1=0 src2=1
	v_dot4_i32_iu8 v1 /*v257*/, v2, v156, v1 /*v257*/ neg_lo:[1,1,0]
	s_set_vgpr_msb 0                        ;  msbs: dst=0 src0=0 src1=0 src2=0
	v_dot4_i32_iu8 v0, v2, v166, v0 neg_lo:[1,1,0]
	v_dot4_i32_iu8 v1, v171, v9, v1 neg_lo:[1,1,0]
	s_set_vgpr_msb 1                        ;  msbs: dst=0 src0=1 src1=0 src2=0
	v_mul_lo_u32 v2, v16 /*v272*/, v247
	s_set_vgpr_msb 4                        ;  msbs: dst=0 src0=0 src1=1 src2=0
	v_pk_add_f32 v[88:89], v[88:89], v[6:7] /*v[262:263]*/
	s_set_vgpr_msb 0x41                     ;  msbs: dst=1 src0=1 src1=0 src2=0
	v_mul_i32_i24_e32 v6 /*v262*/, v17 /*v273*/, v239
	s_set_vgpr_msb 0                        ;  msbs: dst=0 src0=0 src1=0 src2=0
	v_dot4_i32_iu8 v0, v3, v167, v0 neg_lo:[1,1,0]
	v_dot4_i32_iu8 v1, v172, v10, v1 neg_lo:[1,1,0]
	s_set_vgpr_msb 0x50                     ;  msbs: dst=1 src0=0 src1=0 src2=1
	v_dot4_i32_iu8 v1 /*v257*/, v3, v157, v1 /*v257*/ neg_lo:[1,1,0]
	s_set_vgpr_msb 0x44                     ;  msbs: dst=1 src0=0 src1=1 src2=0
	v_pk_fma_f32 v[8:9] /*v[264:265]*/, v[158:159], v[4:5] /*v[260:261]*/, 0 op_sel_hi:[0,1,0]
	s_set_vgpr_msb 0x51                     ;  msbs: dst=1 src0=1 src1=0 src2=1
	v_dot4_i32_iu8 v6 /*v262*/, v19 /*v275*/, v240, v6 /*v262*/ neg_lo:[1,1,0]
	s_set_vgpr_msb 0                        ;  msbs: dst=0 src0=0 src1=0 src2=0
	v_dot4_i32_iu8 v0, v4, v164, v0 neg_lo:[1,1,0]
	v_dot4_i32_iu8 v1, v173, v11, v1 neg_lo:[1,1,0]
	s_set_vgpr_msb 0x50                     ;  msbs: dst=1 src0=0 src1=0 src2=1
	v_dot4_i32_iu8 v1 /*v257*/, v4, v152, v1 /*v257*/ neg_lo:[1,1,0]
	v_pk_fma_f32 v[8:9] /*v[264:265]*/, v[160:161], v[20:21], v[8:9] /*v[264:265]*/ op_sel_hi:[0,1,1]
	s_set_vgpr_msb 0x51                     ;  msbs: dst=1 src0=1 src1=0 src2=1
	v_dot4_i32_iu8 v6 /*v262*/, v20 /*v276*/, v242, v6 /*v262*/ neg_lo:[1,1,0]
	s_set_vgpr_msb 0                        ;  msbs: dst=0 src0=0 src1=0 src2=0
	v_dot4_i32_iu8 v0, v165, v5, v0 neg_lo:[1,1,0]
	v_dot4_i32_iu8 v1, v174, v16, v1 neg_lo:[1,1,0]
	s_set_vgpr_msb 0x50                     ;  msbs: dst=1 src0=0 src1=0 src2=1
	v_dot4_i32_iu8 v1 /*v257*/, v153, v5, v1 /*v257*/ neg_lo:[1,1,0]
	s_set_vgpr_msb 0                        ;  msbs: dst=0 src0=0 src1=0 src2=0
	v_dot4_i32_iu8 v5, v15, v135, v14 neg_lo:[1,1,0]
	s_set_vgpr_msb 0x51                     ;  msbs: dst=1 src0=1 src1=0 src2=1
	v_dot4_i32_iu8 v6 /*v262*/, v21 /*v277*/, v243, v6 /*v262*/ neg_lo:[1,1,0]
	s_set_vgpr_msb 0                        ;  msbs: dst=0 src0=0 src1=0 src2=0
	v_dot4_i32_iu8 v0, v162, v6, v0 neg_lo:[1,1,0]
	v_dot4_i32_iu8 v1, v175, v17, v1 neg_lo:[1,1,0]
	s_set_vgpr_msb 0x50                     ;  msbs: dst=1 src0=0 src1=0 src2=1
	v_dot4_i32_iu8 v1 /*v257*/, v150, v6, v1 /*v257*/ neg_lo:[1,1,0]
	s_set_vgpr_msb 0                        ;  msbs: dst=0 src0=0 src1=0 src2=0
	v_mul_lo_u32 v6, v5, v228
	s_set_vgpr_msb 0x51                     ;  msbs: dst=1 src0=1 src1=0 src2=1
	v_dot4_i32_iu8 v6 /*v262*/, v22 /*v278*/, v244, v6 /*v262*/ neg_lo:[1,1,0]
	s_set_vgpr_msb 0                        ;  msbs: dst=0 src0=0 src1=0 src2=0
	v_dot4_i32_iu8 v0, v163, v7, v0 neg_lo:[1,1,0]
	v_dot4_i32_iu8 v4, v134, v18, v1 neg_lo:[1,1,0]
	s_set_vgpr_msb 0x50                     ;  msbs: dst=1 src0=0 src1=0 src2=1
	v_dot4_i32_iu8 v1 /*v257*/, v151, v7, v1 /*v257*/ neg_lo:[1,1,0]
	s_set_vgpr_msb 0x51                     ;  msbs: dst=1 src0=1 src1=0 src2=1
	v_pk_mul_f32 v[8:9] /*v[264:265]*/, v[8:9] /*v[264:265]*/, v[116:117]
	v_dot4_i32_iu8 v6 /*v262*/, v23 /*v279*/, v246, v6 /*v262*/ neg_lo:[1,1,0]
	s_set_vgpr_msb 0                        ;  msbs: dst=0 src0=0 src1=0 src2=0
	v_mul_lo_u32 v0, v0, v247
	v_dot4_i32_iu8 v4, v19, v135, v4 neg_lo:[1,1,0]
	s_set_vgpr_msb 0x41                     ;  msbs: dst=1 src0=1 src1=0 src2=0
	v_mul_lo_u32 v1 /*v257*/, v1 /*v257*/, v238
	s_set_vgpr_msb 0x54                     ;  msbs: dst=1 src0=0 src1=1 src2=1
	v_mad_i32_i24 v6 /*v262*/, v241, v18 /*v274*/, v6 /*v262*/
	s_set_vgpr_msb 0                        ;  msbs: dst=0 src0=0 src1=0 src2=0
	v_mul_lo_u32 v4, v4, v228
	s_set_vgpr_msb 0x50                     ;  msbs: dst=1 src0=0 src1=0 src2=1
	s_delay_alu instid0(VALU_DEP_2)
	v_dot4_i32_iu8 v6 /*v262*/, v248, v17, v6 /*v262*/ neg_lo:[1,1,0]
	s_set_vgpr_msb 4                        ;  msbs: dst=0 src0=0 src1=1 src2=0
	v_cvt_f32_i32_e32 v1, v0
	v_cvt_f32_i32_e32 v0, v2
	v_pk_fma_f32 v[2:3], v[136:137], v[4:5] /*v[260:261]*/, 0 op_sel_hi:[0,1,0]
	s_set_vgpr_msb 0x50                     ;  msbs: dst=1 src0=0 src1=0 src2=1
	v_dot4_i32_iu8 v10 /*v266*/, v250, v18, v6 /*v262*/ neg_lo:[1,1,0]
	s_set_vgpr_msb 0x41                     ;  msbs: dst=1 src0=1 src1=0 src2=0
	v_mul_lo_u32 v6 /*v262*/, v14 /*v270*/, v238
	v_cvt_f32_i32_e32 v7 /*v263*/, v1 /*v257*/
	s_set_vgpr_msb 1                        ;  msbs: dst=0 src0=1 src1=0 src2=0
	v_pk_fma_f32 v[0:1], v[2:3] /*v[258:259]*/, v[0:1], 0 op_sel_hi:[1,1,0]
	s_set_vgpr_msb 0                        ;  msbs: dst=0 src0=0 src1=0 src2=0
	v_cvt_f32_i32_e32 v5, v4
	s_set_vgpr_msb 0x50                     ;  msbs: dst=1 src0=0 src1=0 src2=1
	v_dot4_i32_iu8 v1 /*v257*/, v19, v249, v10 /*v266*/ neg_lo:[1,1,0]
	v_dot4_i32_iu8 v10 /*v266*/, v15, v249, v15 /*v271*/ neg_lo:[1,1,0]
	s_set_vgpr_msb 0                        ;  msbs: dst=0 src0=0 src1=0 src2=0
	v_cvt_f32_i32_e32 v4, v6
	v_pk_fma_f32 v[2:3], v[120:121], v[20:21], v[2:3] op_sel_hi:[0,1,1]
	s_set_vgpr_msb 0x41                     ;  msbs: dst=1 src0=1 src1=0 src2=0
	v_mul_lo_u32 v1 /*v257*/, v1 /*v257*/, v245
	v_mul_lo_u32 v10 /*v266*/, v10 /*v266*/, v245
	s_set_vgpr_msb 0                        ;  msbs: dst=0 src0=0 src1=0 src2=0
	v_pk_fma_f32 v[0:1], v[12:13], v[4:5], v[0:1]
	v_pk_mul_f32 v[2:3], v[2:3], v[118:119]
	s_set_vgpr_msb 0x41                     ;  msbs: dst=1 src0=1 src1=0 src2=0
	v_cvt_f32_i32_e32 v6 /*v262*/, v6 /*v262*/
	s_set_vgpr_msb 0                        ;  msbs: dst=0 src0=0 src1=0 src2=0
	s_delay_alu instid0(VALU_DEP_2) | instskip(SKIP_1) | instid1(VALU_DEP_2)
	v_pk_fma_f32 v[0:1], v[0:1], v[110:111], v[2:3] neg_lo:[0,0,1] neg_hi:[0,0,1]
	s_set_vgpr_msb 0x45                     ;  msbs: dst=1 src0=1 src1=1 src2=0
	v_pk_fma_f32 v[6:7] /*v[262:263]*/, v[2:3] /*v[258:259]*/, v[6:7] /*v[262:263]*/, 0 op_sel_hi:[1,1,0]
	v_cvt_f32_i32_e32 v11 /*v267*/, v1 /*v257*/
	v_cvt_f32_i32_e32 v10 /*v266*/, v10 /*v266*/
	s_set_vgpr_msb 0                        ;  msbs: dst=0 src0=0 src1=0 src2=0
	v_pk_add_f32 v[102:103], v[102:103], v[0:1]
	v_or_b32_e32 v0, s13, v181
	s_set_vgpr_msb 0x54                     ;  msbs: dst=1 src0=0 src1=1 src2=1
	v_pk_fma_f32 v[6:7] /*v[262:263]*/, v[12:13], v[10:11] /*v[266:267]*/, v[6:7] /*v[262:263]*/
	s_set_vgpr_msb 0                        ;  msbs: dst=0 src0=0 src1=0 src2=0
	s_delay_alu instid0(VALU_DEP_2)
	v_dual_lshlrev_b32 v12, 2, v0 :: v_dual_lshrrev_b32 v16, 1, v0
	ds_load_b128 v[0:3], v12 offset:33280
	ds_load_b128 v[4:7], v12 offset:33296
	;; [unrolled: 1-line block ×4, first 2 shown]
	ds_load_b64 v[20:21], v16 offset:43584
	s_set_vgpr_msb 0x51                     ;  msbs: dst=1 src0=1 src1=0 src2=1
	v_pk_fma_f32 v[6:7] /*v[262:263]*/, v[6:7] /*v[262:263]*/, v[26:27], v[8:9] /*v[264:265]*/ neg_lo:[0,0,1] neg_hi:[0,0,1]
	s_set_vgpr_msb 4                        ;  msbs: dst=0 src0=0 src1=1 src2=0
	s_delay_alu instid0(VALU_DEP_1)
	v_pk_add_f32 v[96:97], v[96:97], v[6:7] /*v[262:263]*/
	s_wait_dscnt 0x4
	s_set_vgpr_msb 0                        ;  msbs: dst=0 src0=0 src1=0 src2=0
	v_dot4_i32_iu8 v18, v0, v128, 0 neg_lo:[1,1,0]
	s_wait_dscnt 0x2
	v_bfe_i32 v16, v8, 0, 8
	v_perm_b32 v19, v8, v8, 0xc0c0201
	s_set_vgpr_msb 64                       ;  msbs: dst=1 src0=0 src1=0 src2=0
	v_perm_b32 v2 /*v258*/, v9, v8, 0x6050403
	s_set_vgpr_msb 0                        ;  msbs: dst=0 src0=0 src1=0 src2=0
	v_dot4_i32_iu8 v18, v1, v129, v18 neg_lo:[1,1,0]
	s_set_vgpr_msb 64                       ;  msbs: dst=1 src0=0 src1=0 src2=0
	v_perm_b32 v3 /*v259*/, v10, v9, 0x6050403
	v_perm_b32 v4 /*v260*/, v11, v10, 0x6050403
	s_wait_dscnt 0x1
	v_perm_b32 v5 /*v261*/, v12, v11, 0x6050403
	s_set_vgpr_msb 0                        ;  msbs: dst=0 src0=0 src1=0 src2=0
	v_ashrrev_i32_e32 v17, 24, v12
	v_dot4_i32_iu8 v18, v2, v130, v18 neg_lo:[1,1,0]
	s_wait_dscnt 0x0
	s_set_vgpr_msb 64                       ;  msbs: dst=1 src0=0 src1=0 src2=0
	v_dual_lshrrev_b32 v1 /*v257*/, 16, v20 :: v_dual_lshrrev_b32 v6 /*v262*/, 16, v21
	s_set_vgpr_msb 0                        ;  msbs: dst=0 src0=0 src1=0 src2=0
	v_dot4_i32_iu8 v18, v3, v131, v18 neg_lo:[1,1,0]
	s_delay_alu instid0(VALU_DEP_1) | instskip(NEXT) | instid1(VALU_DEP_1)
	v_dot4_i32_iu8 v18, v4, v126, v18 neg_lo:[1,1,0]
	v_dot4_i32_iu8 v18, v127, v5, v18 neg_lo:[1,1,0]
	s_delay_alu instid0(VALU_DEP_1) | instskip(SKIP_1) | instid1(VALU_DEP_1)
	v_dot4_i32_iu8 v18, v124, v6, v18 neg_lo:[1,1,0]
	s_set_vgpr_msb 64                       ;  msbs: dst=1 src0=0 src1=0 src2=0
	v_dot4_i32_iu8 v7 /*v263*/, v125, v7, v18 neg_lo:[1,1,0]
	s_set_vgpr_msb 0                        ;  msbs: dst=0 src0=0 src1=0 src2=0
	v_mul_i32_i24_e32 v18, v16, v221
	s_delay_alu instid0(VALU_DEP_1) | instskip(SKIP_1) | instid1(VALU_DEP_1)
	v_dot4_i32_iu8 v18, v19, v222, v18 neg_lo:[1,1,0]
	s_set_vgpr_msb 1                        ;  msbs: dst=0 src0=1 src1=0 src2=0
	v_dot4_i32_iu8 v18, v2 /*v258*/, v224, v18 neg_lo:[1,1,0]
	s_delay_alu instid0(VALU_DEP_1) | instskip(NEXT) | instid1(VALU_DEP_1)
	v_dot4_i32_iu8 v18, v3 /*v259*/, v225, v18 neg_lo:[1,1,0]
	v_dot4_i32_iu8 v18, v4 /*v260*/, v226, v18 neg_lo:[1,1,0]
	s_delay_alu instid0(VALU_DEP_1) | instskip(SKIP_1) | instid1(VALU_DEP_1)
	v_dot4_i32_iu8 v18, v5 /*v261*/, v227, v18 neg_lo:[1,1,0]
	s_set_vgpr_msb 0                        ;  msbs: dst=0 src0=0 src1=0 src2=0
	v_mad_i32_i24 v18, v147, v17, v18
	s_delay_alu instid0(VALU_DEP_1) | instskip(SKIP_1) | instid1(VALU_DEP_1)
	v_dot4_i32_iu8 v18, v255, v13, v18 neg_lo:[1,1,0]
	s_set_vgpr_msb 0x41                     ;  msbs: dst=1 src0=1 src1=0 src2=0
	v_dot4_i32_iu8 v10 /*v266*/, v0 /*v256*/, v14, v18 neg_lo:[1,1,0]
	s_set_vgpr_msb 0                        ;  msbs: dst=0 src0=0 src1=0 src2=0
	v_dot4_i32_iu8 v18, v0, v142, 0 neg_lo:[1,1,0]
	s_set_vgpr_msb 0x50                     ;  msbs: dst=1 src0=0 src1=0 src2=1
	s_delay_alu instid0(VALU_DEP_2) | instskip(SKIP_1) | instid1(VALU_DEP_2)
	v_dot4_i32_iu8 v10 /*v266*/, v15, v254, v10 /*v266*/ neg_lo:[1,1,0]
	s_set_vgpr_msb 0                        ;  msbs: dst=0 src0=0 src1=0 src2=0
	v_dot4_i32_iu8 v18, v1, v143, v18 neg_lo:[1,1,0]
	s_set_vgpr_msb 0x41                     ;  msbs: dst=1 src0=1 src1=0 src2=0
	s_delay_alu instid0(VALU_DEP_2) | instskip(SKIP_1) | instid1(VALU_DEP_2)
	v_mul_lo_u32 v10 /*v266*/, v10 /*v266*/, v223
	s_set_vgpr_msb 0                        ;  msbs: dst=0 src0=0 src1=0 src2=0
	v_dot4_i32_iu8 v18, v2, v144, v18 neg_lo:[1,1,0]
	s_delay_alu instid0(VALU_DEP_1) | instskip(NEXT) | instid1(VALU_DEP_1)
	v_dot4_i32_iu8 v18, v3, v145, v18 neg_lo:[1,1,0]
	v_dot4_i32_iu8 v18, v4, v140, v18 neg_lo:[1,1,0]
	s_set_vgpr_msb 0x41                     ;  msbs: dst=1 src0=1 src1=0 src2=0
	s_delay_alu instid0(VALU_DEP_4) | instskip(SKIP_1) | instid1(VALU_DEP_2)
	v_cvt_f32_i32_e32 v10 /*v266*/, v10 /*v266*/
	s_set_vgpr_msb 0                        ;  msbs: dst=0 src0=0 src1=0 src2=0
	v_dot4_i32_iu8 v18, v141, v5, v18 neg_lo:[1,1,0]
	s_delay_alu instid0(VALU_DEP_1) | instskip(SKIP_1) | instid1(VALU_DEP_1)
	v_dot4_i32_iu8 v18, v138, v6, v18 neg_lo:[1,1,0]
	s_set_vgpr_msb 64                       ;  msbs: dst=1 src0=0 src1=0 src2=0
	v_dot4_i32_iu8 v12 /*v268*/, v139, v7, v18 neg_lo:[1,1,0]
	s_set_vgpr_msb 0                        ;  msbs: dst=0 src0=0 src1=0 src2=0
	v_mul_i32_i24_e32 v18, v16, v230
	v_mul_i32_i24_e32 v16, v16, v239
	s_delay_alu instid0(VALU_DEP_2) | instskip(NEXT) | instid1(VALU_DEP_2)
	v_dot4_i32_iu8 v18, v19, v231, v18 neg_lo:[1,1,0]
	v_dot4_i32_iu8 v16, v19, v240, v16 neg_lo:[1,1,0]
	s_set_vgpr_msb 1                        ;  msbs: dst=0 src0=1 src1=0 src2=0
	s_delay_alu instid0(VALU_DEP_2) | instskip(NEXT) | instid1(VALU_DEP_2)
	v_dot4_i32_iu8 v18, v2 /*v258*/, v233, v18 neg_lo:[1,1,0]
	v_dot4_i32_iu8 v16, v2 /*v258*/, v242, v16 neg_lo:[1,1,0]
	s_delay_alu instid0(VALU_DEP_2) | instskip(NEXT) | instid1(VALU_DEP_2)
	v_dot4_i32_iu8 v18, v3 /*v259*/, v234, v18 neg_lo:[1,1,0]
	v_dot4_i32_iu8 v16, v3 /*v259*/, v243, v16 neg_lo:[1,1,0]
	;; [unrolled: 3-line block ×4, first 2 shown]
	s_set_vgpr_msb 0                        ;  msbs: dst=0 src0=0 src1=0 src2=0
	s_delay_alu instid0(VALU_DEP_2) | instskip(NEXT) | instid1(VALU_DEP_2)
	v_mad_i32_i24 v18, v232, v17, v18
	v_mad_i32_i24 v16, v241, v17, v16
	s_delay_alu instid0(VALU_DEP_2) | instskip(NEXT) | instid1(VALU_DEP_2)
	v_dot4_i32_iu8 v18, v251, v13, v18 neg_lo:[1,1,0]
	v_dot4_i32_iu8 v16, v248, v13, v16 neg_lo:[1,1,0]
	s_set_vgpr_msb 64                       ;  msbs: dst=1 src0=0 src1=0 src2=0
	s_delay_alu instid0(VALU_DEP_2)
	v_dot4_i32_iu8 v13 /*v269*/, v253, v14, v18 neg_lo:[1,1,0]
	s_set_vgpr_msb 0                        ;  msbs: dst=0 src0=0 src1=0 src2=0
	v_dot4_i32_iu8 v18, v0, v154, 0 neg_lo:[1,1,0]
	v_dot4_i32_iu8 v0, v0, v168, 0 neg_lo:[1,1,0]
	s_set_vgpr_msb 64                       ;  msbs: dst=1 src0=0 src1=0 src2=0
	v_dot4_i32_iu8 v15 /*v271*/, v250, v14, v16 neg_lo:[1,1,0]
	s_set_vgpr_msb 0                        ;  msbs: dst=0 src0=0 src1=0 src2=0
	v_dot4_i32_iu8 v18, v1, v155, v18 neg_lo:[1,1,0]
	v_dot4_i32_iu8 v0, v1, v169, v0 neg_lo:[1,1,0]
	s_delay_alu instid0(VALU_DEP_2) | instskip(NEXT) | instid1(VALU_DEP_2)
	v_dot4_i32_iu8 v18, v2, v156, v18 neg_lo:[1,1,0]
	v_dot4_i32_iu8 v0, v2, v166, v0 neg_lo:[1,1,0]
	s_delay_alu instid0(VALU_DEP_2) | instskip(NEXT) | instid1(VALU_DEP_2)
	;; [unrolled: 3-line block ×5, first 2 shown]
	v_dot4_i32_iu8 v18, v150, v6, v18 neg_lo:[1,1,0]
	v_dot4_i32_iu8 v0, v162, v6, v0 neg_lo:[1,1,0]
	s_set_vgpr_msb 64                       ;  msbs: dst=1 src0=0 src1=0 src2=0
	s_delay_alu instid0(VALU_DEP_2) | instskip(NEXT) | instid1(VALU_DEP_2)
	v_dot4_i32_iu8 v14 /*v270*/, v151, v7, v18 neg_lo:[1,1,0]
	v_dot4_i32_iu8 v16 /*v272*/, v163, v7, v0 neg_lo:[1,1,0]
	s_set_vgpr_msb 0                        ;  msbs: dst=0 src0=0 src1=0 src2=0
	v_dot4_i32_iu8 v0, v170, v8, 0 neg_lo:[1,1,0]
	s_delay_alu instid0(VALU_DEP_1) | instskip(NEXT) | instid1(VALU_DEP_1)
	v_dot4_i32_iu8 v0, v171, v9, v0 neg_lo:[1,1,0]
	v_dot4_i32_iu8 v0, v172, v10, v0 neg_lo:[1,1,0]
	s_delay_alu instid0(VALU_DEP_1) | instskip(NEXT) | instid1(VALU_DEP_1)
	v_dot4_i32_iu8 v0, v173, v11, v0 neg_lo:[1,1,0]
	;; [unrolled: 3-line block ×3, first 2 shown]
	v_dot4_i32_iu8 v14, v134, v14, v0 neg_lo:[1,1,0]
	v_or_b32_e32 v0, s13, v182
	s_delay_alu instid0(VALU_DEP_1)
	v_dual_lshlrev_b32 v12, 2, v0 :: v_dual_lshrrev_b32 v13, 1, v0
	ds_load_b128 v[0:3], v12 offset:33280
	ds_load_b128 v[4:7], v12 offset:33296
	ds_load_b128 v[8:11], v12 offset:33312
	ds_load_b128 v[16:19], v12 offset:33328
	ds_load_b64 v[12:13], v13 offset:43584
	s_wait_dscnt 0x4
	s_set_vgpr_msb 0x50                     ;  msbs: dst=1 src0=0 src1=0 src2=1
	v_dot4_i32_iu8 v2 /*v258*/, v0, v128, 0 neg_lo:[1,1,0]
	s_wait_dscnt 0x2
	v_bfe_i32 v17 /*v273*/, v8, 0, 8
	v_perm_b32 v19 /*v275*/, v8, v8, 0xc0c0201
	v_perm_b32 v20 /*v276*/, v9, v8, 0x6050403
	v_dot4_i32_iu8 v2 /*v258*/, v1, v129, v2 /*v258*/ neg_lo:[1,1,0]
	v_perm_b32 v21 /*v277*/, v10, v9, 0x6050403
	v_perm_b32 v22 /*v278*/, v11, v10, 0x6050403
	s_wait_dscnt 0x1
	v_perm_b32 v23 /*v279*/, v16, v11, 0x6050403
	v_ashrrev_i32_e32 v18 /*v274*/, 24, v16
	v_dot4_i32_iu8 v2 /*v258*/, v2, v130, v2 /*v258*/ neg_lo:[1,1,0]
	s_wait_dscnt 0x0
	v_dual_lshrrev_b32 v4 /*v260*/, 16, v12 :: v_dual_lshrrev_b32 v8 /*v264*/, 16, v13
	v_cvt_f32_f16_e64 v3 /*v259*/, v12
	s_set_vgpr_msb 0                        ;  msbs: dst=0 src0=0 src1=0 src2=0
	v_cvt_f32_f16_e32 v12, v21
	s_set_vgpr_msb 0x50                     ;  msbs: dst=1 src0=0 src1=0 src2=1
	v_dot4_i32_iu8 v2 /*v258*/, v3, v131, v2 /*v258*/ neg_lo:[1,1,0]
	s_set_vgpr_msb 0x41                     ;  msbs: dst=1 src0=1 src1=0 src2=0
	v_cvt_f32_f16_e64 v5 /*v261*/, v4 /*v260*/
	v_cvt_f32_f16_e64 v4 /*v260*/, v1 /*v257*/
	v_mul_lo_u32 v1 /*v257*/, v7 /*v263*/, v123
	s_set_vgpr_msb 1                        ;  msbs: dst=0 src0=1 src1=0 src2=0
	v_cvt_f32_f16_e64 v21, v8 /*v264*/
	s_set_vgpr_msb 0x50                     ;  msbs: dst=1 src0=0 src1=0 src2=1
	v_dot4_i32_iu8 v2 /*v258*/, v4, v126, v2 /*v258*/ neg_lo:[1,1,0]
	s_set_vgpr_msb 0                        ;  msbs: dst=0 src0=0 src1=0 src2=0
	v_cvt_f32_f16_e32 v13, v13
	s_set_vgpr_msb 0x50                     ;  msbs: dst=1 src0=0 src1=0 src2=1
	s_delay_alu instid0(VALU_DEP_2) | instskip(NEXT) | instid1(VALU_DEP_1)
	v_dot4_i32_iu8 v2 /*v258*/, v127, v5, v2 /*v258*/ neg_lo:[1,1,0]
	v_dot4_i32_iu8 v2 /*v258*/, v124, v6, v2 /*v258*/ neg_lo:[1,1,0]
	s_delay_alu instid0(VALU_DEP_1) | instskip(SKIP_2) | instid1(VALU_DEP_1)
	v_dot4_i32_iu8 v9 /*v265*/, v125, v7, v2 /*v258*/ neg_lo:[1,1,0]
	s_set_vgpr_msb 0x51                     ;  msbs: dst=1 src0=1 src1=0 src2=1
	v_mul_i32_i24_e32 v2 /*v258*/, v17 /*v273*/, v221
	v_dot4_i32_iu8 v2 /*v258*/, v19 /*v275*/, v222, v2 /*v258*/ neg_lo:[1,1,0]
	s_delay_alu instid0(VALU_DEP_1) | instskip(NEXT) | instid1(VALU_DEP_1)
	v_dot4_i32_iu8 v2 /*v258*/, v20 /*v276*/, v224, v2 /*v258*/ neg_lo:[1,1,0]
	v_dot4_i32_iu8 v2 /*v258*/, v21 /*v277*/, v225, v2 /*v258*/ neg_lo:[1,1,0]
	s_delay_alu instid0(VALU_DEP_1) | instskip(NEXT) | instid1(VALU_DEP_1)
	v_dot4_i32_iu8 v2 /*v258*/, v22 /*v278*/, v226, v2 /*v258*/ neg_lo:[1,1,0]
	v_dot4_i32_iu8 v2 /*v258*/, v23 /*v279*/, v227, v2 /*v258*/ neg_lo:[1,1,0]
	s_set_vgpr_msb 0x54                     ;  msbs: dst=1 src0=0 src1=1 src2=1
	s_delay_alu instid0(VALU_DEP_1) | instskip(SKIP_1) | instid1(VALU_DEP_1)
	v_mad_i32_i24 v2 /*v258*/, v147, v18 /*v274*/, v2 /*v258*/
	s_set_vgpr_msb 0x50                     ;  msbs: dst=1 src0=0 src1=0 src2=1
	v_dot4_i32_iu8 v2 /*v258*/, v255, v17, v2 /*v258*/ neg_lo:[1,1,0]
	s_set_vgpr_msb 0x51                     ;  msbs: dst=1 src0=1 src1=0 src2=1
	s_delay_alu instid0(VALU_DEP_1)
	v_dot4_i32_iu8 v11 /*v267*/, v0 /*v256*/, v18, v2 /*v258*/ neg_lo:[1,1,0]
	s_set_vgpr_msb 64                       ;  msbs: dst=1 src0=0 src1=0 src2=0
	v_cvt_f32_f16_e64 v2 /*v258*/, v20
	s_set_vgpr_msb 1                        ;  msbs: dst=0 src0=1 src1=0 src2=0
	v_cvt_f32_f16_e64 v20, v6 /*v262*/
	s_set_vgpr_msb 0x41                     ;  msbs: dst=1 src0=1 src1=0 src2=0
	v_mul_lo_u32 v6 /*v262*/, v9 /*v265*/, v123
	s_set_vgpr_msb 0x44                     ;  msbs: dst=1 src0=0 src1=1 src2=0
	v_pk_fma_f32 v[8:9] /*v[264:265]*/, v[122:123], v[4:5] /*v[260:261]*/, 0 op_sel_hi:[0,1,0]
	s_set_vgpr_msb 0x50                     ;  msbs: dst=1 src0=0 src1=0 src2=1
	s_delay_alu instid0(VALU_DEP_1) | instskip(SKIP_1) | instid1(VALU_DEP_3)
	v_pk_fma_f32 v[8:9] /*v[264:265]*/, v[132:133], v[20:21], v[8:9] /*v[264:265]*/ op_sel_hi:[0,1,1]
	s_set_vgpr_msb 0x41                     ;  msbs: dst=1 src0=1 src1=0 src2=0
	v_cvt_f32_i32_e32 v7 /*v263*/, v6 /*v262*/
	v_cvt_f32_i32_e32 v6 /*v262*/, v1 /*v257*/
	s_set_vgpr_msb 0x50                     ;  msbs: dst=1 src0=0 src1=0 src2=1
	v_dot4_i32_iu8 v1 /*v257*/, v19, v254, v11 /*v267*/ neg_lo:[1,1,0]
	s_set_vgpr_msb 0x41                     ;  msbs: dst=1 src0=1 src1=0 src2=0
	v_pk_mul_f32 v[8:9] /*v[264:265]*/, v[8:9] /*v[264:265]*/, v[112:113]
	s_set_vgpr_msb 0x45                     ;  msbs: dst=1 src0=1 src1=1 src2=0
	v_pk_fma_f32 v[6:7] /*v[262:263]*/, v[2:3] /*v[258:259]*/, v[6:7] /*v[262:263]*/, 0 op_sel_hi:[1,1,0]
	s_set_vgpr_msb 0x41                     ;  msbs: dst=1 src0=1 src1=0 src2=0
	v_mul_lo_u32 v1 /*v257*/, v1 /*v257*/, v223
	s_delay_alu instid0(VALU_DEP_1) | instskip(SKIP_3) | instid1(VALU_DEP_2)
	v_cvt_f32_i32_e32 v11 /*v267*/, v1 /*v257*/
	s_set_vgpr_msb 64                       ;  msbs: dst=1 src0=0 src1=0 src2=0
	v_dot4_i32_iu8 v1 /*v257*/, v0, v142, 0 neg_lo:[1,1,0]
	s_set_vgpr_msb 0x54                     ;  msbs: dst=1 src0=0 src1=1 src2=1
	v_pk_fma_f32 v[6:7] /*v[262:263]*/, v[12:13], v[10:11] /*v[266:267]*/, v[6:7] /*v[262:263]*/
	s_set_vgpr_msb 0x50                     ;  msbs: dst=1 src0=0 src1=0 src2=1
	s_delay_alu instid0(VALU_DEP_2) | instskip(SKIP_1) | instid1(VALU_DEP_2)
	v_dot4_i32_iu8 v1 /*v257*/, v1, v143, v1 /*v257*/ neg_lo:[1,1,0]
	s_set_vgpr_msb 0x51                     ;  msbs: dst=1 src0=1 src1=0 src2=1
	v_pk_fma_f32 v[6:7] /*v[262:263]*/, v[6:7] /*v[262:263]*/, v[22:23], v[8:9] /*v[264:265]*/ neg_lo:[0,0,1] neg_hi:[0,0,1]
	s_set_vgpr_msb 0x50                     ;  msbs: dst=1 src0=0 src1=0 src2=1
	s_delay_alu instid0(VALU_DEP_2)
	v_dot4_i32_iu8 v1 /*v257*/, v2, v144, v1 /*v257*/ neg_lo:[1,1,0]
	s_set_vgpr_msb 0x44                     ;  msbs: dst=1 src0=0 src1=1 src2=0
	v_pk_fma_f32 v[8:9] /*v[264:265]*/, v[146:147], v[4:5] /*v[260:261]*/, 0 op_sel_hi:[0,1,0]
	s_set_vgpr_msb 4                        ;  msbs: dst=0 src0=0 src1=1 src2=0
	v_pk_add_f32 v[72:73], v[72:73], v[6:7] /*v[262:263]*/
	s_set_vgpr_msb 0x41                     ;  msbs: dst=1 src0=1 src1=0 src2=0
	v_mul_i32_i24_e32 v6 /*v262*/, v17 /*v273*/, v230
	s_set_vgpr_msb 0x50                     ;  msbs: dst=1 src0=0 src1=0 src2=1
	v_dot4_i32_iu8 v1 /*v257*/, v3, v145, v1 /*v257*/ neg_lo:[1,1,0]
	v_pk_fma_f32 v[8:9] /*v[264:265]*/, v[148:149], v[20:21], v[8:9] /*v[264:265]*/ op_sel_hi:[0,1,1]
	s_set_vgpr_msb 0x51                     ;  msbs: dst=1 src0=1 src1=0 src2=1
	v_dot4_i32_iu8 v6 /*v262*/, v19 /*v275*/, v231, v6 /*v262*/ neg_lo:[1,1,0]
	s_set_vgpr_msb 0x50                     ;  msbs: dst=1 src0=0 src1=0 src2=1
	v_dot4_i32_iu8 v1 /*v257*/, v4, v140, v1 /*v257*/ neg_lo:[1,1,0]
	s_set_vgpr_msb 0x51                     ;  msbs: dst=1 src0=1 src1=0 src2=1
	v_pk_mul_f32 v[8:9] /*v[264:265]*/, v[8:9] /*v[264:265]*/, v[114:115]
	v_dot4_i32_iu8 v6 /*v262*/, v20 /*v276*/, v233, v6 /*v262*/ neg_lo:[1,1,0]
	s_set_vgpr_msb 0x50                     ;  msbs: dst=1 src0=0 src1=0 src2=1
	v_dot4_i32_iu8 v1 /*v257*/, v141, v5, v1 /*v257*/ neg_lo:[1,1,0]
	s_set_vgpr_msb 0x51                     ;  msbs: dst=1 src0=1 src1=0 src2=1
	s_delay_alu instid0(VALU_DEP_2) | instskip(SKIP_1) | instid1(VALU_DEP_2)
	v_dot4_i32_iu8 v6 /*v262*/, v21 /*v277*/, v234, v6 /*v262*/ neg_lo:[1,1,0]
	s_set_vgpr_msb 0x50                     ;  msbs: dst=1 src0=0 src1=0 src2=1
	v_dot4_i32_iu8 v1 /*v257*/, v138, v6, v1 /*v257*/ neg_lo:[1,1,0]
	s_set_vgpr_msb 0x51                     ;  msbs: dst=1 src0=1 src1=0 src2=1
	s_delay_alu instid0(VALU_DEP_2) | instskip(SKIP_1) | instid1(VALU_DEP_2)
	v_dot4_i32_iu8 v6 /*v262*/, v22 /*v278*/, v235, v6 /*v262*/ neg_lo:[1,1,0]
	s_set_vgpr_msb 0x50                     ;  msbs: dst=1 src0=0 src1=0 src2=1
	v_dot4_i32_iu8 v1 /*v257*/, v139, v7, v1 /*v257*/ neg_lo:[1,1,0]
	s_set_vgpr_msb 0x51                     ;  msbs: dst=1 src0=1 src1=0 src2=1
	s_delay_alu instid0(VALU_DEP_2) | instskip(NEXT) | instid1(VALU_DEP_2)
	v_dot4_i32_iu8 v6 /*v262*/, v23 /*v279*/, v237, v6 /*v262*/ neg_lo:[1,1,0]
	v_mul_lo_u32 v1 /*v257*/, v1 /*v257*/, v229
	s_set_vgpr_msb 0x54                     ;  msbs: dst=1 src0=0 src1=1 src2=1
	s_delay_alu instid0(VALU_DEP_2) | instskip(SKIP_1) | instid1(VALU_DEP_1)
	v_mad_i32_i24 v6 /*v262*/, v232, v18 /*v274*/, v6 /*v262*/
	s_set_vgpr_msb 0x50                     ;  msbs: dst=1 src0=0 src1=0 src2=1
	v_dot4_i32_iu8 v6 /*v262*/, v251, v17, v6 /*v262*/ neg_lo:[1,1,0]
	s_set_vgpr_msb 0x41                     ;  msbs: dst=1 src0=1 src1=0 src2=0
	s_delay_alu instid0(VALU_DEP_3) | instskip(SKIP_1) | instid1(VALU_DEP_2)
	v_cvt_f32_i32_e32 v7 /*v263*/, v1 /*v257*/
	s_set_vgpr_msb 0x50                     ;  msbs: dst=1 src0=0 src1=0 src2=1
	v_dot4_i32_iu8 v10 /*v266*/, v253, v18, v6 /*v262*/ neg_lo:[1,1,0]
	s_set_vgpr_msb 0x41                     ;  msbs: dst=1 src0=1 src1=0 src2=0
	v_mul_lo_u32 v6 /*v262*/, v12 /*v268*/, v229
	s_set_vgpr_msb 0x50                     ;  msbs: dst=1 src0=0 src1=0 src2=1
	s_delay_alu instid0(VALU_DEP_2) | instskip(SKIP_2) | instid1(VALU_DEP_2)
	v_dot4_i32_iu8 v1 /*v257*/, v19, v252, v10 /*v266*/ neg_lo:[1,1,0]
	v_dot4_i32_iu8 v10 /*v266*/, v15, v252, v13 /*v269*/ neg_lo:[1,1,0]
	s_set_vgpr_msb 0x41                     ;  msbs: dst=1 src0=1 src1=0 src2=0
	v_mul_lo_u32 v1 /*v257*/, v1 /*v257*/, v236
	s_delay_alu instid0(VALU_DEP_2) | instskip(SKIP_2) | instid1(VALU_DEP_1)
	v_mul_lo_u32 v10 /*v266*/, v10 /*v266*/, v236
	v_cvt_f32_i32_e32 v6 /*v262*/, v6 /*v262*/
	s_set_vgpr_msb 0x45                     ;  msbs: dst=1 src0=1 src1=1 src2=0
	v_pk_fma_f32 v[6:7] /*v[262:263]*/, v[2:3] /*v[258:259]*/, v[6:7] /*v[262:263]*/, 0 op_sel_hi:[1,1,0]
	s_delay_alu instid0(VALU_DEP_4) | instskip(NEXT) | instid1(VALU_DEP_4)
	v_cvt_f32_i32_e32 v11 /*v267*/, v1 /*v257*/
	v_cvt_f32_i32_e32 v10 /*v266*/, v10 /*v266*/
	s_set_vgpr_msb 64                       ;  msbs: dst=1 src0=0 src1=0 src2=0
	v_dot4_i32_iu8 v1 /*v257*/, v0, v154, 0 neg_lo:[1,1,0]
	s_set_vgpr_msb 0                        ;  msbs: dst=0 src0=0 src1=0 src2=0
	v_dot4_i32_iu8 v0, v0, v168, 0 neg_lo:[1,1,0]
	s_set_vgpr_msb 0x54                     ;  msbs: dst=1 src0=0 src1=1 src2=1
	v_pk_fma_f32 v[6:7] /*v[262:263]*/, v[12:13], v[10:11] /*v[266:267]*/, v[6:7] /*v[262:263]*/
	s_set_vgpr_msb 0x50                     ;  msbs: dst=1 src0=0 src1=0 src2=1
	v_dot4_i32_iu8 v1 /*v257*/, v1, v155, v1 /*v257*/ neg_lo:[1,1,0]
	s_set_vgpr_msb 0                        ;  msbs: dst=0 src0=0 src1=0 src2=0
	v_dot4_i32_iu8 v0, v1, v169, v0 neg_lo:[1,1,0]
	v_dot4_i32_iu8 v1, v170, v8, 0 neg_lo:[1,1,0]
	s_set_vgpr_msb 0x51                     ;  msbs: dst=1 src0=1 src1=0 src2=1
	v_pk_fma_f32 v[6:7] /*v[262:263]*/, v[6:7] /*v[262:263]*/, v[24:25], v[8:9] /*v[264:265]*/ neg_lo:[0,0,1] neg_hi:[0,0,1]
	s_set_vgpr_msb 0x50                     ;  msbs: dst=1 src0=0 src1=0 src2=1
	v_dot4_i32_iu8 v1 /*v257*/, v2, v156, v1 /*v257*/ neg_lo:[1,1,0]
	s_set_vgpr_msb 0                        ;  msbs: dst=0 src0=0 src1=0 src2=0
	v_dot4_i32_iu8 v0, v2, v166, v0 neg_lo:[1,1,0]
	v_dot4_i32_iu8 v1, v171, v9, v1 neg_lo:[1,1,0]
	s_set_vgpr_msb 1                        ;  msbs: dst=0 src0=1 src1=0 src2=0
	v_mul_lo_u32 v2, v16 /*v272*/, v247
	s_set_vgpr_msb 4                        ;  msbs: dst=0 src0=0 src1=1 src2=0
	v_pk_add_f32 v[78:79], v[78:79], v[6:7] /*v[262:263]*/
	s_set_vgpr_msb 0x41                     ;  msbs: dst=1 src0=1 src1=0 src2=0
	v_mul_i32_i24_e32 v6 /*v262*/, v17 /*v273*/, v239
	s_set_vgpr_msb 0                        ;  msbs: dst=0 src0=0 src1=0 src2=0
	v_dot4_i32_iu8 v0, v3, v167, v0 neg_lo:[1,1,0]
	v_dot4_i32_iu8 v1, v172, v10, v1 neg_lo:[1,1,0]
	s_set_vgpr_msb 0x50                     ;  msbs: dst=1 src0=0 src1=0 src2=1
	v_dot4_i32_iu8 v1 /*v257*/, v3, v157, v1 /*v257*/ neg_lo:[1,1,0]
	s_set_vgpr_msb 0x44                     ;  msbs: dst=1 src0=0 src1=1 src2=0
	v_pk_fma_f32 v[8:9] /*v[264:265]*/, v[158:159], v[4:5] /*v[260:261]*/, 0 op_sel_hi:[0,1,0]
	s_set_vgpr_msb 0x51                     ;  msbs: dst=1 src0=1 src1=0 src2=1
	v_dot4_i32_iu8 v6 /*v262*/, v19 /*v275*/, v240, v6 /*v262*/ neg_lo:[1,1,0]
	s_set_vgpr_msb 0                        ;  msbs: dst=0 src0=0 src1=0 src2=0
	v_dot4_i32_iu8 v0, v4, v164, v0 neg_lo:[1,1,0]
	v_dot4_i32_iu8 v1, v173, v11, v1 neg_lo:[1,1,0]
	s_set_vgpr_msb 0x50                     ;  msbs: dst=1 src0=0 src1=0 src2=1
	v_dot4_i32_iu8 v1 /*v257*/, v4, v152, v1 /*v257*/ neg_lo:[1,1,0]
	v_pk_fma_f32 v[8:9] /*v[264:265]*/, v[160:161], v[20:21], v[8:9] /*v[264:265]*/ op_sel_hi:[0,1,1]
	s_set_vgpr_msb 0x51                     ;  msbs: dst=1 src0=1 src1=0 src2=1
	v_dot4_i32_iu8 v6 /*v262*/, v20 /*v276*/, v242, v6 /*v262*/ neg_lo:[1,1,0]
	s_set_vgpr_msb 0                        ;  msbs: dst=0 src0=0 src1=0 src2=0
	v_dot4_i32_iu8 v0, v165, v5, v0 neg_lo:[1,1,0]
	v_dot4_i32_iu8 v1, v174, v16, v1 neg_lo:[1,1,0]
	s_set_vgpr_msb 0x50                     ;  msbs: dst=1 src0=0 src1=0 src2=1
	v_dot4_i32_iu8 v1 /*v257*/, v153, v5, v1 /*v257*/ neg_lo:[1,1,0]
	s_set_vgpr_msb 0                        ;  msbs: dst=0 src0=0 src1=0 src2=0
	v_dot4_i32_iu8 v5, v15, v135, v14 neg_lo:[1,1,0]
	s_set_vgpr_msb 0x51                     ;  msbs: dst=1 src0=1 src1=0 src2=1
	v_dot4_i32_iu8 v6 /*v262*/, v21 /*v277*/, v243, v6 /*v262*/ neg_lo:[1,1,0]
	s_set_vgpr_msb 0                        ;  msbs: dst=0 src0=0 src1=0 src2=0
	v_dot4_i32_iu8 v0, v162, v6, v0 neg_lo:[1,1,0]
	v_dot4_i32_iu8 v1, v175, v17, v1 neg_lo:[1,1,0]
	s_set_vgpr_msb 0x50                     ;  msbs: dst=1 src0=0 src1=0 src2=1
	v_dot4_i32_iu8 v1 /*v257*/, v150, v6, v1 /*v257*/ neg_lo:[1,1,0]
	s_set_vgpr_msb 0                        ;  msbs: dst=0 src0=0 src1=0 src2=0
	v_mul_lo_u32 v6, v5, v228
	s_set_vgpr_msb 0x51                     ;  msbs: dst=1 src0=1 src1=0 src2=1
	v_dot4_i32_iu8 v6 /*v262*/, v22 /*v278*/, v244, v6 /*v262*/ neg_lo:[1,1,0]
	s_set_vgpr_msb 0                        ;  msbs: dst=0 src0=0 src1=0 src2=0
	v_dot4_i32_iu8 v0, v163, v7, v0 neg_lo:[1,1,0]
	v_dot4_i32_iu8 v4, v134, v18, v1 neg_lo:[1,1,0]
	s_set_vgpr_msb 0x50                     ;  msbs: dst=1 src0=0 src1=0 src2=1
	v_dot4_i32_iu8 v1 /*v257*/, v151, v7, v1 /*v257*/ neg_lo:[1,1,0]
	s_set_vgpr_msb 0x51                     ;  msbs: dst=1 src0=1 src1=0 src2=1
	v_pk_mul_f32 v[8:9] /*v[264:265]*/, v[8:9] /*v[264:265]*/, v[116:117]
	v_dot4_i32_iu8 v6 /*v262*/, v23 /*v279*/, v246, v6 /*v262*/ neg_lo:[1,1,0]
	s_set_vgpr_msb 0                        ;  msbs: dst=0 src0=0 src1=0 src2=0
	v_mul_lo_u32 v0, v0, v247
	v_dot4_i32_iu8 v4, v19, v135, v4 neg_lo:[1,1,0]
	s_set_vgpr_msb 0x41                     ;  msbs: dst=1 src0=1 src1=0 src2=0
	v_mul_lo_u32 v1 /*v257*/, v1 /*v257*/, v238
	s_set_vgpr_msb 0x54                     ;  msbs: dst=1 src0=0 src1=1 src2=1
	v_mad_i32_i24 v6 /*v262*/, v241, v18 /*v274*/, v6 /*v262*/
	s_set_vgpr_msb 0                        ;  msbs: dst=0 src0=0 src1=0 src2=0
	v_mul_lo_u32 v4, v4, v228
	s_set_vgpr_msb 0x50                     ;  msbs: dst=1 src0=0 src1=0 src2=1
	s_delay_alu instid0(VALU_DEP_2)
	v_dot4_i32_iu8 v6 /*v262*/, v248, v17, v6 /*v262*/ neg_lo:[1,1,0]
	s_set_vgpr_msb 4                        ;  msbs: dst=0 src0=0 src1=1 src2=0
	v_cvt_f32_i32_e32 v1, v0
	v_cvt_f32_i32_e32 v0, v2
	v_pk_fma_f32 v[2:3], v[136:137], v[4:5] /*v[260:261]*/, 0 op_sel_hi:[0,1,0]
	s_set_vgpr_msb 0x50                     ;  msbs: dst=1 src0=0 src1=0 src2=1
	v_dot4_i32_iu8 v10 /*v266*/, v250, v18, v6 /*v262*/ neg_lo:[1,1,0]
	s_set_vgpr_msb 0x41                     ;  msbs: dst=1 src0=1 src1=0 src2=0
	v_mul_lo_u32 v6 /*v262*/, v14 /*v270*/, v238
	v_cvt_f32_i32_e32 v7 /*v263*/, v1 /*v257*/
	s_set_vgpr_msb 1                        ;  msbs: dst=0 src0=1 src1=0 src2=0
	v_pk_fma_f32 v[0:1], v[2:3] /*v[258:259]*/, v[0:1], 0 op_sel_hi:[1,1,0]
	s_set_vgpr_msb 0                        ;  msbs: dst=0 src0=0 src1=0 src2=0
	v_cvt_f32_i32_e32 v5, v4
	v_cvt_f32_i32_e32 v4, v6
	v_pk_fma_f32 v[2:3], v[120:121], v[20:21], v[2:3] op_sel_hi:[0,1,1]
	s_set_vgpr_msb 0x50                     ;  msbs: dst=1 src0=0 src1=0 src2=1
	v_dot4_i32_iu8 v1 /*v257*/, v19, v249, v10 /*v266*/ neg_lo:[1,1,0]
	v_dot4_i32_iu8 v10 /*v266*/, v15, v249, v15 /*v271*/ neg_lo:[1,1,0]
	s_set_vgpr_msb 0                        ;  msbs: dst=0 src0=0 src1=0 src2=0
	v_pk_fma_f32 v[0:1], v[12:13], v[4:5], v[0:1]
	v_pk_mul_f32 v[2:3], v[2:3], v[118:119]
	s_set_vgpr_msb 0x41                     ;  msbs: dst=1 src0=1 src1=0 src2=0
	v_mul_lo_u32 v1 /*v257*/, v1 /*v257*/, v245
	v_mul_lo_u32 v10 /*v266*/, v10 /*v266*/, v245
	v_cvt_f32_i32_e32 v6 /*v262*/, v6 /*v262*/
	s_set_vgpr_msb 0                        ;  msbs: dst=0 src0=0 src1=0 src2=0
	v_pk_fma_f32 v[0:1], v[0:1], v[110:111], v[2:3] neg_lo:[0,0,1] neg_hi:[0,0,1]
	s_set_vgpr_msb 0x45                     ;  msbs: dst=1 src0=1 src1=1 src2=0
	s_delay_alu instid0(VALU_DEP_2) | instskip(SKIP_1) | instid1(VALU_DEP_2)
	v_pk_fma_f32 v[6:7] /*v[262:263]*/, v[2:3] /*v[258:259]*/, v[6:7] /*v[262:263]*/, 0 op_sel_hi:[1,1,0]
	s_set_vgpr_msb 0                        ;  msbs: dst=0 src0=0 src1=0 src2=0
	v_pk_add_f32 v[98:99], v[98:99], v[0:1]
	v_or_b32_e32 v0, s13, v183
	s_set_vgpr_msb 0x41                     ;  msbs: dst=1 src0=1 src1=0 src2=0
	v_cvt_f32_i32_e32 v11 /*v267*/, v1 /*v257*/
	v_cvt_f32_i32_e32 v10 /*v266*/, v10 /*v266*/
	s_set_vgpr_msb 0                        ;  msbs: dst=0 src0=0 src1=0 src2=0
	v_dual_lshlrev_b32 v1, 2, v0 :: v_dual_lshrrev_b32 v16, 1, v0
	s_set_vgpr_msb 0x54                     ;  msbs: dst=1 src0=0 src1=1 src2=1
	s_delay_alu instid0(VALU_DEP_2)
	v_pk_fma_f32 v[6:7] /*v[262:263]*/, v[12:13], v[10:11] /*v[266:267]*/, v[6:7] /*v[262:263]*/
	s_set_vgpr_msb 0                        ;  msbs: dst=0 src0=0 src1=0 src2=0
	ds_load_b128 v[4:7], v1 offset:33280
	ds_load_b128 v[8:11], v1 offset:33296
	;; [unrolled: 1-line block ×4, first 2 shown]
	ds_load_b64 v[20:21], v16 offset:43584
	s_set_vgpr_msb 0x51                     ;  msbs: dst=1 src0=1 src1=0 src2=1
	v_pk_fma_f32 v[6:7] /*v[262:263]*/, v[6:7] /*v[262:263]*/, v[26:27], v[8:9] /*v[264:265]*/ neg_lo:[0,0,1] neg_hi:[0,0,1]
	s_set_vgpr_msb 4                        ;  msbs: dst=0 src0=0 src1=1 src2=0
	s_delay_alu instid0(VALU_DEP_1)
	v_pk_add_f32 v[90:91], v[90:91], v[6:7] /*v[262:263]*/
	s_wait_dscnt 0x4
	s_set_vgpr_msb 0                        ;  msbs: dst=0 src0=0 src1=0 src2=0
	v_dot4_i32_iu8 v18, v4, v128, 0 neg_lo:[1,1,0]
	s_wait_dscnt 0x2
	v_bfe_i32 v16, v12, 0, 8
	v_perm_b32 v19, v12, v12, 0xc0c0201
	s_set_vgpr_msb 64                       ;  msbs: dst=1 src0=0 src1=0 src2=0
	v_perm_b32 v1 /*v257*/, v13, v12, 0x6050403
	s_set_vgpr_msb 0                        ;  msbs: dst=0 src0=0 src1=0 src2=0
	v_dot4_i32_iu8 v18, v5, v129, v18 neg_lo:[1,1,0]
	s_set_vgpr_msb 64                       ;  msbs: dst=1 src0=0 src1=0 src2=0
	v_perm_b32 v3 /*v259*/, v14, v13, 0x6050403
	v_perm_b32 v7 /*v263*/, v15, v14, 0x6050403
	s_wait_dscnt 0x1
	v_perm_b32 v8 /*v264*/, v0, v15, 0x6050403
	s_set_vgpr_msb 0                        ;  msbs: dst=0 src0=0 src1=0 src2=0
	v_ashrrev_i32_e32 v17, 24, v0
	v_dot4_i32_iu8 v18, v6, v130, v18 neg_lo:[1,1,0]
	s_wait_dscnt 0x0
	s_set_vgpr_msb 64                       ;  msbs: dst=1 src0=0 src1=0 src2=0
	v_lshrrev_b32_e32 v5 /*v261*/, 16, v21
	s_set_vgpr_msb 0                        ;  msbs: dst=0 src0=0 src1=0 src2=0
	v_dot4_i32_iu8 v18, v7, v131, v18 neg_lo:[1,1,0]
	s_delay_alu instid0(VALU_DEP_1) | instskip(NEXT) | instid1(VALU_DEP_1)
	v_dot4_i32_iu8 v18, v8, v126, v18 neg_lo:[1,1,0]
	v_dot4_i32_iu8 v18, v127, v9, v18 neg_lo:[1,1,0]
	s_delay_alu instid0(VALU_DEP_1) | instskip(SKIP_1) | instid1(VALU_DEP_1)
	v_dot4_i32_iu8 v18, v124, v10, v18 neg_lo:[1,1,0]
	s_set_vgpr_msb 64                       ;  msbs: dst=1 src0=0 src1=0 src2=0
	v_dot4_i32_iu8 v6 /*v262*/, v125, v11, v18 neg_lo:[1,1,0]
	s_set_vgpr_msb 0                        ;  msbs: dst=0 src0=0 src1=0 src2=0
	v_mul_i32_i24_e32 v18, v16, v221
	s_delay_alu instid0(VALU_DEP_1) | instskip(SKIP_1) | instid1(VALU_DEP_1)
	v_dot4_i32_iu8 v18, v19, v222, v18 neg_lo:[1,1,0]
	s_set_vgpr_msb 1                        ;  msbs: dst=0 src0=1 src1=0 src2=0
	v_dot4_i32_iu8 v18, v1 /*v257*/, v224, v18 neg_lo:[1,1,0]
	s_delay_alu instid0(VALU_DEP_1) | instskip(NEXT) | instid1(VALU_DEP_1)
	v_dot4_i32_iu8 v18, v3 /*v259*/, v225, v18 neg_lo:[1,1,0]
	v_dot4_i32_iu8 v18, v7 /*v263*/, v226, v18 neg_lo:[1,1,0]
	s_delay_alu instid0(VALU_DEP_1) | instskip(SKIP_1) | instid1(VALU_DEP_1)
	v_dot4_i32_iu8 v18, v8 /*v264*/, v227, v18 neg_lo:[1,1,0]
	s_set_vgpr_msb 0                        ;  msbs: dst=0 src0=0 src1=0 src2=0
	v_mad_i32_i24 v18, v147, v17, v18
	s_delay_alu instid0(VALU_DEP_1) | instskip(SKIP_1) | instid1(VALU_DEP_1)
	v_dot4_i32_iu8 v18, v255, v1, v18 neg_lo:[1,1,0]
	s_set_vgpr_msb 0x41                     ;  msbs: dst=1 src0=1 src1=0 src2=0
	v_dot4_i32_iu8 v9 /*v265*/, v0 /*v256*/, v2, v18 neg_lo:[1,1,0]
	s_set_vgpr_msb 0                        ;  msbs: dst=0 src0=0 src1=0 src2=0
	v_dot4_i32_iu8 v18, v4, v142, 0 neg_lo:[1,1,0]
	s_delay_alu instid0(VALU_DEP_1) | instskip(NEXT) | instid1(VALU_DEP_1)
	v_dot4_i32_iu8 v18, v5, v143, v18 neg_lo:[1,1,0]
	v_dot4_i32_iu8 v18, v6, v144, v18 neg_lo:[1,1,0]
	s_delay_alu instid0(VALU_DEP_1) | instskip(NEXT) | instid1(VALU_DEP_1)
	v_dot4_i32_iu8 v18, v7, v145, v18 neg_lo:[1,1,0]
	;; [unrolled: 3-line block ×3, first 2 shown]
	v_dot4_i32_iu8 v18, v138, v10, v18 neg_lo:[1,1,0]
	s_set_vgpr_msb 64                       ;  msbs: dst=1 src0=0 src1=0 src2=0
	s_delay_alu instid0(VALU_DEP_1) | instskip(SKIP_3) | instid1(VALU_DEP_2)
	v_dot4_i32_iu8 v10 /*v266*/, v139, v11, v18 neg_lo:[1,1,0]
	s_set_vgpr_msb 0                        ;  msbs: dst=0 src0=0 src1=0 src2=0
	v_mul_i32_i24_e32 v18, v16, v230
	v_mul_i32_i24_e32 v16, v16, v239
	v_dot4_i32_iu8 v18, v19, v231, v18 neg_lo:[1,1,0]
	s_delay_alu instid0(VALU_DEP_2) | instskip(SKIP_1) | instid1(VALU_DEP_2)
	v_dot4_i32_iu8 v16, v19, v240, v16 neg_lo:[1,1,0]
	s_set_vgpr_msb 1                        ;  msbs: dst=0 src0=1 src1=0 src2=0
	v_dot4_i32_iu8 v18, v1 /*v257*/, v233, v18 neg_lo:[1,1,0]
	s_delay_alu instid0(VALU_DEP_2) | instskip(NEXT) | instid1(VALU_DEP_2)
	v_dot4_i32_iu8 v16, v1 /*v257*/, v242, v16 neg_lo:[1,1,0]
	v_dot4_i32_iu8 v18, v3 /*v259*/, v234, v18 neg_lo:[1,1,0]
	s_delay_alu instid0(VALU_DEP_2) | instskip(NEXT) | instid1(VALU_DEP_2)
	v_dot4_i32_iu8 v16, v3 /*v259*/, v243, v16 neg_lo:[1,1,0]
	;; [unrolled: 3-line block ×3, first 2 shown]
	v_dot4_i32_iu8 v18, v8 /*v264*/, v237, v18 neg_lo:[1,1,0]
	s_delay_alu instid0(VALU_DEP_2) | instskip(SKIP_1) | instid1(VALU_DEP_2)
	v_dot4_i32_iu8 v16, v8 /*v264*/, v246, v16 neg_lo:[1,1,0]
	s_set_vgpr_msb 0                        ;  msbs: dst=0 src0=0 src1=0 src2=0
	v_mad_i32_i24 v18, v232, v17, v18
	s_delay_alu instid0(VALU_DEP_2) | instskip(NEXT) | instid1(VALU_DEP_2)
	v_mad_i32_i24 v16, v241, v17, v16
	v_dot4_i32_iu8 v18, v251, v1, v18 neg_lo:[1,1,0]
	s_delay_alu instid0(VALU_DEP_2) | instskip(SKIP_1) | instid1(VALU_DEP_2)
	v_dot4_i32_iu8 v16, v248, v1, v16 neg_lo:[1,1,0]
	s_set_vgpr_msb 64                       ;  msbs: dst=1 src0=0 src1=0 src2=0
	v_dot4_i32_iu8 v11 /*v267*/, v253, v2, v18 neg_lo:[1,1,0]
	s_set_vgpr_msb 0                        ;  msbs: dst=0 src0=0 src1=0 src2=0
	v_dot4_i32_iu8 v18, v4, v154, 0 neg_lo:[1,1,0]
	v_dot4_i32_iu8 v4, v4, v168, 0 neg_lo:[1,1,0]
	s_set_vgpr_msb 64                       ;  msbs: dst=1 src0=0 src1=0 src2=0
	v_dot4_i32_iu8 v3 /*v259*/, v250, v2, v16 neg_lo:[1,1,0]
	s_set_vgpr_msb 0                        ;  msbs: dst=0 src0=0 src1=0 src2=0
	v_dot4_i32_iu8 v18, v5, v155, v18 neg_lo:[1,1,0]
	v_dot4_i32_iu8 v4, v5, v169, v4 neg_lo:[1,1,0]
	s_delay_alu instid0(VALU_DEP_2) | instskip(NEXT) | instid1(VALU_DEP_2)
	v_dot4_i32_iu8 v18, v6, v156, v18 neg_lo:[1,1,0]
	v_dot4_i32_iu8 v4, v6, v166, v4 neg_lo:[1,1,0]
	s_delay_alu instid0(VALU_DEP_2) | instskip(NEXT) | instid1(VALU_DEP_2)
	;; [unrolled: 3-line block ×5, first 2 shown]
	v_dot4_i32_iu8 v18, v150, v10, v18 neg_lo:[1,1,0]
	v_dot4_i32_iu8 v4, v162, v10, v4 neg_lo:[1,1,0]
	s_set_vgpr_msb 64                       ;  msbs: dst=1 src0=0 src1=0 src2=0
	s_delay_alu instid0(VALU_DEP_2) | instskip(NEXT) | instid1(VALU_DEP_2)
	v_dot4_i32_iu8 v2 /*v258*/, v151, v11, v18 neg_lo:[1,1,0]
	v_dot4_i32_iu8 v1 /*v257*/, v163, v11, v4 neg_lo:[1,1,0]
	s_set_vgpr_msb 0                        ;  msbs: dst=0 src0=0 src1=0 src2=0
	v_dot4_i32_iu8 v4, v170, v12, 0 neg_lo:[1,1,0]
	s_delay_alu instid0(VALU_DEP_1) | instskip(NEXT) | instid1(VALU_DEP_1)
	v_dot4_i32_iu8 v4, v171, v13, v4 neg_lo:[1,1,0]
	v_dot4_i32_iu8 v4, v172, v14, v4 neg_lo:[1,1,0]
	s_delay_alu instid0(VALU_DEP_1) | instskip(NEXT) | instid1(VALU_DEP_1)
	v_dot4_i32_iu8 v4, v173, v15, v4 neg_lo:[1,1,0]
	;; [unrolled: 3-line block ×3, first 2 shown]
	v_dot4_i32_iu8 v2, v134, v2, v0 neg_lo:[1,1,0]
	v_or_b32_e32 v0, s13, v184
	s_delay_alu instid0(VALU_DEP_2) | instskip(NEXT) | instid1(VALU_DEP_2)
	v_dot4_i32_iu8 v2, v3, v135, v2 neg_lo:[1,1,0]
	v_dual_lshlrev_b32 v1, 2, v0 :: v_dual_lshrrev_b32 v0, 1, v0
	ds_load_b128 v[16:19], v1 offset:33280
	ds_load_b128 v[12:15], v1 offset:33296
	;; [unrolled: 1-line block ×4, first 2 shown]
	ds_load_b64 v[0:1], v0 offset:43584
	s_set_vgpr_msb 64                       ;  msbs: dst=1 src0=0 src1=0 src2=0
	v_lshrrev_b32_e32 v4 /*v260*/, 16, v20
	s_set_vgpr_msb 0                        ;  msbs: dst=0 src0=0 src1=0 src2=0
	v_mul_lo_u32 v2, v2, v228
	s_delay_alu instid0(VALU_DEP_1)
	v_cvt_f32_i32_e32 v2, v2
	s_wait_dscnt 0x4
	v_dot4_i32_iu8 v128, v16, v128, 0 neg_lo:[1,1,0]
	s_wait_dscnt 0x2
	s_set_vgpr_msb 64                       ;  msbs: dst=1 src0=0 src1=0 src2=0
	v_bfe_i32 v8 /*v264*/, v8, 0, 8
	s_wait_dscnt 0x1
	v_ashrrev_i32_e32 v12 /*v268*/, 24, v4
	s_wait_dscnt 0x0
	v_lshrrev_b32_e32 v7 /*v263*/, 16, v0
	s_set_vgpr_msb 0                        ;  msbs: dst=0 src0=0 src1=0 src2=0
	v_dot4_i32_iu8 v128, v17, v129, v128 neg_lo:[1,1,0]
	s_set_vgpr_msb 64                       ;  msbs: dst=1 src0=0 src1=0 src2=0
	v_lshrrev_b32_e32 v13 /*v269*/, 16, v1
	s_set_vgpr_msb 0                        ;  msbs: dst=0 src0=0 src1=0 src2=0
	v_cvt_f32_f16_e64 v129, v0
	s_set_vgpr_msb 1                        ;  msbs: dst=0 src0=1 src1=0 src2=0
	v_cvt_f32_f16_e64 v0, v5 /*v261*/
	s_set_vgpr_msb 0                        ;  msbs: dst=0 src0=0 src1=0 src2=0
	v_dot4_i32_iu8 v128, v18, v130, v128 neg_lo:[1,1,0]
	s_delay_alu instid0(VALU_DEP_1) | instskip(NEXT) | instid1(VALU_DEP_1)
	v_dot4_i32_iu8 v128, v19, v131, v128 neg_lo:[1,1,0]
	v_dot4_i32_iu8 v126, v12, v126, v128 neg_lo:[1,1,0]
	v_cvt_f32_f16_e64 v128, v20
	s_set_vgpr_msb 1                        ;  msbs: dst=0 src0=1 src1=0 src2=0
	v_mul_lo_u32 v20, v6 /*v262*/, v123
	s_set_vgpr_msb 0                        ;  msbs: dst=0 src0=0 src1=0 src2=0
	v_dot4_i32_iu8 v126, v127, v13, v126 neg_lo:[1,1,0]
	s_set_vgpr_msb 1                        ;  msbs: dst=0 src0=1 src1=0 src2=0
	v_cvt_f32_f16_e64 v127, v7 /*v263*/
	s_set_vgpr_msb 0                        ;  msbs: dst=0 src0=0 src1=0 src2=0
	s_delay_alu instid0(VALU_DEP_2)
	v_dot4_i32_iu8 v124, v124, v14, v126 neg_lo:[1,1,0]
	s_set_vgpr_msb 1                        ;  msbs: dst=0 src0=1 src1=0 src2=0
	v_cvt_f32_f16_e64 v126, v4 /*v260*/
	s_set_vgpr_msb 0                        ;  msbs: dst=0 src0=0 src1=0 src2=0
	v_cvt_f32_i32_e32 v20, v20
	v_dot4_i32_iu8 v130, v125, v15, v124 neg_lo:[1,1,0]
	s_set_vgpr_msb 1                        ;  msbs: dst=0 src0=1 src1=0 src2=0
	v_mul_i32_i24_e32 v124, v8 /*v264*/, v221
	s_set_vgpr_msb 0                        ;  msbs: dst=0 src0=0 src1=0 src2=0
	v_perm_b32 v221, v8, v8, 0xc0c0201
	v_cvt_f32_f16_e32 v125, v1
	s_set_vgpr_msb 1                        ;  msbs: dst=0 src0=1 src1=0 src2=0
	v_cvt_f32_f16_e64 v1, v13 /*v269*/
	s_set_vgpr_msb 0                        ;  msbs: dst=0 src0=0 src1=0 src2=0
	v_dot4_i32_iu8 v124, v221, v222, v124 neg_lo:[1,1,0]
	v_perm_b32 v222, v9, v8, 0x6050403
	v_dot4_i32_iu8 v8, v170, v8, 0 neg_lo:[1,1,0]
	s_delay_alu instid0(VALU_DEP_2) | instskip(SKIP_1) | instid1(VALU_DEP_3)
	v_dot4_i32_iu8 v124, v222, v224, v124 neg_lo:[1,1,0]
	v_perm_b32 v224, v10, v9, 0x6050403
	v_dot4_i32_iu8 v8, v171, v9, v8 neg_lo:[1,1,0]
	s_delay_alu instid0(VALU_DEP_2) | instskip(SKIP_1) | instid1(VALU_DEP_3)
	;; [unrolled: 4-line block ×3, first 2 shown]
	v_dot4_i32_iu8 v124, v225, v226, v124 neg_lo:[1,1,0]
	v_perm_b32 v226, v4, v11, 0x6050403
	v_dot4_i32_iu8 v8, v173, v11, v8 neg_lo:[1,1,0]
	s_delay_alu instid0(VALU_DEP_2) | instskip(NEXT) | instid1(VALU_DEP_2)
	v_dot4_i32_iu8 v124, v226, v227, v124 neg_lo:[1,1,0]
	v_dot4_i32_iu8 v4, v174, v4, v8 neg_lo:[1,1,0]
	v_pk_fma_f32 v[8:9], v[136:137], v[126:127], 0 op_sel_hi:[0,1,0]
	s_set_vgpr_msb 4                        ;  msbs: dst=0 src0=0 src1=1 src2=0
	s_delay_alu instid0(VALU_DEP_3) | instskip(SKIP_2) | instid1(VALU_DEP_2)
	v_mad_i32_i24 v124, v147, v12 /*v268*/, v124
	s_set_vgpr_msb 0                        ;  msbs: dst=0 src0=0 src1=0 src2=0
	v_dot4_i32_iu8 v4, v175, v5, v4 neg_lo:[1,1,0]
	v_dot4_i32_iu8 v124, v255, v5, v124 neg_lo:[1,1,0]
	s_set_vgpr_msb 1                        ;  msbs: dst=0 src0=1 src1=0 src2=0
	s_delay_alu instid0(VALU_DEP_1)
	v_dot4_i32_iu8 v131, v0 /*v256*/, v6, v124 neg_lo:[1,1,0]
	s_set_vgpr_msb 0                        ;  msbs: dst=0 src0=0 src1=0 src2=0
	v_cvt_f32_f16_e32 v124, v21
	v_mul_lo_u32 v21, v130, v123
	v_pk_fma_f32 v[122:123], v[122:123], v[126:127], 0 op_sel_hi:[0,1,0]
	v_dot4_i32_iu8 v130, v7, v254, v131 neg_lo:[1,1,0]
	s_set_vgpr_msb 16                       ;  msbs: dst=0 src0=0 src1=0 src2=1
	v_dot4_i32_iu8 v131, v3, v254, v9 /*v265*/ neg_lo:[1,1,0]
	s_set_vgpr_msb 0                        ;  msbs: dst=0 src0=0 src1=0 src2=0
	v_pk_fma_f32 v[122:123], v[132:133], v[0:1], v[122:123] op_sel_hi:[0,1,1]
	v_mul_lo_u32 v130, v130, v223
	s_delay_alu instid0(VALU_DEP_3) | instskip(SKIP_1) | instid1(VALU_DEP_4)
	v_mul_lo_u32 v147, v131, v223
	v_cvt_f32_i32_e32 v21, v21
	v_pk_mul_f32 v[122:123], v[122:123], v[112:113]
	s_delay_alu instid0(VALU_DEP_2) | instskip(SKIP_2) | instid1(VALU_DEP_1)
	v_pk_fma_f32 v[20:21], v[128:129], v[20:21], 0 op_sel_hi:[1,1,0]
	v_cvt_f32_i32_e32 v131, v130
	v_cvt_f32_i32_e32 v130, v147
	v_pk_fma_f32 v[20:21], v[124:125], v[130:131], v[20:21]
	s_set_vgpr_msb 16                       ;  msbs: dst=0 src0=0 src1=0 src2=1
	v_dot4_i32_iu8 v131, v3, v252, v11 /*v267*/ neg_lo:[1,1,0]
	s_set_vgpr_msb 0                        ;  msbs: dst=0 src0=0 src1=0 src2=0
	s_delay_alu instid0(VALU_DEP_2)
	v_pk_fma_f32 v[20:21], v[20:21], v[22:23], v[122:123] neg_lo:[0,0,1] neg_hi:[0,0,1]
	s_set_vgpr_msb 1                        ;  msbs: dst=0 src0=1 src1=0 src2=0
	v_mul_lo_u32 v122, v10 /*v266*/, v229
	s_set_vgpr_msb 0                        ;  msbs: dst=0 src0=0 src1=0 src2=0
	v_mul_lo_u32 v132, v131, v236
	v_pk_add_f32 v[68:69], v[68:69], v[20:21]
	s_set_vgpr_msb 1                        ;  msbs: dst=0 src0=1 src1=0 src2=0
	v_mul_i32_i24_e32 v21, v8 /*v264*/, v230
	s_set_vgpr_msb 0                        ;  msbs: dst=0 src0=0 src1=0 src2=0
	v_dot4_i32_iu8 v20, v16, v142, 0 neg_lo:[1,1,0]
	s_delay_alu instid0(VALU_DEP_2) | instskip(NEXT) | instid1(VALU_DEP_2)
	v_dot4_i32_iu8 v21, v221, v231, v21 neg_lo:[1,1,0]
	v_dot4_i32_iu8 v20, v17, v143, v20 neg_lo:[1,1,0]
	s_delay_alu instid0(VALU_DEP_2) | instskip(NEXT) | instid1(VALU_DEP_2)
	v_dot4_i32_iu8 v21, v222, v233, v21 neg_lo:[1,1,0]
	;; [unrolled: 3-line block ×5, first 2 shown]
	v_dot4_i32_iu8 v20, v141, v13, v20 neg_lo:[1,1,0]
	s_set_vgpr_msb 4                        ;  msbs: dst=0 src0=0 src1=1 src2=0
	s_delay_alu instid0(VALU_DEP_2) | instskip(SKIP_1) | instid1(VALU_DEP_2)
	v_mad_i32_i24 v21, v232, v12 /*v268*/, v21
	s_set_vgpr_msb 0                        ;  msbs: dst=0 src0=0 src1=0 src2=0
	v_dot4_i32_iu8 v20, v138, v14, v20 neg_lo:[1,1,0]
	s_delay_alu instid0(VALU_DEP_2) | instskip(NEXT) | instid1(VALU_DEP_2)
	v_dot4_i32_iu8 v21, v251, v5, v21 neg_lo:[1,1,0]
	v_dot4_i32_iu8 v20, v139, v15, v20 neg_lo:[1,1,0]
	s_delay_alu instid0(VALU_DEP_2) | instskip(NEXT) | instid1(VALU_DEP_2)
	v_dot4_i32_iu8 v130, v253, v6, v21 neg_lo:[1,1,0]
	v_mul_lo_u32 v20, v20, v229
	s_delay_alu instid0(VALU_DEP_2) | instskip(NEXT) | instid1(VALU_DEP_1)
	v_dot4_i32_iu8 v130, v7, v252, v130 neg_lo:[1,1,0]
	v_mul_lo_u32 v130, v130, v236
	s_delay_alu instid0(VALU_DEP_3) | instskip(SKIP_2) | instid1(VALU_DEP_2)
	v_cvt_f32_i32_e32 v21, v20
	v_cvt_f32_i32_e32 v20, v122
	v_pk_fma_f32 v[122:123], v[146:147], v[126:127], 0 op_sel_hi:[0,1,0]
	v_pk_fma_f32 v[20:21], v[128:129], v[20:21], 0 op_sel_hi:[1,1,0]
	s_delay_alu instid0(VALU_DEP_2) | instskip(SKIP_2) | instid1(VALU_DEP_3)
	v_pk_fma_f32 v[122:123], v[148:149], v[0:1], v[122:123] op_sel_hi:[0,1,1]
	v_cvt_f32_i32_e32 v131, v130
	v_cvt_f32_i32_e32 v130, v132
	v_pk_mul_f32 v[122:123], v[122:123], v[114:115]
	s_delay_alu instid0(VALU_DEP_2) | instskip(SKIP_3) | instid1(VALU_DEP_2)
	v_pk_fma_f32 v[20:21], v[124:125], v[130:131], v[20:21]
	s_set_vgpr_msb 16                       ;  msbs: dst=0 src0=0 src1=0 src2=1
	v_dot4_i32_iu8 v131, v3, v249, v3 /*v259*/ neg_lo:[1,1,0]
	s_set_vgpr_msb 0                        ;  msbs: dst=0 src0=0 src1=0 src2=0
	v_pk_fma_f32 v[20:21], v[20:21], v[24:25], v[122:123] neg_lo:[0,0,1] neg_hi:[0,0,1]
	s_set_vgpr_msb 1                        ;  msbs: dst=0 src0=1 src1=0 src2=0
	v_mul_lo_u32 v122, v2 /*v258*/, v238
	s_set_vgpr_msb 0                        ;  msbs: dst=0 src0=0 src1=0 src2=0
	v_mul_lo_u32 v132, v131, v245
	v_pk_add_f32 v[74:75], v[74:75], v[20:21]
	s_set_vgpr_msb 1                        ;  msbs: dst=0 src0=1 src1=0 src2=0
	v_mul_i32_i24_e32 v21, v8 /*v264*/, v239
	s_set_vgpr_msb 0                        ;  msbs: dst=0 src0=0 src1=0 src2=0
	v_dot4_i32_iu8 v20, v16, v154, 0 neg_lo:[1,1,0]
	v_dot4_i32_iu8 v16, v16, v168, 0 neg_lo:[1,1,0]
	s_delay_alu instid0(VALU_DEP_3) | instskip(NEXT) | instid1(VALU_DEP_3)
	v_dot4_i32_iu8 v21, v221, v240, v21 neg_lo:[1,1,0]
	v_dot4_i32_iu8 v20, v17, v155, v20 neg_lo:[1,1,0]
	s_delay_alu instid0(VALU_DEP_3) | instskip(NEXT) | instid1(VALU_DEP_3)
	;; [unrolled: 3-line block ×7, first 2 shown]
	v_dot4_i32_iu8 v21, v226, v246, v21 neg_lo:[1,1,0]
	v_dot4_i32_iu8 v20, v153, v13, v20 neg_lo:[1,1,0]
	s_delay_alu instid0(VALU_DEP_3) | instskip(SKIP_1) | instid1(VALU_DEP_3)
	v_dot4_i32_iu8 v12, v165, v13, v12 neg_lo:[1,1,0]
	s_set_vgpr_msb 4                        ;  msbs: dst=0 src0=0 src1=1 src2=0
	v_mad_i32_i24 v21, v241, v12 /*v268*/, v21
	s_set_vgpr_msb 0                        ;  msbs: dst=0 src0=0 src1=0 src2=0
	v_dot4_i32_iu8 v20, v150, v14, v20 neg_lo:[1,1,0]
	v_dot4_i32_iu8 v12, v162, v14, v12 neg_lo:[1,1,0]
	s_delay_alu instid0(VALU_DEP_3) | instskip(NEXT) | instid1(VALU_DEP_3)
	v_dot4_i32_iu8 v21, v248, v5, v21 neg_lo:[1,1,0]
	v_dot4_i32_iu8 v20, v151, v15, v20 neg_lo:[1,1,0]
	s_delay_alu instid0(VALU_DEP_3) | instskip(NEXT) | instid1(VALU_DEP_3)
	v_dot4_i32_iu8 v12, v163, v15, v12 neg_lo:[1,1,0]
	v_dot4_i32_iu8 v130, v250, v6, v21 neg_lo:[1,1,0]
	;; [unrolled: 1-line block ×3, first 2 shown]
	s_delay_alu instid0(VALU_DEP_4)
	v_mul_lo_u32 v20, v20, v238
	s_set_vgpr_msb 1                        ;  msbs: dst=0 src0=1 src1=0 src2=0
	v_mul_lo_u32 v4, v1 /*v257*/, v247
	s_set_vgpr_msb 0                        ;  msbs: dst=0 src0=0 src1=0 src2=0
	v_mul_lo_u32 v5, v12, v247
	v_dot4_i32_iu8 v130, v7, v249, v130 neg_lo:[1,1,0]
	v_dot4_i32_iu8 v6, v7, v135, v6 neg_lo:[1,1,0]
	s_delay_alu instid0(VALU_DEP_2) | instskip(NEXT) | instid1(VALU_DEP_2)
	v_mul_lo_u32 v130, v130, v245
	v_mul_lo_u32 v3, v6, v228
	v_cvt_f32_i32_e32 v21, v20
	v_cvt_f32_i32_e32 v20, v122
	v_pk_fma_f32 v[122:123], v[158:159], v[126:127], 0 op_sel_hi:[0,1,0]
	v_cvt_f32_i32_e32 v5, v5
	v_cvt_f32_i32_e32 v4, v4
	s_delay_alu instid0(VALU_DEP_4) | instskip(NEXT) | instid1(VALU_DEP_4)
	v_pk_fma_f32 v[20:21], v[128:129], v[20:21], 0 op_sel_hi:[1,1,0]
	v_pk_fma_f32 v[122:123], v[160:161], v[0:1], v[122:123] op_sel_hi:[0,1,1]
	v_cvt_f32_i32_e32 v131, v130
	v_cvt_f32_i32_e32 v130, v132
	v_pk_fma_f32 v[4:5], v[128:129], v[4:5], 0 op_sel_hi:[1,1,0]
	v_cvt_f32_i32_e32 v3, v3
	v_pk_fma_f32 v[0:1], v[120:121], v[0:1], v[8:9] op_sel_hi:[0,1,1]
	v_pk_mul_f32 v[122:123], v[122:123], v[116:117]
	v_pk_fma_f32 v[20:21], v[124:125], v[130:131], v[20:21]
	s_delay_alu instid0(VALU_DEP_4) | instskip(NEXT) | instid1(VALU_DEP_4)
	v_pk_fma_f32 v[2:3], v[124:125], v[2:3], v[4:5]
	v_pk_mul_f32 v[0:1], v[0:1], v[118:119]
	s_delay_alu instid0(VALU_DEP_3) | instskip(NEXT) | instid1(VALU_DEP_2)
	v_pk_fma_f32 v[20:21], v[20:21], v[26:27], v[122:123] neg_lo:[0,0,1] neg_hi:[0,0,1]
	v_pk_fma_f32 v[0:1], v[2:3], v[110:111], v[0:1] neg_lo:[0,0,1] neg_hi:[0,0,1]
	s_delay_alu instid0(VALU_DEP_2) | instskip(NEXT) | instid1(VALU_DEP_2)
	v_pk_add_f32 v[80:81], v[80:81], v[20:21]
	v_pk_add_f32 v[92:93], v[92:93], v[0:1]
	s_cbranch_vccnz .LBB153_6
; %bb.7:                                ;   in Loop: Header=BB153_5 Depth=1
	v_add_nc_u32_e32 v8, s5, v137
	s_barrier_signal -1
	s_barrier_wait -1
	s_delay_alu instid0(VALU_DEP_1) | instskip(SKIP_3) | instid1(VALU_DEP_4)
	v_dual_add_nc_u32 v4, v8, v67 :: v_dual_add_nc_u32 v6, v8, v133
	v_dual_add_nc_u32 v0, v8, v63 :: v_dual_add_nc_u32 v2, v8, v65
	v_dual_add_nc_u32 v9, v8, v71 :: v_dual_add_nc_u32 v14, v8, v109
	v_dual_add_nc_u32 v10, v8, v83 :: v_dual_add_nc_u32 v16, 4, v121
	v_mad_nc_i64_i32 v[6:7], v6, 36, v[86:87]
	s_delay_alu instid0(VALU_DEP_4)
	v_mad_nc_i64_i32 v[0:1], v0, 36, v[86:87]
	v_add_nc_u32_e32 v12, v8, v107
	v_mad_nc_i64_i32 v[2:3], v2, 36, v[86:87]
	v_mad_nc_i64_i32 v[4:5], v4, 36, v[86:87]
	;; [unrolled: 1-line block ×6, first 2 shown]
	v_mad_nc_u64_u32 v[16:17], v16, 36, s[2:3]
	s_clause 0x8
	global_load_b32 v18, v[6:7], off offset:4
	global_load_b32 v19, v[0:1], off offset:4
	;; [unrolled: 1-line block ×8, first 2 shown]
	global_load_b32 v26, v[16:17], off
	s_mov_b32 s5, 16
	s_wait_loadcnt 0x8
	ds_store_b32 v195, v18
	s_wait_loadcnt 0x7
	ds_store_b32 v188, v19
	;; [unrolled: 2-line block ×9, first 2 shown]
	s_wait_dscnt 0x0
	s_barrier_signal -1
	s_barrier_wait -1
	ds_load_b32 v0, v159
	ds_load_b32 v1, v161 offset:128
	ds_load_b32 v2, v176 offset:256
	;; [unrolled: 1-line block ×3, first 2 shown]
	s_wait_dscnt 0x3
	v_cvt_f32_f16_e32 v110, v0
	v_lshrrev_b32_e32 v0, 16, v0
	s_wait_dscnt 0x2
	v_cvt_f32_f16_e32 v112, v1
	v_lshrrev_b32_e32 v1, 16, v1
	s_wait_dscnt 0x1
	v_cvt_f32_f16_e32 v114, v2
	s_wait_dscnt 0x0
	v_dual_lshrrev_b32 v2, 16, v2 :: v_dual_lshrrev_b32 v4, 16, v3
	v_cvt_f32_f16_e32 v116, v3
	v_cvt_f32_f16_e32 v118, v0
	;; [unrolled: 1-line block ×3, first 2 shown]
	s_delay_alu instid0(VALU_DEP_4) | instskip(SKIP_4) | instid1(VALU_DEP_4)
	v_cvt_f32_f16_e32 v122, v2
	v_cvt_f32_f16_e32 v124, v4
	v_dual_mov_b32 v111, v110 :: v_dual_mov_b32 v113, v112
	v_dual_mov_b32 v115, v114 :: v_dual_mov_b32 v117, v116
	v_dual_mov_b32 v119, v118 :: v_dual_mov_b32 v121, v120
	v_dual_mov_b32 v123, v122 :: v_dual_mov_b32 v125, v124
.LBB153_8:                              ;   Parent Loop BB153_5 Depth=1
                                        ; =>  This Inner Loop Header: Depth=2
	s_lshr_b32 s12, s5, 2
	s_lshl_b32 s16, s5, 3
	s_and_b32 s13, s12, 0x3ffffffe
	s_lshl_b32 s12, s5, 1
	s_add_co_i32 s13, s13, 0xa200
	s_and_b32 s12, s12, 16
	s_delay_alu instid0(SALU_CYCLE_1)
	v_dual_add_nc_u32 v148, s16, v200 :: v_dual_bitop2_b32 v0, s12, v45 bitop3:0x54
	v_add3_u32 v20, s13, v204, v196
	v_add_nc_u32_e32 v138, s16, v201
	v_add3_u32 v134, s13, v205, v185
	s_set_vgpr_msb 64                       ;  msbs: dst=1 src0=0 src1=0 src2=0
	v_dual_add_nc_u32 v36 /*v292*/, s16, v202 :: v_dual_add_nc_u32 v38 /*v294*/, s16, v203
	s_set_vgpr_msb 0                        ;  msbs: dst=0 src0=0 src1=0 src2=0
	v_dual_lshlrev_b32 v1, 2, v0 :: v_dual_lshrrev_b32 v126, 1, v0
	s_set_vgpr_msb 64                       ;  msbs: dst=1 src0=0 src1=0 src2=0
	v_add3_u32 v37 /*v293*/, s13, v198, v187
	s_set_vgpr_msb 0                        ;  msbs: dst=0 src0=0 src1=0 src2=0
	ds_load_b128 v[14:17], v1 offset:33280
	ds_load_b128 v[2:5], v1 offset:33296
	ds_load_b128 v[10:13], v1 offset:33312
	ds_load_b128 v[6:9], v1 offset:33328
	ds_load_2addr_b32 v[0:1], v148 offset1:1
	s_wait_dscnt 0x4
	v_bfe_i32 v129, v14, 0, 8
	v_perm_b32 v221, v14, v14, 0xc0c0201
	v_perm_b32 v244, v15, v14, 0x6050403
	;; [unrolled: 1-line block ×3, first 2 shown]
	s_wait_dscnt 0x0
	v_bfe_i32 v155, v0, 0, 8
	v_perm_b32 v156, v0, v0, 0xc0c0201
	v_perm_b32 v157, v1, v0, 0x6050403
	;; [unrolled: 1-line block ×4, first 2 shown]
	v_mul_i32_i24_e32 v18, v155, v129
	v_perm_b32 v255, v3, v2, 0xc0c0403
	s_set_vgpr_msb 64                       ;  msbs: dst=1 src0=0 src1=0 src2=0
	v_perm_b32 v0 /*v256*/, v3, v3, 0xc0c0201
	v_perm_b32 v31 /*v287*/, v4, v3, 0xc0c0403
	;; [unrolled: 1-line block ×3, first 2 shown]
	s_set_vgpr_msb 0                        ;  msbs: dst=0 src0=0 src1=0 src2=0
	v_dot4_i32_iu8 v21, v156, v221, v18 neg_lo:[1,1,0]
	ds_load_2addr_b32 v[18:19], v148 offset0:2 offset1:3
	ds_load_b32 v22, v148 offset:16
	ds_load_b96 v[170:172], v148 offset:19
	ds_load_i8 v150, v148 offset:31
	s_set_vgpr_msb 64                       ;  msbs: dst=1 src0=0 src1=0 src2=0
	v_perm_b32 v33 /*v289*/, v5, v4, 0xc0c0403
	s_set_vgpr_msb 0                        ;  msbs: dst=0 src0=0 src1=0 src2=0
	v_bfe_i32 v238, v10, 0, 8
	v_bfe_i32 v136, v10, 8, 8
	v_dot4_i32_iu8 v0, v157, v244, v21 neg_lo:[1,1,0]
	v_perm_b32 v173, v11, v10, 0x5040302
	s_set_vgpr_msb 64                       ;  msbs: dst=1 src0=0 src1=0 src2=0
	v_perm_b32 v53 /*v309*/, v5, v5, 0xc030201
	s_set_vgpr_msb 0                        ;  msbs: dst=0 src0=0 src1=0 src2=0
	v_perm_b32 v243, v13, v12, 0x5040302
	s_set_vgpr_msb 64                       ;  msbs: dst=1 src0=0 src1=0 src2=0
	v_perm_b32 v43 /*v299*/, v7, v6, 0x5040302
	v_perm_b32 v45 /*v301*/, v8, v7, 0x5040302
	;; [unrolled: 1-line block ×9, first 2 shown]
	s_wait_dscnt 0x3
	v_perm_b32 v1 /*v257*/, v18, v1, 0x6050403
	v_perm_b32 v2 /*v258*/, v19, v18, 0x6050403
	s_wait_dscnt 0x2
	v_perm_b32 v3 /*v259*/, v22, v19, 0x6050403
	s_wait_dscnt 0x1
	s_set_vgpr_msb 0                        ;  msbs: dst=0 src0=0 src1=0 src2=0
	v_perm_b32 v1, v170, v170, 0xc0c0100
	v_bfe_i32 v154, v170, 0, 8
	s_set_vgpr_msb 1                        ;  msbs: dst=0 src0=1 src1=0 src2=0
	v_dot4_i32_iu8 v0, v1 /*v257*/, v249, v0 neg_lo:[1,1,0]
	s_set_vgpr_msb 64                       ;  msbs: dst=1 src0=0 src1=0 src2=0
	v_perm_b32 v12 /*v268*/, v171, v170, 0x4030201
	v_perm_b32 v13 /*v269*/, v172, v171, 0x4030201
	s_wait_dscnt 0x0
	s_set_vgpr_msb 0                        ;  msbs: dst=0 src0=0 src1=0 src2=0
	v_perm_b32 v253, v150, v172, 0x4030201
	s_set_vgpr_msb 64                       ;  msbs: dst=1 src0=0 src1=0 src2=0
	v_perm_b32 v62 /*v318*/, v9, v8, 0xc0c0403
	s_set_vgpr_msb 1                        ;  msbs: dst=0 src0=1 src1=0 src2=0
	v_dot4_i32_iu8 v0, v2 /*v258*/, v252, v0 neg_lo:[1,1,0]
	s_set_vgpr_msb 64                       ;  msbs: dst=1 src0=0 src1=0 src2=0
	v_bfe_i32 v30 /*v286*/, v9, 8, 8
	s_set_vgpr_msb 1                        ;  msbs: dst=0 src0=1 src1=0 src2=0
	s_delay_alu instid0(VALU_DEP_2) | instskip(SKIP_1) | instid1(VALU_DEP_1)
	v_dot4_i32_iu8 v0, v3 /*v259*/, v254, v0 neg_lo:[1,1,0]
	s_set_vgpr_msb 0                        ;  msbs: dst=0 src0=0 src1=0 src2=0
	v_dot4_i32_iu8 v0, v255, v1, v0 neg_lo:[1,1,0]
	v_perm_b32 v1, v170, v170, 0xc0c0302
	s_set_vgpr_msb 1                        ;  msbs: dst=0 src0=1 src1=0 src2=0
	s_delay_alu instid0(VALU_DEP_1) | instskip(SKIP_3) | instid1(VALU_DEP_1)
	v_dot4_i32_iu8 v0, v0 /*v256*/, v1, v0 neg_lo:[1,1,0]
	s_set_vgpr_msb 0                        ;  msbs: dst=0 src0=0 src1=0 src2=0
	v_perm_b32 v1, v171, v171, 0xc0c0100
	s_set_vgpr_msb 1                        ;  msbs: dst=0 src0=1 src1=0 src2=0
	v_dot4_i32_iu8 v0, v31 /*v287*/, v1, v0 neg_lo:[1,1,0]
	s_set_vgpr_msb 0                        ;  msbs: dst=0 src0=0 src1=0 src2=0
	v_perm_b32 v1, v171, v171, 0xc0c0302
	s_set_vgpr_msb 1                        ;  msbs: dst=0 src0=1 src1=0 src2=0
	s_delay_alu instid0(VALU_DEP_1) | instskip(SKIP_3) | instid1(VALU_DEP_1)
	v_dot4_i32_iu8 v0, v32 /*v288*/, v1, v0 neg_lo:[1,1,0]
	s_set_vgpr_msb 0                        ;  msbs: dst=0 src0=0 src1=0 src2=0
	v_perm_b32 v1, v172, v172, 0xc0c0100
	s_set_vgpr_msb 1                        ;  msbs: dst=0 src0=1 src1=0 src2=0
	v_dot4_i32_iu8 v152, v33 /*v289*/, v1, v0 neg_lo:[1,1,0]
	s_set_vgpr_msb 0                        ;  msbs: dst=0 src0=0 src1=0 src2=0
	ds_load_u16 v0, v20
	ds_load_u16 v1, v20 offset:8
	ds_load_2addr_b32 v[130:131], v148 offset0:14 offset1:15
	s_wait_dscnt 0x2
	v_lshrrev_b16 v18, 8, v0
	v_and_b32_e32 v135, 0xff, v0
	s_wait_dscnt 0x1
	v_cvt_f32_ubyte0_e32 v132, v1
	v_cvt_f32_ubyte1_e32 v128, v1
	ds_load_2addr_b32 v[0:1], v138 offset1:1
	v_and_b32_e32 v127, 0xffff, v18
	s_wait_dscnt 0x0
	v_bfe_i32 v151, v0, 0, 8
	v_perm_b32 v153, v0, v0, 0xc0c0201
	v_perm_b32 v160, v1, v0, 0x6050403
	s_delay_alu instid0(VALU_DEP_3) | instskip(NEXT) | instid1(VALU_DEP_1)
	v_mul_i32_i24_e32 v18, v151, v129
	v_dot4_i32_iu8 v139, v153, v221, v18 neg_lo:[1,1,0]
	ds_load_2addr_b32 v[26:27], v138 offset0:2 offset1:3
	ds_load_b32 v140, v138 offset:16
	ds_load_b128 v[18:21], v138 offset:19
	ds_load_b128 v[22:25], v138 offset:35
	ds_load_b96 v[246:248], v138 offset:51
	s_set_vgpr_msb 64                       ;  msbs: dst=1 src0=0 src1=0 src2=0
	ds_load_i8 v34 /*v290*/, v138 offset:63
	s_set_vgpr_msb 0                        ;  msbs: dst=0 src0=0 src1=0 src2=0
	v_dot4_i32_iu8 v0, v160, v244, v139 neg_lo:[1,1,0]
	s_wait_dscnt 0x5
	v_perm_b32 v162, v26, v1, 0x6050403
	v_perm_b32 v163, v27, v26, 0x6050403
	s_wait_dscnt 0x4
	v_perm_b32 v164, v140, v27, 0x6050403
	s_wait_dscnt 0x3
	v_perm_b32 v1, v18, v18, 0xc0c0100
	v_bfe_i32 v166, v21, 8, 8
	v_dot4_i32_iu8 v0, v162, v249, v0 neg_lo:[1,1,0]
	v_bfe_i32 v167, v21, 16, 8
	s_wait_dscnt 0x2
	v_perm_b32 v168, v22, v21, 0x6050403
	v_add3_u32 v26, s13, v197, v186
	v_bfe_i32 v158, v18, 0, 8
	v_dot4_i32_iu8 v0, v163, v252, v0 neg_lo:[1,1,0]
	s_delay_alu instid0(VALU_DEP_1) | instskip(NEXT) | instid1(VALU_DEP_1)
	v_dot4_i32_iu8 v0, v164, v254, v0 neg_lo:[1,1,0]
	v_dot4_i32_iu8 v0, v255, v1, v0 neg_lo:[1,1,0]
	v_perm_b32 v1, v18, v18, 0xc0c0302
	s_set_vgpr_msb 1                        ;  msbs: dst=0 src0=1 src1=0 src2=0
	s_delay_alu instid0(VALU_DEP_1) | instskip(SKIP_3) | instid1(VALU_DEP_1)
	v_dot4_i32_iu8 v0, v0 /*v256*/, v1, v0 neg_lo:[1,1,0]
	s_set_vgpr_msb 0                        ;  msbs: dst=0 src0=0 src1=0 src2=0
	v_perm_b32 v1, v19, v19, 0xc0c0100
	s_set_vgpr_msb 1                        ;  msbs: dst=0 src0=1 src1=0 src2=0
	v_dot4_i32_iu8 v0, v31 /*v287*/, v1, v0 neg_lo:[1,1,0]
	s_set_vgpr_msb 0                        ;  msbs: dst=0 src0=0 src1=0 src2=0
	v_perm_b32 v1, v19, v19, 0xc0c0302
	s_set_vgpr_msb 1                        ;  msbs: dst=0 src0=1 src1=0 src2=0
	s_delay_alu instid0(VALU_DEP_1) | instskip(SKIP_3) | instid1(VALU_DEP_1)
	v_dot4_i32_iu8 v0, v32 /*v288*/, v1, v0 neg_lo:[1,1,0]
	s_set_vgpr_msb 0                        ;  msbs: dst=0 src0=0 src1=0 src2=0
	v_perm_b32 v1, v20, v20, 0xc0c0100
	s_set_vgpr_msb 0x41                     ;  msbs: dst=1 src0=1 src1=0 src2=0
	v_dot4_i32_iu8 v35 /*v291*/, v33 /*v289*/, v1, v0 neg_lo:[1,1,0]
	s_set_vgpr_msb 0                        ;  msbs: dst=0 src0=0 src1=0 src2=0
	ds_load_u16 v0, v134
	ds_load_u16 v169, v134 offset:8
	s_wait_dscnt 0x1
	v_lshrrev_b16 v228, 8, v0
	v_and_b32_e32 v165, 0xff, v0
	v_mul_i32_i24_e32 v0, v166, v238
	s_wait_dscnt 0x0
	v_cvt_f32_ubyte0_e32 v134, v169
	s_delay_alu instid0(VALU_DEP_2) | instskip(NEXT) | instid1(VALU_DEP_1)
	v_mad_i32_i24 v0, v167, v136, v0
	v_dot4_i32_iu8 v229, v168, v173, v0 neg_lo:[1,1,0]
	v_or_b32_e32 v0, s12, v178
	s_delay_alu instid0(VALU_DEP_1)
	v_dual_lshlrev_b32 v224, 2, v0 :: v_dual_lshrrev_b32 v226, 1, v0
	ds_load_b64 v[0:1], v126 offset:43584
	s_set_vgpr_msb 1                        ;  msbs: dst=0 src0=1 src1=0 src2=0
	ds_load_2addr_b32 v[146:147], v36 /*v292*/ offset1:1
	ds_load_2addr_b32 v[144:145], v36 /*v292*/ offset0:2 offset1:3
	ds_load_2addr_b32 v[142:143], v36 /*v292*/ offset0:4 offset1:5
	;; [unrolled: 1-line block ×3, first 2 shown]
	s_set_vgpr_msb 0                        ;  msbs: dst=0 src0=0 src1=0 src2=0
	ds_load_u16 v126, v26
	s_set_vgpr_msb 64                       ;  msbs: dst=1 src0=0 src1=0 src2=0
	ds_load_u16 v39 /*v295*/, v26 offset:8
	s_set_vgpr_msb 1                        ;  msbs: dst=0 src0=1 src1=0 src2=0
	ds_load_2addr_b32 v[26:27], v36 /*v292*/ offset0:8 offset1:9
	ds_load_2addr_b32 v[140:141], v36 /*v292*/ offset0:10 offset1:11
	s_set_vgpr_msb 0                        ;  msbs: dst=0 src0=0 src1=0 src2=0
	ds_load_2addr_b32 v[174:175], v148 offset0:8 offset1:9
	s_wait_dscnt 0x9
	s_set_vgpr_msb 64                       ;  msbs: dst=1 src0=0 src1=0 src2=0
	v_cvt_f32_f16_e64 v22 /*v278*/, v0
	s_set_vgpr_msb 0                        ;  msbs: dst=0 src0=0 src1=0 src2=0
	v_lshrrev_b32_e32 v0, 16, v0
	s_set_vgpr_msb 64                       ;  msbs: dst=1 src0=0 src1=0 src2=0
	v_cvt_f32_f16_e64 v26 /*v282*/, v1
	s_wait_dscnt 0x4
	v_lshrrev_b16 v40 /*v296*/, 8, v126
	v_cvt_f32_f16_e64 v24 /*v280*/, v0
	s_wait_dscnt 0x0
	s_set_vgpr_msb 0                        ;  msbs: dst=0 src0=0 src1=0 src2=0
	v_lshrrev_b16 v222, 8, v174
	s_set_vgpr_msb 64                       ;  msbs: dst=1 src0=0 src1=0 src2=0
	v_bfe_i32 v5 /*v261*/, v174, 0, 8
	s_set_vgpr_msb 0                        ;  msbs: dst=0 src0=0 src1=0 src2=0
	v_lshrrev_b16 v223, 8, v175
	s_set_vgpr_msb 64                       ;  msbs: dst=1 src0=0 src1=0 src2=0
	v_perm_b32 v6 /*v262*/, v175, v174, 0x5040302
	s_set_vgpr_msb 0                        ;  msbs: dst=0 src0=0 src1=0 src2=0
	v_ashrrev_i32_e32 v239, 24, v175
	s_set_vgpr_msb 64                       ;  msbs: dst=1 src0=0 src1=0 src2=0
	v_bfe_i32 v4 /*v260*/, v222, 0, 8
	s_set_vgpr_msb 1                        ;  msbs: dst=0 src0=1 src1=0 src2=0
	v_mul_i32_i24_e32 v222, v5 /*v261*/, v238
	s_set_vgpr_msb 0                        ;  msbs: dst=0 src0=0 src1=0 src2=0
	v_bfe_i32 v241, v223, 0, 8
	v_bfe_i32 v240, v175, 16, 8
	;; [unrolled: 1-line block ×3, first 2 shown]
	s_set_vgpr_msb 1                        ;  msbs: dst=0 src0=1 src1=0 src2=0
	v_mad_i32_i24 v136, v4 /*v260*/, v136, v222
	s_set_vgpr_msb 0                        ;  msbs: dst=0 src0=0 src1=0 src2=0
	ds_load_2addr_b32 v[222:223], v148 offset0:10 offset1:11
	ds_load_b128 v[230:233], v224 offset:33280
	s_set_vgpr_msb 64                       ;  msbs: dst=1 src0=0 src1=0 src2=0
	ds_load_b128 v[14:17] /*v[270:273]*/, v224 offset:33296
	s_set_vgpr_msb 0                        ;  msbs: dst=0 src0=0 src1=0 src2=0
	ds_load_b128 v[234:237], v224 offset:33312
	s_set_vgpr_msb 64                       ;  msbs: dst=1 src0=0 src1=0 src2=0
	ds_load_b128 v[18:21] /*v[274:277]*/, v224 offset:33328
	s_set_vgpr_msb 0                        ;  msbs: dst=0 src0=0 src1=0 src2=0
	ds_load_2addr_b32 v[224:225], v148 offset0:12 offset1:13
	ds_load_b64 v[226:227], v226 offset:43584
	s_set_vgpr_msb 1                        ;  msbs: dst=0 src0=1 src1=0 src2=0
	v_dot4_i32_iu8 v136, v6 /*v262*/, v173, v136 neg_lo:[1,1,0]
	s_set_vgpr_msb 0                        ;  msbs: dst=0 src0=0 src1=0 src2=0
	v_perm_b32 v148, v6, v13, 0x5040302
	s_wait_dscnt 0x5
	s_set_vgpr_msb 64                       ;  msbs: dst=1 src0=0 src1=0 src2=0
	v_bfe_i32 v41 /*v297*/, v230, 0, 8
	v_perm_b32 v42 /*v298*/, v230, v230, 0xc0c0201
	v_perm_b32 v44 /*v300*/, v231, v230, 0x6050403
	s_wait_dscnt 0x3
	s_set_vgpr_msb 0                        ;  msbs: dst=0 src0=0 src1=0 src2=0
	v_lshrrev_b16 v0, 8, v234
	s_set_vgpr_msb 64                       ;  msbs: dst=1 src0=0 src1=0 src2=0
	v_perm_b32 v50 /*v306*/, v232, v231, 0x6050403
	s_set_vgpr_msb 1                        ;  msbs: dst=0 src0=1 src1=0 src2=0
	v_mul_i32_i24_e32 v173, v41 /*v297*/, v155
	s_set_vgpr_msb 64                       ;  msbs: dst=1 src0=0 src1=0 src2=0
	v_perm_b32 v51 /*v307*/, v233, v232, 0x6050403
	s_set_vgpr_msb 0x41                     ;  msbs: dst=1 src0=1 src1=0 src2=0
	v_perm_b32 v52 /*v308*/, v14 /*v270*/, v233, 0x6050403
	s_set_vgpr_msb 64                       ;  msbs: dst=1 src0=0 src1=0 src2=0
	v_bfe_i32 v47 /*v303*/, v0, 0, 8
	s_wait_dscnt 0x0
	s_set_vgpr_msb 1                        ;  msbs: dst=0 src0=1 src1=0 src2=0
	v_dual_lshrrev_b32 v0, 16, v1 :: v_dual_lshrrev_b32 v1, 16, v227
	v_dot4_i32_iu8 v173, v42 /*v298*/, v156, v173 neg_lo:[1,1,0]
	s_set_vgpr_msb 0x44                     ;  msbs: dst=1 src0=0 src1=1 src2=0
	v_ashrrev_i32_e32 v46 /*v302*/, 24, v14 /*v270*/
	v_cvt_f32_f16_e64 v23 /*v279*/, v226
	v_cvt_f32_f16_e64 v28 /*v284*/, v0
	s_set_vgpr_msb 1                        ;  msbs: dst=0 src0=1 src1=0 src2=0
	v_dual_lshrrev_b32 v226, 16, v226 :: v_dual_ashrrev_i32 v245, 24, v235
	v_dot4_i32_iu8 v173, v44 /*v300*/, v157, v173 neg_lo:[1,1,0]
	s_set_vgpr_msb 64                       ;  msbs: dst=1 src0=0 src1=0 src2=0
	v_cvt_f32_f16_e64 v29 /*v285*/, v1
	s_set_vgpr_msb 0                        ;  msbs: dst=0 src0=0 src1=0 src2=0
	v_perm_b32 v1, v150, v172, 0xc040302
	s_set_vgpr_msb 64                       ;  msbs: dst=1 src0=0 src1=0 src2=0
	v_cvt_f32_f16_e64 v25 /*v281*/, v226
	s_set_vgpr_msb 0                        ;  msbs: dst=0 src0=0 src1=0 src2=0
	v_lshrrev_b16 v226, 8, v235
	s_set_vgpr_msb 5                        ;  msbs: dst=0 src0=1 src1=1 src2=0
	v_dot4_i32_iu8 v0, v50 /*v306*/, v1 /*v257*/, v173 neg_lo:[1,1,0]
	s_set_vgpr_msb 64                       ;  msbs: dst=1 src0=0 src1=0 src2=0
	v_cvt_f32_f16_e64 v27 /*v283*/, v227
	s_set_vgpr_msb 1                        ;  msbs: dst=0 src0=1 src1=0 src2=0
	v_dot4_i32_iu8 v1, v53 /*v309*/, v1, v152 neg_lo:[1,1,0]
	s_set_vgpr_msb 0                        ;  msbs: dst=0 src0=0 src1=0 src2=0
	v_perm_b32 v227, v236, v234, 0xc0c0501
	v_bfe_i32 v226, v226, 0, 8
	s_set_vgpr_msb 5                        ;  msbs: dst=0 src0=1 src1=1 src2=0
	v_dot4_i32_iu8 v0, v51 /*v307*/, v2 /*v258*/, v0 neg_lo:[1,1,0]
	s_set_vgpr_msb 0                        ;  msbs: dst=0 src0=0 src1=0 src2=0
	v_bfe_i32 v250, v235, 16, 8
	v_mul_lo_u32 v150, v1, v135
	v_mul_i32_i24_e32 v173, v245, v239
	v_mul_i32_i24_e32 v152, v226, v241
	s_set_vgpr_msb 5                        ;  msbs: dst=0 src0=1 src1=1 src2=0
	v_dot4_i32_iu8 v0, v52 /*v308*/, v3 /*v259*/, v0 neg_lo:[1,1,0]
	s_set_vgpr_msb 0                        ;  msbs: dst=0 src0=0 src1=0 src2=0
	v_perm_b32 v226, v222, v174, 0xc0c0501
	s_set_vgpr_msb 64                       ;  msbs: dst=1 src0=0 src1=0 src2=0
	v_perm_b32 v7 /*v263*/, v222, v175, 0x5040302
	v_perm_b32 v8 /*v264*/, v223, v222, 0x5040302
	s_set_vgpr_msb 4                        ;  msbs: dst=0 src0=0 src1=1 src2=0
	v_bfe_i32 v251, v235, 0, 8
	v_mad_i32_i24 v0, v154, v46 /*v302*/, v0
	s_set_vgpr_msb 0                        ;  msbs: dst=0 src0=0 src1=0 src2=0
	v_dot4_i32_iu8 v152, v227, v226, v152 neg_lo:[1,1,0]
	v_perm_b32 v226, v222, v174, 0xc0c0703
	v_perm_b32 v227, v236, v234, 0xc0c0703
	v_mul_i32_i24_e32 v172, v250, v240
	s_set_vgpr_msb 5                        ;  msbs: dst=0 src0=1 src1=1 src2=0
	v_dot4_i32_iu8 v0, v12 /*v268*/, v15 /*v271*/, v0 neg_lo:[1,1,0]
	s_set_vgpr_msb 0                        ;  msbs: dst=0 src0=0 src1=0 src2=0
	v_perm_b32 v175, v12, v11, 0x5040302
	s_set_vgpr_msb 64                       ;  msbs: dst=1 src0=0 src1=0 src2=0
	v_perm_b32 v9 /*v265*/, v224, v223, 0x5040302
	s_set_vgpr_msb 0                        ;  msbs: dst=0 src0=0 src1=0 src2=0
	v_dot4_i32_iu8 v173, v227, v226, v173 neg_lo:[1,1,0]
	v_perm_b32 v226, v222, v174, 0xc0c0400
	s_set_vgpr_msb 5                        ;  msbs: dst=0 src0=1 src1=1 src2=0
	v_dot4_i32_iu8 v0, v13 /*v269*/, v16 /*v272*/, v0 neg_lo:[1,1,0]
	s_set_vgpr_msb 0                        ;  msbs: dst=0 src0=0 src1=0 src2=0
	v_perm_b32 v174, v222, v174, 0xc0c0602
	v_perm_b32 v222, v236, v234, 0xc0c0602
	;; [unrolled: 1-line block ×3, first 2 shown]
	s_set_vgpr_msb 1                        ;  msbs: dst=0 src0=1 src1=0 src2=0
	v_dot4_i32_iu8 v136, v7 /*v263*/, v175, v136 neg_lo:[1,1,0]
	v_dot4_i32_iu8 v0, v17 /*v273*/, v253, v0 neg_lo:[1,1,0]
	s_set_vgpr_msb 64                       ;  msbs: dst=1 src0=0 src1=0 src2=0
	v_perm_b32 v10 /*v266*/, v225, v224, 0x5040302
	s_set_vgpr_msb 0                        ;  msbs: dst=0 src0=0 src1=0 src2=0
	v_dot4_i32_iu8 v172, v222, v174, v172 neg_lo:[1,1,0]
	v_perm_b32 v174, v224, v223, 0xc0c0602
	v_perm_b32 v222, v130, v225, 0x6020c0c
	v_mul_lo_u32 v0, v0, v135
	s_set_vgpr_msb 1                        ;  msbs: dst=0 src0=1 src1=0 src2=0
	v_dot4_i32_iu8 v136, v8 /*v264*/, v243, v136 neg_lo:[1,1,0]
	s_set_vgpr_msb 64                       ;  msbs: dst=1 src0=0 src1=0 src2=0
	v_perm_b32 v11 /*v267*/, v130, v225, 0x5040302
	s_set_vgpr_msb 0                        ;  msbs: dst=0 src0=0 src1=0 src2=0
	v_perm_b32 v245, v131, v131, 0xc0c0302
	v_or_b32_e32 v174, v222, v174
	s_set_vgpr_msb 1                        ;  msbs: dst=0 src0=1 src1=0 src2=0
	v_perm_b32 v222, v18 /*v274*/, v237, 0xc0c0602
	v_dot4_i32_iu8 v136, v9 /*v265*/, v148, v136 neg_lo:[1,1,0]
	s_set_vgpr_msb 0x45                     ;  msbs: dst=1 src0=1 src1=1 src2=0
	v_perm_b32 v55 /*v311*/, v21 /*v277*/, v21 /*v277*/, 0xc0c0302
	s_set_vgpr_msb 4                        ;  msbs: dst=0 src0=0 src1=1 src2=0
	v_pk_fma_f32 v[170:171], v[132:133], v[24:25] /*v[280:281]*/, 0 op_sel_hi:[0,1,0]
	s_set_vgpr_msb 0                        ;  msbs: dst=0 src0=0 src1=0 src2=0
	v_perm_b32 v239, v23, v22, 0x6050403
	v_perm_b32 v240, v24, v23, 0x6050403
	v_cvt_f32_i32_e32 v1, v0
	v_cvt_f32_i32_e32 v0, v150
	v_mul_i32_i24_e32 v150, v251, v242
	s_set_vgpr_msb 5                        ;  msbs: dst=0 src0=1 src1=1 src2=0
	v_dot4_i32_iu8 v136, v10 /*v266*/, v43 /*v299*/, v136 neg_lo:[1,1,0]
	s_set_vgpr_msb 4                        ;  msbs: dst=0 src0=0 src1=1 src2=0
	v_pk_fma_f32 v[170:171], v[128:129], v[28:29] /*v[284:285]*/, v[170:171] op_sel_hi:[0,1,1]
	s_set_vgpr_msb 0                        ;  msbs: dst=0 src0=0 src1=0 src2=0
	v_perm_b32 v241, v25, v24, 0x6050403
	s_set_vgpr_msb 1                        ;  msbs: dst=0 src0=1 src1=0 src2=0
	v_pk_fma_f32 v[0:1], v[22:23] /*v[278:279]*/, v[0:1], 0 op_sel_hi:[1,1,0]
	s_set_vgpr_msb 0                        ;  msbs: dst=0 src0=0 src1=0 src2=0
	v_dot4_i32_iu8 v150, v227, v226, v150 neg_lo:[1,1,0]
	s_set_vgpr_msb 5                        ;  msbs: dst=0 src0=1 src1=1 src2=0
	v_perm_b32 v226, v20 /*v276*/, v19 /*v275*/, 0x6020c0c
	v_dot4_i32_iu8 v136, v11 /*v267*/, v45 /*v301*/, v136 neg_lo:[1,1,0]
	s_set_vgpr_msb 0                        ;  msbs: dst=0 src0=0 src1=0 src2=0
	v_pk_mul_f32 v[170:171], v[170:171], v[118:119]
	v_perm_b32 v242, v246, v25, 0x6050403
	s_set_vgpr_msb 64                       ;  msbs: dst=1 src0=0 src1=0 src2=0
	v_bfe_i32 v48 /*v304*/, v234, 0, 8
	s_set_vgpr_msb 0                        ;  msbs: dst=0 src0=0 src1=0 src2=0
	v_or_b32_e32 v222, v226, v222
	s_set_vgpr_msb 5                        ;  msbs: dst=0 src0=1 src1=1 src2=0
	v_perm_b32 v226, v20 /*v276*/, v19 /*v275*/, 0x4000c0c
	s_set_vgpr_msb 0x44                     ;  msbs: dst=1 src0=0 src1=1 src2=0
	v_ashrrev_i32_e32 v49 /*v305*/, 24, v18 /*v274*/
	s_set_vgpr_msb 0                        ;  msbs: dst=0 src0=0 src1=0 src2=0
	v_dot4_i32_iu8 v172, v222, v174, v172 neg_lo:[1,1,0]
	v_perm_b32 v174, v224, v223, 0xc0c0400
	v_perm_b32 v222, v130, v225, 0x4000c0c
	s_delay_alu instid0(VALU_DEP_1) | instskip(SKIP_3) | instid1(VALU_DEP_1)
	v_or_b32_e32 v174, v222, v174
	s_set_vgpr_msb 1                        ;  msbs: dst=0 src0=1 src1=0 src2=0
	v_perm_b32 v222, v18 /*v274*/, v237, 0xc0c0400
	s_set_vgpr_msb 0                        ;  msbs: dst=0 src0=0 src1=0 src2=0
	v_or_b32_e32 v222, v226, v222
	s_set_vgpr_msb 5                        ;  msbs: dst=0 src0=1 src1=1 src2=0
	v_perm_b32 v226, v20 /*v276*/, v19 /*v275*/, 0x7030c0c
	s_set_vgpr_msb 0                        ;  msbs: dst=0 src0=0 src1=0 src2=0
	s_delay_alu instid0(VALU_DEP_2) | instskip(SKIP_2) | instid1(VALU_DEP_1)
	v_dot4_i32_iu8 v150, v222, v174, v150 neg_lo:[1,1,0]
	v_perm_b32 v174, v224, v223, 0xc0c0703
	v_perm_b32 v222, v130, v225, 0x7030c0c
	v_or_b32_e32 v174, v222, v174
	s_set_vgpr_msb 1                        ;  msbs: dst=0 src0=1 src1=0 src2=0
	v_perm_b32 v222, v18 /*v274*/, v237, 0xc0c0703
	s_set_vgpr_msb 0                        ;  msbs: dst=0 src0=0 src1=0 src2=0
	s_delay_alu instid0(VALU_DEP_1) | instskip(NEXT) | instid1(VALU_DEP_1)
	v_or_b32_e32 v222, v226, v222
	v_dot4_i32_iu8 v173, v222, v174, v173 neg_lo:[1,1,0]
	v_perm_b32 v174, v224, v223, 0xc0c0501
	v_perm_b32 v222, v130, v225, 0x5010c0c
	s_set_vgpr_msb 5                        ;  msbs: dst=0 src0=1 src1=1 src2=0
	v_perm_b32 v223, v20 /*v276*/, v19 /*v275*/, 0x5010c0c
	s_set_vgpr_msb 0                        ;  msbs: dst=0 src0=0 src1=0 src2=0
	v_and_b32_e32 v225, 0xff, v126
	v_perm_b32 v126, v11, v10, 0x4030201
	v_or_b32_e32 v174, v222, v174
	s_set_vgpr_msb 1                        ;  msbs: dst=0 src0=1 src1=0 src2=0
	v_perm_b32 v222, v18 /*v274*/, v237, 0xc0c0501
	s_set_vgpr_msb 0                        ;  msbs: dst=0 src0=0 src1=0 src2=0
	s_delay_alu instid0(VALU_DEP_1) | instskip(NEXT) | instid1(VALU_DEP_1)
	v_or_b32_e32 v222, v223, v222
	v_dot4_i32_iu8 v152, v222, v174, v152 neg_lo:[1,1,0]
	s_delay_alu instid0(VALU_DEP_1) | instskip(NEXT) | instid1(VALU_DEP_1)
	v_add_nc_u32_e32 v152, v152, v173
	v_add3_u32 v150, v150, v172, v152
	v_perm_b32 v152, v131, v131, 0xc0c0100
	s_set_vgpr_msb 5                        ;  msbs: dst=0 src0=1 src1=1 src2=0
	v_perm_b32 v172, v21 /*v277*/, v21 /*v277*/, 0xc0c0100
	s_set_vgpr_msb 0                        ;  msbs: dst=0 src0=0 src1=0 src2=0
	s_delay_alu instid0(VALU_DEP_1) | instskip(SKIP_2) | instid1(VALU_DEP_2)
	v_dot4_i32_iu8 v150, v172, v152, v150 neg_lo:[1,1,0]
	v_perm_b32 v152, v131, v130, 0x5040302
	s_set_vgpr_msb 4                        ;  msbs: dst=0 src0=0 src1=1 src2=0
	v_dot4_i32_iu8 v150, v245, v55 /*v311*/, v150 neg_lo:[1,1,0]
	s_delay_alu instid0(VALU_DEP_2) | instskip(SKIP_2) | instid1(VALU_DEP_3)
	v_dot4_i32_iu8 v136, v152, v54 /*v310*/, v136 neg_lo:[1,1,0]
	v_cvt_f32_ubyte1_e32 v152, v169
	s_set_vgpr_msb 0                        ;  msbs: dst=0 src0=0 src1=0 src2=0
	v_mul_lo_u32 v150, v150, v127
	s_set_vgpr_msb 4                        ;  msbs: dst=0 src0=0 src1=1 src2=0
	v_dot4_i32_iu8 v136, v245, v56 /*v312*/, v136 neg_lo:[1,1,0]
	s_set_vgpr_msb 0                        ;  msbs: dst=0 src0=0 src1=0 src2=0
	s_delay_alu instid0(VALU_DEP_1) | instskip(NEXT) | instid1(VALU_DEP_3)
	v_mul_lo_u32 v136, v136, v127
	v_cvt_f32_i32_e32 v173, v150
	s_set_vgpr_msb 1                        ;  msbs: dst=0 src0=1 src1=0 src2=0
	v_cvt_f32_ubyte1_e32 v150, v39 /*v295*/
	s_set_vgpr_msb 0                        ;  msbs: dst=0 src0=0 src1=0 src2=0
	s_delay_alu instid0(VALU_DEP_3) | instskip(SKIP_1) | instid1(VALU_DEP_1)
	v_cvt_f32_i32_e32 v172, v136
	s_set_vgpr_msb 1                        ;  msbs: dst=0 src0=1 src1=0 src2=0
	v_pk_fma_f32 v[0:1], v[26:27] /*v[282:283]*/, v[172:173], v[0:1]
	s_set_vgpr_msb 4                        ;  msbs: dst=0 src0=0 src1=1 src2=0
	v_and_b32_e32 v172, 0xffff, v40 /*v296*/
	s_set_vgpr_msb 0                        ;  msbs: dst=0 src0=0 src1=0 src2=0
	s_delay_alu instid0(VALU_DEP_2)
	v_pk_fma_f32 v[250:251], v[0:1], v[110:111], v[170:171] neg_lo:[0,0,1] neg_hi:[0,0,1]
	v_dot4_i32_iu8 v0, v239, v175, v229 neg_lo:[1,1,0]
	v_and_b32_e32 v229, 0xffff, v228
	v_bfe_i32 v228, v26, 0, 8
	v_perm_b32 v1, v27, v26, 0x4030201
	v_pk_add_f32 v[84:85], v[84:85], v[250:251]
	v_dot4_i32_iu8 v0, v240, v243, v0 neg_lo:[1,1,0]
	v_perm_b32 v243, v247, v246, 0x6050403
	v_perm_b32 v250, v141, v140, 0x6050403
	s_delay_alu instid0(VALU_DEP_3) | instskip(SKIP_3) | instid1(VALU_DEP_2)
	v_dot4_i32_iu8 v0, v241, v148, v0 neg_lo:[1,1,0]
	s_set_vgpr_msb 1                        ;  msbs: dst=0 src0=1 src1=0 src2=0
	v_cvt_f32_ubyte0_e32 v148, v39 /*v295*/
	s_set_vgpr_msb 4                        ;  msbs: dst=0 src0=0 src1=1 src2=0
	v_dot4_i32_iu8 v0, v242, v43 /*v299*/, v0 neg_lo:[1,1,0]
	s_set_vgpr_msb 64                       ;  msbs: dst=1 src0=0 src1=0 src2=0
	v_perm_b32 v43 /*v299*/, v12, v11, 0x4030201
	s_set_vgpr_msb 4                        ;  msbs: dst=0 src0=0 src1=1 src2=0
	s_delay_alu instid0(VALU_DEP_2)
	v_dot4_i32_iu8 v246, v243, v45 /*v301*/, v0 neg_lo:[1,1,0]
	s_set_vgpr_msb 0                        ;  msbs: dst=0 src0=0 src1=0 src2=0
	v_dot4_i32_iu8 v0, v146, v14, 0 neg_lo:[1,1,0]
	s_set_vgpr_msb 64                       ;  msbs: dst=1 src0=0 src1=0 src2=0
	v_perm_b32 v45 /*v301*/, v13, v12, 0x4030201
	s_set_vgpr_msb 0                        ;  msbs: dst=0 src0=0 src1=0 src2=0
	v_perm_b32 v13, v6, v13, 0x4030201
	v_dot4_i32_iu8 v0, v147, v15, v0 neg_lo:[1,1,0]
	s_delay_alu instid0(VALU_DEP_1) | instskip(NEXT) | instid1(VALU_DEP_1)
	v_dot4_i32_iu8 v0, v144, v16, v0 neg_lo:[1,1,0]
	v_dot4_i32_iu8 v0, v145, v17, v0 neg_lo:[1,1,0]
	s_set_vgpr_msb 1                        ;  msbs: dst=0 src0=1 src1=0 src2=0
	ds_load_b32 v226, v36 /*v292*/ offset:48
	ds_load_b96 v[14:16], v36 /*v292*/ offset:51
	ds_load_i8 v17, v36 /*v292*/ offset:63
	ds_load_2addr_b32 v[22:23], v38 /*v294*/ offset1:1
	s_set_vgpr_msb 0                        ;  msbs: dst=0 src0=0 src1=0 src2=0
	v_dot4_i32_iu8 v0, v142, v2, v0 neg_lo:[1,1,0]
	s_delay_alu instid0(VALU_DEP_1) | instskip(NEXT) | instid1(VALU_DEP_1)
	v_dot4_i32_iu8 v0, v143, v3, v0 neg_lo:[1,1,0]
	v_dot4_i32_iu8 v4, v138, v4, v0 neg_lo:[1,1,0]
	v_mul_i32_i24_e32 v0, v228, v238
	s_wait_dscnt 0x2
	v_bfe_i32 v227, v14, 0, 8
	s_delay_alu instid0(VALU_DEP_2)
	v_dot4_i32_iu8 v0, v1, v126, v0 neg_lo:[1,1,0]
	v_perm_b32 v1, v140, v27, 0x4030201
	s_wait_dscnt 0x0
	v_bfe_i32 v169, v22, 0, 8
	v_perm_b32 v170, v22, v22, 0xc0c0201
	v_perm_b32 v173, v23, v22, 0x6050403
	;; [unrolled: 1-line block ×3, first 2 shown]
	s_set_vgpr_msb 4                        ;  msbs: dst=0 src0=0 src1=1 src2=0
	v_dot4_i32_iu8 v0, v1, v43 /*v299*/, v0 neg_lo:[1,1,0]
	s_set_vgpr_msb 0                        ;  msbs: dst=0 src0=0 src1=0 src2=0
	v_perm_b32 v1, v141, v140, 0x4030201
	s_set_vgpr_msb 64                       ;  msbs: dst=1 src0=0 src1=0 src2=0
	v_bfe_i32 v36 /*v292*/, v16, 16, 8
	s_set_vgpr_msb 0                        ;  msbs: dst=0 src0=0 src1=0 src2=0
	v_dot4_i32_iu8 v4, v5, v139, v4 neg_lo:[1,1,0]
	s_set_vgpr_msb 4                        ;  msbs: dst=0 src0=0 src1=1 src2=0
	v_dot4_i32_iu8 v0, v1, v45 /*v301*/, v0 neg_lo:[1,1,0]
	s_set_vgpr_msb 0                        ;  msbs: dst=0 src0=0 src1=0 src2=0
	v_perm_b32 v1, v226, v141, 0x4030201
	v_mul_lo_u32 v4, v4, v225
	s_delay_alu instid0(VALU_DEP_2) | instskip(SKIP_2) | instid1(VALU_DEP_1)
	v_dot4_i32_iu8 v0, v1, v13, v0 neg_lo:[1,1,0]
	v_perm_b32 v1, v226, v226, 0xc0c0201
	s_set_vgpr_msb 1                        ;  msbs: dst=0 src0=1 src1=0 src2=0
	v_dot4_i32_iu8 v0, v57 /*v313*/, v1, v0 neg_lo:[1,1,0]
	s_set_vgpr_msb 0                        ;  msbs: dst=0 src0=0 src1=0 src2=0
	v_perm_b32 v1, v14, v14, 0xc0c0100
	v_cvt_f32_i32_e32 v4, v4
	s_set_vgpr_msb 1                        ;  msbs: dst=0 src0=1 src1=0 src2=0
	s_delay_alu instid0(VALU_DEP_2) | instskip(SKIP_3) | instid1(VALU_DEP_1)
	v_dot4_i32_iu8 v0, v58 /*v314*/, v1, v0 neg_lo:[1,1,0]
	s_set_vgpr_msb 0                        ;  msbs: dst=0 src0=0 src1=0 src2=0
	v_perm_b32 v1, v14, v14, 0xc0c0302
	s_set_vgpr_msb 1                        ;  msbs: dst=0 src0=1 src1=0 src2=0
	v_dot4_i32_iu8 v0, v59 /*v315*/, v1, v0 neg_lo:[1,1,0]
	s_set_vgpr_msb 0                        ;  msbs: dst=0 src0=0 src1=0 src2=0
	v_perm_b32 v1, v15, v15, 0xc0c0100
	s_set_vgpr_msb 1                        ;  msbs: dst=0 src0=1 src1=0 src2=0
	s_delay_alu instid0(VALU_DEP_1) | instskip(SKIP_3) | instid1(VALU_DEP_1)
	v_dot4_i32_iu8 v0, v60 /*v316*/, v1, v0 neg_lo:[1,1,0]
	s_set_vgpr_msb 0                        ;  msbs: dst=0 src0=0 src1=0 src2=0
	v_perm_b32 v1, v15, v15, 0xc0c0302
	s_set_vgpr_msb 1                        ;  msbs: dst=0 src0=1 src1=0 src2=0
	v_dot4_i32_iu8 v0, v61 /*v317*/, v1, v0 neg_lo:[1,1,0]
	s_set_vgpr_msb 0                        ;  msbs: dst=0 src0=0 src1=0 src2=0
	v_perm_b32 v1, v16, v16, 0xc0c0100
	s_set_vgpr_msb 0x41                     ;  msbs: dst=1 src0=1 src1=0 src2=0
	s_delay_alu instid0(VALU_DEP_1) | instskip(SKIP_2) | instid1(VALU_DEP_1)
	v_dot4_i32_iu8 v63 /*v319*/, v62 /*v318*/, v1, v0 neg_lo:[1,1,0]
	s_set_vgpr_msb 0                        ;  msbs: dst=0 src0=0 src1=0 src2=0
	v_mul_i32_i24_e32 v0, v169, v129
	v_dot4_i32_iu8 v129, v170, v221, v0 neg_lo:[1,1,0]
	s_set_vgpr_msb 1                        ;  msbs: dst=0 src0=1 src1=0 src2=0
	ds_load_2addr_b32 v[24:25], v38 /*v294*/ offset0:2 offset1:3
	ds_load_b32 v136, v38 /*v294*/ offset:16
	ds_load_b128 v[6:9], v38 /*v294*/ offset:19
	ds_load_b128 v[0:3], v38 /*v294*/ offset:35
	ds_load_b96 v[10:12], v38 /*v294*/ offset:51
	s_set_vgpr_msb 0x41                     ;  msbs: dst=1 src0=1 src1=0 src2=0
	ds_load_i8 v38 /*v294*/, v38 /*v294*/ offset:63
	s_set_vgpr_msb 0                        ;  msbs: dst=0 src0=0 src1=0 src2=0
	v_dot4_i32_iu8 v22, v173, v244, v129 neg_lo:[1,1,0]
	v_perm_b32 v244, v248, v247, 0x6050403
	v_perm_b32 v247, v26, v26, 0xc0c0201
	s_wait_dscnt 0x5
	v_perm_b32 v174, v24, v23, 0x6050403
	v_perm_b32 v221, v25, v24, 0x6050403
	s_wait_dscnt 0x4
	v_perm_b32 v222, v136, v25, 0x6050403
	s_wait_dscnt 0x3
	v_perm_b32 v23, v6, v6, 0xc0c0100
	v_bfe_i32 v224, v9, 8, 8
	v_dot4_i32_iu8 v22, v174, v249, v22 neg_lo:[1,1,0]
	s_wait_dscnt 0x2
	v_perm_b32 v129, v0, v9, 0x5040302
	v_perm_b32 v249, v140, v27, 0x6050403
	s_set_vgpr_msb 21                       ;  msbs: dst=0 src0=1 src1=1 src2=1
	v_mad_i32_i24 v140, v36 /*v292*/, v30 /*v286*/, v63 /*v319*/
	s_set_vgpr_msb 0                        ;  msbs: dst=0 src0=0 src1=0 src2=0
	v_bfe_i32 v171, v6, 0, 8
	v_dot4_i32_iu8 v22, v221, v252, v22 neg_lo:[1,1,0]
	v_perm_b32 v252, v15, v14, 0x6050403
	s_wait_dscnt 0x1
	v_bfe_i32 v223, v10, 0, 8
	s_delay_alu instid0(VALU_DEP_3) | instskip(SKIP_1) | instid1(VALU_DEP_2)
	v_dot4_i32_iu8 v22, v222, v254, v22 neg_lo:[1,1,0]
	v_perm_b32 v254, v19, v18, 0x4030201
	v_dot4_i32_iu8 v22, v255, v23, v22 neg_lo:[1,1,0]
	v_perm_b32 v23, v6, v6, 0xc0c0302
	v_perm_b32 v255, v20, v19, 0x4030201
	s_set_vgpr_msb 1                        ;  msbs: dst=0 src0=1 src1=0 src2=0
	v_mul_i32_i24_e32 v19, v48 /*v304*/, v166
	s_delay_alu instid0(VALU_DEP_3)
	v_dot4_i32_iu8 v22, v0 /*v256*/, v23, v22 neg_lo:[1,1,0]
	s_set_vgpr_msb 0                        ;  msbs: dst=0 src0=0 src1=0 src2=0
	v_perm_b32 v23, v7, v7, 0xc0c0100
	s_set_vgpr_msb 1                        ;  msbs: dst=0 src0=1 src1=0 src2=0
	v_mad_i32_i24 v19, v47 /*v303*/, v167, v19
	s_set_vgpr_msb 64                       ;  msbs: dst=1 src0=0 src1=0 src2=0
	v_perm_b32 v0 /*v256*/, v21, v20, 0x4030201
	s_set_vgpr_msb 1                        ;  msbs: dst=0 src0=1 src1=0 src2=0
	v_dot4_i32_iu8 v22, v31 /*v287*/, v23, v22 neg_lo:[1,1,0]
	s_set_vgpr_msb 0                        ;  msbs: dst=0 src0=0 src1=0 src2=0
	v_perm_b32 v23, v7, v7, 0xc0c0302
	s_set_vgpr_msb 64                       ;  msbs: dst=1 src0=0 src1=0 src2=0
	v_bfe_i32 v31 /*v287*/, v12, 16, 8
	s_set_vgpr_msb 1                        ;  msbs: dst=0 src0=1 src1=0 src2=0
	s_delay_alu instid0(VALU_DEP_2) | instskip(SKIP_3) | instid1(VALU_DEP_1)
	v_dot4_i32_iu8 v22, v32 /*v288*/, v23, v22 neg_lo:[1,1,0]
	s_set_vgpr_msb 0                        ;  msbs: dst=0 src0=0 src1=0 src2=0
	v_perm_b32 v23, v8, v8, 0xc0c0100
	s_set_vgpr_msb 1                        ;  msbs: dst=0 src0=1 src1=0 src2=0
	v_dot4_i32_iu8 v24, v33 /*v289*/, v23, v22 neg_lo:[1,1,0]
	ds_load_u16 v22, v37 /*v293*/
	ds_load_u16 v23, v37 /*v293*/ offset:8
	s_wait_dscnt 0x1
	v_lshrrev_b16 v25, 8, v22
	v_and_b32_e32 v175, 0xff, v22
	s_set_vgpr_msb 0                        ;  msbs: dst=0 src0=0 src1=0 src2=0
	v_mul_i32_i24_e32 v22, v224, v238
	s_wait_dscnt 0x0
	v_cvt_f32_ubyte0_e32 v136, v23
	s_delay_alu instid0(VALU_DEP_2)
	v_dot4_i32_iu8 v22, v129, v126, v22 neg_lo:[1,1,0]
	v_perm_b32 v126, v1, v0, 0x5040302
	v_and_b32_e32 v129, 0xffff, v25
	s_set_vgpr_msb 5                        ;  msbs: dst=0 src0=1 src1=1 src2=0
	v_perm_b32 v25, v20 /*v276*/, v19 /*v275*/, 0x5040302
	s_set_vgpr_msb 0x45                     ;  msbs: dst=1 src0=1 src1=1 src2=0
	v_perm_b32 v20 /*v276*/, v21 /*v277*/, v20 /*v276*/, 0x5040302
	s_set_vgpr_msb 4                        ;  msbs: dst=0 src0=0 src1=1 src2=0
	v_dot4_i32_iu8 v22, v126, v43 /*v299*/, v22 neg_lo:[1,1,0]
	s_set_vgpr_msb 0                        ;  msbs: dst=0 src0=0 src1=0 src2=0
	v_perm_b32 v126, v2, v1, 0x5040302
	s_set_vgpr_msb 4                        ;  msbs: dst=0 src0=0 src1=1 src2=0
	s_delay_alu instid0(VALU_DEP_1) | instskip(SKIP_2) | instid1(VALU_DEP_1)
	v_dot4_i32_iu8 v22, v126, v45 /*v301*/, v22 neg_lo:[1,1,0]
	s_set_vgpr_msb 0                        ;  msbs: dst=0 src0=0 src1=0 src2=0
	v_perm_b32 v126, v3, v2, 0x5040302
	v_dot4_i32_iu8 v13, v126, v13, v22 neg_lo:[1,1,0]
	v_perm_b32 v22, v3, v3, 0xc0c0302
	v_cvt_f32_ubyte1_e32 v126, v23
	s_set_vgpr_msb 4                        ;  msbs: dst=0 src0=0 src1=1 src2=0
	v_dot4_i32_iu8 v23, v244, v54 /*v310*/, v246 neg_lo:[1,1,0]
	s_set_vgpr_msb 1                        ;  msbs: dst=0 src0=1 src1=0 src2=0
	v_perm_b32 v246, v34 /*v290*/, v248, 0xc0c0403
	s_set_vgpr_msb 0                        ;  msbs: dst=0 src0=0 src1=0 src2=0
	v_perm_b32 v248, v27, v26, 0x6050403
	s_set_vgpr_msb 1                        ;  msbs: dst=0 src0=1 src1=0 src2=0
	v_dot4_i32_iu8 v13, v57 /*v313*/, v22, v13 neg_lo:[1,1,0]
	s_set_vgpr_msb 0                        ;  msbs: dst=0 src0=0 src1=0 src2=0
	v_perm_b32 v22, v10, v10, 0xc0c0100
	v_perm_b32 v26, v226, v141, 0x6050403
	s_set_vgpr_msb 4                        ;  msbs: dst=0 src0=0 src1=1 src2=0
	v_dot4_i32_iu8 v23, v246, v56 /*v312*/, v23 neg_lo:[1,1,0]
	s_set_vgpr_msb 1                        ;  msbs: dst=0 src0=1 src1=0 src2=0
	v_perm_b32 v27, v18 /*v274*/, v237, 0x6050403
	v_dot4_i32_iu8 v13, v58 /*v314*/, v22, v13 neg_lo:[1,1,0]
	s_set_vgpr_msb 0                        ;  msbs: dst=0 src0=0 src1=0 src2=0
	v_perm_b32 v22, v10, v10, 0xc0c0302
	s_set_vgpr_msb 1                        ;  msbs: dst=0 src0=1 src1=0 src2=0
	s_delay_alu instid0(VALU_DEP_1) | instskip(SKIP_3) | instid1(VALU_DEP_1)
	v_dot4_i32_iu8 v13, v59 /*v315*/, v22, v13 neg_lo:[1,1,0]
	s_set_vgpr_msb 0                        ;  msbs: dst=0 src0=0 src1=0 src2=0
	v_perm_b32 v22, v11, v11, 0xc0c0100
	s_set_vgpr_msb 1                        ;  msbs: dst=0 src0=1 src1=0 src2=0
	v_dot4_i32_iu8 v13, v60 /*v316*/, v22, v13 neg_lo:[1,1,0]
	s_set_vgpr_msb 0                        ;  msbs: dst=0 src0=0 src1=0 src2=0
	v_perm_b32 v22, v11, v11, 0xc0c0302
	s_set_vgpr_msb 1                        ;  msbs: dst=0 src0=1 src1=0 src2=0
	s_delay_alu instid0(VALU_DEP_1) | instskip(SKIP_3) | instid1(VALU_DEP_1)
	v_dot4_i32_iu8 v13, v61 /*v317*/, v22, v13 neg_lo:[1,1,0]
	s_set_vgpr_msb 0                        ;  msbs: dst=0 src0=0 src1=0 src2=0
	v_perm_b32 v22, v12, v12, 0xc0c0100
	s_set_vgpr_msb 1                        ;  msbs: dst=0 src0=1 src1=0 src2=0
	v_dot4_i32_iu8 v13, v62 /*v318*/, v22, v13 neg_lo:[1,1,0]
	v_mul_i32_i24_e32 v22, v41 /*v297*/, v151
	s_delay_alu instid0(VALU_DEP_1) | instskip(NEXT) | instid1(VALU_DEP_1)
	v_dot4_i32_iu8 v22, v42 /*v298*/, v153, v22 neg_lo:[1,1,0]
	v_dot4_i32_iu8 v22, v44 /*v300*/, v160, v22 neg_lo:[1,1,0]
	s_delay_alu instid0(VALU_DEP_1) | instskip(NEXT) | instid1(VALU_DEP_1)
	v_dot4_i32_iu8 v22, v50 /*v306*/, v162, v22 neg_lo:[1,1,0]
	v_dot4_i32_iu8 v22, v51 /*v307*/, v163, v22 neg_lo:[1,1,0]
	s_delay_alu instid0(VALU_DEP_1) | instskip(SKIP_1) | instid1(VALU_DEP_1)
	v_dot4_i32_iu8 v22, v52 /*v308*/, v164, v22 neg_lo:[1,1,0]
	s_set_vgpr_msb 4                        ;  msbs: dst=0 src0=0 src1=1 src2=0
	v_mad_i32_i24 v22, v158, v46 /*v302*/, v22
	s_delay_alu instid0(VALU_DEP_1) | instskip(SKIP_3) | instid1(VALU_DEP_2)
	v_dot4_i32_iu8 v18, v254, v15 /*v271*/, v22 neg_lo:[1,1,0]
	s_set_vgpr_msb 0                        ;  msbs: dst=0 src0=0 src1=0 src2=0
	v_perm_b32 v22, v235, v234, 0x5040302
	s_set_vgpr_msb 4                        ;  msbs: dst=0 src0=0 src1=1 src2=0
	v_dot4_i32_iu8 v18, v255, v16 /*v272*/, v18 neg_lo:[1,1,0]
	s_set_vgpr_msb 0                        ;  msbs: dst=0 src0=0 src1=0 src2=0
	s_delay_alu instid0(VALU_DEP_2) | instskip(SKIP_4) | instid1(VALU_DEP_2)
	v_dot4_i32_iu8 v19, v22, v168, v19 neg_lo:[1,1,0]
	v_perm_b32 v22, v236, v235, 0x5040302
	s_set_vgpr_msb 5                        ;  msbs: dst=0 src0=1 src1=1 src2=0
	v_dot4_i32_iu8 v18, v17 /*v273*/, v0 /*v256*/, v18 neg_lo:[1,1,0]
	s_set_vgpr_msb 0                        ;  msbs: dst=0 src0=0 src1=0 src2=0
	v_dot4_i32_iu8 v19, v22, v239, v19 neg_lo:[1,1,0]
	v_perm_b32 v22, v237, v236, 0x5040302
	s_delay_alu instid0(VALU_DEP_3) | instskip(NEXT) | instid1(VALU_DEP_2)
	v_mul_lo_u32 v18, v18, v165
	v_dot4_i32_iu8 v19, v22, v240, v19 neg_lo:[1,1,0]
	s_set_vgpr_msb 1                        ;  msbs: dst=0 src0=1 src1=0 src2=0
	v_perm_b32 v22, v18 /*v274*/, v237, 0x5040302
	s_set_vgpr_msb 0                        ;  msbs: dst=0 src0=0 src1=0 src2=0
	s_delay_alu instid0(VALU_DEP_1) | instskip(SKIP_3) | instid1(VALU_DEP_1)
	v_dot4_i32_iu8 v19, v22, v241, v19 neg_lo:[1,1,0]
	s_set_vgpr_msb 5                        ;  msbs: dst=0 src0=1 src1=1 src2=0
	v_perm_b32 v22, v19 /*v275*/, v18 /*v274*/, 0x5040302
	s_set_vgpr_msb 0                        ;  msbs: dst=0 src0=0 src1=0 src2=0
	v_dot4_i32_iu8 v19, v22, v242, v19 neg_lo:[1,1,0]
	s_delay_alu instid0(VALU_DEP_1) | instskip(SKIP_2) | instid1(VALU_DEP_2)
	v_dot4_i32_iu8 v22, v25, v243, v19 neg_lo:[1,1,0]
	v_perm_b32 v19, v21, v20, 0xc040302
	s_set_vgpr_msb 1                        ;  msbs: dst=0 src0=1 src1=0 src2=0
	v_dot4_i32_iu8 v22, v20 /*v276*/, v244, v22 neg_lo:[1,1,0]
	s_set_vgpr_msb 17                       ;  msbs: dst=0 src0=1 src1=0 src2=1
	s_delay_alu instid0(VALU_DEP_2) | instskip(SKIP_1) | instid1(VALU_DEP_2)
	v_dot4_i32_iu8 v19, v53 /*v309*/, v19, v35 /*v291*/ neg_lo:[1,1,0]
	s_set_vgpr_msb 4                        ;  msbs: dst=0 src0=0 src1=1 src2=0
	v_dot4_i32_iu8 v22, v246, v55 /*v311*/, v22 neg_lo:[1,1,0]
	s_set_vgpr_msb 0                        ;  msbs: dst=0 src0=0 src1=0 src2=0
	s_delay_alu instid0(VALU_DEP_2) | instskip(SKIP_1) | instid1(VALU_DEP_3)
	v_mul_lo_u32 v20, v19, v165
	v_cvt_f32_i32_e32 v19, v18
	v_mul_lo_u32 v238, v22, v229
	v_mul_lo_u32 v22, v23, v229
	s_delay_alu instid0(VALU_DEP_4) | instskip(SKIP_2) | instid1(VALU_DEP_4)
	v_cvt_f32_i32_e32 v18, v20
	s_set_vgpr_msb 4                        ;  msbs: dst=0 src0=0 src1=1 src2=0
	v_pk_fma_f32 v[20:21], v[134:135], v[24:25] /*v[280:281]*/, 0 op_sel_hi:[0,1,0]
	v_cvt_f32_i32_e32 v23, v238
	s_set_vgpr_msb 1                        ;  msbs: dst=0 src0=1 src1=0 src2=0
	v_pk_fma_f32 v[18:19], v[22:23] /*v[278:279]*/, v[18:19], 0 op_sel_hi:[1,1,0]
	s_set_vgpr_msb 4                        ;  msbs: dst=0 src0=0 src1=1 src2=0
	v_cvt_f32_i32_e32 v22, v22
	v_pk_fma_f32 v[20:21], v[152:153], v[28:29] /*v[284:285]*/, v[20:21] op_sel_hi:[0,1,1]
	s_set_vgpr_msb 0                        ;  msbs: dst=0 src0=0 src1=0 src2=0
	v_perm_b32 v238, v9, v8, 0x4030201
	s_set_vgpr_msb 1                        ;  msbs: dst=0 src0=1 src1=0 src2=0
	v_pk_fma_f32 v[18:19], v[26:27] /*v[282:283]*/, v[22:23], v[18:19]
	s_set_vgpr_msb 0                        ;  msbs: dst=0 src0=0 src1=0 src2=0
	v_pk_mul_f32 v[20:21], v[20:21], v[120:121]
	v_perm_b32 v22, v236, v235, 0x6050403
	v_perm_b32 v23, v237, v236, 0x6050403
	v_perm_b32 v236, v10, v10, 0xc0c0201
	v_perm_b32 v237, v11, v10, 0x6050403
	v_pk_fma_f32 v[18:19], v[18:19], v[112:113], v[20:21] neg_lo:[0,0,1] neg_hi:[0,0,1]
	v_perm_b32 v20, v234, v234, 0xc0c0201
	v_perm_b32 v21, v235, v234, 0x6050403
	;; [unrolled: 1-line block ×4, first 2 shown]
	v_pk_add_f32 v[94:95], v[94:95], v[18:19]
	s_set_vgpr_msb 1                        ;  msbs: dst=0 src0=1 src1=0 src2=0
	v_mul_i32_i24_e32 v19, v48 /*v304*/, v228
	s_set_vgpr_msb 0                        ;  msbs: dst=0 src0=0 src1=0 src2=0
	v_dot4_i32_iu8 v18, v230, v146, 0 neg_lo:[1,1,0]
	v_perm_b32 v230, v16, v15, 0x6050403
	s_delay_alu instid0(VALU_DEP_3) | instskip(NEXT) | instid1(VALU_DEP_3)
	v_dot4_i32_iu8 v19, v20, v247, v19 neg_lo:[1,1,0]
	v_dot4_i32_iu8 v18, v231, v147, v18 neg_lo:[1,1,0]
	v_perm_b32 v231, v17, v16, 0xc0c0403
	s_delay_alu instid0(VALU_DEP_3) | instskip(NEXT) | instid1(VALU_DEP_3)
	v_dot4_i32_iu8 v19, v21, v248, v19 neg_lo:[1,1,0]
	v_dot4_i32_iu8 v18, v232, v144, v18 neg_lo:[1,1,0]
	s_set_vgpr_msb 4                        ;  msbs: dst=0 src0=0 src1=1 src2=0
	s_delay_alu instid0(VALU_DEP_3)
	v_dot4_i32_iu8 v15, v231, v56 /*v312*/, v140 neg_lo:[1,1,0]
	s_set_vgpr_msb 0                        ;  msbs: dst=0 src0=0 src1=0 src2=0
	v_perm_b32 v232, v7, v6, 0x4030201
	s_set_vgpr_msb 1                        ;  msbs: dst=0 src0=1 src1=0 src2=0
	v_perm_b32 v140, v38 /*v294*/, v12, 0xc0c0403
	s_set_vgpr_msb 0                        ;  msbs: dst=0 src0=0 src1=0 src2=0
	v_dot4_i32_iu8 v19, v22, v249, v19 neg_lo:[1,1,0]
	v_dot4_i32_iu8 v18, v233, v145, v18 neg_lo:[1,1,0]
	v_mul_lo_u32 v16, v15, v172
	v_perm_b32 v233, v8, v7, 0x4030201
	s_set_vgpr_msb 4                        ;  msbs: dst=0 src0=0 src1=1 src2=0
	v_pk_fma_f32 v[6:7], v[136:137], v[24:25] /*v[280:281]*/, 0 op_sel_hi:[0,1,0]
	s_set_vgpr_msb 0                        ;  msbs: dst=0 src0=0 src1=0 src2=0
	v_dot4_i32_iu8 v19, v23, v250, v19 neg_lo:[1,1,0]
	s_set_vgpr_msb 1                        ;  msbs: dst=0 src0=1 src1=0 src2=0
	v_dot4_i32_iu8 v18, v14 /*v270*/, v142, v18 neg_lo:[1,1,0]
	s_set_vgpr_msb 4                        ;  msbs: dst=0 src0=0 src1=1 src2=0
	v_pk_fma_f32 v[6:7], v[126:127], v[28:29] /*v[284:285]*/, v[6:7] op_sel_hi:[0,1,1]
	s_set_vgpr_msb 0                        ;  msbs: dst=0 src0=0 src1=0 src2=0
	v_dot4_i32_iu8 v19, v27, v26, v19 neg_lo:[1,1,0]
	s_set_vgpr_msb 5                        ;  msbs: dst=0 src0=1 src1=1 src2=0
	v_perm_b32 v26, v19 /*v275*/, v19 /*v275*/, 0xc0c0100
	s_set_vgpr_msb 1                        ;  msbs: dst=0 src0=1 src1=0 src2=0
	v_dot4_i32_iu8 v18, v15 /*v271*/, v143, v18 neg_lo:[1,1,0]
	s_set_vgpr_msb 0                        ;  msbs: dst=0 src0=0 src1=0 src2=0
	v_pk_mul_f32 v[6:7], v[6:7], v[124:125]
	s_set_vgpr_msb 1                        ;  msbs: dst=0 src0=1 src1=0 src2=0
	v_mad_i32_i24 v19, v49 /*v305*/, v227, v19
	v_dot4_i32_iu8 v18, v16 /*v272*/, v138, v18 neg_lo:[1,1,0]
	s_set_vgpr_msb 0                        ;  msbs: dst=0 src0=0 src1=0 src2=0
	s_delay_alu instid0(VALU_DEP_2) | instskip(SKIP_1) | instid1(VALU_DEP_2)
	v_dot4_i32_iu8 v19, v26, v251, v19 neg_lo:[1,1,0]
	s_set_vgpr_msb 1                        ;  msbs: dst=0 src0=1 src1=0 src2=0
	v_dot4_i32_iu8 v18, v17 /*v273*/, v139, v18 neg_lo:[1,1,0]
	s_set_vgpr_msb 0                        ;  msbs: dst=0 src0=0 src1=0 src2=0
	s_delay_alu instid0(VALU_DEP_2) | instskip(NEXT) | instid1(VALU_DEP_2)
	v_dot4_i32_iu8 v14, v25, v252, v19 neg_lo:[1,1,0]
	v_mul_lo_u32 v5, v18, v225
	s_set_vgpr_msb 4                        ;  msbs: dst=0 src0=0 src1=1 src2=0
	v_pk_fma_f32 v[18:19], v[148:149], v[24:25] /*v[280:281]*/, 0 op_sel_hi:[0,1,0]
	s_set_vgpr_msb 1                        ;  msbs: dst=0 src0=1 src1=0 src2=0
	v_dot4_i32_iu8 v14, v20 /*v276*/, v230, v14 neg_lo:[1,1,0]
	s_set_vgpr_msb 4                        ;  msbs: dst=0 src0=0 src1=1 src2=0
	s_delay_alu instid0(VALU_DEP_1) | instskip(NEXT) | instid1(VALU_DEP_4)
	v_dot4_i32_iu8 v14, v231, v55 /*v311*/, v14 neg_lo:[1,1,0]
	v_cvt_f32_i32_e32 v5, v5
	s_set_vgpr_msb 0                        ;  msbs: dst=0 src0=0 src1=0 src2=0
	s_delay_alu instid0(VALU_DEP_2) | instskip(SKIP_1) | instid1(VALU_DEP_2)
	v_mul_lo_u32 v14, v14, v172
	s_set_vgpr_msb 1                        ;  msbs: dst=0 src0=1 src1=0 src2=0
	v_pk_fma_f32 v[4:5], v[22:23] /*v[278:279]*/, v[4:5], 0 op_sel_hi:[1,1,0]
	s_set_vgpr_msb 0                        ;  msbs: dst=0 src0=0 src1=0 src2=0
	s_delay_alu instid0(VALU_DEP_2) | instskip(SKIP_2) | instid1(VALU_DEP_1)
	v_cvt_f32_i32_e32 v15, v14
	v_cvt_f32_i32_e32 v14, v16
	s_set_vgpr_msb 1                        ;  msbs: dst=0 src0=1 src1=0 src2=0
	v_pk_fma_f32 v[4:5], v[26:27] /*v[282:283]*/, v[14:15], v[4:5]
	s_set_vgpr_msb 4                        ;  msbs: dst=0 src0=0 src1=1 src2=0
	v_pk_fma_f32 v[14:15], v[150:151], v[28:29] /*v[284:285]*/, v[18:19] op_sel_hi:[0,1,1]
	s_set_vgpr_msb 0                        ;  msbs: dst=0 src0=0 src1=0 src2=0
	s_delay_alu instid0(VALU_DEP_1) | instskip(NEXT) | instid1(VALU_DEP_1)
	v_pk_mul_f32 v[14:15], v[14:15], v[122:123]
	v_pk_fma_f32 v[4:5], v[4:5], v[114:115], v[14:15] neg_lo:[0,0,1] neg_hi:[0,0,1]
	s_delay_alu instid0(VALU_DEP_1) | instskip(SKIP_3) | instid1(VALU_DEP_2)
	v_pk_add_f32 v[100:101], v[100:101], v[4:5]
	s_set_vgpr_msb 1                        ;  msbs: dst=0 src0=1 src1=0 src2=0
	v_mul_i32_i24_e32 v4, v41 /*v297*/, v169
	v_mul_i32_i24_e32 v5, v48 /*v304*/, v224
	v_dot4_i32_iu8 v4, v42 /*v298*/, v170, v4 neg_lo:[1,1,0]
	s_set_vgpr_msb 0                        ;  msbs: dst=0 src0=0 src1=0 src2=0
	s_delay_alu instid0(VALU_DEP_2) | instskip(SKIP_1) | instid1(VALU_DEP_2)
	v_dot4_i32_iu8 v5, v20, v234, v5 neg_lo:[1,1,0]
	s_set_vgpr_msb 1                        ;  msbs: dst=0 src0=1 src1=0 src2=0
	v_dot4_i32_iu8 v4, v44 /*v300*/, v173, v4 neg_lo:[1,1,0]
	s_set_vgpr_msb 0                        ;  msbs: dst=0 src0=0 src1=0 src2=0
	s_delay_alu instid0(VALU_DEP_2) | instskip(SKIP_1) | instid1(VALU_DEP_2)
	v_dot4_i32_iu8 v5, v21, v0, v5 neg_lo:[1,1,0]
	s_set_vgpr_msb 1                        ;  msbs: dst=0 src0=1 src1=0 src2=0
	;; [unrolled: 5-line block ×5, first 2 shown]
	v_mad_i32_i24 v4, v171, v46 /*v302*/, v4
	s_set_vgpr_msb 1                        ;  msbs: dst=0 src0=1 src1=0 src2=0
	s_delay_alu instid0(VALU_DEP_2) | instskip(SKIP_1) | instid1(VALU_DEP_2)
	v_mad_i32_i24 v3, v49 /*v305*/, v223, v3
	s_set_vgpr_msb 4                        ;  msbs: dst=0 src0=0 src1=1 src2=0
	v_dot4_i32_iu8 v4, v232, v15 /*v271*/, v4 neg_lo:[1,1,0]
	s_set_vgpr_msb 0                        ;  msbs: dst=0 src0=0 src1=0 src2=0
	s_delay_alu instid0(VALU_DEP_2) | instskip(SKIP_1) | instid1(VALU_DEP_2)
	v_dot4_i32_iu8 v3, v26, v236, v3 neg_lo:[1,1,0]
	s_set_vgpr_msb 4                        ;  msbs: dst=0 src0=0 src1=1 src2=0
	v_dot4_i32_iu8 v4, v233, v16 /*v272*/, v4 neg_lo:[1,1,0]
	s_set_vgpr_msb 0                        ;  msbs: dst=0 src0=0 src1=0 src2=0
	s_delay_alu instid0(VALU_DEP_2) | instskip(SKIP_1) | instid1(VALU_DEP_2)
	v_dot4_i32_iu8 v10, v25, v237, v3 neg_lo:[1,1,0]
	s_set_vgpr_msb 1                        ;  msbs: dst=0 src0=1 src1=0 src2=0
	v_dot4_i32_iu8 v3, v17 /*v273*/, v238, v4 neg_lo:[1,1,0]
	s_set_vgpr_msb 0                        ;  msbs: dst=0 src0=0 src1=0 src2=0
	v_perm_b32 v4, v9, v8, 0xc040302
	s_set_vgpr_msb 5                        ;  msbs: dst=0 src0=1 src1=1 src2=0
	v_mad_i32_i24 v8, v31 /*v287*/, v30 /*v286*/, v13
	s_set_vgpr_msb 0                        ;  msbs: dst=0 src0=0 src1=0 src2=0
	v_mul_lo_u32 v3, v3, v175
	s_set_vgpr_msb 1                        ;  msbs: dst=0 src0=1 src1=0 src2=0
	v_dot4_i32_iu8 v4, v53 /*v309*/, v4, v24 neg_lo:[1,1,0]
	s_set_vgpr_msb 4                        ;  msbs: dst=0 src0=0 src1=1 src2=0
	v_dot4_i32_iu8 v8, v140, v56 /*v312*/, v8 neg_lo:[1,1,0]
	s_set_vgpr_msb 0                        ;  msbs: dst=0 src0=0 src1=0 src2=0
	s_delay_alu instid0(VALU_DEP_2) | instskip(NEXT) | instid1(VALU_DEP_2)
	v_mul_lo_u32 v4, v4, v175
	v_mul_lo_u32 v8, v8, v129
	v_cvt_f32_i32_e32 v5, v3
	v_perm_b32 v3, v12, v11, 0x6050403
	s_set_vgpr_msb 1                        ;  msbs: dst=0 src0=1 src1=0 src2=0
	s_delay_alu instid0(VALU_DEP_1) | instskip(SKIP_3) | instid1(VALU_DEP_3)
	v_dot4_i32_iu8 v9, v20 /*v276*/, v3, v10 neg_lo:[1,1,0]
	s_set_vgpr_msb 4                        ;  msbs: dst=0 src0=0 src1=1 src2=0
	v_cvt_f32_i32_e32 v4, v4
	v_cvt_f32_i32_e32 v8, v8
	v_dot4_i32_iu8 v9, v140, v55 /*v311*/, v9 neg_lo:[1,1,0]
	s_set_vgpr_msb 1                        ;  msbs: dst=0 src0=1 src1=0 src2=0
	s_delay_alu instid0(VALU_DEP_3) | instskip(SKIP_1) | instid1(VALU_DEP_2)
	v_pk_fma_f32 v[4:5], v[22:23] /*v[278:279]*/, v[4:5], 0 op_sel_hi:[1,1,0]
	s_set_vgpr_msb 0                        ;  msbs: dst=0 src0=0 src1=0 src2=0
	v_mul_lo_u32 v9, v9, v129
	s_delay_alu instid0(VALU_DEP_1) | instskip(SKIP_1) | instid1(VALU_DEP_1)
	v_cvt_f32_i32_e32 v9, v9
	s_set_vgpr_msb 1                        ;  msbs: dst=0 src0=1 src1=0 src2=0
	v_pk_fma_f32 v[4:5], v[26:27] /*v[282:283]*/, v[8:9], v[4:5]
	s_set_vgpr_msb 0                        ;  msbs: dst=0 src0=0 src1=0 src2=0
	s_delay_alu instid0(VALU_DEP_1) | instskip(NEXT) | instid1(VALU_DEP_1)
	v_pk_fma_f32 v[4:5], v[4:5], v[116:117], v[6:7] neg_lo:[0,0,1] neg_hi:[0,0,1]
	v_pk_add_f32 v[104:105], v[104:105], v[4:5]
	v_or_b32_e32 v4, s12, v179
	s_delay_alu instid0(VALU_DEP_1)
	v_lshlrev_b32_e32 v16, 2, v4
	s_set_vgpr_msb 64                       ;  msbs: dst=1 src0=0 src1=0 src2=0
	v_lshrrev_b32_e32 v14 /*v270*/, 1, v4
	s_set_vgpr_msb 0                        ;  msbs: dst=0 src0=0 src1=0 src2=0
	ds_load_b128 v[8:11], v16 offset:33280
	ds_load_b128 v[4:7], v16 offset:33296
	;; [unrolled: 1-line block ×4, first 2 shown]
	s_wait_dscnt 0x3
	v_bfe_i32 v20, v8, 0, 8
	v_perm_b32 v26, v8, v8, 0xc0c0201
	v_perm_b32 v27, v9, v8, 0x6050403
	v_dot4_i32_iu8 v8, v8, v146, 0 neg_lo:[1,1,0]
	s_set_vgpr_msb 64                       ;  msbs: dst=1 src0=0 src1=0 src2=0
	v_perm_b32 v15 /*v271*/, v10, v9, 0x6050403
	s_set_vgpr_msb 0                        ;  msbs: dst=0 src0=0 src1=0 src2=0
	v_mul_i32_i24_e32 v25, v20, v155
	s_set_vgpr_msb 64                       ;  msbs: dst=1 src0=0 src1=0 src2=0
	v_perm_b32 v16 /*v272*/, v11, v10, 0x6050403
	s_wait_dscnt 0x2
	v_perm_b32 v17 /*v273*/, v4, v11, 0x6050403
	s_set_vgpr_msb 0                        ;  msbs: dst=0 src0=0 src1=0 src2=0
	v_dot4_i32_iu8 v8, v9, v147, v8 neg_lo:[1,1,0]
	v_ashrrev_i32_e32 v21, 24, v4
	v_dot4_i32_iu8 v25, v26, v156, v25 neg_lo:[1,1,0]
	s_wait_dscnt 0x1
	v_bfe_i32 v22, v12, 0, 8
	v_bfe_i32 v23, v12, 8, 8
	v_dot4_i32_iu8 v8, v10, v144, v8 neg_lo:[1,1,0]
	v_perm_b32 v9, v13, v12, 0x6050403
	v_dot4_i32_iu8 v25, v27, v157, v25 neg_lo:[1,1,0]
	s_set_vgpr_msb 64                       ;  msbs: dst=1 src0=0 src1=0 src2=0
	v_perm_b32 v18 /*v274*/, v13, v12, 0x5040302
	s_set_vgpr_msb 0                        ;  msbs: dst=0 src0=0 src1=0 src2=0
	v_perm_b32 v10, v14, v13, 0x6050403
	v_dot4_i32_iu8 v8, v11, v145, v8 neg_lo:[1,1,0]
	s_set_vgpr_msb 64                       ;  msbs: dst=1 src0=0 src1=0 src2=0
	v_perm_b32 v19 /*v275*/, v14, v13, 0x5040302
	s_set_vgpr_msb 5                        ;  msbs: dst=0 src0=1 src1=1 src2=0
	v_dot4_i32_iu8 v25, v15 /*v271*/, v1 /*v257*/, v25 neg_lo:[1,1,0]
	s_set_vgpr_msb 0                        ;  msbs: dst=0 src0=0 src1=0 src2=0
	v_perm_b32 v11, v15, v14, 0x6050403
	s_set_vgpr_msb 64                       ;  msbs: dst=1 src0=0 src1=0 src2=0
	v_perm_b32 v21 /*v277*/, v15, v14, 0x5040302
	s_set_vgpr_msb 0                        ;  msbs: dst=0 src0=0 src1=0 src2=0
	v_dot4_i32_iu8 v4, v4, v142, v8 neg_lo:[1,1,0]
	v_perm_b32 v8, v12, v12, 0xc0c0201
	s_set_vgpr_msb 5                        ;  msbs: dst=0 src0=1 src1=1 src2=0
	v_dot4_i32_iu8 v25, v16 /*v272*/, v2 /*v258*/, v25 neg_lo:[1,1,0]
	s_wait_dscnt 0x0
	s_set_vgpr_msb 0                        ;  msbs: dst=0 src0=0 src1=0 src2=0
	v_perm_b32 v12, v16, v141, 0x6050403
	v_perm_b32 v13, v226, v15, 0x6050403
	v_dot4_i32_iu8 v4, v5, v143, v4 neg_lo:[1,1,0]
	v_ashrrev_i32_e32 v24, 24, v16
	s_set_vgpr_msb 5                        ;  msbs: dst=0 src0=1 src1=1 src2=0
	v_dot4_i32_iu8 v25, v17 /*v273*/, v3 /*v259*/, v25 neg_lo:[1,1,0]
	s_set_vgpr_msb 64                       ;  msbs: dst=1 src0=0 src1=0 src2=0
	v_perm_b32 v22 /*v278*/, v16, v15, 0x5040302
	v_perm_b32 v23 /*v279*/, v17, v16, 0x5040302
	v_dot4_i32_iu8 v28 /*v284*/, v6, v138, v4 neg_lo:[1,1,0]
	s_set_vgpr_msb 0                        ;  msbs: dst=0 src0=0 src1=0 src2=0
	v_mul_i32_i24_e32 v4, v22, v228
	v_mad_i32_i24 v25, v154, v21, v25
	s_set_vgpr_msb 64                       ;  msbs: dst=1 src0=0 src1=0 src2=0
	v_perm_b32 v24 /*v280*/, v18, v17, 0x5040302
	v_perm_b32 v46 /*v302*/, v19, v130, 0x5040302
	s_set_vgpr_msb 0                        ;  msbs: dst=0 src0=0 src1=0 src2=0
	v_dot4_i32_iu8 v4, v8, v247, v4 neg_lo:[1,1,0]
	s_set_vgpr_msb 1                        ;  msbs: dst=0 src0=1 src1=0 src2=0
	v_dot4_i32_iu8 v25, v12 /*v268*/, v5, v25 neg_lo:[1,1,0]
	s_set_vgpr_msb 0                        ;  msbs: dst=0 src0=0 src1=0 src2=0
	s_delay_alu instid0(VALU_DEP_2) | instskip(SKIP_1) | instid1(VALU_DEP_2)
	v_dot4_i32_iu8 v4, v9, v248, v4 neg_lo:[1,1,0]
	s_set_vgpr_msb 0x41                     ;  msbs: dst=1 src0=1 src1=0 src2=0
	v_dot4_i32_iu8 v20 /*v276*/, v13 /*v269*/, v6, v25 neg_lo:[1,1,0]
	s_set_vgpr_msb 1                        ;  msbs: dst=0 src0=1 src1=0 src2=0
	v_mul_i32_i24_e32 v25, v5 /*v261*/, v22
	s_set_vgpr_msb 0                        ;  msbs: dst=0 src0=0 src1=0 src2=0
	v_dot4_i32_iu8 v4, v10, v249, v4 neg_lo:[1,1,0]
	s_set_vgpr_msb 1                        ;  msbs: dst=0 src0=1 src1=0 src2=0
	s_delay_alu instid0(VALU_DEP_2) | instskip(SKIP_1) | instid1(VALU_DEP_2)
	v_mad_i32_i24 v25, v4 /*v260*/, v23, v25
	s_set_vgpr_msb 0                        ;  msbs: dst=0 src0=0 src1=0 src2=0
	v_dot4_i32_iu8 v4, v11, v250, v4 neg_lo:[1,1,0]
	s_set_vgpr_msb 5                        ;  msbs: dst=0 src0=1 src1=1 src2=0
	s_delay_alu instid0(VALU_DEP_2) | instskip(SKIP_1) | instid1(VALU_DEP_2)
	v_dot4_i32_iu8 v25, v6 /*v262*/, v18 /*v274*/, v25 neg_lo:[1,1,0]
	s_set_vgpr_msb 0                        ;  msbs: dst=0 src0=0 src1=0 src2=0
	v_dot4_i32_iu8 v4, v13, v12, v4 neg_lo:[1,1,0]
	v_perm_b32 v12, v17, v17, 0xc0c0100
	s_set_vgpr_msb 5                        ;  msbs: dst=0 src0=1 src1=1 src2=0
	v_dot4_i32_iu8 v25, v7 /*v263*/, v19 /*v275*/, v25 neg_lo:[1,1,0]
	s_set_vgpr_msb 0                        ;  msbs: dst=0 src0=0 src1=0 src2=0
	v_mad_i32_i24 v4, v227, v24, v4
	s_set_vgpr_msb 5                        ;  msbs: dst=0 src0=1 src1=1 src2=0
	s_delay_alu instid0(VALU_DEP_2) | instskip(SKIP_1) | instid1(VALU_DEP_2)
	v_dot4_i32_iu8 v25, v8 /*v264*/, v21 /*v277*/, v25 neg_lo:[1,1,0]
	s_set_vgpr_msb 0                        ;  msbs: dst=0 src0=0 src1=0 src2=0
	v_dot4_i32_iu8 v4, v251, v12, v4 neg_lo:[1,1,0]
	s_set_vgpr_msb 5                        ;  msbs: dst=0 src0=1 src1=1 src2=0
	s_delay_alu instid0(VALU_DEP_2) | instskip(SKIP_1) | instid1(VALU_DEP_2)
	v_dot4_i32_iu8 v25, v9 /*v265*/, v22 /*v278*/, v25 neg_lo:[1,1,0]
	s_set_vgpr_msb 0x44                     ;  msbs: dst=1 src0=0 src1=1 src2=0
	v_dot4_i32_iu8 v29 /*v285*/, v252, v24 /*v280*/, v4 neg_lo:[1,1,0]
	s_set_vgpr_msb 0                        ;  msbs: dst=0 src0=0 src1=0 src2=0
	v_mul_i32_i24_e32 v4, v20, v169
	s_set_vgpr_msb 5                        ;  msbs: dst=0 src0=1 src1=1 src2=0
	v_dot4_i32_iu8 v25, v10 /*v266*/, v23 /*v279*/, v25 neg_lo:[1,1,0]
	s_set_vgpr_msb 0                        ;  msbs: dst=0 src0=0 src1=0 src2=0
	s_delay_alu instid0(VALU_DEP_2) | instskip(SKIP_1) | instid1(VALU_DEP_2)
	v_dot4_i32_iu8 v4, v26, v170, v4 neg_lo:[1,1,0]
	s_set_vgpr_msb 0x45                     ;  msbs: dst=1 src0=1 src1=1 src2=0
	v_dot4_i32_iu8 v25 /*v281*/, v11 /*v267*/, v24 /*v280*/, v25 neg_lo:[1,1,0]
	s_set_vgpr_msb 0                        ;  msbs: dst=0 src0=0 src1=0 src2=0
	v_mul_i32_i24_e32 v25, v20, v151
	v_dot4_i32_iu8 v4, v27, v173, v4 neg_lo:[1,1,0]
	s_delay_alu instid0(VALU_DEP_2) | instskip(SKIP_1) | instid1(VALU_DEP_2)
	v_dot4_i32_iu8 v25, v26, v153, v25 neg_lo:[1,1,0]
	s_set_vgpr_msb 1                        ;  msbs: dst=0 src0=1 src1=0 src2=0
	v_dot4_i32_iu8 v4, v15 /*v271*/, v174, v4 neg_lo:[1,1,0]
	s_set_vgpr_msb 0                        ;  msbs: dst=0 src0=0 src1=0 src2=0
	s_delay_alu instid0(VALU_DEP_2) | instskip(SKIP_1) | instid1(VALU_DEP_2)
	v_dot4_i32_iu8 v25, v27, v160, v25 neg_lo:[1,1,0]
	s_set_vgpr_msb 1                        ;  msbs: dst=0 src0=1 src1=0 src2=0
	v_dot4_i32_iu8 v4, v16 /*v272*/, v221, v4 neg_lo:[1,1,0]
	s_delay_alu instid0(VALU_DEP_2) | instskip(NEXT) | instid1(VALU_DEP_2)
	v_dot4_i32_iu8 v25, v15 /*v271*/, v162, v25 neg_lo:[1,1,0]
	v_dot4_i32_iu8 v4, v17 /*v273*/, v222, v4 neg_lo:[1,1,0]
	s_delay_alu instid0(VALU_DEP_2) | instskip(SKIP_1) | instid1(VALU_DEP_2)
	v_dot4_i32_iu8 v25, v16 /*v272*/, v163, v25 neg_lo:[1,1,0]
	s_set_vgpr_msb 0                        ;  msbs: dst=0 src0=0 src1=0 src2=0
	v_mad_i32_i24 v4, v171, v21, v4
	s_set_vgpr_msb 1                        ;  msbs: dst=0 src0=1 src1=0 src2=0
	s_delay_alu instid0(VALU_DEP_2) | instskip(SKIP_1) | instid1(VALU_DEP_2)
	v_dot4_i32_iu8 v25, v17 /*v273*/, v164, v25 neg_lo:[1,1,0]
	s_set_vgpr_msb 0                        ;  msbs: dst=0 src0=0 src1=0 src2=0
	v_dot4_i32_iu8 v4, v232, v5, v4 neg_lo:[1,1,0]
	s_delay_alu instid0(VALU_DEP_2) | instskip(NEXT) | instid1(VALU_DEP_1)
	v_mad_i32_i24 v25, v158, v21, v25
	v_dot4_i32_iu8 v25, v254, v5, v25 neg_lo:[1,1,0]
	v_perm_b32 v5, v16, v15, 0x6050403
	s_set_vgpr_msb 64                       ;  msbs: dst=1 src0=0 src1=0 src2=0
	s_delay_alu instid0(VALU_DEP_2) | instskip(SKIP_4) | instid1(VALU_DEP_3)
	v_dot4_i32_iu8 v26 /*v282*/, v255, v6, v25 neg_lo:[1,1,0]
	s_set_vgpr_msb 0                        ;  msbs: dst=0 src0=0 src1=0 src2=0
	v_dot4_i32_iu8 v6, v233, v6, v4 neg_lo:[1,1,0]
	v_mul_i32_i24_e32 v4, v22, v224
	v_mul_i32_i24_e32 v25, v22, v166
	v_dot4_i32_iu8 v6, v7, v238, v6 neg_lo:[1,1,0]
	s_delay_alu instid0(VALU_DEP_3) | instskip(NEXT) | instid1(VALU_DEP_3)
	v_dot4_i32_iu8 v4, v8, v234, v4 neg_lo:[1,1,0]
	v_mad_i32_i24 v23, v23, v167, v25
	s_delay_alu instid0(VALU_DEP_3) | instskip(NEXT) | instid1(VALU_DEP_3)
	v_mul_lo_u32 v6, v6, v175
	v_dot4_i32_iu8 v4, v9, v0, v4 neg_lo:[1,1,0]
	s_set_vgpr_msb 1                        ;  msbs: dst=0 src0=1 src1=0 src2=0
	s_delay_alu instid0(VALU_DEP_3) | instskip(SKIP_1) | instid1(VALU_DEP_2)
	v_dot4_i32_iu8 v23, v18 /*v274*/, v168, v23 neg_lo:[1,1,0]
	s_set_vgpr_msb 0                        ;  msbs: dst=0 src0=0 src1=0 src2=0
	v_dot4_i32_iu8 v4, v10, v1, v4 neg_lo:[1,1,0]
	s_set_vgpr_msb 1                        ;  msbs: dst=0 src0=1 src1=0 src2=0
	s_delay_alu instid0(VALU_DEP_2) | instskip(SKIP_1) | instid1(VALU_DEP_2)
	v_dot4_i32_iu8 v23, v19 /*v275*/, v239, v23 neg_lo:[1,1,0]
	s_set_vgpr_msb 0                        ;  msbs: dst=0 src0=0 src1=0 src2=0
	v_dot4_i32_iu8 v4, v11, v2, v4 neg_lo:[1,1,0]
	s_set_vgpr_msb 1                        ;  msbs: dst=0 src0=1 src1=0 src2=0
	s_delay_alu instid0(VALU_DEP_2)
	v_dot4_i32_iu8 v23, v21 /*v277*/, v240, v23 neg_lo:[1,1,0]
	s_set_vgpr_msb 0                        ;  msbs: dst=0 src0=0 src1=0 src2=0
	v_cvt_f32_i32_e32 v6, v6
	v_dot4_i32_iu8 v4, v235, v5, v4 neg_lo:[1,1,0]
	s_set_vgpr_msb 1                        ;  msbs: dst=0 src0=1 src1=0 src2=0
	v_dot4_i32_iu8 v23, v22 /*v278*/, v241, v23 neg_lo:[1,1,0]
	s_set_vgpr_msb 0                        ;  msbs: dst=0 src0=0 src1=0 src2=0
	s_delay_alu instid0(VALU_DEP_2) | instskip(SKIP_1) | instid1(VALU_DEP_2)
	v_mad_i32_i24 v4, v223, v24, v4
	s_set_vgpr_msb 1                        ;  msbs: dst=0 src0=1 src1=0 src2=0
	v_dot4_i32_iu8 v23, v23 /*v279*/, v242, v23 neg_lo:[1,1,0]
	s_set_vgpr_msb 64                       ;  msbs: dst=1 src0=0 src1=0 src2=0
	v_perm_b32 v23 /*v279*/, v131, v18, 0x5040302
	s_set_vgpr_msb 0                        ;  msbs: dst=0 src0=0 src1=0 src2=0
	v_dot4_i32_iu8 v4, v236, v12, v4 neg_lo:[1,1,0]
	s_set_vgpr_msb 0x41                     ;  msbs: dst=1 src0=1 src1=0 src2=0
	v_dot4_i32_iu8 v27 /*v283*/, v24 /*v280*/, v243, v23 neg_lo:[1,1,0]
	s_set_vgpr_msb 0x55                     ;  msbs: dst=1 src0=1 src1=1 src2=1
	v_dot4_i32_iu8 v23 /*v279*/, v46 /*v302*/, v23 /*v279*/, v25 /*v281*/ neg_lo:[1,1,0]
	s_set_vgpr_msb 0x44                     ;  msbs: dst=1 src0=0 src1=1 src2=0
	v_dot4_i32_iu8 v24 /*v280*/, v237, v24 /*v280*/, v4 neg_lo:[1,1,0]
	s_set_vgpr_msb 0                        ;  msbs: dst=0 src0=0 src1=0 src2=0
	v_or_b32_e32 v4, s12, v180
	s_delay_alu instid0(VALU_DEP_1)
	v_lshlrev_b32_e32 v5, 2, v4
	ds_load_b128 v[8:11], v5 offset:33280
	ds_load_b128 v[12:15], v5 offset:33296
	;; [unrolled: 1-line block ×4, first 2 shown]
	v_lshrrev_b32_e32 v16, 1, v4
	s_wait_dscnt 0x3
	s_set_vgpr_msb 64                       ;  msbs: dst=1 src0=0 src1=0 src2=0
	v_bfe_i32 v30 /*v286*/, v8, 0, 8
	v_perm_b32 v35 /*v291*/, v8, v8, 0xc0c0201
	v_perm_b32 v36 /*v292*/, v9, v8, 0x6050403
	;; [unrolled: 1-line block ×4, first 2 shown]
	s_set_vgpr_msb 1                        ;  msbs: dst=0 src0=1 src1=0 src2=0
	v_mul_i32_i24_e32 v4, v30 /*v286*/, v155
	s_wait_dscnt 0x2
	s_set_vgpr_msb 64                       ;  msbs: dst=1 src0=0 src1=0 src2=0
	v_perm_b32 v39 /*v295*/, v12, v11, 0x6050403
	v_ashrrev_i32_e32 v31 /*v287*/, 24, v12
	s_wait_dscnt 0x1
	v_bfe_i32 v32 /*v288*/, v20, 0, 8
	v_bfe_i32 v33 /*v289*/, v20, 8, 8
	s_set_vgpr_msb 1                        ;  msbs: dst=0 src0=1 src1=0 src2=0
	v_dot4_i32_iu8 v4, v35 /*v291*/, v156, v4 neg_lo:[1,1,0]
	s_set_vgpr_msb 64                       ;  msbs: dst=1 src0=0 src1=0 src2=0
	v_perm_b32 v40 /*v296*/, v21, v20, 0x5040302
	v_perm_b32 v41 /*v297*/, v22, v21, 0x5040302
	;; [unrolled: 1-line block ×3, first 2 shown]
	s_wait_dscnt 0x0
	v_perm_b32 v43 /*v299*/, v24, v23, 0x5040302
	s_set_vgpr_msb 1                        ;  msbs: dst=0 src0=1 src1=0 src2=0
	v_dot4_i32_iu8 v4, v36 /*v292*/, v157, v4 neg_lo:[1,1,0]
	s_set_vgpr_msb 64                       ;  msbs: dst=1 src0=0 src1=0 src2=0
	v_perm_b32 v44 /*v300*/, v25, v24, 0x5040302
	v_perm_b32 v45 /*v301*/, v26, v25, 0x5040302
	;; [unrolled: 1-line block ×4, first 2 shown]
	s_set_vgpr_msb 5                        ;  msbs: dst=0 src0=1 src1=1 src2=0
	v_dot4_i32_iu8 v4, v37 /*v293*/, v1 /*v257*/, v4 neg_lo:[1,1,0]
	s_set_vgpr_msb 0                        ;  msbs: dst=0 src0=0 src1=0 src2=0
	v_perm_b32 v26, v27, v26, 0x5040302
	v_dot4_i32_iu8 v8, v8, v146, 0 neg_lo:[1,1,0]
	s_set_vgpr_msb 64                       ;  msbs: dst=1 src0=0 src1=0 src2=0
	v_ashrrev_i32_e32 v34 /*v290*/, 24, v24
	s_set_vgpr_msb 5                        ;  msbs: dst=0 src0=1 src1=1 src2=0
	v_dot4_i32_iu8 v4, v38 /*v294*/, v2 /*v258*/, v4 neg_lo:[1,1,0]
	s_set_vgpr_msb 0                        ;  msbs: dst=0 src0=0 src1=0 src2=0
	v_dot4_i32_iu8 v8, v9, v147, v8 neg_lo:[1,1,0]
	s_set_vgpr_msb 1                        ;  msbs: dst=0 src0=1 src1=0 src2=0
	v_mul_i32_i24_e32 v9, v32 /*v288*/, v228
	s_set_vgpr_msb 5                        ;  msbs: dst=0 src0=1 src1=1 src2=0
	v_dot4_i32_iu8 v4, v39 /*v295*/, v3 /*v259*/, v4 neg_lo:[1,1,0]
	s_set_vgpr_msb 0                        ;  msbs: dst=0 src0=0 src1=0 src2=0
	v_dot4_i32_iu8 v8, v10, v144, v8 neg_lo:[1,1,0]
	v_perm_b32 v10, v24, v141, 0x6050403
	s_set_vgpr_msb 4                        ;  msbs: dst=0 src0=0 src1=1 src2=0
	v_mad_i32_i24 v4, v154, v31 /*v287*/, v4
	s_set_vgpr_msb 0                        ;  msbs: dst=0 src0=0 src1=0 src2=0
	v_dot4_i32_iu8 v8, v11, v145, v8 neg_lo:[1,1,0]
	v_perm_b32 v11, v226, v23, 0x6050403
	s_set_vgpr_msb 1                        ;  msbs: dst=0 src0=1 src1=0 src2=0
	v_dot4_i32_iu8 v4, v12 /*v268*/, v13, v4 neg_lo:[1,1,0]
	s_set_vgpr_msb 0                        ;  msbs: dst=0 src0=0 src1=0 src2=0
	v_dot4_i32_iu8 v8, v12, v142, v8 neg_lo:[1,1,0]
	v_perm_b32 v12, v20, v20, 0xc0c0201
	s_set_vgpr_msb 0x41                     ;  msbs: dst=1 src0=1 src1=0 src2=0
	v_dot4_i32_iu8 v21 /*v277*/, v13 /*v269*/, v14, v4 neg_lo:[1,1,0]
	s_set_vgpr_msb 5                        ;  msbs: dst=0 src0=1 src1=1 src2=0
	v_mul_i32_i24_e32 v4, v5 /*v261*/, v32 /*v288*/
	s_set_vgpr_msb 0                        ;  msbs: dst=0 src0=0 src1=0 src2=0
	v_dot4_i32_iu8 v8, v13, v143, v8 neg_lo:[1,1,0]
	v_dot4_i32_iu8 v9, v12, v247, v9 neg_lo:[1,1,0]
	s_set_vgpr_msb 5                        ;  msbs: dst=0 src0=1 src1=1 src2=0
	v_mad_i32_i24 v4, v4 /*v260*/, v33 /*v289*/, v4
	s_set_vgpr_msb 0                        ;  msbs: dst=0 src0=0 src1=0 src2=0
	v_dot4_i32_iu8 v8, v14, v138, v8 neg_lo:[1,1,0]
	s_set_vgpr_msb 5                        ;  msbs: dst=0 src0=1 src1=1 src2=0
	s_delay_alu instid0(VALU_DEP_2) | instskip(SKIP_1) | instid1(VALU_DEP_2)
	v_dot4_i32_iu8 v4, v6 /*v262*/, v40 /*v296*/, v4 neg_lo:[1,1,0]
	s_set_vgpr_msb 0                        ;  msbs: dst=0 src0=0 src1=0 src2=0
	v_dot4_i32_iu8 v8, v15, v139, v8 neg_lo:[1,1,0]
	s_set_vgpr_msb 5                        ;  msbs: dst=0 src0=1 src1=1 src2=0
	s_delay_alu instid0(VALU_DEP_2) | instskip(SKIP_1) | instid1(VALU_DEP_2)
	v_dot4_i32_iu8 v4, v7 /*v263*/, v41 /*v297*/, v4 neg_lo:[1,1,0]
	s_set_vgpr_msb 0                        ;  msbs: dst=0 src0=0 src1=0 src2=0
	v_mul_lo_u32 v8, v8, v225
	s_set_vgpr_msb 5                        ;  msbs: dst=0 src0=1 src1=1 src2=0
	s_delay_alu instid0(VALU_DEP_2) | instskip(NEXT) | instid1(VALU_DEP_1)
	v_dot4_i32_iu8 v4, v8 /*v264*/, v42 /*v298*/, v4 neg_lo:[1,1,0]
	v_dot4_i32_iu8 v4, v9 /*v265*/, v43 /*v299*/, v4 neg_lo:[1,1,0]
	s_delay_alu instid0(VALU_DEP_1) | instskip(SKIP_1) | instid1(VALU_DEP_1)
	v_dot4_i32_iu8 v4, v10 /*v266*/, v44 /*v300*/, v4 neg_lo:[1,1,0]
	s_set_vgpr_msb 0x45                     ;  msbs: dst=1 src0=1 src1=1 src2=0
	v_dot4_i32_iu8 v22 /*v278*/, v11 /*v267*/, v45 /*v301*/, v4 neg_lo:[1,1,0]
	s_set_vgpr_msb 1                        ;  msbs: dst=0 src0=1 src1=0 src2=0
	ds_load_b64 v[4:5], v14 /*v270*/ offset:43584
	s_set_vgpr_msb 0                        ;  msbs: dst=0 src0=0 src1=0 src2=0
	ds_load_b64 v[16:17], v16 offset:43584
	s_set_vgpr_msb 0x55                     ;  msbs: dst=1 src0=1 src1=1 src2=1
	v_dot4_i32_iu8 v22 /*v278*/, v46 /*v302*/, v25 /*v281*/, v22 /*v278*/ neg_lo:[1,1,0]
	s_set_vgpr_msb 64                       ;  msbs: dst=1 src0=0 src1=0 src2=0
	v_perm_b32 v25 /*v281*/, v27, v27, 0xc0c0302
	v_perm_b32 v46 /*v302*/, v19, v19, 0xc0c0302
	s_set_vgpr_msb 0x54                     ;  msbs: dst=1 src0=0 src1=1 src2=1
	s_delay_alu instid0(VALU_DEP_2) | instskip(NEXT) | instid1(VALU_DEP_2)
	v_dot4_i32_iu8 v22 /*v278*/, v245, v25 /*v281*/, v22 /*v278*/ neg_lo:[1,1,0]
	v_dot4_i32_iu8 v23 /*v279*/, v245, v46 /*v302*/, v23 /*v279*/ neg_lo:[1,1,0]
	s_set_vgpr_msb 0x41                     ;  msbs: dst=1 src0=1 src1=0 src2=0
	s_delay_alu instid0(VALU_DEP_2) | instskip(NEXT) | instid1(VALU_DEP_2)
	v_mul_lo_u32 v22 /*v278*/, v22 /*v278*/, v127
	v_mul_lo_u32 v47 /*v303*/, v23 /*v279*/, v127
	s_wait_dscnt 0x1
	s_set_vgpr_msb 64                       ;  msbs: dst=1 src0=0 src1=0 src2=0
	v_cvt_f32_f16_e64 v14 /*v270*/, v4
	s_wait_dscnt 0x0
	v_cvt_f32_f16_e64 v15 /*v271*/, v16
	s_set_vgpr_msb 0                        ;  msbs: dst=0 src0=0 src1=0 src2=0
	v_lshrrev_b32_e32 v4, 16, v4
	v_lshrrev_b32_e32 v16, 16, v16
	s_set_vgpr_msb 64                       ;  msbs: dst=1 src0=0 src1=0 src2=0
	v_cvt_f32_f16_e64 v19 /*v275*/, v17
	v_cvt_f32_f16_e64 v18 /*v274*/, v5
	;; [unrolled: 1-line block ×4, first 2 shown]
	s_set_vgpr_msb 16                       ;  msbs: dst=0 src0=0 src1=0 src2=1
	v_lshrrev_b32_e32 v4, 16, v5
	v_lshrrev_b32_e32 v5, 16, v17
	v_dot4_i32_iu8 v16, v15, v253, v21 /*v277*/ neg_lo:[1,1,0]
	v_dot4_i32_iu8 v17, v7, v253, v20 /*v276*/ neg_lo:[1,1,0]
	s_set_vgpr_msb 0x41                     ;  msbs: dst=1 src0=1 src1=0 src2=0
	v_cvt_f32_i32_e32 v23 /*v279*/, v22 /*v278*/
	s_set_vgpr_msb 0                        ;  msbs: dst=0 src0=0 src1=0 src2=0
	v_cvt_f32_f16_e32 v4, v4
	v_cvt_f32_f16_e32 v5, v5
	v_mul_lo_u32 v16, v16, v135
	s_set_vgpr_msb 64                       ;  msbs: dst=1 src0=0 src1=0 src2=0
	v_mul_lo_u32 v20 /*v276*/, v17, v135
	s_set_vgpr_msb 0x41                     ;  msbs: dst=1 src0=1 src1=0 src2=0
	v_cvt_f32_i32_e32 v22 /*v278*/, v47 /*v303*/
	s_set_vgpr_msb 0                        ;  msbs: dst=0 src0=0 src1=0 src2=0
	s_delay_alu instid0(VALU_DEP_3) | instskip(SKIP_1) | instid1(VALU_DEP_3)
	v_cvt_f32_i32_e32 v17, v16
	s_set_vgpr_msb 1                        ;  msbs: dst=0 src0=1 src1=0 src2=0
	v_cvt_f32_i32_e32 v16, v20 /*v276*/
	s_set_vgpr_msb 0x44                     ;  msbs: dst=1 src0=0 src1=1 src2=0
	v_pk_fma_f32 v[20:21] /*v[276:277]*/, v[132:133], v[16:17] /*v[272:273]*/, 0 op_sel_hi:[0,1,0]
	s_set_vgpr_msb 1                        ;  msbs: dst=0 src0=1 src1=0 src2=0
	s_delay_alu instid0(VALU_DEP_2) | instskip(SKIP_1) | instid1(VALU_DEP_2)
	v_pk_fma_f32 v[16:17], v[14:15] /*v[270:271]*/, v[16:17], 0 op_sel_hi:[1,1,0]
	s_set_vgpr_msb 0x50                     ;  msbs: dst=1 src0=0 src1=0 src2=1
	v_pk_fma_f32 v[20:21] /*v[276:277]*/, v[128:129], v[4:5], v[20:21] /*v[276:277]*/ op_sel_hi:[0,1,1]
	s_set_vgpr_msb 5                        ;  msbs: dst=0 src0=1 src1=1 src2=0
	s_delay_alu instid0(VALU_DEP_2) | instskip(SKIP_1) | instid1(VALU_DEP_2)
	v_pk_fma_f32 v[16:17], v[18:19] /*v[274:275]*/, v[22:23] /*v[278:279]*/, v[16:17]
	s_set_vgpr_msb 0x41                     ;  msbs: dst=1 src0=1 src1=0 src2=0
	v_pk_mul_f32 v[20:21] /*v[276:277]*/, v[20:21] /*v[276:277]*/, v[118:119]
	s_set_vgpr_msb 64                       ;  msbs: dst=1 src0=0 src1=0 src2=0
	v_perm_b32 v23 /*v279*/, v19, v18, 0x5040302
	s_set_vgpr_msb 16                       ;  msbs: dst=0 src0=0 src1=0 src2=1
	s_delay_alu instid0(VALU_DEP_2) | instskip(SKIP_1) | instid1(VALU_DEP_2)
	v_pk_fma_f32 v[16:17], v[16:17], v[110:111], v[20:21] /*v[276:277]*/ neg_lo:[0,0,1] neg_hi:[0,0,1]
	s_set_vgpr_msb 17                       ;  msbs: dst=0 src0=1 src1=0 src2=1
	v_dot4_i32_iu8 v18, v23 /*v279*/, v244, v27 /*v283*/ neg_lo:[1,1,0]
	s_set_vgpr_msb 0                        ;  msbs: dst=0 src0=0 src1=0 src2=0
	s_delay_alu instid0(VALU_DEP_2)
	v_pk_add_f32 v[76:77], v[76:77], v[16:17]
	s_set_vgpr_msb 1                        ;  msbs: dst=0 src0=1 src1=0 src2=0
	v_mul_i32_i24_e32 v16, v30 /*v286*/, v151
	v_mul_i32_i24_e32 v17, v32 /*v288*/, v166
	s_set_vgpr_msb 4                        ;  msbs: dst=0 src0=0 src1=1 src2=0
	v_dot4_i32_iu8 v18, v246, v46 /*v302*/, v18 neg_lo:[1,1,0]
	s_set_vgpr_msb 1                        ;  msbs: dst=0 src0=1 src1=0 src2=0
	v_dot4_i32_iu8 v16, v35 /*v291*/, v153, v16 neg_lo:[1,1,0]
	v_mad_i32_i24 v17, v33 /*v289*/, v167, v17
	s_set_vgpr_msb 0                        ;  msbs: dst=0 src0=0 src1=0 src2=0
	v_mul_lo_u32 v18, v18, v229
	s_set_vgpr_msb 1                        ;  msbs: dst=0 src0=1 src1=0 src2=0
	v_dot4_i32_iu8 v16, v36 /*v292*/, v160, v16 neg_lo:[1,1,0]
	v_dot4_i32_iu8 v17, v40 /*v296*/, v168, v17 neg_lo:[1,1,0]
	s_delay_alu instid0(VALU_DEP_2) | instskip(NEXT) | instid1(VALU_DEP_2)
	v_dot4_i32_iu8 v16, v37 /*v293*/, v162, v16 neg_lo:[1,1,0]
	v_dot4_i32_iu8 v17, v41 /*v297*/, v239, v17 neg_lo:[1,1,0]
	s_set_vgpr_msb 0                        ;  msbs: dst=0 src0=0 src1=0 src2=0
	v_cvt_f32_i32_e32 v18, v18
	s_set_vgpr_msb 1                        ;  msbs: dst=0 src0=1 src1=0 src2=0
	v_dot4_i32_iu8 v16, v38 /*v294*/, v163, v16 neg_lo:[1,1,0]
	v_dot4_i32_iu8 v17, v42 /*v298*/, v240, v17 neg_lo:[1,1,0]
	s_delay_alu instid0(VALU_DEP_2) | instskip(NEXT) | instid1(VALU_DEP_2)
	v_dot4_i32_iu8 v16, v39 /*v295*/, v164, v16 neg_lo:[1,1,0]
	v_dot4_i32_iu8 v17, v43 /*v299*/, v241, v17 neg_lo:[1,1,0]
	s_set_vgpr_msb 4                        ;  msbs: dst=0 src0=0 src1=1 src2=0
	s_delay_alu instid0(VALU_DEP_2) | instskip(SKIP_1) | instid1(VALU_DEP_2)
	v_mad_i32_i24 v16, v158, v31 /*v287*/, v16
	s_set_vgpr_msb 1                        ;  msbs: dst=0 src0=1 src1=0 src2=0
	v_dot4_i32_iu8 v17, v44 /*v300*/, v242, v17 neg_lo:[1,1,0]
	s_set_vgpr_msb 0                        ;  msbs: dst=0 src0=0 src1=0 src2=0
	s_delay_alu instid0(VALU_DEP_2) | instskip(SKIP_1) | instid1(VALU_DEP_2)
	v_dot4_i32_iu8 v16, v254, v13, v16 neg_lo:[1,1,0]
	s_set_vgpr_msb 0x41                     ;  msbs: dst=1 src0=1 src1=0 src2=0
	v_dot4_i32_iu8 v22 /*v278*/, v45 /*v301*/, v243, v17 neg_lo:[1,1,0]
	s_set_vgpr_msb 20                       ;  msbs: dst=0 src0=0 src1=1 src2=1
	v_dot4_i32_iu8 v17, v7, v0 /*v256*/, v26 /*v282*/ neg_lo:[1,1,0]
	s_set_vgpr_msb 0                        ;  msbs: dst=0 src0=0 src1=0 src2=0
	v_dot4_i32_iu8 v16, v255, v14, v16 neg_lo:[1,1,0]
	s_set_vgpr_msb 16                       ;  msbs: dst=0 src0=0 src1=0 src2=1
	v_dot4_i32_iu8 v19, v26, v244, v22 /*v278*/ neg_lo:[1,1,0]
	s_set_vgpr_msb 64                       ;  msbs: dst=1 src0=0 src1=0 src2=0
	v_mul_lo_u32 v20 /*v276*/, v17, v165
	s_set_vgpr_msb 4                        ;  msbs: dst=0 src0=0 src1=1 src2=0
	v_dot4_i32_iu8 v16, v15, v0 /*v256*/, v16 neg_lo:[1,1,0]
	v_dot4_i32_iu8 v19, v246, v25 /*v281*/, v19 neg_lo:[1,1,0]
	s_set_vgpr_msb 0                        ;  msbs: dst=0 src0=0 src1=0 src2=0
	s_delay_alu instid0(VALU_DEP_2) | instskip(NEXT) | instid1(VALU_DEP_2)
	v_mul_lo_u32 v16, v16, v165
	v_mul_lo_u32 v19, v19, v229
	s_delay_alu instid0(VALU_DEP_2)
	v_cvt_f32_i32_e32 v17, v16
	s_set_vgpr_msb 1                        ;  msbs: dst=0 src0=1 src1=0 src2=0
	v_cvt_f32_i32_e32 v16, v20 /*v276*/
	s_set_vgpr_msb 0x44                     ;  msbs: dst=1 src0=0 src1=1 src2=0
	v_pk_fma_f32 v[20:21] /*v[276:277]*/, v[134:135], v[16:17] /*v[272:273]*/, 0 op_sel_hi:[0,1,0]
	s_set_vgpr_msb 0                        ;  msbs: dst=0 src0=0 src1=0 src2=0
	s_delay_alu instid0(VALU_DEP_4) | instskip(SKIP_2) | instid1(VALU_DEP_1)
	v_cvt_f32_i32_e32 v19, v19
	s_set_vgpr_msb 1                        ;  msbs: dst=0 src0=1 src1=0 src2=0
	v_pk_fma_f32 v[16:17], v[14:15] /*v[270:271]*/, v[16:17], 0 op_sel_hi:[1,1,0]
	v_pk_fma_f32 v[16:17], v[18:19] /*v[274:275]*/, v[18:19], v[16:17]
	s_set_vgpr_msb 16                       ;  msbs: dst=0 src0=0 src1=0 src2=1
	v_pk_fma_f32 v[18:19], v[152:153], v[4:5], v[20:21] /*v[276:277]*/ op_sel_hi:[0,1,1]
	s_delay_alu instid0(VALU_DEP_1) | instskip(SKIP_1) | instid1(VALU_DEP_1)
	v_pk_mul_f32 v[18:19], v[18:19], v[120:121]
	s_set_vgpr_msb 0                        ;  msbs: dst=0 src0=0 src1=0 src2=0
	v_pk_fma_f32 v[16:17], v[16:17], v[112:113], v[18:19] neg_lo:[0,0,1] neg_hi:[0,0,1]
	v_perm_b32 v18, v21, v20, 0x6050403
	v_perm_b32 v19, v22, v21, 0x6050403
	;; [unrolled: 1-line block ×4, first 2 shown]
	v_pk_add_f32 v[88:89], v[88:89], v[16:17]
	v_dot4_i32_iu8 v9, v18, v248, v9 neg_lo:[1,1,0]
	s_set_vgpr_msb 17                       ;  msbs: dst=0 src0=1 src1=0 src2=1
	v_dot4_i32_iu8 v17, v23 /*v279*/, v230, v29 /*v285*/ neg_lo:[1,1,0]
	s_set_vgpr_msb 0                        ;  msbs: dst=0 src0=0 src1=0 src2=0
	s_delay_alu instid0(VALU_DEP_2) | instskip(SKIP_1) | instid1(VALU_DEP_2)
	v_dot4_i32_iu8 v9, v19, v249, v9 neg_lo:[1,1,0]
	s_set_vgpr_msb 4                        ;  msbs: dst=0 src0=0 src1=1 src2=0
	v_dot4_i32_iu8 v17, v231, v46 /*v302*/, v17 neg_lo:[1,1,0]
	s_set_vgpr_msb 0                        ;  msbs: dst=0 src0=0 src1=0 src2=0
	s_delay_alu instid0(VALU_DEP_2) | instskip(NEXT) | instid1(VALU_DEP_2)
	v_dot4_i32_iu8 v9, v20, v250, v9 neg_lo:[1,1,0]
	v_mul_lo_u32 v22, v17, v172
	s_delay_alu instid0(VALU_DEP_2) | instskip(SKIP_1) | instid1(VALU_DEP_1)
	v_dot4_i32_iu8 v9, v11, v10, v9 neg_lo:[1,1,0]
	s_set_vgpr_msb 4                        ;  msbs: dst=0 src0=0 src1=1 src2=0
	v_mad_i32_i24 v9, v227, v34 /*v290*/, v9
	s_set_vgpr_msb 0                        ;  msbs: dst=0 src0=0 src1=0 src2=0
	s_delay_alu instid0(VALU_DEP_1) | instskip(SKIP_1) | instid1(VALU_DEP_1)
	v_dot4_i32_iu8 v9, v251, v21, v9 neg_lo:[1,1,0]
	s_set_vgpr_msb 4                        ;  msbs: dst=0 src0=0 src1=1 src2=0
	v_dot4_i32_iu8 v16, v252, v45 /*v301*/, v9 neg_lo:[1,1,0]
	s_set_vgpr_msb 16                       ;  msbs: dst=0 src0=0 src1=0 src2=1
	v_dot4_i32_iu8 v9, v7, v139, v28 /*v284*/ neg_lo:[1,1,0]
	s_set_vgpr_msb 0                        ;  msbs: dst=0 src0=0 src1=0 src2=0
	s_delay_alu instid0(VALU_DEP_2) | instskip(NEXT) | instid1(VALU_DEP_2)
	v_dot4_i32_iu8 v16, v26, v230, v16 neg_lo:[1,1,0]
	v_mul_lo_u32 v10, v9, v225
	v_cvt_f32_i32_e32 v9, v8
	s_set_vgpr_msb 4                        ;  msbs: dst=0 src0=0 src1=1 src2=0
	s_delay_alu instid0(VALU_DEP_3) | instskip(SKIP_1) | instid1(VALU_DEP_1)
	v_dot4_i32_iu8 v16, v231, v25 /*v281*/, v16 neg_lo:[1,1,0]
	s_set_vgpr_msb 0                        ;  msbs: dst=0 src0=0 src1=0 src2=0
	v_mul_lo_u32 v16, v16, v172
	s_delay_alu instid0(VALU_DEP_4) | instskip(SKIP_3) | instid1(VALU_DEP_2)
	v_cvt_f32_i32_e32 v8, v10
	s_set_vgpr_msb 4                        ;  msbs: dst=0 src0=0 src1=1 src2=0
	v_pk_fma_f32 v[10:11], v[148:149], v[16:17] /*v[272:273]*/, 0 op_sel_hi:[0,1,0]
	s_set_vgpr_msb 1                        ;  msbs: dst=0 src0=1 src1=0 src2=0
	v_pk_fma_f32 v[8:9], v[14:15] /*v[270:271]*/, v[8:9], 0 op_sel_hi:[1,1,0]
	s_set_vgpr_msb 0                        ;  msbs: dst=0 src0=0 src1=0 src2=0
	s_delay_alu instid0(VALU_DEP_2) | instskip(SKIP_2) | instid1(VALU_DEP_3)
	v_pk_fma_f32 v[10:11], v[150:151], v[4:5], v[10:11] op_sel_hi:[0,1,1]
	v_cvt_f32_i32_e32 v17, v16
	v_cvt_f32_i32_e32 v16, v22
	v_pk_mul_f32 v[10:11], v[10:11], v[122:123]
	s_set_vgpr_msb 1                        ;  msbs: dst=0 src0=1 src1=0 src2=0
	s_delay_alu instid0(VALU_DEP_2) | instskip(SKIP_1) | instid1(VALU_DEP_1)
	v_pk_fma_f32 v[8:9], v[18:19] /*v[274:275]*/, v[16:17], v[8:9]
	s_set_vgpr_msb 0                        ;  msbs: dst=0 src0=0 src1=0 src2=0
	v_pk_fma_f32 v[8:9], v[8:9], v[114:115], v[10:11] neg_lo:[0,0,1] neg_hi:[0,0,1]
	v_perm_b32 v10, v24, v23, 0x6050403
	s_set_vgpr_msb 17                       ;  msbs: dst=0 src0=1 src1=0 src2=1
	v_dot4_i32_iu8 v11, v23 /*v279*/, v3, v24 /*v280*/ neg_lo:[1,1,0]
	s_set_vgpr_msb 0                        ;  msbs: dst=0 src0=0 src1=0 src2=0
	v_pk_add_f32 v[96:97], v[96:97], v[8:9]
	s_set_vgpr_msb 1                        ;  msbs: dst=0 src0=1 src1=0 src2=0
	v_mul_i32_i24_e32 v8, v30 /*v286*/, v169
	v_mul_i32_i24_e32 v9, v32 /*v288*/, v224
	s_set_vgpr_msb 4                        ;  msbs: dst=0 src0=0 src1=1 src2=0
	v_dot4_i32_iu8 v11, v140, v46 /*v302*/, v11 neg_lo:[1,1,0]
	s_set_vgpr_msb 1                        ;  msbs: dst=0 src0=1 src1=0 src2=0
	v_dot4_i32_iu8 v8, v35 /*v291*/, v170, v8 neg_lo:[1,1,0]
	s_set_vgpr_msb 0                        ;  msbs: dst=0 src0=0 src1=0 src2=0
	v_dot4_i32_iu8 v9, v12, v234, v9 neg_lo:[1,1,0]
	v_mul_lo_u32 v12, v11, v129
	s_set_vgpr_msb 1                        ;  msbs: dst=0 src0=1 src1=0 src2=0
	v_dot4_i32_iu8 v8, v36 /*v292*/, v173, v8 neg_lo:[1,1,0]
	s_set_vgpr_msb 0                        ;  msbs: dst=0 src0=0 src1=0 src2=0
	v_dot4_i32_iu8 v9, v18, v0, v9 neg_lo:[1,1,0]
	s_set_vgpr_msb 1                        ;  msbs: dst=0 src0=1 src1=0 src2=0
	s_delay_alu instid0(VALU_DEP_2) | instskip(SKIP_1) | instid1(VALU_DEP_2)
	v_dot4_i32_iu8 v8, v37 /*v293*/, v174, v8 neg_lo:[1,1,0]
	s_set_vgpr_msb 0                        ;  msbs: dst=0 src0=0 src1=0 src2=0
	v_dot4_i32_iu8 v9, v19, v1, v9 neg_lo:[1,1,0]
	s_set_vgpr_msb 1                        ;  msbs: dst=0 src0=1 src1=0 src2=0
	s_delay_alu instid0(VALU_DEP_2) | instskip(SKIP_1) | instid1(VALU_DEP_2)
	;; [unrolled: 5-line block ×3, first 2 shown]
	v_dot4_i32_iu8 v8, v39 /*v295*/, v222, v8 neg_lo:[1,1,0]
	s_set_vgpr_msb 0                        ;  msbs: dst=0 src0=0 src1=0 src2=0
	v_dot4_i32_iu8 v9, v235, v10, v9 neg_lo:[1,1,0]
	s_set_vgpr_msb 4                        ;  msbs: dst=0 src0=0 src1=1 src2=0
	s_delay_alu instid0(VALU_DEP_2) | instskip(NEXT) | instid1(VALU_DEP_2)
	v_mad_i32_i24 v8, v171, v31 /*v287*/, v8
	v_mad_i32_i24 v9, v223, v34 /*v290*/, v9
	s_set_vgpr_msb 0                        ;  msbs: dst=0 src0=0 src1=0 src2=0
	s_delay_alu instid0(VALU_DEP_2) | instskip(NEXT) | instid1(VALU_DEP_2)
	v_dot4_i32_iu8 v8, v232, v13, v8 neg_lo:[1,1,0]
	v_dot4_i32_iu8 v9, v236, v21, v9 neg_lo:[1,1,0]
	s_delay_alu instid0(VALU_DEP_2) | instskip(SKIP_1) | instid1(VALU_DEP_2)
	v_dot4_i32_iu8 v8, v233, v14, v8 neg_lo:[1,1,0]
	s_set_vgpr_msb 4                        ;  msbs: dst=0 src0=0 src1=1 src2=0
	v_dot4_i32_iu8 v10, v237, v45 /*v301*/, v9 neg_lo:[1,1,0]
	s_set_vgpr_msb 0                        ;  msbs: dst=0 src0=0 src1=0 src2=0
	s_delay_alu instid0(VALU_DEP_2) | instskip(NEXT) | instid1(VALU_DEP_2)
	v_dot4_i32_iu8 v8, v15, v238, v8 neg_lo:[1,1,0]
	v_dot4_i32_iu8 v10, v26, v3, v10 neg_lo:[1,1,0]
	s_delay_alu instid0(VALU_DEP_2) | instskip(SKIP_1) | instid1(VALU_DEP_2)
	v_mul_lo_u32 v7, v8, v175
	s_set_vgpr_msb 4                        ;  msbs: dst=0 src0=0 src1=1 src2=0
	v_dot4_i32_iu8 v10, v140, v25 /*v281*/, v10 neg_lo:[1,1,0]
	v_pk_fma_f32 v[8:9], v[136:137], v[16:17] /*v[272:273]*/, 0 op_sel_hi:[0,1,0]
	s_set_vgpr_msb 0                        ;  msbs: dst=0 src0=0 src1=0 src2=0
	s_delay_alu instid0(VALU_DEP_2) | instskip(NEXT) | instid1(VALU_DEP_2)
	v_mul_lo_u32 v10, v10, v129
	v_pk_fma_f32 v[4:5], v[126:127], v[4:5], v[8:9] op_sel_hi:[0,1,1]
	v_cvt_f32_i32_e32 v7, v7
	s_delay_alu instid0(VALU_DEP_2) | instskip(SKIP_1) | instid1(VALU_DEP_2)
	v_pk_mul_f32 v[4:5], v[4:5], v[124:125]
	s_set_vgpr_msb 1                        ;  msbs: dst=0 src0=1 src1=0 src2=0
	v_pk_fma_f32 v[6:7], v[14:15] /*v[270:271]*/, v[6:7], 0 op_sel_hi:[1,1,0]
	s_set_vgpr_msb 0                        ;  msbs: dst=0 src0=0 src1=0 src2=0
	v_cvt_f32_i32_e32 v11, v10
	v_cvt_f32_i32_e32 v10, v12
	s_set_vgpr_msb 1                        ;  msbs: dst=0 src0=1 src1=0 src2=0
	s_delay_alu instid0(VALU_DEP_1) | instskip(SKIP_1) | instid1(VALU_DEP_1)
	v_pk_fma_f32 v[6:7], v[18:19] /*v[274:275]*/, v[10:11], v[6:7]
	s_set_vgpr_msb 0                        ;  msbs: dst=0 src0=0 src1=0 src2=0
	v_pk_fma_f32 v[4:5], v[6:7], v[116:117], v[4:5] neg_lo:[0,0,1] neg_hi:[0,0,1]
	s_delay_alu instid0(VALU_DEP_1) | instskip(SKIP_1) | instid1(VALU_DEP_1)
	v_pk_add_f32 v[102:103], v[102:103], v[4:5]
	v_or_b32_e32 v4, s12, v181
	v_lshlrev_b32_e32 v16, 2, v4
	s_set_vgpr_msb 64                       ;  msbs: dst=1 src0=0 src1=0 src2=0
	v_lshrrev_b32_e32 v14 /*v270*/, 1, v4
	s_set_vgpr_msb 0                        ;  msbs: dst=0 src0=0 src1=0 src2=0
	ds_load_b128 v[8:11], v16 offset:33280
	ds_load_b128 v[4:7], v16 offset:33296
	;; [unrolled: 1-line block ×4, first 2 shown]
	s_wait_dscnt 0x3
	v_bfe_i32 v20, v8, 0, 8
	v_perm_b32 v26, v8, v8, 0xc0c0201
	v_perm_b32 v27, v9, v8, 0x6050403
	v_dot4_i32_iu8 v8, v8, v146, 0 neg_lo:[1,1,0]
	s_set_vgpr_msb 64                       ;  msbs: dst=1 src0=0 src1=0 src2=0
	v_perm_b32 v15 /*v271*/, v10, v9, 0x6050403
	s_set_vgpr_msb 0                        ;  msbs: dst=0 src0=0 src1=0 src2=0
	v_mul_i32_i24_e32 v25, v20, v155
	s_set_vgpr_msb 64                       ;  msbs: dst=1 src0=0 src1=0 src2=0
	v_perm_b32 v16 /*v272*/, v11, v10, 0x6050403
	s_wait_dscnt 0x2
	v_perm_b32 v17 /*v273*/, v4, v11, 0x6050403
	s_set_vgpr_msb 0                        ;  msbs: dst=0 src0=0 src1=0 src2=0
	v_dot4_i32_iu8 v8, v9, v147, v8 neg_lo:[1,1,0]
	v_ashrrev_i32_e32 v21, 24, v4
	v_dot4_i32_iu8 v25, v26, v156, v25 neg_lo:[1,1,0]
	s_wait_dscnt 0x1
	v_bfe_i32 v22, v12, 0, 8
	v_bfe_i32 v23, v12, 8, 8
	v_dot4_i32_iu8 v8, v10, v144, v8 neg_lo:[1,1,0]
	v_perm_b32 v9, v13, v12, 0x6050403
	v_dot4_i32_iu8 v25, v27, v157, v25 neg_lo:[1,1,0]
	s_set_vgpr_msb 64                       ;  msbs: dst=1 src0=0 src1=0 src2=0
	v_perm_b32 v18 /*v274*/, v13, v12, 0x5040302
	s_set_vgpr_msb 0                        ;  msbs: dst=0 src0=0 src1=0 src2=0
	v_perm_b32 v10, v14, v13, 0x6050403
	v_dot4_i32_iu8 v8, v11, v145, v8 neg_lo:[1,1,0]
	s_set_vgpr_msb 64                       ;  msbs: dst=1 src0=0 src1=0 src2=0
	v_perm_b32 v19 /*v275*/, v14, v13, 0x5040302
	s_set_vgpr_msb 5                        ;  msbs: dst=0 src0=1 src1=1 src2=0
	v_dot4_i32_iu8 v25, v15 /*v271*/, v1 /*v257*/, v25 neg_lo:[1,1,0]
	s_set_vgpr_msb 0                        ;  msbs: dst=0 src0=0 src1=0 src2=0
	v_perm_b32 v11, v15, v14, 0x6050403
	s_set_vgpr_msb 64                       ;  msbs: dst=1 src0=0 src1=0 src2=0
	v_perm_b32 v21 /*v277*/, v15, v14, 0x5040302
	s_set_vgpr_msb 0                        ;  msbs: dst=0 src0=0 src1=0 src2=0
	v_dot4_i32_iu8 v4, v4, v142, v8 neg_lo:[1,1,0]
	v_perm_b32 v8, v12, v12, 0xc0c0201
	s_set_vgpr_msb 5                        ;  msbs: dst=0 src0=1 src1=1 src2=0
	v_dot4_i32_iu8 v25, v16 /*v272*/, v2 /*v258*/, v25 neg_lo:[1,1,0]
	s_wait_dscnt 0x0
	s_set_vgpr_msb 0                        ;  msbs: dst=0 src0=0 src1=0 src2=0
	v_perm_b32 v12, v16, v141, 0x6050403
	v_perm_b32 v13, v226, v15, 0x6050403
	v_dot4_i32_iu8 v4, v5, v143, v4 neg_lo:[1,1,0]
	v_ashrrev_i32_e32 v24, 24, v16
	s_set_vgpr_msb 5                        ;  msbs: dst=0 src0=1 src1=1 src2=0
	v_dot4_i32_iu8 v25, v17 /*v273*/, v3 /*v259*/, v25 neg_lo:[1,1,0]
	s_set_vgpr_msb 64                       ;  msbs: dst=1 src0=0 src1=0 src2=0
	v_perm_b32 v22 /*v278*/, v16, v15, 0x5040302
	v_perm_b32 v23 /*v279*/, v17, v16, 0x5040302
	v_dot4_i32_iu8 v28 /*v284*/, v6, v138, v4 neg_lo:[1,1,0]
	s_set_vgpr_msb 0                        ;  msbs: dst=0 src0=0 src1=0 src2=0
	v_mul_i32_i24_e32 v4, v22, v228
	v_mad_i32_i24 v25, v154, v21, v25
	s_set_vgpr_msb 64                       ;  msbs: dst=1 src0=0 src1=0 src2=0
	v_perm_b32 v24 /*v280*/, v18, v17, 0x5040302
	v_perm_b32 v46 /*v302*/, v19, v130, 0x5040302
	s_set_vgpr_msb 0                        ;  msbs: dst=0 src0=0 src1=0 src2=0
	v_dot4_i32_iu8 v4, v8, v247, v4 neg_lo:[1,1,0]
	s_set_vgpr_msb 1                        ;  msbs: dst=0 src0=1 src1=0 src2=0
	v_dot4_i32_iu8 v25, v12 /*v268*/, v5, v25 neg_lo:[1,1,0]
	s_set_vgpr_msb 0                        ;  msbs: dst=0 src0=0 src1=0 src2=0
	s_delay_alu instid0(VALU_DEP_2) | instskip(SKIP_1) | instid1(VALU_DEP_2)
	v_dot4_i32_iu8 v4, v9, v248, v4 neg_lo:[1,1,0]
	s_set_vgpr_msb 0x41                     ;  msbs: dst=1 src0=1 src1=0 src2=0
	v_dot4_i32_iu8 v20 /*v276*/, v13 /*v269*/, v6, v25 neg_lo:[1,1,0]
	s_set_vgpr_msb 1                        ;  msbs: dst=0 src0=1 src1=0 src2=0
	v_mul_i32_i24_e32 v25, v5 /*v261*/, v22
	s_set_vgpr_msb 0                        ;  msbs: dst=0 src0=0 src1=0 src2=0
	v_dot4_i32_iu8 v4, v10, v249, v4 neg_lo:[1,1,0]
	s_set_vgpr_msb 1                        ;  msbs: dst=0 src0=1 src1=0 src2=0
	s_delay_alu instid0(VALU_DEP_2) | instskip(SKIP_1) | instid1(VALU_DEP_2)
	v_mad_i32_i24 v25, v4 /*v260*/, v23, v25
	s_set_vgpr_msb 0                        ;  msbs: dst=0 src0=0 src1=0 src2=0
	v_dot4_i32_iu8 v4, v11, v250, v4 neg_lo:[1,1,0]
	s_set_vgpr_msb 5                        ;  msbs: dst=0 src0=1 src1=1 src2=0
	s_delay_alu instid0(VALU_DEP_2) | instskip(SKIP_1) | instid1(VALU_DEP_2)
	v_dot4_i32_iu8 v25, v6 /*v262*/, v18 /*v274*/, v25 neg_lo:[1,1,0]
	s_set_vgpr_msb 0                        ;  msbs: dst=0 src0=0 src1=0 src2=0
	v_dot4_i32_iu8 v4, v13, v12, v4 neg_lo:[1,1,0]
	v_perm_b32 v12, v17, v17, 0xc0c0100
	s_set_vgpr_msb 5                        ;  msbs: dst=0 src0=1 src1=1 src2=0
	v_dot4_i32_iu8 v25, v7 /*v263*/, v19 /*v275*/, v25 neg_lo:[1,1,0]
	s_set_vgpr_msb 0                        ;  msbs: dst=0 src0=0 src1=0 src2=0
	v_mad_i32_i24 v4, v227, v24, v4
	s_set_vgpr_msb 5                        ;  msbs: dst=0 src0=1 src1=1 src2=0
	s_delay_alu instid0(VALU_DEP_2) | instskip(SKIP_1) | instid1(VALU_DEP_2)
	v_dot4_i32_iu8 v25, v8 /*v264*/, v21 /*v277*/, v25 neg_lo:[1,1,0]
	s_set_vgpr_msb 0                        ;  msbs: dst=0 src0=0 src1=0 src2=0
	v_dot4_i32_iu8 v4, v251, v12, v4 neg_lo:[1,1,0]
	s_set_vgpr_msb 5                        ;  msbs: dst=0 src0=1 src1=1 src2=0
	s_delay_alu instid0(VALU_DEP_2) | instskip(SKIP_1) | instid1(VALU_DEP_2)
	v_dot4_i32_iu8 v25, v9 /*v265*/, v22 /*v278*/, v25 neg_lo:[1,1,0]
	s_set_vgpr_msb 0x44                     ;  msbs: dst=1 src0=0 src1=1 src2=0
	v_dot4_i32_iu8 v29 /*v285*/, v252, v24 /*v280*/, v4 neg_lo:[1,1,0]
	s_set_vgpr_msb 0                        ;  msbs: dst=0 src0=0 src1=0 src2=0
	v_mul_i32_i24_e32 v4, v20, v169
	s_set_vgpr_msb 5                        ;  msbs: dst=0 src0=1 src1=1 src2=0
	v_dot4_i32_iu8 v25, v10 /*v266*/, v23 /*v279*/, v25 neg_lo:[1,1,0]
	s_set_vgpr_msb 0                        ;  msbs: dst=0 src0=0 src1=0 src2=0
	s_delay_alu instid0(VALU_DEP_2) | instskip(SKIP_1) | instid1(VALU_DEP_2)
	v_dot4_i32_iu8 v4, v26, v170, v4 neg_lo:[1,1,0]
	s_set_vgpr_msb 0x45                     ;  msbs: dst=1 src0=1 src1=1 src2=0
	v_dot4_i32_iu8 v25 /*v281*/, v11 /*v267*/, v24 /*v280*/, v25 neg_lo:[1,1,0]
	s_set_vgpr_msb 0                        ;  msbs: dst=0 src0=0 src1=0 src2=0
	v_mul_i32_i24_e32 v25, v20, v151
	v_dot4_i32_iu8 v4, v27, v173, v4 neg_lo:[1,1,0]
	s_delay_alu instid0(VALU_DEP_2) | instskip(SKIP_1) | instid1(VALU_DEP_2)
	v_dot4_i32_iu8 v25, v26, v153, v25 neg_lo:[1,1,0]
	s_set_vgpr_msb 1                        ;  msbs: dst=0 src0=1 src1=0 src2=0
	v_dot4_i32_iu8 v4, v15 /*v271*/, v174, v4 neg_lo:[1,1,0]
	s_set_vgpr_msb 0                        ;  msbs: dst=0 src0=0 src1=0 src2=0
	s_delay_alu instid0(VALU_DEP_2) | instskip(SKIP_1) | instid1(VALU_DEP_2)
	v_dot4_i32_iu8 v25, v27, v160, v25 neg_lo:[1,1,0]
	s_set_vgpr_msb 1                        ;  msbs: dst=0 src0=1 src1=0 src2=0
	v_dot4_i32_iu8 v4, v16 /*v272*/, v221, v4 neg_lo:[1,1,0]
	s_delay_alu instid0(VALU_DEP_2) | instskip(NEXT) | instid1(VALU_DEP_2)
	v_dot4_i32_iu8 v25, v15 /*v271*/, v162, v25 neg_lo:[1,1,0]
	v_dot4_i32_iu8 v4, v17 /*v273*/, v222, v4 neg_lo:[1,1,0]
	s_delay_alu instid0(VALU_DEP_2) | instskip(SKIP_1) | instid1(VALU_DEP_2)
	v_dot4_i32_iu8 v25, v16 /*v272*/, v163, v25 neg_lo:[1,1,0]
	s_set_vgpr_msb 0                        ;  msbs: dst=0 src0=0 src1=0 src2=0
	v_mad_i32_i24 v4, v171, v21, v4
	s_set_vgpr_msb 1                        ;  msbs: dst=0 src0=1 src1=0 src2=0
	s_delay_alu instid0(VALU_DEP_2) | instskip(SKIP_1) | instid1(VALU_DEP_2)
	v_dot4_i32_iu8 v25, v17 /*v273*/, v164, v25 neg_lo:[1,1,0]
	s_set_vgpr_msb 0                        ;  msbs: dst=0 src0=0 src1=0 src2=0
	v_dot4_i32_iu8 v4, v232, v5, v4 neg_lo:[1,1,0]
	s_delay_alu instid0(VALU_DEP_2) | instskip(NEXT) | instid1(VALU_DEP_1)
	v_mad_i32_i24 v25, v158, v21, v25
	v_dot4_i32_iu8 v25, v254, v5, v25 neg_lo:[1,1,0]
	v_perm_b32 v5, v16, v15, 0x6050403
	s_set_vgpr_msb 64                       ;  msbs: dst=1 src0=0 src1=0 src2=0
	s_delay_alu instid0(VALU_DEP_2) | instskip(SKIP_4) | instid1(VALU_DEP_3)
	v_dot4_i32_iu8 v26 /*v282*/, v255, v6, v25 neg_lo:[1,1,0]
	s_set_vgpr_msb 0                        ;  msbs: dst=0 src0=0 src1=0 src2=0
	v_dot4_i32_iu8 v6, v233, v6, v4 neg_lo:[1,1,0]
	v_mul_i32_i24_e32 v4, v22, v224
	v_mul_i32_i24_e32 v25, v22, v166
	v_dot4_i32_iu8 v6, v7, v238, v6 neg_lo:[1,1,0]
	s_delay_alu instid0(VALU_DEP_3) | instskip(NEXT) | instid1(VALU_DEP_3)
	v_dot4_i32_iu8 v4, v8, v234, v4 neg_lo:[1,1,0]
	v_mad_i32_i24 v23, v23, v167, v25
	s_delay_alu instid0(VALU_DEP_3) | instskip(NEXT) | instid1(VALU_DEP_3)
	v_mul_lo_u32 v6, v6, v175
	v_dot4_i32_iu8 v4, v9, v0, v4 neg_lo:[1,1,0]
	s_set_vgpr_msb 1                        ;  msbs: dst=0 src0=1 src1=0 src2=0
	s_delay_alu instid0(VALU_DEP_3) | instskip(SKIP_1) | instid1(VALU_DEP_2)
	v_dot4_i32_iu8 v23, v18 /*v274*/, v168, v23 neg_lo:[1,1,0]
	s_set_vgpr_msb 0                        ;  msbs: dst=0 src0=0 src1=0 src2=0
	v_dot4_i32_iu8 v4, v10, v1, v4 neg_lo:[1,1,0]
	s_set_vgpr_msb 1                        ;  msbs: dst=0 src0=1 src1=0 src2=0
	s_delay_alu instid0(VALU_DEP_2) | instskip(SKIP_1) | instid1(VALU_DEP_2)
	v_dot4_i32_iu8 v23, v19 /*v275*/, v239, v23 neg_lo:[1,1,0]
	s_set_vgpr_msb 0                        ;  msbs: dst=0 src0=0 src1=0 src2=0
	v_dot4_i32_iu8 v4, v11, v2, v4 neg_lo:[1,1,0]
	s_set_vgpr_msb 1                        ;  msbs: dst=0 src0=1 src1=0 src2=0
	s_delay_alu instid0(VALU_DEP_2)
	v_dot4_i32_iu8 v23, v21 /*v277*/, v240, v23 neg_lo:[1,1,0]
	s_set_vgpr_msb 0                        ;  msbs: dst=0 src0=0 src1=0 src2=0
	v_cvt_f32_i32_e32 v6, v6
	v_dot4_i32_iu8 v4, v235, v5, v4 neg_lo:[1,1,0]
	s_set_vgpr_msb 1                        ;  msbs: dst=0 src0=1 src1=0 src2=0
	v_dot4_i32_iu8 v23, v22 /*v278*/, v241, v23 neg_lo:[1,1,0]
	s_set_vgpr_msb 0                        ;  msbs: dst=0 src0=0 src1=0 src2=0
	s_delay_alu instid0(VALU_DEP_2) | instskip(SKIP_1) | instid1(VALU_DEP_2)
	v_mad_i32_i24 v4, v223, v24, v4
	s_set_vgpr_msb 1                        ;  msbs: dst=0 src0=1 src1=0 src2=0
	v_dot4_i32_iu8 v23, v23 /*v279*/, v242, v23 neg_lo:[1,1,0]
	s_set_vgpr_msb 64                       ;  msbs: dst=1 src0=0 src1=0 src2=0
	v_perm_b32 v23 /*v279*/, v131, v18, 0x5040302
	s_set_vgpr_msb 0                        ;  msbs: dst=0 src0=0 src1=0 src2=0
	v_dot4_i32_iu8 v4, v236, v12, v4 neg_lo:[1,1,0]
	s_set_vgpr_msb 0x41                     ;  msbs: dst=1 src0=1 src1=0 src2=0
	v_dot4_i32_iu8 v27 /*v283*/, v24 /*v280*/, v243, v23 neg_lo:[1,1,0]
	s_set_vgpr_msb 0x55                     ;  msbs: dst=1 src0=1 src1=1 src2=1
	v_dot4_i32_iu8 v23 /*v279*/, v46 /*v302*/, v23 /*v279*/, v25 /*v281*/ neg_lo:[1,1,0]
	s_set_vgpr_msb 0x44                     ;  msbs: dst=1 src0=0 src1=1 src2=0
	v_dot4_i32_iu8 v24 /*v280*/, v237, v24 /*v280*/, v4 neg_lo:[1,1,0]
	s_set_vgpr_msb 0                        ;  msbs: dst=0 src0=0 src1=0 src2=0
	v_or_b32_e32 v4, s12, v182
	s_delay_alu instid0(VALU_DEP_1)
	v_dual_lshlrev_b32 v5, 2, v4 :: v_dual_lshrrev_b32 v16, 1, v4
	ds_load_b128 v[8:11], v5 offset:33280
	ds_load_b128 v[12:15], v5 offset:33296
	ds_load_b128 v[20:23], v5 offset:33312
	ds_load_b128 v[24:27], v5 offset:33328
	s_wait_dscnt 0x3
	s_set_vgpr_msb 64                       ;  msbs: dst=1 src0=0 src1=0 src2=0
	v_bfe_i32 v30 /*v286*/, v8, 0, 8
	v_perm_b32 v35 /*v291*/, v8, v8, 0xc0c0201
	v_perm_b32 v36 /*v292*/, v9, v8, 0x6050403
	;; [unrolled: 1-line block ×4, first 2 shown]
	s_set_vgpr_msb 1                        ;  msbs: dst=0 src0=1 src1=0 src2=0
	v_mul_i32_i24_e32 v4, v30 /*v286*/, v155
	s_wait_dscnt 0x2
	s_set_vgpr_msb 64                       ;  msbs: dst=1 src0=0 src1=0 src2=0
	v_perm_b32 v39 /*v295*/, v12, v11, 0x6050403
	v_ashrrev_i32_e32 v31 /*v287*/, 24, v12
	s_wait_dscnt 0x1
	v_bfe_i32 v32 /*v288*/, v20, 0, 8
	v_bfe_i32 v33 /*v289*/, v20, 8, 8
	s_set_vgpr_msb 1                        ;  msbs: dst=0 src0=1 src1=0 src2=0
	v_dot4_i32_iu8 v4, v35 /*v291*/, v156, v4 neg_lo:[1,1,0]
	s_set_vgpr_msb 64                       ;  msbs: dst=1 src0=0 src1=0 src2=0
	v_perm_b32 v40 /*v296*/, v21, v20, 0x5040302
	v_perm_b32 v41 /*v297*/, v22, v21, 0x5040302
	;; [unrolled: 1-line block ×3, first 2 shown]
	s_wait_dscnt 0x0
	v_perm_b32 v43 /*v299*/, v24, v23, 0x5040302
	s_set_vgpr_msb 1                        ;  msbs: dst=0 src0=1 src1=0 src2=0
	v_dot4_i32_iu8 v4, v36 /*v292*/, v157, v4 neg_lo:[1,1,0]
	s_set_vgpr_msb 64                       ;  msbs: dst=1 src0=0 src1=0 src2=0
	v_perm_b32 v44 /*v300*/, v25, v24, 0x5040302
	v_perm_b32 v45 /*v301*/, v26, v25, 0x5040302
	;; [unrolled: 1-line block ×4, first 2 shown]
	s_set_vgpr_msb 5                        ;  msbs: dst=0 src0=1 src1=1 src2=0
	v_dot4_i32_iu8 v4, v37 /*v293*/, v1 /*v257*/, v4 neg_lo:[1,1,0]
	s_set_vgpr_msb 0                        ;  msbs: dst=0 src0=0 src1=0 src2=0
	v_perm_b32 v26, v27, v26, 0x5040302
	v_dot4_i32_iu8 v8, v8, v146, 0 neg_lo:[1,1,0]
	s_set_vgpr_msb 64                       ;  msbs: dst=1 src0=0 src1=0 src2=0
	v_ashrrev_i32_e32 v34 /*v290*/, 24, v24
	s_set_vgpr_msb 5                        ;  msbs: dst=0 src0=1 src1=1 src2=0
	v_dot4_i32_iu8 v4, v38 /*v294*/, v2 /*v258*/, v4 neg_lo:[1,1,0]
	s_set_vgpr_msb 0                        ;  msbs: dst=0 src0=0 src1=0 src2=0
	v_dot4_i32_iu8 v8, v9, v147, v8 neg_lo:[1,1,0]
	s_set_vgpr_msb 1                        ;  msbs: dst=0 src0=1 src1=0 src2=0
	v_mul_i32_i24_e32 v9, v32 /*v288*/, v228
	s_set_vgpr_msb 5                        ;  msbs: dst=0 src0=1 src1=1 src2=0
	v_dot4_i32_iu8 v4, v39 /*v295*/, v3 /*v259*/, v4 neg_lo:[1,1,0]
	s_set_vgpr_msb 0                        ;  msbs: dst=0 src0=0 src1=0 src2=0
	v_dot4_i32_iu8 v8, v10, v144, v8 neg_lo:[1,1,0]
	v_perm_b32 v10, v24, v141, 0x6050403
	s_set_vgpr_msb 4                        ;  msbs: dst=0 src0=0 src1=1 src2=0
	v_mad_i32_i24 v4, v154, v31 /*v287*/, v4
	s_set_vgpr_msb 0                        ;  msbs: dst=0 src0=0 src1=0 src2=0
	v_dot4_i32_iu8 v8, v11, v145, v8 neg_lo:[1,1,0]
	v_perm_b32 v11, v226, v23, 0x6050403
	s_set_vgpr_msb 1                        ;  msbs: dst=0 src0=1 src1=0 src2=0
	v_dot4_i32_iu8 v4, v12 /*v268*/, v13, v4 neg_lo:[1,1,0]
	s_set_vgpr_msb 0                        ;  msbs: dst=0 src0=0 src1=0 src2=0
	v_dot4_i32_iu8 v8, v12, v142, v8 neg_lo:[1,1,0]
	v_perm_b32 v12, v20, v20, 0xc0c0201
	s_set_vgpr_msb 0x41                     ;  msbs: dst=1 src0=1 src1=0 src2=0
	v_dot4_i32_iu8 v21 /*v277*/, v13 /*v269*/, v14, v4 neg_lo:[1,1,0]
	s_set_vgpr_msb 5                        ;  msbs: dst=0 src0=1 src1=1 src2=0
	v_mul_i32_i24_e32 v4, v5 /*v261*/, v32 /*v288*/
	s_set_vgpr_msb 0                        ;  msbs: dst=0 src0=0 src1=0 src2=0
	v_dot4_i32_iu8 v8, v13, v143, v8 neg_lo:[1,1,0]
	v_dot4_i32_iu8 v9, v12, v247, v9 neg_lo:[1,1,0]
	s_set_vgpr_msb 5                        ;  msbs: dst=0 src0=1 src1=1 src2=0
	v_mad_i32_i24 v4, v4 /*v260*/, v33 /*v289*/, v4
	s_set_vgpr_msb 0                        ;  msbs: dst=0 src0=0 src1=0 src2=0
	v_dot4_i32_iu8 v8, v14, v138, v8 neg_lo:[1,1,0]
	s_set_vgpr_msb 5                        ;  msbs: dst=0 src0=1 src1=1 src2=0
	s_delay_alu instid0(VALU_DEP_2) | instskip(SKIP_1) | instid1(VALU_DEP_2)
	v_dot4_i32_iu8 v4, v6 /*v262*/, v40 /*v296*/, v4 neg_lo:[1,1,0]
	s_set_vgpr_msb 0                        ;  msbs: dst=0 src0=0 src1=0 src2=0
	v_dot4_i32_iu8 v8, v15, v139, v8 neg_lo:[1,1,0]
	s_set_vgpr_msb 5                        ;  msbs: dst=0 src0=1 src1=1 src2=0
	s_delay_alu instid0(VALU_DEP_2) | instskip(SKIP_1) | instid1(VALU_DEP_2)
	v_dot4_i32_iu8 v4, v7 /*v263*/, v41 /*v297*/, v4 neg_lo:[1,1,0]
	s_set_vgpr_msb 0                        ;  msbs: dst=0 src0=0 src1=0 src2=0
	v_mul_lo_u32 v8, v8, v225
	s_set_vgpr_msb 5                        ;  msbs: dst=0 src0=1 src1=1 src2=0
	s_delay_alu instid0(VALU_DEP_2) | instskip(NEXT) | instid1(VALU_DEP_1)
	v_dot4_i32_iu8 v4, v8 /*v264*/, v42 /*v298*/, v4 neg_lo:[1,1,0]
	v_dot4_i32_iu8 v4, v9 /*v265*/, v43 /*v299*/, v4 neg_lo:[1,1,0]
	s_delay_alu instid0(VALU_DEP_1) | instskip(SKIP_1) | instid1(VALU_DEP_1)
	v_dot4_i32_iu8 v4, v10 /*v266*/, v44 /*v300*/, v4 neg_lo:[1,1,0]
	s_set_vgpr_msb 0x45                     ;  msbs: dst=1 src0=1 src1=1 src2=0
	v_dot4_i32_iu8 v22 /*v278*/, v11 /*v267*/, v45 /*v301*/, v4 neg_lo:[1,1,0]
	s_set_vgpr_msb 1                        ;  msbs: dst=0 src0=1 src1=0 src2=0
	ds_load_b64 v[4:5], v14 /*v270*/ offset:43584
	s_set_vgpr_msb 0                        ;  msbs: dst=0 src0=0 src1=0 src2=0
	ds_load_b64 v[16:17], v16 offset:43584
	s_set_vgpr_msb 0x55                     ;  msbs: dst=1 src0=1 src1=1 src2=1
	v_dot4_i32_iu8 v22 /*v278*/, v46 /*v302*/, v25 /*v281*/, v22 /*v278*/ neg_lo:[1,1,0]
	s_set_vgpr_msb 64                       ;  msbs: dst=1 src0=0 src1=0 src2=0
	v_perm_b32 v25 /*v281*/, v27, v27, 0xc0c0302
	v_perm_b32 v46 /*v302*/, v19, v19, 0xc0c0302
	s_set_vgpr_msb 0x54                     ;  msbs: dst=1 src0=0 src1=1 src2=1
	s_delay_alu instid0(VALU_DEP_2) | instskip(NEXT) | instid1(VALU_DEP_2)
	v_dot4_i32_iu8 v22 /*v278*/, v245, v25 /*v281*/, v22 /*v278*/ neg_lo:[1,1,0]
	v_dot4_i32_iu8 v23 /*v279*/, v245, v46 /*v302*/, v23 /*v279*/ neg_lo:[1,1,0]
	s_set_vgpr_msb 0x41                     ;  msbs: dst=1 src0=1 src1=0 src2=0
	s_delay_alu instid0(VALU_DEP_2) | instskip(NEXT) | instid1(VALU_DEP_2)
	v_mul_lo_u32 v22 /*v278*/, v22 /*v278*/, v127
	v_mul_lo_u32 v47 /*v303*/, v23 /*v279*/, v127
	s_wait_dscnt 0x1
	s_set_vgpr_msb 64                       ;  msbs: dst=1 src0=0 src1=0 src2=0
	v_cvt_f32_f16_e64 v14 /*v270*/, v4
	s_wait_dscnt 0x0
	v_cvt_f32_f16_e64 v15 /*v271*/, v16
	s_set_vgpr_msb 0                        ;  msbs: dst=0 src0=0 src1=0 src2=0
	v_lshrrev_b32_e32 v4, 16, v4
	v_lshrrev_b32_e32 v16, 16, v16
	s_set_vgpr_msb 64                       ;  msbs: dst=1 src0=0 src1=0 src2=0
	v_cvt_f32_f16_e64 v19 /*v275*/, v17
	v_cvt_f32_f16_e64 v18 /*v274*/, v5
	;; [unrolled: 1-line block ×4, first 2 shown]
	s_set_vgpr_msb 16                       ;  msbs: dst=0 src0=0 src1=0 src2=1
	v_lshrrev_b32_e32 v4, 16, v5
	v_lshrrev_b32_e32 v5, 16, v17
	v_dot4_i32_iu8 v16, v15, v253, v21 /*v277*/ neg_lo:[1,1,0]
	v_dot4_i32_iu8 v17, v7, v253, v20 /*v276*/ neg_lo:[1,1,0]
	s_set_vgpr_msb 0x41                     ;  msbs: dst=1 src0=1 src1=0 src2=0
	v_cvt_f32_i32_e32 v23 /*v279*/, v22 /*v278*/
	s_set_vgpr_msb 0                        ;  msbs: dst=0 src0=0 src1=0 src2=0
	v_cvt_f32_f16_e32 v4, v4
	v_cvt_f32_f16_e32 v5, v5
	v_mul_lo_u32 v16, v16, v135
	s_set_vgpr_msb 64                       ;  msbs: dst=1 src0=0 src1=0 src2=0
	v_mul_lo_u32 v20 /*v276*/, v17, v135
	s_set_vgpr_msb 0x41                     ;  msbs: dst=1 src0=1 src1=0 src2=0
	v_cvt_f32_i32_e32 v22 /*v278*/, v47 /*v303*/
	s_set_vgpr_msb 0                        ;  msbs: dst=0 src0=0 src1=0 src2=0
	s_delay_alu instid0(VALU_DEP_3) | instskip(SKIP_1) | instid1(VALU_DEP_3)
	v_cvt_f32_i32_e32 v17, v16
	s_set_vgpr_msb 1                        ;  msbs: dst=0 src0=1 src1=0 src2=0
	v_cvt_f32_i32_e32 v16, v20 /*v276*/
	s_set_vgpr_msb 0x44                     ;  msbs: dst=1 src0=0 src1=1 src2=0
	v_pk_fma_f32 v[20:21] /*v[276:277]*/, v[132:133], v[16:17] /*v[272:273]*/, 0 op_sel_hi:[0,1,0]
	s_set_vgpr_msb 1                        ;  msbs: dst=0 src0=1 src1=0 src2=0
	s_delay_alu instid0(VALU_DEP_2) | instskip(SKIP_1) | instid1(VALU_DEP_2)
	v_pk_fma_f32 v[16:17], v[14:15] /*v[270:271]*/, v[16:17], 0 op_sel_hi:[1,1,0]
	s_set_vgpr_msb 0x50                     ;  msbs: dst=1 src0=0 src1=0 src2=1
	v_pk_fma_f32 v[20:21] /*v[276:277]*/, v[128:129], v[4:5], v[20:21] /*v[276:277]*/ op_sel_hi:[0,1,1]
	s_set_vgpr_msb 5                        ;  msbs: dst=0 src0=1 src1=1 src2=0
	s_delay_alu instid0(VALU_DEP_2) | instskip(SKIP_1) | instid1(VALU_DEP_2)
	v_pk_fma_f32 v[16:17], v[18:19] /*v[274:275]*/, v[22:23] /*v[278:279]*/, v[16:17]
	s_set_vgpr_msb 0x41                     ;  msbs: dst=1 src0=1 src1=0 src2=0
	v_pk_mul_f32 v[20:21] /*v[276:277]*/, v[20:21] /*v[276:277]*/, v[118:119]
	s_set_vgpr_msb 64                       ;  msbs: dst=1 src0=0 src1=0 src2=0
	v_perm_b32 v23 /*v279*/, v19, v18, 0x5040302
	s_set_vgpr_msb 16                       ;  msbs: dst=0 src0=0 src1=0 src2=1
	s_delay_alu instid0(VALU_DEP_2) | instskip(SKIP_1) | instid1(VALU_DEP_2)
	v_pk_fma_f32 v[16:17], v[16:17], v[110:111], v[20:21] /*v[276:277]*/ neg_lo:[0,0,1] neg_hi:[0,0,1]
	s_set_vgpr_msb 17                       ;  msbs: dst=0 src0=1 src1=0 src2=1
	v_dot4_i32_iu8 v18, v23 /*v279*/, v244, v27 /*v283*/ neg_lo:[1,1,0]
	s_set_vgpr_msb 0                        ;  msbs: dst=0 src0=0 src1=0 src2=0
	s_delay_alu instid0(VALU_DEP_2)
	v_pk_add_f32 v[72:73], v[72:73], v[16:17]
	s_set_vgpr_msb 1                        ;  msbs: dst=0 src0=1 src1=0 src2=0
	v_mul_i32_i24_e32 v16, v30 /*v286*/, v151
	v_mul_i32_i24_e32 v17, v32 /*v288*/, v166
	s_set_vgpr_msb 4                        ;  msbs: dst=0 src0=0 src1=1 src2=0
	v_dot4_i32_iu8 v18, v246, v46 /*v302*/, v18 neg_lo:[1,1,0]
	s_set_vgpr_msb 1                        ;  msbs: dst=0 src0=1 src1=0 src2=0
	v_dot4_i32_iu8 v16, v35 /*v291*/, v153, v16 neg_lo:[1,1,0]
	v_mad_i32_i24 v17, v33 /*v289*/, v167, v17
	s_set_vgpr_msb 0                        ;  msbs: dst=0 src0=0 src1=0 src2=0
	v_mul_lo_u32 v18, v18, v229
	s_set_vgpr_msb 1                        ;  msbs: dst=0 src0=1 src1=0 src2=0
	v_dot4_i32_iu8 v16, v36 /*v292*/, v160, v16 neg_lo:[1,1,0]
	v_dot4_i32_iu8 v17, v40 /*v296*/, v168, v17 neg_lo:[1,1,0]
	s_delay_alu instid0(VALU_DEP_2) | instskip(NEXT) | instid1(VALU_DEP_2)
	v_dot4_i32_iu8 v16, v37 /*v293*/, v162, v16 neg_lo:[1,1,0]
	v_dot4_i32_iu8 v17, v41 /*v297*/, v239, v17 neg_lo:[1,1,0]
	s_set_vgpr_msb 0                        ;  msbs: dst=0 src0=0 src1=0 src2=0
	v_cvt_f32_i32_e32 v18, v18
	s_set_vgpr_msb 1                        ;  msbs: dst=0 src0=1 src1=0 src2=0
	v_dot4_i32_iu8 v16, v38 /*v294*/, v163, v16 neg_lo:[1,1,0]
	v_dot4_i32_iu8 v17, v42 /*v298*/, v240, v17 neg_lo:[1,1,0]
	s_delay_alu instid0(VALU_DEP_2) | instskip(NEXT) | instid1(VALU_DEP_2)
	v_dot4_i32_iu8 v16, v39 /*v295*/, v164, v16 neg_lo:[1,1,0]
	v_dot4_i32_iu8 v17, v43 /*v299*/, v241, v17 neg_lo:[1,1,0]
	s_set_vgpr_msb 4                        ;  msbs: dst=0 src0=0 src1=1 src2=0
	s_delay_alu instid0(VALU_DEP_2) | instskip(SKIP_1) | instid1(VALU_DEP_2)
	v_mad_i32_i24 v16, v158, v31 /*v287*/, v16
	s_set_vgpr_msb 1                        ;  msbs: dst=0 src0=1 src1=0 src2=0
	v_dot4_i32_iu8 v17, v44 /*v300*/, v242, v17 neg_lo:[1,1,0]
	s_set_vgpr_msb 0                        ;  msbs: dst=0 src0=0 src1=0 src2=0
	s_delay_alu instid0(VALU_DEP_2) | instskip(SKIP_1) | instid1(VALU_DEP_2)
	v_dot4_i32_iu8 v16, v254, v13, v16 neg_lo:[1,1,0]
	s_set_vgpr_msb 0x41                     ;  msbs: dst=1 src0=1 src1=0 src2=0
	v_dot4_i32_iu8 v22 /*v278*/, v45 /*v301*/, v243, v17 neg_lo:[1,1,0]
	s_set_vgpr_msb 20                       ;  msbs: dst=0 src0=0 src1=1 src2=1
	v_dot4_i32_iu8 v17, v7, v0 /*v256*/, v26 /*v282*/ neg_lo:[1,1,0]
	s_set_vgpr_msb 0                        ;  msbs: dst=0 src0=0 src1=0 src2=0
	v_dot4_i32_iu8 v16, v255, v14, v16 neg_lo:[1,1,0]
	s_set_vgpr_msb 16                       ;  msbs: dst=0 src0=0 src1=0 src2=1
	v_dot4_i32_iu8 v19, v26, v244, v22 /*v278*/ neg_lo:[1,1,0]
	s_set_vgpr_msb 64                       ;  msbs: dst=1 src0=0 src1=0 src2=0
	v_mul_lo_u32 v20 /*v276*/, v17, v165
	s_set_vgpr_msb 4                        ;  msbs: dst=0 src0=0 src1=1 src2=0
	v_dot4_i32_iu8 v16, v15, v0 /*v256*/, v16 neg_lo:[1,1,0]
	v_dot4_i32_iu8 v19, v246, v25 /*v281*/, v19 neg_lo:[1,1,0]
	s_set_vgpr_msb 0                        ;  msbs: dst=0 src0=0 src1=0 src2=0
	s_delay_alu instid0(VALU_DEP_2) | instskip(NEXT) | instid1(VALU_DEP_2)
	v_mul_lo_u32 v16, v16, v165
	v_mul_lo_u32 v19, v19, v229
	s_delay_alu instid0(VALU_DEP_2)
	v_cvt_f32_i32_e32 v17, v16
	s_set_vgpr_msb 1                        ;  msbs: dst=0 src0=1 src1=0 src2=0
	v_cvt_f32_i32_e32 v16, v20 /*v276*/
	s_set_vgpr_msb 0x44                     ;  msbs: dst=1 src0=0 src1=1 src2=0
	v_pk_fma_f32 v[20:21] /*v[276:277]*/, v[134:135], v[16:17] /*v[272:273]*/, 0 op_sel_hi:[0,1,0]
	s_set_vgpr_msb 0                        ;  msbs: dst=0 src0=0 src1=0 src2=0
	s_delay_alu instid0(VALU_DEP_4) | instskip(SKIP_2) | instid1(VALU_DEP_1)
	v_cvt_f32_i32_e32 v19, v19
	s_set_vgpr_msb 1                        ;  msbs: dst=0 src0=1 src1=0 src2=0
	v_pk_fma_f32 v[16:17], v[14:15] /*v[270:271]*/, v[16:17], 0 op_sel_hi:[1,1,0]
	v_pk_fma_f32 v[16:17], v[18:19] /*v[274:275]*/, v[18:19], v[16:17]
	s_set_vgpr_msb 16                       ;  msbs: dst=0 src0=0 src1=0 src2=1
	v_pk_fma_f32 v[18:19], v[152:153], v[4:5], v[20:21] /*v[276:277]*/ op_sel_hi:[0,1,1]
	s_delay_alu instid0(VALU_DEP_1) | instskip(SKIP_1) | instid1(VALU_DEP_1)
	v_pk_mul_f32 v[18:19], v[18:19], v[120:121]
	s_set_vgpr_msb 0                        ;  msbs: dst=0 src0=0 src1=0 src2=0
	v_pk_fma_f32 v[16:17], v[16:17], v[112:113], v[18:19] neg_lo:[0,0,1] neg_hi:[0,0,1]
	v_perm_b32 v18, v21, v20, 0x6050403
	v_perm_b32 v19, v22, v21, 0x6050403
	v_perm_b32 v20, v23, v22, 0x6050403
	v_perm_b32 v21, v25, v25, 0xc0c0100
	v_pk_add_f32 v[78:79], v[78:79], v[16:17]
	v_dot4_i32_iu8 v9, v18, v248, v9 neg_lo:[1,1,0]
	s_set_vgpr_msb 17                       ;  msbs: dst=0 src0=1 src1=0 src2=1
	v_dot4_i32_iu8 v17, v23 /*v279*/, v230, v29 /*v285*/ neg_lo:[1,1,0]
	s_set_vgpr_msb 0                        ;  msbs: dst=0 src0=0 src1=0 src2=0
	s_delay_alu instid0(VALU_DEP_2) | instskip(SKIP_1) | instid1(VALU_DEP_2)
	v_dot4_i32_iu8 v9, v19, v249, v9 neg_lo:[1,1,0]
	s_set_vgpr_msb 4                        ;  msbs: dst=0 src0=0 src1=1 src2=0
	v_dot4_i32_iu8 v17, v231, v46 /*v302*/, v17 neg_lo:[1,1,0]
	s_set_vgpr_msb 0                        ;  msbs: dst=0 src0=0 src1=0 src2=0
	s_delay_alu instid0(VALU_DEP_2) | instskip(NEXT) | instid1(VALU_DEP_2)
	v_dot4_i32_iu8 v9, v20, v250, v9 neg_lo:[1,1,0]
	v_mul_lo_u32 v22, v17, v172
	s_delay_alu instid0(VALU_DEP_2) | instskip(SKIP_1) | instid1(VALU_DEP_1)
	v_dot4_i32_iu8 v9, v11, v10, v9 neg_lo:[1,1,0]
	s_set_vgpr_msb 4                        ;  msbs: dst=0 src0=0 src1=1 src2=0
	v_mad_i32_i24 v9, v227, v34 /*v290*/, v9
	s_set_vgpr_msb 0                        ;  msbs: dst=0 src0=0 src1=0 src2=0
	s_delay_alu instid0(VALU_DEP_1) | instskip(SKIP_1) | instid1(VALU_DEP_1)
	v_dot4_i32_iu8 v9, v251, v21, v9 neg_lo:[1,1,0]
	s_set_vgpr_msb 4                        ;  msbs: dst=0 src0=0 src1=1 src2=0
	v_dot4_i32_iu8 v16, v252, v45 /*v301*/, v9 neg_lo:[1,1,0]
	s_set_vgpr_msb 16                       ;  msbs: dst=0 src0=0 src1=0 src2=1
	v_dot4_i32_iu8 v9, v7, v139, v28 /*v284*/ neg_lo:[1,1,0]
	s_set_vgpr_msb 0                        ;  msbs: dst=0 src0=0 src1=0 src2=0
	s_delay_alu instid0(VALU_DEP_2) | instskip(NEXT) | instid1(VALU_DEP_2)
	v_dot4_i32_iu8 v16, v26, v230, v16 neg_lo:[1,1,0]
	v_mul_lo_u32 v10, v9, v225
	v_cvt_f32_i32_e32 v9, v8
	s_set_vgpr_msb 4                        ;  msbs: dst=0 src0=0 src1=1 src2=0
	s_delay_alu instid0(VALU_DEP_3) | instskip(SKIP_1) | instid1(VALU_DEP_1)
	v_dot4_i32_iu8 v16, v231, v25 /*v281*/, v16 neg_lo:[1,1,0]
	s_set_vgpr_msb 0                        ;  msbs: dst=0 src0=0 src1=0 src2=0
	v_mul_lo_u32 v16, v16, v172
	s_delay_alu instid0(VALU_DEP_4) | instskip(SKIP_3) | instid1(VALU_DEP_2)
	v_cvt_f32_i32_e32 v8, v10
	s_set_vgpr_msb 4                        ;  msbs: dst=0 src0=0 src1=1 src2=0
	v_pk_fma_f32 v[10:11], v[148:149], v[16:17] /*v[272:273]*/, 0 op_sel_hi:[0,1,0]
	s_set_vgpr_msb 1                        ;  msbs: dst=0 src0=1 src1=0 src2=0
	v_pk_fma_f32 v[8:9], v[14:15] /*v[270:271]*/, v[8:9], 0 op_sel_hi:[1,1,0]
	s_set_vgpr_msb 0                        ;  msbs: dst=0 src0=0 src1=0 src2=0
	s_delay_alu instid0(VALU_DEP_2) | instskip(SKIP_2) | instid1(VALU_DEP_3)
	v_pk_fma_f32 v[10:11], v[150:151], v[4:5], v[10:11] op_sel_hi:[0,1,1]
	v_cvt_f32_i32_e32 v17, v16
	v_cvt_f32_i32_e32 v16, v22
	v_pk_mul_f32 v[10:11], v[10:11], v[122:123]
	s_set_vgpr_msb 1                        ;  msbs: dst=0 src0=1 src1=0 src2=0
	s_delay_alu instid0(VALU_DEP_2) | instskip(SKIP_1) | instid1(VALU_DEP_1)
	v_pk_fma_f32 v[8:9], v[18:19] /*v[274:275]*/, v[16:17], v[8:9]
	s_set_vgpr_msb 0                        ;  msbs: dst=0 src0=0 src1=0 src2=0
	v_pk_fma_f32 v[8:9], v[8:9], v[114:115], v[10:11] neg_lo:[0,0,1] neg_hi:[0,0,1]
	v_perm_b32 v10, v24, v23, 0x6050403
	s_set_vgpr_msb 17                       ;  msbs: dst=0 src0=1 src1=0 src2=1
	v_dot4_i32_iu8 v11, v23 /*v279*/, v3, v24 /*v280*/ neg_lo:[1,1,0]
	s_set_vgpr_msb 0                        ;  msbs: dst=0 src0=0 src1=0 src2=0
	v_pk_add_f32 v[90:91], v[90:91], v[8:9]
	s_set_vgpr_msb 1                        ;  msbs: dst=0 src0=1 src1=0 src2=0
	v_mul_i32_i24_e32 v8, v30 /*v286*/, v169
	v_mul_i32_i24_e32 v9, v32 /*v288*/, v224
	s_set_vgpr_msb 4                        ;  msbs: dst=0 src0=0 src1=1 src2=0
	v_dot4_i32_iu8 v11, v140, v46 /*v302*/, v11 neg_lo:[1,1,0]
	s_set_vgpr_msb 1                        ;  msbs: dst=0 src0=1 src1=0 src2=0
	v_dot4_i32_iu8 v8, v35 /*v291*/, v170, v8 neg_lo:[1,1,0]
	s_set_vgpr_msb 0                        ;  msbs: dst=0 src0=0 src1=0 src2=0
	v_dot4_i32_iu8 v9, v12, v234, v9 neg_lo:[1,1,0]
	v_mul_lo_u32 v12, v11, v129
	s_set_vgpr_msb 1                        ;  msbs: dst=0 src0=1 src1=0 src2=0
	v_dot4_i32_iu8 v8, v36 /*v292*/, v173, v8 neg_lo:[1,1,0]
	s_set_vgpr_msb 0                        ;  msbs: dst=0 src0=0 src1=0 src2=0
	v_dot4_i32_iu8 v9, v18, v0, v9 neg_lo:[1,1,0]
	s_set_vgpr_msb 1                        ;  msbs: dst=0 src0=1 src1=0 src2=0
	s_delay_alu instid0(VALU_DEP_2) | instskip(SKIP_1) | instid1(VALU_DEP_2)
	v_dot4_i32_iu8 v8, v37 /*v293*/, v174, v8 neg_lo:[1,1,0]
	s_set_vgpr_msb 0                        ;  msbs: dst=0 src0=0 src1=0 src2=0
	v_dot4_i32_iu8 v9, v19, v1, v9 neg_lo:[1,1,0]
	s_set_vgpr_msb 1                        ;  msbs: dst=0 src0=1 src1=0 src2=0
	s_delay_alu instid0(VALU_DEP_2) | instskip(SKIP_1) | instid1(VALU_DEP_2)
	;; [unrolled: 5-line block ×3, first 2 shown]
	v_dot4_i32_iu8 v8, v39 /*v295*/, v222, v8 neg_lo:[1,1,0]
	s_set_vgpr_msb 0                        ;  msbs: dst=0 src0=0 src1=0 src2=0
	v_dot4_i32_iu8 v9, v235, v10, v9 neg_lo:[1,1,0]
	s_set_vgpr_msb 4                        ;  msbs: dst=0 src0=0 src1=1 src2=0
	s_delay_alu instid0(VALU_DEP_2) | instskip(NEXT) | instid1(VALU_DEP_2)
	v_mad_i32_i24 v8, v171, v31 /*v287*/, v8
	v_mad_i32_i24 v9, v223, v34 /*v290*/, v9
	s_set_vgpr_msb 0                        ;  msbs: dst=0 src0=0 src1=0 src2=0
	s_delay_alu instid0(VALU_DEP_2) | instskip(NEXT) | instid1(VALU_DEP_2)
	v_dot4_i32_iu8 v8, v232, v13, v8 neg_lo:[1,1,0]
	v_dot4_i32_iu8 v9, v236, v21, v9 neg_lo:[1,1,0]
	s_delay_alu instid0(VALU_DEP_2) | instskip(SKIP_1) | instid1(VALU_DEP_2)
	v_dot4_i32_iu8 v8, v233, v14, v8 neg_lo:[1,1,0]
	s_set_vgpr_msb 4                        ;  msbs: dst=0 src0=0 src1=1 src2=0
	v_dot4_i32_iu8 v10, v237, v45 /*v301*/, v9 neg_lo:[1,1,0]
	s_set_vgpr_msb 0                        ;  msbs: dst=0 src0=0 src1=0 src2=0
	s_delay_alu instid0(VALU_DEP_2) | instskip(NEXT) | instid1(VALU_DEP_2)
	v_dot4_i32_iu8 v8, v15, v238, v8 neg_lo:[1,1,0]
	v_dot4_i32_iu8 v10, v26, v3, v10 neg_lo:[1,1,0]
	s_delay_alu instid0(VALU_DEP_2) | instskip(SKIP_1) | instid1(VALU_DEP_2)
	v_mul_lo_u32 v7, v8, v175
	s_set_vgpr_msb 4                        ;  msbs: dst=0 src0=0 src1=1 src2=0
	v_dot4_i32_iu8 v10, v140, v25 /*v281*/, v10 neg_lo:[1,1,0]
	v_pk_fma_f32 v[8:9], v[136:137], v[16:17] /*v[272:273]*/, 0 op_sel_hi:[0,1,0]
	s_set_vgpr_msb 0                        ;  msbs: dst=0 src0=0 src1=0 src2=0
	s_delay_alu instid0(VALU_DEP_2) | instskip(NEXT) | instid1(VALU_DEP_2)
	v_mul_lo_u32 v10, v10, v129
	v_pk_fma_f32 v[4:5], v[126:127], v[4:5], v[8:9] op_sel_hi:[0,1,1]
	v_cvt_f32_i32_e32 v7, v7
	s_delay_alu instid0(VALU_DEP_2) | instskip(SKIP_1) | instid1(VALU_DEP_2)
	v_pk_mul_f32 v[4:5], v[4:5], v[124:125]
	s_set_vgpr_msb 1                        ;  msbs: dst=0 src0=1 src1=0 src2=0
	v_pk_fma_f32 v[6:7], v[14:15] /*v[270:271]*/, v[6:7], 0 op_sel_hi:[1,1,0]
	s_set_vgpr_msb 0                        ;  msbs: dst=0 src0=0 src1=0 src2=0
	v_cvt_f32_i32_e32 v11, v10
	v_cvt_f32_i32_e32 v10, v12
	s_set_vgpr_msb 1                        ;  msbs: dst=0 src0=1 src1=0 src2=0
	s_delay_alu instid0(VALU_DEP_1) | instskip(SKIP_1) | instid1(VALU_DEP_1)
	v_pk_fma_f32 v[6:7], v[18:19] /*v[274:275]*/, v[10:11], v[6:7]
	s_set_vgpr_msb 0                        ;  msbs: dst=0 src0=0 src1=0 src2=0
	v_pk_fma_f32 v[4:5], v[6:7], v[116:117], v[4:5] neg_lo:[0,0,1] neg_hi:[0,0,1]
	s_delay_alu instid0(VALU_DEP_1) | instskip(SKIP_1) | instid1(VALU_DEP_1)
	v_pk_add_f32 v[98:99], v[98:99], v[4:5]
	v_or_b32_e32 v4, s12, v183
	v_lshlrev_b32_e32 v8, 2, v4
	s_set_vgpr_msb 64                       ;  msbs: dst=1 src0=0 src1=0 src2=0
	v_lshrrev_b32_e32 v28 /*v284*/, 1, v4
	s_set_vgpr_msb 0                        ;  msbs: dst=0 src0=0 src1=0 src2=0
	ds_load_b128 v[12:15], v8 offset:33280
	ds_load_b128 v[4:7], v8 offset:33296
	;; [unrolled: 1-line block ×4, first 2 shown]
	s_wait_dscnt 0x3
	v_bfe_i32 v20, v12, 0, 8
	v_perm_b32 v26, v12, v12, 0xc0c0201
	v_perm_b32 v27, v13, v12, 0x6050403
	s_set_vgpr_msb 64                       ;  msbs: dst=1 src0=0 src1=0 src2=0
	v_perm_b32 v14 /*v270*/, v14, v13, 0x6050403
	v_perm_b32 v21 /*v277*/, v15, v14, 0x6050403
	s_set_vgpr_msb 0                        ;  msbs: dst=0 src0=0 src1=0 src2=0
	v_mul_i32_i24_e32 v25, v20, v155
	s_wait_dscnt 0x2
	s_set_vgpr_msb 64                       ;  msbs: dst=1 src0=0 src1=0 src2=0
	v_perm_b32 v22 /*v278*/, v4, v15, 0x6050403
	s_set_vgpr_msb 0                        ;  msbs: dst=0 src0=0 src1=0 src2=0
	v_ashrrev_i32_e32 v21, 24, v4
	s_wait_dscnt 0x1
	v_bfe_i32 v22, v16, 0, 8
	v_bfe_i32 v23, v16, 8, 8
	v_dot4_i32_iu8 v25, v26, v156, v25 neg_lo:[1,1,0]
	s_set_vgpr_msb 64                       ;  msbs: dst=1 src0=0 src1=0 src2=0
	v_perm_b32 v15 /*v271*/, v17, v16, 0x5040302
	v_perm_b32 v16 /*v272*/, v18, v17, 0x5040302
	;; [unrolled: 1-line block ×3, first 2 shown]
	s_wait_dscnt 0x0
	v_perm_b32 v23 /*v279*/, v8, v19, 0x5040302
	s_set_vgpr_msb 0                        ;  msbs: dst=0 src0=0 src1=0 src2=0
	v_dot4_i32_iu8 v25, v27, v157, v25 neg_lo:[1,1,0]
	s_set_vgpr_msb 64                       ;  msbs: dst=1 src0=0 src1=0 src2=0
	v_perm_b32 v24 /*v280*/, v9, v8, 0x5040302
	v_perm_b32 v25 /*v281*/, v10, v9, 0x5040302
	s_set_vgpr_msb 0                        ;  msbs: dst=0 src0=0 src1=0 src2=0
	v_dot4_i32_iu8 v12, v12, v146, 0 neg_lo:[1,1,0]
	v_ashrrev_i32_e32 v24, 24, v8
	s_set_vgpr_msb 5                        ;  msbs: dst=0 src0=1 src1=1 src2=0
	v_dot4_i32_iu8 v25, v14 /*v270*/, v1 /*v257*/, v25 neg_lo:[1,1,0]
	s_set_vgpr_msb 0                        ;  msbs: dst=0 src0=0 src1=0 src2=0
	v_perm_b32 v9, v9, v9, 0xc0c0100
	v_dot4_i32_iu8 v12, v13, v147, v12 neg_lo:[1,1,0]
	v_perm_b32 v13, v17, v16, 0x6050403
	s_set_vgpr_msb 5                        ;  msbs: dst=0 src0=1 src1=1 src2=0
	v_dot4_i32_iu8 v25, v21 /*v277*/, v2 /*v258*/, v25 neg_lo:[1,1,0]
	s_set_vgpr_msb 0                        ;  msbs: dst=0 src0=0 src1=0 src2=0
	v_dot4_i32_iu8 v12, v14, v144, v12 neg_lo:[1,1,0]
	v_perm_b32 v14, v18, v17, 0x6050403
	s_set_vgpr_msb 5                        ;  msbs: dst=0 src0=1 src1=1 src2=0
	v_dot4_i32_iu8 v25, v22 /*v278*/, v3 /*v259*/, v25 neg_lo:[1,1,0]
	s_set_vgpr_msb 0                        ;  msbs: dst=0 src0=0 src1=0 src2=0
	v_perm_b32 v17, v226, v19, 0x6050403
	v_dot4_i32_iu8 v12, v15, v145, v12 neg_lo:[1,1,0]
	v_perm_b32 v15, v19, v18, 0x6050403
	v_mad_i32_i24 v25, v154, v21, v25
	s_delay_alu instid0(VALU_DEP_3) | instskip(SKIP_2) | instid1(VALU_DEP_3)
	v_dot4_i32_iu8 v4, v4, v142, v12 neg_lo:[1,1,0]
	v_perm_b32 v12, v16, v16, 0xc0c0201
	s_set_vgpr_msb 1                        ;  msbs: dst=0 src0=1 src1=0 src2=0
	v_dot4_i32_iu8 v25, v12 /*v268*/, v5, v25 neg_lo:[1,1,0]
	s_set_vgpr_msb 0                        ;  msbs: dst=0 src0=0 src1=0 src2=0
	v_perm_b32 v16, v8, v141, 0x6050403
	v_dot4_i32_iu8 v4, v5, v143, v4 neg_lo:[1,1,0]
	s_set_vgpr_msb 0x41                     ;  msbs: dst=1 src0=1 src1=0 src2=0
	v_dot4_i32_iu8 v20 /*v276*/, v13 /*v269*/, v6, v25 neg_lo:[1,1,0]
	s_set_vgpr_msb 1                        ;  msbs: dst=0 src0=1 src1=0 src2=0
	v_mul_i32_i24_e32 v25, v5 /*v261*/, v22
	s_delay_alu instid0(VALU_DEP_1) | instskip(SKIP_1) | instid1(VALU_DEP_1)
	v_mad_i32_i24 v25, v4 /*v260*/, v23, v25
	s_set_vgpr_msb 5                        ;  msbs: dst=0 src0=1 src1=1 src2=0
	v_dot4_i32_iu8 v25, v6 /*v262*/, v15 /*v271*/, v25 neg_lo:[1,1,0]
	s_delay_alu instid0(VALU_DEP_1) | instskip(NEXT) | instid1(VALU_DEP_1)
	v_dot4_i32_iu8 v25, v7 /*v263*/, v16 /*v272*/, v25 neg_lo:[1,1,0]
	v_dot4_i32_iu8 v25, v8 /*v264*/, v17 /*v273*/, v25 neg_lo:[1,1,0]
	s_delay_alu instid0(VALU_DEP_1) | instskip(NEXT) | instid1(VALU_DEP_1)
	v_dot4_i32_iu8 v25, v9 /*v265*/, v23 /*v279*/, v25 neg_lo:[1,1,0]
	v_dot4_i32_iu8 v25, v10 /*v266*/, v24 /*v280*/, v25 neg_lo:[1,1,0]
	s_set_vgpr_msb 0x45                     ;  msbs: dst=1 src0=1 src1=1 src2=0
	s_delay_alu instid0(VALU_DEP_1) | instskip(SKIP_2) | instid1(VALU_DEP_1)
	v_dot4_i32_iu8 v19 /*v275*/, v11 /*v267*/, v25 /*v281*/, v25 neg_lo:[1,1,0]
	s_set_vgpr_msb 0                        ;  msbs: dst=0 src0=0 src1=0 src2=0
	v_mul_i32_i24_e32 v25, v20, v151
	v_dot4_i32_iu8 v25, v26, v153, v25 neg_lo:[1,1,0]
	s_delay_alu instid0(VALU_DEP_1) | instskip(SKIP_1) | instid1(VALU_DEP_1)
	v_dot4_i32_iu8 v25, v27, v160, v25 neg_lo:[1,1,0]
	s_set_vgpr_msb 1                        ;  msbs: dst=0 src0=1 src1=0 src2=0
	v_dot4_i32_iu8 v25, v14 /*v270*/, v162, v25 neg_lo:[1,1,0]
	s_delay_alu instid0(VALU_DEP_1) | instskip(NEXT) | instid1(VALU_DEP_1)
	v_dot4_i32_iu8 v25, v21 /*v277*/, v163, v25 neg_lo:[1,1,0]
	v_dot4_i32_iu8 v25, v22 /*v278*/, v164, v25 neg_lo:[1,1,0]
	s_set_vgpr_msb 0                        ;  msbs: dst=0 src0=0 src1=0 src2=0
	s_delay_alu instid0(VALU_DEP_1) | instskip(NEXT) | instid1(VALU_DEP_1)
	v_mad_i32_i24 v25, v158, v21, v25
	v_dot4_i32_iu8 v25, v254, v5, v25 neg_lo:[1,1,0]
	s_set_vgpr_msb 64                       ;  msbs: dst=1 src0=0 src1=0 src2=0
	s_delay_alu instid0(VALU_DEP_1) | instskip(SKIP_2) | instid1(VALU_DEP_1)
	v_dot4_i32_iu8 v18 /*v274*/, v255, v6, v25 neg_lo:[1,1,0]
	s_set_vgpr_msb 0                        ;  msbs: dst=0 src0=0 src1=0 src2=0
	v_mul_i32_i24_e32 v25, v22, v166
	v_mad_i32_i24 v23, v23, v167, v25
	s_set_vgpr_msb 1                        ;  msbs: dst=0 src0=1 src1=0 src2=0
	s_delay_alu instid0(VALU_DEP_1) | instskip(NEXT) | instid1(VALU_DEP_1)
	v_dot4_i32_iu8 v23, v15 /*v271*/, v168, v23 neg_lo:[1,1,0]
	v_dot4_i32_iu8 v23, v16 /*v272*/, v239, v23 neg_lo:[1,1,0]
	s_set_vgpr_msb 64                       ;  msbs: dst=1 src0=0 src1=0 src2=0
	v_dot4_i32_iu8 v16 /*v272*/, v6, v138, v4 neg_lo:[1,1,0]
	s_set_vgpr_msb 0                        ;  msbs: dst=0 src0=0 src1=0 src2=0
	v_mul_i32_i24_e32 v4, v22, v228
	s_set_vgpr_msb 1                        ;  msbs: dst=0 src0=1 src1=0 src2=0
	v_dot4_i32_iu8 v23, v17 /*v273*/, v240, v23 neg_lo:[1,1,0]
	s_set_vgpr_msb 0                        ;  msbs: dst=0 src0=0 src1=0 src2=0
	s_delay_alu instid0(VALU_DEP_2) | instskip(SKIP_1) | instid1(VALU_DEP_2)
	v_dot4_i32_iu8 v4, v12, v247, v4 neg_lo:[1,1,0]
	s_set_vgpr_msb 1                        ;  msbs: dst=0 src0=1 src1=0 src2=0
	v_dot4_i32_iu8 v23, v23 /*v279*/, v241, v23 neg_lo:[1,1,0]
	s_set_vgpr_msb 0                        ;  msbs: dst=0 src0=0 src1=0 src2=0
	s_delay_alu instid0(VALU_DEP_2) | instskip(SKIP_1) | instid1(VALU_DEP_2)
	v_dot4_i32_iu8 v4, v13, v248, v4 neg_lo:[1,1,0]
	;; [unrolled: 5-line block ×3, first 2 shown]
	s_set_vgpr_msb 0x41                     ;  msbs: dst=1 src0=1 src1=0 src2=0
	v_dot4_i32_iu8 v17 /*v273*/, v25 /*v281*/, v243, v23 neg_lo:[1,1,0]
	s_set_vgpr_msb 0                        ;  msbs: dst=0 src0=0 src1=0 src2=0
	s_delay_alu instid0(VALU_DEP_2) | instskip(NEXT) | instid1(VALU_DEP_1)
	v_dot4_i32_iu8 v4, v15, v250, v4 neg_lo:[1,1,0]
	v_dot4_i32_iu8 v4, v17, v16, v4 neg_lo:[1,1,0]
	s_delay_alu instid0(VALU_DEP_1) | instskip(NEXT) | instid1(VALU_DEP_1)
	v_mad_i32_i24 v4, v227, v24, v4
	v_dot4_i32_iu8 v4, v251, v9, v4 neg_lo:[1,1,0]
	s_set_vgpr_msb 0x44                     ;  msbs: dst=1 src0=0 src1=1 src2=0
	s_delay_alu instid0(VALU_DEP_1) | instskip(SKIP_2) | instid1(VALU_DEP_1)
	v_dot4_i32_iu8 v15 /*v271*/, v252, v25 /*v281*/, v4 neg_lo:[1,1,0]
	s_set_vgpr_msb 0                        ;  msbs: dst=0 src0=0 src1=0 src2=0
	v_mul_i32_i24_e32 v4, v20, v169
	v_dot4_i32_iu8 v4, v26, v170, v4 neg_lo:[1,1,0]
	s_delay_alu instid0(VALU_DEP_1) | instskip(SKIP_1) | instid1(VALU_DEP_1)
	v_dot4_i32_iu8 v4, v27, v173, v4 neg_lo:[1,1,0]
	s_set_vgpr_msb 1                        ;  msbs: dst=0 src0=1 src1=0 src2=0
	v_dot4_i32_iu8 v4, v14 /*v270*/, v174, v4 neg_lo:[1,1,0]
	s_delay_alu instid0(VALU_DEP_1) | instskip(NEXT) | instid1(VALU_DEP_1)
	v_dot4_i32_iu8 v4, v21 /*v277*/, v221, v4 neg_lo:[1,1,0]
	v_dot4_i32_iu8 v4, v22 /*v278*/, v222, v4 neg_lo:[1,1,0]
	s_set_vgpr_msb 0                        ;  msbs: dst=0 src0=0 src1=0 src2=0
	s_delay_alu instid0(VALU_DEP_1) | instskip(NEXT) | instid1(VALU_DEP_1)
	v_mad_i32_i24 v4, v171, v21, v4
	v_dot4_i32_iu8 v4, v232, v5, v4 neg_lo:[1,1,0]
	v_perm_b32 v5, v8, v19, 0x6050403
	s_set_vgpr_msb 64                       ;  msbs: dst=1 src0=0 src1=0 src2=0
	s_delay_alu instid0(VALU_DEP_2) | instskip(SKIP_2) | instid1(VALU_DEP_1)
	v_dot4_i32_iu8 v14 /*v270*/, v233, v6, v4 neg_lo:[1,1,0]
	s_set_vgpr_msb 0                        ;  msbs: dst=0 src0=0 src1=0 src2=0
	v_mul_i32_i24_e32 v4, v22, v224
	v_dot4_i32_iu8 v4, v12, v234, v4 neg_lo:[1,1,0]
	s_delay_alu instid0(VALU_DEP_1) | instskip(NEXT) | instid1(VALU_DEP_1)
	v_dot4_i32_iu8 v4, v13, v0, v4 neg_lo:[1,1,0]
	v_dot4_i32_iu8 v4, v14, v1, v4 neg_lo:[1,1,0]
	s_delay_alu instid0(VALU_DEP_1) | instskip(NEXT) | instid1(VALU_DEP_1)
	v_dot4_i32_iu8 v4, v15, v2, v4 neg_lo:[1,1,0]
	v_dot4_i32_iu8 v4, v235, v5, v4 neg_lo:[1,1,0]
	s_delay_alu instid0(VALU_DEP_1) | instskip(NEXT) | instid1(VALU_DEP_1)
	v_mad_i32_i24 v4, v223, v24, v4
	v_dot4_i32_iu8 v4, v236, v9, v4 neg_lo:[1,1,0]
	s_set_vgpr_msb 4                        ;  msbs: dst=0 src0=0 src1=1 src2=0
	s_delay_alu instid0(VALU_DEP_1)
	v_dot4_i32_iu8 v6, v237, v25 /*v281*/, v4 neg_lo:[1,1,0]
	s_set_vgpr_msb 0                        ;  msbs: dst=0 src0=0 src1=0 src2=0
	v_or_b32_e32 v4, s12, v184
	s_add_co_i32 s12, s5, 8
	s_cmp_lt_u32 s5, 24
	s_mov_b32 s5, s12
	s_delay_alu instid0(VALU_DEP_1)
	v_dual_lshlrev_b32 v5, 2, v4 :: v_dual_lshrrev_b32 v4, 1, v4
	ds_load_b128 v[24:27], v5 offset:33280
	ds_load_b128 v[12:15], v5 offset:33296
	;; [unrolled: 1-line block ×4, first 2 shown]
	s_wait_dscnt 0x3
	s_set_vgpr_msb 64                       ;  msbs: dst=1 src0=0 src1=0 src2=0
	v_bfe_i32 v24 /*v280*/, v24, 0, 8
	v_perm_b32 v25 /*v281*/, v24, v24, 0xc0c0201
	v_perm_b32 v26 /*v282*/, v25, v24, 0x6050403
	v_perm_b32 v27 /*v283*/, v26, v25, 0x6050403
	s_wait_dscnt 0x2
	v_ashrrev_i32_e32 v23 /*v279*/, 24, v12
	s_set_vgpr_msb 1                        ;  msbs: dst=0 src0=1 src1=0 src2=0
	v_mul_i32_i24_e32 v5, v24 /*v280*/, v155
	s_wait_dscnt 0x1
	s_set_vgpr_msb 64                       ;  msbs: dst=1 src0=0 src1=0 src2=0
	v_bfe_i32 v22 /*v278*/, v16, 0, 8
	v_bfe_i32 v29 /*v285*/, v16, 8, 8
	v_perm_b32 v30 /*v286*/, v18, v17, 0x5040302
	v_perm_b32 v31 /*v287*/, v19, v18, 0x5040302
	s_set_vgpr_msb 1                        ;  msbs: dst=0 src0=1 src1=0 src2=0
	v_dot4_i32_iu8 v5, v25 /*v281*/, v156, v5 neg_lo:[1,1,0]
	s_wait_dscnt 0x0
	s_set_vgpr_msb 64                       ;  msbs: dst=1 src0=0 src1=0 src2=0
	v_ashrrev_i32_e32 v21 /*v277*/, 24, v20
	s_set_vgpr_msb 1                        ;  msbs: dst=0 src0=1 src1=0 src2=0
	v_dot4_i32_iu8 v5, v26 /*v282*/, v157, v5 neg_lo:[1,1,0]
	s_set_vgpr_msb 5                        ;  msbs: dst=0 src0=1 src1=1 src2=0
	s_delay_alu instid0(VALU_DEP_1) | instskip(SKIP_3) | instid1(VALU_DEP_1)
	v_dot4_i32_iu8 v5, v27 /*v283*/, v1 /*v257*/, v5 neg_lo:[1,1,0]
	s_set_vgpr_msb 64                       ;  msbs: dst=1 src0=0 src1=0 src2=0
	v_perm_b32 v1 /*v257*/, v27, v26, 0x6050403
	s_set_vgpr_msb 5                        ;  msbs: dst=0 src0=1 src1=1 src2=0
	v_dot4_i32_iu8 v5, v1 /*v257*/, v2 /*v258*/, v5 neg_lo:[1,1,0]
	s_set_vgpr_msb 64                       ;  msbs: dst=1 src0=0 src1=0 src2=0
	v_perm_b32 v2 /*v258*/, v12, v27, 0x6050403
	s_set_vgpr_msb 5                        ;  msbs: dst=0 src0=1 src1=1 src2=0
	s_delay_alu instid0(VALU_DEP_1) | instskip(SKIP_3) | instid1(VALU_DEP_2)
	v_dot4_i32_iu8 v5, v2 /*v258*/, v3 /*v259*/, v5 neg_lo:[1,1,0]
	s_set_vgpr_msb 64                       ;  msbs: dst=1 src0=0 src1=0 src2=0
	v_perm_b32 v3 /*v259*/, v22, v21, 0x5040302
	s_set_vgpr_msb 4                        ;  msbs: dst=0 src0=0 src1=1 src2=0
	v_mad_i32_i24 v5, v154, v23 /*v279*/, v5
	s_set_vgpr_msb 1                        ;  msbs: dst=0 src0=1 src1=0 src2=0
	s_delay_alu instid0(VALU_DEP_1) | instskip(SKIP_1) | instid1(VALU_DEP_1)
	v_dot4_i32_iu8 v5, v12 /*v268*/, v13, v5 neg_lo:[1,1,0]
	s_set_vgpr_msb 0x41                     ;  msbs: dst=1 src0=1 src1=0 src2=0
	v_dot4_i32_iu8 v12 /*v268*/, v13 /*v269*/, v14, v5 neg_lo:[1,1,0]
	s_set_vgpr_msb 5                        ;  msbs: dst=0 src0=1 src1=1 src2=0
	v_mul_i32_i24_e32 v5, v5 /*v261*/, v22 /*v278*/
	s_set_vgpr_msb 64                       ;  msbs: dst=1 src0=0 src1=0 src2=0
	v_perm_b32 v13 /*v269*/, v17, v16, 0x5040302
	s_set_vgpr_msb 5                        ;  msbs: dst=0 src0=1 src1=1 src2=0
	s_delay_alu instid0(VALU_DEP_2)
	v_mad_i32_i24 v5, v4 /*v260*/, v29 /*v285*/, v5
	ds_load_b64 v[8:9], v28 /*v284*/ offset:43584
	s_set_vgpr_msb 64                       ;  msbs: dst=1 src0=0 src1=0 src2=0
	ds_load_b64 v[4:5] /*v[260:261]*/, v4 offset:43584
	s_set_vgpr_msb 5                        ;  msbs: dst=0 src0=1 src1=1 src2=0
	v_dot4_i32_iu8 v5, v6 /*v262*/, v13 /*v269*/, v5 neg_lo:[1,1,0]
	s_delay_alu instid0(VALU_DEP_1) | instskip(NEXT) | instid1(VALU_DEP_1)
	v_dot4_i32_iu8 v5, v7 /*v263*/, v30 /*v286*/, v5 neg_lo:[1,1,0]
	v_dot4_i32_iu8 v5, v8 /*v264*/, v31 /*v287*/, v5 neg_lo:[1,1,0]
	s_set_vgpr_msb 64                       ;  msbs: dst=1 src0=0 src1=0 src2=0
	v_perm_b32 v8 /*v264*/, v20, v19, 0x5040302
	s_wait_dscnt 0x1
	s_set_vgpr_msb 0                        ;  msbs: dst=0 src0=0 src1=0 src2=0
	v_cvt_f32_f16_e32 v4, v8
	s_set_vgpr_msb 5                        ;  msbs: dst=0 src0=1 src1=1 src2=0
	v_dot4_i32_iu8 v5, v9 /*v265*/, v8 /*v264*/, v5 neg_lo:[1,1,0]
	s_set_vgpr_msb 64                       ;  msbs: dst=1 src0=0 src1=0 src2=0
	v_perm_b32 v9 /*v265*/, v21, v20, 0x5040302
	s_wait_dscnt 0x0
	s_set_vgpr_msb 4                        ;  msbs: dst=0 src0=0 src1=1 src2=0
	v_lshrrev_b32_e32 v154, 16, v4 /*v260*/
	s_set_vgpr_msb 1                        ;  msbs: dst=0 src0=1 src1=0 src2=0
	v_lshrrev_b32_e32 v8, 16, v8
	v_cvt_f32_f16_e64 v155, v5 /*v261*/
	s_set_vgpr_msb 0                        ;  msbs: dst=0 src0=0 src1=0 src2=0
	v_perm_b32 v21, v21, v21, 0xc0c0100
	s_set_vgpr_msb 5                        ;  msbs: dst=0 src0=1 src1=1 src2=0
	v_dot4_i32_iu8 v5, v10 /*v266*/, v9 /*v265*/, v5 neg_lo:[1,1,0]
	s_set_vgpr_msb 0                        ;  msbs: dst=0 src0=0 src1=0 src2=0
	v_cvt_f32_f16_e64 v157, v154
	v_cvt_f32_f16_e64 v156, v8
	;; [unrolled: 1-line block ×3, first 2 shown]
	v_lshrrev_b32_e32 v8, 16, v9
	s_set_vgpr_msb 0x45                     ;  msbs: dst=1 src0=1 src1=1 src2=0
	v_dot4_i32_iu8 v10 /*v266*/, v11 /*v267*/, v3 /*v259*/, v5 neg_lo:[1,1,0]
	s_set_vgpr_msb 1                        ;  msbs: dst=0 src0=1 src1=0 src2=0
	v_cvt_f32_f16_e64 v5, v4 /*v260*/
	s_set_vgpr_msb 0x50                     ;  msbs: dst=1 src0=0 src1=0 src2=1
	v_dot4_i32_iu8 v4 /*v260*/, v15, v253, v12 /*v268*/ neg_lo:[1,1,0]
	s_set_vgpr_msb 16                       ;  msbs: dst=0 src0=0 src1=0 src2=1
	v_dot4_i32_iu8 v253, v7, v253, v20 /*v276*/ neg_lo:[1,1,0]
	s_set_vgpr_msb 4                        ;  msbs: dst=0 src0=0 src1=1 src2=0
	v_lshrrev_b32_e32 v9, 16, v5 /*v261*/
	s_set_vgpr_msb 64                       ;  msbs: dst=1 src0=0 src1=0 src2=0
	v_pk_fma_f32 v[6:7] /*v[262:263]*/, v[132:133], v[156:157], 0 op_sel_hi:[0,1,0]
	s_set_vgpr_msb 0                        ;  msbs: dst=0 src0=0 src1=0 src2=0
	v_perm_b32 v132, v131, v10, 0x5040302
	v_perm_b32 v131, v131, v22, 0x5040302
	v_mul_lo_u32 v253, v253, v135
	s_set_vgpr_msb 1                        ;  msbs: dst=0 src0=1 src1=0 src2=0
	v_mul_lo_u32 v135, v4 /*v260*/, v135
	s_set_vgpr_msb 0                        ;  msbs: dst=0 src0=0 src1=0 src2=0
	v_cvt_f32_f16_e32 v9, v9
	v_cvt_f32_f16_e32 v8, v8
	s_set_vgpr_msb 64                       ;  msbs: dst=1 src0=0 src1=0 src2=0
	s_delay_alu instid0(VALU_DEP_4) | instskip(NEXT) | instid1(VALU_DEP_4)
	v_cvt_f32_i32_e32 v4 /*v260*/, v253
	v_cvt_f32_i32_e32 v5 /*v261*/, v135
	s_set_vgpr_msb 0                        ;  msbs: dst=0 src0=0 src1=0 src2=0
	v_perm_b32 v135, v11, v130, 0x5040302
	v_perm_b32 v130, v23, v130, 0x5040302
	;; [unrolled: 1-line block ×3, first 2 shown]
	s_set_vgpr_msb 0x44                     ;  msbs: dst=1 src0=0 src1=1 src2=0
	v_pk_fma_f32 v[4:5] /*v[260:261]*/, v[4:5], v[4:5] /*v[260:261]*/, 0 op_sel_hi:[1,1,0]
	s_set_vgpr_msb 16                       ;  msbs: dst=0 src0=0 src1=0 src2=1
	v_dot4_i32_iu8 v132, v135, v132, v19 /*v275*/ neg_lo:[1,1,0]
	v_dot4_i32_iu8 v130, v130, v131, v10 /*v266*/ neg_lo:[1,1,0]
	s_set_vgpr_msb 64                       ;  msbs: dst=1 src0=0 src1=0 src2=0
	v_perm_b32 v10 /*v266*/, v11, v11, 0xc0c0302
	s_set_vgpr_msb 0                        ;  msbs: dst=0 src0=0 src1=0 src2=0
	v_pk_fma_f32 v[134:135], v[134:135], v[156:157], 0 op_sel_hi:[0,1,0]
	v_dot4_i32_iu8 v130, v245, v253, v130 neg_lo:[1,1,0]
	s_set_vgpr_msb 4                        ;  msbs: dst=0 src0=0 src1=1 src2=0
	v_dot4_i32_iu8 v131, v245, v10 /*v266*/, v132 neg_lo:[1,1,0]
	s_set_vgpr_msb 0                        ;  msbs: dst=0 src0=0 src1=0 src2=0
	s_delay_alu instid0(VALU_DEP_1) | instskip(SKIP_1) | instid1(VALU_DEP_2)
	v_mul_lo_u32 v132, v131, v127
	v_mul_lo_u32 v127, v130, v127
	v_cvt_f32_i32_e32 v130, v132
	s_delay_alu instid0(VALU_DEP_2)
	v_cvt_f32_i32_e32 v131, v127
	s_set_vgpr_msb 1                        ;  msbs: dst=0 src0=1 src1=0 src2=0
	v_mul_i32_i24_e32 v127, v24 /*v280*/, v151
	s_set_vgpr_msb 0                        ;  msbs: dst=0 src0=0 src1=0 src2=0
	v_perm_b32 v132, v23, v22, 0x5040302
	v_pk_fma_f32 v[22:23], v[152:153], v[8:9], v[134:135] op_sel_hi:[0,1,1]
	s_set_vgpr_msb 16                       ;  msbs: dst=0 src0=0 src1=0 src2=1
	v_pk_fma_f32 v[130:131], v[154:155], v[130:131], v[4:5] /*v[260:261]*/
	s_set_vgpr_msb 1                        ;  msbs: dst=0 src0=1 src1=0 src2=0
	v_dot4_i32_iu8 v127, v25 /*v281*/, v153, v127 neg_lo:[1,1,0]
	s_set_vgpr_msb 0x50                     ;  msbs: dst=1 src0=0 src1=0 src2=1
	v_pk_fma_f32 v[4:5] /*v[260:261]*/, v[128:129], v[8:9], v[6:7] /*v[262:263]*/ op_sel_hi:[0,1,1]
	s_set_vgpr_msb 1                        ;  msbs: dst=0 src0=1 src1=0 src2=0
	v_mul_i32_i24_e32 v128, v22 /*v278*/, v166
	s_set_vgpr_msb 0                        ;  msbs: dst=0 src0=0 src1=0 src2=0
	v_pk_mul_f32 v[22:23], v[22:23], v[120:121]
	s_set_vgpr_msb 1                        ;  msbs: dst=0 src0=1 src1=0 src2=0
	v_dot4_i32_iu8 v127, v26 /*v282*/, v160, v127 neg_lo:[1,1,0]
	s_set_vgpr_msb 0x41                     ;  msbs: dst=1 src0=1 src1=0 src2=0
	v_pk_mul_f32 v[4:5] /*v[260:261]*/, v[4:5] /*v[260:261]*/, v[118:119]
	s_set_vgpr_msb 1                        ;  msbs: dst=0 src0=1 src1=0 src2=0
	v_mad_i32_i24 v128, v29 /*v285*/, v167, v128
	v_dot4_i32_iu8 v127, v27 /*v283*/, v162, v127 neg_lo:[1,1,0]
	s_set_vgpr_msb 16                       ;  msbs: dst=0 src0=0 src1=0 src2=1
	v_pk_fma_f32 v[130:131], v[130:131], v[110:111], v[4:5] /*v[260:261]*/ neg_lo:[0,0,1] neg_hi:[0,0,1]
	s_set_vgpr_msb 1                        ;  msbs: dst=0 src0=1 src1=0 src2=0
	v_dot4_i32_iu8 v128, v13 /*v269*/, v168, v128 neg_lo:[1,1,0]
	v_dot4_i32_iu8 v127, v1 /*v257*/, v163, v127 neg_lo:[1,1,0]
	s_set_vgpr_msb 0                        ;  msbs: dst=0 src0=0 src1=0 src2=0
	v_pk_add_f32 v[68:69], v[68:69], v[130:131]
	s_set_vgpr_msb 1                        ;  msbs: dst=0 src0=1 src1=0 src2=0
	v_dot4_i32_iu8 v128, v30 /*v286*/, v239, v128 neg_lo:[1,1,0]
	s_set_vgpr_msb 20                       ;  msbs: dst=0 src0=0 src1=1 src2=1
	v_dot4_i32_iu8 v130, v7, v0 /*v256*/, v18 /*v274*/ neg_lo:[1,1,0]
	s_set_vgpr_msb 1                        ;  msbs: dst=0 src0=1 src1=0 src2=0
	v_dot4_i32_iu8 v127, v2 /*v258*/, v164, v127 neg_lo:[1,1,0]
	v_dot4_i32_iu8 v128, v31 /*v287*/, v240, v128 neg_lo:[1,1,0]
	s_set_vgpr_msb 0                        ;  msbs: dst=0 src0=0 src1=0 src2=0
	v_mul_lo_u32 v130, v130, v165
	s_set_vgpr_msb 4                        ;  msbs: dst=0 src0=0 src1=1 src2=0
	v_mad_i32_i24 v127, v158, v23 /*v279*/, v127
	s_set_vgpr_msb 1                        ;  msbs: dst=0 src0=1 src1=0 src2=0
	v_dot4_i32_iu8 v128, v8 /*v264*/, v241, v128 neg_lo:[1,1,0]
	s_set_vgpr_msb 0                        ;  msbs: dst=0 src0=0 src1=0 src2=0
	s_delay_alu instid0(VALU_DEP_2) | instskip(SKIP_1) | instid1(VALU_DEP_2)
	v_dot4_i32_iu8 v127, v254, v13, v127 neg_lo:[1,1,0]
	s_set_vgpr_msb 1                        ;  msbs: dst=0 src0=1 src1=0 src2=0
	v_dot4_i32_iu8 v128, v9 /*v265*/, v242, v128 neg_lo:[1,1,0]
	s_set_vgpr_msb 0                        ;  msbs: dst=0 src0=0 src1=0 src2=0
	v_cvt_f32_i32_e32 v130, v130
	v_dot4_i32_iu8 v127, v255, v14, v127 neg_lo:[1,1,0]
	s_set_vgpr_msb 1                        ;  msbs: dst=0 src0=1 src1=0 src2=0
	v_dot4_i32_iu8 v128, v3 /*v259*/, v243, v128 neg_lo:[1,1,0]
	s_set_vgpr_msb 4                        ;  msbs: dst=0 src0=0 src1=1 src2=0
	s_delay_alu instid0(VALU_DEP_2) | instskip(SKIP_1) | instid1(VALU_DEP_1)
	v_dot4_i32_iu8 v127, v15, v0 /*v256*/, v127 neg_lo:[1,1,0]
	s_set_vgpr_msb 0                        ;  msbs: dst=0 src0=0 src1=0 src2=0
	v_mul_lo_u32 v127, v127, v165
	s_delay_alu instid0(VALU_DEP_1) | instskip(SKIP_2) | instid1(VALU_DEP_3)
	v_cvt_f32_i32_e32 v131, v127
	v_perm_b32 v127, v11, v10, 0x5040302
	v_dot4_i32_iu8 v11, v132, v244, v128 neg_lo:[1,1,0]
	v_pk_fma_f32 v[130:131], v[4:5], v[130:131], 0 op_sel_hi:[1,1,0]
	s_set_vgpr_msb 16                       ;  msbs: dst=0 src0=0 src1=0 src2=1
	s_delay_alu instid0(VALU_DEP_3)
	v_dot4_i32_iu8 v10, v127, v244, v17 /*v273*/ neg_lo:[1,1,0]
	s_set_vgpr_msb 0                        ;  msbs: dst=0 src0=0 src1=0 src2=0
	v_dot4_i32_iu8 v11, v246, v253, v11 neg_lo:[1,1,0]
	v_dot4_i32_iu8 v6, v127, v3, v6 neg_lo:[1,1,0]
	s_set_vgpr_msb 4                        ;  msbs: dst=0 src0=0 src1=1 src2=0
	v_dot4_i32_iu8 v10, v246, v10 /*v266*/, v10 neg_lo:[1,1,0]
	s_set_vgpr_msb 0                        ;  msbs: dst=0 src0=0 src1=0 src2=0
	v_mul_lo_u32 v11, v11, v229
	s_delay_alu instid0(VALU_DEP_2) | instskip(NEXT) | instid1(VALU_DEP_2)
	v_mul_lo_u32 v10, v10, v229
	v_cvt_f32_i32_e32 v11, v11
	s_delay_alu instid0(VALU_DEP_2) | instskip(NEXT) | instid1(VALU_DEP_1)
	v_cvt_f32_i32_e32 v10, v10
	v_pk_fma_f32 v[10:11], v[154:155], v[10:11], v[130:131]
	s_delay_alu instid0(VALU_DEP_1) | instskip(SKIP_2) | instid1(VALU_DEP_2)
	v_pk_fma_f32 v[10:11], v[10:11], v[112:113], v[22:23] neg_lo:[0,0,1] neg_hi:[0,0,1]
	s_set_vgpr_msb 16                       ;  msbs: dst=0 src0=0 src1=0 src2=1
	v_dot4_i32_iu8 v23, v127, v230, v15 /*v271*/ neg_lo:[1,1,0]
	v_pk_add_f32 v[74:75], v[74:75], v[10:11]
	v_dot4_i32_iu8 v10, v24, v146, 0 neg_lo:[1,1,0]
	s_set_vgpr_msb 1                        ;  msbs: dst=0 src0=1 src1=0 src2=0
	v_mul_i32_i24_e32 v11, v22 /*v278*/, v228
	s_set_vgpr_msb 0                        ;  msbs: dst=0 src0=0 src1=0 src2=0
	v_perm_b32 v24, v17, v16, 0x6050403
	s_set_vgpr_msb 4                        ;  msbs: dst=0 src0=0 src1=1 src2=0
	v_dot4_i32_iu8 v23, v231, v10 /*v266*/, v23 neg_lo:[1,1,0]
	s_set_vgpr_msb 0                        ;  msbs: dst=0 src0=0 src1=0 src2=0
	v_dot4_i32_iu8 v10, v25, v147, v10 neg_lo:[1,1,0]
	v_perm_b32 v25, v18, v17, 0x6050403
	v_perm_b32 v18, v19, v18, 0x6050403
	;; [unrolled: 1-line block ×3, first 2 shown]
	s_delay_alu instid0(VALU_DEP_4) | instskip(SKIP_1) | instid1(VALU_DEP_2)
	v_dot4_i32_iu8 v10, v26, v144, v10 neg_lo:[1,1,0]
	v_mul_lo_u32 v26, v23, v172
	v_dot4_i32_iu8 v10, v27, v145, v10 neg_lo:[1,1,0]
	s_delay_alu instid0(VALU_DEP_1) | instskip(SKIP_2) | instid1(VALU_DEP_3)
	v_dot4_i32_iu8 v10, v12, v142, v10 neg_lo:[1,1,0]
	v_perm_b32 v12, v16, v16, 0xc0c0201
	v_perm_b32 v16, v20, v141, 0x6050403
	v_dot4_i32_iu8 v10, v13, v143, v10 neg_lo:[1,1,0]
	s_delay_alu instid0(VALU_DEP_3) | instskip(NEXT) | instid1(VALU_DEP_2)
	v_dot4_i32_iu8 v11, v12, v247, v11 neg_lo:[1,1,0]
	v_dot4_i32_iu8 v10, v14, v138, v10 neg_lo:[1,1,0]
	s_delay_alu instid0(VALU_DEP_2) | instskip(NEXT) | instid1(VALU_DEP_2)
	v_dot4_i32_iu8 v11, v24, v248, v11 neg_lo:[1,1,0]
	v_dot4_i32_iu8 v10, v15, v139, v10 neg_lo:[1,1,0]
	s_delay_alu instid0(VALU_DEP_2) | instskip(NEXT) | instid1(VALU_DEP_2)
	v_dot4_i32_iu8 v11, v25, v249, v11 neg_lo:[1,1,0]
	v_mul_lo_u32 v10, v10, v225
	s_delay_alu instid0(VALU_DEP_2) | instskip(NEXT) | instid1(VALU_DEP_1)
	v_dot4_i32_iu8 v11, v18, v250, v11 neg_lo:[1,1,0]
	v_dot4_i32_iu8 v11, v17, v16, v11 neg_lo:[1,1,0]
	s_set_vgpr_msb 4                        ;  msbs: dst=0 src0=0 src1=1 src2=0
	s_delay_alu instid0(VALU_DEP_1) | instskip(SKIP_1) | instid1(VALU_DEP_1)
	v_mad_i32_i24 v11, v227, v21 /*v277*/, v11
	s_set_vgpr_msb 0                        ;  msbs: dst=0 src0=0 src1=0 src2=0
	v_dot4_i32_iu8 v11, v251, v21, v11 neg_lo:[1,1,0]
	s_set_vgpr_msb 4                        ;  msbs: dst=0 src0=0 src1=1 src2=0
	s_delay_alu instid0(VALU_DEP_1) | instskip(SKIP_3) | instid1(VALU_DEP_2)
	v_dot4_i32_iu8 v22, v252, v3 /*v259*/, v11 neg_lo:[1,1,0]
	s_set_vgpr_msb 16                       ;  msbs: dst=0 src0=0 src1=0 src2=1
	v_dot4_i32_iu8 v11, v7, v139, v16 /*v272*/ neg_lo:[1,1,0]
	s_set_vgpr_msb 0                        ;  msbs: dst=0 src0=0 src1=0 src2=0
	v_dot4_i32_iu8 v22, v132, v230, v22 neg_lo:[1,1,0]
	s_delay_alu instid0(VALU_DEP_2) | instskip(SKIP_1) | instid1(VALU_DEP_3)
	v_mul_lo_u32 v16, v11, v225
	v_cvt_f32_i32_e32 v11, v10
	v_dot4_i32_iu8 v22, v231, v253, v22 neg_lo:[1,1,0]
	s_delay_alu instid0(VALU_DEP_1) | instskip(NEXT) | instid1(VALU_DEP_4)
	v_mul_lo_u32 v22, v22, v172
	v_cvt_f32_i32_e32 v10, v16
	v_pk_fma_f32 v[16:17], v[148:149], v[156:157], 0 op_sel_hi:[0,1,0]
	s_delay_alu instid0(VALU_DEP_2) | instskip(NEXT) | instid1(VALU_DEP_2)
	v_pk_fma_f32 v[10:11], v[4:5], v[10:11], 0 op_sel_hi:[1,1,0]
	v_pk_fma_f32 v[16:17], v[150:151], v[8:9], v[16:17] op_sel_hi:[0,1,1]
	v_cvt_f32_i32_e32 v23, v22
	v_cvt_f32_i32_e32 v22, v26
	s_delay_alu instid0(VALU_DEP_3) | instskip(NEXT) | instid1(VALU_DEP_2)
	v_pk_mul_f32 v[16:17], v[16:17], v[122:123]
	v_pk_fma_f32 v[10:11], v[154:155], v[22:23], v[10:11]
	s_delay_alu instid0(VALU_DEP_1) | instskip(NEXT) | instid1(VALU_DEP_1)
	v_pk_fma_f32 v[10:11], v[10:11], v[114:115], v[16:17] neg_lo:[0,0,1] neg_hi:[0,0,1]
	v_pk_add_f32 v[80:81], v[80:81], v[10:11]
	s_set_vgpr_msb 1                        ;  msbs: dst=0 src0=1 src1=0 src2=0
	v_mul_i32_i24_e32 v10, v24 /*v280*/, v169
	v_mul_i32_i24_e32 v11, v22 /*v278*/, v224
	s_delay_alu instid0(VALU_DEP_2) | instskip(SKIP_1) | instid1(VALU_DEP_2)
	v_dot4_i32_iu8 v10, v25 /*v281*/, v170, v10 neg_lo:[1,1,0]
	s_set_vgpr_msb 0                        ;  msbs: dst=0 src0=0 src1=0 src2=0
	v_dot4_i32_iu8 v11, v12, v234, v11 neg_lo:[1,1,0]
	s_set_vgpr_msb 1                        ;  msbs: dst=0 src0=1 src1=0 src2=0
	s_delay_alu instid0(VALU_DEP_2) | instskip(SKIP_1) | instid1(VALU_DEP_2)
	v_dot4_i32_iu8 v10, v26 /*v282*/, v173, v10 neg_lo:[1,1,0]
	s_set_vgpr_msb 0                        ;  msbs: dst=0 src0=0 src1=0 src2=0
	v_dot4_i32_iu8 v0, v24, v0, v11 neg_lo:[1,1,0]
	s_set_vgpr_msb 1                        ;  msbs: dst=0 src0=1 src1=0 src2=0
	s_delay_alu instid0(VALU_DEP_2) | instskip(SKIP_1) | instid1(VALU_DEP_2)
	v_dot4_i32_iu8 v10, v27 /*v283*/, v174, v10 neg_lo:[1,1,0]
	s_set_vgpr_msb 0                        ;  msbs: dst=0 src0=0 src1=0 src2=0
	v_dot4_i32_iu8 v0, v25, v1, v0 neg_lo:[1,1,0]
	v_perm_b32 v1, v20, v19, 0x6050403
	s_set_vgpr_msb 1                        ;  msbs: dst=0 src0=1 src1=0 src2=0
	v_dot4_i32_iu8 v10, v1 /*v257*/, v221, v10 neg_lo:[1,1,0]
	s_set_vgpr_msb 0                        ;  msbs: dst=0 src0=0 src1=0 src2=0
	v_dot4_i32_iu8 v0, v18, v2, v0 neg_lo:[1,1,0]
	s_set_vgpr_msb 1                        ;  msbs: dst=0 src0=1 src1=0 src2=0
	s_delay_alu instid0(VALU_DEP_2) | instskip(SKIP_1) | instid1(VALU_DEP_2)
	v_dot4_i32_iu8 v10, v2 /*v258*/, v222, v10 neg_lo:[1,1,0]
	s_set_vgpr_msb 0                        ;  msbs: dst=0 src0=0 src1=0 src2=0
	v_dot4_i32_iu8 v0, v235, v1, v0 neg_lo:[1,1,0]
	s_set_vgpr_msb 16                       ;  msbs: dst=0 src0=0 src1=0 src2=1
	v_dot4_i32_iu8 v1, v7, v238, v14 /*v270*/ neg_lo:[1,1,0]
	s_set_vgpr_msb 4                        ;  msbs: dst=0 src0=0 src1=1 src2=0
	v_mad_i32_i24 v10, v171, v23 /*v279*/, v10
	v_mad_i32_i24 v0, v223, v21 /*v277*/, v0
	s_set_vgpr_msb 0                        ;  msbs: dst=0 src0=0 src1=0 src2=0
	v_mul_lo_u32 v7, v1, v175
	s_delay_alu instid0(VALU_DEP_3) | instskip(NEXT) | instid1(VALU_DEP_3)
	v_dot4_i32_iu8 v10, v232, v13, v10 neg_lo:[1,1,0]
	v_dot4_i32_iu8 v0, v236, v21, v0 neg_lo:[1,1,0]
	s_delay_alu instid0(VALU_DEP_2) | instskip(SKIP_1) | instid1(VALU_DEP_2)
	v_dot4_i32_iu8 v10, v233, v14, v10 neg_lo:[1,1,0]
	s_set_vgpr_msb 4                        ;  msbs: dst=0 src0=0 src1=1 src2=0
	v_dot4_i32_iu8 v2, v237, v3 /*v259*/, v0 neg_lo:[1,1,0]
	s_set_vgpr_msb 0                        ;  msbs: dst=0 src0=0 src1=0 src2=0
	s_delay_alu instid0(VALU_DEP_2) | instskip(NEXT) | instid1(VALU_DEP_2)
	v_dot4_i32_iu8 v0, v15, v238, v10 neg_lo:[1,1,0]
	v_dot4_i32_iu8 v2, v132, v3, v2 neg_lo:[1,1,0]
	s_set_vgpr_msb 4                        ;  msbs: dst=0 src0=0 src1=1 src2=0
	v_dot4_i32_iu8 v3, v140, v10 /*v266*/, v6 neg_lo:[1,1,0]
	s_set_vgpr_msb 0                        ;  msbs: dst=0 src0=0 src1=0 src2=0
	v_mul_lo_u32 v0, v0, v175
	v_dot4_i32_iu8 v2, v140, v253, v2 neg_lo:[1,1,0]
	s_delay_alu instid0(VALU_DEP_3) | instskip(NEXT) | instid1(VALU_DEP_2)
	v_mul_lo_u32 v6, v3, v129
	v_mul_lo_u32 v2, v2, v129
	s_delay_alu instid0(VALU_DEP_4) | instskip(SKIP_1) | instid1(VALU_DEP_1)
	v_cvt_f32_i32_e32 v1, v0
	v_cvt_f32_i32_e32 v0, v7
	v_pk_fma_f32 v[0:1], v[4:5], v[0:1], 0 op_sel_hi:[1,1,0]
	v_pk_fma_f32 v[4:5], v[136:137], v[156:157], 0 op_sel_hi:[0,1,0]
	v_cvt_f32_i32_e32 v3, v2
	v_cvt_f32_i32_e32 v2, v6
	s_delay_alu instid0(VALU_DEP_1) | instskip(NEXT) | instid1(VALU_DEP_4)
	v_pk_fma_f32 v[0:1], v[154:155], v[2:3], v[0:1]
	v_pk_fma_f32 v[2:3], v[126:127], v[8:9], v[4:5] op_sel_hi:[0,1,1]
	s_delay_alu instid0(VALU_DEP_1) | instskip(NEXT) | instid1(VALU_DEP_1)
	v_pk_mul_f32 v[2:3], v[2:3], v[124:125]
	v_pk_fma_f32 v[0:1], v[0:1], v[116:117], v[2:3] neg_lo:[0,0,1] neg_hi:[0,0,1]
	s_delay_alu instid0(VALU_DEP_1)
	v_pk_add_f32 v[92:93], v[92:93], v[0:1]
	s_cbranch_scc1 .LBB153_8
; %bb.9:                                ;   in Loop: Header=BB153_5 Depth=1
	s_add_co_i32 s10, s10, 1
	s_delay_alu instid0(SALU_CYCLE_1)
	s_cmp_eq_u32 s10, s15
	s_barrier_signal -1
	s_barrier_wait -1
	s_cbranch_scc0 .LBB153_5
; %bb.10:
	v_cvt_pk_f16_f32 v20, v84, v85
	v_cvt_pk_f16_f32 v19, v94, v95
	;; [unrolled: 1-line block ×16, first 2 shown]
	v_dual_mov_b32 v4, v29 :: v_dual_mov_b32 v7, v35
.LBB153_11:
	s_wait_xcnt 0x0
	s_mov_b32 s0, exec_lo
	v_cmpx_gt_u32_e64 s4, v37
	s_cbranch_execz .LBB153_62
; %bb.12:
	v_mul_lo_u32 v21, v37, s6
	v_add_nc_u32_e32 v0, s14, v7
	s_delay_alu instid0(VALU_DEP_1)
	v_cmp_gt_u32_e32 vcc_lo, s6, v0
	s_and_saveexec_b32 s0, vcc_lo
	s_cbranch_execz .LBB153_14
; %bb.13:
	s_delay_alu instid0(VALU_DEP_3)
	v_add_nc_u32_e32 v7, v0, v21
	s_wait_kmcnt 0x0
	global_store_b16 v7, v20, s[8:9] scale_offset
.LBB153_14:
	s_wait_xcnt 0x0
	s_or_b32 exec_lo, exec_lo, s0
	v_add_nc_u32_e32 v7, 32, v0
	s_delay_alu instid0(VALU_DEP_1)
	v_cmp_gt_u32_e64 s0, s6, v7
	s_and_saveexec_b32 s1, s0
	s_cbranch_execz .LBB153_16
; %bb.15:
	v_add_nc_u32_e32 v9, v7, v21
	s_wait_kmcnt 0x0
	global_store_b16 v9, v19, s[8:9] scale_offset
.LBB153_16:
	s_wait_xcnt 0x0
	s_or_b32 exec_lo, exec_lo, s1
	v_add_nc_u32_e32 v9, 64, v0
	s_delay_alu instid0(VALU_DEP_1)
	v_cmp_gt_u32_e64 s1, s6, v9
	s_and_saveexec_b32 s2, s1
	s_cbranch_execz .LBB153_18
; %bb.17:
	v_add_nc_u32_e32 v10, v9, v21
	s_wait_kmcnt 0x0
	global_store_b16 v10, v18, s[8:9] scale_offset
.LBB153_18:
	;; [unrolled: 12-line block ×3, first 2 shown]
	s_wait_xcnt 0x0
	s_or_b32 exec_lo, exec_lo, s3
	v_add3_u32 v21, v4, s7, 8
	s_delay_alu instid0(VALU_DEP_1)
	v_cmp_gt_u32_e64 s3, s4, v21
	s_and_b32 exec_lo, exec_lo, s3
	s_cbranch_execz .LBB153_62
; %bb.21:
	v_mul_lo_u32 v21, v21, s6
	s_and_saveexec_b32 s3, vcc_lo
	s_cbranch_execnz .LBB153_63
; %bb.22:
	s_or_b32 exec_lo, exec_lo, s3
	s_and_saveexec_b32 s3, s0
	s_cbranch_execnz .LBB153_64
.LBB153_23:
	s_or_b32 exec_lo, exec_lo, s3
	s_and_saveexec_b32 s3, s1
	s_cbranch_execnz .LBB153_65
.LBB153_24:
	s_or_b32 exec_lo, exec_lo, s3
	s_and_saveexec_b32 s3, s2
	s_cbranch_execz .LBB153_26
.LBB153_25:
	v_add_nc_u32_e32 v18, v21, v10
	s_wait_kmcnt 0x0
	global_store_d16_hi_b16 v18, v17, s[8:9] scale_offset
.LBB153_26:
	s_wait_xcnt 0x0
	s_or_b32 exec_lo, exec_lo, s3
	v_add3_u32 v17, v4, s7, 16
	s_delay_alu instid0(VALU_DEP_1)
	v_cmp_gt_u32_e64 s3, s4, v17
	s_and_b32 exec_lo, exec_lo, s3
	s_cbranch_execz .LBB153_62
; %bb.27:
	v_mul_lo_u32 v17, v17, s6
	s_and_saveexec_b32 s3, vcc_lo
	s_cbranch_execnz .LBB153_66
; %bb.28:
	s_or_b32 exec_lo, exec_lo, s3
	s_and_saveexec_b32 s3, s0
	s_cbranch_execnz .LBB153_67
.LBB153_29:
	s_or_b32 exec_lo, exec_lo, s3
	s_and_saveexec_b32 s3, s1
	s_cbranch_execnz .LBB153_68
.LBB153_30:
	s_or_b32 exec_lo, exec_lo, s3
	s_and_saveexec_b32 s3, s2
	s_cbranch_execz .LBB153_32
.LBB153_31:
	v_add_nc_u32_e32 v17, v17, v10
	s_wait_kmcnt 0x0
	global_store_b16 v17, v13, s[8:9] scale_offset
.LBB153_32:
	s_wait_xcnt 0x0
	s_or_b32 exec_lo, exec_lo, s3
	v_add3_u32 v17, v4, s7, 24
	s_delay_alu instid0(VALU_DEP_1)
	v_cmp_gt_u32_e64 s3, s4, v17
	s_and_b32 exec_lo, exec_lo, s3
	s_cbranch_execz .LBB153_62
; %bb.33:
	v_mul_lo_u32 v17, v17, s6
	s_and_saveexec_b32 s3, vcc_lo
	s_cbranch_execnz .LBB153_69
; %bb.34:
	s_or_b32 exec_lo, exec_lo, s3
	s_and_saveexec_b32 s3, s0
	s_cbranch_execnz .LBB153_70
.LBB153_35:
	s_or_b32 exec_lo, exec_lo, s3
	s_and_saveexec_b32 s3, s1
	s_cbranch_execnz .LBB153_71
.LBB153_36:
	s_or_b32 exec_lo, exec_lo, s3
	s_and_saveexec_b32 s3, s2
	s_cbranch_execz .LBB153_38
.LBB153_37:
	v_add_nc_u32_e32 v14, v17, v10
	s_wait_kmcnt 0x0
	global_store_d16_hi_b16 v14, v13, s[8:9] scale_offset
.LBB153_38:
	s_wait_xcnt 0x0
	s_or_b32 exec_lo, exec_lo, s3
	v_add3_u32 v13, v4, s7, 32
	s_delay_alu instid0(VALU_DEP_1)
	v_cmp_gt_u32_e64 s3, s4, v13
	s_and_b32 exec_lo, exec_lo, s3
	s_cbranch_execz .LBB153_62
; %bb.39:
	v_mul_lo_u32 v13, v13, s6
	s_and_saveexec_b32 s3, vcc_lo
	s_cbranch_execnz .LBB153_72
; %bb.40:
	s_or_b32 exec_lo, exec_lo, s3
	s_and_saveexec_b32 s3, s0
	s_cbranch_execnz .LBB153_73
.LBB153_41:
	s_or_b32 exec_lo, exec_lo, s3
	s_and_saveexec_b32 s3, s1
	s_cbranch_execnz .LBB153_74
.LBB153_42:
	s_or_b32 exec_lo, exec_lo, s3
	s_and_saveexec_b32 s3, s2
	s_cbranch_execz .LBB153_44
.LBB153_43:
	v_add_nc_u32_e32 v13, v13, v10
	s_wait_kmcnt 0x0
	global_store_b16 v13, v6, s[8:9] scale_offset
.LBB153_44:
	s_wait_xcnt 0x0
	s_or_b32 exec_lo, exec_lo, s3
	v_add3_u32 v13, v4, s7, 40
	s_delay_alu instid0(VALU_DEP_1)
	v_cmp_gt_u32_e64 s3, s4, v13
	s_and_b32 exec_lo, exec_lo, s3
	s_cbranch_execz .LBB153_62
; %bb.45:
	v_mul_lo_u32 v13, v13, s6
	s_and_saveexec_b32 s3, vcc_lo
	s_cbranch_execnz .LBB153_75
; %bb.46:
	s_or_b32 exec_lo, exec_lo, s3
	s_and_saveexec_b32 s3, s0
	s_cbranch_execnz .LBB153_76
.LBB153_47:
	s_or_b32 exec_lo, exec_lo, s3
	s_and_saveexec_b32 s3, s1
	s_cbranch_execnz .LBB153_77
.LBB153_48:
	s_or_b32 exec_lo, exec_lo, s3
	s_and_saveexec_b32 s3, s2
	s_cbranch_execz .LBB153_50
.LBB153_49:
	v_add_nc_u32_e32 v8, v13, v10
	s_wait_kmcnt 0x0
	global_store_d16_hi_b16 v8, v6, s[8:9] scale_offset
.LBB153_50:
	s_wait_xcnt 0x0
	s_or_b32 exec_lo, exec_lo, s3
	v_add3_u32 v6, v4, s7, 48
	s_delay_alu instid0(VALU_DEP_1)
	v_cmp_gt_u32_e64 s3, s4, v6
	s_and_b32 exec_lo, exec_lo, s3
	s_cbranch_execz .LBB153_62
; %bb.51:
	v_mul_lo_u32 v6, v6, s6
	s_and_saveexec_b32 s3, vcc_lo
	s_cbranch_execnz .LBB153_78
; %bb.52:
	s_or_b32 exec_lo, exec_lo, s3
	s_and_saveexec_b32 s3, s0
	s_cbranch_execnz .LBB153_79
.LBB153_53:
	s_or_b32 exec_lo, exec_lo, s3
	s_and_saveexec_b32 s3, s1
	s_cbranch_execnz .LBB153_80
.LBB153_54:
	s_or_b32 exec_lo, exec_lo, s3
	s_and_saveexec_b32 s3, s2
	s_cbranch_execz .LBB153_56
.LBB153_55:
	v_add_nc_u32_e32 v6, v6, v10
	s_wait_kmcnt 0x0
	global_store_b16 v6, v1, s[8:9] scale_offset
.LBB153_56:
	s_wait_xcnt 0x0
	s_or_b32 exec_lo, exec_lo, s3
	v_add3_u32 v4, v4, s7, 56
	s_delay_alu instid0(VALU_DEP_1)
	v_cmp_gt_u32_e64 s3, s4, v4
	s_and_b32 exec_lo, exec_lo, s3
	s_cbranch_execz .LBB153_62
; %bb.57:
	v_mul_lo_u32 v4, v4, s6
	s_and_saveexec_b32 s3, vcc_lo
	s_cbranch_execnz .LBB153_81
; %bb.58:
	s_or_b32 exec_lo, exec_lo, s3
	s_and_saveexec_b32 s3, s0
	s_cbranch_execnz .LBB153_82
.LBB153_59:
	s_or_b32 exec_lo, exec_lo, s3
	s_and_saveexec_b32 s0, s1
	s_cbranch_execnz .LBB153_83
.LBB153_60:
	s_or_b32 exec_lo, exec_lo, s0
	s_delay_alu instid0(SALU_CYCLE_1)
	s_and_b32 exec_lo, exec_lo, s2
	s_cbranch_execz .LBB153_62
.LBB153_61:
	v_add_nc_u32_e32 v0, v4, v10
	s_wait_kmcnt 0x0
	global_store_d16_hi_b16 v0, v1, s[8:9] scale_offset
.LBB153_62:
	s_sendmsg sendmsg(MSG_DEALLOC_VGPRS)
	s_endpgm
.LBB153_63:
	s_delay_alu instid0(VALU_DEP_1)
	v_add_nc_u32_e32 v22, v21, v0
	s_wait_kmcnt 0x0
	global_store_d16_hi_b16 v22, v20, s[8:9] scale_offset
	s_wait_xcnt 0x0
	s_or_b32 exec_lo, exec_lo, s3
	s_and_saveexec_b32 s3, s0
	s_cbranch_execz .LBB153_23
.LBB153_64:
	s_delay_alu instid0(VALU_DEP_1)
	v_add_nc_u32_e32 v20, v21, v7
	s_wait_kmcnt 0x0
	global_store_d16_hi_b16 v20, v19, s[8:9] scale_offset
	s_wait_xcnt 0x0
	s_or_b32 exec_lo, exec_lo, s3
	s_and_saveexec_b32 s3, s1
	s_cbranch_execz .LBB153_24
.LBB153_65:
	s_delay_alu instid0(VALU_DEP_1)
	v_add_nc_u32_e32 v19, v21, v9
	s_wait_kmcnt 0x0
	global_store_d16_hi_b16 v19, v18, s[8:9] scale_offset
	s_wait_xcnt 0x0
	s_or_b32 exec_lo, exec_lo, s3
	s_and_saveexec_b32 s3, s2
	s_cbranch_execnz .LBB153_25
	s_branch .LBB153_26
.LBB153_66:
	s_delay_alu instid0(VALU_DEP_1)
	v_add_nc_u32_e32 v18, v17, v0
	s_wait_kmcnt 0x0
	global_store_b16 v18, v16, s[8:9] scale_offset
	s_wait_xcnt 0x0
	s_or_b32 exec_lo, exec_lo, s3
	s_and_saveexec_b32 s3, s0
	s_cbranch_execz .LBB153_29
.LBB153_67:
	s_delay_alu instid0(VALU_DEP_1)
	v_add_nc_u32_e32 v18, v17, v7
	s_wait_kmcnt 0x0
	global_store_b16 v18, v15, s[8:9] scale_offset
	s_wait_xcnt 0x0
	s_or_b32 exec_lo, exec_lo, s3
	s_and_saveexec_b32 s3, s1
	s_cbranch_execz .LBB153_30
.LBB153_68:
	s_delay_alu instid0(VALU_DEP_1)
	v_add_nc_u32_e32 v18, v17, v9
	s_wait_kmcnt 0x0
	global_store_b16 v18, v14, s[8:9] scale_offset
	s_wait_xcnt 0x0
	s_or_b32 exec_lo, exec_lo, s3
	s_and_saveexec_b32 s3, s2
	s_cbranch_execnz .LBB153_31
	s_branch .LBB153_32
.LBB153_69:
	s_delay_alu instid0(VALU_DEP_1)
	v_add_nc_u32_e32 v18, v17, v0
	s_wait_kmcnt 0x0
	global_store_d16_hi_b16 v18, v16, s[8:9] scale_offset
	s_wait_xcnt 0x0
	s_or_b32 exec_lo, exec_lo, s3
	s_and_saveexec_b32 s3, s0
	s_cbranch_execz .LBB153_35
.LBB153_70:
	s_delay_alu instid0(VALU_DEP_1)
	v_add_nc_u32_e32 v16, v17, v7
	s_wait_kmcnt 0x0
	global_store_d16_hi_b16 v16, v15, s[8:9] scale_offset
	s_wait_xcnt 0x0
	s_or_b32 exec_lo, exec_lo, s3
	s_and_saveexec_b32 s3, s1
	s_cbranch_execz .LBB153_36
.LBB153_71:
	s_delay_alu instid0(VALU_DEP_1)
	v_add_nc_u32_e32 v15, v17, v9
	s_wait_kmcnt 0x0
	global_store_d16_hi_b16 v15, v14, s[8:9] scale_offset
	s_wait_xcnt 0x0
	s_or_b32 exec_lo, exec_lo, s3
	s_and_saveexec_b32 s3, s2
	s_cbranch_execnz .LBB153_37
	s_branch .LBB153_38
.LBB153_72:
	s_delay_alu instid0(VALU_DEP_1)
	v_add_nc_u32_e32 v14, v13, v0
	s_wait_kmcnt 0x0
	global_store_b16 v14, v12, s[8:9] scale_offset
	s_wait_xcnt 0x0
	s_or_b32 exec_lo, exec_lo, s3
	s_and_saveexec_b32 s3, s0
	s_cbranch_execz .LBB153_41
.LBB153_73:
	s_delay_alu instid0(VALU_DEP_1)
	v_add_nc_u32_e32 v14, v13, v7
	s_wait_kmcnt 0x0
	global_store_b16 v14, v11, s[8:9] scale_offset
	s_wait_xcnt 0x0
	s_or_b32 exec_lo, exec_lo, s3
	s_and_saveexec_b32 s3, s1
	s_cbranch_execz .LBB153_42
.LBB153_74:
	s_delay_alu instid0(VALU_DEP_1)
	v_add_nc_u32_e32 v14, v13, v9
	s_wait_kmcnt 0x0
	global_store_b16 v14, v8, s[8:9] scale_offset
	s_wait_xcnt 0x0
	s_or_b32 exec_lo, exec_lo, s3
	s_and_saveexec_b32 s3, s2
	s_cbranch_execnz .LBB153_43
	s_branch .LBB153_44
.LBB153_75:
	s_delay_alu instid0(VALU_DEP_1)
	v_add_nc_u32_e32 v14, v13, v0
	s_wait_kmcnt 0x0
	global_store_d16_hi_b16 v14, v12, s[8:9] scale_offset
	s_wait_xcnt 0x0
	s_or_b32 exec_lo, exec_lo, s3
	s_and_saveexec_b32 s3, s0
	s_cbranch_execz .LBB153_47
.LBB153_76:
	s_delay_alu instid0(VALU_DEP_1)
	v_add_nc_u32_e32 v12, v13, v7
	s_wait_kmcnt 0x0
	global_store_d16_hi_b16 v12, v11, s[8:9] scale_offset
	s_wait_xcnt 0x0
	s_or_b32 exec_lo, exec_lo, s3
	s_and_saveexec_b32 s3, s1
	s_cbranch_execz .LBB153_48
.LBB153_77:
	s_delay_alu instid0(VALU_DEP_1)
	v_add_nc_u32_e32 v11, v13, v9
	s_wait_kmcnt 0x0
	global_store_d16_hi_b16 v11, v8, s[8:9] scale_offset
	s_wait_xcnt 0x0
	s_or_b32 exec_lo, exec_lo, s3
	s_and_saveexec_b32 s3, s2
	s_cbranch_execnz .LBB153_49
	s_branch .LBB153_50
.LBB153_78:
	s_delay_alu instid0(VALU_DEP_1)
	v_add_nc_u32_e32 v8, v6, v0
	s_wait_kmcnt 0x0
	global_store_b16 v8, v5, s[8:9] scale_offset
	s_wait_xcnt 0x0
	s_or_b32 exec_lo, exec_lo, s3
	s_and_saveexec_b32 s3, s0
	s_cbranch_execz .LBB153_53
.LBB153_79:
	s_delay_alu instid0(VALU_DEP_1)
	v_add_nc_u32_e32 v8, v6, v7
	s_wait_kmcnt 0x0
	global_store_b16 v8, v3, s[8:9] scale_offset
	s_wait_xcnt 0x0
	s_or_b32 exec_lo, exec_lo, s3
	s_and_saveexec_b32 s3, s1
	s_cbranch_execz .LBB153_54
.LBB153_80:
	s_delay_alu instid0(VALU_DEP_1)
	v_add_nc_u32_e32 v8, v6, v9
	s_wait_kmcnt 0x0
	global_store_b16 v8, v2, s[8:9] scale_offset
	s_wait_xcnt 0x0
	s_or_b32 exec_lo, exec_lo, s3
	s_and_saveexec_b32 s3, s2
	s_cbranch_execnz .LBB153_55
	s_branch .LBB153_56
.LBB153_81:
	s_delay_alu instid0(VALU_DEP_1)
	v_add_nc_u32_e32 v0, v4, v0
	s_wait_kmcnt 0x0
	global_store_d16_hi_b16 v0, v5, s[8:9] scale_offset
	s_wait_xcnt 0x0
	s_or_b32 exec_lo, exec_lo, s3
	s_and_saveexec_b32 s3, s0
	s_cbranch_execz .LBB153_59
.LBB153_82:
	s_delay_alu instid0(VALU_DEP_1)
	v_add_nc_u32_e32 v0, v4, v7
	s_wait_kmcnt 0x0
	global_store_d16_hi_b16 v0, v3, s[8:9] scale_offset
	s_wait_xcnt 0x0
	s_or_b32 exec_lo, exec_lo, s3
	s_and_saveexec_b32 s0, s1
	s_cbranch_execz .LBB153_60
.LBB153_83:
	s_delay_alu instid0(VALU_DEP_1) | instskip(SKIP_4) | instid1(SALU_CYCLE_1)
	v_add_nc_u32_e32 v0, v4, v9
	s_wait_kmcnt 0x0
	global_store_d16_hi_b16 v0, v2, s[8:9] scale_offset
	s_wait_xcnt 0x0
	s_or_b32 exec_lo, exec_lo, s0
	s_and_b32 exec_lo, exec_lo, s2
	s_cbranch_execnz .LBB153_61
	s_branch .LBB153_62
	.section	.rodata,"a",@progbits
	.p2align	6, 0x0
	.amdhsa_kernel _ZL12mul_mat_q5_KIN3c104HalfELb0EEvPKvS3_PT_iiiii
		.amdhsa_group_segment_fixed_size 45136
		.amdhsa_private_segment_fixed_size 0
		.amdhsa_kernarg_size 44
		.amdhsa_user_sgpr_count 2
		.amdhsa_user_sgpr_dispatch_ptr 0
		.amdhsa_user_sgpr_queue_ptr 0
		.amdhsa_user_sgpr_kernarg_segment_ptr 1
		.amdhsa_user_sgpr_dispatch_id 0
		.amdhsa_user_sgpr_kernarg_preload_length 0
		.amdhsa_user_sgpr_kernarg_preload_offset 0
		.amdhsa_user_sgpr_private_segment_size 0
		.amdhsa_wavefront_size32 1
		.amdhsa_uses_dynamic_stack 0
		.amdhsa_enable_private_segment 0
		.amdhsa_system_sgpr_workgroup_id_x 1
		.amdhsa_system_sgpr_workgroup_id_y 1
		.amdhsa_system_sgpr_workgroup_id_z 0
		.amdhsa_system_sgpr_workgroup_info 0
		.amdhsa_system_vgpr_workitem_id 1
		.amdhsa_next_free_vgpr 320
		.amdhsa_next_free_sgpr 18
		.amdhsa_named_barrier_count 0
		.amdhsa_reserve_vcc 1
		.amdhsa_float_round_mode_32 0
		.amdhsa_float_round_mode_16_64 0
		.amdhsa_float_denorm_mode_32 3
		.amdhsa_float_denorm_mode_16_64 3
		.amdhsa_fp16_overflow 0
		.amdhsa_memory_ordered 1
		.amdhsa_forward_progress 1
		.amdhsa_inst_pref_size 255
		.amdhsa_round_robin_scheduling 0
		.amdhsa_exception_fp_ieee_invalid_op 0
		.amdhsa_exception_fp_denorm_src 0
		.amdhsa_exception_fp_ieee_div_zero 0
		.amdhsa_exception_fp_ieee_overflow 0
		.amdhsa_exception_fp_ieee_underflow 0
		.amdhsa_exception_fp_ieee_inexact 0
		.amdhsa_exception_int_div_zero 0
	.end_amdhsa_kernel
	.section	.text._ZL12mul_mat_q5_KIN3c104HalfELb0EEvPKvS3_PT_iiiii,"axG",@progbits,_ZL12mul_mat_q5_KIN3c104HalfELb0EEvPKvS3_PT_iiiii,comdat
.Lfunc_end153:
	.size	_ZL12mul_mat_q5_KIN3c104HalfELb0EEvPKvS3_PT_iiiii, .Lfunc_end153-_ZL12mul_mat_q5_KIN3c104HalfELb0EEvPKvS3_PT_iiiii
                                        ; -- End function
	.set _ZL12mul_mat_q5_KIN3c104HalfELb0EEvPKvS3_PT_iiiii.num_vgpr, 320
	.set _ZL12mul_mat_q5_KIN3c104HalfELb0EEvPKvS3_PT_iiiii.num_agpr, 0
	.set _ZL12mul_mat_q5_KIN3c104HalfELb0EEvPKvS3_PT_iiiii.numbered_sgpr, 18
	.set _ZL12mul_mat_q5_KIN3c104HalfELb0EEvPKvS3_PT_iiiii.num_named_barrier, 0
	.set _ZL12mul_mat_q5_KIN3c104HalfELb0EEvPKvS3_PT_iiiii.private_seg_size, 0
	.set _ZL12mul_mat_q5_KIN3c104HalfELb0EEvPKvS3_PT_iiiii.uses_vcc, 1
	.set _ZL12mul_mat_q5_KIN3c104HalfELb0EEvPKvS3_PT_iiiii.uses_flat_scratch, 0
	.set _ZL12mul_mat_q5_KIN3c104HalfELb0EEvPKvS3_PT_iiiii.has_dyn_sized_stack, 0
	.set _ZL12mul_mat_q5_KIN3c104HalfELb0EEvPKvS3_PT_iiiii.has_recursion, 0
	.set _ZL12mul_mat_q5_KIN3c104HalfELb0EEvPKvS3_PT_iiiii.has_indirect_call, 0
	.section	.AMDGPU.csdata,"",@progbits
; Kernel info:
; codeLenInByte = 36384
; TotalNumSgprs: 20
; NumVgprs: 320
; ScratchSize: 0
; MemoryBound: 0
; FloatMode: 240
; IeeeMode: 1
; LDSByteSize: 45136 bytes/workgroup (compile time only)
; SGPRBlocks: 0
; VGPRBlocks: 19
; NumSGPRsForWavesPerEU: 20
; NumVGPRsForWavesPerEU: 320
; NamedBarCnt: 0
; Occupancy: 3
; WaveLimiterHint : 0
; COMPUTE_PGM_RSRC2:SCRATCH_EN: 0
; COMPUTE_PGM_RSRC2:USER_SGPR: 2
; COMPUTE_PGM_RSRC2:TRAP_HANDLER: 0
; COMPUTE_PGM_RSRC2:TGID_X_EN: 1
; COMPUTE_PGM_RSRC2:TGID_Y_EN: 1
; COMPUTE_PGM_RSRC2:TGID_Z_EN: 0
; COMPUTE_PGM_RSRC2:TIDIG_COMP_CNT: 1
	.section	.text._ZL12mul_mat_q5_KIN3c104HalfELb1EEvPKvS3_PT_iiiii,"axG",@progbits,_ZL12mul_mat_q5_KIN3c104HalfELb1EEvPKvS3_PT_iiiii,comdat
	.globl	_ZL12mul_mat_q5_KIN3c104HalfELb1EEvPKvS3_PT_iiiii ; -- Begin function _ZL12mul_mat_q5_KIN3c104HalfELb1EEvPKvS3_PT_iiiii
	.p2align	8
	.type	_ZL12mul_mat_q5_KIN3c104HalfELb1EEvPKvS3_PT_iiiii,@function
_ZL12mul_mat_q5_KIN3c104HalfELb1EEvPKvS3_PT_iiiii: ; @_ZL12mul_mat_q5_KIN3c104HalfELb1EEvPKvS3_PT_iiiii
; %bb.0:
	s_clause 0x1
	s_load_b128 s[4:7], s[0:1], 0x18
	s_load_b32 s14, s[0:1], 0x28
	s_bfe_u32 s2, ttmp6, 0x4000c
	s_bfe_u32 s8, ttmp6, 0x40010
	s_add_co_i32 s2, s2, 1
	s_and_b32 s3, ttmp6, 15
	s_mul_i32 s2, ttmp9, s2
	s_add_co_i32 s8, s8, 1
	s_add_co_i32 s3, s3, s2
	s_mul_i32 s2, ttmp7, s8
	s_bfe_u32 s8, ttmp6, 0x40004
	s_getreg_b32 s9, hwreg(HW_REG_IB_STS2, 6, 4)
	s_add_co_i32 s8, s8, s2
	s_cmp_eq_u32 s9, 0
	v_bfe_u32 v33, v0, 10, 10
	s_cselect_b32 s8, ttmp7, s8
	v_and_b32_e32 v39, 0x3ff, v0
	s_cselect_b32 s2, ttmp9, s3
	s_lshl_b32 s15, s8, 6
	s_mov_b32 s3, 0
	s_wait_kmcnt 0x0
	s_cmp_gt_i32 s4, 0xff
	s_cbranch_scc1 .LBB154_2
; %bb.1:
	v_bfe_u32 v4, v0, 10, 10
	v_and_b32_e32 v7, 0x3ff, v0
	s_delay_alu instid0(VALU_DEP_2)
	v_add_nc_u32_e32 v41, s15, v4
	s_branch .LBB154_3
.LBB154_2:
	s_mov_b32 s3, -1
                                        ; implicit-def: $vgpr4
                                        ; implicit-def: $vgpr7
                                        ; implicit-def: $vgpr41
.LBB154_3:
	s_load_b64 s[12:13], s[0:1], 0x10
	v_dual_mov_b32 v1, 0 :: v_dual_mov_b32 v6, 0
	v_dual_mov_b32 v13, 0 :: v_dual_mov_b32 v17, 0
	;; [unrolled: 1-line block ×8, first 2 shown]
	s_lshl_b32 s16, s2, 7
	s_and_not1_b32 vcc_lo, exec_lo, s3
	s_mov_b32 s3, 0
	s_cbranch_vccnz .LBB154_11
; %bb.4:
	v_dual_mov_b32 v29, 0 :: v_dual_lshlrev_b32 v1, 1, v0
	v_dual_lshlrev_b32 v20, 2, v39 :: v_dual_bitop2_b32 v2, 7, v0 bitop3:0x40
	s_load_b128 s[8:11], s[0:1], 0x0
	s_wait_xcnt 0x0
	s_ashr_i32 s1, s7, 31
	s_not_b32 s2, s16
	s_lshr_b32 s18, s1, 27
	s_add_co_i32 s1, s5, s2
	v_and_or_b32 v1, v1, 48, v2
	v_dual_lshlrev_b32 v43, 5, v33 :: v_dual_min_i32 v22, s1, v33
	v_dual_add_nc_u32 v23, 8, v33 :: v_dual_add_nc_u32 v24, 16, v33
	s_delay_alu instid0(VALU_DEP_3) | instskip(NEXT) | instid1(VALU_DEP_3)
	v_lshlrev_b32_e32 v1, 2, v1
	v_dual_add_nc_u32 v26, 24, v33 :: v_dual_add_nc_u32 v2, v43, v39
	s_delay_alu instid0(VALU_DEP_3) | instskip(SKIP_2) | instid1(VALU_DEP_4)
	v_min_i32_e32 v25, s1, v23
	v_bfe_u32 v21, v0, 2, 8
	v_dual_add_nc_u32 v34, 32, v33 :: v_dual_min_i32 v27, s1, v24
	v_and_b32_e32 v2, 0x7f, v2
	v_dual_add_nc_u32 v41, s15, v33 :: v_dual_min_i32 v44, s1, v26
	s_delay_alu instid0(VALU_DEP_3) | instskip(NEXT) | instid1(VALU_DEP_3)
	v_dual_add_nc_u32 v35, 40, v33 :: v_dual_min_i32 v46, s1, v34
	v_min_i32_e32 v70, s1, v2
	v_and_b32_e32 v45, 6, v21
	s_delay_alu instid0(VALU_DEP_4) | instskip(NEXT) | instid1(VALU_DEP_3)
	v_dual_add_nc_u32 v6, 8, v41 :: v_dual_add_nc_u32 v9, 16, v41
	v_dual_add_nc_u32 v10, 24, v41 :: v_dual_ashrrev_i32 v8, 31, v70
	s_add_co_i32 s2, s6, -1
	v_cvt_f64_u32_e32 v[4:5], v41
	v_cvt_f64_i32_e32 v[2:3], s2
	v_cvt_f64_u32_e32 v[6:7], v6
	v_dual_lshrrev_b32 v18, 27, v8 :: v_dual_add_nc_u32 v12, 32, v41
	v_cvt_f64_u32_e32 v[8:9], v9
	v_dual_add_nc_u32 v14, 40, v41 :: v_dual_add_nc_u32 v16, 48, v41
	v_dual_add_nc_u32 v19, 56, v41 :: v_dual_min_i32 v48, s1, v35
	v_cvt_f64_u32_e32 v[10:11], v10
	v_cvt_f64_u32_e32 v[12:13], v12
	s_delay_alu instid0(VALU_DEP_4)
	v_cvt_f64_u32_e32 v[14:15], v14
	v_cvt_f64_u32_e32 v[16:17], v16
	v_dual_add_nc_u32 v32, v70, v18 :: v_dual_add_nc_u32 v36, 48, v33
	v_cvt_f64_u32_e32 v[18:19], v19
	v_lshl_add_u32 v21, v33, 3, v21
	v_dual_add_nc_u32 v42, 56, v33 :: v_dual_bitop2_b32 v40, 3, v0 bitop3:0x40
	s_delay_alu instid0(VALU_DEP_4) | instskip(SKIP_1) | instid1(VALU_DEP_3)
	v_min_i32_e32 v50, s1, v36
	s_ashr_i32 s0, s4, 31
	v_and_b32_e32 v37, 0x7f, v21
	v_ashrrev_i32_e32 v32, 5, v32
	v_bitop3_b32 v38, v21, 64, 0x7f bitop3:0x6c
	v_and_b32_e32 v21, 63, v21
	v_cmp_gt_u32_e32 vcc_lo, 2, v40
	s_delay_alu instid0(VALU_DEP_4) | instskip(NEXT) | instid1(VALU_DEP_4)
	v_dual_lshlrev_b32 v32, 2, v32 :: v_dual_min_i32 v72, s1, v37
	v_min_i32_e32 v73, s1, v38
	v_lshlrev_b32_e32 v37, 2, v70
	v_add_nc_u32_e32 v38, 0xfe, v40
	s_delay_alu instid0(VALU_DEP_4) | instskip(NEXT) | instid1(VALU_DEP_4)
	v_dual_min_num_f64 v[4:5], v[4:5], v[2:3] :: v_dual_ashrrev_i32 v52, 31, v72
	v_dual_min_num_f64 v[6:7], v[6:7], v[2:3] :: v_dual_ashrrev_i32 v54, 31, v73
	s_delay_alu instid0(VALU_DEP_4) | instskip(NEXT) | instid1(VALU_DEP_3)
	v_add3_u32 v59, v32, v37, 0xae40
	v_dual_min_num_f64 v[8:9], v[8:9], v[2:3] :: v_dual_lshrrev_b32 v32, 29, v52
	s_delay_alu instid0(VALU_DEP_3)
	v_lshrrev_b32_e32 v37, 29, v54
	v_dual_lshlrev_b32 v203, 5, v34 :: v_dual_lshlrev_b32 v204, 5, v35
	v_min_num_f64_e32 v[10:11], v[10:11], v[2:3]
	v_min_num_f64_e32 v[12:13], v[12:13], v[2:3]
	v_dual_min_num_f64 v[14:15], v[14:15], v[2:3] :: v_dual_add_nc_u32 v32, v72, v32
	v_add_nc_u32_e32 v37, v73, v37
	v_min_num_f64_e32 v[16:17], v[16:17], v[2:3]
	v_dual_min_num_f64 v[2:3], v[18:19], v[2:3] :: v_dual_bitop2_b32 v18, s15, v21 bitop3:0x54
	s_delay_alu instid0(VALU_DEP_3) | instskip(SKIP_3) | instid1(VALU_DEP_2)
	v_dual_ashrrev_i32 v19, 3, v32 :: v_dual_ashrrev_i32 v32, 3, v37
	s_lshr_b32 s0, s0, 24
	v_and_b32_e32 v52, 4, v20
	s_add_co_i32 s0, s4, s0
	v_dual_lshlrev_b32 v19, 2, v19 :: v_dual_lshlrev_b32 v32, 2, v32
	s_ashr_i32 s17, s0, 8
	s_add_co_i32 s0, s7, s18
	v_mad_u32 v47, 0x104, v22, v1
	s_ashr_i32 s0, s0, 5
	v_mad_u32 v49, 0x104, v25, v1
	v_mad_u32 v51, 0x104, v27, v1
	;; [unrolled: 1-line block ×4, first 2 shown]
	v_cvt_i32_f64_e32 v4, v[4:5]
	v_lshlrev_b32_e32 v5, 4, v72
	v_cvt_i32_f64_e32 v6, v[6:7]
	v_lshlrev_b32_e32 v7, 4, v73
	v_cvt_i32_f64_e32 v8, v[8:9]
	v_mad_u32 v57, 0x104, v48, v1
	v_min_i32_e32 v18, s2, v18
	v_mad_u32 v159, 0x104, v50, v1
	v_bfe_u32 v195, v0, 3, 7
	v_cvt_i32_f64_e32 v10, v[10:11]
	v_cvt_i32_f64_e32 v12, v[12:13]
	v_mad_u32 v61, v18, s0, v40
	v_cvt_i32_f64_e32 v14, v[14:15]
	v_min_i32_e32 v18, s1, v42
	v_cvt_i32_f64_e32 v16, v[16:17]
	v_cvt_i32_f64_e32 v2, v[2:3]
	v_dual_lshlrev_b32 v17, 7, v34 :: v_dual_lshlrev_b32 v3, 7, v35
	v_mov_b32_e32 v35, v29
	v_and_b32_e32 v38, 0xff, v38
	v_dual_lshlrev_b32 v9, 7, v33 :: v_dual_lshlrev_b32 v11, 7, v23
	v_dual_lshlrev_b32 v13, 7, v24 :: v_dual_lshlrev_b32 v15, 7, v26
	s_delay_alu instid0(VALU_DEP_3) | instskip(SKIP_3) | instid1(VALU_DEP_4)
	v_dual_cndmask_b32 v37, v38, v40 :: v_dual_lshlrev_b32 v38, 2, v40
	v_mad_u32 v161, 0x104, v18, v1
	v_cmp_lt_u32_e32 vcc_lo, 1, v40
	v_dual_mov_b32 v31, v29 :: v_dual_bitop2_b32 v30, 28, v20 bitop3:0x40
	v_add3_u32 v19, v19, v38, 0xa200
	v_add3_u32 v32, v32, v38, 0xa200
	v_lshl_or_b32 v21, v21, 4, v38
	v_and_b32_e32 v38, 31, v0
	v_mul_lo_u32 v186, s0, v4
	v_dual_add_nc_u32 v63, v19, v5 :: v_dual_lshlrev_b32 v5, 7, v36
	v_dual_add_nc_u32 v65, v32, v7 :: v_dual_lshlrev_b32 v7, 7, v42
	s_delay_alu instid0(VALU_DEP_4)
	v_lshl_or_b32 v38, v38, 2, 0x8200
	v_mul_lo_u32 v187, s0, v6
	v_mul_lo_u32 v188, s0, v8
	;; [unrolled: 1-line block ×4, first 2 shown]
	v_dual_add_nc_u32 v67, v38, v9 :: v_dual_add_nc_u32 v69, v38, v11
	v_dual_add_nc_u32 v71, v38, v13 :: v_dual_add_nc_u32 v75, v38, v15
	;; [unrolled: 1-line block ×4, first 2 shown]
	v_add_min_i32_e64 v3, v33, 64, s1
	v_add_min_i32_e64 v5, 0x48, v33, s1
	;; [unrolled: 1-line block ×8, first 2 shown]
	v_mad_u32 v176, 0x104, v3, v1
	v_mad_u32 v177, 0x104, v5, v1
	;; [unrolled: 1-line block ×8, first 2 shown]
	v_mul_lo_u32 v191, s0, v14
	v_dual_add_nc_u32 v1, 32, v39 :: v_dual_add_nc_u32 v4, 64, v39
	v_add_nc_u32_e32 v6, 0x60, v39
	v_mul_lo_u32 v192, s0, v16
	v_bfe_u32 v32, v0, 5, 5
	v_mul_lo_u32 v194, s0, v2
	v_cmp_ne_u32_e64 s0, 0, v40
	v_dual_lshrrev_b32 v193, 3, v1 :: v_dual_lshrrev_b32 v8, 3, v4
	s_delay_alu instid0(VALU_DEP_4) | instskip(NEXT) | instid1(VALU_DEP_3)
	v_dual_lshlrev_b32 v2, 2, v32 :: v_dual_lshlrev_b32 v210, 1, v37
	v_add_co_ci_u32_e64 v0, null, 0, v37, s0
	v_dual_mov_b32 v37, v29 :: v_dual_lshrrev_b32 v10, 3, v6
	v_dual_cndmask_b32 v184, 0, v52 :: v_dual_add_nc_u32 v185, 0xaa40, v21
	v_dual_lshlrev_b32 v205, 5, v36 :: v_dual_lshlrev_b32 v206, 5, v42
	v_mul_lo_u32 v38, v22, s17
	v_mul_lo_u32 v40, v25, s17
	;; [unrolled: 1-line block ×19, first 2 shown]
	v_dual_lshlrev_b32 v200, 5, v23 :: v_dual_bitop2_b32 v12, 60, v193 bitop3:0x40
	v_dual_lshlrev_b32 v202, 5, v26 :: v_dual_bitop2_b32 v14, 60, v8 bitop3:0x40
	;; [unrolled: 1-line block ×3, first 2 shown]
	v_add3_u32 v196, v2, v20, 0xae40
	v_cndmask_b32_e64 v2, 0, 1, vcc_lo
	s_mul_i32 s4, s17, s16
	s_movk_i32 s1, 0x2080
	s_movk_i32 s2, 0x4100
	s_movk_i32 s0, 0x6180
	s_wait_kmcnt 0x0
	v_add_nc_u64_e32 v[90:91], s[10:11], v[30:31]
	v_mov_b64_e32 v[88:89], 0
	v_mov_b64_e32 v[82:83], 0
	;; [unrolled: 1-line block ×16, first 2 shown]
	s_ashr_i32 s5, s4, 31
	v_and_b32_e32 v28, 0x7c, v20
	v_add3_u32 v197, v20, v12, 0xae40
	v_add3_u32 v198, v20, v14, 0xae40
	;; [unrolled: 1-line block ×3, first 2 shown]
	v_dual_lshlrev_b32 v207, 4, v1 :: v_dual_lshlrev_b32 v208, 4, v4
	v_dual_lshlrev_b32 v209, 4, v6 :: v_dual_lshlrev_b32 v34, 2, v0
	v_dual_lshlrev_b32 v36, 2, v2 :: v_dual_lshlrev_b32 v211, 2, v20
	v_dual_lshlrev_b32 v213, 2, v10 :: v_dual_lshlrev_b32 v212, 2, v8
	v_or_b32_e32 v214, 1, v45
	v_mul_u32_u24_e32 v215, 0x104, v39
	v_mad_u32_u24 v216, 0x104, v39, s1
	v_mad_u32_u24 v217, 0x104, v39, s2
	;; [unrolled: 1-line block ×3, first 2 shown]
	v_dual_lshlrev_b32 v219, 2, v195 :: v_dual_lshlrev_b32 v220, 2, v193
	s_mul_u64 s[4:5], s[4:5], 0xb0
	s_mov_b32 s2, s3
	s_add_nc_u64 s[0:1], s[8:9], s[4:5]
.LBB154_5:                              ; =>This Loop Header: Depth=1
                                        ;     Child Loop BB154_6 Depth 2
                                        ;     Child Loop BB154_8 Depth 2
	s_mul_u64 s[4:5], s[2:3], 0xb0
	s_mov_b32 s8, 0
	s_add_nc_u64 s[4:5], s[0:1], s[4:5]
	s_delay_alu instid0(SALU_CYCLE_1) | instskip(SKIP_2) | instid1(VALU_DEP_3)
	v_mad_nc_u64_u32 v[0:1], 0xb0, v32, s[4:5]
	v_mad_nc_i64_i32 v[2:3], 0xb0, v74, s[4:5]
	v_mad_nc_i64_i32 v[4:5], 0xb0, v76, s[4:5]
	;; [unrolled: 1-line block ×4, first 2 shown]
	s_delay_alu instid0(VALU_DEP_4)
	v_add_nc_u64_e32 v[24:25], v[2:3], v[34:35]
	v_add_nc_u64_e32 v[2:3], v[2:3], v[36:37]
	;; [unrolled: 1-line block ×4, first 2 shown]
	v_mad_nc_i64_i32 v[10:11], 0xb0, v42, v[0:1]
	v_mad_nc_i64_i32 v[12:13], 0xb0, v44, v[0:1]
	s_clause 0x3
	global_load_b32 v118, v[24:25], off offset:4
	global_load_b32 v119, v[26:27], off offset:4
	;; [unrolled: 1-line block ×4, first 2 shown]
	s_wait_xcnt 0x1
	v_add_nc_u64_e32 v[2:3], v[6:7], v[28:29]
	v_add_nc_u64_e32 v[6:7], v[6:7], v[30:31]
	;; [unrolled: 1-line block ×4, first 2 shown]
	v_mad_nc_i64_i32 v[14:15], 0xb0, v46, v[0:1]
	v_mad_nc_i64_i32 v[16:17], 0xb0, v48, v[0:1]
	;; [unrolled: 1-line block ×3, first 2 shown]
	s_clause 0x3
	global_load_b32 v123, v[2:3], off offset:48
	global_load_b32 v124, v[6:7], off offset:16
	;; [unrolled: 1-line block ×4, first 2 shown]
	v_add_nc_u64_e32 v[2:3], v[10:11], v[28:29]
	v_add_nc_u64_e32 v[6:7], v[10:11], v[30:31]
	s_wait_xcnt 0x0
	v_add_nc_u64_e32 v[8:9], v[12:13], v[30:31]
	v_add_nc_u64_e32 v[10:11], v[12:13], v[28:29]
	v_mad_nc_i64_i32 v[20:21], 0xb0, v52, v[0:1]
	v_mad_nc_i64_i32 v[22:23], 0xb0, v54, v[0:1]
	;; [unrolled: 1-line block ×3, first 2 shown]
	s_clause 0x2
	global_load_b32 v125, v[2:3], off offset:48
	global_load_b32 v126, v[6:7], off offset:16
	global_load_b32 v128, v[8:9], off offset:16
	s_wait_xcnt 0x2
	v_add_nc_u64_e32 v[2:3], v[14:15], v[28:29]
	s_wait_xcnt 0x1
	v_add_nc_u64_e32 v[6:7], v[14:15], v[30:31]
	global_load_b32 v127, v[10:11], off offset:48
	s_wait_xcnt 0x1
	v_add_nc_u64_e32 v[8:9], v[16:17], v[30:31]
	v_mad_nc_i64_i32 v[112:113], 0xb0, v58, v[0:1]
	v_mad_nc_i64_i32 v[114:115], 0xb0, v60, v[0:1]
	;; [unrolled: 1-line block ×3, first 2 shown]
	s_clause 0x1
	global_load_b32 v129, v[2:3], off offset:48
	global_load_b32 v130, v[6:7], off offset:16
	s_wait_xcnt 0x2
	v_add_nc_u64_e32 v[10:11], v[16:17], v[28:29]
	s_wait_xcnt 0x1
	v_add_nc_u64_e32 v[2:3], v[18:19], v[28:29]
	;; [unrolled: 2-line block ×3, first 2 shown]
	global_load_b32 v19, v[8:9], off offset:16
	s_wait_xcnt 0x0
	v_add_nc_u64_e32 v[8:9], v[20:21], v[30:31]
	v_mad_nc_i64_i32 v[4:5], 0xb0, v64, v[0:1]
	v_mad_nc_i64_i32 v[26:27], 0xb0, v66, v[0:1]
	global_load_b32 v18, v[10:11], off offset:48
	s_wait_xcnt 0x0
	v_add_nc_u64_e32 v[10:11], v[20:21], v[28:29]
	s_clause 0x1
	global_load_b32 v20, v[2:3], off offset:48
	global_load_b32 v21, v[6:7], off offset:16
	s_wait_xcnt 0x1
	v_add_nc_u64_e32 v[2:3], v[22:23], v[28:29]
	s_wait_xcnt 0x0
	v_add_nc_u64_e32 v[6:7], v[22:23], v[30:31]
	global_load_b32 v23, v[8:9], off offset:16
	s_wait_xcnt 0x0
	v_add_nc_u64_e32 v[8:9], v[110:111], v[30:31]
	global_load_b32 v22, v[10:11], off offset:48
	s_wait_xcnt 0x0
	v_add_nc_u64_e32 v[10:11], v[110:111], v[28:29]
	v_mad_nc_i64_i32 v[0:1], 0xb0, v68, v[0:1]
	s_clause 0x1
	global_load_b32 v110, v[2:3], off offset:48
	global_load_b32 v111, v[6:7], off offset:16
	s_wait_xcnt 0x1
	v_add_nc_u64_e32 v[2:3], v[112:113], v[28:29]
	s_wait_xcnt 0x0
	v_add_nc_u64_e32 v[6:7], v[112:113], v[30:31]
	s_clause 0x1
	global_load_b32 v113, v[8:9], off offset:16
	global_load_b32 v112, v[10:11], off offset:48
	s_wait_xcnt 0x0
	v_add_nc_u64_e32 v[10:11], v[114:115], v[28:29]
	v_add_nc_u64_e32 v[8:9], v[114:115], v[30:31]
	s_clause 0x1
	global_load_b32 v114, v[2:3], off offset:48
	global_load_b32 v115, v[6:7], off offset:16
	s_wait_xcnt 0x1
	v_add_nc_u64_e32 v[2:3], v[24:25], v[28:29]
	s_wait_xcnt 0x0
	v_add_nc_u64_e32 v[6:7], v[24:25], v[30:31]
	s_clause 0x3
	global_load_b32 v24, v[10:11], off offset:48
	global_load_b32 v25, v[8:9], off offset:16
	;; [unrolled: 1-line block ×4, first 2 shown]
	s_wait_xcnt 0x3
	v_add_nc_u64_e32 v[10:11], v[4:5], v[28:29]
	v_add_nc_u64_e32 v[4:5], v[4:5], v[30:31]
	s_wait_xcnt 0x1
	v_add_nc_u64_e32 v[2:3], v[26:27], v[28:29]
	s_wait_xcnt 0x0
	v_add_nc_u64_e32 v[6:7], v[26:27], v[30:31]
	s_clause 0x1
	global_load_b32 v26, v[10:11], off offset:48
	global_load_b32 v27, v[4:5], off offset:16
	v_add_nc_u64_e32 v[8:9], v[0:1], v[28:29]
	v_add_nc_u64_e32 v[0:1], v[0:1], v[30:31]
	s_clause 0x3
	global_load_b32 v134, v[2:3], off offset:48
	global_load_b32 v135, v[6:7], off offset:16
	;; [unrolled: 1-line block ×4, first 2 shown]
	s_wait_xcnt 0x0
	v_mad_nc_i64_i32 v[0:1], 0xb0, v70, s[4:5]
	s_lshl_b32 s4, s2, 3
	s_mov_b32 s5, -1
	v_dual_add_nc_u32 v2, s4, v195 :: v_dual_add_nc_u32 v121, s4, v61
	s_delay_alu instid0(VALU_DEP_1)
	v_dual_add_nc_u32 v8, v2, v186 :: v_dual_add_nc_u32 v10, v2, v188
	v_add_nc_u32_e32 v3, v2, v189
	global_load_b32 v139, v[0:1], off
	s_wait_xcnt 0x0
	v_dual_add_nc_u32 v0, v2, v187 :: v_dual_add_nc_u32 v12, v2, v190
	v_dual_add_nc_u32 v4, v2, v191 :: v_dual_add_nc_u32 v6, v2, v194
	v_add_nc_u32_e32 v14, v2, v192
	s_delay_alu instid0(VALU_DEP_3) | instskip(SKIP_1) | instid1(VALU_DEP_4)
	v_mad_nc_i64_i32 v[0:1], v0, 36, v[90:91]
	v_mad_nc_i64_i32 v[2:3], v3, 36, v[90:91]
	;; [unrolled: 1-line block ×8, first 2 shown]
	v_mad_nc_u64_u32 v[16:17], v121, 36, s[10:11]
	s_clause 0x8
	global_load_b32 v140, v[0:1], off offset:4
	global_load_b32 v141, v[2:3], off offset:4
	;; [unrolled: 1-line block ×8, first 2 shown]
	global_load_b32 v148, v[16:17], off
	s_wait_loadcnt 0x2c
	s_wait_xcnt 0x8
	v_dual_ashrrev_i32 v0, v184, v118 :: v_dual_ashrrev_i32 v1, v184, v119
	s_wait_loadcnt 0x2a
	s_wait_xcnt 0x7
	v_dual_ashrrev_i32 v2, v210, v120 :: v_dual_ashrrev_i32 v3, v210, v122
	s_delay_alu instid0(VALU_DEP_2) | instskip(SKIP_1) | instid1(VALU_DEP_2)
	v_and_b32_e32 v0, 0xf0f0f0f, v0
	v_and_b32_e32 v1, 0xf0f0f0f, v1
	v_and_or_b32 v0, 0x30303030, v2, v0
	s_delay_alu instid0(VALU_DEP_2)
	v_and_or_b32 v1, 0x30303030, v3, v1
	s_wait_loadcnt 0x28
	s_wait_xcnt 0x6
	v_dual_lshrrev_b32 v3, 4, v123 :: v_dual_ashrrev_i32 v4, v45, v124
	s_wait_loadcnt 0x26
	s_wait_xcnt 0x4
	v_dual_ashrrev_i32 v5, v214, v124 :: v_dual_ashrrev_i32 v8, v45, v117
	v_dual_lshrrev_b32 v7, 4, v116 :: v_dual_ashrrev_i32 v9, v214, v117
	v_and_b32_e32 v2, 0xf0f0f0f, v123
	v_and_b32_e32 v6, 0xf0f0f0f, v116
	;; [unrolled: 1-line block ×3, first 2 shown]
	s_wait_loadcnt 0x24
	s_wait_xcnt 0x2
	v_dual_lshrrev_b32 v11, 4, v125 :: v_dual_ashrrev_i32 v12, v45, v126
	s_wait_loadcnt 0x23
	s_wait_xcnt 0x0
	v_dual_ashrrev_i32 v13, v214, v126 :: v_dual_ashrrev_i32 v16, v45, v128
	s_wait_loadcnt 0x22
	v_dual_ashrrev_i32 v17, v214, v128 :: v_dual_lshrrev_b32 v15, 4, v127
	v_and_b32_e32 v10, 0xf0f0f0f, v125
	v_and_b32_e32 v14, 0xf0f0f0f, v127
	v_dual_lshlrev_b32 v4, 4, v4 :: v_dual_lshlrev_b32 v5, 4, v5
	s_wait_loadcnt 0x20
	v_dual_lshrrev_b32 v117, 4, v129 :: v_dual_ashrrev_i32 v118, v45, v130
	v_ashrrev_i32_e32 v119, v214, v130
	v_and_b32_e32 v116, 0xf0f0f0f, v129
	v_and_b32_e32 v7, 0xf0f0f0f, v7
	s_wait_loadcnt 0x1f
	v_dual_ashrrev_i32 v122, v45, v19 :: v_dual_ashrrev_i32 v19, v214, v19
	v_dual_lshlrev_b32 v8, 4, v8 :: v_dual_lshlrev_b32 v9, 4, v9
	s_wait_loadcnt 0x1e
	v_and_b32_e32 v120, 0xf0f0f0f, v18
	v_lshrrev_b32_e32 v18, 4, v18
	s_wait_loadcnt 0x1d
	v_and_b32_e32 v123, 0xf0f0f0f, v20
	s_wait_loadcnt 0x1c
	v_dual_lshrrev_b32 v20, 4, v20 :: v_dual_ashrrev_i32 v124, v45, v21
	s_wait_loadcnt 0x1b
	v_dual_ashrrev_i32 v21, v214, v21 :: v_dual_ashrrev_i32 v126, v45, v23
	v_ashrrev_i32_e32 v23, v214, v23
	s_wait_loadcnt 0x1a
	v_and_b32_e32 v125, 0xf0f0f0f, v22
	v_lshrrev_b32_e32 v22, 4, v22
	v_and_b32_e32 v11, 0xf0f0f0f, v11
	s_wait_loadcnt 0x19
	v_and_b32_e32 v127, 0xf0f0f0f, v110
	s_wait_loadcnt 0x18
	v_dual_lshrrev_b32 v110, 4, v110 :: v_dual_ashrrev_i32 v128, v45, v111
	s_wait_loadcnt 0x17
	v_dual_ashrrev_i32 v111, v214, v111 :: v_dual_ashrrev_i32 v130, v45, v113
	v_ashrrev_i32_e32 v113, v214, v113
	s_wait_loadcnt 0x16
	v_and_b32_e32 v129, 0xf0f0f0f, v112
	v_lshrrev_b32_e32 v112, 4, v112
	v_dual_lshlrev_b32 v12, 4, v12 :: v_dual_lshlrev_b32 v13, 4, v13
	s_wait_loadcnt 0x15
	v_and_b32_e32 v150, 0xf0f0f0f, v114
	s_wait_loadcnt 0x14
	v_dual_lshrrev_b32 v114, 4, v114 :: v_dual_ashrrev_i32 v151, v45, v115
	v_ashrrev_i32_e32 v115, v214, v115
	s_wait_loadcnt 0x13
	v_and_b32_e32 v152, 0xf0f0f0f, v24
	s_wait_loadcnt 0x12
	v_dual_lshrrev_b32 v24, 4, v24 :: v_dual_ashrrev_i32 v153, v45, v25
	v_ashrrev_i32_e32 v25, v214, v25
	;; [unrolled: 5-line block ×3, first 2 shown]
	v_and_b32_e32 v15, 0xf0f0f0f, v15
	v_dual_lshlrev_b32 v16, 4, v16 :: v_dual_lshlrev_b32 v17, 4, v17
	v_and_b32_e32 v117, 0xf0f0f0f, v117
	v_dual_lshlrev_b32 v118, 4, v118 :: v_dual_lshlrev_b32 v119, 4, v119
	s_wait_loadcnt 0xf
	v_and_b32_e32 v156, 0xf0f0f0f, v26
	s_wait_loadcnt 0xe
	v_dual_lshrrev_b32 v26, 4, v26 :: v_dual_ashrrev_i32 v157, v45, v27
	v_ashrrev_i32_e32 v27, v214, v27
	s_wait_loadcnt 0xd
	v_and_b32_e32 v158, 0xf0f0f0f, v134
	s_wait_loadcnt 0xc
	v_dual_lshrrev_b32 v134, 4, v134 :: v_dual_ashrrev_i32 v160, v45, v135
	v_ashrrev_i32_e32 v135, v214, v135
	;; [unrolled: 5-line block ×3, first 2 shown]
	v_and_b32_e32 v18, 0xf0f0f0f, v18
	v_dual_lshlrev_b32 v122, 4, v122 :: v_dual_lshlrev_b32 v19, 4, v19
	v_and_b32_e32 v20, 0xf0f0f0f, v20
	v_dual_lshlrev_b32 v124, 4, v124 :: v_dual_lshlrev_b32 v21, 4, v21
	;; [unrolled: 2-line block ×6, first 2 shown]
	v_dual_lshlrev_b32 v115, 4, v115 :: v_dual_lshlrev_b32 v25, 4, v25
	v_and_b32_e32 v24, 0xf0f0f0f, v24
	v_and_b32_e32 v131, 0xf0f0f0f, v131
	v_dual_lshlrev_b32 v155, 4, v155 :: v_dual_lshlrev_b32 v132, 4, v132
	v_and_b32_e32 v26, 0xf0f0f0f, v26
	v_dual_lshlrev_b32 v157, 4, v157 :: v_dual_lshlrev_b32 v27, 4, v27
	v_and_b32_e32 v134, 0xf0f0f0f, v134
	v_dual_lshlrev_b32 v160, 4, v160 :: v_dual_lshlrev_b32 v135, 4, v135
	v_and_b32_e32 v136, 0xf0f0f0f, v136
	v_dual_lshlrev_b32 v163, 4, v163 :: v_dual_lshlrev_b32 v138, 4, v138
	v_and_or_b32 v2, 0x10101010, v4, v2
	v_and_or_b32 v3, 0x10101010, v5, v3
	;; [unrolled: 1-line block ×32, first 2 shown]
	ds_store_2addr_b32 v47, v2, v3 offset1:8
	ds_store_2addr_b32 v49, v4, v5 offset1:8
	;; [unrolled: 1-line block ×16, first 2 shown]
	s_wait_loadcnt 0x9
	ds_store_b32 v59, v139
	ds_store_b32 v63, v0
	;; [unrolled: 1-line block ×3, first 2 shown]
	s_wait_loadcnt 0x8
	ds_store_b32 v69, v140
	s_wait_loadcnt 0x7
	ds_store_b32 v75, v141
	;; [unrolled: 2-line block ×9, first 2 shown]
	s_wait_dscnt 0x0
	s_barrier_signal -1
	s_barrier_wait -1
	ds_load_b32 v0, v196
	ds_load_b32 v1, v197 offset:128
	ds_load_b32 v2, v198 offset:256
	ds_load_b32 v3, v199 offset:384
	s_wait_dscnt 0x3
	v_cvt_f32_f16_e32 v22, v0
	v_lshrrev_b32_e32 v0, 16, v0
	s_wait_dscnt 0x2
	v_cvt_f32_f16_e32 v24, v1
	v_lshrrev_b32_e32 v1, 16, v1
	s_wait_dscnt 0x1
	v_cvt_f32_f16_e32 v26, v2
	s_wait_dscnt 0x0
	v_dual_lshrrev_b32 v2, 16, v2 :: v_dual_lshrrev_b32 v4, 16, v3
	v_cvt_f32_f16_e32 v110, v3
	v_cvt_f32_f16_e32 v112, v0
	v_cvt_f32_f16_e32 v114, v1
	s_delay_alu instid0(VALU_DEP_4) | instskip(SKIP_4) | instid1(VALU_DEP_4)
	v_cvt_f32_f16_e32 v116, v2
	v_cvt_f32_f16_e32 v118, v4
	v_dual_mov_b32 v23, v22 :: v_dual_mov_b32 v25, v24
	v_dual_mov_b32 v27, v26 :: v_dual_mov_b32 v111, v110
	;; [unrolled: 1-line block ×4, first 2 shown]
.LBB154_6:                              ;   Parent Loop BB154_5 Depth=1
                                        ; =>  This Inner Loop Header: Depth=2
	s_lshl_b32 s7, s8, 1
	s_lshr_b32 s9, s8, 2
	v_or_b32_e32 v0, s7, v43
	s_lshl_b32 s8, s8, 3
	s_add_co_i32 s9, s9, 0xa200
	v_dual_add_nc_u32 v132, s8, v215 :: v_dual_add_nc_u32 v241, s8, v217
	s_delay_alu instid0(VALU_DEP_2)
	v_dual_lshlrev_b32 v1, 2, v0 :: v_dual_lshrrev_b32 v16, 1, v0
	v_add_nc_u32_e32 v255, s8, v218
	s_and_b32 vcc_lo, exec_lo, s5
	s_mov_b32 s5, 0
	ds_load_b128 v[8:11], v1 offset:33280
	ds_load_b128 v[12:15], v1 offset:33296
	;; [unrolled: 1-line block ×4, first 2 shown]
	ds_load_b64 v[170:171], v16 offset:43584
	ds_load_2addr_b32 v[128:129], v132 offset1:1
	ds_load_2addr_b32 v[130:131], v132 offset0:2 offset1:3
	ds_load_2addr_b32 v[126:127], v132 offset0:4 offset1:5
	;; [unrolled: 1-line block ×3, first 2 shown]
	v_add3_u32 v16, s9, v219, v211
	v_add_nc_u32_e32 v148, s8, v216
	s_mov_b32 s8, 8
	s_wait_dscnt 0x7
	v_perm_b32 v136, v13, v13, 0xc0c0100
	v_perm_b32 v13, v13, v13, 0xc0c0302
	;; [unrolled: 1-line block ×4, first 2 shown]
	s_wait_dscnt 0x3
	v_dot4_i32_iu8 v18, v128, v8, 0 neg_lo:[1,1,0]
	s_wait_dscnt 0x1
	v_perm_b32 v19, v127, v127, 0xc0c0100
	v_perm_b32 v174, v15, v15, 0xc0c0100
	;; [unrolled: 1-line block ×3, first 2 shown]
	v_bfe_i32 v120, v4, 0, 8
	v_dot4_i32_iu8 v18, v129, v9, v18 neg_lo:[1,1,0]
	v_perm_b32 v160, v4, v4, 0xc0c0201
	v_perm_b32 v164, v5, v4, 0x6050403
	;; [unrolled: 1-line block ×4, first 2 shown]
	v_dot4_i32_iu8 v18, v130, v10, v18 neg_lo:[1,1,0]
	v_perm_b32 v167, v0, v7, 0x6050403
	v_lshrrev_b32_e32 v248, 16, v171
	v_perm_b32 v168, v1, v1, 0xc0c0201
	v_perm_b32 v169, v2, v1, 0xc0c0403
	v_dot4_i32_iu8 v18, v131, v11, v18 neg_lo:[1,1,0]
	v_perm_b32 v228, v2, v2, 0xc0c0201
	v_perm_b32 v245, v3, v2, 0xc0c0403
	v_lshrrev_b32_e32 v17, 16, v170
	s_set_vgpr_msb 64                       ;  msbs: dst=1 src0=0 src1=0 src2=0
	v_cvt_f32_f16_e64 v14 /*v270*/, v170
	s_set_vgpr_msb 0                        ;  msbs: dst=0 src0=0 src1=0 src2=0
	v_dot4_i32_iu8 v18, v126, v12, v18 neg_lo:[1,1,0]
	s_set_vgpr_msb 64                       ;  msbs: dst=1 src0=0 src1=0 src2=0
	v_cvt_f32_f16_e64 v18 /*v274*/, v248
	v_cvt_f32_f16_e64 v16 /*v272*/, v17
	s_set_vgpr_msb 0                        ;  msbs: dst=0 src0=0 src1=0 src2=0
	v_dot4_i32_iu8 v18, v136, v19, v18 neg_lo:[1,1,0]
	v_perm_b32 v19, v127, v127, 0xc0c0302
	s_delay_alu instid0(VALU_DEP_1) | instskip(SKIP_2) | instid1(VALU_DEP_1)
	v_dot4_i32_iu8 v18, v13, v19, v18 neg_lo:[1,1,0]
	s_wait_dscnt 0x0
	v_perm_b32 v19, v124, v124, 0xc0c0100
	v_dot4_i32_iu8 v18, v172, v19, v18 neg_lo:[1,1,0]
	v_perm_b32 v19, v124, v124, 0xc0c0302
	s_delay_alu instid0(VALU_DEP_1) | instskip(SKIP_1) | instid1(VALU_DEP_1)
	v_dot4_i32_iu8 v14, v173, v19, v18 neg_lo:[1,1,0]
	v_perm_b32 v18, v125, v125, 0xc0c0100
	v_dot4_i32_iu8 v14, v174, v18, v14 neg_lo:[1,1,0]
	v_perm_b32 v18, v125, v125, 0xc0c0302
	s_delay_alu instid0(VALU_DEP_1)
	v_dot4_i32_iu8 v249, v175, v18, v14 neg_lo:[1,1,0]
	ds_load_u16 v14, v16
	ds_load_u16 v134, v16 offset:8
	ds_load_2addr_b32 v[18:19], v132 offset0:8 offset1:9
	s_wait_dscnt 0x2
	v_lshrrev_b16 v135, 8, v14
	v_and_b32_e32 v123, 0xff, v14
	s_wait_dscnt 0x0
	v_bfe_i32 v221, v18, 0, 8
	v_perm_b32 v222, v18, v18, 0xc0c0201
	v_perm_b32 v224, v19, v18, 0x6050403
	v_cvt_f32_ubyte0_e32 v122, v134
	v_and_b32_e32 v223, 0xffff, v135
	v_mul_i32_i24_e32 v14, v221, v120
	v_mul_lo_u32 v17, v249, v123
	s_delay_alu instid0(VALU_DEP_2)
	v_dot4_i32_iu8 v138, v222, v160, v14 neg_lo:[1,1,0]
	ds_load_2addr_b32 v[20:21], v132 offset0:10 offset1:11
	ds_load_b32 v139, v132 offset:48
	ds_load_b96 v[14:16], v132 offset:51
	ds_load_i8 v250, v132 offset:63
	ds_load_2addr_b32 v[142:143], v148 offset1:1
	v_cvt_f32_ubyte1_e32 v132, v134
	v_dot4_i32_iu8 v18, v224, v164, v138 neg_lo:[1,1,0]
	s_wait_dscnt 0x4
	v_perm_b32 v225, v20, v19, 0x6050403
	v_perm_b32 v226, v21, v20, 0x6050403
	s_wait_dscnt 0x3
	v_perm_b32 v227, v139, v21, 0x6050403
	s_wait_dscnt 0x2
	v_perm_b32 v19, v14, v14, 0xc0c0100
	v_perm_b32 v21, v1, v0, 0xc0c0403
	v_dot4_i32_iu8 v18, v225, v165, v18 neg_lo:[1,1,0]
	ds_load_2addr_b32 v[144:145], v148 offset0:2 offset1:3
	ds_load_2addr_b32 v[140:141], v148 offset0:4 offset1:5
	;; [unrolled: 1-line block ×3, first 2 shown]
	v_bfe_i32 v147, v14, 0, 8
	v_dot4_i32_iu8 v18, v226, v166, v18 neg_lo:[1,1,0]
	s_delay_alu instid0(VALU_DEP_1) | instskip(NEXT) | instid1(VALU_DEP_1)
	v_dot4_i32_iu8 v18, v227, v167, v18 neg_lo:[1,1,0]
	v_dot4_i32_iu8 v18, v21, v19, v18 neg_lo:[1,1,0]
	v_perm_b32 v19, v14, v14, 0xc0c0302
	s_wait_dscnt 0x1
	v_perm_b32 v20, v141, v141, 0xc0c0100
	s_delay_alu instid0(VALU_DEP_2) | instskip(SKIP_1) | instid1(VALU_DEP_1)
	v_dot4_i32_iu8 v18, v168, v19, v18 neg_lo:[1,1,0]
	v_perm_b32 v19, v15, v15, 0xc0c0100
	v_dot4_i32_iu8 v18, v169, v19, v18 neg_lo:[1,1,0]
	v_perm_b32 v19, v15, v15, 0xc0c0302
	s_delay_alu instid0(VALU_DEP_1) | instskip(SKIP_2) | instid1(VALU_DEP_1)
	v_dot4_i32_iu8 v18, v228, v19, v18 neg_lo:[1,1,0]
	v_perm_b32 v19, v16, v16, 0xc0c0100
	s_set_vgpr_msb 64                       ;  msbs: dst=1 src0=0 src1=0 src2=0
	v_dot4_i32_iu8 v1 /*v257*/, v245, v19, v18 neg_lo:[1,1,0]
	s_set_vgpr_msb 0                        ;  msbs: dst=0 src0=0 src1=0 src2=0
	v_dot4_i32_iu8 v19, v142, v8, 0 neg_lo:[1,1,0]
	v_add3_u32 v18, s9, v220, v207
	s_delay_alu instid0(VALU_DEP_2) | instskip(NEXT) | instid1(VALU_DEP_1)
	v_dot4_i32_iu8 v19, v143, v9, v19 neg_lo:[1,1,0]
	v_dot4_i32_iu8 v19, v144, v10, v19 neg_lo:[1,1,0]
	s_delay_alu instid0(VALU_DEP_1) | instskip(NEXT) | instid1(VALU_DEP_1)
	v_dot4_i32_iu8 v19, v145, v11, v19 neg_lo:[1,1,0]
	v_dot4_i32_iu8 v19, v140, v12, v19 neg_lo:[1,1,0]
	s_delay_alu instid0(VALU_DEP_1) | instskip(SKIP_1) | instid1(VALU_DEP_1)
	v_dot4_i32_iu8 v19, v136, v20, v19 neg_lo:[1,1,0]
	v_perm_b32 v20, v141, v141, 0xc0c0302
	v_dot4_i32_iu8 v19, v13, v20, v19 neg_lo:[1,1,0]
	s_wait_dscnt 0x0
	v_perm_b32 v20, v138, v138, 0xc0c0100
	s_delay_alu instid0(VALU_DEP_1) | instskip(SKIP_1) | instid1(VALU_DEP_1)
	v_dot4_i32_iu8 v19, v172, v20, v19 neg_lo:[1,1,0]
	v_perm_b32 v20, v138, v138, 0xc0c0302
	v_dot4_i32_iu8 v19, v173, v20, v19 neg_lo:[1,1,0]
	v_perm_b32 v20, v139, v139, 0xc0c0100
	s_delay_alu instid0(VALU_DEP_1) | instskip(SKIP_1) | instid1(VALU_DEP_1)
	v_dot4_i32_iu8 v19, v174, v20, v19 neg_lo:[1,1,0]
	v_perm_b32 v20, v139, v139, 0xc0c0302
	v_dot4_i32_iu8 v251, v175, v20, v19 neg_lo:[1,1,0]
	ds_load_u16 v19, v18
	ds_load_u16 v152, v18 offset:8
	ds_load_2addr_b32 v[134:135], v148 offset0:8 offset1:9
	s_wait_dscnt 0x2
	v_lshrrev_b16 v153, 8, v19
	v_and_b32_e32 v229, 0xff, v19
	s_wait_dscnt 0x0
	v_bfe_i32 v230, v134, 0, 8
	v_perm_b32 v231, v134, v134, 0xc0c0201
	v_perm_b32 v233, v135, v134, 0x6050403
	v_cvt_f32_ubyte0_e32 v146, v152
	v_and_b32_e32 v236, 0xffff, v153
	v_mul_i32_i24_e32 v18, v230, v120
	s_delay_alu instid0(VALU_DEP_1)
	v_dot4_i32_iu8 v154, v231, v160, v18 neg_lo:[1,1,0]
	ds_load_2addr_b32 v[150:151], v148 offset0:10 offset1:11
	ds_load_b32 v155, v148 offset:48
	ds_load_b96 v[18:20], v148 offset:51
	s_set_vgpr_msb 64                       ;  msbs: dst=1 src0=0 src1=0 src2=0
	ds_load_i8 v13 /*v269*/, v148 offset:63
	s_set_vgpr_msb 0                        ;  msbs: dst=0 src0=0 src1=0 src2=0
	v_cvt_f32_ubyte1_e32 v148, v152
	v_dot4_i32_iu8 v134, v233, v164, v154 neg_lo:[1,1,0]
	s_wait_dscnt 0x3
	v_perm_b32 v234, v150, v135, 0x6050403
	v_perm_b32 v235, v151, v150, 0x6050403
	s_wait_dscnt 0x2
	v_perm_b32 v237, v155, v151, 0x6050403
	s_wait_dscnt 0x1
	v_perm_b32 v135, v18, v18, 0xc0c0100
	ds_load_2addr_b32 v[154:155], v241 offset1:1
	v_dot4_i32_iu8 v134, v234, v165, v134 neg_lo:[1,1,0]
	ds_load_2addr_b32 v[156:157], v241 offset0:2 offset1:3
	ds_load_2addr_b32 v[152:153], v241 offset0:4 offset1:5
	;; [unrolled: 1-line block ×3, first 2 shown]
	v_bfe_i32 v232, v18, 0, 8
	v_dot4_i32_iu8 v134, v235, v166, v134 neg_lo:[1,1,0]
	s_delay_alu instid0(VALU_DEP_1) | instskip(NEXT) | instid1(VALU_DEP_1)
	v_dot4_i32_iu8 v134, v237, v167, v134 neg_lo:[1,1,0]
	v_dot4_i32_iu8 v134, v21, v135, v134 neg_lo:[1,1,0]
	v_perm_b32 v135, v18, v18, 0xc0c0302
	s_wait_dscnt 0x1
	v_perm_b32 v158, v153, v153, 0xc0c0100
	s_delay_alu instid0(VALU_DEP_2) | instskip(SKIP_1) | instid1(VALU_DEP_1)
	v_dot4_i32_iu8 v134, v168, v135, v134 neg_lo:[1,1,0]
	v_perm_b32 v135, v19, v19, 0xc0c0100
	v_dot4_i32_iu8 v134, v169, v135, v134 neg_lo:[1,1,0]
	v_perm_b32 v135, v19, v19, 0xc0c0302
	s_delay_alu instid0(VALU_DEP_1) | instskip(SKIP_2) | instid1(VALU_DEP_1)
	v_dot4_i32_iu8 v134, v228, v135, v134 neg_lo:[1,1,0]
	v_perm_b32 v135, v20, v20, 0xc0c0100
	s_set_vgpr_msb 64                       ;  msbs: dst=1 src0=0 src1=0 src2=0
	v_dot4_i32_iu8 v30 /*v286*/, v245, v135, v134 neg_lo:[1,1,0]
	s_set_vgpr_msb 0                        ;  msbs: dst=0 src0=0 src1=0 src2=0
	v_dot4_i32_iu8 v135, v154, v8, 0 neg_lo:[1,1,0]
	v_add3_u32 v134, s9, v212, v208
	s_delay_alu instid0(VALU_DEP_2) | instskip(NEXT) | instid1(VALU_DEP_1)
	v_dot4_i32_iu8 v135, v155, v9, v135 neg_lo:[1,1,0]
	v_dot4_i32_iu8 v135, v156, v10, v135 neg_lo:[1,1,0]
	s_delay_alu instid0(VALU_DEP_1) | instskip(NEXT) | instid1(VALU_DEP_1)
	v_dot4_i32_iu8 v135, v157, v11, v135 neg_lo:[1,1,0]
	v_dot4_i32_iu8 v135, v152, v12, v135 neg_lo:[1,1,0]
	s_delay_alu instid0(VALU_DEP_1) | instskip(SKIP_1) | instid1(VALU_DEP_1)
	v_dot4_i32_iu8 v135, v136, v158, v135 neg_lo:[1,1,0]
	v_perm_b32 v158, v153, v153, 0xc0c0302
	v_dot4_i32_iu8 v135, v13, v158, v135 neg_lo:[1,1,0]
	s_wait_dscnt 0x0
	v_perm_b32 v158, v150, v150, 0xc0c0100
	s_delay_alu instid0(VALU_DEP_1) | instskip(SKIP_1) | instid1(VALU_DEP_1)
	v_dot4_i32_iu8 v135, v172, v158, v135 neg_lo:[1,1,0]
	v_perm_b32 v158, v150, v150, 0xc0c0302
	v_dot4_i32_iu8 v135, v173, v158, v135 neg_lo:[1,1,0]
	v_perm_b32 v158, v151, v151, 0xc0c0100
	s_delay_alu instid0(VALU_DEP_1) | instskip(SKIP_1) | instid1(VALU_DEP_1)
	v_dot4_i32_iu8 v135, v174, v158, v135 neg_lo:[1,1,0]
	v_perm_b32 v158, v151, v151, 0xc0c0302
	v_dot4_i32_iu8 v254, v175, v158, v135 neg_lo:[1,1,0]
	ds_load_u16 v135, v134
	ds_load_u16 v247, v134 offset:8
	s_wait_dscnt 0x1
	v_lshrrev_b16 v252, 8, v135
	v_and_b32_e32 v238, 0xff, v135
	ds_load_2addr_b32 v[134:135], v241 offset0:8 offset1:9
	s_wait_dscnt 0x1
	v_cvt_f32_ubyte0_e32 v158, v247
	s_wait_dscnt 0x0
	v_bfe_i32 v239, v134, 0, 8
	v_perm_b32 v240, v134, v134, 0xc0c0201
	v_perm_b32 v242, v135, v134, 0x6050403
	s_delay_alu instid0(VALU_DEP_3) | instskip(NEXT) | instid1(VALU_DEP_1)
	v_mul_i32_i24_e32 v120, v239, v120
	v_dot4_i32_iu8 v120, v240, v160, v120 neg_lo:[1,1,0]
	ds_load_2addr_b32 v[162:163], v241 offset0:10 offset1:11
	ds_load_b32 v160, v241 offset:48
	s_set_vgpr_msb 64                       ;  msbs: dst=1 src0=0 src1=0 src2=0
	ds_load_b96 v[10:12] /*v[266:268]*/, v241 offset:51
	ds_load_i8 v31 /*v287*/, v241 offset:63
	s_set_vgpr_msb 0                        ;  msbs: dst=0 src0=0 src1=0 src2=0
	v_dot4_i32_iu8 v120, v242, v164, v120 neg_lo:[1,1,0]
	s_wait_dscnt 0x3
	v_perm_b32 v243, v162, v135, 0x6050403
	v_perm_b32 v244, v163, v162, 0x6050403
	s_wait_dscnt 0x2
	v_perm_b32 v246, v160, v163, 0x6050403
	s_wait_dscnt 0x1
	s_set_vgpr_msb 5                        ;  msbs: dst=0 src0=1 src1=1 src2=0
	v_perm_b32 v134, v10 /*v266*/, v10 /*v266*/, 0xc0c0100
	s_set_vgpr_msb 0                        ;  msbs: dst=0 src0=0 src1=0 src2=0
	v_cvt_f32_ubyte1_e32 v160, v247
	v_dot4_i32_iu8 v120, v243, v165, v120 neg_lo:[1,1,0]
	s_set_vgpr_msb 1                        ;  msbs: dst=0 src0=1 src1=0 src2=0
	v_bfe_i32 v241, v10 /*v266*/, 0, 8
	s_set_vgpr_msb 0                        ;  msbs: dst=0 src0=0 src1=0 src2=0
	s_delay_alu instid0(VALU_DEP_2) | instskip(NEXT) | instid1(VALU_DEP_1)
	v_dot4_i32_iu8 v120, v244, v166, v120 neg_lo:[1,1,0]
	v_dot4_i32_iu8 v120, v246, v167, v120 neg_lo:[1,1,0]
	s_delay_alu instid0(VALU_DEP_1) | instskip(SKIP_3) | instid1(VALU_DEP_1)
	v_dot4_i32_iu8 v21, v21, v134, v120 neg_lo:[1,1,0]
	s_set_vgpr_msb 5                        ;  msbs: dst=0 src0=1 src1=1 src2=0
	v_perm_b32 v120, v10 /*v266*/, v10 /*v266*/, 0xc0c0302
	s_set_vgpr_msb 0                        ;  msbs: dst=0 src0=0 src1=0 src2=0
	v_dot4_i32_iu8 v21, v168, v120, v21 neg_lo:[1,1,0]
	s_set_vgpr_msb 5                        ;  msbs: dst=0 src0=1 src1=1 src2=0
	v_perm_b32 v120, v11 /*v267*/, v11 /*v267*/, 0xc0c0100
	s_set_vgpr_msb 0                        ;  msbs: dst=0 src0=0 src1=0 src2=0
	s_delay_alu instid0(VALU_DEP_1)
	v_dot4_i32_iu8 v21, v169, v120, v21 neg_lo:[1,1,0]
	ds_load_2addr_b32 v[168:169], v255 offset1:1
	ds_load_2addr_b32 v[166:167], v255 offset0:2 offset1:3
	ds_load_2addr_b32 v[164:165], v255 offset0:4 offset1:5
	;; [unrolled: 1-line block ×3, first 2 shown]
	s_set_vgpr_msb 5                        ;  msbs: dst=0 src0=1 src1=1 src2=0
	v_perm_b32 v120, v11 /*v267*/, v11 /*v267*/, 0xc0c0302
	s_set_vgpr_msb 0                        ;  msbs: dst=0 src0=0 src1=0 src2=0
	s_delay_alu instid0(VALU_DEP_1) | instskip(SKIP_3) | instid1(VALU_DEP_1)
	v_dot4_i32_iu8 v21, v228, v120, v21 neg_lo:[1,1,0]
	s_set_vgpr_msb 5                        ;  msbs: dst=0 src0=1 src1=1 src2=0
	v_perm_b32 v120, v12 /*v268*/, v12 /*v268*/, 0xc0c0100
	s_set_vgpr_msb 0                        ;  msbs: dst=0 src0=0 src1=0 src2=0
	v_dot4_i32_iu8 v21, v245, v120, v21 neg_lo:[1,1,0]
	v_add3_u32 v120, s9, v213, v209
	v_and_b32_e32 v245, 0xffff, v252
	s_wait_dscnt 0x3
	v_dot4_i32_iu8 v8, v168, v8, 0 neg_lo:[1,1,0]
	s_delay_alu instid0(VALU_DEP_1) | instskip(SKIP_2) | instid1(VALU_DEP_2)
	v_dot4_i32_iu8 v8, v169, v9, v8 neg_lo:[1,1,0]
	s_wait_dscnt 0x1
	v_perm_b32 v9, v165, v165, 0xc0c0100
	v_dot4_i32_iu8 v8, v166, v10, v8 neg_lo:[1,1,0]
	s_delay_alu instid0(VALU_DEP_1) | instskip(NEXT) | instid1(VALU_DEP_1)
	v_dot4_i32_iu8 v8, v167, v11, v8 neg_lo:[1,1,0]
	v_dot4_i32_iu8 v8, v164, v12, v8 neg_lo:[1,1,0]
	s_delay_alu instid0(VALU_DEP_1) | instskip(SKIP_1) | instid1(VALU_DEP_1)
	v_dot4_i32_iu8 v8, v136, v9, v8 neg_lo:[1,1,0]
	v_perm_b32 v9, v165, v165, 0xc0c0302
	v_dot4_i32_iu8 v8, v13, v9, v8 neg_lo:[1,1,0]
	s_wait_dscnt 0x0
	v_perm_b32 v9, v162, v162, 0xc0c0100
	s_delay_alu instid0(VALU_DEP_1) | instskip(SKIP_1) | instid1(VALU_DEP_1)
	v_dot4_i32_iu8 v8, v172, v9, v8 neg_lo:[1,1,0]
	v_perm_b32 v9, v162, v162, 0xc0c0302
	v_dot4_i32_iu8 v8, v173, v9, v8 neg_lo:[1,1,0]
	v_perm_b32 v9, v163, v163, 0xc0c0100
	s_delay_alu instid0(VALU_DEP_1) | instskip(SKIP_2) | instid1(VALU_DEP_1)
	v_dot4_i32_iu8 v8, v174, v9, v8 neg_lo:[1,1,0]
	v_perm_b32 v9, v163, v163, 0xc0c0302
	s_set_vgpr_msb 64                       ;  msbs: dst=1 src0=0 src1=0 src2=0
	v_dot4_i32_iu8 v32 /*v288*/, v175, v9, v8 neg_lo:[1,1,0]
	s_set_vgpr_msb 0                        ;  msbs: dst=0 src0=0 src1=0 src2=0
	ds_load_u16 v8, v120
	ds_load_u16 v9, v120 offset:8
	s_wait_dscnt 0x1
	v_lshrrev_b16 v10, 8, v8
	v_and_b32_e32 v247, 0xff, v8
	v_or_b32_e32 v8, s7, v200
	s_wait_dscnt 0x0
	v_cvt_f32_ubyte0_e32 v136, v9
	ds_load_2addr_b32 v[134:135], v255 offset0:14 offset1:15
	v_and_b32_e32 v228, 0xffff, v10
	v_cvt_f32_ubyte1_e32 v120, v9
	v_dual_lshlrev_b32 v12, 2, v8 :: v_dual_lshrrev_b32 v13, 1, v8
	ds_load_b128 v[8:11], v12 offset:33280
	ds_load_b128 v[172:175], v12 offset:33296
	s_set_vgpr_msb 64                       ;  msbs: dst=1 src0=0 src1=0 src2=0
	ds_load_b128 v[2:5] /*v[258:261]*/, v12 offset:33312
	ds_load_b128 v[6:9] /*v[262:265]*/, v12 offset:33328
	s_set_vgpr_msb 0                        ;  msbs: dst=0 src0=0 src1=0 src2=0
	ds_load_b64 v[12:13], v13 offset:43584
	s_wait_dscnt 0x5
	s_set_vgpr_msb 64                       ;  msbs: dst=1 src0=0 src1=0 src2=0
	v_bfe_i32 v33 /*v289*/, v135, 0, 8
	v_bfe_i32 v35 /*v291*/, v135, 16, 8
	;; [unrolled: 1-line block ×3, first 2 shown]
	v_ashrrev_i32_e32 v36 /*v292*/, 24, v135
	s_wait_dscnt 0x4
	v_dot4_i32_iu8 v0 /*v256*/, v8, v128, 0 neg_lo:[1,1,0]
	s_wait_dscnt 0x2
	s_set_vgpr_msb 4                        ;  msbs: dst=0 src0=0 src1=1 src2=0
	v_ashrrev_i32_e32 v248, 24, v3 /*v259*/
	s_set_vgpr_msb 1                        ;  msbs: dst=0 src0=1 src1=0 src2=0
	v_bfe_i32 v249, v3 /*v259*/, 16, 8
	s_wait_dscnt 0x0
	v_dual_lshrrev_b32 v252, 16, v12 :: v_dual_lshrrev_b32 v253, 16, v13
	s_set_vgpr_msb 0x50                     ;  msbs: dst=1 src0=0 src1=0 src2=1
	v_dot4_i32_iu8 v0 /*v256*/, v9, v129, v0 /*v256*/ neg_lo:[1,1,0]
	v_cvt_f32_f16_e64 v15 /*v271*/, v12
	s_set_vgpr_msb 0                        ;  msbs: dst=0 src0=0 src1=0 src2=0
	v_cvt_f32_f16_e64 v12, v171
	s_set_vgpr_msb 0x50                     ;  msbs: dst=1 src0=0 src1=0 src2=1
	v_cvt_f32_f16_e64 v17 /*v273*/, v252
	v_cvt_f32_f16_e64 v19 /*v275*/, v253
	v_dot4_i32_iu8 v0 /*v256*/, v10, v130, v0 /*v256*/ neg_lo:[1,1,0]
	s_set_vgpr_msb 0                        ;  msbs: dst=0 src0=0 src1=0 src2=0
	v_cvt_f32_f16_e32 v13, v13
	s_set_vgpr_msb 0x41                     ;  msbs: dst=1 src0=1 src1=0 src2=0
	v_bfe_i32 v37 /*v293*/, v9 /*v265*/, 0, 8
	v_bfe_i32 v39 /*v295*/, v9 /*v265*/, 16, 8
	;; [unrolled: 1-line block ×3, first 2 shown]
	s_set_vgpr_msb 0x50                     ;  msbs: dst=1 src0=0 src1=0 src2=1
	v_dot4_i32_iu8 v0 /*v256*/, v11, v131, v0 /*v256*/ neg_lo:[1,1,0]
	s_set_vgpr_msb 0x44                     ;  msbs: dst=1 src0=0 src1=1 src2=0
	v_ashrrev_i32_e32 v40 /*v296*/, 24, v9 /*v265*/
	s_set_vgpr_msb 0x50                     ;  msbs: dst=1 src0=0 src1=0 src2=1
	s_delay_alu instid0(VALU_DEP_2) | instskip(NEXT) | instid1(VALU_DEP_1)
	v_dot4_i32_iu8 v0 /*v256*/, v172, v126, v0 /*v256*/ neg_lo:[1,1,0]
	v_dot4_i32_iu8 v0 /*v256*/, v127, v173, v0 /*v256*/ neg_lo:[1,1,0]
	s_delay_alu instid0(VALU_DEP_1) | instskip(NEXT) | instid1(VALU_DEP_1)
	v_dot4_i32_iu8 v0 /*v256*/, v124, v174, v0 /*v256*/ neg_lo:[1,1,0]
	v_dot4_i32_iu8 v0 /*v256*/, v125, v175, v0 /*v256*/ neg_lo:[1,1,0]
	s_set_vgpr_msb 1                        ;  msbs: dst=0 src0=1 src1=0 src2=0
	s_delay_alu instid0(VALU_DEP_1) | instskip(SKIP_3) | instid1(VALU_DEP_2)
	v_mul_lo_u32 v170, v0 /*v256*/, v123
	s_set_vgpr_msb 64                       ;  msbs: dst=1 src0=0 src1=0 src2=0
	v_perm_b32 v0 /*v256*/, v16, v15, 0x4030201
	s_set_vgpr_msb 0                        ;  msbs: dst=0 src0=0 src1=0 src2=0
	v_cvt_f32_i32_e32 v171, v170
	v_cvt_f32_i32_e32 v170, v17
	v_dot4_i32_iu8 v17, v8, v142, 0 neg_lo:[1,1,0]
	s_set_vgpr_msb 1                        ;  msbs: dst=0 src0=1 src1=0 src2=0
	s_delay_alu instid0(VALU_DEP_2) | instskip(SKIP_1) | instid1(VALU_DEP_2)
	v_pk_fma_f32 v[252:253], v[14:15] /*v[270:271]*/, v[170:171], 0 op_sel_hi:[1,1,0]
	s_set_vgpr_msb 0                        ;  msbs: dst=0 src0=0 src1=0 src2=0
	v_dot4_i32_iu8 v17, v9, v143, v17 neg_lo:[1,1,0]
	s_set_vgpr_msb 4                        ;  msbs: dst=0 src0=0 src1=1 src2=0
	v_pk_fma_f32 v[170:171], v[122:123], v[16:17] /*v[272:273]*/, 0 op_sel_hi:[0,1,0]
	s_set_vgpr_msb 0                        ;  msbs: dst=0 src0=0 src1=0 src2=0
	s_delay_alu instid0(VALU_DEP_2) | instskip(SKIP_1) | instid1(VALU_DEP_2)
	v_dot4_i32_iu8 v17, v10, v144, v17 neg_lo:[1,1,0]
	s_set_vgpr_msb 4                        ;  msbs: dst=0 src0=0 src1=1 src2=0
	v_pk_fma_f32 v[170:171], v[132:133], v[18:19] /*v[274:275]*/, v[170:171] op_sel_hi:[0,1,1]
	s_set_vgpr_msb 0                        ;  msbs: dst=0 src0=0 src1=0 src2=0
	s_delay_alu instid0(VALU_DEP_2) | instskip(SKIP_1) | instid1(VALU_DEP_2)
	v_dot4_i32_iu8 v17, v11, v145, v17 neg_lo:[1,1,0]
	s_set_vgpr_msb 64                       ;  msbs: dst=1 src0=0 src1=0 src2=0
	v_pk_mul_f32 v[20:21] /*v[276:277]*/, v[170:171], v[112:113]
	s_set_vgpr_msb 0                        ;  msbs: dst=0 src0=0 src1=0 src2=0
	v_mul_lo_u32 v170, v251, v229
	s_set_vgpr_msb 1                        ;  msbs: dst=0 src0=1 src1=0 src2=0
	v_bfe_i32 v251, v3 /*v259*/, 0, 8
	s_set_vgpr_msb 0                        ;  msbs: dst=0 src0=0 src1=0 src2=0
	v_dot4_i32_iu8 v17, v172, v140, v17 neg_lo:[1,1,0]
	s_delay_alu instid0(VALU_DEP_1) | instskip(NEXT) | instid1(VALU_DEP_4)
	v_dot4_i32_iu8 v17, v141, v173, v17 neg_lo:[1,1,0]
	v_cvt_f32_i32_e32 v170, v170
	s_delay_alu instid0(VALU_DEP_2) | instskip(NEXT) | instid1(VALU_DEP_1)
	v_dot4_i32_iu8 v17, v138, v174, v17 neg_lo:[1,1,0]
	v_dot4_i32_iu8 v17, v139, v175, v17 neg_lo:[1,1,0]
	s_delay_alu instid0(VALU_DEP_1) | instskip(NEXT) | instid1(VALU_DEP_1)
	v_mul_lo_u32 v17, v17, v229
	v_cvt_f32_i32_e32 v171, v17
	v_dot4_i32_iu8 v17, v8, v154, 0 neg_lo:[1,1,0]
	v_dot4_i32_iu8 v8, v8, v168, 0 neg_lo:[1,1,0]
	s_set_vgpr_msb 0x41                     ;  msbs: dst=1 src0=1 src1=0 src2=0
	s_delay_alu instid0(VALU_DEP_3)
	v_pk_fma_f32 v[22:23] /*v[278:279]*/, v[14:15] /*v[270:271]*/, v[170:171], 0 op_sel_hi:[1,1,0]
	s_set_vgpr_msb 0                        ;  msbs: dst=0 src0=0 src1=0 src2=0
	v_dot4_i32_iu8 v17, v9, v155, v17 neg_lo:[1,1,0]
	s_set_vgpr_msb 4                        ;  msbs: dst=0 src0=0 src1=1 src2=0
	v_pk_fma_f32 v[170:171], v[146:147], v[16:17] /*v[272:273]*/, 0 op_sel_hi:[0,1,0]
	s_set_vgpr_msb 0                        ;  msbs: dst=0 src0=0 src1=0 src2=0
	v_dot4_i32_iu8 v8, v9, v169, v8 neg_lo:[1,1,0]
	v_dot4_i32_iu8 v17, v10, v156, v17 neg_lo:[1,1,0]
	s_set_vgpr_msb 4                        ;  msbs: dst=0 src0=0 src1=1 src2=0
	v_pk_fma_f32 v[170:171], v[148:149], v[18:19] /*v[274:275]*/, v[170:171] op_sel_hi:[0,1,1]
	s_set_vgpr_msb 0                        ;  msbs: dst=0 src0=0 src1=0 src2=0
	v_dot4_i32_iu8 v8, v10, v166, v8 neg_lo:[1,1,0]
	s_set_vgpr_msb 4                        ;  msbs: dst=0 src0=0 src1=1 src2=0
	v_lshrrev_b16 v10, 8, v3 /*v259*/
	s_set_vgpr_msb 0                        ;  msbs: dst=0 src0=0 src1=0 src2=0
	v_dot4_i32_iu8 v17, v11, v157, v17 neg_lo:[1,1,0]
	s_set_vgpr_msb 64                       ;  msbs: dst=1 src0=0 src1=0 src2=0
	v_pk_mul_f32 v[24:25] /*v[280:281]*/, v[170:171], v[114:115]
	s_set_vgpr_msb 0                        ;  msbs: dst=0 src0=0 src1=0 src2=0
	v_mul_lo_u32 v170, v254, v238
	v_dot4_i32_iu8 v8, v11, v167, v8 neg_lo:[1,1,0]
	s_set_vgpr_msb 1                        ;  msbs: dst=0 src0=1 src1=0 src2=0
	v_bfe_i32 v11, v2 /*v258*/, 0, 8
	s_set_vgpr_msb 0                        ;  msbs: dst=0 src0=0 src1=0 src2=0
	v_dot4_i32_iu8 v17, v172, v152, v17 neg_lo:[1,1,0]
	v_bfe_i32 v10, v10, 0, 8
	v_dot4_i32_iu8 v8, v172, v164, v8 neg_lo:[1,1,0]
	s_set_vgpr_msb 5                        ;  msbs: dst=0 src0=1 src1=1 src2=0
	v_perm_b32 v172, v2 /*v258*/, v2 /*v258*/, 0xc0c0201
	s_set_vgpr_msb 0                        ;  msbs: dst=0 src0=0 src1=0 src2=0
	v_dot4_i32_iu8 v17, v153, v173, v17 neg_lo:[1,1,0]
	v_cvt_f32_i32_e32 v170, v170
	v_dot4_i32_iu8 v8, v165, v173, v8 neg_lo:[1,1,0]
	s_delay_alu instid0(VALU_DEP_3) | instskip(SKIP_1) | instid1(VALU_DEP_3)
	v_dot4_i32_iu8 v17, v150, v174, v17 neg_lo:[1,1,0]
	v_mul_i32_i24_e32 v173, v11, v230
	v_dot4_i32_iu8 v8, v162, v174, v8 neg_lo:[1,1,0]
	s_delay_alu instid0(VALU_DEP_3) | instskip(NEXT) | instid1(VALU_DEP_3)
	v_dot4_i32_iu8 v17, v151, v175, v17 neg_lo:[1,1,0]
	v_dot4_i32_iu8 v173, v172, v231, v173 neg_lo:[1,1,0]
	s_delay_alu instid0(VALU_DEP_3) | instskip(NEXT) | instid1(VALU_DEP_3)
	v_dot4_i32_iu8 v8, v163, v175, v8 neg_lo:[1,1,0]
	v_mul_lo_u32 v17, v17, v238
	s_delay_alu instid0(VALU_DEP_1) | instskip(SKIP_3) | instid1(VALU_DEP_3)
	v_cvt_f32_i32_e32 v171, v17
	v_mul_i32_i24_e32 v17, v11, v221
	v_mul_i32_i24_e32 v11, v11, v239
	s_set_vgpr_msb 0x41                     ;  msbs: dst=1 src0=1 src1=0 src2=0
	v_pk_fma_f32 v[26:27] /*v[282:283]*/, v[14:15] /*v[270:271]*/, v[170:171], 0 op_sel_hi:[1,1,0]
	s_set_vgpr_msb 4                        ;  msbs: dst=0 src0=0 src1=1 src2=0
	v_pk_fma_f32 v[170:171], v[158:159], v[16:17] /*v[272:273]*/, 0 op_sel_hi:[0,1,0]
	s_set_vgpr_msb 0                        ;  msbs: dst=0 src0=0 src1=0 src2=0
	v_dot4_i32_iu8 v17, v172, v222, v17 neg_lo:[1,1,0]
	v_dot4_i32_iu8 v11, v172, v240, v11 neg_lo:[1,1,0]
	s_set_vgpr_msb 4                        ;  msbs: dst=0 src0=0 src1=1 src2=0
	v_pk_fma_f32 v[170:171], v[160:161], v[18:19] /*v[274:275]*/, v[170:171] op_sel_hi:[0,1,1]
	s_set_vgpr_msb 64                       ;  msbs: dst=1 src0=0 src1=0 src2=0
	s_delay_alu instid0(VALU_DEP_1)
	v_pk_mul_f32 v[28:29] /*v[284:285]*/, v[170:171], v[116:117]
	s_set_vgpr_msb 0                        ;  msbs: dst=0 src0=0 src1=0 src2=0
	ds_load_2addr_b32 v[170:171], v255 offset0:8 offset1:9
	s_wait_dscnt 0x0
	v_dot4_i32_iu8 v4, v170, v4, 0 neg_lo:[1,1,0]
	v_ashrrev_i32_e32 v172, 24, v171
	v_lshrrev_b16 v9, 8, v171
	v_bfe_i32 v174, v171, 16, 8
	v_bfe_i32 v175, v171, 0, 8
	v_dot4_i32_iu8 v4, v171, v5, v4 neg_lo:[1,1,0]
	s_set_vgpr_msb 5                        ;  msbs: dst=0 src0=1 src1=1 src2=0
	v_perm_b32 v5, v3 /*v259*/, v2 /*v258*/, 0x6050403
	s_set_vgpr_msb 64                       ;  msbs: dst=1 src0=0 src1=0 src2=0
	v_mul_i32_i24_e32 v41 /*v297*/, v248, v172
	s_set_vgpr_msb 0                        ;  msbs: dst=0 src0=0 src1=0 src2=0
	v_bfe_i32 v9, v9, 0, 8
	s_set_vgpr_msb 5                        ;  msbs: dst=0 src0=1 src1=1 src2=0
	v_perm_b32 v248, v11 /*v267*/, v10 /*v266*/, 0x4030201
	s_set_vgpr_msb 0                        ;  msbs: dst=0 src0=0 src1=0 src2=0
	v_dot4_i32_iu8 v254, v5, v233, v173 neg_lo:[1,1,0]
	ds_load_2addr_b32 v[172:173], v255 offset0:10 offset1:11
	v_dot4_i32_iu8 v17, v5, v224, v17 neg_lo:[1,1,0]
	v_dot4_i32_iu8 v5, v5, v242, v11 neg_lo:[1,1,0]
	v_mul_i32_i24_e32 v9, v10, v9
	v_mul_i32_i24_e32 v10, v249, v174
	;; [unrolled: 1-line block ×3, first 2 shown]
	v_perm_b32 v251, v19, v18, 0x4030201
	s_set_vgpr_msb 5                        ;  msbs: dst=0 src0=1 src1=1 src2=0
	v_perm_b32 v249, v31 /*v287*/, v12 /*v268*/, 0x4030201
	s_wait_dscnt 0x0
	s_set_vgpr_msb 0                        ;  msbs: dst=0 src0=0 src1=0 src2=0
	v_dot4_i32_iu8 v4, v172, v6, v4 neg_lo:[1,1,0]
	s_set_vgpr_msb 5                        ;  msbs: dst=0 src0=1 src1=1 src2=0
	v_perm_b32 v6, v4 /*v260*/, v3 /*v259*/, 0x6050403
	s_set_vgpr_msb 0                        ;  msbs: dst=0 src0=0 src1=0 src2=0
	s_delay_alu instid0(VALU_DEP_2) | instskip(NEXT) | instid1(VALU_DEP_2)
	v_dot4_i32_iu8 v4, v173, v7, v4 neg_lo:[1,1,0]
	v_dot4_i32_iu8 v17, v6, v225, v17 neg_lo:[1,1,0]
	;; [unrolled: 1-line block ×4, first 2 shown]
	s_set_vgpr_msb 5                        ;  msbs: dst=0 src0=1 src1=1 src2=0
	v_perm_b32 v6, v5 /*v261*/, v4 /*v260*/, 0x6050403
	s_set_vgpr_msb 0                        ;  msbs: dst=0 src0=0 src1=0 src2=0
	v_perm_b32 v254, v250, v16, 0x4030201
	s_delay_alu instid0(VALU_DEP_2)
	v_dot4_i32_iu8 v7, v6, v226, v17 neg_lo:[1,1,0]
	v_dot4_i32_iu8 v17, v6, v235, v174 neg_lo:[1,1,0]
	ds_load_2addr_b32 v[174:175], v255 offset0:12 offset1:13
	v_dot4_i32_iu8 v5, v6, v244, v5 neg_lo:[1,1,0]
	s_set_vgpr_msb 4                        ;  msbs: dst=0 src0=0 src1=1 src2=0
	v_ashrrev_i32_e32 v6, 24, v6 /*v262*/
	s_set_vgpr_msb 0                        ;  msbs: dst=0 src0=0 src1=0 src2=0
	v_perm_b32 v255, v15, v14, 0x4030201
	s_set_vgpr_msb 5                        ;  msbs: dst=0 src0=1 src1=1 src2=0
	v_perm_b32 v14, v8 /*v264*/, v7 /*v263*/, 0x7030c0c
	s_wait_dscnt 0x0
	s_set_vgpr_msb 0                        ;  msbs: dst=0 src0=0 src1=0 src2=0
	v_dot4_i32_iu8 v0, v174, v0, v4 neg_lo:[1,1,0]
	s_set_vgpr_msb 5                        ;  msbs: dst=0 src0=1 src1=1 src2=0
	v_perm_b32 v4, v6 /*v262*/, v5 /*v261*/, 0x6050403
	s_set_vgpr_msb 0                        ;  msbs: dst=0 src0=0 src1=0 src2=0
	s_delay_alu instid0(VALU_DEP_2) | instskip(NEXT) | instid1(VALU_DEP_2)
	v_dot4_i32_iu8 v0, v175, v1, v0 neg_lo:[1,1,0]
	v_dot4_i32_iu8 v7, v4, v227, v7 neg_lo:[1,1,0]
	;; [unrolled: 1-line block ×4, first 2 shown]
	s_delay_alu instid0(VALU_DEP_4) | instskip(NEXT) | instid1(VALU_DEP_4)
	v_dot4_i32_iu8 v2, v134, v2, v0 neg_lo:[1,1,0]
	v_mad_i32_i24 v7, v6, v147, v7
	s_delay_alu instid0(VALU_DEP_4) | instskip(NEXT) | instid1(VALU_DEP_4)
	v_mad_i32_i24 v17, v6, v232, v17
	v_mad_i32_i24 v4, v6, v241, v4
	v_perm_b32 v6, v3, v3, 0xc030201
	v_dot4_i32_iu8 v2, v135, v3, v2 neg_lo:[1,1,0]
	s_set_vgpr_msb 1                        ;  msbs: dst=0 src0=1 src1=0 src2=0
	v_dot4_i32_iu8 v1, v7 /*v263*/, v255, v7 neg_lo:[1,1,0]
	v_dot4_i32_iu8 v5, v7 /*v263*/, v251, v17 neg_lo:[1,1,0]
	;; [unrolled: 1-line block ×3, first 2 shown]
	s_set_vgpr_msb 0                        ;  msbs: dst=0 src0=0 src1=0 src2=0
	v_mul_lo_u32 v2, v2, v228
	s_set_vgpr_msb 5                        ;  msbs: dst=0 src0=1 src1=1 src2=0
	v_dot4_i32_iu8 v0, v8 /*v264*/, v0 /*v256*/, v1 neg_lo:[1,1,0]
	s_set_vgpr_msb 0                        ;  msbs: dst=0 src0=0 src1=0 src2=0
	v_perm_b32 v1, v250, v16, 0xc040302
	s_set_vgpr_msb 5                        ;  msbs: dst=0 src0=1 src1=1 src2=0
	v_perm_b32 v250, v12 /*v268*/, v11 /*v267*/, 0x4030201
	s_set_vgpr_msb 1                        ;  msbs: dst=0 src0=1 src1=0 src2=0
	v_dot4_i32_iu8 v0, v9 /*v265*/, v254, v0 neg_lo:[1,1,0]
	s_set_vgpr_msb 16                       ;  msbs: dst=0 src0=0 src1=0 src2=1
	v_dot4_i32_iu8 v1, v1, v6, v1 /*v257*/ neg_lo:[1,1,0]
	s_delay_alu instid0(VALU_DEP_2) | instskip(NEXT) | instid1(VALU_DEP_2)
	v_mul_lo_u32 v0, v0, v223
	v_mul_lo_u32 v7, v1, v223
	v_cvt_f32_i32_e32 v2, v2
	s_delay_alu instid0(VALU_DEP_3) | instskip(NEXT) | instid1(VALU_DEP_3)
	v_cvt_f32_i32_e32 v1, v0
	v_cvt_f32_i32_e32 v0, v7
	s_set_vgpr_msb 5                        ;  msbs: dst=0 src0=1 src1=1 src2=0
	v_perm_b32 v7, v4 /*v260*/, v2 /*v258*/, 0xc0c0602
	s_set_vgpr_msb 0                        ;  msbs: dst=0 src0=0 src1=0 src2=0
	s_delay_alu instid0(VALU_DEP_2)
	v_pk_fma_f32 v[0:1], v[12:13], v[0:1], v[252:253]
	v_perm_b32 v253, v20, v19, 0x4030201
	s_set_vgpr_msb 1                        ;  msbs: dst=0 src0=1 src1=0 src2=0
	v_perm_b32 v252, v13 /*v269*/, v20, 0x4030201
	s_set_vgpr_msb 16                       ;  msbs: dst=0 src0=0 src1=0 src2=1
	v_pk_fma_f32 v[0:1], v[0:1], v[22:23], v[20:21] /*v[276:277]*/ neg_lo:[0,0,1] neg_hi:[0,0,1]
	s_delay_alu instid0(VALU_DEP_1) | instskip(SKIP_3) | instid1(VALU_DEP_2)
	v_pk_add_f32 v[88:89], v[88:89], v[0:1]
	s_set_vgpr_msb 1                        ;  msbs: dst=0 src0=1 src1=0 src2=0
	v_dot4_i32_iu8 v0, v8 /*v264*/, v253, v5 neg_lo:[1,1,0]
	v_perm_b32 v1, v13 /*v269*/, v20, 0xc040302
	v_dot4_i32_iu8 v0, v9 /*v265*/, v252, v0 neg_lo:[1,1,0]
	s_set_vgpr_msb 16                       ;  msbs: dst=0 src0=0 src1=0 src2=1
	s_delay_alu instid0(VALU_DEP_2) | instskip(NEXT) | instid1(VALU_DEP_2)
	v_dot4_i32_iu8 v1, v1, v6, v30 /*v286*/ neg_lo:[1,1,0]
	v_mul_lo_u32 v0, v0, v236
	s_delay_alu instid0(VALU_DEP_2) | instskip(NEXT) | instid1(VALU_DEP_2)
	v_mul_lo_u32 v5, v1, v236
	v_cvt_f32_i32_e32 v1, v0
	s_delay_alu instid0(VALU_DEP_2) | instskip(SKIP_3) | instid1(VALU_DEP_2)
	v_cvt_f32_i32_e32 v0, v5
	s_set_vgpr_msb 5                        ;  msbs: dst=0 src0=1 src1=1 src2=0
	v_perm_b32 v5, v4 /*v260*/, v2 /*v258*/, 0xc0c0400
	s_set_vgpr_msb 16                       ;  msbs: dst=0 src0=0 src1=0 src2=1
	v_pk_fma_f32 v[0:1], v[12:13], v[0:1], v[22:23] /*v[278:279]*/
	s_delay_alu instid0(VALU_DEP_1) | instskip(NEXT) | instid1(VALU_DEP_1)
	v_pk_fma_f32 v[0:1], v[0:1], v[24:25], v[24:25] /*v[280:281]*/ neg_lo:[0,0,1] neg_hi:[0,0,1]
	v_pk_add_f32 v[98:99], v[98:99], v[0:1]
	s_set_vgpr_msb 1                        ;  msbs: dst=0 src0=1 src1=0 src2=0
	v_dot4_i32_iu8 v0, v8 /*v264*/, v250, v4 neg_lo:[1,1,0]
	s_set_vgpr_msb 5                        ;  msbs: dst=0 src0=1 src1=1 src2=0
	v_perm_b32 v1, v31 /*v287*/, v12 /*v268*/, 0xc040302
	s_set_vgpr_msb 1                        ;  msbs: dst=0 src0=1 src1=0 src2=0
	s_delay_alu instid0(VALU_DEP_2) | instskip(SKIP_1) | instid1(VALU_DEP_2)
	v_dot4_i32_iu8 v0, v9 /*v265*/, v249, v0 neg_lo:[1,1,0]
	s_set_vgpr_msb 0                        ;  msbs: dst=0 src0=0 src1=0 src2=0
	v_dot4_i32_iu8 v1, v1, v6, v21 neg_lo:[1,1,0]
	s_set_vgpr_msb 5                        ;  msbs: dst=0 src0=1 src1=1 src2=0
	v_mul_i32_i24_e32 v6, v40 /*v296*/, v36 /*v292*/
	s_set_vgpr_msb 16                       ;  msbs: dst=0 src0=0 src1=0 src2=1
	v_mul_lo_u32 v0, v0, v245
	v_mul_lo_u32 v4, v1, v245
	s_delay_alu instid0(VALU_DEP_2) | instskip(NEXT) | instid1(VALU_DEP_2)
	v_cvt_f32_i32_e32 v1, v0
	v_cvt_f32_i32_e32 v0, v4
	v_perm_b32 v4, v172, v170, 0xc0c0400
	s_delay_alu instid0(VALU_DEP_2) | instskip(SKIP_1) | instid1(VALU_DEP_2)
	v_pk_fma_f32 v[0:1], v[12:13], v[0:1], v[26:27] /*v[282:283]*/
	s_set_vgpr_msb 0                        ;  msbs: dst=0 src0=0 src1=0 src2=0
	v_dot4_i32_iu8 v4, v5, v4, v11 neg_lo:[1,1,0]
	v_perm_b32 v5, v172, v170, 0xc0c0602
	v_perm_b32 v11, v134, v175, 0x7030c0c
	s_set_vgpr_msb 16                       ;  msbs: dst=0 src0=0 src1=0 src2=1
	v_pk_fma_f32 v[0:1], v[0:1], v[26:27], v[28:29] /*v[284:285]*/ neg_lo:[0,0,1] neg_hi:[0,0,1]
	s_set_vgpr_msb 0                        ;  msbs: dst=0 src0=0 src1=0 src2=0
	v_dot4_i32_iu8 v5, v7, v5, v10 neg_lo:[1,1,0]
	v_perm_b32 v7, v172, v170, 0xc0c0501
	s_set_vgpr_msb 5                        ;  msbs: dst=0 src0=1 src1=1 src2=0
	v_perm_b32 v10, v4 /*v260*/, v2 /*v258*/, 0xc0c0501
	s_set_vgpr_msb 0                        ;  msbs: dst=0 src0=0 src1=0 src2=0
	v_pk_add_f32 v[104:105], v[104:105], v[0:1]
	s_set_vgpr_msb 5                        ;  msbs: dst=0 src0=1 src1=1 src2=0
	v_mul_i32_i24_e32 v0, v37 /*v293*/, v33 /*v289*/
	v_mul_i32_i24_e32 v1, v39 /*v295*/, v35 /*v291*/
	s_set_vgpr_msb 0                        ;  msbs: dst=0 src0=0 src1=0 src2=0
	v_dot4_i32_iu8 v7, v10, v7, v9 neg_lo:[1,1,0]
	v_perm_b32 v9, v172, v170, 0xc0c0703
	s_set_vgpr_msb 5                        ;  msbs: dst=0 src0=1 src1=1 src2=0
	v_perm_b32 v10, v4 /*v260*/, v2 /*v258*/, 0xc0c0703
	s_set_vgpr_msb 16                       ;  msbs: dst=0 src0=0 src1=0 src2=1
	s_delay_alu instid0(VALU_DEP_1) | instskip(SKIP_1) | instid1(VALU_DEP_1)
	v_dot4_i32_iu8 v9, v10, v9, v41 /*v297*/ neg_lo:[1,1,0]
	v_perm_b32 v10, v174, v173, 0xc0c0703
	v_or_b32_e32 v10, v11, v10
	s_set_vgpr_msb 5                        ;  msbs: dst=0 src0=1 src1=1 src2=0
	v_perm_b32 v11, v6 /*v262*/, v5 /*v261*/, 0xc0c0703
	s_set_vgpr_msb 0                        ;  msbs: dst=0 src0=0 src1=0 src2=0
	s_delay_alu instid0(VALU_DEP_1) | instskip(SKIP_3) | instid1(VALU_DEP_2)
	v_or_b32_e32 v11, v14, v11
	s_set_vgpr_msb 5                        ;  msbs: dst=0 src0=1 src1=1 src2=0
	v_perm_b32 v14, v8 /*v264*/, v7 /*v263*/, 0x5010c0c
	s_set_vgpr_msb 0                        ;  msbs: dst=0 src0=0 src1=0 src2=0
	v_dot4_i32_iu8 v9, v11, v10, v9 neg_lo:[1,1,0]
	v_perm_b32 v10, v174, v173, 0xc0c0501
	v_perm_b32 v11, v134, v175, 0x5010c0c
	s_delay_alu instid0(VALU_DEP_1) | instskip(SKIP_3) | instid1(VALU_DEP_1)
	v_or_b32_e32 v10, v11, v10
	s_set_vgpr_msb 5                        ;  msbs: dst=0 src0=1 src1=1 src2=0
	v_perm_b32 v11, v6 /*v262*/, v5 /*v261*/, 0xc0c0501
	s_set_vgpr_msb 0                        ;  msbs: dst=0 src0=0 src1=0 src2=0
	v_or_b32_e32 v11, v14, v11
	s_set_vgpr_msb 5                        ;  msbs: dst=0 src0=1 src1=1 src2=0
	v_perm_b32 v14, v8 /*v264*/, v7 /*v263*/, 0x6020c0c
	s_set_vgpr_msb 0                        ;  msbs: dst=0 src0=0 src1=0 src2=0
	s_delay_alu instid0(VALU_DEP_2) | instskip(SKIP_2) | instid1(VALU_DEP_1)
	v_dot4_i32_iu8 v7, v11, v10, v7 neg_lo:[1,1,0]
	v_perm_b32 v10, v174, v173, 0xc0c0602
	v_perm_b32 v11, v134, v175, 0x6020c0c
	v_or_b32_e32 v10, v11, v10
	s_set_vgpr_msb 5                        ;  msbs: dst=0 src0=1 src1=1 src2=0
	v_perm_b32 v11, v6 /*v262*/, v5 /*v261*/, 0xc0c0602
	s_set_vgpr_msb 0                        ;  msbs: dst=0 src0=0 src1=0 src2=0
	s_delay_alu instid0(VALU_DEP_1) | instskip(SKIP_3) | instid1(VALU_DEP_2)
	v_or_b32_e32 v11, v14, v11
	s_set_vgpr_msb 5                        ;  msbs: dst=0 src0=1 src1=1 src2=0
	v_perm_b32 v14, v8 /*v264*/, v7 /*v263*/, 0x4000c0c
	s_set_vgpr_msb 0                        ;  msbs: dst=0 src0=0 src1=0 src2=0
	v_dot4_i32_iu8 v5, v11, v10, v5 neg_lo:[1,1,0]
	v_perm_b32 v10, v174, v173, 0xc0c0400
	v_perm_b32 v11, v134, v175, 0x4000c0c
	s_delay_alu instid0(VALU_DEP_1) | instskip(SKIP_3) | instid1(VALU_DEP_1)
	v_or_b32_e32 v10, v11, v10
	s_set_vgpr_msb 5                        ;  msbs: dst=0 src0=1 src1=1 src2=0
	v_perm_b32 v11, v6 /*v262*/, v5 /*v261*/, 0xc0c0400
	s_set_vgpr_msb 0                        ;  msbs: dst=0 src0=0 src1=0 src2=0
	v_or_b32_e32 v11, v14, v11
	s_delay_alu instid0(VALU_DEP_1) | instskip(NEXT) | instid1(VALU_DEP_1)
	v_dot4_i32_iu8 v4, v11, v10, v4 neg_lo:[1,1,0]
	v_add_nc_u32_e32 v4, v4, v5
	v_add_nc_u32_e32 v5, v7, v9
	s_set_vgpr_msb 5                        ;  msbs: dst=0 src0=1 src1=1 src2=0
	v_mad_i32_i24 v9, v38 /*v294*/, v34 /*v290*/, v1
	s_set_vgpr_msb 0                        ;  msbs: dst=0 src0=0 src1=0 src2=0
	v_mul_lo_u32 v1, v8, v247
	v_add3_u32 v7, v4, v5, v0
	s_set_vgpr_msb 1                        ;  msbs: dst=0 src0=1 src1=0 src2=0
	v_mul_lo_u32 v0, v32 /*v288*/, v247
	s_set_vgpr_msb 4                        ;  msbs: dst=0 src0=0 src1=1 src2=0
	v_pk_fma_f32 v[4:5], v[136:137], v[16:17] /*v[272:273]*/, 0 op_sel_hi:[0,1,0]
	s_set_vgpr_msb 0                        ;  msbs: dst=0 src0=0 src1=0 src2=0
	v_add3_u32 v6, v7, v9, v6
	v_cvt_f32_i32_e32 v1, v1
	s_delay_alu instid0(VALU_DEP_2) | instskip(SKIP_2) | instid1(VALU_DEP_1)
	v_mul_lo_u32 v3, v6, v228
	v_cvt_f32_i32_e32 v0, v0
	s_set_vgpr_msb 1                        ;  msbs: dst=0 src0=1 src1=0 src2=0
	v_pk_fma_f32 v[0:1], v[14:15] /*v[270:271]*/, v[0:1], 0 op_sel_hi:[1,1,0]
	s_set_vgpr_msb 0                        ;  msbs: dst=0 src0=0 src1=0 src2=0
	s_delay_alu instid0(VALU_DEP_3) | instskip(NEXT) | instid1(VALU_DEP_1)
	v_cvt_f32_i32_e32 v3, v3
	v_pk_fma_f32 v[0:1], v[12:13], v[2:3], v[0:1]
	s_set_vgpr_msb 4                        ;  msbs: dst=0 src0=0 src1=1 src2=0
	v_pk_fma_f32 v[2:3], v[120:121], v[18:19] /*v[274:275]*/, v[4:5] op_sel_hi:[0,1,1]
	s_set_vgpr_msb 0                        ;  msbs: dst=0 src0=0 src1=0 src2=0
	s_delay_alu instid0(VALU_DEP_1) | instskip(NEXT) | instid1(VALU_DEP_1)
	v_pk_mul_f32 v[2:3], v[2:3], v[118:119]
	v_pk_fma_f32 v[0:1], v[0:1], v[110:111], v[2:3] neg_lo:[0,0,1] neg_hi:[0,0,1]
	s_delay_alu instid0(VALU_DEP_1) | instskip(SKIP_1) | instid1(VALU_DEP_1)
	v_pk_add_f32 v[108:109], v[108:109], v[0:1]
	v_or_b32_e32 v0, s7, v201
	v_dual_lshlrev_b32 v12, 2, v0 :: v_dual_lshrrev_b32 v16, 1, v0
	ds_load_b128 v[0:3], v12 offset:33280
	ds_load_b128 v[4:7], v12 offset:33296
	;; [unrolled: 1-line block ×4, first 2 shown]
	ds_load_b64 v[20:21], v16 offset:43584
	s_wait_dscnt 0x4
	v_dot4_i32_iu8 v18, v0, v128, 0 neg_lo:[1,1,0]
	s_wait_dscnt 0x2
	v_bfe_i32 v16, v8, 0, 8
	v_perm_b32 v19, v8, v8, 0xc0c0201
	s_set_vgpr_msb 64                       ;  msbs: dst=1 src0=0 src1=0 src2=0
	v_perm_b32 v2 /*v258*/, v9, v8, 0x6050403
	s_set_vgpr_msb 0                        ;  msbs: dst=0 src0=0 src1=0 src2=0
	v_dot4_i32_iu8 v18, v1, v129, v18 neg_lo:[1,1,0]
	s_set_vgpr_msb 64                       ;  msbs: dst=1 src0=0 src1=0 src2=0
	v_perm_b32 v3 /*v259*/, v10, v9, 0x6050403
	v_perm_b32 v4 /*v260*/, v11, v10, 0x6050403
	s_wait_dscnt 0x1
	v_perm_b32 v5 /*v261*/, v12, v11, 0x6050403
	s_set_vgpr_msb 0                        ;  msbs: dst=0 src0=0 src1=0 src2=0
	v_ashrrev_i32_e32 v17, 24, v12
	v_dot4_i32_iu8 v18, v2, v130, v18 neg_lo:[1,1,0]
	s_wait_dscnt 0x0
	s_set_vgpr_msb 64                       ;  msbs: dst=1 src0=0 src1=0 src2=0
	v_lshrrev_b32_e32 v1 /*v257*/, 16, v20
	s_set_vgpr_msb 0                        ;  msbs: dst=0 src0=0 src1=0 src2=0
	v_dot4_i32_iu8 v18, v3, v131, v18 neg_lo:[1,1,0]
	s_delay_alu instid0(VALU_DEP_1) | instskip(NEXT) | instid1(VALU_DEP_1)
	v_dot4_i32_iu8 v18, v4, v126, v18 neg_lo:[1,1,0]
	v_dot4_i32_iu8 v18, v127, v5, v18 neg_lo:[1,1,0]
	s_delay_alu instid0(VALU_DEP_1) | instskip(SKIP_1) | instid1(VALU_DEP_1)
	v_dot4_i32_iu8 v18, v124, v6, v18 neg_lo:[1,1,0]
	s_set_vgpr_msb 64                       ;  msbs: dst=1 src0=0 src1=0 src2=0
	v_dot4_i32_iu8 v7 /*v263*/, v125, v7, v18 neg_lo:[1,1,0]
	s_set_vgpr_msb 0                        ;  msbs: dst=0 src0=0 src1=0 src2=0
	v_mul_i32_i24_e32 v18, v16, v221
	s_delay_alu instid0(VALU_DEP_1) | instskip(SKIP_1) | instid1(VALU_DEP_1)
	v_dot4_i32_iu8 v18, v19, v222, v18 neg_lo:[1,1,0]
	s_set_vgpr_msb 1                        ;  msbs: dst=0 src0=1 src1=0 src2=0
	v_dot4_i32_iu8 v18, v2 /*v258*/, v224, v18 neg_lo:[1,1,0]
	s_delay_alu instid0(VALU_DEP_1) | instskip(NEXT) | instid1(VALU_DEP_1)
	v_dot4_i32_iu8 v18, v3 /*v259*/, v225, v18 neg_lo:[1,1,0]
	v_dot4_i32_iu8 v18, v4 /*v260*/, v226, v18 neg_lo:[1,1,0]
	s_delay_alu instid0(VALU_DEP_1) | instskip(SKIP_1) | instid1(VALU_DEP_1)
	v_dot4_i32_iu8 v18, v5 /*v261*/, v227, v18 neg_lo:[1,1,0]
	s_set_vgpr_msb 0                        ;  msbs: dst=0 src0=0 src1=0 src2=0
	v_mad_i32_i24 v18, v147, v17, v18
	s_delay_alu instid0(VALU_DEP_1) | instskip(SKIP_1) | instid1(VALU_DEP_1)
	v_dot4_i32_iu8 v18, v255, v13, v18 neg_lo:[1,1,0]
	s_set_vgpr_msb 0x41                     ;  msbs: dst=1 src0=1 src1=0 src2=0
	v_dot4_i32_iu8 v10 /*v266*/, v0 /*v256*/, v14, v18 neg_lo:[1,1,0]
	s_set_vgpr_msb 0                        ;  msbs: dst=0 src0=0 src1=0 src2=0
	v_dot4_i32_iu8 v18, v0, v142, 0 neg_lo:[1,1,0]
	s_set_vgpr_msb 0x50                     ;  msbs: dst=1 src0=0 src1=0 src2=1
	s_delay_alu instid0(VALU_DEP_2) | instskip(SKIP_1) | instid1(VALU_DEP_2)
	v_dot4_i32_iu8 v10 /*v266*/, v15, v254, v10 /*v266*/ neg_lo:[1,1,0]
	s_set_vgpr_msb 0                        ;  msbs: dst=0 src0=0 src1=0 src2=0
	v_dot4_i32_iu8 v18, v1, v143, v18 neg_lo:[1,1,0]
	s_set_vgpr_msb 0x41                     ;  msbs: dst=1 src0=1 src1=0 src2=0
	s_delay_alu instid0(VALU_DEP_2) | instskip(SKIP_1) | instid1(VALU_DEP_2)
	v_mul_lo_u32 v10 /*v266*/, v10 /*v266*/, v223
	s_set_vgpr_msb 0                        ;  msbs: dst=0 src0=0 src1=0 src2=0
	v_dot4_i32_iu8 v18, v2, v144, v18 neg_lo:[1,1,0]
	s_delay_alu instid0(VALU_DEP_1) | instskip(NEXT) | instid1(VALU_DEP_1)
	v_dot4_i32_iu8 v18, v3, v145, v18 neg_lo:[1,1,0]
	v_dot4_i32_iu8 v18, v4, v140, v18 neg_lo:[1,1,0]
	s_set_vgpr_msb 0x41                     ;  msbs: dst=1 src0=1 src1=0 src2=0
	s_delay_alu instid0(VALU_DEP_4) | instskip(SKIP_1) | instid1(VALU_DEP_2)
	v_cvt_f32_i32_e32 v10 /*v266*/, v10 /*v266*/
	s_set_vgpr_msb 0                        ;  msbs: dst=0 src0=0 src1=0 src2=0
	v_dot4_i32_iu8 v18, v141, v5, v18 neg_lo:[1,1,0]
	s_delay_alu instid0(VALU_DEP_1) | instskip(SKIP_1) | instid1(VALU_DEP_1)
	v_dot4_i32_iu8 v18, v138, v6, v18 neg_lo:[1,1,0]
	s_set_vgpr_msb 64                       ;  msbs: dst=1 src0=0 src1=0 src2=0
	v_dot4_i32_iu8 v12 /*v268*/, v139, v7, v18 neg_lo:[1,1,0]
	s_set_vgpr_msb 0                        ;  msbs: dst=0 src0=0 src1=0 src2=0
	v_mul_i32_i24_e32 v18, v16, v230
	v_mul_i32_i24_e32 v16, v16, v239
	s_delay_alu instid0(VALU_DEP_2) | instskip(NEXT) | instid1(VALU_DEP_2)
	v_dot4_i32_iu8 v18, v19, v231, v18 neg_lo:[1,1,0]
	v_dot4_i32_iu8 v16, v19, v240, v16 neg_lo:[1,1,0]
	s_set_vgpr_msb 1                        ;  msbs: dst=0 src0=1 src1=0 src2=0
	s_delay_alu instid0(VALU_DEP_2) | instskip(NEXT) | instid1(VALU_DEP_2)
	v_dot4_i32_iu8 v18, v2 /*v258*/, v233, v18 neg_lo:[1,1,0]
	v_dot4_i32_iu8 v16, v2 /*v258*/, v242, v16 neg_lo:[1,1,0]
	s_delay_alu instid0(VALU_DEP_2) | instskip(NEXT) | instid1(VALU_DEP_2)
	v_dot4_i32_iu8 v18, v3 /*v259*/, v234, v18 neg_lo:[1,1,0]
	v_dot4_i32_iu8 v16, v3 /*v259*/, v243, v16 neg_lo:[1,1,0]
	;; [unrolled: 3-line block ×4, first 2 shown]
	s_set_vgpr_msb 0                        ;  msbs: dst=0 src0=0 src1=0 src2=0
	s_delay_alu instid0(VALU_DEP_2) | instskip(NEXT) | instid1(VALU_DEP_2)
	v_mad_i32_i24 v18, v232, v17, v18
	v_mad_i32_i24 v16, v241, v17, v16
	s_delay_alu instid0(VALU_DEP_2) | instskip(NEXT) | instid1(VALU_DEP_2)
	v_dot4_i32_iu8 v18, v251, v13, v18 neg_lo:[1,1,0]
	v_dot4_i32_iu8 v16, v248, v13, v16 neg_lo:[1,1,0]
	s_set_vgpr_msb 64                       ;  msbs: dst=1 src0=0 src1=0 src2=0
	s_delay_alu instid0(VALU_DEP_2)
	v_dot4_i32_iu8 v13 /*v269*/, v253, v14, v18 neg_lo:[1,1,0]
	s_set_vgpr_msb 0                        ;  msbs: dst=0 src0=0 src1=0 src2=0
	v_dot4_i32_iu8 v18, v0, v154, 0 neg_lo:[1,1,0]
	v_dot4_i32_iu8 v0, v0, v168, 0 neg_lo:[1,1,0]
	s_set_vgpr_msb 64                       ;  msbs: dst=1 src0=0 src1=0 src2=0
	v_dot4_i32_iu8 v15 /*v271*/, v250, v14, v16 neg_lo:[1,1,0]
	s_set_vgpr_msb 0                        ;  msbs: dst=0 src0=0 src1=0 src2=0
	v_dot4_i32_iu8 v18, v1, v155, v18 neg_lo:[1,1,0]
	v_dot4_i32_iu8 v0, v1, v169, v0 neg_lo:[1,1,0]
	s_delay_alu instid0(VALU_DEP_2) | instskip(NEXT) | instid1(VALU_DEP_2)
	v_dot4_i32_iu8 v18, v2, v156, v18 neg_lo:[1,1,0]
	v_dot4_i32_iu8 v0, v2, v166, v0 neg_lo:[1,1,0]
	s_delay_alu instid0(VALU_DEP_2) | instskip(NEXT) | instid1(VALU_DEP_2)
	v_dot4_i32_iu8 v18, v3, v157, v18 neg_lo:[1,1,0]
	v_dot4_i32_iu8 v0, v3, v167, v0 neg_lo:[1,1,0]
	s_delay_alu instid0(VALU_DEP_2) | instskip(NEXT) | instid1(VALU_DEP_2)
	v_dot4_i32_iu8 v18, v4, v152, v18 neg_lo:[1,1,0]
	v_dot4_i32_iu8 v0, v4, v164, v0 neg_lo:[1,1,0]
	s_delay_alu instid0(VALU_DEP_2) | instskip(NEXT) | instid1(VALU_DEP_2)
	v_dot4_i32_iu8 v18, v153, v5, v18 neg_lo:[1,1,0]
	v_dot4_i32_iu8 v0, v165, v5, v0 neg_lo:[1,1,0]
	s_delay_alu instid0(VALU_DEP_2) | instskip(NEXT) | instid1(VALU_DEP_2)
	v_dot4_i32_iu8 v18, v150, v6, v18 neg_lo:[1,1,0]
	v_dot4_i32_iu8 v0, v162, v6, v0 neg_lo:[1,1,0]
	s_set_vgpr_msb 64                       ;  msbs: dst=1 src0=0 src1=0 src2=0
	s_delay_alu instid0(VALU_DEP_2) | instskip(NEXT) | instid1(VALU_DEP_2)
	v_dot4_i32_iu8 v14 /*v270*/, v151, v7, v18 neg_lo:[1,1,0]
	v_dot4_i32_iu8 v16 /*v272*/, v163, v7, v0 neg_lo:[1,1,0]
	s_set_vgpr_msb 0                        ;  msbs: dst=0 src0=0 src1=0 src2=0
	v_dot4_i32_iu8 v0, v170, v8, 0 neg_lo:[1,1,0]
	s_delay_alu instid0(VALU_DEP_1) | instskip(NEXT) | instid1(VALU_DEP_1)
	v_dot4_i32_iu8 v0, v171, v9, v0 neg_lo:[1,1,0]
	v_dot4_i32_iu8 v0, v172, v10, v0 neg_lo:[1,1,0]
	s_delay_alu instid0(VALU_DEP_1) | instskip(NEXT) | instid1(VALU_DEP_1)
	v_dot4_i32_iu8 v0, v173, v11, v0 neg_lo:[1,1,0]
	;; [unrolled: 3-line block ×3, first 2 shown]
	v_dot4_i32_iu8 v14, v134, v14, v0 neg_lo:[1,1,0]
	v_or_b32_e32 v0, s7, v202
	s_delay_alu instid0(VALU_DEP_1)
	v_dual_lshlrev_b32 v12, 2, v0 :: v_dual_lshrrev_b32 v13, 1, v0
	ds_load_b128 v[0:3], v12 offset:33280
	ds_load_b128 v[4:7], v12 offset:33296
	;; [unrolled: 1-line block ×4, first 2 shown]
	ds_load_b64 v[12:13], v13 offset:43584
	s_set_vgpr_msb 0x50                     ;  msbs: dst=1 src0=0 src1=0 src2=1
	v_lshrrev_b32_e32 v6 /*v262*/, 16, v21
	s_wait_dscnt 0x4
	v_dot4_i32_iu8 v2 /*v258*/, v0, v128, 0 neg_lo:[1,1,0]
	s_wait_dscnt 0x2
	v_bfe_i32 v17 /*v273*/, v8, 0, 8
	v_perm_b32 v19 /*v275*/, v8, v8, 0xc0c0201
	v_perm_b32 v20 /*v276*/, v9, v8, 0x6050403
	v_dot4_i32_iu8 v2 /*v258*/, v1, v129, v2 /*v258*/ neg_lo:[1,1,0]
	v_perm_b32 v21 /*v277*/, v10, v9, 0x6050403
	v_perm_b32 v22 /*v278*/, v11, v10, 0x6050403
	s_wait_dscnt 0x1
	v_perm_b32 v23 /*v279*/, v16, v11, 0x6050403
	s_wait_dscnt 0x0
	v_dual_ashrrev_i32 v18 /*v274*/, 24, v16 :: v_dual_lshrrev_b32 v8 /*v264*/, 16, v13
	v_dot4_i32_iu8 v2 /*v258*/, v2, v130, v2 /*v258*/ neg_lo:[1,1,0]
	v_lshrrev_b32_e32 v4 /*v260*/, 16, v12
	v_cvt_f32_f16_e64 v3 /*v259*/, v12
	s_set_vgpr_msb 0                        ;  msbs: dst=0 src0=0 src1=0 src2=0
	v_cvt_f32_f16_e32 v12, v21
	s_set_vgpr_msb 1                        ;  msbs: dst=0 src0=1 src1=0 src2=0
	v_cvt_f32_f16_e64 v21, v8 /*v264*/
	s_set_vgpr_msb 0x50                     ;  msbs: dst=1 src0=0 src1=0 src2=1
	v_dot4_i32_iu8 v2 /*v258*/, v3, v131, v2 /*v258*/ neg_lo:[1,1,0]
	s_set_vgpr_msb 0x41                     ;  msbs: dst=1 src0=1 src1=0 src2=0
	v_cvt_f32_f16_e64 v5 /*v261*/, v4 /*v260*/
	v_cvt_f32_f16_e64 v4 /*v260*/, v1 /*v257*/
	v_mul_lo_u32 v1 /*v257*/, v7 /*v263*/, v123
	s_set_vgpr_msb 0                        ;  msbs: dst=0 src0=0 src1=0 src2=0
	v_cvt_f32_f16_e32 v13, v13
	s_set_vgpr_msb 0x50                     ;  msbs: dst=1 src0=0 src1=0 src2=1
	v_dot4_i32_iu8 v2 /*v258*/, v4, v126, v2 /*v258*/ neg_lo:[1,1,0]
	s_delay_alu instid0(VALU_DEP_1) | instskip(NEXT) | instid1(VALU_DEP_1)
	v_dot4_i32_iu8 v2 /*v258*/, v127, v5, v2 /*v258*/ neg_lo:[1,1,0]
	v_dot4_i32_iu8 v2 /*v258*/, v124, v6, v2 /*v258*/ neg_lo:[1,1,0]
	s_delay_alu instid0(VALU_DEP_1) | instskip(SKIP_2) | instid1(VALU_DEP_1)
	v_dot4_i32_iu8 v9 /*v265*/, v125, v7, v2 /*v258*/ neg_lo:[1,1,0]
	s_set_vgpr_msb 0x51                     ;  msbs: dst=1 src0=1 src1=0 src2=1
	v_mul_i32_i24_e32 v2 /*v258*/, v17 /*v273*/, v221
	v_dot4_i32_iu8 v2 /*v258*/, v19 /*v275*/, v222, v2 /*v258*/ neg_lo:[1,1,0]
	s_delay_alu instid0(VALU_DEP_1) | instskip(NEXT) | instid1(VALU_DEP_1)
	v_dot4_i32_iu8 v2 /*v258*/, v20 /*v276*/, v224, v2 /*v258*/ neg_lo:[1,1,0]
	v_dot4_i32_iu8 v2 /*v258*/, v21 /*v277*/, v225, v2 /*v258*/ neg_lo:[1,1,0]
	s_delay_alu instid0(VALU_DEP_1) | instskip(NEXT) | instid1(VALU_DEP_1)
	v_dot4_i32_iu8 v2 /*v258*/, v22 /*v278*/, v226, v2 /*v258*/ neg_lo:[1,1,0]
	v_dot4_i32_iu8 v2 /*v258*/, v23 /*v279*/, v227, v2 /*v258*/ neg_lo:[1,1,0]
	s_set_vgpr_msb 0x54                     ;  msbs: dst=1 src0=0 src1=1 src2=1
	s_delay_alu instid0(VALU_DEP_1) | instskip(SKIP_1) | instid1(VALU_DEP_1)
	v_mad_i32_i24 v2 /*v258*/, v147, v18 /*v274*/, v2 /*v258*/
	s_set_vgpr_msb 0x50                     ;  msbs: dst=1 src0=0 src1=0 src2=1
	v_dot4_i32_iu8 v2 /*v258*/, v255, v17, v2 /*v258*/ neg_lo:[1,1,0]
	s_set_vgpr_msb 0x51                     ;  msbs: dst=1 src0=1 src1=0 src2=1
	s_delay_alu instid0(VALU_DEP_1)
	v_dot4_i32_iu8 v11 /*v267*/, v0 /*v256*/, v18, v2 /*v258*/ neg_lo:[1,1,0]
	s_set_vgpr_msb 64                       ;  msbs: dst=1 src0=0 src1=0 src2=0
	v_cvt_f32_f16_e64 v2 /*v258*/, v20
	s_set_vgpr_msb 1                        ;  msbs: dst=0 src0=1 src1=0 src2=0
	v_cvt_f32_f16_e64 v20, v6 /*v262*/
	s_set_vgpr_msb 0x41                     ;  msbs: dst=1 src0=1 src1=0 src2=0
	v_mul_lo_u32 v6 /*v262*/, v9 /*v265*/, v123
	s_set_vgpr_msb 0x44                     ;  msbs: dst=1 src0=0 src1=1 src2=0
	v_pk_fma_f32 v[8:9] /*v[264:265]*/, v[122:123], v[4:5] /*v[260:261]*/, 0 op_sel_hi:[0,1,0]
	s_set_vgpr_msb 0x50                     ;  msbs: dst=1 src0=0 src1=0 src2=1
	s_delay_alu instid0(VALU_DEP_1) | instskip(SKIP_1) | instid1(VALU_DEP_3)
	v_pk_fma_f32 v[8:9] /*v[264:265]*/, v[132:133], v[20:21], v[8:9] /*v[264:265]*/ op_sel_hi:[0,1,1]
	s_set_vgpr_msb 0x41                     ;  msbs: dst=1 src0=1 src1=0 src2=0
	v_cvt_f32_i32_e32 v7 /*v263*/, v6 /*v262*/
	v_cvt_f32_i32_e32 v6 /*v262*/, v1 /*v257*/
	s_set_vgpr_msb 0x50                     ;  msbs: dst=1 src0=0 src1=0 src2=1
	v_dot4_i32_iu8 v1 /*v257*/, v19, v254, v11 /*v267*/ neg_lo:[1,1,0]
	s_set_vgpr_msb 0x41                     ;  msbs: dst=1 src0=1 src1=0 src2=0
	v_pk_mul_f32 v[8:9] /*v[264:265]*/, v[8:9] /*v[264:265]*/, v[112:113]
	s_set_vgpr_msb 0x45                     ;  msbs: dst=1 src0=1 src1=1 src2=0
	v_pk_fma_f32 v[6:7] /*v[262:263]*/, v[2:3] /*v[258:259]*/, v[6:7] /*v[262:263]*/, 0 op_sel_hi:[1,1,0]
	s_set_vgpr_msb 0x41                     ;  msbs: dst=1 src0=1 src1=0 src2=0
	v_mul_lo_u32 v1 /*v257*/, v1 /*v257*/, v223
	s_delay_alu instid0(VALU_DEP_1) | instskip(SKIP_3) | instid1(VALU_DEP_2)
	v_cvt_f32_i32_e32 v11 /*v267*/, v1 /*v257*/
	s_set_vgpr_msb 64                       ;  msbs: dst=1 src0=0 src1=0 src2=0
	v_dot4_i32_iu8 v1 /*v257*/, v0, v142, 0 neg_lo:[1,1,0]
	s_set_vgpr_msb 0x54                     ;  msbs: dst=1 src0=0 src1=1 src2=1
	v_pk_fma_f32 v[6:7] /*v[262:263]*/, v[12:13], v[10:11] /*v[266:267]*/, v[6:7] /*v[262:263]*/
	s_set_vgpr_msb 0x50                     ;  msbs: dst=1 src0=0 src1=0 src2=1
	s_delay_alu instid0(VALU_DEP_2) | instskip(SKIP_1) | instid1(VALU_DEP_2)
	v_dot4_i32_iu8 v1 /*v257*/, v1, v143, v1 /*v257*/ neg_lo:[1,1,0]
	s_set_vgpr_msb 0x51                     ;  msbs: dst=1 src0=1 src1=0 src2=1
	v_pk_fma_f32 v[6:7] /*v[262:263]*/, v[6:7] /*v[262:263]*/, v[22:23], v[8:9] /*v[264:265]*/ neg_lo:[0,0,1] neg_hi:[0,0,1]
	s_set_vgpr_msb 0x50                     ;  msbs: dst=1 src0=0 src1=0 src2=1
	s_delay_alu instid0(VALU_DEP_2)
	v_dot4_i32_iu8 v1 /*v257*/, v2, v144, v1 /*v257*/ neg_lo:[1,1,0]
	s_set_vgpr_msb 0x44                     ;  msbs: dst=1 src0=0 src1=1 src2=0
	v_pk_fma_f32 v[8:9] /*v[264:265]*/, v[146:147], v[4:5] /*v[260:261]*/, 0 op_sel_hi:[0,1,0]
	s_set_vgpr_msb 4                        ;  msbs: dst=0 src0=0 src1=1 src2=0
	v_pk_add_f32 v[82:83], v[82:83], v[6:7] /*v[262:263]*/
	s_set_vgpr_msb 0x41                     ;  msbs: dst=1 src0=1 src1=0 src2=0
	v_mul_i32_i24_e32 v6 /*v262*/, v17 /*v273*/, v230
	s_set_vgpr_msb 0x50                     ;  msbs: dst=1 src0=0 src1=0 src2=1
	v_dot4_i32_iu8 v1 /*v257*/, v3, v145, v1 /*v257*/ neg_lo:[1,1,0]
	v_pk_fma_f32 v[8:9] /*v[264:265]*/, v[148:149], v[20:21], v[8:9] /*v[264:265]*/ op_sel_hi:[0,1,1]
	s_set_vgpr_msb 0x51                     ;  msbs: dst=1 src0=1 src1=0 src2=1
	v_dot4_i32_iu8 v6 /*v262*/, v19 /*v275*/, v231, v6 /*v262*/ neg_lo:[1,1,0]
	s_set_vgpr_msb 0x50                     ;  msbs: dst=1 src0=0 src1=0 src2=1
	v_dot4_i32_iu8 v1 /*v257*/, v4, v140, v1 /*v257*/ neg_lo:[1,1,0]
	s_set_vgpr_msb 0x51                     ;  msbs: dst=1 src0=1 src1=0 src2=1
	v_pk_mul_f32 v[8:9] /*v[264:265]*/, v[8:9] /*v[264:265]*/, v[114:115]
	v_dot4_i32_iu8 v6 /*v262*/, v20 /*v276*/, v233, v6 /*v262*/ neg_lo:[1,1,0]
	s_set_vgpr_msb 0x50                     ;  msbs: dst=1 src0=0 src1=0 src2=1
	v_dot4_i32_iu8 v1 /*v257*/, v141, v5, v1 /*v257*/ neg_lo:[1,1,0]
	s_set_vgpr_msb 0x51                     ;  msbs: dst=1 src0=1 src1=0 src2=1
	s_delay_alu instid0(VALU_DEP_2) | instskip(SKIP_1) | instid1(VALU_DEP_2)
	v_dot4_i32_iu8 v6 /*v262*/, v21 /*v277*/, v234, v6 /*v262*/ neg_lo:[1,1,0]
	s_set_vgpr_msb 0x50                     ;  msbs: dst=1 src0=0 src1=0 src2=1
	v_dot4_i32_iu8 v1 /*v257*/, v138, v6, v1 /*v257*/ neg_lo:[1,1,0]
	s_set_vgpr_msb 0x51                     ;  msbs: dst=1 src0=1 src1=0 src2=1
	s_delay_alu instid0(VALU_DEP_2) | instskip(SKIP_1) | instid1(VALU_DEP_2)
	v_dot4_i32_iu8 v6 /*v262*/, v22 /*v278*/, v235, v6 /*v262*/ neg_lo:[1,1,0]
	s_set_vgpr_msb 0x50                     ;  msbs: dst=1 src0=0 src1=0 src2=1
	v_dot4_i32_iu8 v1 /*v257*/, v139, v7, v1 /*v257*/ neg_lo:[1,1,0]
	s_set_vgpr_msb 0x51                     ;  msbs: dst=1 src0=1 src1=0 src2=1
	s_delay_alu instid0(VALU_DEP_2) | instskip(NEXT) | instid1(VALU_DEP_2)
	v_dot4_i32_iu8 v6 /*v262*/, v23 /*v279*/, v237, v6 /*v262*/ neg_lo:[1,1,0]
	v_mul_lo_u32 v1 /*v257*/, v1 /*v257*/, v229
	s_set_vgpr_msb 0x54                     ;  msbs: dst=1 src0=0 src1=1 src2=1
	s_delay_alu instid0(VALU_DEP_2) | instskip(SKIP_1) | instid1(VALU_DEP_1)
	v_mad_i32_i24 v6 /*v262*/, v232, v18 /*v274*/, v6 /*v262*/
	s_set_vgpr_msb 0x50                     ;  msbs: dst=1 src0=0 src1=0 src2=1
	v_dot4_i32_iu8 v6 /*v262*/, v251, v17, v6 /*v262*/ neg_lo:[1,1,0]
	s_set_vgpr_msb 0x41                     ;  msbs: dst=1 src0=1 src1=0 src2=0
	s_delay_alu instid0(VALU_DEP_3) | instskip(SKIP_1) | instid1(VALU_DEP_2)
	v_cvt_f32_i32_e32 v7 /*v263*/, v1 /*v257*/
	s_set_vgpr_msb 0x50                     ;  msbs: dst=1 src0=0 src1=0 src2=1
	v_dot4_i32_iu8 v10 /*v266*/, v253, v18, v6 /*v262*/ neg_lo:[1,1,0]
	s_set_vgpr_msb 0x41                     ;  msbs: dst=1 src0=1 src1=0 src2=0
	v_mul_lo_u32 v6 /*v262*/, v12 /*v268*/, v229
	s_set_vgpr_msb 0x50                     ;  msbs: dst=1 src0=0 src1=0 src2=1
	s_delay_alu instid0(VALU_DEP_2) | instskip(SKIP_2) | instid1(VALU_DEP_2)
	v_dot4_i32_iu8 v1 /*v257*/, v19, v252, v10 /*v266*/ neg_lo:[1,1,0]
	v_dot4_i32_iu8 v10 /*v266*/, v15, v252, v13 /*v269*/ neg_lo:[1,1,0]
	s_set_vgpr_msb 0x41                     ;  msbs: dst=1 src0=1 src1=0 src2=0
	v_mul_lo_u32 v1 /*v257*/, v1 /*v257*/, v236
	s_delay_alu instid0(VALU_DEP_2) | instskip(SKIP_2) | instid1(VALU_DEP_1)
	v_mul_lo_u32 v10 /*v266*/, v10 /*v266*/, v236
	v_cvt_f32_i32_e32 v6 /*v262*/, v6 /*v262*/
	s_set_vgpr_msb 0x45                     ;  msbs: dst=1 src0=1 src1=1 src2=0
	v_pk_fma_f32 v[6:7] /*v[262:263]*/, v[2:3] /*v[258:259]*/, v[6:7] /*v[262:263]*/, 0 op_sel_hi:[1,1,0]
	s_delay_alu instid0(VALU_DEP_4) | instskip(NEXT) | instid1(VALU_DEP_4)
	v_cvt_f32_i32_e32 v11 /*v267*/, v1 /*v257*/
	v_cvt_f32_i32_e32 v10 /*v266*/, v10 /*v266*/
	s_set_vgpr_msb 64                       ;  msbs: dst=1 src0=0 src1=0 src2=0
	v_dot4_i32_iu8 v1 /*v257*/, v0, v154, 0 neg_lo:[1,1,0]
	s_set_vgpr_msb 0                        ;  msbs: dst=0 src0=0 src1=0 src2=0
	v_dot4_i32_iu8 v0, v0, v168, 0 neg_lo:[1,1,0]
	s_set_vgpr_msb 0x54                     ;  msbs: dst=1 src0=0 src1=1 src2=1
	v_pk_fma_f32 v[6:7] /*v[262:263]*/, v[12:13], v[10:11] /*v[266:267]*/, v[6:7] /*v[262:263]*/
	s_set_vgpr_msb 0x50                     ;  msbs: dst=1 src0=0 src1=0 src2=1
	v_dot4_i32_iu8 v1 /*v257*/, v1, v155, v1 /*v257*/ neg_lo:[1,1,0]
	s_set_vgpr_msb 0                        ;  msbs: dst=0 src0=0 src1=0 src2=0
	v_dot4_i32_iu8 v0, v1, v169, v0 neg_lo:[1,1,0]
	v_dot4_i32_iu8 v1, v170, v8, 0 neg_lo:[1,1,0]
	s_set_vgpr_msb 0x51                     ;  msbs: dst=1 src0=1 src1=0 src2=1
	v_pk_fma_f32 v[6:7] /*v[262:263]*/, v[6:7] /*v[262:263]*/, v[24:25], v[8:9] /*v[264:265]*/ neg_lo:[0,0,1] neg_hi:[0,0,1]
	s_set_vgpr_msb 0x50                     ;  msbs: dst=1 src0=0 src1=0 src2=1
	v_dot4_i32_iu8 v1 /*v257*/, v2, v156, v1 /*v257*/ neg_lo:[1,1,0]
	s_set_vgpr_msb 0                        ;  msbs: dst=0 src0=0 src1=0 src2=0
	v_dot4_i32_iu8 v0, v2, v166, v0 neg_lo:[1,1,0]
	v_dot4_i32_iu8 v1, v171, v9, v1 neg_lo:[1,1,0]
	s_set_vgpr_msb 1                        ;  msbs: dst=0 src0=1 src1=0 src2=0
	v_mul_lo_u32 v2, v16 /*v272*/, v247
	s_set_vgpr_msb 4                        ;  msbs: dst=0 src0=0 src1=1 src2=0
	v_pk_add_f32 v[92:93], v[92:93], v[6:7] /*v[262:263]*/
	s_set_vgpr_msb 0x41                     ;  msbs: dst=1 src0=1 src1=0 src2=0
	v_mul_i32_i24_e32 v6 /*v262*/, v17 /*v273*/, v239
	s_set_vgpr_msb 0                        ;  msbs: dst=0 src0=0 src1=0 src2=0
	v_dot4_i32_iu8 v0, v3, v167, v0 neg_lo:[1,1,0]
	v_dot4_i32_iu8 v1, v172, v10, v1 neg_lo:[1,1,0]
	s_set_vgpr_msb 0x50                     ;  msbs: dst=1 src0=0 src1=0 src2=1
	v_dot4_i32_iu8 v1 /*v257*/, v3, v157, v1 /*v257*/ neg_lo:[1,1,0]
	s_set_vgpr_msb 0x44                     ;  msbs: dst=1 src0=0 src1=1 src2=0
	v_pk_fma_f32 v[8:9] /*v[264:265]*/, v[158:159], v[4:5] /*v[260:261]*/, 0 op_sel_hi:[0,1,0]
	s_set_vgpr_msb 0x51                     ;  msbs: dst=1 src0=1 src1=0 src2=1
	v_dot4_i32_iu8 v6 /*v262*/, v19 /*v275*/, v240, v6 /*v262*/ neg_lo:[1,1,0]
	s_set_vgpr_msb 0                        ;  msbs: dst=0 src0=0 src1=0 src2=0
	v_dot4_i32_iu8 v0, v4, v164, v0 neg_lo:[1,1,0]
	v_dot4_i32_iu8 v1, v173, v11, v1 neg_lo:[1,1,0]
	s_set_vgpr_msb 0x50                     ;  msbs: dst=1 src0=0 src1=0 src2=1
	v_dot4_i32_iu8 v1 /*v257*/, v4, v152, v1 /*v257*/ neg_lo:[1,1,0]
	v_pk_fma_f32 v[8:9] /*v[264:265]*/, v[160:161], v[20:21], v[8:9] /*v[264:265]*/ op_sel_hi:[0,1,1]
	s_set_vgpr_msb 0x51                     ;  msbs: dst=1 src0=1 src1=0 src2=1
	v_dot4_i32_iu8 v6 /*v262*/, v20 /*v276*/, v242, v6 /*v262*/ neg_lo:[1,1,0]
	s_set_vgpr_msb 0                        ;  msbs: dst=0 src0=0 src1=0 src2=0
	v_dot4_i32_iu8 v0, v165, v5, v0 neg_lo:[1,1,0]
	v_dot4_i32_iu8 v1, v174, v16, v1 neg_lo:[1,1,0]
	s_set_vgpr_msb 0x50                     ;  msbs: dst=1 src0=0 src1=0 src2=1
	v_dot4_i32_iu8 v1 /*v257*/, v153, v5, v1 /*v257*/ neg_lo:[1,1,0]
	s_set_vgpr_msb 0                        ;  msbs: dst=0 src0=0 src1=0 src2=0
	v_dot4_i32_iu8 v5, v15, v135, v14 neg_lo:[1,1,0]
	s_set_vgpr_msb 0x51                     ;  msbs: dst=1 src0=1 src1=0 src2=1
	v_dot4_i32_iu8 v6 /*v262*/, v21 /*v277*/, v243, v6 /*v262*/ neg_lo:[1,1,0]
	s_set_vgpr_msb 0                        ;  msbs: dst=0 src0=0 src1=0 src2=0
	v_dot4_i32_iu8 v0, v162, v6, v0 neg_lo:[1,1,0]
	v_dot4_i32_iu8 v1, v175, v17, v1 neg_lo:[1,1,0]
	s_set_vgpr_msb 0x50                     ;  msbs: dst=1 src0=0 src1=0 src2=1
	v_dot4_i32_iu8 v1 /*v257*/, v150, v6, v1 /*v257*/ neg_lo:[1,1,0]
	s_set_vgpr_msb 0                        ;  msbs: dst=0 src0=0 src1=0 src2=0
	v_mul_lo_u32 v6, v5, v228
	s_set_vgpr_msb 0x51                     ;  msbs: dst=1 src0=1 src1=0 src2=1
	v_dot4_i32_iu8 v6 /*v262*/, v22 /*v278*/, v244, v6 /*v262*/ neg_lo:[1,1,0]
	s_set_vgpr_msb 0                        ;  msbs: dst=0 src0=0 src1=0 src2=0
	v_dot4_i32_iu8 v0, v163, v7, v0 neg_lo:[1,1,0]
	v_dot4_i32_iu8 v4, v134, v18, v1 neg_lo:[1,1,0]
	s_set_vgpr_msb 0x50                     ;  msbs: dst=1 src0=0 src1=0 src2=1
	v_dot4_i32_iu8 v1 /*v257*/, v151, v7, v1 /*v257*/ neg_lo:[1,1,0]
	s_set_vgpr_msb 0x51                     ;  msbs: dst=1 src0=1 src1=0 src2=1
	v_pk_mul_f32 v[8:9] /*v[264:265]*/, v[8:9] /*v[264:265]*/, v[116:117]
	v_dot4_i32_iu8 v6 /*v262*/, v23 /*v279*/, v246, v6 /*v262*/ neg_lo:[1,1,0]
	s_set_vgpr_msb 0                        ;  msbs: dst=0 src0=0 src1=0 src2=0
	v_mul_lo_u32 v0, v0, v247
	v_dot4_i32_iu8 v4, v19, v135, v4 neg_lo:[1,1,0]
	s_set_vgpr_msb 0x41                     ;  msbs: dst=1 src0=1 src1=0 src2=0
	v_mul_lo_u32 v1 /*v257*/, v1 /*v257*/, v238
	s_set_vgpr_msb 0x54                     ;  msbs: dst=1 src0=0 src1=1 src2=1
	v_mad_i32_i24 v6 /*v262*/, v241, v18 /*v274*/, v6 /*v262*/
	s_set_vgpr_msb 0                        ;  msbs: dst=0 src0=0 src1=0 src2=0
	v_mul_lo_u32 v4, v4, v228
	s_set_vgpr_msb 0x50                     ;  msbs: dst=1 src0=0 src1=0 src2=1
	s_delay_alu instid0(VALU_DEP_2)
	v_dot4_i32_iu8 v6 /*v262*/, v248, v17, v6 /*v262*/ neg_lo:[1,1,0]
	s_set_vgpr_msb 4                        ;  msbs: dst=0 src0=0 src1=1 src2=0
	v_cvt_f32_i32_e32 v1, v0
	v_cvt_f32_i32_e32 v0, v2
	v_pk_fma_f32 v[2:3], v[136:137], v[4:5] /*v[260:261]*/, 0 op_sel_hi:[0,1,0]
	s_set_vgpr_msb 0x50                     ;  msbs: dst=1 src0=0 src1=0 src2=1
	v_dot4_i32_iu8 v10 /*v266*/, v250, v18, v6 /*v262*/ neg_lo:[1,1,0]
	s_set_vgpr_msb 0x41                     ;  msbs: dst=1 src0=1 src1=0 src2=0
	v_mul_lo_u32 v6 /*v262*/, v14 /*v270*/, v238
	v_cvt_f32_i32_e32 v7 /*v263*/, v1 /*v257*/
	s_set_vgpr_msb 1                        ;  msbs: dst=0 src0=1 src1=0 src2=0
	v_pk_fma_f32 v[0:1], v[2:3] /*v[258:259]*/, v[0:1], 0 op_sel_hi:[1,1,0]
	s_set_vgpr_msb 0                        ;  msbs: dst=0 src0=0 src1=0 src2=0
	v_cvt_f32_i32_e32 v5, v4
	s_set_vgpr_msb 0x50                     ;  msbs: dst=1 src0=0 src1=0 src2=1
	v_dot4_i32_iu8 v1 /*v257*/, v19, v249, v10 /*v266*/ neg_lo:[1,1,0]
	v_dot4_i32_iu8 v10 /*v266*/, v15, v249, v15 /*v271*/ neg_lo:[1,1,0]
	s_set_vgpr_msb 0                        ;  msbs: dst=0 src0=0 src1=0 src2=0
	v_cvt_f32_i32_e32 v4, v6
	v_pk_fma_f32 v[2:3], v[120:121], v[20:21], v[2:3] op_sel_hi:[0,1,1]
	s_set_vgpr_msb 0x41                     ;  msbs: dst=1 src0=1 src1=0 src2=0
	v_mul_lo_u32 v1 /*v257*/, v1 /*v257*/, v245
	v_mul_lo_u32 v10 /*v266*/, v10 /*v266*/, v245
	s_set_vgpr_msb 0                        ;  msbs: dst=0 src0=0 src1=0 src2=0
	v_pk_fma_f32 v[0:1], v[12:13], v[4:5], v[0:1]
	v_pk_mul_f32 v[2:3], v[2:3], v[118:119]
	s_set_vgpr_msb 0x41                     ;  msbs: dst=1 src0=1 src1=0 src2=0
	v_cvt_f32_i32_e32 v6 /*v262*/, v6 /*v262*/
	s_set_vgpr_msb 0                        ;  msbs: dst=0 src0=0 src1=0 src2=0
	s_delay_alu instid0(VALU_DEP_2) | instskip(SKIP_1) | instid1(VALU_DEP_2)
	v_pk_fma_f32 v[0:1], v[0:1], v[110:111], v[2:3] neg_lo:[0,0,1] neg_hi:[0,0,1]
	s_set_vgpr_msb 0x45                     ;  msbs: dst=1 src0=1 src1=1 src2=0
	v_pk_fma_f32 v[6:7] /*v[262:263]*/, v[2:3] /*v[258:259]*/, v[6:7] /*v[262:263]*/, 0 op_sel_hi:[1,1,0]
	v_cvt_f32_i32_e32 v11 /*v267*/, v1 /*v257*/
	v_cvt_f32_i32_e32 v10 /*v266*/, v10 /*v266*/
	s_set_vgpr_msb 0                        ;  msbs: dst=0 src0=0 src1=0 src2=0
	v_pk_add_f32 v[106:107], v[106:107], v[0:1]
	v_or_b32_e32 v0, s7, v203
	s_set_vgpr_msb 0x54                     ;  msbs: dst=1 src0=0 src1=1 src2=1
	v_pk_fma_f32 v[6:7] /*v[262:263]*/, v[12:13], v[10:11] /*v[266:267]*/, v[6:7] /*v[262:263]*/
	s_set_vgpr_msb 0                        ;  msbs: dst=0 src0=0 src1=0 src2=0
	s_delay_alu instid0(VALU_DEP_2)
	v_dual_lshlrev_b32 v12, 2, v0 :: v_dual_lshrrev_b32 v16, 1, v0
	ds_load_b128 v[0:3], v12 offset:33280
	ds_load_b128 v[4:7], v12 offset:33296
	;; [unrolled: 1-line block ×4, first 2 shown]
	ds_load_b64 v[20:21], v16 offset:43584
	s_set_vgpr_msb 0x51                     ;  msbs: dst=1 src0=1 src1=0 src2=1
	v_pk_fma_f32 v[6:7] /*v[262:263]*/, v[6:7] /*v[262:263]*/, v[26:27], v[8:9] /*v[264:265]*/ neg_lo:[0,0,1] neg_hi:[0,0,1]
	s_set_vgpr_msb 4                        ;  msbs: dst=0 src0=0 src1=1 src2=0
	s_delay_alu instid0(VALU_DEP_1)
	v_pk_add_f32 v[100:101], v[100:101], v[6:7] /*v[262:263]*/
	s_wait_dscnt 0x4
	s_set_vgpr_msb 0                        ;  msbs: dst=0 src0=0 src1=0 src2=0
	v_dot4_i32_iu8 v18, v0, v128, 0 neg_lo:[1,1,0]
	s_wait_dscnt 0x2
	v_bfe_i32 v16, v8, 0, 8
	v_perm_b32 v19, v8, v8, 0xc0c0201
	s_set_vgpr_msb 64                       ;  msbs: dst=1 src0=0 src1=0 src2=0
	v_perm_b32 v2 /*v258*/, v9, v8, 0x6050403
	s_set_vgpr_msb 0                        ;  msbs: dst=0 src0=0 src1=0 src2=0
	v_dot4_i32_iu8 v18, v1, v129, v18 neg_lo:[1,1,0]
	s_set_vgpr_msb 64                       ;  msbs: dst=1 src0=0 src1=0 src2=0
	v_perm_b32 v3 /*v259*/, v10, v9, 0x6050403
	v_perm_b32 v4 /*v260*/, v11, v10, 0x6050403
	s_wait_dscnt 0x1
	v_perm_b32 v5 /*v261*/, v12, v11, 0x6050403
	s_set_vgpr_msb 0                        ;  msbs: dst=0 src0=0 src1=0 src2=0
	v_ashrrev_i32_e32 v17, 24, v12
	v_dot4_i32_iu8 v18, v2, v130, v18 neg_lo:[1,1,0]
	s_wait_dscnt 0x0
	s_set_vgpr_msb 64                       ;  msbs: dst=1 src0=0 src1=0 src2=0
	v_dual_lshrrev_b32 v1 /*v257*/, 16, v20 :: v_dual_lshrrev_b32 v6 /*v262*/, 16, v21
	s_set_vgpr_msb 0                        ;  msbs: dst=0 src0=0 src1=0 src2=0
	v_dot4_i32_iu8 v18, v3, v131, v18 neg_lo:[1,1,0]
	s_delay_alu instid0(VALU_DEP_1) | instskip(NEXT) | instid1(VALU_DEP_1)
	v_dot4_i32_iu8 v18, v4, v126, v18 neg_lo:[1,1,0]
	v_dot4_i32_iu8 v18, v127, v5, v18 neg_lo:[1,1,0]
	s_delay_alu instid0(VALU_DEP_1) | instskip(SKIP_1) | instid1(VALU_DEP_1)
	v_dot4_i32_iu8 v18, v124, v6, v18 neg_lo:[1,1,0]
	s_set_vgpr_msb 64                       ;  msbs: dst=1 src0=0 src1=0 src2=0
	v_dot4_i32_iu8 v7 /*v263*/, v125, v7, v18 neg_lo:[1,1,0]
	s_set_vgpr_msb 0                        ;  msbs: dst=0 src0=0 src1=0 src2=0
	v_mul_i32_i24_e32 v18, v16, v221
	s_delay_alu instid0(VALU_DEP_1) | instskip(SKIP_1) | instid1(VALU_DEP_1)
	v_dot4_i32_iu8 v18, v19, v222, v18 neg_lo:[1,1,0]
	s_set_vgpr_msb 1                        ;  msbs: dst=0 src0=1 src1=0 src2=0
	v_dot4_i32_iu8 v18, v2 /*v258*/, v224, v18 neg_lo:[1,1,0]
	s_delay_alu instid0(VALU_DEP_1) | instskip(NEXT) | instid1(VALU_DEP_1)
	v_dot4_i32_iu8 v18, v3 /*v259*/, v225, v18 neg_lo:[1,1,0]
	v_dot4_i32_iu8 v18, v4 /*v260*/, v226, v18 neg_lo:[1,1,0]
	s_delay_alu instid0(VALU_DEP_1) | instskip(SKIP_1) | instid1(VALU_DEP_1)
	v_dot4_i32_iu8 v18, v5 /*v261*/, v227, v18 neg_lo:[1,1,0]
	s_set_vgpr_msb 0                        ;  msbs: dst=0 src0=0 src1=0 src2=0
	v_mad_i32_i24 v18, v147, v17, v18
	s_delay_alu instid0(VALU_DEP_1) | instskip(SKIP_1) | instid1(VALU_DEP_1)
	v_dot4_i32_iu8 v18, v255, v13, v18 neg_lo:[1,1,0]
	s_set_vgpr_msb 0x41                     ;  msbs: dst=1 src0=1 src1=0 src2=0
	v_dot4_i32_iu8 v10 /*v266*/, v0 /*v256*/, v14, v18 neg_lo:[1,1,0]
	s_set_vgpr_msb 0                        ;  msbs: dst=0 src0=0 src1=0 src2=0
	v_dot4_i32_iu8 v18, v0, v142, 0 neg_lo:[1,1,0]
	s_set_vgpr_msb 0x50                     ;  msbs: dst=1 src0=0 src1=0 src2=1
	s_delay_alu instid0(VALU_DEP_2) | instskip(SKIP_1) | instid1(VALU_DEP_2)
	v_dot4_i32_iu8 v10 /*v266*/, v15, v254, v10 /*v266*/ neg_lo:[1,1,0]
	s_set_vgpr_msb 0                        ;  msbs: dst=0 src0=0 src1=0 src2=0
	v_dot4_i32_iu8 v18, v1, v143, v18 neg_lo:[1,1,0]
	s_set_vgpr_msb 0x41                     ;  msbs: dst=1 src0=1 src1=0 src2=0
	s_delay_alu instid0(VALU_DEP_2) | instskip(SKIP_1) | instid1(VALU_DEP_2)
	v_mul_lo_u32 v10 /*v266*/, v10 /*v266*/, v223
	s_set_vgpr_msb 0                        ;  msbs: dst=0 src0=0 src1=0 src2=0
	v_dot4_i32_iu8 v18, v2, v144, v18 neg_lo:[1,1,0]
	s_delay_alu instid0(VALU_DEP_1) | instskip(NEXT) | instid1(VALU_DEP_1)
	v_dot4_i32_iu8 v18, v3, v145, v18 neg_lo:[1,1,0]
	v_dot4_i32_iu8 v18, v4, v140, v18 neg_lo:[1,1,0]
	s_set_vgpr_msb 0x41                     ;  msbs: dst=1 src0=1 src1=0 src2=0
	s_delay_alu instid0(VALU_DEP_4) | instskip(SKIP_1) | instid1(VALU_DEP_2)
	v_cvt_f32_i32_e32 v10 /*v266*/, v10 /*v266*/
	s_set_vgpr_msb 0                        ;  msbs: dst=0 src0=0 src1=0 src2=0
	v_dot4_i32_iu8 v18, v141, v5, v18 neg_lo:[1,1,0]
	s_delay_alu instid0(VALU_DEP_1) | instskip(SKIP_1) | instid1(VALU_DEP_1)
	v_dot4_i32_iu8 v18, v138, v6, v18 neg_lo:[1,1,0]
	s_set_vgpr_msb 64                       ;  msbs: dst=1 src0=0 src1=0 src2=0
	v_dot4_i32_iu8 v12 /*v268*/, v139, v7, v18 neg_lo:[1,1,0]
	s_set_vgpr_msb 0                        ;  msbs: dst=0 src0=0 src1=0 src2=0
	v_mul_i32_i24_e32 v18, v16, v230
	v_mul_i32_i24_e32 v16, v16, v239
	s_delay_alu instid0(VALU_DEP_2) | instskip(NEXT) | instid1(VALU_DEP_2)
	v_dot4_i32_iu8 v18, v19, v231, v18 neg_lo:[1,1,0]
	v_dot4_i32_iu8 v16, v19, v240, v16 neg_lo:[1,1,0]
	s_set_vgpr_msb 1                        ;  msbs: dst=0 src0=1 src1=0 src2=0
	s_delay_alu instid0(VALU_DEP_2) | instskip(NEXT) | instid1(VALU_DEP_2)
	v_dot4_i32_iu8 v18, v2 /*v258*/, v233, v18 neg_lo:[1,1,0]
	v_dot4_i32_iu8 v16, v2 /*v258*/, v242, v16 neg_lo:[1,1,0]
	s_delay_alu instid0(VALU_DEP_2) | instskip(NEXT) | instid1(VALU_DEP_2)
	v_dot4_i32_iu8 v18, v3 /*v259*/, v234, v18 neg_lo:[1,1,0]
	v_dot4_i32_iu8 v16, v3 /*v259*/, v243, v16 neg_lo:[1,1,0]
	;; [unrolled: 3-line block ×4, first 2 shown]
	s_set_vgpr_msb 0                        ;  msbs: dst=0 src0=0 src1=0 src2=0
	s_delay_alu instid0(VALU_DEP_2) | instskip(NEXT) | instid1(VALU_DEP_2)
	v_mad_i32_i24 v18, v232, v17, v18
	v_mad_i32_i24 v16, v241, v17, v16
	s_delay_alu instid0(VALU_DEP_2) | instskip(NEXT) | instid1(VALU_DEP_2)
	v_dot4_i32_iu8 v18, v251, v13, v18 neg_lo:[1,1,0]
	v_dot4_i32_iu8 v16, v248, v13, v16 neg_lo:[1,1,0]
	s_set_vgpr_msb 64                       ;  msbs: dst=1 src0=0 src1=0 src2=0
	s_delay_alu instid0(VALU_DEP_2)
	v_dot4_i32_iu8 v13 /*v269*/, v253, v14, v18 neg_lo:[1,1,0]
	s_set_vgpr_msb 0                        ;  msbs: dst=0 src0=0 src1=0 src2=0
	v_dot4_i32_iu8 v18, v0, v154, 0 neg_lo:[1,1,0]
	v_dot4_i32_iu8 v0, v0, v168, 0 neg_lo:[1,1,0]
	s_set_vgpr_msb 64                       ;  msbs: dst=1 src0=0 src1=0 src2=0
	v_dot4_i32_iu8 v15 /*v271*/, v250, v14, v16 neg_lo:[1,1,0]
	s_set_vgpr_msb 0                        ;  msbs: dst=0 src0=0 src1=0 src2=0
	v_dot4_i32_iu8 v18, v1, v155, v18 neg_lo:[1,1,0]
	v_dot4_i32_iu8 v0, v1, v169, v0 neg_lo:[1,1,0]
	s_delay_alu instid0(VALU_DEP_2) | instskip(NEXT) | instid1(VALU_DEP_2)
	v_dot4_i32_iu8 v18, v2, v156, v18 neg_lo:[1,1,0]
	v_dot4_i32_iu8 v0, v2, v166, v0 neg_lo:[1,1,0]
	s_delay_alu instid0(VALU_DEP_2) | instskip(NEXT) | instid1(VALU_DEP_2)
	;; [unrolled: 3-line block ×5, first 2 shown]
	v_dot4_i32_iu8 v18, v150, v6, v18 neg_lo:[1,1,0]
	v_dot4_i32_iu8 v0, v162, v6, v0 neg_lo:[1,1,0]
	s_set_vgpr_msb 64                       ;  msbs: dst=1 src0=0 src1=0 src2=0
	s_delay_alu instid0(VALU_DEP_2) | instskip(NEXT) | instid1(VALU_DEP_2)
	v_dot4_i32_iu8 v14 /*v270*/, v151, v7, v18 neg_lo:[1,1,0]
	v_dot4_i32_iu8 v16 /*v272*/, v163, v7, v0 neg_lo:[1,1,0]
	s_set_vgpr_msb 0                        ;  msbs: dst=0 src0=0 src1=0 src2=0
	v_dot4_i32_iu8 v0, v170, v8, 0 neg_lo:[1,1,0]
	s_delay_alu instid0(VALU_DEP_1) | instskip(NEXT) | instid1(VALU_DEP_1)
	v_dot4_i32_iu8 v0, v171, v9, v0 neg_lo:[1,1,0]
	v_dot4_i32_iu8 v0, v172, v10, v0 neg_lo:[1,1,0]
	s_delay_alu instid0(VALU_DEP_1) | instskip(NEXT) | instid1(VALU_DEP_1)
	v_dot4_i32_iu8 v0, v173, v11, v0 neg_lo:[1,1,0]
	;; [unrolled: 3-line block ×3, first 2 shown]
	v_dot4_i32_iu8 v14, v134, v14, v0 neg_lo:[1,1,0]
	v_or_b32_e32 v0, s7, v204
	s_delay_alu instid0(VALU_DEP_1)
	v_dual_lshlrev_b32 v12, 2, v0 :: v_dual_lshrrev_b32 v13, 1, v0
	ds_load_b128 v[0:3], v12 offset:33280
	ds_load_b128 v[4:7], v12 offset:33296
	;; [unrolled: 1-line block ×4, first 2 shown]
	ds_load_b64 v[12:13], v13 offset:43584
	s_wait_dscnt 0x4
	s_set_vgpr_msb 0x50                     ;  msbs: dst=1 src0=0 src1=0 src2=1
	v_dot4_i32_iu8 v2 /*v258*/, v0, v128, 0 neg_lo:[1,1,0]
	s_wait_dscnt 0x2
	v_bfe_i32 v17 /*v273*/, v8, 0, 8
	v_perm_b32 v19 /*v275*/, v8, v8, 0xc0c0201
	v_perm_b32 v20 /*v276*/, v9, v8, 0x6050403
	v_dot4_i32_iu8 v2 /*v258*/, v1, v129, v2 /*v258*/ neg_lo:[1,1,0]
	v_perm_b32 v21 /*v277*/, v10, v9, 0x6050403
	v_perm_b32 v22 /*v278*/, v11, v10, 0x6050403
	s_wait_dscnt 0x1
	v_perm_b32 v23 /*v279*/, v16, v11, 0x6050403
	v_ashrrev_i32_e32 v18 /*v274*/, 24, v16
	v_dot4_i32_iu8 v2 /*v258*/, v2, v130, v2 /*v258*/ neg_lo:[1,1,0]
	s_wait_dscnt 0x0
	v_dual_lshrrev_b32 v4 /*v260*/, 16, v12 :: v_dual_lshrrev_b32 v8 /*v264*/, 16, v13
	v_cvt_f32_f16_e64 v3 /*v259*/, v12
	s_set_vgpr_msb 0                        ;  msbs: dst=0 src0=0 src1=0 src2=0
	v_cvt_f32_f16_e32 v12, v21
	s_set_vgpr_msb 0x50                     ;  msbs: dst=1 src0=0 src1=0 src2=1
	v_dot4_i32_iu8 v2 /*v258*/, v3, v131, v2 /*v258*/ neg_lo:[1,1,0]
	s_set_vgpr_msb 0x41                     ;  msbs: dst=1 src0=1 src1=0 src2=0
	v_cvt_f32_f16_e64 v5 /*v261*/, v4 /*v260*/
	v_cvt_f32_f16_e64 v4 /*v260*/, v1 /*v257*/
	v_mul_lo_u32 v1 /*v257*/, v7 /*v263*/, v123
	s_set_vgpr_msb 1                        ;  msbs: dst=0 src0=1 src1=0 src2=0
	v_cvt_f32_f16_e64 v21, v8 /*v264*/
	s_set_vgpr_msb 0x50                     ;  msbs: dst=1 src0=0 src1=0 src2=1
	v_dot4_i32_iu8 v2 /*v258*/, v4, v126, v2 /*v258*/ neg_lo:[1,1,0]
	s_set_vgpr_msb 0                        ;  msbs: dst=0 src0=0 src1=0 src2=0
	v_cvt_f32_f16_e32 v13, v13
	s_set_vgpr_msb 0x50                     ;  msbs: dst=1 src0=0 src1=0 src2=1
	s_delay_alu instid0(VALU_DEP_2) | instskip(NEXT) | instid1(VALU_DEP_1)
	v_dot4_i32_iu8 v2 /*v258*/, v127, v5, v2 /*v258*/ neg_lo:[1,1,0]
	v_dot4_i32_iu8 v2 /*v258*/, v124, v6, v2 /*v258*/ neg_lo:[1,1,0]
	s_delay_alu instid0(VALU_DEP_1) | instskip(SKIP_2) | instid1(VALU_DEP_1)
	v_dot4_i32_iu8 v9 /*v265*/, v125, v7, v2 /*v258*/ neg_lo:[1,1,0]
	s_set_vgpr_msb 0x51                     ;  msbs: dst=1 src0=1 src1=0 src2=1
	v_mul_i32_i24_e32 v2 /*v258*/, v17 /*v273*/, v221
	v_dot4_i32_iu8 v2 /*v258*/, v19 /*v275*/, v222, v2 /*v258*/ neg_lo:[1,1,0]
	s_delay_alu instid0(VALU_DEP_1) | instskip(NEXT) | instid1(VALU_DEP_1)
	v_dot4_i32_iu8 v2 /*v258*/, v20 /*v276*/, v224, v2 /*v258*/ neg_lo:[1,1,0]
	v_dot4_i32_iu8 v2 /*v258*/, v21 /*v277*/, v225, v2 /*v258*/ neg_lo:[1,1,0]
	s_delay_alu instid0(VALU_DEP_1) | instskip(NEXT) | instid1(VALU_DEP_1)
	v_dot4_i32_iu8 v2 /*v258*/, v22 /*v278*/, v226, v2 /*v258*/ neg_lo:[1,1,0]
	v_dot4_i32_iu8 v2 /*v258*/, v23 /*v279*/, v227, v2 /*v258*/ neg_lo:[1,1,0]
	s_set_vgpr_msb 0x54                     ;  msbs: dst=1 src0=0 src1=1 src2=1
	s_delay_alu instid0(VALU_DEP_1) | instskip(SKIP_1) | instid1(VALU_DEP_1)
	v_mad_i32_i24 v2 /*v258*/, v147, v18 /*v274*/, v2 /*v258*/
	s_set_vgpr_msb 0x50                     ;  msbs: dst=1 src0=0 src1=0 src2=1
	v_dot4_i32_iu8 v2 /*v258*/, v255, v17, v2 /*v258*/ neg_lo:[1,1,0]
	s_set_vgpr_msb 0x51                     ;  msbs: dst=1 src0=1 src1=0 src2=1
	s_delay_alu instid0(VALU_DEP_1)
	v_dot4_i32_iu8 v11 /*v267*/, v0 /*v256*/, v18, v2 /*v258*/ neg_lo:[1,1,0]
	s_set_vgpr_msb 64                       ;  msbs: dst=1 src0=0 src1=0 src2=0
	v_cvt_f32_f16_e64 v2 /*v258*/, v20
	s_set_vgpr_msb 1                        ;  msbs: dst=0 src0=1 src1=0 src2=0
	v_cvt_f32_f16_e64 v20, v6 /*v262*/
	s_set_vgpr_msb 0x41                     ;  msbs: dst=1 src0=1 src1=0 src2=0
	v_mul_lo_u32 v6 /*v262*/, v9 /*v265*/, v123
	s_set_vgpr_msb 0x44                     ;  msbs: dst=1 src0=0 src1=1 src2=0
	v_pk_fma_f32 v[8:9] /*v[264:265]*/, v[122:123], v[4:5] /*v[260:261]*/, 0 op_sel_hi:[0,1,0]
	s_set_vgpr_msb 0x50                     ;  msbs: dst=1 src0=0 src1=0 src2=1
	s_delay_alu instid0(VALU_DEP_1) | instskip(SKIP_1) | instid1(VALU_DEP_3)
	v_pk_fma_f32 v[8:9] /*v[264:265]*/, v[132:133], v[20:21], v[8:9] /*v[264:265]*/ op_sel_hi:[0,1,1]
	s_set_vgpr_msb 0x41                     ;  msbs: dst=1 src0=1 src1=0 src2=0
	v_cvt_f32_i32_e32 v7 /*v263*/, v6 /*v262*/
	v_cvt_f32_i32_e32 v6 /*v262*/, v1 /*v257*/
	s_set_vgpr_msb 0x50                     ;  msbs: dst=1 src0=0 src1=0 src2=1
	v_dot4_i32_iu8 v1 /*v257*/, v19, v254, v11 /*v267*/ neg_lo:[1,1,0]
	s_set_vgpr_msb 0x41                     ;  msbs: dst=1 src0=1 src1=0 src2=0
	v_pk_mul_f32 v[8:9] /*v[264:265]*/, v[8:9] /*v[264:265]*/, v[112:113]
	s_set_vgpr_msb 0x45                     ;  msbs: dst=1 src0=1 src1=1 src2=0
	v_pk_fma_f32 v[6:7] /*v[262:263]*/, v[2:3] /*v[258:259]*/, v[6:7] /*v[262:263]*/, 0 op_sel_hi:[1,1,0]
	s_set_vgpr_msb 0x41                     ;  msbs: dst=1 src0=1 src1=0 src2=0
	v_mul_lo_u32 v1 /*v257*/, v1 /*v257*/, v223
	s_delay_alu instid0(VALU_DEP_1) | instskip(SKIP_3) | instid1(VALU_DEP_2)
	v_cvt_f32_i32_e32 v11 /*v267*/, v1 /*v257*/
	s_set_vgpr_msb 64                       ;  msbs: dst=1 src0=0 src1=0 src2=0
	v_dot4_i32_iu8 v1 /*v257*/, v0, v142, 0 neg_lo:[1,1,0]
	s_set_vgpr_msb 0x54                     ;  msbs: dst=1 src0=0 src1=1 src2=1
	v_pk_fma_f32 v[6:7] /*v[262:263]*/, v[12:13], v[10:11] /*v[266:267]*/, v[6:7] /*v[262:263]*/
	s_set_vgpr_msb 0x50                     ;  msbs: dst=1 src0=0 src1=0 src2=1
	s_delay_alu instid0(VALU_DEP_2) | instskip(SKIP_1) | instid1(VALU_DEP_2)
	v_dot4_i32_iu8 v1 /*v257*/, v1, v143, v1 /*v257*/ neg_lo:[1,1,0]
	s_set_vgpr_msb 0x51                     ;  msbs: dst=1 src0=1 src1=0 src2=1
	v_pk_fma_f32 v[6:7] /*v[262:263]*/, v[6:7] /*v[262:263]*/, v[22:23], v[8:9] /*v[264:265]*/ neg_lo:[0,0,1] neg_hi:[0,0,1]
	s_set_vgpr_msb 0x50                     ;  msbs: dst=1 src0=0 src1=0 src2=1
	s_delay_alu instid0(VALU_DEP_2)
	v_dot4_i32_iu8 v1 /*v257*/, v2, v144, v1 /*v257*/ neg_lo:[1,1,0]
	s_set_vgpr_msb 0x44                     ;  msbs: dst=1 src0=0 src1=1 src2=0
	v_pk_fma_f32 v[8:9] /*v[264:265]*/, v[146:147], v[4:5] /*v[260:261]*/, 0 op_sel_hi:[0,1,0]
	s_set_vgpr_msb 4                        ;  msbs: dst=0 src0=0 src1=1 src2=0
	v_pk_add_f32 v[78:79], v[78:79], v[6:7] /*v[262:263]*/
	s_set_vgpr_msb 0x41                     ;  msbs: dst=1 src0=1 src1=0 src2=0
	v_mul_i32_i24_e32 v6 /*v262*/, v17 /*v273*/, v230
	s_set_vgpr_msb 0x50                     ;  msbs: dst=1 src0=0 src1=0 src2=1
	v_dot4_i32_iu8 v1 /*v257*/, v3, v145, v1 /*v257*/ neg_lo:[1,1,0]
	v_pk_fma_f32 v[8:9] /*v[264:265]*/, v[148:149], v[20:21], v[8:9] /*v[264:265]*/ op_sel_hi:[0,1,1]
	s_set_vgpr_msb 0x51                     ;  msbs: dst=1 src0=1 src1=0 src2=1
	v_dot4_i32_iu8 v6 /*v262*/, v19 /*v275*/, v231, v6 /*v262*/ neg_lo:[1,1,0]
	s_set_vgpr_msb 0x50                     ;  msbs: dst=1 src0=0 src1=0 src2=1
	v_dot4_i32_iu8 v1 /*v257*/, v4, v140, v1 /*v257*/ neg_lo:[1,1,0]
	s_set_vgpr_msb 0x51                     ;  msbs: dst=1 src0=1 src1=0 src2=1
	v_pk_mul_f32 v[8:9] /*v[264:265]*/, v[8:9] /*v[264:265]*/, v[114:115]
	v_dot4_i32_iu8 v6 /*v262*/, v20 /*v276*/, v233, v6 /*v262*/ neg_lo:[1,1,0]
	s_set_vgpr_msb 0x50                     ;  msbs: dst=1 src0=0 src1=0 src2=1
	v_dot4_i32_iu8 v1 /*v257*/, v141, v5, v1 /*v257*/ neg_lo:[1,1,0]
	s_set_vgpr_msb 0x51                     ;  msbs: dst=1 src0=1 src1=0 src2=1
	s_delay_alu instid0(VALU_DEP_2) | instskip(SKIP_1) | instid1(VALU_DEP_2)
	v_dot4_i32_iu8 v6 /*v262*/, v21 /*v277*/, v234, v6 /*v262*/ neg_lo:[1,1,0]
	s_set_vgpr_msb 0x50                     ;  msbs: dst=1 src0=0 src1=0 src2=1
	v_dot4_i32_iu8 v1 /*v257*/, v138, v6, v1 /*v257*/ neg_lo:[1,1,0]
	s_set_vgpr_msb 0x51                     ;  msbs: dst=1 src0=1 src1=0 src2=1
	s_delay_alu instid0(VALU_DEP_2) | instskip(SKIP_1) | instid1(VALU_DEP_2)
	v_dot4_i32_iu8 v6 /*v262*/, v22 /*v278*/, v235, v6 /*v262*/ neg_lo:[1,1,0]
	s_set_vgpr_msb 0x50                     ;  msbs: dst=1 src0=0 src1=0 src2=1
	v_dot4_i32_iu8 v1 /*v257*/, v139, v7, v1 /*v257*/ neg_lo:[1,1,0]
	s_set_vgpr_msb 0x51                     ;  msbs: dst=1 src0=1 src1=0 src2=1
	s_delay_alu instid0(VALU_DEP_2) | instskip(NEXT) | instid1(VALU_DEP_2)
	v_dot4_i32_iu8 v6 /*v262*/, v23 /*v279*/, v237, v6 /*v262*/ neg_lo:[1,1,0]
	v_mul_lo_u32 v1 /*v257*/, v1 /*v257*/, v229
	s_set_vgpr_msb 0x54                     ;  msbs: dst=1 src0=0 src1=1 src2=1
	s_delay_alu instid0(VALU_DEP_2) | instskip(SKIP_1) | instid1(VALU_DEP_1)
	v_mad_i32_i24 v6 /*v262*/, v232, v18 /*v274*/, v6 /*v262*/
	s_set_vgpr_msb 0x50                     ;  msbs: dst=1 src0=0 src1=0 src2=1
	v_dot4_i32_iu8 v6 /*v262*/, v251, v17, v6 /*v262*/ neg_lo:[1,1,0]
	s_set_vgpr_msb 0x41                     ;  msbs: dst=1 src0=1 src1=0 src2=0
	s_delay_alu instid0(VALU_DEP_3) | instskip(SKIP_1) | instid1(VALU_DEP_2)
	v_cvt_f32_i32_e32 v7 /*v263*/, v1 /*v257*/
	s_set_vgpr_msb 0x50                     ;  msbs: dst=1 src0=0 src1=0 src2=1
	v_dot4_i32_iu8 v10 /*v266*/, v253, v18, v6 /*v262*/ neg_lo:[1,1,0]
	s_set_vgpr_msb 0x41                     ;  msbs: dst=1 src0=1 src1=0 src2=0
	v_mul_lo_u32 v6 /*v262*/, v12 /*v268*/, v229
	s_set_vgpr_msb 0x50                     ;  msbs: dst=1 src0=0 src1=0 src2=1
	s_delay_alu instid0(VALU_DEP_2) | instskip(SKIP_2) | instid1(VALU_DEP_2)
	v_dot4_i32_iu8 v1 /*v257*/, v19, v252, v10 /*v266*/ neg_lo:[1,1,0]
	v_dot4_i32_iu8 v10 /*v266*/, v15, v252, v13 /*v269*/ neg_lo:[1,1,0]
	s_set_vgpr_msb 0x41                     ;  msbs: dst=1 src0=1 src1=0 src2=0
	v_mul_lo_u32 v1 /*v257*/, v1 /*v257*/, v236
	s_delay_alu instid0(VALU_DEP_2) | instskip(SKIP_2) | instid1(VALU_DEP_1)
	v_mul_lo_u32 v10 /*v266*/, v10 /*v266*/, v236
	v_cvt_f32_i32_e32 v6 /*v262*/, v6 /*v262*/
	s_set_vgpr_msb 0x45                     ;  msbs: dst=1 src0=1 src1=1 src2=0
	v_pk_fma_f32 v[6:7] /*v[262:263]*/, v[2:3] /*v[258:259]*/, v[6:7] /*v[262:263]*/, 0 op_sel_hi:[1,1,0]
	s_delay_alu instid0(VALU_DEP_4) | instskip(NEXT) | instid1(VALU_DEP_4)
	v_cvt_f32_i32_e32 v11 /*v267*/, v1 /*v257*/
	v_cvt_f32_i32_e32 v10 /*v266*/, v10 /*v266*/
	s_set_vgpr_msb 64                       ;  msbs: dst=1 src0=0 src1=0 src2=0
	v_dot4_i32_iu8 v1 /*v257*/, v0, v154, 0 neg_lo:[1,1,0]
	s_set_vgpr_msb 0                        ;  msbs: dst=0 src0=0 src1=0 src2=0
	v_dot4_i32_iu8 v0, v0, v168, 0 neg_lo:[1,1,0]
	s_set_vgpr_msb 0x54                     ;  msbs: dst=1 src0=0 src1=1 src2=1
	v_pk_fma_f32 v[6:7] /*v[262:263]*/, v[12:13], v[10:11] /*v[266:267]*/, v[6:7] /*v[262:263]*/
	s_set_vgpr_msb 0x50                     ;  msbs: dst=1 src0=0 src1=0 src2=1
	v_dot4_i32_iu8 v1 /*v257*/, v1, v155, v1 /*v257*/ neg_lo:[1,1,0]
	s_set_vgpr_msb 0                        ;  msbs: dst=0 src0=0 src1=0 src2=0
	v_dot4_i32_iu8 v0, v1, v169, v0 neg_lo:[1,1,0]
	v_dot4_i32_iu8 v1, v170, v8, 0 neg_lo:[1,1,0]
	s_set_vgpr_msb 0x51                     ;  msbs: dst=1 src0=1 src1=0 src2=1
	v_pk_fma_f32 v[6:7] /*v[262:263]*/, v[6:7] /*v[262:263]*/, v[24:25], v[8:9] /*v[264:265]*/ neg_lo:[0,0,1] neg_hi:[0,0,1]
	s_set_vgpr_msb 0x50                     ;  msbs: dst=1 src0=0 src1=0 src2=1
	v_dot4_i32_iu8 v1 /*v257*/, v2, v156, v1 /*v257*/ neg_lo:[1,1,0]
	s_set_vgpr_msb 0                        ;  msbs: dst=0 src0=0 src1=0 src2=0
	v_dot4_i32_iu8 v0, v2, v166, v0 neg_lo:[1,1,0]
	v_dot4_i32_iu8 v1, v171, v9, v1 neg_lo:[1,1,0]
	s_set_vgpr_msb 1                        ;  msbs: dst=0 src0=1 src1=0 src2=0
	v_mul_lo_u32 v2, v16 /*v272*/, v247
	s_set_vgpr_msb 4                        ;  msbs: dst=0 src0=0 src1=1 src2=0
	v_pk_add_f32 v[84:85], v[84:85], v[6:7] /*v[262:263]*/
	s_set_vgpr_msb 0x41                     ;  msbs: dst=1 src0=1 src1=0 src2=0
	v_mul_i32_i24_e32 v6 /*v262*/, v17 /*v273*/, v239
	s_set_vgpr_msb 0                        ;  msbs: dst=0 src0=0 src1=0 src2=0
	v_dot4_i32_iu8 v0, v3, v167, v0 neg_lo:[1,1,0]
	v_dot4_i32_iu8 v1, v172, v10, v1 neg_lo:[1,1,0]
	s_set_vgpr_msb 0x50                     ;  msbs: dst=1 src0=0 src1=0 src2=1
	v_dot4_i32_iu8 v1 /*v257*/, v3, v157, v1 /*v257*/ neg_lo:[1,1,0]
	s_set_vgpr_msb 0x44                     ;  msbs: dst=1 src0=0 src1=1 src2=0
	v_pk_fma_f32 v[8:9] /*v[264:265]*/, v[158:159], v[4:5] /*v[260:261]*/, 0 op_sel_hi:[0,1,0]
	s_set_vgpr_msb 0x51                     ;  msbs: dst=1 src0=1 src1=0 src2=1
	v_dot4_i32_iu8 v6 /*v262*/, v19 /*v275*/, v240, v6 /*v262*/ neg_lo:[1,1,0]
	s_set_vgpr_msb 0                        ;  msbs: dst=0 src0=0 src1=0 src2=0
	v_dot4_i32_iu8 v0, v4, v164, v0 neg_lo:[1,1,0]
	v_dot4_i32_iu8 v1, v173, v11, v1 neg_lo:[1,1,0]
	s_set_vgpr_msb 0x50                     ;  msbs: dst=1 src0=0 src1=0 src2=1
	v_dot4_i32_iu8 v1 /*v257*/, v4, v152, v1 /*v257*/ neg_lo:[1,1,0]
	v_pk_fma_f32 v[8:9] /*v[264:265]*/, v[160:161], v[20:21], v[8:9] /*v[264:265]*/ op_sel_hi:[0,1,1]
	s_set_vgpr_msb 0x51                     ;  msbs: dst=1 src0=1 src1=0 src2=1
	v_dot4_i32_iu8 v6 /*v262*/, v20 /*v276*/, v242, v6 /*v262*/ neg_lo:[1,1,0]
	s_set_vgpr_msb 0                        ;  msbs: dst=0 src0=0 src1=0 src2=0
	v_dot4_i32_iu8 v0, v165, v5, v0 neg_lo:[1,1,0]
	v_dot4_i32_iu8 v1, v174, v16, v1 neg_lo:[1,1,0]
	s_set_vgpr_msb 0x50                     ;  msbs: dst=1 src0=0 src1=0 src2=1
	v_dot4_i32_iu8 v1 /*v257*/, v153, v5, v1 /*v257*/ neg_lo:[1,1,0]
	s_set_vgpr_msb 0                        ;  msbs: dst=0 src0=0 src1=0 src2=0
	v_dot4_i32_iu8 v5, v15, v135, v14 neg_lo:[1,1,0]
	s_set_vgpr_msb 0x51                     ;  msbs: dst=1 src0=1 src1=0 src2=1
	v_dot4_i32_iu8 v6 /*v262*/, v21 /*v277*/, v243, v6 /*v262*/ neg_lo:[1,1,0]
	s_set_vgpr_msb 0                        ;  msbs: dst=0 src0=0 src1=0 src2=0
	v_dot4_i32_iu8 v0, v162, v6, v0 neg_lo:[1,1,0]
	v_dot4_i32_iu8 v1, v175, v17, v1 neg_lo:[1,1,0]
	s_set_vgpr_msb 0x50                     ;  msbs: dst=1 src0=0 src1=0 src2=1
	v_dot4_i32_iu8 v1 /*v257*/, v150, v6, v1 /*v257*/ neg_lo:[1,1,0]
	s_set_vgpr_msb 0                        ;  msbs: dst=0 src0=0 src1=0 src2=0
	v_mul_lo_u32 v6, v5, v228
	s_set_vgpr_msb 0x51                     ;  msbs: dst=1 src0=1 src1=0 src2=1
	v_dot4_i32_iu8 v6 /*v262*/, v22 /*v278*/, v244, v6 /*v262*/ neg_lo:[1,1,0]
	s_set_vgpr_msb 0                        ;  msbs: dst=0 src0=0 src1=0 src2=0
	v_dot4_i32_iu8 v0, v163, v7, v0 neg_lo:[1,1,0]
	v_dot4_i32_iu8 v4, v134, v18, v1 neg_lo:[1,1,0]
	s_set_vgpr_msb 0x50                     ;  msbs: dst=1 src0=0 src1=0 src2=1
	v_dot4_i32_iu8 v1 /*v257*/, v151, v7, v1 /*v257*/ neg_lo:[1,1,0]
	s_set_vgpr_msb 0x51                     ;  msbs: dst=1 src0=1 src1=0 src2=1
	v_pk_mul_f32 v[8:9] /*v[264:265]*/, v[8:9] /*v[264:265]*/, v[116:117]
	v_dot4_i32_iu8 v6 /*v262*/, v23 /*v279*/, v246, v6 /*v262*/ neg_lo:[1,1,0]
	s_set_vgpr_msb 0                        ;  msbs: dst=0 src0=0 src1=0 src2=0
	v_mul_lo_u32 v0, v0, v247
	v_dot4_i32_iu8 v4, v19, v135, v4 neg_lo:[1,1,0]
	s_set_vgpr_msb 0x41                     ;  msbs: dst=1 src0=1 src1=0 src2=0
	v_mul_lo_u32 v1 /*v257*/, v1 /*v257*/, v238
	s_set_vgpr_msb 0x54                     ;  msbs: dst=1 src0=0 src1=1 src2=1
	v_mad_i32_i24 v6 /*v262*/, v241, v18 /*v274*/, v6 /*v262*/
	s_set_vgpr_msb 0                        ;  msbs: dst=0 src0=0 src1=0 src2=0
	v_mul_lo_u32 v4, v4, v228
	s_set_vgpr_msb 0x50                     ;  msbs: dst=1 src0=0 src1=0 src2=1
	s_delay_alu instid0(VALU_DEP_2)
	v_dot4_i32_iu8 v6 /*v262*/, v248, v17, v6 /*v262*/ neg_lo:[1,1,0]
	s_set_vgpr_msb 4                        ;  msbs: dst=0 src0=0 src1=1 src2=0
	v_cvt_f32_i32_e32 v1, v0
	v_cvt_f32_i32_e32 v0, v2
	v_pk_fma_f32 v[2:3], v[136:137], v[4:5] /*v[260:261]*/, 0 op_sel_hi:[0,1,0]
	s_set_vgpr_msb 0x50                     ;  msbs: dst=1 src0=0 src1=0 src2=1
	v_dot4_i32_iu8 v10 /*v266*/, v250, v18, v6 /*v262*/ neg_lo:[1,1,0]
	s_set_vgpr_msb 0x41                     ;  msbs: dst=1 src0=1 src1=0 src2=0
	v_mul_lo_u32 v6 /*v262*/, v14 /*v270*/, v238
	v_cvt_f32_i32_e32 v7 /*v263*/, v1 /*v257*/
	s_set_vgpr_msb 1                        ;  msbs: dst=0 src0=1 src1=0 src2=0
	v_pk_fma_f32 v[0:1], v[2:3] /*v[258:259]*/, v[0:1], 0 op_sel_hi:[1,1,0]
	s_set_vgpr_msb 0                        ;  msbs: dst=0 src0=0 src1=0 src2=0
	v_cvt_f32_i32_e32 v5, v4
	v_cvt_f32_i32_e32 v4, v6
	v_pk_fma_f32 v[2:3], v[120:121], v[20:21], v[2:3] op_sel_hi:[0,1,1]
	s_set_vgpr_msb 0x50                     ;  msbs: dst=1 src0=0 src1=0 src2=1
	v_dot4_i32_iu8 v1 /*v257*/, v19, v249, v10 /*v266*/ neg_lo:[1,1,0]
	v_dot4_i32_iu8 v10 /*v266*/, v15, v249, v15 /*v271*/ neg_lo:[1,1,0]
	s_set_vgpr_msb 0                        ;  msbs: dst=0 src0=0 src1=0 src2=0
	v_pk_fma_f32 v[0:1], v[12:13], v[4:5], v[0:1]
	v_pk_mul_f32 v[2:3], v[2:3], v[118:119]
	s_set_vgpr_msb 0x41                     ;  msbs: dst=1 src0=1 src1=0 src2=0
	v_mul_lo_u32 v1 /*v257*/, v1 /*v257*/, v245
	v_mul_lo_u32 v10 /*v266*/, v10 /*v266*/, v245
	v_cvt_f32_i32_e32 v6 /*v262*/, v6 /*v262*/
	s_set_vgpr_msb 0                        ;  msbs: dst=0 src0=0 src1=0 src2=0
	v_pk_fma_f32 v[0:1], v[0:1], v[110:111], v[2:3] neg_lo:[0,0,1] neg_hi:[0,0,1]
	s_set_vgpr_msb 0x45                     ;  msbs: dst=1 src0=1 src1=1 src2=0
	s_delay_alu instid0(VALU_DEP_2) | instskip(SKIP_1) | instid1(VALU_DEP_2)
	v_pk_fma_f32 v[6:7] /*v[262:263]*/, v[2:3] /*v[258:259]*/, v[6:7] /*v[262:263]*/, 0 op_sel_hi:[1,1,0]
	s_set_vgpr_msb 0                        ;  msbs: dst=0 src0=0 src1=0 src2=0
	v_pk_add_f32 v[102:103], v[102:103], v[0:1]
	v_or_b32_e32 v0, s7, v205
	s_set_vgpr_msb 0x41                     ;  msbs: dst=1 src0=1 src1=0 src2=0
	v_cvt_f32_i32_e32 v11 /*v267*/, v1 /*v257*/
	v_cvt_f32_i32_e32 v10 /*v266*/, v10 /*v266*/
	s_set_vgpr_msb 0                        ;  msbs: dst=0 src0=0 src1=0 src2=0
	v_dual_lshlrev_b32 v1, 2, v0 :: v_dual_lshrrev_b32 v16, 1, v0
	s_set_vgpr_msb 0x54                     ;  msbs: dst=1 src0=0 src1=1 src2=1
	s_delay_alu instid0(VALU_DEP_2)
	v_pk_fma_f32 v[6:7] /*v[262:263]*/, v[12:13], v[10:11] /*v[266:267]*/, v[6:7] /*v[262:263]*/
	s_set_vgpr_msb 0                        ;  msbs: dst=0 src0=0 src1=0 src2=0
	ds_load_b128 v[4:7], v1 offset:33280
	ds_load_b128 v[8:11], v1 offset:33296
	;; [unrolled: 1-line block ×4, first 2 shown]
	ds_load_b64 v[20:21], v16 offset:43584
	s_set_vgpr_msb 0x51                     ;  msbs: dst=1 src0=1 src1=0 src2=1
	v_pk_fma_f32 v[6:7] /*v[262:263]*/, v[6:7] /*v[262:263]*/, v[26:27], v[8:9] /*v[264:265]*/ neg_lo:[0,0,1] neg_hi:[0,0,1]
	s_set_vgpr_msb 4                        ;  msbs: dst=0 src0=0 src1=1 src2=0
	s_delay_alu instid0(VALU_DEP_1)
	v_pk_add_f32 v[94:95], v[94:95], v[6:7] /*v[262:263]*/
	s_wait_dscnt 0x4
	s_set_vgpr_msb 0                        ;  msbs: dst=0 src0=0 src1=0 src2=0
	v_dot4_i32_iu8 v18, v4, v128, 0 neg_lo:[1,1,0]
	s_wait_dscnt 0x2
	v_bfe_i32 v16, v12, 0, 8
	v_perm_b32 v19, v12, v12, 0xc0c0201
	s_set_vgpr_msb 64                       ;  msbs: dst=1 src0=0 src1=0 src2=0
	v_perm_b32 v1 /*v257*/, v13, v12, 0x6050403
	s_set_vgpr_msb 0                        ;  msbs: dst=0 src0=0 src1=0 src2=0
	v_dot4_i32_iu8 v18, v5, v129, v18 neg_lo:[1,1,0]
	s_set_vgpr_msb 64                       ;  msbs: dst=1 src0=0 src1=0 src2=0
	v_perm_b32 v3 /*v259*/, v14, v13, 0x6050403
	v_perm_b32 v7 /*v263*/, v15, v14, 0x6050403
	s_wait_dscnt 0x1
	v_perm_b32 v8 /*v264*/, v0, v15, 0x6050403
	s_set_vgpr_msb 0                        ;  msbs: dst=0 src0=0 src1=0 src2=0
	v_ashrrev_i32_e32 v17, 24, v0
	v_dot4_i32_iu8 v18, v6, v130, v18 neg_lo:[1,1,0]
	s_wait_dscnt 0x0
	s_set_vgpr_msb 64                       ;  msbs: dst=1 src0=0 src1=0 src2=0
	v_lshrrev_b32_e32 v5 /*v261*/, 16, v21
	s_set_vgpr_msb 0                        ;  msbs: dst=0 src0=0 src1=0 src2=0
	v_dot4_i32_iu8 v18, v7, v131, v18 neg_lo:[1,1,0]
	s_delay_alu instid0(VALU_DEP_1) | instskip(NEXT) | instid1(VALU_DEP_1)
	v_dot4_i32_iu8 v18, v8, v126, v18 neg_lo:[1,1,0]
	v_dot4_i32_iu8 v18, v127, v9, v18 neg_lo:[1,1,0]
	s_delay_alu instid0(VALU_DEP_1) | instskip(SKIP_1) | instid1(VALU_DEP_1)
	v_dot4_i32_iu8 v18, v124, v10, v18 neg_lo:[1,1,0]
	s_set_vgpr_msb 64                       ;  msbs: dst=1 src0=0 src1=0 src2=0
	v_dot4_i32_iu8 v6 /*v262*/, v125, v11, v18 neg_lo:[1,1,0]
	s_set_vgpr_msb 0                        ;  msbs: dst=0 src0=0 src1=0 src2=0
	v_mul_i32_i24_e32 v18, v16, v221
	s_delay_alu instid0(VALU_DEP_1) | instskip(SKIP_1) | instid1(VALU_DEP_1)
	v_dot4_i32_iu8 v18, v19, v222, v18 neg_lo:[1,1,0]
	s_set_vgpr_msb 1                        ;  msbs: dst=0 src0=1 src1=0 src2=0
	v_dot4_i32_iu8 v18, v1 /*v257*/, v224, v18 neg_lo:[1,1,0]
	s_delay_alu instid0(VALU_DEP_1) | instskip(NEXT) | instid1(VALU_DEP_1)
	v_dot4_i32_iu8 v18, v3 /*v259*/, v225, v18 neg_lo:[1,1,0]
	v_dot4_i32_iu8 v18, v7 /*v263*/, v226, v18 neg_lo:[1,1,0]
	s_delay_alu instid0(VALU_DEP_1) | instskip(SKIP_1) | instid1(VALU_DEP_1)
	v_dot4_i32_iu8 v18, v8 /*v264*/, v227, v18 neg_lo:[1,1,0]
	s_set_vgpr_msb 0                        ;  msbs: dst=0 src0=0 src1=0 src2=0
	v_mad_i32_i24 v18, v147, v17, v18
	s_delay_alu instid0(VALU_DEP_1) | instskip(SKIP_1) | instid1(VALU_DEP_1)
	v_dot4_i32_iu8 v18, v255, v1, v18 neg_lo:[1,1,0]
	s_set_vgpr_msb 0x41                     ;  msbs: dst=1 src0=1 src1=0 src2=0
	v_dot4_i32_iu8 v9 /*v265*/, v0 /*v256*/, v2, v18 neg_lo:[1,1,0]
	s_set_vgpr_msb 0                        ;  msbs: dst=0 src0=0 src1=0 src2=0
	v_dot4_i32_iu8 v18, v4, v142, 0 neg_lo:[1,1,0]
	s_delay_alu instid0(VALU_DEP_1) | instskip(NEXT) | instid1(VALU_DEP_1)
	v_dot4_i32_iu8 v18, v5, v143, v18 neg_lo:[1,1,0]
	v_dot4_i32_iu8 v18, v6, v144, v18 neg_lo:[1,1,0]
	s_delay_alu instid0(VALU_DEP_1) | instskip(NEXT) | instid1(VALU_DEP_1)
	v_dot4_i32_iu8 v18, v7, v145, v18 neg_lo:[1,1,0]
	;; [unrolled: 3-line block ×3, first 2 shown]
	v_dot4_i32_iu8 v18, v138, v10, v18 neg_lo:[1,1,0]
	s_set_vgpr_msb 64                       ;  msbs: dst=1 src0=0 src1=0 src2=0
	s_delay_alu instid0(VALU_DEP_1) | instskip(SKIP_3) | instid1(VALU_DEP_2)
	v_dot4_i32_iu8 v10 /*v266*/, v139, v11, v18 neg_lo:[1,1,0]
	s_set_vgpr_msb 0                        ;  msbs: dst=0 src0=0 src1=0 src2=0
	v_mul_i32_i24_e32 v18, v16, v230
	v_mul_i32_i24_e32 v16, v16, v239
	v_dot4_i32_iu8 v18, v19, v231, v18 neg_lo:[1,1,0]
	s_delay_alu instid0(VALU_DEP_2) | instskip(SKIP_1) | instid1(VALU_DEP_2)
	v_dot4_i32_iu8 v16, v19, v240, v16 neg_lo:[1,1,0]
	s_set_vgpr_msb 1                        ;  msbs: dst=0 src0=1 src1=0 src2=0
	v_dot4_i32_iu8 v18, v1 /*v257*/, v233, v18 neg_lo:[1,1,0]
	s_delay_alu instid0(VALU_DEP_2) | instskip(NEXT) | instid1(VALU_DEP_2)
	v_dot4_i32_iu8 v16, v1 /*v257*/, v242, v16 neg_lo:[1,1,0]
	v_dot4_i32_iu8 v18, v3 /*v259*/, v234, v18 neg_lo:[1,1,0]
	s_delay_alu instid0(VALU_DEP_2) | instskip(NEXT) | instid1(VALU_DEP_2)
	v_dot4_i32_iu8 v16, v3 /*v259*/, v243, v16 neg_lo:[1,1,0]
	v_dot4_i32_iu8 v18, v7 /*v263*/, v235, v18 neg_lo:[1,1,0]
	s_delay_alu instid0(VALU_DEP_2) | instskip(NEXT) | instid1(VALU_DEP_2)
	v_dot4_i32_iu8 v16, v7 /*v263*/, v244, v16 neg_lo:[1,1,0]
	v_dot4_i32_iu8 v18, v8 /*v264*/, v237, v18 neg_lo:[1,1,0]
	s_delay_alu instid0(VALU_DEP_2) | instskip(SKIP_1) | instid1(VALU_DEP_2)
	v_dot4_i32_iu8 v16, v8 /*v264*/, v246, v16 neg_lo:[1,1,0]
	s_set_vgpr_msb 0                        ;  msbs: dst=0 src0=0 src1=0 src2=0
	v_mad_i32_i24 v18, v232, v17, v18
	s_delay_alu instid0(VALU_DEP_2) | instskip(NEXT) | instid1(VALU_DEP_2)
	v_mad_i32_i24 v16, v241, v17, v16
	v_dot4_i32_iu8 v18, v251, v1, v18 neg_lo:[1,1,0]
	s_delay_alu instid0(VALU_DEP_2) | instskip(SKIP_1) | instid1(VALU_DEP_2)
	v_dot4_i32_iu8 v16, v248, v1, v16 neg_lo:[1,1,0]
	s_set_vgpr_msb 64                       ;  msbs: dst=1 src0=0 src1=0 src2=0
	v_dot4_i32_iu8 v11 /*v267*/, v253, v2, v18 neg_lo:[1,1,0]
	s_set_vgpr_msb 0                        ;  msbs: dst=0 src0=0 src1=0 src2=0
	v_dot4_i32_iu8 v18, v4, v154, 0 neg_lo:[1,1,0]
	v_dot4_i32_iu8 v4, v4, v168, 0 neg_lo:[1,1,0]
	s_set_vgpr_msb 64                       ;  msbs: dst=1 src0=0 src1=0 src2=0
	v_dot4_i32_iu8 v3 /*v259*/, v250, v2, v16 neg_lo:[1,1,0]
	s_set_vgpr_msb 0                        ;  msbs: dst=0 src0=0 src1=0 src2=0
	v_dot4_i32_iu8 v18, v5, v155, v18 neg_lo:[1,1,0]
	v_dot4_i32_iu8 v4, v5, v169, v4 neg_lo:[1,1,0]
	s_delay_alu instid0(VALU_DEP_2) | instskip(NEXT) | instid1(VALU_DEP_2)
	v_dot4_i32_iu8 v18, v6, v156, v18 neg_lo:[1,1,0]
	v_dot4_i32_iu8 v4, v6, v166, v4 neg_lo:[1,1,0]
	s_delay_alu instid0(VALU_DEP_2) | instskip(NEXT) | instid1(VALU_DEP_2)
	;; [unrolled: 3-line block ×5, first 2 shown]
	v_dot4_i32_iu8 v18, v150, v10, v18 neg_lo:[1,1,0]
	v_dot4_i32_iu8 v4, v162, v10, v4 neg_lo:[1,1,0]
	s_set_vgpr_msb 64                       ;  msbs: dst=1 src0=0 src1=0 src2=0
	s_delay_alu instid0(VALU_DEP_2) | instskip(NEXT) | instid1(VALU_DEP_2)
	v_dot4_i32_iu8 v2 /*v258*/, v151, v11, v18 neg_lo:[1,1,0]
	v_dot4_i32_iu8 v1 /*v257*/, v163, v11, v4 neg_lo:[1,1,0]
	s_set_vgpr_msb 0                        ;  msbs: dst=0 src0=0 src1=0 src2=0
	v_dot4_i32_iu8 v4, v170, v12, 0 neg_lo:[1,1,0]
	s_delay_alu instid0(VALU_DEP_1) | instskip(NEXT) | instid1(VALU_DEP_1)
	v_dot4_i32_iu8 v4, v171, v13, v4 neg_lo:[1,1,0]
	v_dot4_i32_iu8 v4, v172, v14, v4 neg_lo:[1,1,0]
	s_delay_alu instid0(VALU_DEP_1) | instskip(NEXT) | instid1(VALU_DEP_1)
	v_dot4_i32_iu8 v4, v173, v15, v4 neg_lo:[1,1,0]
	;; [unrolled: 3-line block ×3, first 2 shown]
	v_dot4_i32_iu8 v2, v134, v2, v0 neg_lo:[1,1,0]
	v_or_b32_e32 v0, s7, v206
	s_delay_alu instid0(VALU_DEP_2) | instskip(NEXT) | instid1(VALU_DEP_2)
	v_dot4_i32_iu8 v2, v3, v135, v2 neg_lo:[1,1,0]
	v_dual_lshlrev_b32 v1, 2, v0 :: v_dual_lshrrev_b32 v0, 1, v0
	ds_load_b128 v[16:19], v1 offset:33280
	ds_load_b128 v[12:15], v1 offset:33296
	;; [unrolled: 1-line block ×4, first 2 shown]
	ds_load_b64 v[0:1], v0 offset:43584
	s_set_vgpr_msb 64                       ;  msbs: dst=1 src0=0 src1=0 src2=0
	v_lshrrev_b32_e32 v4 /*v260*/, 16, v20
	s_set_vgpr_msb 0                        ;  msbs: dst=0 src0=0 src1=0 src2=0
	v_mul_lo_u32 v2, v2, v228
	s_delay_alu instid0(VALU_DEP_1)
	v_cvt_f32_i32_e32 v2, v2
	s_wait_dscnt 0x4
	v_dot4_i32_iu8 v128, v16, v128, 0 neg_lo:[1,1,0]
	s_wait_dscnt 0x2
	s_set_vgpr_msb 64                       ;  msbs: dst=1 src0=0 src1=0 src2=0
	v_bfe_i32 v8 /*v264*/, v8, 0, 8
	s_wait_dscnt 0x1
	v_ashrrev_i32_e32 v12 /*v268*/, 24, v4
	s_wait_dscnt 0x0
	v_lshrrev_b32_e32 v7 /*v263*/, 16, v0
	s_set_vgpr_msb 0                        ;  msbs: dst=0 src0=0 src1=0 src2=0
	v_dot4_i32_iu8 v128, v17, v129, v128 neg_lo:[1,1,0]
	s_set_vgpr_msb 64                       ;  msbs: dst=1 src0=0 src1=0 src2=0
	v_lshrrev_b32_e32 v13 /*v269*/, 16, v1
	s_set_vgpr_msb 0                        ;  msbs: dst=0 src0=0 src1=0 src2=0
	v_cvt_f32_f16_e64 v129, v0
	s_set_vgpr_msb 1                        ;  msbs: dst=0 src0=1 src1=0 src2=0
	v_cvt_f32_f16_e64 v0, v5 /*v261*/
	s_set_vgpr_msb 0                        ;  msbs: dst=0 src0=0 src1=0 src2=0
	v_dot4_i32_iu8 v128, v18, v130, v128 neg_lo:[1,1,0]
	s_delay_alu instid0(VALU_DEP_1) | instskip(NEXT) | instid1(VALU_DEP_1)
	v_dot4_i32_iu8 v128, v19, v131, v128 neg_lo:[1,1,0]
	v_dot4_i32_iu8 v126, v12, v126, v128 neg_lo:[1,1,0]
	v_cvt_f32_f16_e64 v128, v20
	s_set_vgpr_msb 1                        ;  msbs: dst=0 src0=1 src1=0 src2=0
	v_mul_lo_u32 v20, v6 /*v262*/, v123
	s_set_vgpr_msb 0                        ;  msbs: dst=0 src0=0 src1=0 src2=0
	v_dot4_i32_iu8 v126, v127, v13, v126 neg_lo:[1,1,0]
	s_set_vgpr_msb 1                        ;  msbs: dst=0 src0=1 src1=0 src2=0
	v_cvt_f32_f16_e64 v127, v7 /*v263*/
	s_set_vgpr_msb 0                        ;  msbs: dst=0 src0=0 src1=0 src2=0
	s_delay_alu instid0(VALU_DEP_2)
	v_dot4_i32_iu8 v124, v124, v14, v126 neg_lo:[1,1,0]
	s_set_vgpr_msb 1                        ;  msbs: dst=0 src0=1 src1=0 src2=0
	v_cvt_f32_f16_e64 v126, v4 /*v260*/
	s_set_vgpr_msb 0                        ;  msbs: dst=0 src0=0 src1=0 src2=0
	v_cvt_f32_i32_e32 v20, v20
	v_dot4_i32_iu8 v130, v125, v15, v124 neg_lo:[1,1,0]
	s_set_vgpr_msb 1                        ;  msbs: dst=0 src0=1 src1=0 src2=0
	v_mul_i32_i24_e32 v124, v8 /*v264*/, v221
	s_set_vgpr_msb 0                        ;  msbs: dst=0 src0=0 src1=0 src2=0
	v_perm_b32 v221, v8, v8, 0xc0c0201
	v_cvt_f32_f16_e32 v125, v1
	s_set_vgpr_msb 1                        ;  msbs: dst=0 src0=1 src1=0 src2=0
	v_cvt_f32_f16_e64 v1, v13 /*v269*/
	s_set_vgpr_msb 0                        ;  msbs: dst=0 src0=0 src1=0 src2=0
	v_dot4_i32_iu8 v124, v221, v222, v124 neg_lo:[1,1,0]
	v_perm_b32 v222, v9, v8, 0x6050403
	v_dot4_i32_iu8 v8, v170, v8, 0 neg_lo:[1,1,0]
	s_delay_alu instid0(VALU_DEP_2) | instskip(SKIP_1) | instid1(VALU_DEP_3)
	v_dot4_i32_iu8 v124, v222, v224, v124 neg_lo:[1,1,0]
	v_perm_b32 v224, v10, v9, 0x6050403
	v_dot4_i32_iu8 v8, v171, v9, v8 neg_lo:[1,1,0]
	s_delay_alu instid0(VALU_DEP_2) | instskip(SKIP_1) | instid1(VALU_DEP_3)
	v_dot4_i32_iu8 v124, v224, v225, v124 neg_lo:[1,1,0]
	v_perm_b32 v225, v11, v10, 0x6050403
	v_dot4_i32_iu8 v8, v172, v10, v8 neg_lo:[1,1,0]
	s_delay_alu instid0(VALU_DEP_2) | instskip(SKIP_1) | instid1(VALU_DEP_3)
	v_dot4_i32_iu8 v124, v225, v226, v124 neg_lo:[1,1,0]
	v_perm_b32 v226, v4, v11, 0x6050403
	v_dot4_i32_iu8 v8, v173, v11, v8 neg_lo:[1,1,0]
	s_delay_alu instid0(VALU_DEP_2) | instskip(NEXT) | instid1(VALU_DEP_2)
	v_dot4_i32_iu8 v124, v226, v227, v124 neg_lo:[1,1,0]
	v_dot4_i32_iu8 v4, v174, v4, v8 neg_lo:[1,1,0]
	v_pk_fma_f32 v[8:9], v[136:137], v[126:127], 0 op_sel_hi:[0,1,0]
	s_set_vgpr_msb 4                        ;  msbs: dst=0 src0=0 src1=1 src2=0
	s_delay_alu instid0(VALU_DEP_3) | instskip(SKIP_2) | instid1(VALU_DEP_2)
	v_mad_i32_i24 v124, v147, v12 /*v268*/, v124
	s_set_vgpr_msb 0                        ;  msbs: dst=0 src0=0 src1=0 src2=0
	v_dot4_i32_iu8 v4, v175, v5, v4 neg_lo:[1,1,0]
	v_dot4_i32_iu8 v124, v255, v5, v124 neg_lo:[1,1,0]
	s_set_vgpr_msb 1                        ;  msbs: dst=0 src0=1 src1=0 src2=0
	s_delay_alu instid0(VALU_DEP_1)
	v_dot4_i32_iu8 v131, v0 /*v256*/, v6, v124 neg_lo:[1,1,0]
	s_set_vgpr_msb 0                        ;  msbs: dst=0 src0=0 src1=0 src2=0
	v_cvt_f32_f16_e32 v124, v21
	v_mul_lo_u32 v21, v130, v123
	v_pk_fma_f32 v[122:123], v[122:123], v[126:127], 0 op_sel_hi:[0,1,0]
	v_dot4_i32_iu8 v130, v7, v254, v131 neg_lo:[1,1,0]
	s_set_vgpr_msb 16                       ;  msbs: dst=0 src0=0 src1=0 src2=1
	v_dot4_i32_iu8 v131, v3, v254, v9 /*v265*/ neg_lo:[1,1,0]
	s_set_vgpr_msb 0                        ;  msbs: dst=0 src0=0 src1=0 src2=0
	v_pk_fma_f32 v[122:123], v[132:133], v[0:1], v[122:123] op_sel_hi:[0,1,1]
	v_mul_lo_u32 v130, v130, v223
	s_delay_alu instid0(VALU_DEP_3) | instskip(SKIP_1) | instid1(VALU_DEP_4)
	v_mul_lo_u32 v147, v131, v223
	v_cvt_f32_i32_e32 v21, v21
	v_pk_mul_f32 v[122:123], v[122:123], v[112:113]
	s_delay_alu instid0(VALU_DEP_2) | instskip(SKIP_2) | instid1(VALU_DEP_1)
	v_pk_fma_f32 v[20:21], v[128:129], v[20:21], 0 op_sel_hi:[1,1,0]
	v_cvt_f32_i32_e32 v131, v130
	v_cvt_f32_i32_e32 v130, v147
	v_pk_fma_f32 v[20:21], v[124:125], v[130:131], v[20:21]
	s_set_vgpr_msb 16                       ;  msbs: dst=0 src0=0 src1=0 src2=1
	v_dot4_i32_iu8 v131, v3, v252, v11 /*v267*/ neg_lo:[1,1,0]
	s_set_vgpr_msb 0                        ;  msbs: dst=0 src0=0 src1=0 src2=0
	s_delay_alu instid0(VALU_DEP_2)
	v_pk_fma_f32 v[20:21], v[20:21], v[22:23], v[122:123] neg_lo:[0,0,1] neg_hi:[0,0,1]
	s_set_vgpr_msb 1                        ;  msbs: dst=0 src0=1 src1=0 src2=0
	v_mul_lo_u32 v122, v10 /*v266*/, v229
	s_set_vgpr_msb 0                        ;  msbs: dst=0 src0=0 src1=0 src2=0
	v_mul_lo_u32 v132, v131, v236
	v_pk_add_f32 v[72:73], v[72:73], v[20:21]
	s_set_vgpr_msb 1                        ;  msbs: dst=0 src0=1 src1=0 src2=0
	v_mul_i32_i24_e32 v21, v8 /*v264*/, v230
	s_set_vgpr_msb 0                        ;  msbs: dst=0 src0=0 src1=0 src2=0
	v_dot4_i32_iu8 v20, v16, v142, 0 neg_lo:[1,1,0]
	s_delay_alu instid0(VALU_DEP_2) | instskip(NEXT) | instid1(VALU_DEP_2)
	v_dot4_i32_iu8 v21, v221, v231, v21 neg_lo:[1,1,0]
	v_dot4_i32_iu8 v20, v17, v143, v20 neg_lo:[1,1,0]
	s_delay_alu instid0(VALU_DEP_2) | instskip(NEXT) | instid1(VALU_DEP_2)
	v_dot4_i32_iu8 v21, v222, v233, v21 neg_lo:[1,1,0]
	v_dot4_i32_iu8 v20, v18, v144, v20 neg_lo:[1,1,0]
	s_delay_alu instid0(VALU_DEP_2) | instskip(NEXT) | instid1(VALU_DEP_2)
	v_dot4_i32_iu8 v21, v224, v234, v21 neg_lo:[1,1,0]
	v_dot4_i32_iu8 v20, v19, v145, v20 neg_lo:[1,1,0]
	s_delay_alu instid0(VALU_DEP_2) | instskip(NEXT) | instid1(VALU_DEP_2)
	v_dot4_i32_iu8 v21, v225, v235, v21 neg_lo:[1,1,0]
	v_dot4_i32_iu8 v20, v12, v140, v20 neg_lo:[1,1,0]
	s_delay_alu instid0(VALU_DEP_2) | instskip(NEXT) | instid1(VALU_DEP_2)
	v_dot4_i32_iu8 v21, v226, v237, v21 neg_lo:[1,1,0]
	v_dot4_i32_iu8 v20, v141, v13, v20 neg_lo:[1,1,0]
	s_set_vgpr_msb 4                        ;  msbs: dst=0 src0=0 src1=1 src2=0
	s_delay_alu instid0(VALU_DEP_2) | instskip(SKIP_1) | instid1(VALU_DEP_2)
	v_mad_i32_i24 v21, v232, v12 /*v268*/, v21
	s_set_vgpr_msb 0                        ;  msbs: dst=0 src0=0 src1=0 src2=0
	v_dot4_i32_iu8 v20, v138, v14, v20 neg_lo:[1,1,0]
	s_delay_alu instid0(VALU_DEP_2) | instskip(NEXT) | instid1(VALU_DEP_2)
	v_dot4_i32_iu8 v21, v251, v5, v21 neg_lo:[1,1,0]
	v_dot4_i32_iu8 v20, v139, v15, v20 neg_lo:[1,1,0]
	s_delay_alu instid0(VALU_DEP_2) | instskip(NEXT) | instid1(VALU_DEP_2)
	v_dot4_i32_iu8 v130, v253, v6, v21 neg_lo:[1,1,0]
	v_mul_lo_u32 v20, v20, v229
	s_delay_alu instid0(VALU_DEP_2) | instskip(NEXT) | instid1(VALU_DEP_1)
	v_dot4_i32_iu8 v130, v7, v252, v130 neg_lo:[1,1,0]
	v_mul_lo_u32 v130, v130, v236
	s_delay_alu instid0(VALU_DEP_3) | instskip(SKIP_2) | instid1(VALU_DEP_2)
	v_cvt_f32_i32_e32 v21, v20
	v_cvt_f32_i32_e32 v20, v122
	v_pk_fma_f32 v[122:123], v[146:147], v[126:127], 0 op_sel_hi:[0,1,0]
	v_pk_fma_f32 v[20:21], v[128:129], v[20:21], 0 op_sel_hi:[1,1,0]
	s_delay_alu instid0(VALU_DEP_2) | instskip(SKIP_2) | instid1(VALU_DEP_3)
	v_pk_fma_f32 v[122:123], v[148:149], v[0:1], v[122:123] op_sel_hi:[0,1,1]
	v_cvt_f32_i32_e32 v131, v130
	v_cvt_f32_i32_e32 v130, v132
	v_pk_mul_f32 v[122:123], v[122:123], v[114:115]
	s_delay_alu instid0(VALU_DEP_2) | instskip(SKIP_3) | instid1(VALU_DEP_2)
	v_pk_fma_f32 v[20:21], v[124:125], v[130:131], v[20:21]
	s_set_vgpr_msb 16                       ;  msbs: dst=0 src0=0 src1=0 src2=1
	v_dot4_i32_iu8 v131, v3, v249, v3 /*v259*/ neg_lo:[1,1,0]
	s_set_vgpr_msb 0                        ;  msbs: dst=0 src0=0 src1=0 src2=0
	v_pk_fma_f32 v[20:21], v[20:21], v[24:25], v[122:123] neg_lo:[0,0,1] neg_hi:[0,0,1]
	s_set_vgpr_msb 1                        ;  msbs: dst=0 src0=1 src1=0 src2=0
	v_mul_lo_u32 v122, v2 /*v258*/, v238
	s_set_vgpr_msb 0                        ;  msbs: dst=0 src0=0 src1=0 src2=0
	v_mul_lo_u32 v132, v131, v245
	v_pk_add_f32 v[80:81], v[80:81], v[20:21]
	s_set_vgpr_msb 1                        ;  msbs: dst=0 src0=1 src1=0 src2=0
	v_mul_i32_i24_e32 v21, v8 /*v264*/, v239
	s_set_vgpr_msb 0                        ;  msbs: dst=0 src0=0 src1=0 src2=0
	v_dot4_i32_iu8 v20, v16, v154, 0 neg_lo:[1,1,0]
	v_dot4_i32_iu8 v16, v16, v168, 0 neg_lo:[1,1,0]
	s_delay_alu instid0(VALU_DEP_3) | instskip(NEXT) | instid1(VALU_DEP_3)
	v_dot4_i32_iu8 v21, v221, v240, v21 neg_lo:[1,1,0]
	v_dot4_i32_iu8 v20, v17, v155, v20 neg_lo:[1,1,0]
	s_delay_alu instid0(VALU_DEP_3) | instskip(NEXT) | instid1(VALU_DEP_3)
	;; [unrolled: 3-line block ×7, first 2 shown]
	v_dot4_i32_iu8 v21, v226, v246, v21 neg_lo:[1,1,0]
	v_dot4_i32_iu8 v20, v153, v13, v20 neg_lo:[1,1,0]
	s_delay_alu instid0(VALU_DEP_3) | instskip(SKIP_1) | instid1(VALU_DEP_3)
	v_dot4_i32_iu8 v12, v165, v13, v12 neg_lo:[1,1,0]
	s_set_vgpr_msb 4                        ;  msbs: dst=0 src0=0 src1=1 src2=0
	v_mad_i32_i24 v21, v241, v12 /*v268*/, v21
	s_set_vgpr_msb 0                        ;  msbs: dst=0 src0=0 src1=0 src2=0
	v_dot4_i32_iu8 v20, v150, v14, v20 neg_lo:[1,1,0]
	v_dot4_i32_iu8 v12, v162, v14, v12 neg_lo:[1,1,0]
	s_delay_alu instid0(VALU_DEP_3) | instskip(NEXT) | instid1(VALU_DEP_3)
	v_dot4_i32_iu8 v21, v248, v5, v21 neg_lo:[1,1,0]
	v_dot4_i32_iu8 v20, v151, v15, v20 neg_lo:[1,1,0]
	s_delay_alu instid0(VALU_DEP_3) | instskip(NEXT) | instid1(VALU_DEP_3)
	v_dot4_i32_iu8 v12, v163, v15, v12 neg_lo:[1,1,0]
	v_dot4_i32_iu8 v130, v250, v6, v21 neg_lo:[1,1,0]
	;; [unrolled: 1-line block ×3, first 2 shown]
	s_delay_alu instid0(VALU_DEP_4)
	v_mul_lo_u32 v20, v20, v238
	s_set_vgpr_msb 1                        ;  msbs: dst=0 src0=1 src1=0 src2=0
	v_mul_lo_u32 v4, v1 /*v257*/, v247
	s_set_vgpr_msb 0                        ;  msbs: dst=0 src0=0 src1=0 src2=0
	v_mul_lo_u32 v5, v12, v247
	v_dot4_i32_iu8 v130, v7, v249, v130 neg_lo:[1,1,0]
	v_dot4_i32_iu8 v6, v7, v135, v6 neg_lo:[1,1,0]
	s_delay_alu instid0(VALU_DEP_2) | instskip(NEXT) | instid1(VALU_DEP_2)
	v_mul_lo_u32 v130, v130, v245
	v_mul_lo_u32 v3, v6, v228
	v_cvt_f32_i32_e32 v21, v20
	v_cvt_f32_i32_e32 v20, v122
	v_pk_fma_f32 v[122:123], v[158:159], v[126:127], 0 op_sel_hi:[0,1,0]
	v_cvt_f32_i32_e32 v5, v5
	v_cvt_f32_i32_e32 v4, v4
	s_delay_alu instid0(VALU_DEP_4) | instskip(NEXT) | instid1(VALU_DEP_4)
	v_pk_fma_f32 v[20:21], v[128:129], v[20:21], 0 op_sel_hi:[1,1,0]
	v_pk_fma_f32 v[122:123], v[160:161], v[0:1], v[122:123] op_sel_hi:[0,1,1]
	v_cvt_f32_i32_e32 v131, v130
	v_cvt_f32_i32_e32 v130, v132
	v_pk_fma_f32 v[4:5], v[128:129], v[4:5], 0 op_sel_hi:[1,1,0]
	v_cvt_f32_i32_e32 v3, v3
	v_pk_fma_f32 v[0:1], v[120:121], v[0:1], v[8:9] op_sel_hi:[0,1,1]
	v_pk_mul_f32 v[122:123], v[122:123], v[116:117]
	v_pk_fma_f32 v[20:21], v[124:125], v[130:131], v[20:21]
	s_delay_alu instid0(VALU_DEP_4) | instskip(NEXT) | instid1(VALU_DEP_4)
	v_pk_fma_f32 v[2:3], v[124:125], v[2:3], v[4:5]
	v_pk_mul_f32 v[0:1], v[0:1], v[118:119]
	s_delay_alu instid0(VALU_DEP_3) | instskip(NEXT) | instid1(VALU_DEP_2)
	v_pk_fma_f32 v[20:21], v[20:21], v[26:27], v[122:123] neg_lo:[0,0,1] neg_hi:[0,0,1]
	v_pk_fma_f32 v[0:1], v[2:3], v[110:111], v[0:1] neg_lo:[0,0,1] neg_hi:[0,0,1]
	s_delay_alu instid0(VALU_DEP_2) | instskip(NEXT) | instid1(VALU_DEP_2)
	v_pk_add_f32 v[86:87], v[86:87], v[20:21]
	v_pk_add_f32 v[96:97], v[96:97], v[0:1]
	s_cbranch_vccnz .LBB154_6
; %bb.7:                                ;   in Loop: Header=BB154_5 Depth=1
	v_add_nc_u32_e32 v8, s4, v193
	v_add_nc_u32_e32 v16, 4, v121
	s_barrier_signal -1
	s_barrier_wait -1
	s_delay_alu instid0(VALU_DEP_2) | instskip(SKIP_3) | instid1(VALU_DEP_4)
	v_dual_add_nc_u32 v6, v8, v194 :: v_dual_add_nc_u32 v12, v8, v191
	v_dual_add_nc_u32 v0, v8, v186 :: v_dual_add_nc_u32 v2, v8, v187
	;; [unrolled: 1-line block ×4, first 2 shown]
	v_mad_nc_i64_i32 v[6:7], v6, 36, v[90:91]
	s_delay_alu instid0(VALU_DEP_4)
	v_mad_nc_i64_i32 v[0:1], v0, 36, v[90:91]
	v_mad_nc_i64_i32 v[2:3], v2, 36, v[90:91]
	;; [unrolled: 1-line block ×7, first 2 shown]
	v_mad_nc_u64_u32 v[16:17], v16, 36, s[10:11]
	s_clause 0x8
	global_load_b32 v18, v[6:7], off offset:4
	global_load_b32 v19, v[0:1], off offset:4
	;; [unrolled: 1-line block ×8, first 2 shown]
	global_load_b32 v26, v[16:17], off
	s_mov_b32 s4, 16
	s_wait_loadcnt 0x8
	ds_store_b32 v149, v18
	s_wait_loadcnt 0x7
	ds_store_b32 v67, v19
	;; [unrolled: 2-line block ×9, first 2 shown]
	s_wait_dscnt 0x0
	s_barrier_signal -1
	s_barrier_wait -1
	ds_load_b32 v0, v196
	ds_load_b32 v1, v197 offset:128
	ds_load_b32 v2, v198 offset:256
	ds_load_b32 v3, v199 offset:384
	s_wait_dscnt 0x3
	v_cvt_f32_f16_e32 v110, v0
	v_lshrrev_b32_e32 v0, 16, v0
	s_wait_dscnt 0x2
	v_cvt_f32_f16_e32 v112, v1
	s_wait_dscnt 0x0
	v_dual_lshrrev_b32 v1, 16, v1 :: v_dual_lshrrev_b32 v4, 16, v3
	v_cvt_f32_f16_e32 v114, v2
	v_lshrrev_b32_e32 v2, 16, v2
	v_cvt_f32_f16_e32 v116, v3
	v_cvt_f32_f16_e32 v118, v0
	;; [unrolled: 1-line block ×5, first 2 shown]
	v_dual_mov_b32 v111, v110 :: v_dual_mov_b32 v113, v112
	v_dual_mov_b32 v115, v114 :: v_dual_mov_b32 v117, v116
	;; [unrolled: 1-line block ×3, first 2 shown]
	s_delay_alu instid0(VALU_DEP_4)
	v_dual_mov_b32 v123, v122 :: v_dual_mov_b32 v125, v124
.LBB154_8:                              ;   Parent Loop BB154_5 Depth=1
                                        ; =>  This Inner Loop Header: Depth=2
	s_lshr_b32 s5, s4, 2
	s_lshl_b32 s8, s4, 3
	s_and_b32 s7, s5, 0x3ffffffe
	s_lshl_b32 s5, s4, 1
	s_add_co_i32 s7, s7, 0xa200
	s_and_b32 s5, s5, 16
	v_add_nc_u32_e32 v148, s8, v215
	v_dual_add_nc_u32 v138, s8, v216 :: v_dual_bitop2_b32 v0, s5, v43 bitop3:0x54
	v_add3_u32 v20, s7, v219, v211
	v_add3_u32 v134, s7, v220, v207
	s_set_vgpr_msb 64                       ;  msbs: dst=1 src0=0 src1=0 src2=0
	v_dual_add_nc_u32 v36 /*v292*/, s8, v217 :: v_dual_add_nc_u32 v38 /*v294*/, s8, v218
	s_set_vgpr_msb 0                        ;  msbs: dst=0 src0=0 src1=0 src2=0
	v_dual_lshlrev_b32 v1, 2, v0 :: v_dual_lshrrev_b32 v126, 1, v0
	s_set_vgpr_msb 64                       ;  msbs: dst=1 src0=0 src1=0 src2=0
	v_add3_u32 v37 /*v293*/, s7, v213, v209
	s_set_vgpr_msb 0                        ;  msbs: dst=0 src0=0 src1=0 src2=0
	ds_load_b128 v[14:17], v1 offset:33280
	ds_load_b128 v[2:5], v1 offset:33296
	;; [unrolled: 1-line block ×4, first 2 shown]
	ds_load_2addr_b32 v[0:1], v148 offset1:1
	s_wait_dscnt 0x4
	v_bfe_i32 v129, v14, 0, 8
	v_perm_b32 v221, v14, v14, 0xc0c0201
	v_perm_b32 v244, v15, v14, 0x6050403
	;; [unrolled: 1-line block ×3, first 2 shown]
	s_wait_dscnt 0x0
	v_bfe_i32 v155, v0, 0, 8
	v_perm_b32 v156, v0, v0, 0xc0c0201
	v_perm_b32 v157, v1, v0, 0x6050403
	;; [unrolled: 1-line block ×4, first 2 shown]
	v_mul_i32_i24_e32 v18, v155, v129
	v_perm_b32 v255, v3, v2, 0xc0c0403
	s_set_vgpr_msb 64                       ;  msbs: dst=1 src0=0 src1=0 src2=0
	v_perm_b32 v0 /*v256*/, v3, v3, 0xc0c0201
	v_perm_b32 v31 /*v287*/, v4, v3, 0xc0c0403
	;; [unrolled: 1-line block ×3, first 2 shown]
	s_set_vgpr_msb 0                        ;  msbs: dst=0 src0=0 src1=0 src2=0
	v_dot4_i32_iu8 v21, v156, v221, v18 neg_lo:[1,1,0]
	ds_load_2addr_b32 v[18:19], v148 offset0:2 offset1:3
	ds_load_b32 v22, v148 offset:16
	ds_load_b96 v[170:172], v148 offset:19
	ds_load_i8 v150, v148 offset:31
	s_set_vgpr_msb 64                       ;  msbs: dst=1 src0=0 src1=0 src2=0
	v_perm_b32 v33 /*v289*/, v5, v4, 0xc0c0403
	s_set_vgpr_msb 0                        ;  msbs: dst=0 src0=0 src1=0 src2=0
	v_bfe_i32 v238, v10, 0, 8
	v_bfe_i32 v136, v10, 8, 8
	v_dot4_i32_iu8 v0, v157, v244, v21 neg_lo:[1,1,0]
	v_perm_b32 v173, v11, v10, 0x5040302
	s_set_vgpr_msb 64                       ;  msbs: dst=1 src0=0 src1=0 src2=0
	v_perm_b32 v53 /*v309*/, v5, v5, 0xc030201
	s_set_vgpr_msb 0                        ;  msbs: dst=0 src0=0 src1=0 src2=0
	v_perm_b32 v243, v13, v12, 0x5040302
	s_set_vgpr_msb 64                       ;  msbs: dst=1 src0=0 src1=0 src2=0
	v_perm_b32 v43 /*v299*/, v7, v6, 0x5040302
	v_perm_b32 v45 /*v301*/, v8, v7, 0x5040302
	;; [unrolled: 1-line block ×9, first 2 shown]
	s_wait_dscnt 0x3
	v_perm_b32 v1 /*v257*/, v18, v1, 0x6050403
	v_perm_b32 v2 /*v258*/, v19, v18, 0x6050403
	s_wait_dscnt 0x2
	v_perm_b32 v3 /*v259*/, v22, v19, 0x6050403
	s_wait_dscnt 0x1
	s_set_vgpr_msb 0                        ;  msbs: dst=0 src0=0 src1=0 src2=0
	v_perm_b32 v1, v170, v170, 0xc0c0100
	v_bfe_i32 v154, v170, 0, 8
	s_set_vgpr_msb 1                        ;  msbs: dst=0 src0=1 src1=0 src2=0
	v_dot4_i32_iu8 v0, v1 /*v257*/, v249, v0 neg_lo:[1,1,0]
	s_set_vgpr_msb 64                       ;  msbs: dst=1 src0=0 src1=0 src2=0
	v_perm_b32 v12 /*v268*/, v171, v170, 0x4030201
	v_perm_b32 v13 /*v269*/, v172, v171, 0x4030201
	s_wait_dscnt 0x0
	s_set_vgpr_msb 0                        ;  msbs: dst=0 src0=0 src1=0 src2=0
	v_perm_b32 v253, v150, v172, 0x4030201
	s_set_vgpr_msb 64                       ;  msbs: dst=1 src0=0 src1=0 src2=0
	v_perm_b32 v62 /*v318*/, v9, v8, 0xc0c0403
	s_set_vgpr_msb 1                        ;  msbs: dst=0 src0=1 src1=0 src2=0
	v_dot4_i32_iu8 v0, v2 /*v258*/, v252, v0 neg_lo:[1,1,0]
	s_set_vgpr_msb 64                       ;  msbs: dst=1 src0=0 src1=0 src2=0
	v_bfe_i32 v30 /*v286*/, v9, 8, 8
	s_set_vgpr_msb 1                        ;  msbs: dst=0 src0=1 src1=0 src2=0
	s_delay_alu instid0(VALU_DEP_2) | instskip(SKIP_1) | instid1(VALU_DEP_1)
	v_dot4_i32_iu8 v0, v3 /*v259*/, v254, v0 neg_lo:[1,1,0]
	s_set_vgpr_msb 0                        ;  msbs: dst=0 src0=0 src1=0 src2=0
	v_dot4_i32_iu8 v0, v255, v1, v0 neg_lo:[1,1,0]
	v_perm_b32 v1, v170, v170, 0xc0c0302
	s_set_vgpr_msb 1                        ;  msbs: dst=0 src0=1 src1=0 src2=0
	s_delay_alu instid0(VALU_DEP_1) | instskip(SKIP_3) | instid1(VALU_DEP_1)
	v_dot4_i32_iu8 v0, v0 /*v256*/, v1, v0 neg_lo:[1,1,0]
	s_set_vgpr_msb 0                        ;  msbs: dst=0 src0=0 src1=0 src2=0
	v_perm_b32 v1, v171, v171, 0xc0c0100
	s_set_vgpr_msb 1                        ;  msbs: dst=0 src0=1 src1=0 src2=0
	v_dot4_i32_iu8 v0, v31 /*v287*/, v1, v0 neg_lo:[1,1,0]
	s_set_vgpr_msb 0                        ;  msbs: dst=0 src0=0 src1=0 src2=0
	v_perm_b32 v1, v171, v171, 0xc0c0302
	s_set_vgpr_msb 1                        ;  msbs: dst=0 src0=1 src1=0 src2=0
	s_delay_alu instid0(VALU_DEP_1) | instskip(SKIP_3) | instid1(VALU_DEP_1)
	v_dot4_i32_iu8 v0, v32 /*v288*/, v1, v0 neg_lo:[1,1,0]
	s_set_vgpr_msb 0                        ;  msbs: dst=0 src0=0 src1=0 src2=0
	v_perm_b32 v1, v172, v172, 0xc0c0100
	s_set_vgpr_msb 1                        ;  msbs: dst=0 src0=1 src1=0 src2=0
	v_dot4_i32_iu8 v152, v33 /*v289*/, v1, v0 neg_lo:[1,1,0]
	s_set_vgpr_msb 0                        ;  msbs: dst=0 src0=0 src1=0 src2=0
	ds_load_u16 v0, v20
	ds_load_u16 v1, v20 offset:8
	ds_load_2addr_b32 v[130:131], v148 offset0:14 offset1:15
	s_wait_dscnt 0x2
	v_lshrrev_b16 v18, 8, v0
	v_and_b32_e32 v135, 0xff, v0
	s_wait_dscnt 0x1
	v_cvt_f32_ubyte0_e32 v132, v1
	v_cvt_f32_ubyte1_e32 v128, v1
	ds_load_2addr_b32 v[0:1], v138 offset1:1
	v_and_b32_e32 v127, 0xffff, v18
	s_wait_dscnt 0x0
	v_bfe_i32 v151, v0, 0, 8
	v_perm_b32 v153, v0, v0, 0xc0c0201
	v_perm_b32 v160, v1, v0, 0x6050403
	s_delay_alu instid0(VALU_DEP_3) | instskip(NEXT) | instid1(VALU_DEP_1)
	v_mul_i32_i24_e32 v18, v151, v129
	v_dot4_i32_iu8 v139, v153, v221, v18 neg_lo:[1,1,0]
	ds_load_2addr_b32 v[26:27], v138 offset0:2 offset1:3
	ds_load_b32 v140, v138 offset:16
	ds_load_b128 v[18:21], v138 offset:19
	ds_load_b128 v[22:25], v138 offset:35
	ds_load_b96 v[246:248], v138 offset:51
	s_set_vgpr_msb 64                       ;  msbs: dst=1 src0=0 src1=0 src2=0
	ds_load_i8 v34 /*v290*/, v138 offset:63
	s_set_vgpr_msb 0                        ;  msbs: dst=0 src0=0 src1=0 src2=0
	v_dot4_i32_iu8 v0, v160, v244, v139 neg_lo:[1,1,0]
	s_wait_dscnt 0x5
	v_perm_b32 v162, v26, v1, 0x6050403
	v_perm_b32 v163, v27, v26, 0x6050403
	s_wait_dscnt 0x4
	v_perm_b32 v164, v140, v27, 0x6050403
	s_wait_dscnt 0x3
	v_perm_b32 v1, v18, v18, 0xc0c0100
	v_bfe_i32 v166, v21, 8, 8
	v_dot4_i32_iu8 v0, v162, v249, v0 neg_lo:[1,1,0]
	v_bfe_i32 v167, v21, 16, 8
	s_wait_dscnt 0x2
	v_perm_b32 v168, v22, v21, 0x6050403
	v_add3_u32 v26, s7, v212, v208
	v_bfe_i32 v158, v18, 0, 8
	v_dot4_i32_iu8 v0, v163, v252, v0 neg_lo:[1,1,0]
	s_delay_alu instid0(VALU_DEP_1) | instskip(NEXT) | instid1(VALU_DEP_1)
	v_dot4_i32_iu8 v0, v164, v254, v0 neg_lo:[1,1,0]
	v_dot4_i32_iu8 v0, v255, v1, v0 neg_lo:[1,1,0]
	v_perm_b32 v1, v18, v18, 0xc0c0302
	s_set_vgpr_msb 1                        ;  msbs: dst=0 src0=1 src1=0 src2=0
	s_delay_alu instid0(VALU_DEP_1) | instskip(SKIP_3) | instid1(VALU_DEP_1)
	v_dot4_i32_iu8 v0, v0 /*v256*/, v1, v0 neg_lo:[1,1,0]
	s_set_vgpr_msb 0                        ;  msbs: dst=0 src0=0 src1=0 src2=0
	v_perm_b32 v1, v19, v19, 0xc0c0100
	s_set_vgpr_msb 1                        ;  msbs: dst=0 src0=1 src1=0 src2=0
	v_dot4_i32_iu8 v0, v31 /*v287*/, v1, v0 neg_lo:[1,1,0]
	s_set_vgpr_msb 0                        ;  msbs: dst=0 src0=0 src1=0 src2=0
	v_perm_b32 v1, v19, v19, 0xc0c0302
	s_set_vgpr_msb 1                        ;  msbs: dst=0 src0=1 src1=0 src2=0
	s_delay_alu instid0(VALU_DEP_1) | instskip(SKIP_3) | instid1(VALU_DEP_1)
	v_dot4_i32_iu8 v0, v32 /*v288*/, v1, v0 neg_lo:[1,1,0]
	s_set_vgpr_msb 0                        ;  msbs: dst=0 src0=0 src1=0 src2=0
	v_perm_b32 v1, v20, v20, 0xc0c0100
	s_set_vgpr_msb 0x41                     ;  msbs: dst=1 src0=1 src1=0 src2=0
	v_dot4_i32_iu8 v35 /*v291*/, v33 /*v289*/, v1, v0 neg_lo:[1,1,0]
	s_set_vgpr_msb 0                        ;  msbs: dst=0 src0=0 src1=0 src2=0
	ds_load_u16 v0, v134
	ds_load_u16 v169, v134 offset:8
	s_wait_dscnt 0x1
	v_lshrrev_b16 v228, 8, v0
	v_and_b32_e32 v165, 0xff, v0
	v_mul_i32_i24_e32 v0, v166, v238
	s_wait_dscnt 0x0
	v_cvt_f32_ubyte0_e32 v134, v169
	s_delay_alu instid0(VALU_DEP_2) | instskip(NEXT) | instid1(VALU_DEP_1)
	v_mad_i32_i24 v0, v167, v136, v0
	v_dot4_i32_iu8 v229, v168, v173, v0 neg_lo:[1,1,0]
	v_or_b32_e32 v0, s5, v200
	s_delay_alu instid0(VALU_DEP_1)
	v_dual_lshlrev_b32 v224, 2, v0 :: v_dual_lshrrev_b32 v226, 1, v0
	ds_load_b64 v[0:1], v126 offset:43584
	s_set_vgpr_msb 1                        ;  msbs: dst=0 src0=1 src1=0 src2=0
	ds_load_2addr_b32 v[146:147], v36 /*v292*/ offset1:1
	ds_load_2addr_b32 v[144:145], v36 /*v292*/ offset0:2 offset1:3
	ds_load_2addr_b32 v[142:143], v36 /*v292*/ offset0:4 offset1:5
	;; [unrolled: 1-line block ×3, first 2 shown]
	s_set_vgpr_msb 0                        ;  msbs: dst=0 src0=0 src1=0 src2=0
	ds_load_u16 v126, v26
	s_set_vgpr_msb 64                       ;  msbs: dst=1 src0=0 src1=0 src2=0
	ds_load_u16 v39 /*v295*/, v26 offset:8
	s_set_vgpr_msb 1                        ;  msbs: dst=0 src0=1 src1=0 src2=0
	ds_load_2addr_b32 v[26:27], v36 /*v292*/ offset0:8 offset1:9
	ds_load_2addr_b32 v[140:141], v36 /*v292*/ offset0:10 offset1:11
	s_set_vgpr_msb 0                        ;  msbs: dst=0 src0=0 src1=0 src2=0
	ds_load_2addr_b32 v[174:175], v148 offset0:8 offset1:9
	s_wait_dscnt 0x9
	s_set_vgpr_msb 64                       ;  msbs: dst=1 src0=0 src1=0 src2=0
	v_cvt_f32_f16_e64 v22 /*v278*/, v0
	s_set_vgpr_msb 0                        ;  msbs: dst=0 src0=0 src1=0 src2=0
	v_lshrrev_b32_e32 v0, 16, v0
	s_set_vgpr_msb 64                       ;  msbs: dst=1 src0=0 src1=0 src2=0
	v_cvt_f32_f16_e64 v26 /*v282*/, v1
	s_wait_dscnt 0x4
	v_lshrrev_b16 v40 /*v296*/, 8, v126
	v_cvt_f32_f16_e64 v24 /*v280*/, v0
	s_wait_dscnt 0x0
	s_set_vgpr_msb 0                        ;  msbs: dst=0 src0=0 src1=0 src2=0
	v_lshrrev_b16 v222, 8, v174
	s_set_vgpr_msb 64                       ;  msbs: dst=1 src0=0 src1=0 src2=0
	v_bfe_i32 v5 /*v261*/, v174, 0, 8
	s_set_vgpr_msb 0                        ;  msbs: dst=0 src0=0 src1=0 src2=0
	v_lshrrev_b16 v223, 8, v175
	s_set_vgpr_msb 64                       ;  msbs: dst=1 src0=0 src1=0 src2=0
	v_perm_b32 v6 /*v262*/, v175, v174, 0x5040302
	s_set_vgpr_msb 0                        ;  msbs: dst=0 src0=0 src1=0 src2=0
	v_ashrrev_i32_e32 v239, 24, v175
	s_set_vgpr_msb 64                       ;  msbs: dst=1 src0=0 src1=0 src2=0
	v_bfe_i32 v4 /*v260*/, v222, 0, 8
	s_set_vgpr_msb 1                        ;  msbs: dst=0 src0=1 src1=0 src2=0
	v_mul_i32_i24_e32 v222, v5 /*v261*/, v238
	s_set_vgpr_msb 0                        ;  msbs: dst=0 src0=0 src1=0 src2=0
	v_bfe_i32 v241, v223, 0, 8
	v_bfe_i32 v240, v175, 16, 8
	;; [unrolled: 1-line block ×3, first 2 shown]
	s_set_vgpr_msb 1                        ;  msbs: dst=0 src0=1 src1=0 src2=0
	v_mad_i32_i24 v136, v4 /*v260*/, v136, v222
	s_set_vgpr_msb 0                        ;  msbs: dst=0 src0=0 src1=0 src2=0
	ds_load_2addr_b32 v[222:223], v148 offset0:10 offset1:11
	ds_load_b128 v[230:233], v224 offset:33280
	s_set_vgpr_msb 64                       ;  msbs: dst=1 src0=0 src1=0 src2=0
	ds_load_b128 v[14:17] /*v[270:273]*/, v224 offset:33296
	s_set_vgpr_msb 0                        ;  msbs: dst=0 src0=0 src1=0 src2=0
	ds_load_b128 v[234:237], v224 offset:33312
	s_set_vgpr_msb 64                       ;  msbs: dst=1 src0=0 src1=0 src2=0
	ds_load_b128 v[18:21] /*v[274:277]*/, v224 offset:33328
	s_set_vgpr_msb 0                        ;  msbs: dst=0 src0=0 src1=0 src2=0
	ds_load_2addr_b32 v[224:225], v148 offset0:12 offset1:13
	ds_load_b64 v[226:227], v226 offset:43584
	s_set_vgpr_msb 1                        ;  msbs: dst=0 src0=1 src1=0 src2=0
	v_dot4_i32_iu8 v136, v6 /*v262*/, v173, v136 neg_lo:[1,1,0]
	s_set_vgpr_msb 0                        ;  msbs: dst=0 src0=0 src1=0 src2=0
	v_perm_b32 v148, v6, v13, 0x5040302
	s_wait_dscnt 0x5
	s_set_vgpr_msb 64                       ;  msbs: dst=1 src0=0 src1=0 src2=0
	v_bfe_i32 v41 /*v297*/, v230, 0, 8
	v_perm_b32 v42 /*v298*/, v230, v230, 0xc0c0201
	v_perm_b32 v44 /*v300*/, v231, v230, 0x6050403
	s_wait_dscnt 0x3
	s_set_vgpr_msb 0                        ;  msbs: dst=0 src0=0 src1=0 src2=0
	v_lshrrev_b16 v0, 8, v234
	s_set_vgpr_msb 64                       ;  msbs: dst=1 src0=0 src1=0 src2=0
	v_perm_b32 v50 /*v306*/, v232, v231, 0x6050403
	s_set_vgpr_msb 1                        ;  msbs: dst=0 src0=1 src1=0 src2=0
	v_mul_i32_i24_e32 v173, v41 /*v297*/, v155
	s_set_vgpr_msb 64                       ;  msbs: dst=1 src0=0 src1=0 src2=0
	v_perm_b32 v51 /*v307*/, v233, v232, 0x6050403
	s_set_vgpr_msb 0x41                     ;  msbs: dst=1 src0=1 src1=0 src2=0
	v_perm_b32 v52 /*v308*/, v14 /*v270*/, v233, 0x6050403
	s_set_vgpr_msb 64                       ;  msbs: dst=1 src0=0 src1=0 src2=0
	v_bfe_i32 v47 /*v303*/, v0, 0, 8
	s_wait_dscnt 0x0
	s_set_vgpr_msb 1                        ;  msbs: dst=0 src0=1 src1=0 src2=0
	v_dual_lshrrev_b32 v0, 16, v1 :: v_dual_lshrrev_b32 v1, 16, v227
	v_dot4_i32_iu8 v173, v42 /*v298*/, v156, v173 neg_lo:[1,1,0]
	s_set_vgpr_msb 0x44                     ;  msbs: dst=1 src0=0 src1=1 src2=0
	v_ashrrev_i32_e32 v46 /*v302*/, 24, v14 /*v270*/
	v_cvt_f32_f16_e64 v23 /*v279*/, v226
	v_cvt_f32_f16_e64 v28 /*v284*/, v0
	s_set_vgpr_msb 1                        ;  msbs: dst=0 src0=1 src1=0 src2=0
	v_dual_lshrrev_b32 v226, 16, v226 :: v_dual_ashrrev_i32 v245, 24, v235
	v_dot4_i32_iu8 v173, v44 /*v300*/, v157, v173 neg_lo:[1,1,0]
	s_set_vgpr_msb 64                       ;  msbs: dst=1 src0=0 src1=0 src2=0
	v_cvt_f32_f16_e64 v29 /*v285*/, v1
	s_set_vgpr_msb 0                        ;  msbs: dst=0 src0=0 src1=0 src2=0
	v_perm_b32 v1, v150, v172, 0xc040302
	s_set_vgpr_msb 64                       ;  msbs: dst=1 src0=0 src1=0 src2=0
	v_cvt_f32_f16_e64 v25 /*v281*/, v226
	s_set_vgpr_msb 0                        ;  msbs: dst=0 src0=0 src1=0 src2=0
	v_lshrrev_b16 v226, 8, v235
	s_set_vgpr_msb 5                        ;  msbs: dst=0 src0=1 src1=1 src2=0
	v_dot4_i32_iu8 v0, v50 /*v306*/, v1 /*v257*/, v173 neg_lo:[1,1,0]
	s_set_vgpr_msb 64                       ;  msbs: dst=1 src0=0 src1=0 src2=0
	v_cvt_f32_f16_e64 v27 /*v283*/, v227
	s_set_vgpr_msb 1                        ;  msbs: dst=0 src0=1 src1=0 src2=0
	v_dot4_i32_iu8 v1, v53 /*v309*/, v1, v152 neg_lo:[1,1,0]
	s_set_vgpr_msb 0                        ;  msbs: dst=0 src0=0 src1=0 src2=0
	v_perm_b32 v227, v236, v234, 0xc0c0501
	v_bfe_i32 v226, v226, 0, 8
	s_set_vgpr_msb 5                        ;  msbs: dst=0 src0=1 src1=1 src2=0
	v_dot4_i32_iu8 v0, v51 /*v307*/, v2 /*v258*/, v0 neg_lo:[1,1,0]
	s_set_vgpr_msb 0                        ;  msbs: dst=0 src0=0 src1=0 src2=0
	v_bfe_i32 v250, v235, 16, 8
	v_mul_lo_u32 v150, v1, v135
	v_mul_i32_i24_e32 v173, v245, v239
	v_mul_i32_i24_e32 v152, v226, v241
	s_set_vgpr_msb 5                        ;  msbs: dst=0 src0=1 src1=1 src2=0
	v_dot4_i32_iu8 v0, v52 /*v308*/, v3 /*v259*/, v0 neg_lo:[1,1,0]
	s_set_vgpr_msb 0                        ;  msbs: dst=0 src0=0 src1=0 src2=0
	v_perm_b32 v226, v222, v174, 0xc0c0501
	s_set_vgpr_msb 64                       ;  msbs: dst=1 src0=0 src1=0 src2=0
	v_perm_b32 v7 /*v263*/, v222, v175, 0x5040302
	v_perm_b32 v8 /*v264*/, v223, v222, 0x5040302
	s_set_vgpr_msb 4                        ;  msbs: dst=0 src0=0 src1=1 src2=0
	v_bfe_i32 v251, v235, 0, 8
	v_mad_i32_i24 v0, v154, v46 /*v302*/, v0
	s_set_vgpr_msb 0                        ;  msbs: dst=0 src0=0 src1=0 src2=0
	v_dot4_i32_iu8 v152, v227, v226, v152 neg_lo:[1,1,0]
	v_perm_b32 v226, v222, v174, 0xc0c0703
	v_perm_b32 v227, v236, v234, 0xc0c0703
	v_mul_i32_i24_e32 v172, v250, v240
	s_set_vgpr_msb 5                        ;  msbs: dst=0 src0=1 src1=1 src2=0
	v_dot4_i32_iu8 v0, v12 /*v268*/, v15 /*v271*/, v0 neg_lo:[1,1,0]
	s_set_vgpr_msb 0                        ;  msbs: dst=0 src0=0 src1=0 src2=0
	v_perm_b32 v175, v12, v11, 0x5040302
	s_set_vgpr_msb 64                       ;  msbs: dst=1 src0=0 src1=0 src2=0
	v_perm_b32 v9 /*v265*/, v224, v223, 0x5040302
	s_set_vgpr_msb 0                        ;  msbs: dst=0 src0=0 src1=0 src2=0
	v_dot4_i32_iu8 v173, v227, v226, v173 neg_lo:[1,1,0]
	v_perm_b32 v226, v222, v174, 0xc0c0400
	s_set_vgpr_msb 5                        ;  msbs: dst=0 src0=1 src1=1 src2=0
	v_dot4_i32_iu8 v0, v13 /*v269*/, v16 /*v272*/, v0 neg_lo:[1,1,0]
	s_set_vgpr_msb 0                        ;  msbs: dst=0 src0=0 src1=0 src2=0
	v_perm_b32 v174, v222, v174, 0xc0c0602
	v_perm_b32 v222, v236, v234, 0xc0c0602
	;; [unrolled: 1-line block ×3, first 2 shown]
	s_set_vgpr_msb 1                        ;  msbs: dst=0 src0=1 src1=0 src2=0
	v_dot4_i32_iu8 v136, v7 /*v263*/, v175, v136 neg_lo:[1,1,0]
	v_dot4_i32_iu8 v0, v17 /*v273*/, v253, v0 neg_lo:[1,1,0]
	s_set_vgpr_msb 64                       ;  msbs: dst=1 src0=0 src1=0 src2=0
	v_perm_b32 v10 /*v266*/, v225, v224, 0x5040302
	s_set_vgpr_msb 0                        ;  msbs: dst=0 src0=0 src1=0 src2=0
	v_dot4_i32_iu8 v172, v222, v174, v172 neg_lo:[1,1,0]
	v_perm_b32 v174, v224, v223, 0xc0c0602
	v_perm_b32 v222, v130, v225, 0x6020c0c
	v_mul_lo_u32 v0, v0, v135
	s_set_vgpr_msb 1                        ;  msbs: dst=0 src0=1 src1=0 src2=0
	v_dot4_i32_iu8 v136, v8 /*v264*/, v243, v136 neg_lo:[1,1,0]
	s_set_vgpr_msb 64                       ;  msbs: dst=1 src0=0 src1=0 src2=0
	v_perm_b32 v11 /*v267*/, v130, v225, 0x5040302
	s_set_vgpr_msb 0                        ;  msbs: dst=0 src0=0 src1=0 src2=0
	v_perm_b32 v245, v131, v131, 0xc0c0302
	v_or_b32_e32 v174, v222, v174
	s_set_vgpr_msb 1                        ;  msbs: dst=0 src0=1 src1=0 src2=0
	v_perm_b32 v222, v18 /*v274*/, v237, 0xc0c0602
	v_dot4_i32_iu8 v136, v9 /*v265*/, v148, v136 neg_lo:[1,1,0]
	s_set_vgpr_msb 0x45                     ;  msbs: dst=1 src0=1 src1=1 src2=0
	v_perm_b32 v55 /*v311*/, v21 /*v277*/, v21 /*v277*/, 0xc0c0302
	s_set_vgpr_msb 4                        ;  msbs: dst=0 src0=0 src1=1 src2=0
	v_pk_fma_f32 v[170:171], v[132:133], v[24:25] /*v[280:281]*/, 0 op_sel_hi:[0,1,0]
	s_set_vgpr_msb 0                        ;  msbs: dst=0 src0=0 src1=0 src2=0
	v_perm_b32 v239, v23, v22, 0x6050403
	v_perm_b32 v240, v24, v23, 0x6050403
	v_cvt_f32_i32_e32 v1, v0
	v_cvt_f32_i32_e32 v0, v150
	v_mul_i32_i24_e32 v150, v251, v242
	s_set_vgpr_msb 5                        ;  msbs: dst=0 src0=1 src1=1 src2=0
	v_dot4_i32_iu8 v136, v10 /*v266*/, v43 /*v299*/, v136 neg_lo:[1,1,0]
	s_set_vgpr_msb 4                        ;  msbs: dst=0 src0=0 src1=1 src2=0
	v_pk_fma_f32 v[170:171], v[128:129], v[28:29] /*v[284:285]*/, v[170:171] op_sel_hi:[0,1,1]
	s_set_vgpr_msb 0                        ;  msbs: dst=0 src0=0 src1=0 src2=0
	v_perm_b32 v241, v25, v24, 0x6050403
	s_set_vgpr_msb 1                        ;  msbs: dst=0 src0=1 src1=0 src2=0
	v_pk_fma_f32 v[0:1], v[22:23] /*v[278:279]*/, v[0:1], 0 op_sel_hi:[1,1,0]
	s_set_vgpr_msb 0                        ;  msbs: dst=0 src0=0 src1=0 src2=0
	v_dot4_i32_iu8 v150, v227, v226, v150 neg_lo:[1,1,0]
	s_set_vgpr_msb 5                        ;  msbs: dst=0 src0=1 src1=1 src2=0
	v_perm_b32 v226, v20 /*v276*/, v19 /*v275*/, 0x6020c0c
	v_dot4_i32_iu8 v136, v11 /*v267*/, v45 /*v301*/, v136 neg_lo:[1,1,0]
	s_set_vgpr_msb 0                        ;  msbs: dst=0 src0=0 src1=0 src2=0
	v_pk_mul_f32 v[170:171], v[170:171], v[118:119]
	v_perm_b32 v242, v246, v25, 0x6050403
	s_set_vgpr_msb 64                       ;  msbs: dst=1 src0=0 src1=0 src2=0
	v_bfe_i32 v48 /*v304*/, v234, 0, 8
	s_set_vgpr_msb 0                        ;  msbs: dst=0 src0=0 src1=0 src2=0
	v_or_b32_e32 v222, v226, v222
	s_set_vgpr_msb 5                        ;  msbs: dst=0 src0=1 src1=1 src2=0
	v_perm_b32 v226, v20 /*v276*/, v19 /*v275*/, 0x4000c0c
	s_set_vgpr_msb 0x44                     ;  msbs: dst=1 src0=0 src1=1 src2=0
	v_ashrrev_i32_e32 v49 /*v305*/, 24, v18 /*v274*/
	s_set_vgpr_msb 0                        ;  msbs: dst=0 src0=0 src1=0 src2=0
	v_dot4_i32_iu8 v172, v222, v174, v172 neg_lo:[1,1,0]
	v_perm_b32 v174, v224, v223, 0xc0c0400
	v_perm_b32 v222, v130, v225, 0x4000c0c
	s_delay_alu instid0(VALU_DEP_1) | instskip(SKIP_3) | instid1(VALU_DEP_1)
	v_or_b32_e32 v174, v222, v174
	s_set_vgpr_msb 1                        ;  msbs: dst=0 src0=1 src1=0 src2=0
	v_perm_b32 v222, v18 /*v274*/, v237, 0xc0c0400
	s_set_vgpr_msb 0                        ;  msbs: dst=0 src0=0 src1=0 src2=0
	v_or_b32_e32 v222, v226, v222
	s_set_vgpr_msb 5                        ;  msbs: dst=0 src0=1 src1=1 src2=0
	v_perm_b32 v226, v20 /*v276*/, v19 /*v275*/, 0x7030c0c
	s_set_vgpr_msb 0                        ;  msbs: dst=0 src0=0 src1=0 src2=0
	s_delay_alu instid0(VALU_DEP_2) | instskip(SKIP_2) | instid1(VALU_DEP_1)
	v_dot4_i32_iu8 v150, v222, v174, v150 neg_lo:[1,1,0]
	v_perm_b32 v174, v224, v223, 0xc0c0703
	v_perm_b32 v222, v130, v225, 0x7030c0c
	v_or_b32_e32 v174, v222, v174
	s_set_vgpr_msb 1                        ;  msbs: dst=0 src0=1 src1=0 src2=0
	v_perm_b32 v222, v18 /*v274*/, v237, 0xc0c0703
	s_set_vgpr_msb 0                        ;  msbs: dst=0 src0=0 src1=0 src2=0
	s_delay_alu instid0(VALU_DEP_1) | instskip(NEXT) | instid1(VALU_DEP_1)
	v_or_b32_e32 v222, v226, v222
	v_dot4_i32_iu8 v173, v222, v174, v173 neg_lo:[1,1,0]
	v_perm_b32 v174, v224, v223, 0xc0c0501
	v_perm_b32 v222, v130, v225, 0x5010c0c
	s_set_vgpr_msb 5                        ;  msbs: dst=0 src0=1 src1=1 src2=0
	v_perm_b32 v223, v20 /*v276*/, v19 /*v275*/, 0x5010c0c
	s_set_vgpr_msb 0                        ;  msbs: dst=0 src0=0 src1=0 src2=0
	v_and_b32_e32 v225, 0xff, v126
	v_perm_b32 v126, v11, v10, 0x4030201
	v_or_b32_e32 v174, v222, v174
	s_set_vgpr_msb 1                        ;  msbs: dst=0 src0=1 src1=0 src2=0
	v_perm_b32 v222, v18 /*v274*/, v237, 0xc0c0501
	s_set_vgpr_msb 0                        ;  msbs: dst=0 src0=0 src1=0 src2=0
	s_delay_alu instid0(VALU_DEP_1) | instskip(NEXT) | instid1(VALU_DEP_1)
	v_or_b32_e32 v222, v223, v222
	v_dot4_i32_iu8 v152, v222, v174, v152 neg_lo:[1,1,0]
	s_delay_alu instid0(VALU_DEP_1) | instskip(NEXT) | instid1(VALU_DEP_1)
	v_add_nc_u32_e32 v152, v152, v173
	v_add3_u32 v150, v150, v172, v152
	v_perm_b32 v152, v131, v131, 0xc0c0100
	s_set_vgpr_msb 5                        ;  msbs: dst=0 src0=1 src1=1 src2=0
	v_perm_b32 v172, v21 /*v277*/, v21 /*v277*/, 0xc0c0100
	s_set_vgpr_msb 0                        ;  msbs: dst=0 src0=0 src1=0 src2=0
	s_delay_alu instid0(VALU_DEP_1) | instskip(SKIP_2) | instid1(VALU_DEP_2)
	v_dot4_i32_iu8 v150, v172, v152, v150 neg_lo:[1,1,0]
	v_perm_b32 v152, v131, v130, 0x5040302
	s_set_vgpr_msb 4                        ;  msbs: dst=0 src0=0 src1=1 src2=0
	v_dot4_i32_iu8 v150, v245, v55 /*v311*/, v150 neg_lo:[1,1,0]
	s_delay_alu instid0(VALU_DEP_2) | instskip(SKIP_2) | instid1(VALU_DEP_3)
	v_dot4_i32_iu8 v136, v152, v54 /*v310*/, v136 neg_lo:[1,1,0]
	v_cvt_f32_ubyte1_e32 v152, v169
	s_set_vgpr_msb 0                        ;  msbs: dst=0 src0=0 src1=0 src2=0
	v_mul_lo_u32 v150, v150, v127
	s_set_vgpr_msb 4                        ;  msbs: dst=0 src0=0 src1=1 src2=0
	v_dot4_i32_iu8 v136, v245, v56 /*v312*/, v136 neg_lo:[1,1,0]
	s_set_vgpr_msb 0                        ;  msbs: dst=0 src0=0 src1=0 src2=0
	s_delay_alu instid0(VALU_DEP_1) | instskip(NEXT) | instid1(VALU_DEP_3)
	v_mul_lo_u32 v136, v136, v127
	v_cvt_f32_i32_e32 v173, v150
	s_set_vgpr_msb 1                        ;  msbs: dst=0 src0=1 src1=0 src2=0
	v_cvt_f32_ubyte1_e32 v150, v39 /*v295*/
	s_set_vgpr_msb 0                        ;  msbs: dst=0 src0=0 src1=0 src2=0
	s_delay_alu instid0(VALU_DEP_3) | instskip(SKIP_1) | instid1(VALU_DEP_1)
	v_cvt_f32_i32_e32 v172, v136
	s_set_vgpr_msb 1                        ;  msbs: dst=0 src0=1 src1=0 src2=0
	v_pk_fma_f32 v[0:1], v[26:27] /*v[282:283]*/, v[172:173], v[0:1]
	s_set_vgpr_msb 4                        ;  msbs: dst=0 src0=0 src1=1 src2=0
	v_and_b32_e32 v172, 0xffff, v40 /*v296*/
	s_set_vgpr_msb 0                        ;  msbs: dst=0 src0=0 src1=0 src2=0
	s_delay_alu instid0(VALU_DEP_2)
	v_pk_fma_f32 v[250:251], v[0:1], v[110:111], v[170:171] neg_lo:[0,0,1] neg_hi:[0,0,1]
	v_dot4_i32_iu8 v0, v239, v175, v229 neg_lo:[1,1,0]
	v_and_b32_e32 v229, 0xffff, v228
	v_bfe_i32 v228, v26, 0, 8
	v_perm_b32 v1, v27, v26, 0x4030201
	v_pk_add_f32 v[88:89], v[88:89], v[250:251]
	v_dot4_i32_iu8 v0, v240, v243, v0 neg_lo:[1,1,0]
	v_perm_b32 v243, v247, v246, 0x6050403
	v_perm_b32 v250, v141, v140, 0x6050403
	s_delay_alu instid0(VALU_DEP_3) | instskip(SKIP_3) | instid1(VALU_DEP_2)
	v_dot4_i32_iu8 v0, v241, v148, v0 neg_lo:[1,1,0]
	s_set_vgpr_msb 1                        ;  msbs: dst=0 src0=1 src1=0 src2=0
	v_cvt_f32_ubyte0_e32 v148, v39 /*v295*/
	s_set_vgpr_msb 4                        ;  msbs: dst=0 src0=0 src1=1 src2=0
	v_dot4_i32_iu8 v0, v242, v43 /*v299*/, v0 neg_lo:[1,1,0]
	s_set_vgpr_msb 64                       ;  msbs: dst=1 src0=0 src1=0 src2=0
	v_perm_b32 v43 /*v299*/, v12, v11, 0x4030201
	s_set_vgpr_msb 4                        ;  msbs: dst=0 src0=0 src1=1 src2=0
	s_delay_alu instid0(VALU_DEP_2)
	v_dot4_i32_iu8 v246, v243, v45 /*v301*/, v0 neg_lo:[1,1,0]
	s_set_vgpr_msb 0                        ;  msbs: dst=0 src0=0 src1=0 src2=0
	v_dot4_i32_iu8 v0, v146, v14, 0 neg_lo:[1,1,0]
	s_set_vgpr_msb 64                       ;  msbs: dst=1 src0=0 src1=0 src2=0
	v_perm_b32 v45 /*v301*/, v13, v12, 0x4030201
	s_set_vgpr_msb 0                        ;  msbs: dst=0 src0=0 src1=0 src2=0
	v_perm_b32 v13, v6, v13, 0x4030201
	v_dot4_i32_iu8 v0, v147, v15, v0 neg_lo:[1,1,0]
	s_delay_alu instid0(VALU_DEP_1) | instskip(NEXT) | instid1(VALU_DEP_1)
	v_dot4_i32_iu8 v0, v144, v16, v0 neg_lo:[1,1,0]
	v_dot4_i32_iu8 v0, v145, v17, v0 neg_lo:[1,1,0]
	s_set_vgpr_msb 1                        ;  msbs: dst=0 src0=1 src1=0 src2=0
	ds_load_b32 v226, v36 /*v292*/ offset:48
	ds_load_b96 v[14:16], v36 /*v292*/ offset:51
	ds_load_i8 v17, v36 /*v292*/ offset:63
	ds_load_2addr_b32 v[22:23], v38 /*v294*/ offset1:1
	s_set_vgpr_msb 0                        ;  msbs: dst=0 src0=0 src1=0 src2=0
	v_dot4_i32_iu8 v0, v142, v2, v0 neg_lo:[1,1,0]
	s_delay_alu instid0(VALU_DEP_1) | instskip(NEXT) | instid1(VALU_DEP_1)
	v_dot4_i32_iu8 v0, v143, v3, v0 neg_lo:[1,1,0]
	v_dot4_i32_iu8 v4, v138, v4, v0 neg_lo:[1,1,0]
	v_mul_i32_i24_e32 v0, v228, v238
	s_wait_dscnt 0x2
	v_bfe_i32 v227, v14, 0, 8
	s_delay_alu instid0(VALU_DEP_2)
	v_dot4_i32_iu8 v0, v1, v126, v0 neg_lo:[1,1,0]
	v_perm_b32 v1, v140, v27, 0x4030201
	s_wait_dscnt 0x0
	v_bfe_i32 v169, v22, 0, 8
	v_perm_b32 v170, v22, v22, 0xc0c0201
	v_perm_b32 v173, v23, v22, 0x6050403
	;; [unrolled: 1-line block ×3, first 2 shown]
	s_set_vgpr_msb 4                        ;  msbs: dst=0 src0=0 src1=1 src2=0
	v_dot4_i32_iu8 v0, v1, v43 /*v299*/, v0 neg_lo:[1,1,0]
	s_set_vgpr_msb 0                        ;  msbs: dst=0 src0=0 src1=0 src2=0
	v_perm_b32 v1, v141, v140, 0x4030201
	s_set_vgpr_msb 64                       ;  msbs: dst=1 src0=0 src1=0 src2=0
	v_bfe_i32 v36 /*v292*/, v16, 16, 8
	s_set_vgpr_msb 0                        ;  msbs: dst=0 src0=0 src1=0 src2=0
	v_dot4_i32_iu8 v4, v5, v139, v4 neg_lo:[1,1,0]
	s_set_vgpr_msb 4                        ;  msbs: dst=0 src0=0 src1=1 src2=0
	v_dot4_i32_iu8 v0, v1, v45 /*v301*/, v0 neg_lo:[1,1,0]
	s_set_vgpr_msb 0                        ;  msbs: dst=0 src0=0 src1=0 src2=0
	v_perm_b32 v1, v226, v141, 0x4030201
	v_mul_lo_u32 v4, v4, v225
	s_delay_alu instid0(VALU_DEP_2) | instskip(SKIP_2) | instid1(VALU_DEP_1)
	v_dot4_i32_iu8 v0, v1, v13, v0 neg_lo:[1,1,0]
	v_perm_b32 v1, v226, v226, 0xc0c0201
	s_set_vgpr_msb 1                        ;  msbs: dst=0 src0=1 src1=0 src2=0
	v_dot4_i32_iu8 v0, v57 /*v313*/, v1, v0 neg_lo:[1,1,0]
	s_set_vgpr_msb 0                        ;  msbs: dst=0 src0=0 src1=0 src2=0
	v_perm_b32 v1, v14, v14, 0xc0c0100
	v_cvt_f32_i32_e32 v4, v4
	s_set_vgpr_msb 1                        ;  msbs: dst=0 src0=1 src1=0 src2=0
	s_delay_alu instid0(VALU_DEP_2) | instskip(SKIP_3) | instid1(VALU_DEP_1)
	v_dot4_i32_iu8 v0, v58 /*v314*/, v1, v0 neg_lo:[1,1,0]
	s_set_vgpr_msb 0                        ;  msbs: dst=0 src0=0 src1=0 src2=0
	v_perm_b32 v1, v14, v14, 0xc0c0302
	s_set_vgpr_msb 1                        ;  msbs: dst=0 src0=1 src1=0 src2=0
	v_dot4_i32_iu8 v0, v59 /*v315*/, v1, v0 neg_lo:[1,1,0]
	s_set_vgpr_msb 0                        ;  msbs: dst=0 src0=0 src1=0 src2=0
	v_perm_b32 v1, v15, v15, 0xc0c0100
	s_set_vgpr_msb 1                        ;  msbs: dst=0 src0=1 src1=0 src2=0
	s_delay_alu instid0(VALU_DEP_1) | instskip(SKIP_3) | instid1(VALU_DEP_1)
	v_dot4_i32_iu8 v0, v60 /*v316*/, v1, v0 neg_lo:[1,1,0]
	s_set_vgpr_msb 0                        ;  msbs: dst=0 src0=0 src1=0 src2=0
	v_perm_b32 v1, v15, v15, 0xc0c0302
	s_set_vgpr_msb 1                        ;  msbs: dst=0 src0=1 src1=0 src2=0
	v_dot4_i32_iu8 v0, v61 /*v317*/, v1, v0 neg_lo:[1,1,0]
	s_set_vgpr_msb 0                        ;  msbs: dst=0 src0=0 src1=0 src2=0
	v_perm_b32 v1, v16, v16, 0xc0c0100
	s_set_vgpr_msb 0x41                     ;  msbs: dst=1 src0=1 src1=0 src2=0
	s_delay_alu instid0(VALU_DEP_1) | instskip(SKIP_2) | instid1(VALU_DEP_1)
	v_dot4_i32_iu8 v63 /*v319*/, v62 /*v318*/, v1, v0 neg_lo:[1,1,0]
	s_set_vgpr_msb 0                        ;  msbs: dst=0 src0=0 src1=0 src2=0
	v_mul_i32_i24_e32 v0, v169, v129
	v_dot4_i32_iu8 v129, v170, v221, v0 neg_lo:[1,1,0]
	s_set_vgpr_msb 1                        ;  msbs: dst=0 src0=1 src1=0 src2=0
	ds_load_2addr_b32 v[24:25], v38 /*v294*/ offset0:2 offset1:3
	ds_load_b32 v136, v38 /*v294*/ offset:16
	ds_load_b128 v[6:9], v38 /*v294*/ offset:19
	ds_load_b128 v[0:3], v38 /*v294*/ offset:35
	ds_load_b96 v[10:12], v38 /*v294*/ offset:51
	s_set_vgpr_msb 0x41                     ;  msbs: dst=1 src0=1 src1=0 src2=0
	ds_load_i8 v38 /*v294*/, v38 /*v294*/ offset:63
	s_set_vgpr_msb 0                        ;  msbs: dst=0 src0=0 src1=0 src2=0
	v_dot4_i32_iu8 v22, v173, v244, v129 neg_lo:[1,1,0]
	v_perm_b32 v244, v248, v247, 0x6050403
	v_perm_b32 v247, v26, v26, 0xc0c0201
	s_wait_dscnt 0x5
	v_perm_b32 v174, v24, v23, 0x6050403
	v_perm_b32 v221, v25, v24, 0x6050403
	s_wait_dscnt 0x4
	v_perm_b32 v222, v136, v25, 0x6050403
	s_wait_dscnt 0x3
	v_perm_b32 v23, v6, v6, 0xc0c0100
	v_bfe_i32 v224, v9, 8, 8
	v_dot4_i32_iu8 v22, v174, v249, v22 neg_lo:[1,1,0]
	s_wait_dscnt 0x2
	v_perm_b32 v129, v0, v9, 0x5040302
	v_perm_b32 v249, v140, v27, 0x6050403
	s_set_vgpr_msb 21                       ;  msbs: dst=0 src0=1 src1=1 src2=1
	v_mad_i32_i24 v140, v36 /*v292*/, v30 /*v286*/, v63 /*v319*/
	s_set_vgpr_msb 0                        ;  msbs: dst=0 src0=0 src1=0 src2=0
	v_bfe_i32 v171, v6, 0, 8
	v_dot4_i32_iu8 v22, v221, v252, v22 neg_lo:[1,1,0]
	v_perm_b32 v252, v15, v14, 0x6050403
	s_wait_dscnt 0x1
	v_bfe_i32 v223, v10, 0, 8
	s_delay_alu instid0(VALU_DEP_3) | instskip(SKIP_1) | instid1(VALU_DEP_2)
	v_dot4_i32_iu8 v22, v222, v254, v22 neg_lo:[1,1,0]
	v_perm_b32 v254, v19, v18, 0x4030201
	v_dot4_i32_iu8 v22, v255, v23, v22 neg_lo:[1,1,0]
	v_perm_b32 v23, v6, v6, 0xc0c0302
	v_perm_b32 v255, v20, v19, 0x4030201
	s_set_vgpr_msb 1                        ;  msbs: dst=0 src0=1 src1=0 src2=0
	v_mul_i32_i24_e32 v19, v48 /*v304*/, v166
	s_delay_alu instid0(VALU_DEP_3)
	v_dot4_i32_iu8 v22, v0 /*v256*/, v23, v22 neg_lo:[1,1,0]
	s_set_vgpr_msb 0                        ;  msbs: dst=0 src0=0 src1=0 src2=0
	v_perm_b32 v23, v7, v7, 0xc0c0100
	s_set_vgpr_msb 1                        ;  msbs: dst=0 src0=1 src1=0 src2=0
	v_mad_i32_i24 v19, v47 /*v303*/, v167, v19
	s_set_vgpr_msb 64                       ;  msbs: dst=1 src0=0 src1=0 src2=0
	v_perm_b32 v0 /*v256*/, v21, v20, 0x4030201
	s_set_vgpr_msb 1                        ;  msbs: dst=0 src0=1 src1=0 src2=0
	v_dot4_i32_iu8 v22, v31 /*v287*/, v23, v22 neg_lo:[1,1,0]
	s_set_vgpr_msb 0                        ;  msbs: dst=0 src0=0 src1=0 src2=0
	v_perm_b32 v23, v7, v7, 0xc0c0302
	s_set_vgpr_msb 64                       ;  msbs: dst=1 src0=0 src1=0 src2=0
	v_bfe_i32 v31 /*v287*/, v12, 16, 8
	s_set_vgpr_msb 1                        ;  msbs: dst=0 src0=1 src1=0 src2=0
	s_delay_alu instid0(VALU_DEP_2) | instskip(SKIP_3) | instid1(VALU_DEP_1)
	v_dot4_i32_iu8 v22, v32 /*v288*/, v23, v22 neg_lo:[1,1,0]
	s_set_vgpr_msb 0                        ;  msbs: dst=0 src0=0 src1=0 src2=0
	v_perm_b32 v23, v8, v8, 0xc0c0100
	s_set_vgpr_msb 1                        ;  msbs: dst=0 src0=1 src1=0 src2=0
	v_dot4_i32_iu8 v24, v33 /*v289*/, v23, v22 neg_lo:[1,1,0]
	ds_load_u16 v22, v37 /*v293*/
	ds_load_u16 v23, v37 /*v293*/ offset:8
	s_wait_dscnt 0x1
	v_lshrrev_b16 v25, 8, v22
	v_and_b32_e32 v175, 0xff, v22
	s_set_vgpr_msb 0                        ;  msbs: dst=0 src0=0 src1=0 src2=0
	v_mul_i32_i24_e32 v22, v224, v238
	s_wait_dscnt 0x0
	v_cvt_f32_ubyte0_e32 v136, v23
	s_delay_alu instid0(VALU_DEP_2)
	v_dot4_i32_iu8 v22, v129, v126, v22 neg_lo:[1,1,0]
	v_perm_b32 v126, v1, v0, 0x5040302
	v_and_b32_e32 v129, 0xffff, v25
	s_set_vgpr_msb 5                        ;  msbs: dst=0 src0=1 src1=1 src2=0
	v_perm_b32 v25, v20 /*v276*/, v19 /*v275*/, 0x5040302
	s_set_vgpr_msb 0x45                     ;  msbs: dst=1 src0=1 src1=1 src2=0
	v_perm_b32 v20 /*v276*/, v21 /*v277*/, v20 /*v276*/, 0x5040302
	s_set_vgpr_msb 4                        ;  msbs: dst=0 src0=0 src1=1 src2=0
	v_dot4_i32_iu8 v22, v126, v43 /*v299*/, v22 neg_lo:[1,1,0]
	s_set_vgpr_msb 0                        ;  msbs: dst=0 src0=0 src1=0 src2=0
	v_perm_b32 v126, v2, v1, 0x5040302
	s_set_vgpr_msb 4                        ;  msbs: dst=0 src0=0 src1=1 src2=0
	s_delay_alu instid0(VALU_DEP_1) | instskip(SKIP_2) | instid1(VALU_DEP_1)
	v_dot4_i32_iu8 v22, v126, v45 /*v301*/, v22 neg_lo:[1,1,0]
	s_set_vgpr_msb 0                        ;  msbs: dst=0 src0=0 src1=0 src2=0
	v_perm_b32 v126, v3, v2, 0x5040302
	v_dot4_i32_iu8 v13, v126, v13, v22 neg_lo:[1,1,0]
	v_perm_b32 v22, v3, v3, 0xc0c0302
	v_cvt_f32_ubyte1_e32 v126, v23
	s_set_vgpr_msb 4                        ;  msbs: dst=0 src0=0 src1=1 src2=0
	v_dot4_i32_iu8 v23, v244, v54 /*v310*/, v246 neg_lo:[1,1,0]
	s_set_vgpr_msb 1                        ;  msbs: dst=0 src0=1 src1=0 src2=0
	v_perm_b32 v246, v34 /*v290*/, v248, 0xc0c0403
	s_set_vgpr_msb 0                        ;  msbs: dst=0 src0=0 src1=0 src2=0
	v_perm_b32 v248, v27, v26, 0x6050403
	s_set_vgpr_msb 1                        ;  msbs: dst=0 src0=1 src1=0 src2=0
	v_dot4_i32_iu8 v13, v57 /*v313*/, v22, v13 neg_lo:[1,1,0]
	s_set_vgpr_msb 0                        ;  msbs: dst=0 src0=0 src1=0 src2=0
	v_perm_b32 v22, v10, v10, 0xc0c0100
	v_perm_b32 v26, v226, v141, 0x6050403
	s_set_vgpr_msb 4                        ;  msbs: dst=0 src0=0 src1=1 src2=0
	v_dot4_i32_iu8 v23, v246, v56 /*v312*/, v23 neg_lo:[1,1,0]
	s_set_vgpr_msb 1                        ;  msbs: dst=0 src0=1 src1=0 src2=0
	v_perm_b32 v27, v18 /*v274*/, v237, 0x6050403
	v_dot4_i32_iu8 v13, v58 /*v314*/, v22, v13 neg_lo:[1,1,0]
	s_set_vgpr_msb 0                        ;  msbs: dst=0 src0=0 src1=0 src2=0
	v_perm_b32 v22, v10, v10, 0xc0c0302
	s_set_vgpr_msb 1                        ;  msbs: dst=0 src0=1 src1=0 src2=0
	s_delay_alu instid0(VALU_DEP_1) | instskip(SKIP_3) | instid1(VALU_DEP_1)
	v_dot4_i32_iu8 v13, v59 /*v315*/, v22, v13 neg_lo:[1,1,0]
	s_set_vgpr_msb 0                        ;  msbs: dst=0 src0=0 src1=0 src2=0
	v_perm_b32 v22, v11, v11, 0xc0c0100
	s_set_vgpr_msb 1                        ;  msbs: dst=0 src0=1 src1=0 src2=0
	v_dot4_i32_iu8 v13, v60 /*v316*/, v22, v13 neg_lo:[1,1,0]
	s_set_vgpr_msb 0                        ;  msbs: dst=0 src0=0 src1=0 src2=0
	v_perm_b32 v22, v11, v11, 0xc0c0302
	s_set_vgpr_msb 1                        ;  msbs: dst=0 src0=1 src1=0 src2=0
	s_delay_alu instid0(VALU_DEP_1) | instskip(SKIP_3) | instid1(VALU_DEP_1)
	v_dot4_i32_iu8 v13, v61 /*v317*/, v22, v13 neg_lo:[1,1,0]
	s_set_vgpr_msb 0                        ;  msbs: dst=0 src0=0 src1=0 src2=0
	v_perm_b32 v22, v12, v12, 0xc0c0100
	s_set_vgpr_msb 1                        ;  msbs: dst=0 src0=1 src1=0 src2=0
	v_dot4_i32_iu8 v13, v62 /*v318*/, v22, v13 neg_lo:[1,1,0]
	v_mul_i32_i24_e32 v22, v41 /*v297*/, v151
	s_delay_alu instid0(VALU_DEP_1) | instskip(NEXT) | instid1(VALU_DEP_1)
	v_dot4_i32_iu8 v22, v42 /*v298*/, v153, v22 neg_lo:[1,1,0]
	v_dot4_i32_iu8 v22, v44 /*v300*/, v160, v22 neg_lo:[1,1,0]
	s_delay_alu instid0(VALU_DEP_1) | instskip(NEXT) | instid1(VALU_DEP_1)
	v_dot4_i32_iu8 v22, v50 /*v306*/, v162, v22 neg_lo:[1,1,0]
	v_dot4_i32_iu8 v22, v51 /*v307*/, v163, v22 neg_lo:[1,1,0]
	s_delay_alu instid0(VALU_DEP_1) | instskip(SKIP_1) | instid1(VALU_DEP_1)
	v_dot4_i32_iu8 v22, v52 /*v308*/, v164, v22 neg_lo:[1,1,0]
	s_set_vgpr_msb 4                        ;  msbs: dst=0 src0=0 src1=1 src2=0
	v_mad_i32_i24 v22, v158, v46 /*v302*/, v22
	s_delay_alu instid0(VALU_DEP_1) | instskip(SKIP_3) | instid1(VALU_DEP_2)
	v_dot4_i32_iu8 v18, v254, v15 /*v271*/, v22 neg_lo:[1,1,0]
	s_set_vgpr_msb 0                        ;  msbs: dst=0 src0=0 src1=0 src2=0
	v_perm_b32 v22, v235, v234, 0x5040302
	s_set_vgpr_msb 4                        ;  msbs: dst=0 src0=0 src1=1 src2=0
	v_dot4_i32_iu8 v18, v255, v16 /*v272*/, v18 neg_lo:[1,1,0]
	s_set_vgpr_msb 0                        ;  msbs: dst=0 src0=0 src1=0 src2=0
	s_delay_alu instid0(VALU_DEP_2) | instskip(SKIP_4) | instid1(VALU_DEP_2)
	v_dot4_i32_iu8 v19, v22, v168, v19 neg_lo:[1,1,0]
	v_perm_b32 v22, v236, v235, 0x5040302
	s_set_vgpr_msb 5                        ;  msbs: dst=0 src0=1 src1=1 src2=0
	v_dot4_i32_iu8 v18, v17 /*v273*/, v0 /*v256*/, v18 neg_lo:[1,1,0]
	s_set_vgpr_msb 0                        ;  msbs: dst=0 src0=0 src1=0 src2=0
	v_dot4_i32_iu8 v19, v22, v239, v19 neg_lo:[1,1,0]
	v_perm_b32 v22, v237, v236, 0x5040302
	s_delay_alu instid0(VALU_DEP_3) | instskip(NEXT) | instid1(VALU_DEP_2)
	v_mul_lo_u32 v18, v18, v165
	v_dot4_i32_iu8 v19, v22, v240, v19 neg_lo:[1,1,0]
	s_set_vgpr_msb 1                        ;  msbs: dst=0 src0=1 src1=0 src2=0
	v_perm_b32 v22, v18 /*v274*/, v237, 0x5040302
	s_set_vgpr_msb 0                        ;  msbs: dst=0 src0=0 src1=0 src2=0
	s_delay_alu instid0(VALU_DEP_1) | instskip(SKIP_3) | instid1(VALU_DEP_1)
	v_dot4_i32_iu8 v19, v22, v241, v19 neg_lo:[1,1,0]
	s_set_vgpr_msb 5                        ;  msbs: dst=0 src0=1 src1=1 src2=0
	v_perm_b32 v22, v19 /*v275*/, v18 /*v274*/, 0x5040302
	s_set_vgpr_msb 0                        ;  msbs: dst=0 src0=0 src1=0 src2=0
	v_dot4_i32_iu8 v19, v22, v242, v19 neg_lo:[1,1,0]
	s_delay_alu instid0(VALU_DEP_1) | instskip(SKIP_2) | instid1(VALU_DEP_2)
	v_dot4_i32_iu8 v22, v25, v243, v19 neg_lo:[1,1,0]
	v_perm_b32 v19, v21, v20, 0xc040302
	s_set_vgpr_msb 1                        ;  msbs: dst=0 src0=1 src1=0 src2=0
	v_dot4_i32_iu8 v22, v20 /*v276*/, v244, v22 neg_lo:[1,1,0]
	s_set_vgpr_msb 17                       ;  msbs: dst=0 src0=1 src1=0 src2=1
	s_delay_alu instid0(VALU_DEP_2) | instskip(SKIP_1) | instid1(VALU_DEP_2)
	v_dot4_i32_iu8 v19, v53 /*v309*/, v19, v35 /*v291*/ neg_lo:[1,1,0]
	s_set_vgpr_msb 4                        ;  msbs: dst=0 src0=0 src1=1 src2=0
	v_dot4_i32_iu8 v22, v246, v55 /*v311*/, v22 neg_lo:[1,1,0]
	s_set_vgpr_msb 0                        ;  msbs: dst=0 src0=0 src1=0 src2=0
	s_delay_alu instid0(VALU_DEP_2) | instskip(SKIP_1) | instid1(VALU_DEP_3)
	v_mul_lo_u32 v20, v19, v165
	v_cvt_f32_i32_e32 v19, v18
	v_mul_lo_u32 v238, v22, v229
	v_mul_lo_u32 v22, v23, v229
	s_delay_alu instid0(VALU_DEP_4) | instskip(SKIP_2) | instid1(VALU_DEP_4)
	v_cvt_f32_i32_e32 v18, v20
	s_set_vgpr_msb 4                        ;  msbs: dst=0 src0=0 src1=1 src2=0
	v_pk_fma_f32 v[20:21], v[134:135], v[24:25] /*v[280:281]*/, 0 op_sel_hi:[0,1,0]
	v_cvt_f32_i32_e32 v23, v238
	s_set_vgpr_msb 1                        ;  msbs: dst=0 src0=1 src1=0 src2=0
	v_pk_fma_f32 v[18:19], v[22:23] /*v[278:279]*/, v[18:19], 0 op_sel_hi:[1,1,0]
	s_set_vgpr_msb 4                        ;  msbs: dst=0 src0=0 src1=1 src2=0
	v_cvt_f32_i32_e32 v22, v22
	v_pk_fma_f32 v[20:21], v[152:153], v[28:29] /*v[284:285]*/, v[20:21] op_sel_hi:[0,1,1]
	s_set_vgpr_msb 0                        ;  msbs: dst=0 src0=0 src1=0 src2=0
	v_perm_b32 v238, v9, v8, 0x4030201
	s_set_vgpr_msb 1                        ;  msbs: dst=0 src0=1 src1=0 src2=0
	v_pk_fma_f32 v[18:19], v[26:27] /*v[282:283]*/, v[22:23], v[18:19]
	s_set_vgpr_msb 0                        ;  msbs: dst=0 src0=0 src1=0 src2=0
	v_pk_mul_f32 v[20:21], v[20:21], v[120:121]
	v_perm_b32 v22, v236, v235, 0x6050403
	v_perm_b32 v23, v237, v236, 0x6050403
	;; [unrolled: 1-line block ×4, first 2 shown]
	v_pk_fma_f32 v[18:19], v[18:19], v[112:113], v[20:21] neg_lo:[0,0,1] neg_hi:[0,0,1]
	v_perm_b32 v20, v234, v234, 0xc0c0201
	v_perm_b32 v21, v235, v234, 0x6050403
	;; [unrolled: 1-line block ×4, first 2 shown]
	v_pk_add_f32 v[98:99], v[98:99], v[18:19]
	s_set_vgpr_msb 1                        ;  msbs: dst=0 src0=1 src1=0 src2=0
	v_mul_i32_i24_e32 v19, v48 /*v304*/, v228
	s_set_vgpr_msb 0                        ;  msbs: dst=0 src0=0 src1=0 src2=0
	v_dot4_i32_iu8 v18, v230, v146, 0 neg_lo:[1,1,0]
	v_perm_b32 v230, v16, v15, 0x6050403
	s_delay_alu instid0(VALU_DEP_3) | instskip(NEXT) | instid1(VALU_DEP_3)
	v_dot4_i32_iu8 v19, v20, v247, v19 neg_lo:[1,1,0]
	v_dot4_i32_iu8 v18, v231, v147, v18 neg_lo:[1,1,0]
	v_perm_b32 v231, v17, v16, 0xc0c0403
	s_delay_alu instid0(VALU_DEP_3) | instskip(NEXT) | instid1(VALU_DEP_3)
	v_dot4_i32_iu8 v19, v21, v248, v19 neg_lo:[1,1,0]
	v_dot4_i32_iu8 v18, v232, v144, v18 neg_lo:[1,1,0]
	s_set_vgpr_msb 4                        ;  msbs: dst=0 src0=0 src1=1 src2=0
	s_delay_alu instid0(VALU_DEP_3)
	v_dot4_i32_iu8 v15, v231, v56 /*v312*/, v140 neg_lo:[1,1,0]
	s_set_vgpr_msb 0                        ;  msbs: dst=0 src0=0 src1=0 src2=0
	v_perm_b32 v232, v7, v6, 0x4030201
	s_set_vgpr_msb 1                        ;  msbs: dst=0 src0=1 src1=0 src2=0
	v_perm_b32 v140, v38 /*v294*/, v12, 0xc0c0403
	s_set_vgpr_msb 0                        ;  msbs: dst=0 src0=0 src1=0 src2=0
	v_dot4_i32_iu8 v19, v22, v249, v19 neg_lo:[1,1,0]
	v_dot4_i32_iu8 v18, v233, v145, v18 neg_lo:[1,1,0]
	v_mul_lo_u32 v16, v15, v172
	v_perm_b32 v233, v8, v7, 0x4030201
	s_set_vgpr_msb 4                        ;  msbs: dst=0 src0=0 src1=1 src2=0
	v_pk_fma_f32 v[6:7], v[136:137], v[24:25] /*v[280:281]*/, 0 op_sel_hi:[0,1,0]
	s_set_vgpr_msb 0                        ;  msbs: dst=0 src0=0 src1=0 src2=0
	v_dot4_i32_iu8 v19, v23, v250, v19 neg_lo:[1,1,0]
	s_set_vgpr_msb 1                        ;  msbs: dst=0 src0=1 src1=0 src2=0
	v_dot4_i32_iu8 v18, v14 /*v270*/, v142, v18 neg_lo:[1,1,0]
	s_set_vgpr_msb 4                        ;  msbs: dst=0 src0=0 src1=1 src2=0
	v_pk_fma_f32 v[6:7], v[126:127], v[28:29] /*v[284:285]*/, v[6:7] op_sel_hi:[0,1,1]
	s_set_vgpr_msb 0                        ;  msbs: dst=0 src0=0 src1=0 src2=0
	v_dot4_i32_iu8 v19, v27, v26, v19 neg_lo:[1,1,0]
	s_set_vgpr_msb 5                        ;  msbs: dst=0 src0=1 src1=1 src2=0
	v_perm_b32 v26, v19 /*v275*/, v19 /*v275*/, 0xc0c0100
	s_set_vgpr_msb 1                        ;  msbs: dst=0 src0=1 src1=0 src2=0
	v_dot4_i32_iu8 v18, v15 /*v271*/, v143, v18 neg_lo:[1,1,0]
	s_set_vgpr_msb 0                        ;  msbs: dst=0 src0=0 src1=0 src2=0
	v_pk_mul_f32 v[6:7], v[6:7], v[124:125]
	s_set_vgpr_msb 1                        ;  msbs: dst=0 src0=1 src1=0 src2=0
	v_mad_i32_i24 v19, v49 /*v305*/, v227, v19
	v_dot4_i32_iu8 v18, v16 /*v272*/, v138, v18 neg_lo:[1,1,0]
	s_set_vgpr_msb 0                        ;  msbs: dst=0 src0=0 src1=0 src2=0
	s_delay_alu instid0(VALU_DEP_2) | instskip(SKIP_1) | instid1(VALU_DEP_2)
	v_dot4_i32_iu8 v19, v26, v251, v19 neg_lo:[1,1,0]
	s_set_vgpr_msb 1                        ;  msbs: dst=0 src0=1 src1=0 src2=0
	v_dot4_i32_iu8 v18, v17 /*v273*/, v139, v18 neg_lo:[1,1,0]
	s_set_vgpr_msb 0                        ;  msbs: dst=0 src0=0 src1=0 src2=0
	s_delay_alu instid0(VALU_DEP_2) | instskip(NEXT) | instid1(VALU_DEP_2)
	v_dot4_i32_iu8 v14, v25, v252, v19 neg_lo:[1,1,0]
	v_mul_lo_u32 v5, v18, v225
	s_set_vgpr_msb 4                        ;  msbs: dst=0 src0=0 src1=1 src2=0
	v_pk_fma_f32 v[18:19], v[148:149], v[24:25] /*v[280:281]*/, 0 op_sel_hi:[0,1,0]
	s_set_vgpr_msb 1                        ;  msbs: dst=0 src0=1 src1=0 src2=0
	v_dot4_i32_iu8 v14, v20 /*v276*/, v230, v14 neg_lo:[1,1,0]
	s_set_vgpr_msb 4                        ;  msbs: dst=0 src0=0 src1=1 src2=0
	s_delay_alu instid0(VALU_DEP_1) | instskip(NEXT) | instid1(VALU_DEP_4)
	v_dot4_i32_iu8 v14, v231, v55 /*v311*/, v14 neg_lo:[1,1,0]
	v_cvt_f32_i32_e32 v5, v5
	s_set_vgpr_msb 0                        ;  msbs: dst=0 src0=0 src1=0 src2=0
	s_delay_alu instid0(VALU_DEP_2) | instskip(SKIP_1) | instid1(VALU_DEP_2)
	v_mul_lo_u32 v14, v14, v172
	s_set_vgpr_msb 1                        ;  msbs: dst=0 src0=1 src1=0 src2=0
	v_pk_fma_f32 v[4:5], v[22:23] /*v[278:279]*/, v[4:5], 0 op_sel_hi:[1,1,0]
	s_set_vgpr_msb 0                        ;  msbs: dst=0 src0=0 src1=0 src2=0
	s_delay_alu instid0(VALU_DEP_2) | instskip(SKIP_2) | instid1(VALU_DEP_1)
	v_cvt_f32_i32_e32 v15, v14
	v_cvt_f32_i32_e32 v14, v16
	s_set_vgpr_msb 1                        ;  msbs: dst=0 src0=1 src1=0 src2=0
	v_pk_fma_f32 v[4:5], v[26:27] /*v[282:283]*/, v[14:15], v[4:5]
	s_set_vgpr_msb 4                        ;  msbs: dst=0 src0=0 src1=1 src2=0
	v_pk_fma_f32 v[14:15], v[150:151], v[28:29] /*v[284:285]*/, v[18:19] op_sel_hi:[0,1,1]
	s_set_vgpr_msb 0                        ;  msbs: dst=0 src0=0 src1=0 src2=0
	s_delay_alu instid0(VALU_DEP_1) | instskip(NEXT) | instid1(VALU_DEP_1)
	v_pk_mul_f32 v[14:15], v[14:15], v[122:123]
	v_pk_fma_f32 v[4:5], v[4:5], v[114:115], v[14:15] neg_lo:[0,0,1] neg_hi:[0,0,1]
	s_delay_alu instid0(VALU_DEP_1) | instskip(SKIP_3) | instid1(VALU_DEP_2)
	v_pk_add_f32 v[104:105], v[104:105], v[4:5]
	s_set_vgpr_msb 1                        ;  msbs: dst=0 src0=1 src1=0 src2=0
	v_mul_i32_i24_e32 v4, v41 /*v297*/, v169
	v_mul_i32_i24_e32 v5, v48 /*v304*/, v224
	v_dot4_i32_iu8 v4, v42 /*v298*/, v170, v4 neg_lo:[1,1,0]
	s_set_vgpr_msb 0                        ;  msbs: dst=0 src0=0 src1=0 src2=0
	s_delay_alu instid0(VALU_DEP_2) | instskip(SKIP_1) | instid1(VALU_DEP_2)
	v_dot4_i32_iu8 v5, v20, v234, v5 neg_lo:[1,1,0]
	s_set_vgpr_msb 1                        ;  msbs: dst=0 src0=1 src1=0 src2=0
	v_dot4_i32_iu8 v4, v44 /*v300*/, v173, v4 neg_lo:[1,1,0]
	s_set_vgpr_msb 0                        ;  msbs: dst=0 src0=0 src1=0 src2=0
	s_delay_alu instid0(VALU_DEP_2) | instskip(SKIP_1) | instid1(VALU_DEP_2)
	v_dot4_i32_iu8 v5, v21, v0, v5 neg_lo:[1,1,0]
	s_set_vgpr_msb 1                        ;  msbs: dst=0 src0=1 src1=0 src2=0
	;; [unrolled: 5-line block ×5, first 2 shown]
	v_mad_i32_i24 v4, v171, v46 /*v302*/, v4
	s_set_vgpr_msb 1                        ;  msbs: dst=0 src0=1 src1=0 src2=0
	s_delay_alu instid0(VALU_DEP_2) | instskip(SKIP_1) | instid1(VALU_DEP_2)
	v_mad_i32_i24 v3, v49 /*v305*/, v223, v3
	s_set_vgpr_msb 4                        ;  msbs: dst=0 src0=0 src1=1 src2=0
	v_dot4_i32_iu8 v4, v232, v15 /*v271*/, v4 neg_lo:[1,1,0]
	s_set_vgpr_msb 0                        ;  msbs: dst=0 src0=0 src1=0 src2=0
	s_delay_alu instid0(VALU_DEP_2) | instskip(SKIP_1) | instid1(VALU_DEP_2)
	v_dot4_i32_iu8 v3, v26, v236, v3 neg_lo:[1,1,0]
	s_set_vgpr_msb 4                        ;  msbs: dst=0 src0=0 src1=1 src2=0
	v_dot4_i32_iu8 v4, v233, v16 /*v272*/, v4 neg_lo:[1,1,0]
	s_set_vgpr_msb 0                        ;  msbs: dst=0 src0=0 src1=0 src2=0
	s_delay_alu instid0(VALU_DEP_2) | instskip(SKIP_1) | instid1(VALU_DEP_2)
	v_dot4_i32_iu8 v10, v25, v237, v3 neg_lo:[1,1,0]
	s_set_vgpr_msb 1                        ;  msbs: dst=0 src0=1 src1=0 src2=0
	v_dot4_i32_iu8 v3, v17 /*v273*/, v238, v4 neg_lo:[1,1,0]
	s_set_vgpr_msb 0                        ;  msbs: dst=0 src0=0 src1=0 src2=0
	v_perm_b32 v4, v9, v8, 0xc040302
	s_set_vgpr_msb 5                        ;  msbs: dst=0 src0=1 src1=1 src2=0
	v_mad_i32_i24 v8, v31 /*v287*/, v30 /*v286*/, v13
	s_set_vgpr_msb 0                        ;  msbs: dst=0 src0=0 src1=0 src2=0
	v_mul_lo_u32 v3, v3, v175
	s_set_vgpr_msb 1                        ;  msbs: dst=0 src0=1 src1=0 src2=0
	v_dot4_i32_iu8 v4, v53 /*v309*/, v4, v24 neg_lo:[1,1,0]
	s_set_vgpr_msb 4                        ;  msbs: dst=0 src0=0 src1=1 src2=0
	v_dot4_i32_iu8 v8, v140, v56 /*v312*/, v8 neg_lo:[1,1,0]
	s_set_vgpr_msb 0                        ;  msbs: dst=0 src0=0 src1=0 src2=0
	s_delay_alu instid0(VALU_DEP_2) | instskip(NEXT) | instid1(VALU_DEP_2)
	v_mul_lo_u32 v4, v4, v175
	v_mul_lo_u32 v8, v8, v129
	v_cvt_f32_i32_e32 v5, v3
	v_perm_b32 v3, v12, v11, 0x6050403
	s_set_vgpr_msb 1                        ;  msbs: dst=0 src0=1 src1=0 src2=0
	s_delay_alu instid0(VALU_DEP_1) | instskip(SKIP_3) | instid1(VALU_DEP_3)
	v_dot4_i32_iu8 v9, v20 /*v276*/, v3, v10 neg_lo:[1,1,0]
	s_set_vgpr_msb 4                        ;  msbs: dst=0 src0=0 src1=1 src2=0
	v_cvt_f32_i32_e32 v4, v4
	v_cvt_f32_i32_e32 v8, v8
	v_dot4_i32_iu8 v9, v140, v55 /*v311*/, v9 neg_lo:[1,1,0]
	s_set_vgpr_msb 1                        ;  msbs: dst=0 src0=1 src1=0 src2=0
	s_delay_alu instid0(VALU_DEP_3) | instskip(SKIP_1) | instid1(VALU_DEP_2)
	v_pk_fma_f32 v[4:5], v[22:23] /*v[278:279]*/, v[4:5], 0 op_sel_hi:[1,1,0]
	s_set_vgpr_msb 0                        ;  msbs: dst=0 src0=0 src1=0 src2=0
	v_mul_lo_u32 v9, v9, v129
	s_delay_alu instid0(VALU_DEP_1) | instskip(SKIP_1) | instid1(VALU_DEP_1)
	v_cvt_f32_i32_e32 v9, v9
	s_set_vgpr_msb 1                        ;  msbs: dst=0 src0=1 src1=0 src2=0
	v_pk_fma_f32 v[4:5], v[26:27] /*v[282:283]*/, v[8:9], v[4:5]
	s_set_vgpr_msb 0                        ;  msbs: dst=0 src0=0 src1=0 src2=0
	s_delay_alu instid0(VALU_DEP_1) | instskip(NEXT) | instid1(VALU_DEP_1)
	v_pk_fma_f32 v[4:5], v[4:5], v[116:117], v[6:7] neg_lo:[0,0,1] neg_hi:[0,0,1]
	v_pk_add_f32 v[108:109], v[108:109], v[4:5]
	v_or_b32_e32 v4, s5, v201
	s_delay_alu instid0(VALU_DEP_1)
	v_lshlrev_b32_e32 v16, 2, v4
	s_set_vgpr_msb 64                       ;  msbs: dst=1 src0=0 src1=0 src2=0
	v_lshrrev_b32_e32 v14 /*v270*/, 1, v4
	s_set_vgpr_msb 0                        ;  msbs: dst=0 src0=0 src1=0 src2=0
	ds_load_b128 v[8:11], v16 offset:33280
	ds_load_b128 v[4:7], v16 offset:33296
	;; [unrolled: 1-line block ×4, first 2 shown]
	s_wait_dscnt 0x3
	v_bfe_i32 v20, v8, 0, 8
	v_perm_b32 v26, v8, v8, 0xc0c0201
	v_perm_b32 v27, v9, v8, 0x6050403
	v_dot4_i32_iu8 v8, v8, v146, 0 neg_lo:[1,1,0]
	s_set_vgpr_msb 64                       ;  msbs: dst=1 src0=0 src1=0 src2=0
	v_perm_b32 v15 /*v271*/, v10, v9, 0x6050403
	s_set_vgpr_msb 0                        ;  msbs: dst=0 src0=0 src1=0 src2=0
	v_mul_i32_i24_e32 v25, v20, v155
	s_set_vgpr_msb 64                       ;  msbs: dst=1 src0=0 src1=0 src2=0
	v_perm_b32 v16 /*v272*/, v11, v10, 0x6050403
	s_wait_dscnt 0x2
	v_perm_b32 v17 /*v273*/, v4, v11, 0x6050403
	s_set_vgpr_msb 0                        ;  msbs: dst=0 src0=0 src1=0 src2=0
	v_dot4_i32_iu8 v8, v9, v147, v8 neg_lo:[1,1,0]
	v_ashrrev_i32_e32 v21, 24, v4
	v_dot4_i32_iu8 v25, v26, v156, v25 neg_lo:[1,1,0]
	s_wait_dscnt 0x1
	v_bfe_i32 v22, v12, 0, 8
	v_bfe_i32 v23, v12, 8, 8
	v_dot4_i32_iu8 v8, v10, v144, v8 neg_lo:[1,1,0]
	v_perm_b32 v9, v13, v12, 0x6050403
	v_dot4_i32_iu8 v25, v27, v157, v25 neg_lo:[1,1,0]
	s_set_vgpr_msb 64                       ;  msbs: dst=1 src0=0 src1=0 src2=0
	v_perm_b32 v18 /*v274*/, v13, v12, 0x5040302
	s_set_vgpr_msb 0                        ;  msbs: dst=0 src0=0 src1=0 src2=0
	v_perm_b32 v10, v14, v13, 0x6050403
	v_dot4_i32_iu8 v8, v11, v145, v8 neg_lo:[1,1,0]
	s_set_vgpr_msb 64                       ;  msbs: dst=1 src0=0 src1=0 src2=0
	v_perm_b32 v19 /*v275*/, v14, v13, 0x5040302
	s_set_vgpr_msb 5                        ;  msbs: dst=0 src0=1 src1=1 src2=0
	v_dot4_i32_iu8 v25, v15 /*v271*/, v1 /*v257*/, v25 neg_lo:[1,1,0]
	s_set_vgpr_msb 0                        ;  msbs: dst=0 src0=0 src1=0 src2=0
	v_perm_b32 v11, v15, v14, 0x6050403
	s_set_vgpr_msb 64                       ;  msbs: dst=1 src0=0 src1=0 src2=0
	v_perm_b32 v21 /*v277*/, v15, v14, 0x5040302
	s_set_vgpr_msb 0                        ;  msbs: dst=0 src0=0 src1=0 src2=0
	v_dot4_i32_iu8 v4, v4, v142, v8 neg_lo:[1,1,0]
	v_perm_b32 v8, v12, v12, 0xc0c0201
	s_set_vgpr_msb 5                        ;  msbs: dst=0 src0=1 src1=1 src2=0
	v_dot4_i32_iu8 v25, v16 /*v272*/, v2 /*v258*/, v25 neg_lo:[1,1,0]
	s_wait_dscnt 0x0
	s_set_vgpr_msb 0                        ;  msbs: dst=0 src0=0 src1=0 src2=0
	v_perm_b32 v12, v16, v141, 0x6050403
	v_perm_b32 v13, v226, v15, 0x6050403
	v_dot4_i32_iu8 v4, v5, v143, v4 neg_lo:[1,1,0]
	v_ashrrev_i32_e32 v24, 24, v16
	s_set_vgpr_msb 5                        ;  msbs: dst=0 src0=1 src1=1 src2=0
	v_dot4_i32_iu8 v25, v17 /*v273*/, v3 /*v259*/, v25 neg_lo:[1,1,0]
	s_set_vgpr_msb 64                       ;  msbs: dst=1 src0=0 src1=0 src2=0
	v_perm_b32 v22 /*v278*/, v16, v15, 0x5040302
	v_perm_b32 v23 /*v279*/, v17, v16, 0x5040302
	v_dot4_i32_iu8 v28 /*v284*/, v6, v138, v4 neg_lo:[1,1,0]
	s_set_vgpr_msb 0                        ;  msbs: dst=0 src0=0 src1=0 src2=0
	v_mul_i32_i24_e32 v4, v22, v228
	v_mad_i32_i24 v25, v154, v21, v25
	s_set_vgpr_msb 64                       ;  msbs: dst=1 src0=0 src1=0 src2=0
	v_perm_b32 v24 /*v280*/, v18, v17, 0x5040302
	v_perm_b32 v46 /*v302*/, v19, v130, 0x5040302
	s_set_vgpr_msb 0                        ;  msbs: dst=0 src0=0 src1=0 src2=0
	v_dot4_i32_iu8 v4, v8, v247, v4 neg_lo:[1,1,0]
	s_set_vgpr_msb 1                        ;  msbs: dst=0 src0=1 src1=0 src2=0
	v_dot4_i32_iu8 v25, v12 /*v268*/, v5, v25 neg_lo:[1,1,0]
	s_set_vgpr_msb 0                        ;  msbs: dst=0 src0=0 src1=0 src2=0
	s_delay_alu instid0(VALU_DEP_2) | instskip(SKIP_1) | instid1(VALU_DEP_2)
	v_dot4_i32_iu8 v4, v9, v248, v4 neg_lo:[1,1,0]
	s_set_vgpr_msb 0x41                     ;  msbs: dst=1 src0=1 src1=0 src2=0
	v_dot4_i32_iu8 v20 /*v276*/, v13 /*v269*/, v6, v25 neg_lo:[1,1,0]
	s_set_vgpr_msb 1                        ;  msbs: dst=0 src0=1 src1=0 src2=0
	v_mul_i32_i24_e32 v25, v5 /*v261*/, v22
	s_set_vgpr_msb 0                        ;  msbs: dst=0 src0=0 src1=0 src2=0
	v_dot4_i32_iu8 v4, v10, v249, v4 neg_lo:[1,1,0]
	s_set_vgpr_msb 1                        ;  msbs: dst=0 src0=1 src1=0 src2=0
	s_delay_alu instid0(VALU_DEP_2) | instskip(SKIP_1) | instid1(VALU_DEP_2)
	v_mad_i32_i24 v25, v4 /*v260*/, v23, v25
	s_set_vgpr_msb 0                        ;  msbs: dst=0 src0=0 src1=0 src2=0
	v_dot4_i32_iu8 v4, v11, v250, v4 neg_lo:[1,1,0]
	s_set_vgpr_msb 5                        ;  msbs: dst=0 src0=1 src1=1 src2=0
	s_delay_alu instid0(VALU_DEP_2) | instskip(SKIP_1) | instid1(VALU_DEP_2)
	v_dot4_i32_iu8 v25, v6 /*v262*/, v18 /*v274*/, v25 neg_lo:[1,1,0]
	s_set_vgpr_msb 0                        ;  msbs: dst=0 src0=0 src1=0 src2=0
	v_dot4_i32_iu8 v4, v13, v12, v4 neg_lo:[1,1,0]
	v_perm_b32 v12, v17, v17, 0xc0c0100
	s_set_vgpr_msb 5                        ;  msbs: dst=0 src0=1 src1=1 src2=0
	v_dot4_i32_iu8 v25, v7 /*v263*/, v19 /*v275*/, v25 neg_lo:[1,1,0]
	s_set_vgpr_msb 0                        ;  msbs: dst=0 src0=0 src1=0 src2=0
	v_mad_i32_i24 v4, v227, v24, v4
	s_set_vgpr_msb 5                        ;  msbs: dst=0 src0=1 src1=1 src2=0
	s_delay_alu instid0(VALU_DEP_2) | instskip(SKIP_1) | instid1(VALU_DEP_2)
	v_dot4_i32_iu8 v25, v8 /*v264*/, v21 /*v277*/, v25 neg_lo:[1,1,0]
	s_set_vgpr_msb 0                        ;  msbs: dst=0 src0=0 src1=0 src2=0
	v_dot4_i32_iu8 v4, v251, v12, v4 neg_lo:[1,1,0]
	s_set_vgpr_msb 5                        ;  msbs: dst=0 src0=1 src1=1 src2=0
	s_delay_alu instid0(VALU_DEP_2) | instskip(SKIP_1) | instid1(VALU_DEP_2)
	v_dot4_i32_iu8 v25, v9 /*v265*/, v22 /*v278*/, v25 neg_lo:[1,1,0]
	s_set_vgpr_msb 0x44                     ;  msbs: dst=1 src0=0 src1=1 src2=0
	v_dot4_i32_iu8 v29 /*v285*/, v252, v24 /*v280*/, v4 neg_lo:[1,1,0]
	s_set_vgpr_msb 0                        ;  msbs: dst=0 src0=0 src1=0 src2=0
	v_mul_i32_i24_e32 v4, v20, v169
	s_set_vgpr_msb 5                        ;  msbs: dst=0 src0=1 src1=1 src2=0
	v_dot4_i32_iu8 v25, v10 /*v266*/, v23 /*v279*/, v25 neg_lo:[1,1,0]
	s_set_vgpr_msb 0                        ;  msbs: dst=0 src0=0 src1=0 src2=0
	s_delay_alu instid0(VALU_DEP_2) | instskip(SKIP_1) | instid1(VALU_DEP_2)
	v_dot4_i32_iu8 v4, v26, v170, v4 neg_lo:[1,1,0]
	s_set_vgpr_msb 0x45                     ;  msbs: dst=1 src0=1 src1=1 src2=0
	v_dot4_i32_iu8 v25 /*v281*/, v11 /*v267*/, v24 /*v280*/, v25 neg_lo:[1,1,0]
	s_set_vgpr_msb 0                        ;  msbs: dst=0 src0=0 src1=0 src2=0
	v_mul_i32_i24_e32 v25, v20, v151
	v_dot4_i32_iu8 v4, v27, v173, v4 neg_lo:[1,1,0]
	s_delay_alu instid0(VALU_DEP_2) | instskip(SKIP_1) | instid1(VALU_DEP_2)
	v_dot4_i32_iu8 v25, v26, v153, v25 neg_lo:[1,1,0]
	s_set_vgpr_msb 1                        ;  msbs: dst=0 src0=1 src1=0 src2=0
	v_dot4_i32_iu8 v4, v15 /*v271*/, v174, v4 neg_lo:[1,1,0]
	s_set_vgpr_msb 0                        ;  msbs: dst=0 src0=0 src1=0 src2=0
	s_delay_alu instid0(VALU_DEP_2) | instskip(SKIP_1) | instid1(VALU_DEP_2)
	v_dot4_i32_iu8 v25, v27, v160, v25 neg_lo:[1,1,0]
	s_set_vgpr_msb 1                        ;  msbs: dst=0 src0=1 src1=0 src2=0
	v_dot4_i32_iu8 v4, v16 /*v272*/, v221, v4 neg_lo:[1,1,0]
	s_delay_alu instid0(VALU_DEP_2) | instskip(NEXT) | instid1(VALU_DEP_2)
	v_dot4_i32_iu8 v25, v15 /*v271*/, v162, v25 neg_lo:[1,1,0]
	v_dot4_i32_iu8 v4, v17 /*v273*/, v222, v4 neg_lo:[1,1,0]
	s_delay_alu instid0(VALU_DEP_2) | instskip(SKIP_1) | instid1(VALU_DEP_2)
	v_dot4_i32_iu8 v25, v16 /*v272*/, v163, v25 neg_lo:[1,1,0]
	s_set_vgpr_msb 0                        ;  msbs: dst=0 src0=0 src1=0 src2=0
	v_mad_i32_i24 v4, v171, v21, v4
	s_set_vgpr_msb 1                        ;  msbs: dst=0 src0=1 src1=0 src2=0
	s_delay_alu instid0(VALU_DEP_2) | instskip(SKIP_1) | instid1(VALU_DEP_2)
	v_dot4_i32_iu8 v25, v17 /*v273*/, v164, v25 neg_lo:[1,1,0]
	s_set_vgpr_msb 0                        ;  msbs: dst=0 src0=0 src1=0 src2=0
	v_dot4_i32_iu8 v4, v232, v5, v4 neg_lo:[1,1,0]
	s_delay_alu instid0(VALU_DEP_2) | instskip(NEXT) | instid1(VALU_DEP_1)
	v_mad_i32_i24 v25, v158, v21, v25
	v_dot4_i32_iu8 v25, v254, v5, v25 neg_lo:[1,1,0]
	v_perm_b32 v5, v16, v15, 0x6050403
	s_set_vgpr_msb 64                       ;  msbs: dst=1 src0=0 src1=0 src2=0
	s_delay_alu instid0(VALU_DEP_2) | instskip(SKIP_4) | instid1(VALU_DEP_3)
	v_dot4_i32_iu8 v26 /*v282*/, v255, v6, v25 neg_lo:[1,1,0]
	s_set_vgpr_msb 0                        ;  msbs: dst=0 src0=0 src1=0 src2=0
	v_dot4_i32_iu8 v6, v233, v6, v4 neg_lo:[1,1,0]
	v_mul_i32_i24_e32 v4, v22, v224
	v_mul_i32_i24_e32 v25, v22, v166
	v_dot4_i32_iu8 v6, v7, v238, v6 neg_lo:[1,1,0]
	s_delay_alu instid0(VALU_DEP_3) | instskip(NEXT) | instid1(VALU_DEP_3)
	v_dot4_i32_iu8 v4, v8, v234, v4 neg_lo:[1,1,0]
	v_mad_i32_i24 v23, v23, v167, v25
	s_delay_alu instid0(VALU_DEP_3) | instskip(NEXT) | instid1(VALU_DEP_3)
	v_mul_lo_u32 v6, v6, v175
	v_dot4_i32_iu8 v4, v9, v0, v4 neg_lo:[1,1,0]
	s_set_vgpr_msb 1                        ;  msbs: dst=0 src0=1 src1=0 src2=0
	s_delay_alu instid0(VALU_DEP_3) | instskip(SKIP_1) | instid1(VALU_DEP_2)
	v_dot4_i32_iu8 v23, v18 /*v274*/, v168, v23 neg_lo:[1,1,0]
	s_set_vgpr_msb 0                        ;  msbs: dst=0 src0=0 src1=0 src2=0
	v_dot4_i32_iu8 v4, v10, v1, v4 neg_lo:[1,1,0]
	s_set_vgpr_msb 1                        ;  msbs: dst=0 src0=1 src1=0 src2=0
	s_delay_alu instid0(VALU_DEP_2) | instskip(SKIP_1) | instid1(VALU_DEP_2)
	v_dot4_i32_iu8 v23, v19 /*v275*/, v239, v23 neg_lo:[1,1,0]
	s_set_vgpr_msb 0                        ;  msbs: dst=0 src0=0 src1=0 src2=0
	v_dot4_i32_iu8 v4, v11, v2, v4 neg_lo:[1,1,0]
	s_set_vgpr_msb 1                        ;  msbs: dst=0 src0=1 src1=0 src2=0
	s_delay_alu instid0(VALU_DEP_2)
	v_dot4_i32_iu8 v23, v21 /*v277*/, v240, v23 neg_lo:[1,1,0]
	s_set_vgpr_msb 0                        ;  msbs: dst=0 src0=0 src1=0 src2=0
	v_cvt_f32_i32_e32 v6, v6
	v_dot4_i32_iu8 v4, v235, v5, v4 neg_lo:[1,1,0]
	s_set_vgpr_msb 1                        ;  msbs: dst=0 src0=1 src1=0 src2=0
	v_dot4_i32_iu8 v23, v22 /*v278*/, v241, v23 neg_lo:[1,1,0]
	s_set_vgpr_msb 0                        ;  msbs: dst=0 src0=0 src1=0 src2=0
	s_delay_alu instid0(VALU_DEP_2) | instskip(SKIP_1) | instid1(VALU_DEP_2)
	v_mad_i32_i24 v4, v223, v24, v4
	s_set_vgpr_msb 1                        ;  msbs: dst=0 src0=1 src1=0 src2=0
	v_dot4_i32_iu8 v23, v23 /*v279*/, v242, v23 neg_lo:[1,1,0]
	s_set_vgpr_msb 64                       ;  msbs: dst=1 src0=0 src1=0 src2=0
	v_perm_b32 v23 /*v279*/, v131, v18, 0x5040302
	s_set_vgpr_msb 0                        ;  msbs: dst=0 src0=0 src1=0 src2=0
	v_dot4_i32_iu8 v4, v236, v12, v4 neg_lo:[1,1,0]
	s_set_vgpr_msb 0x41                     ;  msbs: dst=1 src0=1 src1=0 src2=0
	v_dot4_i32_iu8 v27 /*v283*/, v24 /*v280*/, v243, v23 neg_lo:[1,1,0]
	s_set_vgpr_msb 0x55                     ;  msbs: dst=1 src0=1 src1=1 src2=1
	v_dot4_i32_iu8 v23 /*v279*/, v46 /*v302*/, v23 /*v279*/, v25 /*v281*/ neg_lo:[1,1,0]
	s_set_vgpr_msb 0x44                     ;  msbs: dst=1 src0=0 src1=1 src2=0
	v_dot4_i32_iu8 v24 /*v280*/, v237, v24 /*v280*/, v4 neg_lo:[1,1,0]
	s_set_vgpr_msb 0                        ;  msbs: dst=0 src0=0 src1=0 src2=0
	v_or_b32_e32 v4, s5, v202
	s_delay_alu instid0(VALU_DEP_1)
	v_lshlrev_b32_e32 v5, 2, v4
	ds_load_b128 v[8:11], v5 offset:33280
	ds_load_b128 v[12:15], v5 offset:33296
	;; [unrolled: 1-line block ×4, first 2 shown]
	v_lshrrev_b32_e32 v16, 1, v4
	s_wait_dscnt 0x3
	s_set_vgpr_msb 64                       ;  msbs: dst=1 src0=0 src1=0 src2=0
	v_bfe_i32 v30 /*v286*/, v8, 0, 8
	v_perm_b32 v35 /*v291*/, v8, v8, 0xc0c0201
	v_perm_b32 v36 /*v292*/, v9, v8, 0x6050403
	;; [unrolled: 1-line block ×4, first 2 shown]
	s_set_vgpr_msb 1                        ;  msbs: dst=0 src0=1 src1=0 src2=0
	v_mul_i32_i24_e32 v4, v30 /*v286*/, v155
	s_wait_dscnt 0x2
	s_set_vgpr_msb 64                       ;  msbs: dst=1 src0=0 src1=0 src2=0
	v_perm_b32 v39 /*v295*/, v12, v11, 0x6050403
	v_ashrrev_i32_e32 v31 /*v287*/, 24, v12
	s_wait_dscnt 0x1
	v_bfe_i32 v32 /*v288*/, v20, 0, 8
	v_bfe_i32 v33 /*v289*/, v20, 8, 8
	s_set_vgpr_msb 1                        ;  msbs: dst=0 src0=1 src1=0 src2=0
	v_dot4_i32_iu8 v4, v35 /*v291*/, v156, v4 neg_lo:[1,1,0]
	s_set_vgpr_msb 64                       ;  msbs: dst=1 src0=0 src1=0 src2=0
	v_perm_b32 v40 /*v296*/, v21, v20, 0x5040302
	v_perm_b32 v41 /*v297*/, v22, v21, 0x5040302
	;; [unrolled: 1-line block ×3, first 2 shown]
	s_wait_dscnt 0x0
	v_perm_b32 v43 /*v299*/, v24, v23, 0x5040302
	s_set_vgpr_msb 1                        ;  msbs: dst=0 src0=1 src1=0 src2=0
	v_dot4_i32_iu8 v4, v36 /*v292*/, v157, v4 neg_lo:[1,1,0]
	s_set_vgpr_msb 64                       ;  msbs: dst=1 src0=0 src1=0 src2=0
	v_perm_b32 v44 /*v300*/, v25, v24, 0x5040302
	v_perm_b32 v45 /*v301*/, v26, v25, 0x5040302
	v_perm_b32 v25 /*v281*/, v131, v26, 0x5040302
	v_perm_b32 v46 /*v302*/, v27, v130, 0x5040302
	s_set_vgpr_msb 5                        ;  msbs: dst=0 src0=1 src1=1 src2=0
	v_dot4_i32_iu8 v4, v37 /*v293*/, v1 /*v257*/, v4 neg_lo:[1,1,0]
	s_set_vgpr_msb 0                        ;  msbs: dst=0 src0=0 src1=0 src2=0
	v_perm_b32 v26, v27, v26, 0x5040302
	v_dot4_i32_iu8 v8, v8, v146, 0 neg_lo:[1,1,0]
	s_set_vgpr_msb 64                       ;  msbs: dst=1 src0=0 src1=0 src2=0
	v_ashrrev_i32_e32 v34 /*v290*/, 24, v24
	s_set_vgpr_msb 5                        ;  msbs: dst=0 src0=1 src1=1 src2=0
	v_dot4_i32_iu8 v4, v38 /*v294*/, v2 /*v258*/, v4 neg_lo:[1,1,0]
	s_set_vgpr_msb 0                        ;  msbs: dst=0 src0=0 src1=0 src2=0
	v_dot4_i32_iu8 v8, v9, v147, v8 neg_lo:[1,1,0]
	s_set_vgpr_msb 1                        ;  msbs: dst=0 src0=1 src1=0 src2=0
	v_mul_i32_i24_e32 v9, v32 /*v288*/, v228
	s_set_vgpr_msb 5                        ;  msbs: dst=0 src0=1 src1=1 src2=0
	v_dot4_i32_iu8 v4, v39 /*v295*/, v3 /*v259*/, v4 neg_lo:[1,1,0]
	s_set_vgpr_msb 0                        ;  msbs: dst=0 src0=0 src1=0 src2=0
	v_dot4_i32_iu8 v8, v10, v144, v8 neg_lo:[1,1,0]
	v_perm_b32 v10, v24, v141, 0x6050403
	s_set_vgpr_msb 4                        ;  msbs: dst=0 src0=0 src1=1 src2=0
	v_mad_i32_i24 v4, v154, v31 /*v287*/, v4
	s_set_vgpr_msb 0                        ;  msbs: dst=0 src0=0 src1=0 src2=0
	v_dot4_i32_iu8 v8, v11, v145, v8 neg_lo:[1,1,0]
	v_perm_b32 v11, v226, v23, 0x6050403
	s_set_vgpr_msb 1                        ;  msbs: dst=0 src0=1 src1=0 src2=0
	v_dot4_i32_iu8 v4, v12 /*v268*/, v13, v4 neg_lo:[1,1,0]
	s_set_vgpr_msb 0                        ;  msbs: dst=0 src0=0 src1=0 src2=0
	v_dot4_i32_iu8 v8, v12, v142, v8 neg_lo:[1,1,0]
	v_perm_b32 v12, v20, v20, 0xc0c0201
	s_set_vgpr_msb 0x41                     ;  msbs: dst=1 src0=1 src1=0 src2=0
	v_dot4_i32_iu8 v21 /*v277*/, v13 /*v269*/, v14, v4 neg_lo:[1,1,0]
	s_set_vgpr_msb 5                        ;  msbs: dst=0 src0=1 src1=1 src2=0
	v_mul_i32_i24_e32 v4, v5 /*v261*/, v32 /*v288*/
	s_set_vgpr_msb 0                        ;  msbs: dst=0 src0=0 src1=0 src2=0
	v_dot4_i32_iu8 v8, v13, v143, v8 neg_lo:[1,1,0]
	v_dot4_i32_iu8 v9, v12, v247, v9 neg_lo:[1,1,0]
	s_set_vgpr_msb 5                        ;  msbs: dst=0 src0=1 src1=1 src2=0
	v_mad_i32_i24 v4, v4 /*v260*/, v33 /*v289*/, v4
	s_set_vgpr_msb 0                        ;  msbs: dst=0 src0=0 src1=0 src2=0
	v_dot4_i32_iu8 v8, v14, v138, v8 neg_lo:[1,1,0]
	s_set_vgpr_msb 5                        ;  msbs: dst=0 src0=1 src1=1 src2=0
	s_delay_alu instid0(VALU_DEP_2) | instskip(SKIP_1) | instid1(VALU_DEP_2)
	v_dot4_i32_iu8 v4, v6 /*v262*/, v40 /*v296*/, v4 neg_lo:[1,1,0]
	s_set_vgpr_msb 0                        ;  msbs: dst=0 src0=0 src1=0 src2=0
	v_dot4_i32_iu8 v8, v15, v139, v8 neg_lo:[1,1,0]
	s_set_vgpr_msb 5                        ;  msbs: dst=0 src0=1 src1=1 src2=0
	s_delay_alu instid0(VALU_DEP_2) | instskip(SKIP_1) | instid1(VALU_DEP_2)
	v_dot4_i32_iu8 v4, v7 /*v263*/, v41 /*v297*/, v4 neg_lo:[1,1,0]
	s_set_vgpr_msb 0                        ;  msbs: dst=0 src0=0 src1=0 src2=0
	v_mul_lo_u32 v8, v8, v225
	s_set_vgpr_msb 5                        ;  msbs: dst=0 src0=1 src1=1 src2=0
	s_delay_alu instid0(VALU_DEP_2) | instskip(NEXT) | instid1(VALU_DEP_1)
	v_dot4_i32_iu8 v4, v8 /*v264*/, v42 /*v298*/, v4 neg_lo:[1,1,0]
	v_dot4_i32_iu8 v4, v9 /*v265*/, v43 /*v299*/, v4 neg_lo:[1,1,0]
	s_delay_alu instid0(VALU_DEP_1) | instskip(SKIP_1) | instid1(VALU_DEP_1)
	v_dot4_i32_iu8 v4, v10 /*v266*/, v44 /*v300*/, v4 neg_lo:[1,1,0]
	s_set_vgpr_msb 0x45                     ;  msbs: dst=1 src0=1 src1=1 src2=0
	v_dot4_i32_iu8 v22 /*v278*/, v11 /*v267*/, v45 /*v301*/, v4 neg_lo:[1,1,0]
	s_set_vgpr_msb 1                        ;  msbs: dst=0 src0=1 src1=0 src2=0
	ds_load_b64 v[4:5], v14 /*v270*/ offset:43584
	s_set_vgpr_msb 0                        ;  msbs: dst=0 src0=0 src1=0 src2=0
	ds_load_b64 v[16:17], v16 offset:43584
	s_set_vgpr_msb 0x55                     ;  msbs: dst=1 src0=1 src1=1 src2=1
	v_dot4_i32_iu8 v22 /*v278*/, v46 /*v302*/, v25 /*v281*/, v22 /*v278*/ neg_lo:[1,1,0]
	s_set_vgpr_msb 64                       ;  msbs: dst=1 src0=0 src1=0 src2=0
	v_perm_b32 v25 /*v281*/, v27, v27, 0xc0c0302
	v_perm_b32 v46 /*v302*/, v19, v19, 0xc0c0302
	s_set_vgpr_msb 0x54                     ;  msbs: dst=1 src0=0 src1=1 src2=1
	s_delay_alu instid0(VALU_DEP_2) | instskip(NEXT) | instid1(VALU_DEP_2)
	v_dot4_i32_iu8 v22 /*v278*/, v245, v25 /*v281*/, v22 /*v278*/ neg_lo:[1,1,0]
	v_dot4_i32_iu8 v23 /*v279*/, v245, v46 /*v302*/, v23 /*v279*/ neg_lo:[1,1,0]
	s_set_vgpr_msb 0x41                     ;  msbs: dst=1 src0=1 src1=0 src2=0
	s_delay_alu instid0(VALU_DEP_2) | instskip(NEXT) | instid1(VALU_DEP_2)
	v_mul_lo_u32 v22 /*v278*/, v22 /*v278*/, v127
	v_mul_lo_u32 v47 /*v303*/, v23 /*v279*/, v127
	s_wait_dscnt 0x1
	s_set_vgpr_msb 64                       ;  msbs: dst=1 src0=0 src1=0 src2=0
	v_cvt_f32_f16_e64 v14 /*v270*/, v4
	s_wait_dscnt 0x0
	v_cvt_f32_f16_e64 v15 /*v271*/, v16
	s_set_vgpr_msb 0                        ;  msbs: dst=0 src0=0 src1=0 src2=0
	v_lshrrev_b32_e32 v4, 16, v4
	v_lshrrev_b32_e32 v16, 16, v16
	s_set_vgpr_msb 64                       ;  msbs: dst=1 src0=0 src1=0 src2=0
	v_cvt_f32_f16_e64 v19 /*v275*/, v17
	v_cvt_f32_f16_e64 v18 /*v274*/, v5
	;; [unrolled: 1-line block ×4, first 2 shown]
	s_set_vgpr_msb 16                       ;  msbs: dst=0 src0=0 src1=0 src2=1
	v_lshrrev_b32_e32 v4, 16, v5
	v_lshrrev_b32_e32 v5, 16, v17
	v_dot4_i32_iu8 v16, v15, v253, v21 /*v277*/ neg_lo:[1,1,0]
	v_dot4_i32_iu8 v17, v7, v253, v20 /*v276*/ neg_lo:[1,1,0]
	s_set_vgpr_msb 0x41                     ;  msbs: dst=1 src0=1 src1=0 src2=0
	v_cvt_f32_i32_e32 v23 /*v279*/, v22 /*v278*/
	s_set_vgpr_msb 0                        ;  msbs: dst=0 src0=0 src1=0 src2=0
	v_cvt_f32_f16_e32 v4, v4
	v_cvt_f32_f16_e32 v5, v5
	v_mul_lo_u32 v16, v16, v135
	s_set_vgpr_msb 64                       ;  msbs: dst=1 src0=0 src1=0 src2=0
	v_mul_lo_u32 v20 /*v276*/, v17, v135
	s_set_vgpr_msb 0x41                     ;  msbs: dst=1 src0=1 src1=0 src2=0
	v_cvt_f32_i32_e32 v22 /*v278*/, v47 /*v303*/
	s_set_vgpr_msb 0                        ;  msbs: dst=0 src0=0 src1=0 src2=0
	s_delay_alu instid0(VALU_DEP_3) | instskip(SKIP_1) | instid1(VALU_DEP_3)
	v_cvt_f32_i32_e32 v17, v16
	s_set_vgpr_msb 1                        ;  msbs: dst=0 src0=1 src1=0 src2=0
	v_cvt_f32_i32_e32 v16, v20 /*v276*/
	s_set_vgpr_msb 0x44                     ;  msbs: dst=1 src0=0 src1=1 src2=0
	v_pk_fma_f32 v[20:21] /*v[276:277]*/, v[132:133], v[16:17] /*v[272:273]*/, 0 op_sel_hi:[0,1,0]
	s_set_vgpr_msb 1                        ;  msbs: dst=0 src0=1 src1=0 src2=0
	s_delay_alu instid0(VALU_DEP_2) | instskip(SKIP_1) | instid1(VALU_DEP_2)
	v_pk_fma_f32 v[16:17], v[14:15] /*v[270:271]*/, v[16:17], 0 op_sel_hi:[1,1,0]
	s_set_vgpr_msb 0x50                     ;  msbs: dst=1 src0=0 src1=0 src2=1
	v_pk_fma_f32 v[20:21] /*v[276:277]*/, v[128:129], v[4:5], v[20:21] /*v[276:277]*/ op_sel_hi:[0,1,1]
	s_set_vgpr_msb 5                        ;  msbs: dst=0 src0=1 src1=1 src2=0
	s_delay_alu instid0(VALU_DEP_2) | instskip(SKIP_1) | instid1(VALU_DEP_2)
	v_pk_fma_f32 v[16:17], v[18:19] /*v[274:275]*/, v[22:23] /*v[278:279]*/, v[16:17]
	s_set_vgpr_msb 0x41                     ;  msbs: dst=1 src0=1 src1=0 src2=0
	v_pk_mul_f32 v[20:21] /*v[276:277]*/, v[20:21] /*v[276:277]*/, v[118:119]
	s_set_vgpr_msb 64                       ;  msbs: dst=1 src0=0 src1=0 src2=0
	v_perm_b32 v23 /*v279*/, v19, v18, 0x5040302
	s_set_vgpr_msb 16                       ;  msbs: dst=0 src0=0 src1=0 src2=1
	s_delay_alu instid0(VALU_DEP_2) | instskip(SKIP_1) | instid1(VALU_DEP_2)
	v_pk_fma_f32 v[16:17], v[16:17], v[110:111], v[20:21] /*v[276:277]*/ neg_lo:[0,0,1] neg_hi:[0,0,1]
	s_set_vgpr_msb 17                       ;  msbs: dst=0 src0=1 src1=0 src2=1
	v_dot4_i32_iu8 v18, v23 /*v279*/, v244, v27 /*v283*/ neg_lo:[1,1,0]
	s_set_vgpr_msb 0                        ;  msbs: dst=0 src0=0 src1=0 src2=0
	s_delay_alu instid0(VALU_DEP_2)
	v_pk_add_f32 v[82:83], v[82:83], v[16:17]
	s_set_vgpr_msb 1                        ;  msbs: dst=0 src0=1 src1=0 src2=0
	v_mul_i32_i24_e32 v16, v30 /*v286*/, v151
	v_mul_i32_i24_e32 v17, v32 /*v288*/, v166
	s_set_vgpr_msb 4                        ;  msbs: dst=0 src0=0 src1=1 src2=0
	v_dot4_i32_iu8 v18, v246, v46 /*v302*/, v18 neg_lo:[1,1,0]
	s_set_vgpr_msb 1                        ;  msbs: dst=0 src0=1 src1=0 src2=0
	v_dot4_i32_iu8 v16, v35 /*v291*/, v153, v16 neg_lo:[1,1,0]
	v_mad_i32_i24 v17, v33 /*v289*/, v167, v17
	s_set_vgpr_msb 0                        ;  msbs: dst=0 src0=0 src1=0 src2=0
	v_mul_lo_u32 v18, v18, v229
	s_set_vgpr_msb 1                        ;  msbs: dst=0 src0=1 src1=0 src2=0
	v_dot4_i32_iu8 v16, v36 /*v292*/, v160, v16 neg_lo:[1,1,0]
	v_dot4_i32_iu8 v17, v40 /*v296*/, v168, v17 neg_lo:[1,1,0]
	s_delay_alu instid0(VALU_DEP_2) | instskip(NEXT) | instid1(VALU_DEP_2)
	v_dot4_i32_iu8 v16, v37 /*v293*/, v162, v16 neg_lo:[1,1,0]
	v_dot4_i32_iu8 v17, v41 /*v297*/, v239, v17 neg_lo:[1,1,0]
	s_set_vgpr_msb 0                        ;  msbs: dst=0 src0=0 src1=0 src2=0
	v_cvt_f32_i32_e32 v18, v18
	s_set_vgpr_msb 1                        ;  msbs: dst=0 src0=1 src1=0 src2=0
	v_dot4_i32_iu8 v16, v38 /*v294*/, v163, v16 neg_lo:[1,1,0]
	v_dot4_i32_iu8 v17, v42 /*v298*/, v240, v17 neg_lo:[1,1,0]
	s_delay_alu instid0(VALU_DEP_2) | instskip(NEXT) | instid1(VALU_DEP_2)
	v_dot4_i32_iu8 v16, v39 /*v295*/, v164, v16 neg_lo:[1,1,0]
	v_dot4_i32_iu8 v17, v43 /*v299*/, v241, v17 neg_lo:[1,1,0]
	s_set_vgpr_msb 4                        ;  msbs: dst=0 src0=0 src1=1 src2=0
	s_delay_alu instid0(VALU_DEP_2) | instskip(SKIP_1) | instid1(VALU_DEP_2)
	v_mad_i32_i24 v16, v158, v31 /*v287*/, v16
	s_set_vgpr_msb 1                        ;  msbs: dst=0 src0=1 src1=0 src2=0
	v_dot4_i32_iu8 v17, v44 /*v300*/, v242, v17 neg_lo:[1,1,0]
	s_set_vgpr_msb 0                        ;  msbs: dst=0 src0=0 src1=0 src2=0
	s_delay_alu instid0(VALU_DEP_2) | instskip(SKIP_1) | instid1(VALU_DEP_2)
	v_dot4_i32_iu8 v16, v254, v13, v16 neg_lo:[1,1,0]
	s_set_vgpr_msb 0x41                     ;  msbs: dst=1 src0=1 src1=0 src2=0
	v_dot4_i32_iu8 v22 /*v278*/, v45 /*v301*/, v243, v17 neg_lo:[1,1,0]
	s_set_vgpr_msb 20                       ;  msbs: dst=0 src0=0 src1=1 src2=1
	v_dot4_i32_iu8 v17, v7, v0 /*v256*/, v26 /*v282*/ neg_lo:[1,1,0]
	s_set_vgpr_msb 0                        ;  msbs: dst=0 src0=0 src1=0 src2=0
	v_dot4_i32_iu8 v16, v255, v14, v16 neg_lo:[1,1,0]
	s_set_vgpr_msb 16                       ;  msbs: dst=0 src0=0 src1=0 src2=1
	v_dot4_i32_iu8 v19, v26, v244, v22 /*v278*/ neg_lo:[1,1,0]
	s_set_vgpr_msb 64                       ;  msbs: dst=1 src0=0 src1=0 src2=0
	v_mul_lo_u32 v20 /*v276*/, v17, v165
	s_set_vgpr_msb 4                        ;  msbs: dst=0 src0=0 src1=1 src2=0
	v_dot4_i32_iu8 v16, v15, v0 /*v256*/, v16 neg_lo:[1,1,0]
	v_dot4_i32_iu8 v19, v246, v25 /*v281*/, v19 neg_lo:[1,1,0]
	s_set_vgpr_msb 0                        ;  msbs: dst=0 src0=0 src1=0 src2=0
	s_delay_alu instid0(VALU_DEP_2) | instskip(NEXT) | instid1(VALU_DEP_2)
	v_mul_lo_u32 v16, v16, v165
	v_mul_lo_u32 v19, v19, v229
	s_delay_alu instid0(VALU_DEP_2)
	v_cvt_f32_i32_e32 v17, v16
	s_set_vgpr_msb 1                        ;  msbs: dst=0 src0=1 src1=0 src2=0
	v_cvt_f32_i32_e32 v16, v20 /*v276*/
	s_set_vgpr_msb 0x44                     ;  msbs: dst=1 src0=0 src1=1 src2=0
	v_pk_fma_f32 v[20:21] /*v[276:277]*/, v[134:135], v[16:17] /*v[272:273]*/, 0 op_sel_hi:[0,1,0]
	s_set_vgpr_msb 0                        ;  msbs: dst=0 src0=0 src1=0 src2=0
	s_delay_alu instid0(VALU_DEP_4) | instskip(SKIP_2) | instid1(VALU_DEP_1)
	v_cvt_f32_i32_e32 v19, v19
	s_set_vgpr_msb 1                        ;  msbs: dst=0 src0=1 src1=0 src2=0
	v_pk_fma_f32 v[16:17], v[14:15] /*v[270:271]*/, v[16:17], 0 op_sel_hi:[1,1,0]
	v_pk_fma_f32 v[16:17], v[18:19] /*v[274:275]*/, v[18:19], v[16:17]
	s_set_vgpr_msb 16                       ;  msbs: dst=0 src0=0 src1=0 src2=1
	v_pk_fma_f32 v[18:19], v[152:153], v[4:5], v[20:21] /*v[276:277]*/ op_sel_hi:[0,1,1]
	s_delay_alu instid0(VALU_DEP_1) | instskip(SKIP_1) | instid1(VALU_DEP_1)
	v_pk_mul_f32 v[18:19], v[18:19], v[120:121]
	s_set_vgpr_msb 0                        ;  msbs: dst=0 src0=0 src1=0 src2=0
	v_pk_fma_f32 v[16:17], v[16:17], v[112:113], v[18:19] neg_lo:[0,0,1] neg_hi:[0,0,1]
	v_perm_b32 v18, v21, v20, 0x6050403
	v_perm_b32 v19, v22, v21, 0x6050403
	;; [unrolled: 1-line block ×4, first 2 shown]
	v_pk_add_f32 v[92:93], v[92:93], v[16:17]
	v_dot4_i32_iu8 v9, v18, v248, v9 neg_lo:[1,1,0]
	s_set_vgpr_msb 17                       ;  msbs: dst=0 src0=1 src1=0 src2=1
	v_dot4_i32_iu8 v17, v23 /*v279*/, v230, v29 /*v285*/ neg_lo:[1,1,0]
	s_set_vgpr_msb 0                        ;  msbs: dst=0 src0=0 src1=0 src2=0
	s_delay_alu instid0(VALU_DEP_2) | instskip(SKIP_1) | instid1(VALU_DEP_2)
	v_dot4_i32_iu8 v9, v19, v249, v9 neg_lo:[1,1,0]
	s_set_vgpr_msb 4                        ;  msbs: dst=0 src0=0 src1=1 src2=0
	v_dot4_i32_iu8 v17, v231, v46 /*v302*/, v17 neg_lo:[1,1,0]
	s_set_vgpr_msb 0                        ;  msbs: dst=0 src0=0 src1=0 src2=0
	s_delay_alu instid0(VALU_DEP_2) | instskip(NEXT) | instid1(VALU_DEP_2)
	v_dot4_i32_iu8 v9, v20, v250, v9 neg_lo:[1,1,0]
	v_mul_lo_u32 v22, v17, v172
	s_delay_alu instid0(VALU_DEP_2) | instskip(SKIP_1) | instid1(VALU_DEP_1)
	v_dot4_i32_iu8 v9, v11, v10, v9 neg_lo:[1,1,0]
	s_set_vgpr_msb 4                        ;  msbs: dst=0 src0=0 src1=1 src2=0
	v_mad_i32_i24 v9, v227, v34 /*v290*/, v9
	s_set_vgpr_msb 0                        ;  msbs: dst=0 src0=0 src1=0 src2=0
	s_delay_alu instid0(VALU_DEP_1) | instskip(SKIP_1) | instid1(VALU_DEP_1)
	v_dot4_i32_iu8 v9, v251, v21, v9 neg_lo:[1,1,0]
	s_set_vgpr_msb 4                        ;  msbs: dst=0 src0=0 src1=1 src2=0
	v_dot4_i32_iu8 v16, v252, v45 /*v301*/, v9 neg_lo:[1,1,0]
	s_set_vgpr_msb 16                       ;  msbs: dst=0 src0=0 src1=0 src2=1
	v_dot4_i32_iu8 v9, v7, v139, v28 /*v284*/ neg_lo:[1,1,0]
	s_set_vgpr_msb 0                        ;  msbs: dst=0 src0=0 src1=0 src2=0
	s_delay_alu instid0(VALU_DEP_2) | instskip(NEXT) | instid1(VALU_DEP_2)
	v_dot4_i32_iu8 v16, v26, v230, v16 neg_lo:[1,1,0]
	v_mul_lo_u32 v10, v9, v225
	v_cvt_f32_i32_e32 v9, v8
	s_set_vgpr_msb 4                        ;  msbs: dst=0 src0=0 src1=1 src2=0
	s_delay_alu instid0(VALU_DEP_3) | instskip(SKIP_1) | instid1(VALU_DEP_1)
	v_dot4_i32_iu8 v16, v231, v25 /*v281*/, v16 neg_lo:[1,1,0]
	s_set_vgpr_msb 0                        ;  msbs: dst=0 src0=0 src1=0 src2=0
	v_mul_lo_u32 v16, v16, v172
	s_delay_alu instid0(VALU_DEP_4) | instskip(SKIP_3) | instid1(VALU_DEP_2)
	v_cvt_f32_i32_e32 v8, v10
	s_set_vgpr_msb 4                        ;  msbs: dst=0 src0=0 src1=1 src2=0
	v_pk_fma_f32 v[10:11], v[148:149], v[16:17] /*v[272:273]*/, 0 op_sel_hi:[0,1,0]
	s_set_vgpr_msb 1                        ;  msbs: dst=0 src0=1 src1=0 src2=0
	v_pk_fma_f32 v[8:9], v[14:15] /*v[270:271]*/, v[8:9], 0 op_sel_hi:[1,1,0]
	s_set_vgpr_msb 0                        ;  msbs: dst=0 src0=0 src1=0 src2=0
	s_delay_alu instid0(VALU_DEP_2) | instskip(SKIP_2) | instid1(VALU_DEP_3)
	v_pk_fma_f32 v[10:11], v[150:151], v[4:5], v[10:11] op_sel_hi:[0,1,1]
	v_cvt_f32_i32_e32 v17, v16
	v_cvt_f32_i32_e32 v16, v22
	v_pk_mul_f32 v[10:11], v[10:11], v[122:123]
	s_set_vgpr_msb 1                        ;  msbs: dst=0 src0=1 src1=0 src2=0
	s_delay_alu instid0(VALU_DEP_2) | instskip(SKIP_1) | instid1(VALU_DEP_1)
	v_pk_fma_f32 v[8:9], v[18:19] /*v[274:275]*/, v[16:17], v[8:9]
	s_set_vgpr_msb 0                        ;  msbs: dst=0 src0=0 src1=0 src2=0
	v_pk_fma_f32 v[8:9], v[8:9], v[114:115], v[10:11] neg_lo:[0,0,1] neg_hi:[0,0,1]
	v_perm_b32 v10, v24, v23, 0x6050403
	s_set_vgpr_msb 17                       ;  msbs: dst=0 src0=1 src1=0 src2=1
	v_dot4_i32_iu8 v11, v23 /*v279*/, v3, v24 /*v280*/ neg_lo:[1,1,0]
	s_set_vgpr_msb 0                        ;  msbs: dst=0 src0=0 src1=0 src2=0
	v_pk_add_f32 v[100:101], v[100:101], v[8:9]
	s_set_vgpr_msb 1                        ;  msbs: dst=0 src0=1 src1=0 src2=0
	v_mul_i32_i24_e32 v8, v30 /*v286*/, v169
	v_mul_i32_i24_e32 v9, v32 /*v288*/, v224
	s_set_vgpr_msb 4                        ;  msbs: dst=0 src0=0 src1=1 src2=0
	v_dot4_i32_iu8 v11, v140, v46 /*v302*/, v11 neg_lo:[1,1,0]
	s_set_vgpr_msb 1                        ;  msbs: dst=0 src0=1 src1=0 src2=0
	v_dot4_i32_iu8 v8, v35 /*v291*/, v170, v8 neg_lo:[1,1,0]
	s_set_vgpr_msb 0                        ;  msbs: dst=0 src0=0 src1=0 src2=0
	v_dot4_i32_iu8 v9, v12, v234, v9 neg_lo:[1,1,0]
	v_mul_lo_u32 v12, v11, v129
	s_set_vgpr_msb 1                        ;  msbs: dst=0 src0=1 src1=0 src2=0
	v_dot4_i32_iu8 v8, v36 /*v292*/, v173, v8 neg_lo:[1,1,0]
	s_set_vgpr_msb 0                        ;  msbs: dst=0 src0=0 src1=0 src2=0
	v_dot4_i32_iu8 v9, v18, v0, v9 neg_lo:[1,1,0]
	s_set_vgpr_msb 1                        ;  msbs: dst=0 src0=1 src1=0 src2=0
	s_delay_alu instid0(VALU_DEP_2) | instskip(SKIP_1) | instid1(VALU_DEP_2)
	v_dot4_i32_iu8 v8, v37 /*v293*/, v174, v8 neg_lo:[1,1,0]
	s_set_vgpr_msb 0                        ;  msbs: dst=0 src0=0 src1=0 src2=0
	v_dot4_i32_iu8 v9, v19, v1, v9 neg_lo:[1,1,0]
	s_set_vgpr_msb 1                        ;  msbs: dst=0 src0=1 src1=0 src2=0
	s_delay_alu instid0(VALU_DEP_2) | instskip(SKIP_1) | instid1(VALU_DEP_2)
	;; [unrolled: 5-line block ×3, first 2 shown]
	v_dot4_i32_iu8 v8, v39 /*v295*/, v222, v8 neg_lo:[1,1,0]
	s_set_vgpr_msb 0                        ;  msbs: dst=0 src0=0 src1=0 src2=0
	v_dot4_i32_iu8 v9, v235, v10, v9 neg_lo:[1,1,0]
	s_set_vgpr_msb 4                        ;  msbs: dst=0 src0=0 src1=1 src2=0
	s_delay_alu instid0(VALU_DEP_2) | instskip(NEXT) | instid1(VALU_DEP_2)
	v_mad_i32_i24 v8, v171, v31 /*v287*/, v8
	v_mad_i32_i24 v9, v223, v34 /*v290*/, v9
	s_set_vgpr_msb 0                        ;  msbs: dst=0 src0=0 src1=0 src2=0
	s_delay_alu instid0(VALU_DEP_2) | instskip(NEXT) | instid1(VALU_DEP_2)
	v_dot4_i32_iu8 v8, v232, v13, v8 neg_lo:[1,1,0]
	v_dot4_i32_iu8 v9, v236, v21, v9 neg_lo:[1,1,0]
	s_delay_alu instid0(VALU_DEP_2) | instskip(SKIP_1) | instid1(VALU_DEP_2)
	v_dot4_i32_iu8 v8, v233, v14, v8 neg_lo:[1,1,0]
	s_set_vgpr_msb 4                        ;  msbs: dst=0 src0=0 src1=1 src2=0
	v_dot4_i32_iu8 v10, v237, v45 /*v301*/, v9 neg_lo:[1,1,0]
	s_set_vgpr_msb 0                        ;  msbs: dst=0 src0=0 src1=0 src2=0
	s_delay_alu instid0(VALU_DEP_2) | instskip(NEXT) | instid1(VALU_DEP_2)
	v_dot4_i32_iu8 v8, v15, v238, v8 neg_lo:[1,1,0]
	v_dot4_i32_iu8 v10, v26, v3, v10 neg_lo:[1,1,0]
	s_delay_alu instid0(VALU_DEP_2) | instskip(SKIP_1) | instid1(VALU_DEP_2)
	v_mul_lo_u32 v7, v8, v175
	s_set_vgpr_msb 4                        ;  msbs: dst=0 src0=0 src1=1 src2=0
	v_dot4_i32_iu8 v10, v140, v25 /*v281*/, v10 neg_lo:[1,1,0]
	v_pk_fma_f32 v[8:9], v[136:137], v[16:17] /*v[272:273]*/, 0 op_sel_hi:[0,1,0]
	s_set_vgpr_msb 0                        ;  msbs: dst=0 src0=0 src1=0 src2=0
	s_delay_alu instid0(VALU_DEP_2) | instskip(NEXT) | instid1(VALU_DEP_2)
	v_mul_lo_u32 v10, v10, v129
	v_pk_fma_f32 v[4:5], v[126:127], v[4:5], v[8:9] op_sel_hi:[0,1,1]
	v_cvt_f32_i32_e32 v7, v7
	s_delay_alu instid0(VALU_DEP_2) | instskip(SKIP_1) | instid1(VALU_DEP_2)
	v_pk_mul_f32 v[4:5], v[4:5], v[124:125]
	s_set_vgpr_msb 1                        ;  msbs: dst=0 src0=1 src1=0 src2=0
	v_pk_fma_f32 v[6:7], v[14:15] /*v[270:271]*/, v[6:7], 0 op_sel_hi:[1,1,0]
	s_set_vgpr_msb 0                        ;  msbs: dst=0 src0=0 src1=0 src2=0
	v_cvt_f32_i32_e32 v11, v10
	v_cvt_f32_i32_e32 v10, v12
	s_set_vgpr_msb 1                        ;  msbs: dst=0 src0=1 src1=0 src2=0
	s_delay_alu instid0(VALU_DEP_1) | instskip(SKIP_1) | instid1(VALU_DEP_1)
	v_pk_fma_f32 v[6:7], v[18:19] /*v[274:275]*/, v[10:11], v[6:7]
	s_set_vgpr_msb 0                        ;  msbs: dst=0 src0=0 src1=0 src2=0
	v_pk_fma_f32 v[4:5], v[6:7], v[116:117], v[4:5] neg_lo:[0,0,1] neg_hi:[0,0,1]
	s_delay_alu instid0(VALU_DEP_1) | instskip(SKIP_1) | instid1(VALU_DEP_1)
	v_pk_add_f32 v[106:107], v[106:107], v[4:5]
	v_or_b32_e32 v4, s5, v203
	v_lshlrev_b32_e32 v16, 2, v4
	s_set_vgpr_msb 64                       ;  msbs: dst=1 src0=0 src1=0 src2=0
	v_lshrrev_b32_e32 v14 /*v270*/, 1, v4
	s_set_vgpr_msb 0                        ;  msbs: dst=0 src0=0 src1=0 src2=0
	ds_load_b128 v[8:11], v16 offset:33280
	ds_load_b128 v[4:7], v16 offset:33296
	ds_load_b128 v[12:15], v16 offset:33312
	ds_load_b128 v[16:19], v16 offset:33328
	s_wait_dscnt 0x3
	v_bfe_i32 v20, v8, 0, 8
	v_perm_b32 v26, v8, v8, 0xc0c0201
	v_perm_b32 v27, v9, v8, 0x6050403
	v_dot4_i32_iu8 v8, v8, v146, 0 neg_lo:[1,1,0]
	s_set_vgpr_msb 64                       ;  msbs: dst=1 src0=0 src1=0 src2=0
	v_perm_b32 v15 /*v271*/, v10, v9, 0x6050403
	s_set_vgpr_msb 0                        ;  msbs: dst=0 src0=0 src1=0 src2=0
	v_mul_i32_i24_e32 v25, v20, v155
	s_set_vgpr_msb 64                       ;  msbs: dst=1 src0=0 src1=0 src2=0
	v_perm_b32 v16 /*v272*/, v11, v10, 0x6050403
	s_wait_dscnt 0x2
	v_perm_b32 v17 /*v273*/, v4, v11, 0x6050403
	s_set_vgpr_msb 0                        ;  msbs: dst=0 src0=0 src1=0 src2=0
	v_dot4_i32_iu8 v8, v9, v147, v8 neg_lo:[1,1,0]
	v_ashrrev_i32_e32 v21, 24, v4
	v_dot4_i32_iu8 v25, v26, v156, v25 neg_lo:[1,1,0]
	s_wait_dscnt 0x1
	v_bfe_i32 v22, v12, 0, 8
	v_bfe_i32 v23, v12, 8, 8
	v_dot4_i32_iu8 v8, v10, v144, v8 neg_lo:[1,1,0]
	v_perm_b32 v9, v13, v12, 0x6050403
	v_dot4_i32_iu8 v25, v27, v157, v25 neg_lo:[1,1,0]
	s_set_vgpr_msb 64                       ;  msbs: dst=1 src0=0 src1=0 src2=0
	v_perm_b32 v18 /*v274*/, v13, v12, 0x5040302
	s_set_vgpr_msb 0                        ;  msbs: dst=0 src0=0 src1=0 src2=0
	v_perm_b32 v10, v14, v13, 0x6050403
	v_dot4_i32_iu8 v8, v11, v145, v8 neg_lo:[1,1,0]
	s_set_vgpr_msb 64                       ;  msbs: dst=1 src0=0 src1=0 src2=0
	v_perm_b32 v19 /*v275*/, v14, v13, 0x5040302
	s_set_vgpr_msb 5                        ;  msbs: dst=0 src0=1 src1=1 src2=0
	v_dot4_i32_iu8 v25, v15 /*v271*/, v1 /*v257*/, v25 neg_lo:[1,1,0]
	s_set_vgpr_msb 0                        ;  msbs: dst=0 src0=0 src1=0 src2=0
	v_perm_b32 v11, v15, v14, 0x6050403
	s_set_vgpr_msb 64                       ;  msbs: dst=1 src0=0 src1=0 src2=0
	v_perm_b32 v21 /*v277*/, v15, v14, 0x5040302
	s_set_vgpr_msb 0                        ;  msbs: dst=0 src0=0 src1=0 src2=0
	v_dot4_i32_iu8 v4, v4, v142, v8 neg_lo:[1,1,0]
	v_perm_b32 v8, v12, v12, 0xc0c0201
	s_set_vgpr_msb 5                        ;  msbs: dst=0 src0=1 src1=1 src2=0
	v_dot4_i32_iu8 v25, v16 /*v272*/, v2 /*v258*/, v25 neg_lo:[1,1,0]
	s_wait_dscnt 0x0
	s_set_vgpr_msb 0                        ;  msbs: dst=0 src0=0 src1=0 src2=0
	v_perm_b32 v12, v16, v141, 0x6050403
	v_perm_b32 v13, v226, v15, 0x6050403
	v_dot4_i32_iu8 v4, v5, v143, v4 neg_lo:[1,1,0]
	v_ashrrev_i32_e32 v24, 24, v16
	s_set_vgpr_msb 5                        ;  msbs: dst=0 src0=1 src1=1 src2=0
	v_dot4_i32_iu8 v25, v17 /*v273*/, v3 /*v259*/, v25 neg_lo:[1,1,0]
	s_set_vgpr_msb 64                       ;  msbs: dst=1 src0=0 src1=0 src2=0
	v_perm_b32 v22 /*v278*/, v16, v15, 0x5040302
	v_perm_b32 v23 /*v279*/, v17, v16, 0x5040302
	v_dot4_i32_iu8 v28 /*v284*/, v6, v138, v4 neg_lo:[1,1,0]
	s_set_vgpr_msb 0                        ;  msbs: dst=0 src0=0 src1=0 src2=0
	v_mul_i32_i24_e32 v4, v22, v228
	v_mad_i32_i24 v25, v154, v21, v25
	s_set_vgpr_msb 64                       ;  msbs: dst=1 src0=0 src1=0 src2=0
	v_perm_b32 v24 /*v280*/, v18, v17, 0x5040302
	v_perm_b32 v46 /*v302*/, v19, v130, 0x5040302
	s_set_vgpr_msb 0                        ;  msbs: dst=0 src0=0 src1=0 src2=0
	v_dot4_i32_iu8 v4, v8, v247, v4 neg_lo:[1,1,0]
	s_set_vgpr_msb 1                        ;  msbs: dst=0 src0=1 src1=0 src2=0
	v_dot4_i32_iu8 v25, v12 /*v268*/, v5, v25 neg_lo:[1,1,0]
	s_set_vgpr_msb 0                        ;  msbs: dst=0 src0=0 src1=0 src2=0
	s_delay_alu instid0(VALU_DEP_2) | instskip(SKIP_1) | instid1(VALU_DEP_2)
	v_dot4_i32_iu8 v4, v9, v248, v4 neg_lo:[1,1,0]
	s_set_vgpr_msb 0x41                     ;  msbs: dst=1 src0=1 src1=0 src2=0
	v_dot4_i32_iu8 v20 /*v276*/, v13 /*v269*/, v6, v25 neg_lo:[1,1,0]
	s_set_vgpr_msb 1                        ;  msbs: dst=0 src0=1 src1=0 src2=0
	v_mul_i32_i24_e32 v25, v5 /*v261*/, v22
	s_set_vgpr_msb 0                        ;  msbs: dst=0 src0=0 src1=0 src2=0
	v_dot4_i32_iu8 v4, v10, v249, v4 neg_lo:[1,1,0]
	s_set_vgpr_msb 1                        ;  msbs: dst=0 src0=1 src1=0 src2=0
	s_delay_alu instid0(VALU_DEP_2) | instskip(SKIP_1) | instid1(VALU_DEP_2)
	v_mad_i32_i24 v25, v4 /*v260*/, v23, v25
	s_set_vgpr_msb 0                        ;  msbs: dst=0 src0=0 src1=0 src2=0
	v_dot4_i32_iu8 v4, v11, v250, v4 neg_lo:[1,1,0]
	s_set_vgpr_msb 5                        ;  msbs: dst=0 src0=1 src1=1 src2=0
	s_delay_alu instid0(VALU_DEP_2) | instskip(SKIP_1) | instid1(VALU_DEP_2)
	v_dot4_i32_iu8 v25, v6 /*v262*/, v18 /*v274*/, v25 neg_lo:[1,1,0]
	s_set_vgpr_msb 0                        ;  msbs: dst=0 src0=0 src1=0 src2=0
	v_dot4_i32_iu8 v4, v13, v12, v4 neg_lo:[1,1,0]
	v_perm_b32 v12, v17, v17, 0xc0c0100
	s_set_vgpr_msb 5                        ;  msbs: dst=0 src0=1 src1=1 src2=0
	v_dot4_i32_iu8 v25, v7 /*v263*/, v19 /*v275*/, v25 neg_lo:[1,1,0]
	s_set_vgpr_msb 0                        ;  msbs: dst=0 src0=0 src1=0 src2=0
	v_mad_i32_i24 v4, v227, v24, v4
	s_set_vgpr_msb 5                        ;  msbs: dst=0 src0=1 src1=1 src2=0
	s_delay_alu instid0(VALU_DEP_2) | instskip(SKIP_1) | instid1(VALU_DEP_2)
	v_dot4_i32_iu8 v25, v8 /*v264*/, v21 /*v277*/, v25 neg_lo:[1,1,0]
	s_set_vgpr_msb 0                        ;  msbs: dst=0 src0=0 src1=0 src2=0
	v_dot4_i32_iu8 v4, v251, v12, v4 neg_lo:[1,1,0]
	s_set_vgpr_msb 5                        ;  msbs: dst=0 src0=1 src1=1 src2=0
	s_delay_alu instid0(VALU_DEP_2) | instskip(SKIP_1) | instid1(VALU_DEP_2)
	v_dot4_i32_iu8 v25, v9 /*v265*/, v22 /*v278*/, v25 neg_lo:[1,1,0]
	s_set_vgpr_msb 0x44                     ;  msbs: dst=1 src0=0 src1=1 src2=0
	v_dot4_i32_iu8 v29 /*v285*/, v252, v24 /*v280*/, v4 neg_lo:[1,1,0]
	s_set_vgpr_msb 0                        ;  msbs: dst=0 src0=0 src1=0 src2=0
	v_mul_i32_i24_e32 v4, v20, v169
	s_set_vgpr_msb 5                        ;  msbs: dst=0 src0=1 src1=1 src2=0
	v_dot4_i32_iu8 v25, v10 /*v266*/, v23 /*v279*/, v25 neg_lo:[1,1,0]
	s_set_vgpr_msb 0                        ;  msbs: dst=0 src0=0 src1=0 src2=0
	s_delay_alu instid0(VALU_DEP_2) | instskip(SKIP_1) | instid1(VALU_DEP_2)
	v_dot4_i32_iu8 v4, v26, v170, v4 neg_lo:[1,1,0]
	s_set_vgpr_msb 0x45                     ;  msbs: dst=1 src0=1 src1=1 src2=0
	v_dot4_i32_iu8 v25 /*v281*/, v11 /*v267*/, v24 /*v280*/, v25 neg_lo:[1,1,0]
	s_set_vgpr_msb 0                        ;  msbs: dst=0 src0=0 src1=0 src2=0
	v_mul_i32_i24_e32 v25, v20, v151
	v_dot4_i32_iu8 v4, v27, v173, v4 neg_lo:[1,1,0]
	s_delay_alu instid0(VALU_DEP_2) | instskip(SKIP_1) | instid1(VALU_DEP_2)
	v_dot4_i32_iu8 v25, v26, v153, v25 neg_lo:[1,1,0]
	s_set_vgpr_msb 1                        ;  msbs: dst=0 src0=1 src1=0 src2=0
	v_dot4_i32_iu8 v4, v15 /*v271*/, v174, v4 neg_lo:[1,1,0]
	s_set_vgpr_msb 0                        ;  msbs: dst=0 src0=0 src1=0 src2=0
	s_delay_alu instid0(VALU_DEP_2) | instskip(SKIP_1) | instid1(VALU_DEP_2)
	v_dot4_i32_iu8 v25, v27, v160, v25 neg_lo:[1,1,0]
	s_set_vgpr_msb 1                        ;  msbs: dst=0 src0=1 src1=0 src2=0
	v_dot4_i32_iu8 v4, v16 /*v272*/, v221, v4 neg_lo:[1,1,0]
	s_delay_alu instid0(VALU_DEP_2) | instskip(NEXT) | instid1(VALU_DEP_2)
	v_dot4_i32_iu8 v25, v15 /*v271*/, v162, v25 neg_lo:[1,1,0]
	v_dot4_i32_iu8 v4, v17 /*v273*/, v222, v4 neg_lo:[1,1,0]
	s_delay_alu instid0(VALU_DEP_2) | instskip(SKIP_1) | instid1(VALU_DEP_2)
	v_dot4_i32_iu8 v25, v16 /*v272*/, v163, v25 neg_lo:[1,1,0]
	s_set_vgpr_msb 0                        ;  msbs: dst=0 src0=0 src1=0 src2=0
	v_mad_i32_i24 v4, v171, v21, v4
	s_set_vgpr_msb 1                        ;  msbs: dst=0 src0=1 src1=0 src2=0
	s_delay_alu instid0(VALU_DEP_2) | instskip(SKIP_1) | instid1(VALU_DEP_2)
	v_dot4_i32_iu8 v25, v17 /*v273*/, v164, v25 neg_lo:[1,1,0]
	s_set_vgpr_msb 0                        ;  msbs: dst=0 src0=0 src1=0 src2=0
	v_dot4_i32_iu8 v4, v232, v5, v4 neg_lo:[1,1,0]
	s_delay_alu instid0(VALU_DEP_2) | instskip(NEXT) | instid1(VALU_DEP_1)
	v_mad_i32_i24 v25, v158, v21, v25
	v_dot4_i32_iu8 v25, v254, v5, v25 neg_lo:[1,1,0]
	v_perm_b32 v5, v16, v15, 0x6050403
	s_set_vgpr_msb 64                       ;  msbs: dst=1 src0=0 src1=0 src2=0
	s_delay_alu instid0(VALU_DEP_2) | instskip(SKIP_4) | instid1(VALU_DEP_3)
	v_dot4_i32_iu8 v26 /*v282*/, v255, v6, v25 neg_lo:[1,1,0]
	s_set_vgpr_msb 0                        ;  msbs: dst=0 src0=0 src1=0 src2=0
	v_dot4_i32_iu8 v6, v233, v6, v4 neg_lo:[1,1,0]
	v_mul_i32_i24_e32 v4, v22, v224
	v_mul_i32_i24_e32 v25, v22, v166
	v_dot4_i32_iu8 v6, v7, v238, v6 neg_lo:[1,1,0]
	s_delay_alu instid0(VALU_DEP_3) | instskip(NEXT) | instid1(VALU_DEP_3)
	v_dot4_i32_iu8 v4, v8, v234, v4 neg_lo:[1,1,0]
	v_mad_i32_i24 v23, v23, v167, v25
	s_delay_alu instid0(VALU_DEP_3) | instskip(NEXT) | instid1(VALU_DEP_3)
	v_mul_lo_u32 v6, v6, v175
	v_dot4_i32_iu8 v4, v9, v0, v4 neg_lo:[1,1,0]
	s_set_vgpr_msb 1                        ;  msbs: dst=0 src0=1 src1=0 src2=0
	s_delay_alu instid0(VALU_DEP_3) | instskip(SKIP_1) | instid1(VALU_DEP_2)
	v_dot4_i32_iu8 v23, v18 /*v274*/, v168, v23 neg_lo:[1,1,0]
	s_set_vgpr_msb 0                        ;  msbs: dst=0 src0=0 src1=0 src2=0
	v_dot4_i32_iu8 v4, v10, v1, v4 neg_lo:[1,1,0]
	s_set_vgpr_msb 1                        ;  msbs: dst=0 src0=1 src1=0 src2=0
	s_delay_alu instid0(VALU_DEP_2) | instskip(SKIP_1) | instid1(VALU_DEP_2)
	v_dot4_i32_iu8 v23, v19 /*v275*/, v239, v23 neg_lo:[1,1,0]
	s_set_vgpr_msb 0                        ;  msbs: dst=0 src0=0 src1=0 src2=0
	v_dot4_i32_iu8 v4, v11, v2, v4 neg_lo:[1,1,0]
	s_set_vgpr_msb 1                        ;  msbs: dst=0 src0=1 src1=0 src2=0
	s_delay_alu instid0(VALU_DEP_2)
	v_dot4_i32_iu8 v23, v21 /*v277*/, v240, v23 neg_lo:[1,1,0]
	s_set_vgpr_msb 0                        ;  msbs: dst=0 src0=0 src1=0 src2=0
	v_cvt_f32_i32_e32 v6, v6
	v_dot4_i32_iu8 v4, v235, v5, v4 neg_lo:[1,1,0]
	s_set_vgpr_msb 1                        ;  msbs: dst=0 src0=1 src1=0 src2=0
	v_dot4_i32_iu8 v23, v22 /*v278*/, v241, v23 neg_lo:[1,1,0]
	s_set_vgpr_msb 0                        ;  msbs: dst=0 src0=0 src1=0 src2=0
	s_delay_alu instid0(VALU_DEP_2) | instskip(SKIP_1) | instid1(VALU_DEP_2)
	v_mad_i32_i24 v4, v223, v24, v4
	s_set_vgpr_msb 1                        ;  msbs: dst=0 src0=1 src1=0 src2=0
	v_dot4_i32_iu8 v23, v23 /*v279*/, v242, v23 neg_lo:[1,1,0]
	s_set_vgpr_msb 64                       ;  msbs: dst=1 src0=0 src1=0 src2=0
	v_perm_b32 v23 /*v279*/, v131, v18, 0x5040302
	s_set_vgpr_msb 0                        ;  msbs: dst=0 src0=0 src1=0 src2=0
	v_dot4_i32_iu8 v4, v236, v12, v4 neg_lo:[1,1,0]
	s_set_vgpr_msb 0x41                     ;  msbs: dst=1 src0=1 src1=0 src2=0
	v_dot4_i32_iu8 v27 /*v283*/, v24 /*v280*/, v243, v23 neg_lo:[1,1,0]
	s_set_vgpr_msb 0x55                     ;  msbs: dst=1 src0=1 src1=1 src2=1
	v_dot4_i32_iu8 v23 /*v279*/, v46 /*v302*/, v23 /*v279*/, v25 /*v281*/ neg_lo:[1,1,0]
	s_set_vgpr_msb 0x44                     ;  msbs: dst=1 src0=0 src1=1 src2=0
	v_dot4_i32_iu8 v24 /*v280*/, v237, v24 /*v280*/, v4 neg_lo:[1,1,0]
	s_set_vgpr_msb 0                        ;  msbs: dst=0 src0=0 src1=0 src2=0
	v_or_b32_e32 v4, s5, v204
	s_delay_alu instid0(VALU_DEP_1)
	v_dual_lshlrev_b32 v5, 2, v4 :: v_dual_lshrrev_b32 v16, 1, v4
	ds_load_b128 v[8:11], v5 offset:33280
	ds_load_b128 v[12:15], v5 offset:33296
	;; [unrolled: 1-line block ×4, first 2 shown]
	s_wait_dscnt 0x3
	s_set_vgpr_msb 64                       ;  msbs: dst=1 src0=0 src1=0 src2=0
	v_bfe_i32 v30 /*v286*/, v8, 0, 8
	v_perm_b32 v35 /*v291*/, v8, v8, 0xc0c0201
	v_perm_b32 v36 /*v292*/, v9, v8, 0x6050403
	;; [unrolled: 1-line block ×4, first 2 shown]
	s_set_vgpr_msb 1                        ;  msbs: dst=0 src0=1 src1=0 src2=0
	v_mul_i32_i24_e32 v4, v30 /*v286*/, v155
	s_wait_dscnt 0x2
	s_set_vgpr_msb 64                       ;  msbs: dst=1 src0=0 src1=0 src2=0
	v_perm_b32 v39 /*v295*/, v12, v11, 0x6050403
	v_ashrrev_i32_e32 v31 /*v287*/, 24, v12
	s_wait_dscnt 0x1
	v_bfe_i32 v32 /*v288*/, v20, 0, 8
	v_bfe_i32 v33 /*v289*/, v20, 8, 8
	s_set_vgpr_msb 1                        ;  msbs: dst=0 src0=1 src1=0 src2=0
	v_dot4_i32_iu8 v4, v35 /*v291*/, v156, v4 neg_lo:[1,1,0]
	s_set_vgpr_msb 64                       ;  msbs: dst=1 src0=0 src1=0 src2=0
	v_perm_b32 v40 /*v296*/, v21, v20, 0x5040302
	v_perm_b32 v41 /*v297*/, v22, v21, 0x5040302
	;; [unrolled: 1-line block ×3, first 2 shown]
	s_wait_dscnt 0x0
	v_perm_b32 v43 /*v299*/, v24, v23, 0x5040302
	s_set_vgpr_msb 1                        ;  msbs: dst=0 src0=1 src1=0 src2=0
	v_dot4_i32_iu8 v4, v36 /*v292*/, v157, v4 neg_lo:[1,1,0]
	s_set_vgpr_msb 64                       ;  msbs: dst=1 src0=0 src1=0 src2=0
	v_perm_b32 v44 /*v300*/, v25, v24, 0x5040302
	v_perm_b32 v45 /*v301*/, v26, v25, 0x5040302
	;; [unrolled: 1-line block ×4, first 2 shown]
	s_set_vgpr_msb 5                        ;  msbs: dst=0 src0=1 src1=1 src2=0
	v_dot4_i32_iu8 v4, v37 /*v293*/, v1 /*v257*/, v4 neg_lo:[1,1,0]
	s_set_vgpr_msb 0                        ;  msbs: dst=0 src0=0 src1=0 src2=0
	v_perm_b32 v26, v27, v26, 0x5040302
	v_dot4_i32_iu8 v8, v8, v146, 0 neg_lo:[1,1,0]
	s_set_vgpr_msb 64                       ;  msbs: dst=1 src0=0 src1=0 src2=0
	v_ashrrev_i32_e32 v34 /*v290*/, 24, v24
	s_set_vgpr_msb 5                        ;  msbs: dst=0 src0=1 src1=1 src2=0
	v_dot4_i32_iu8 v4, v38 /*v294*/, v2 /*v258*/, v4 neg_lo:[1,1,0]
	s_set_vgpr_msb 0                        ;  msbs: dst=0 src0=0 src1=0 src2=0
	v_dot4_i32_iu8 v8, v9, v147, v8 neg_lo:[1,1,0]
	s_set_vgpr_msb 1                        ;  msbs: dst=0 src0=1 src1=0 src2=0
	v_mul_i32_i24_e32 v9, v32 /*v288*/, v228
	s_set_vgpr_msb 5                        ;  msbs: dst=0 src0=1 src1=1 src2=0
	v_dot4_i32_iu8 v4, v39 /*v295*/, v3 /*v259*/, v4 neg_lo:[1,1,0]
	s_set_vgpr_msb 0                        ;  msbs: dst=0 src0=0 src1=0 src2=0
	v_dot4_i32_iu8 v8, v10, v144, v8 neg_lo:[1,1,0]
	v_perm_b32 v10, v24, v141, 0x6050403
	s_set_vgpr_msb 4                        ;  msbs: dst=0 src0=0 src1=1 src2=0
	v_mad_i32_i24 v4, v154, v31 /*v287*/, v4
	s_set_vgpr_msb 0                        ;  msbs: dst=0 src0=0 src1=0 src2=0
	v_dot4_i32_iu8 v8, v11, v145, v8 neg_lo:[1,1,0]
	v_perm_b32 v11, v226, v23, 0x6050403
	s_set_vgpr_msb 1                        ;  msbs: dst=0 src0=1 src1=0 src2=0
	v_dot4_i32_iu8 v4, v12 /*v268*/, v13, v4 neg_lo:[1,1,0]
	s_set_vgpr_msb 0                        ;  msbs: dst=0 src0=0 src1=0 src2=0
	v_dot4_i32_iu8 v8, v12, v142, v8 neg_lo:[1,1,0]
	v_perm_b32 v12, v20, v20, 0xc0c0201
	s_set_vgpr_msb 0x41                     ;  msbs: dst=1 src0=1 src1=0 src2=0
	v_dot4_i32_iu8 v21 /*v277*/, v13 /*v269*/, v14, v4 neg_lo:[1,1,0]
	s_set_vgpr_msb 5                        ;  msbs: dst=0 src0=1 src1=1 src2=0
	v_mul_i32_i24_e32 v4, v5 /*v261*/, v32 /*v288*/
	s_set_vgpr_msb 0                        ;  msbs: dst=0 src0=0 src1=0 src2=0
	v_dot4_i32_iu8 v8, v13, v143, v8 neg_lo:[1,1,0]
	v_dot4_i32_iu8 v9, v12, v247, v9 neg_lo:[1,1,0]
	s_set_vgpr_msb 5                        ;  msbs: dst=0 src0=1 src1=1 src2=0
	v_mad_i32_i24 v4, v4 /*v260*/, v33 /*v289*/, v4
	s_set_vgpr_msb 0                        ;  msbs: dst=0 src0=0 src1=0 src2=0
	v_dot4_i32_iu8 v8, v14, v138, v8 neg_lo:[1,1,0]
	s_set_vgpr_msb 5                        ;  msbs: dst=0 src0=1 src1=1 src2=0
	s_delay_alu instid0(VALU_DEP_2) | instskip(SKIP_1) | instid1(VALU_DEP_2)
	v_dot4_i32_iu8 v4, v6 /*v262*/, v40 /*v296*/, v4 neg_lo:[1,1,0]
	s_set_vgpr_msb 0                        ;  msbs: dst=0 src0=0 src1=0 src2=0
	v_dot4_i32_iu8 v8, v15, v139, v8 neg_lo:[1,1,0]
	s_set_vgpr_msb 5                        ;  msbs: dst=0 src0=1 src1=1 src2=0
	s_delay_alu instid0(VALU_DEP_2) | instskip(SKIP_1) | instid1(VALU_DEP_2)
	v_dot4_i32_iu8 v4, v7 /*v263*/, v41 /*v297*/, v4 neg_lo:[1,1,0]
	s_set_vgpr_msb 0                        ;  msbs: dst=0 src0=0 src1=0 src2=0
	v_mul_lo_u32 v8, v8, v225
	s_set_vgpr_msb 5                        ;  msbs: dst=0 src0=1 src1=1 src2=0
	s_delay_alu instid0(VALU_DEP_2) | instskip(NEXT) | instid1(VALU_DEP_1)
	v_dot4_i32_iu8 v4, v8 /*v264*/, v42 /*v298*/, v4 neg_lo:[1,1,0]
	v_dot4_i32_iu8 v4, v9 /*v265*/, v43 /*v299*/, v4 neg_lo:[1,1,0]
	s_delay_alu instid0(VALU_DEP_1) | instskip(SKIP_1) | instid1(VALU_DEP_1)
	v_dot4_i32_iu8 v4, v10 /*v266*/, v44 /*v300*/, v4 neg_lo:[1,1,0]
	s_set_vgpr_msb 0x45                     ;  msbs: dst=1 src0=1 src1=1 src2=0
	v_dot4_i32_iu8 v22 /*v278*/, v11 /*v267*/, v45 /*v301*/, v4 neg_lo:[1,1,0]
	s_set_vgpr_msb 1                        ;  msbs: dst=0 src0=1 src1=0 src2=0
	ds_load_b64 v[4:5], v14 /*v270*/ offset:43584
	s_set_vgpr_msb 0                        ;  msbs: dst=0 src0=0 src1=0 src2=0
	ds_load_b64 v[16:17], v16 offset:43584
	s_set_vgpr_msb 0x55                     ;  msbs: dst=1 src0=1 src1=1 src2=1
	v_dot4_i32_iu8 v22 /*v278*/, v46 /*v302*/, v25 /*v281*/, v22 /*v278*/ neg_lo:[1,1,0]
	s_set_vgpr_msb 64                       ;  msbs: dst=1 src0=0 src1=0 src2=0
	v_perm_b32 v25 /*v281*/, v27, v27, 0xc0c0302
	v_perm_b32 v46 /*v302*/, v19, v19, 0xc0c0302
	s_set_vgpr_msb 0x54                     ;  msbs: dst=1 src0=0 src1=1 src2=1
	s_delay_alu instid0(VALU_DEP_2) | instskip(NEXT) | instid1(VALU_DEP_2)
	v_dot4_i32_iu8 v22 /*v278*/, v245, v25 /*v281*/, v22 /*v278*/ neg_lo:[1,1,0]
	v_dot4_i32_iu8 v23 /*v279*/, v245, v46 /*v302*/, v23 /*v279*/ neg_lo:[1,1,0]
	s_set_vgpr_msb 0x41                     ;  msbs: dst=1 src0=1 src1=0 src2=0
	s_delay_alu instid0(VALU_DEP_2) | instskip(NEXT) | instid1(VALU_DEP_2)
	v_mul_lo_u32 v22 /*v278*/, v22 /*v278*/, v127
	v_mul_lo_u32 v47 /*v303*/, v23 /*v279*/, v127
	s_wait_dscnt 0x1
	s_set_vgpr_msb 64                       ;  msbs: dst=1 src0=0 src1=0 src2=0
	v_cvt_f32_f16_e64 v14 /*v270*/, v4
	s_wait_dscnt 0x0
	v_cvt_f32_f16_e64 v15 /*v271*/, v16
	s_set_vgpr_msb 0                        ;  msbs: dst=0 src0=0 src1=0 src2=0
	v_lshrrev_b32_e32 v4, 16, v4
	v_lshrrev_b32_e32 v16, 16, v16
	s_set_vgpr_msb 64                       ;  msbs: dst=1 src0=0 src1=0 src2=0
	v_cvt_f32_f16_e64 v19 /*v275*/, v17
	v_cvt_f32_f16_e64 v18 /*v274*/, v5
	;; [unrolled: 1-line block ×4, first 2 shown]
	s_set_vgpr_msb 16                       ;  msbs: dst=0 src0=0 src1=0 src2=1
	v_lshrrev_b32_e32 v4, 16, v5
	v_lshrrev_b32_e32 v5, 16, v17
	v_dot4_i32_iu8 v16, v15, v253, v21 /*v277*/ neg_lo:[1,1,0]
	v_dot4_i32_iu8 v17, v7, v253, v20 /*v276*/ neg_lo:[1,1,0]
	s_set_vgpr_msb 0x41                     ;  msbs: dst=1 src0=1 src1=0 src2=0
	v_cvt_f32_i32_e32 v23 /*v279*/, v22 /*v278*/
	s_set_vgpr_msb 0                        ;  msbs: dst=0 src0=0 src1=0 src2=0
	v_cvt_f32_f16_e32 v4, v4
	v_cvt_f32_f16_e32 v5, v5
	v_mul_lo_u32 v16, v16, v135
	s_set_vgpr_msb 64                       ;  msbs: dst=1 src0=0 src1=0 src2=0
	v_mul_lo_u32 v20 /*v276*/, v17, v135
	s_set_vgpr_msb 0x41                     ;  msbs: dst=1 src0=1 src1=0 src2=0
	v_cvt_f32_i32_e32 v22 /*v278*/, v47 /*v303*/
	s_set_vgpr_msb 0                        ;  msbs: dst=0 src0=0 src1=0 src2=0
	s_delay_alu instid0(VALU_DEP_3) | instskip(SKIP_1) | instid1(VALU_DEP_3)
	v_cvt_f32_i32_e32 v17, v16
	s_set_vgpr_msb 1                        ;  msbs: dst=0 src0=1 src1=0 src2=0
	v_cvt_f32_i32_e32 v16, v20 /*v276*/
	s_set_vgpr_msb 0x44                     ;  msbs: dst=1 src0=0 src1=1 src2=0
	v_pk_fma_f32 v[20:21] /*v[276:277]*/, v[132:133], v[16:17] /*v[272:273]*/, 0 op_sel_hi:[0,1,0]
	s_set_vgpr_msb 1                        ;  msbs: dst=0 src0=1 src1=0 src2=0
	s_delay_alu instid0(VALU_DEP_2) | instskip(SKIP_1) | instid1(VALU_DEP_2)
	v_pk_fma_f32 v[16:17], v[14:15] /*v[270:271]*/, v[16:17], 0 op_sel_hi:[1,1,0]
	s_set_vgpr_msb 0x50                     ;  msbs: dst=1 src0=0 src1=0 src2=1
	v_pk_fma_f32 v[20:21] /*v[276:277]*/, v[128:129], v[4:5], v[20:21] /*v[276:277]*/ op_sel_hi:[0,1,1]
	s_set_vgpr_msb 5                        ;  msbs: dst=0 src0=1 src1=1 src2=0
	s_delay_alu instid0(VALU_DEP_2) | instskip(SKIP_1) | instid1(VALU_DEP_2)
	v_pk_fma_f32 v[16:17], v[18:19] /*v[274:275]*/, v[22:23] /*v[278:279]*/, v[16:17]
	s_set_vgpr_msb 0x41                     ;  msbs: dst=1 src0=1 src1=0 src2=0
	v_pk_mul_f32 v[20:21] /*v[276:277]*/, v[20:21] /*v[276:277]*/, v[118:119]
	s_set_vgpr_msb 64                       ;  msbs: dst=1 src0=0 src1=0 src2=0
	v_perm_b32 v23 /*v279*/, v19, v18, 0x5040302
	s_set_vgpr_msb 16                       ;  msbs: dst=0 src0=0 src1=0 src2=1
	s_delay_alu instid0(VALU_DEP_2) | instskip(SKIP_1) | instid1(VALU_DEP_2)
	v_pk_fma_f32 v[16:17], v[16:17], v[110:111], v[20:21] /*v[276:277]*/ neg_lo:[0,0,1] neg_hi:[0,0,1]
	s_set_vgpr_msb 17                       ;  msbs: dst=0 src0=1 src1=0 src2=1
	v_dot4_i32_iu8 v18, v23 /*v279*/, v244, v27 /*v283*/ neg_lo:[1,1,0]
	s_set_vgpr_msb 0                        ;  msbs: dst=0 src0=0 src1=0 src2=0
	s_delay_alu instid0(VALU_DEP_2)
	v_pk_add_f32 v[78:79], v[78:79], v[16:17]
	s_set_vgpr_msb 1                        ;  msbs: dst=0 src0=1 src1=0 src2=0
	v_mul_i32_i24_e32 v16, v30 /*v286*/, v151
	v_mul_i32_i24_e32 v17, v32 /*v288*/, v166
	s_set_vgpr_msb 4                        ;  msbs: dst=0 src0=0 src1=1 src2=0
	v_dot4_i32_iu8 v18, v246, v46 /*v302*/, v18 neg_lo:[1,1,0]
	s_set_vgpr_msb 1                        ;  msbs: dst=0 src0=1 src1=0 src2=0
	v_dot4_i32_iu8 v16, v35 /*v291*/, v153, v16 neg_lo:[1,1,0]
	v_mad_i32_i24 v17, v33 /*v289*/, v167, v17
	s_set_vgpr_msb 0                        ;  msbs: dst=0 src0=0 src1=0 src2=0
	v_mul_lo_u32 v18, v18, v229
	s_set_vgpr_msb 1                        ;  msbs: dst=0 src0=1 src1=0 src2=0
	v_dot4_i32_iu8 v16, v36 /*v292*/, v160, v16 neg_lo:[1,1,0]
	v_dot4_i32_iu8 v17, v40 /*v296*/, v168, v17 neg_lo:[1,1,0]
	s_delay_alu instid0(VALU_DEP_2) | instskip(NEXT) | instid1(VALU_DEP_2)
	v_dot4_i32_iu8 v16, v37 /*v293*/, v162, v16 neg_lo:[1,1,0]
	v_dot4_i32_iu8 v17, v41 /*v297*/, v239, v17 neg_lo:[1,1,0]
	s_set_vgpr_msb 0                        ;  msbs: dst=0 src0=0 src1=0 src2=0
	v_cvt_f32_i32_e32 v18, v18
	s_set_vgpr_msb 1                        ;  msbs: dst=0 src0=1 src1=0 src2=0
	v_dot4_i32_iu8 v16, v38 /*v294*/, v163, v16 neg_lo:[1,1,0]
	v_dot4_i32_iu8 v17, v42 /*v298*/, v240, v17 neg_lo:[1,1,0]
	s_delay_alu instid0(VALU_DEP_2) | instskip(NEXT) | instid1(VALU_DEP_2)
	v_dot4_i32_iu8 v16, v39 /*v295*/, v164, v16 neg_lo:[1,1,0]
	v_dot4_i32_iu8 v17, v43 /*v299*/, v241, v17 neg_lo:[1,1,0]
	s_set_vgpr_msb 4                        ;  msbs: dst=0 src0=0 src1=1 src2=0
	s_delay_alu instid0(VALU_DEP_2) | instskip(SKIP_1) | instid1(VALU_DEP_2)
	v_mad_i32_i24 v16, v158, v31 /*v287*/, v16
	s_set_vgpr_msb 1                        ;  msbs: dst=0 src0=1 src1=0 src2=0
	v_dot4_i32_iu8 v17, v44 /*v300*/, v242, v17 neg_lo:[1,1,0]
	s_set_vgpr_msb 0                        ;  msbs: dst=0 src0=0 src1=0 src2=0
	s_delay_alu instid0(VALU_DEP_2) | instskip(SKIP_1) | instid1(VALU_DEP_2)
	v_dot4_i32_iu8 v16, v254, v13, v16 neg_lo:[1,1,0]
	s_set_vgpr_msb 0x41                     ;  msbs: dst=1 src0=1 src1=0 src2=0
	v_dot4_i32_iu8 v22 /*v278*/, v45 /*v301*/, v243, v17 neg_lo:[1,1,0]
	s_set_vgpr_msb 20                       ;  msbs: dst=0 src0=0 src1=1 src2=1
	v_dot4_i32_iu8 v17, v7, v0 /*v256*/, v26 /*v282*/ neg_lo:[1,1,0]
	s_set_vgpr_msb 0                        ;  msbs: dst=0 src0=0 src1=0 src2=0
	v_dot4_i32_iu8 v16, v255, v14, v16 neg_lo:[1,1,0]
	s_set_vgpr_msb 16                       ;  msbs: dst=0 src0=0 src1=0 src2=1
	v_dot4_i32_iu8 v19, v26, v244, v22 /*v278*/ neg_lo:[1,1,0]
	s_set_vgpr_msb 64                       ;  msbs: dst=1 src0=0 src1=0 src2=0
	v_mul_lo_u32 v20 /*v276*/, v17, v165
	s_set_vgpr_msb 4                        ;  msbs: dst=0 src0=0 src1=1 src2=0
	v_dot4_i32_iu8 v16, v15, v0 /*v256*/, v16 neg_lo:[1,1,0]
	v_dot4_i32_iu8 v19, v246, v25 /*v281*/, v19 neg_lo:[1,1,0]
	s_set_vgpr_msb 0                        ;  msbs: dst=0 src0=0 src1=0 src2=0
	s_delay_alu instid0(VALU_DEP_2) | instskip(NEXT) | instid1(VALU_DEP_2)
	v_mul_lo_u32 v16, v16, v165
	v_mul_lo_u32 v19, v19, v229
	s_delay_alu instid0(VALU_DEP_2)
	v_cvt_f32_i32_e32 v17, v16
	s_set_vgpr_msb 1                        ;  msbs: dst=0 src0=1 src1=0 src2=0
	v_cvt_f32_i32_e32 v16, v20 /*v276*/
	s_set_vgpr_msb 0x44                     ;  msbs: dst=1 src0=0 src1=1 src2=0
	v_pk_fma_f32 v[20:21] /*v[276:277]*/, v[134:135], v[16:17] /*v[272:273]*/, 0 op_sel_hi:[0,1,0]
	s_set_vgpr_msb 0                        ;  msbs: dst=0 src0=0 src1=0 src2=0
	s_delay_alu instid0(VALU_DEP_4) | instskip(SKIP_2) | instid1(VALU_DEP_1)
	v_cvt_f32_i32_e32 v19, v19
	s_set_vgpr_msb 1                        ;  msbs: dst=0 src0=1 src1=0 src2=0
	v_pk_fma_f32 v[16:17], v[14:15] /*v[270:271]*/, v[16:17], 0 op_sel_hi:[1,1,0]
	v_pk_fma_f32 v[16:17], v[18:19] /*v[274:275]*/, v[18:19], v[16:17]
	s_set_vgpr_msb 16                       ;  msbs: dst=0 src0=0 src1=0 src2=1
	v_pk_fma_f32 v[18:19], v[152:153], v[4:5], v[20:21] /*v[276:277]*/ op_sel_hi:[0,1,1]
	s_delay_alu instid0(VALU_DEP_1) | instskip(SKIP_1) | instid1(VALU_DEP_1)
	v_pk_mul_f32 v[18:19], v[18:19], v[120:121]
	s_set_vgpr_msb 0                        ;  msbs: dst=0 src0=0 src1=0 src2=0
	v_pk_fma_f32 v[16:17], v[16:17], v[112:113], v[18:19] neg_lo:[0,0,1] neg_hi:[0,0,1]
	v_perm_b32 v18, v21, v20, 0x6050403
	v_perm_b32 v19, v22, v21, 0x6050403
	;; [unrolled: 1-line block ×4, first 2 shown]
	v_pk_add_f32 v[84:85], v[84:85], v[16:17]
	v_dot4_i32_iu8 v9, v18, v248, v9 neg_lo:[1,1,0]
	s_set_vgpr_msb 17                       ;  msbs: dst=0 src0=1 src1=0 src2=1
	v_dot4_i32_iu8 v17, v23 /*v279*/, v230, v29 /*v285*/ neg_lo:[1,1,0]
	s_set_vgpr_msb 0                        ;  msbs: dst=0 src0=0 src1=0 src2=0
	s_delay_alu instid0(VALU_DEP_2) | instskip(SKIP_1) | instid1(VALU_DEP_2)
	v_dot4_i32_iu8 v9, v19, v249, v9 neg_lo:[1,1,0]
	s_set_vgpr_msb 4                        ;  msbs: dst=0 src0=0 src1=1 src2=0
	v_dot4_i32_iu8 v17, v231, v46 /*v302*/, v17 neg_lo:[1,1,0]
	s_set_vgpr_msb 0                        ;  msbs: dst=0 src0=0 src1=0 src2=0
	s_delay_alu instid0(VALU_DEP_2) | instskip(NEXT) | instid1(VALU_DEP_2)
	v_dot4_i32_iu8 v9, v20, v250, v9 neg_lo:[1,1,0]
	v_mul_lo_u32 v22, v17, v172
	s_delay_alu instid0(VALU_DEP_2) | instskip(SKIP_1) | instid1(VALU_DEP_1)
	v_dot4_i32_iu8 v9, v11, v10, v9 neg_lo:[1,1,0]
	s_set_vgpr_msb 4                        ;  msbs: dst=0 src0=0 src1=1 src2=0
	v_mad_i32_i24 v9, v227, v34 /*v290*/, v9
	s_set_vgpr_msb 0                        ;  msbs: dst=0 src0=0 src1=0 src2=0
	s_delay_alu instid0(VALU_DEP_1) | instskip(SKIP_1) | instid1(VALU_DEP_1)
	v_dot4_i32_iu8 v9, v251, v21, v9 neg_lo:[1,1,0]
	s_set_vgpr_msb 4                        ;  msbs: dst=0 src0=0 src1=1 src2=0
	v_dot4_i32_iu8 v16, v252, v45 /*v301*/, v9 neg_lo:[1,1,0]
	s_set_vgpr_msb 16                       ;  msbs: dst=0 src0=0 src1=0 src2=1
	v_dot4_i32_iu8 v9, v7, v139, v28 /*v284*/ neg_lo:[1,1,0]
	s_set_vgpr_msb 0                        ;  msbs: dst=0 src0=0 src1=0 src2=0
	s_delay_alu instid0(VALU_DEP_2) | instskip(NEXT) | instid1(VALU_DEP_2)
	v_dot4_i32_iu8 v16, v26, v230, v16 neg_lo:[1,1,0]
	v_mul_lo_u32 v10, v9, v225
	v_cvt_f32_i32_e32 v9, v8
	s_set_vgpr_msb 4                        ;  msbs: dst=0 src0=0 src1=1 src2=0
	s_delay_alu instid0(VALU_DEP_3) | instskip(SKIP_1) | instid1(VALU_DEP_1)
	v_dot4_i32_iu8 v16, v231, v25 /*v281*/, v16 neg_lo:[1,1,0]
	s_set_vgpr_msb 0                        ;  msbs: dst=0 src0=0 src1=0 src2=0
	v_mul_lo_u32 v16, v16, v172
	s_delay_alu instid0(VALU_DEP_4) | instskip(SKIP_3) | instid1(VALU_DEP_2)
	v_cvt_f32_i32_e32 v8, v10
	s_set_vgpr_msb 4                        ;  msbs: dst=0 src0=0 src1=1 src2=0
	v_pk_fma_f32 v[10:11], v[148:149], v[16:17] /*v[272:273]*/, 0 op_sel_hi:[0,1,0]
	s_set_vgpr_msb 1                        ;  msbs: dst=0 src0=1 src1=0 src2=0
	v_pk_fma_f32 v[8:9], v[14:15] /*v[270:271]*/, v[8:9], 0 op_sel_hi:[1,1,0]
	s_set_vgpr_msb 0                        ;  msbs: dst=0 src0=0 src1=0 src2=0
	s_delay_alu instid0(VALU_DEP_2) | instskip(SKIP_2) | instid1(VALU_DEP_3)
	v_pk_fma_f32 v[10:11], v[150:151], v[4:5], v[10:11] op_sel_hi:[0,1,1]
	v_cvt_f32_i32_e32 v17, v16
	v_cvt_f32_i32_e32 v16, v22
	v_pk_mul_f32 v[10:11], v[10:11], v[122:123]
	s_set_vgpr_msb 1                        ;  msbs: dst=0 src0=1 src1=0 src2=0
	s_delay_alu instid0(VALU_DEP_2) | instskip(SKIP_1) | instid1(VALU_DEP_1)
	v_pk_fma_f32 v[8:9], v[18:19] /*v[274:275]*/, v[16:17], v[8:9]
	s_set_vgpr_msb 0                        ;  msbs: dst=0 src0=0 src1=0 src2=0
	v_pk_fma_f32 v[8:9], v[8:9], v[114:115], v[10:11] neg_lo:[0,0,1] neg_hi:[0,0,1]
	v_perm_b32 v10, v24, v23, 0x6050403
	s_set_vgpr_msb 17                       ;  msbs: dst=0 src0=1 src1=0 src2=1
	v_dot4_i32_iu8 v11, v23 /*v279*/, v3, v24 /*v280*/ neg_lo:[1,1,0]
	s_set_vgpr_msb 0                        ;  msbs: dst=0 src0=0 src1=0 src2=0
	v_pk_add_f32 v[94:95], v[94:95], v[8:9]
	s_set_vgpr_msb 1                        ;  msbs: dst=0 src0=1 src1=0 src2=0
	v_mul_i32_i24_e32 v8, v30 /*v286*/, v169
	v_mul_i32_i24_e32 v9, v32 /*v288*/, v224
	s_set_vgpr_msb 4                        ;  msbs: dst=0 src0=0 src1=1 src2=0
	v_dot4_i32_iu8 v11, v140, v46 /*v302*/, v11 neg_lo:[1,1,0]
	s_set_vgpr_msb 1                        ;  msbs: dst=0 src0=1 src1=0 src2=0
	v_dot4_i32_iu8 v8, v35 /*v291*/, v170, v8 neg_lo:[1,1,0]
	s_set_vgpr_msb 0                        ;  msbs: dst=0 src0=0 src1=0 src2=0
	v_dot4_i32_iu8 v9, v12, v234, v9 neg_lo:[1,1,0]
	v_mul_lo_u32 v12, v11, v129
	s_set_vgpr_msb 1                        ;  msbs: dst=0 src0=1 src1=0 src2=0
	v_dot4_i32_iu8 v8, v36 /*v292*/, v173, v8 neg_lo:[1,1,0]
	s_set_vgpr_msb 0                        ;  msbs: dst=0 src0=0 src1=0 src2=0
	v_dot4_i32_iu8 v9, v18, v0, v9 neg_lo:[1,1,0]
	s_set_vgpr_msb 1                        ;  msbs: dst=0 src0=1 src1=0 src2=0
	s_delay_alu instid0(VALU_DEP_2) | instskip(SKIP_1) | instid1(VALU_DEP_2)
	v_dot4_i32_iu8 v8, v37 /*v293*/, v174, v8 neg_lo:[1,1,0]
	s_set_vgpr_msb 0                        ;  msbs: dst=0 src0=0 src1=0 src2=0
	v_dot4_i32_iu8 v9, v19, v1, v9 neg_lo:[1,1,0]
	s_set_vgpr_msb 1                        ;  msbs: dst=0 src0=1 src1=0 src2=0
	s_delay_alu instid0(VALU_DEP_2) | instskip(SKIP_1) | instid1(VALU_DEP_2)
	;; [unrolled: 5-line block ×3, first 2 shown]
	v_dot4_i32_iu8 v8, v39 /*v295*/, v222, v8 neg_lo:[1,1,0]
	s_set_vgpr_msb 0                        ;  msbs: dst=0 src0=0 src1=0 src2=0
	v_dot4_i32_iu8 v9, v235, v10, v9 neg_lo:[1,1,0]
	s_set_vgpr_msb 4                        ;  msbs: dst=0 src0=0 src1=1 src2=0
	s_delay_alu instid0(VALU_DEP_2) | instskip(NEXT) | instid1(VALU_DEP_2)
	v_mad_i32_i24 v8, v171, v31 /*v287*/, v8
	v_mad_i32_i24 v9, v223, v34 /*v290*/, v9
	s_set_vgpr_msb 0                        ;  msbs: dst=0 src0=0 src1=0 src2=0
	s_delay_alu instid0(VALU_DEP_2) | instskip(NEXT) | instid1(VALU_DEP_2)
	v_dot4_i32_iu8 v8, v232, v13, v8 neg_lo:[1,1,0]
	v_dot4_i32_iu8 v9, v236, v21, v9 neg_lo:[1,1,0]
	s_delay_alu instid0(VALU_DEP_2) | instskip(SKIP_1) | instid1(VALU_DEP_2)
	v_dot4_i32_iu8 v8, v233, v14, v8 neg_lo:[1,1,0]
	s_set_vgpr_msb 4                        ;  msbs: dst=0 src0=0 src1=1 src2=0
	v_dot4_i32_iu8 v10, v237, v45 /*v301*/, v9 neg_lo:[1,1,0]
	s_set_vgpr_msb 0                        ;  msbs: dst=0 src0=0 src1=0 src2=0
	s_delay_alu instid0(VALU_DEP_2) | instskip(NEXT) | instid1(VALU_DEP_2)
	v_dot4_i32_iu8 v8, v15, v238, v8 neg_lo:[1,1,0]
	v_dot4_i32_iu8 v10, v26, v3, v10 neg_lo:[1,1,0]
	s_delay_alu instid0(VALU_DEP_2) | instskip(SKIP_1) | instid1(VALU_DEP_2)
	v_mul_lo_u32 v7, v8, v175
	s_set_vgpr_msb 4                        ;  msbs: dst=0 src0=0 src1=1 src2=0
	v_dot4_i32_iu8 v10, v140, v25 /*v281*/, v10 neg_lo:[1,1,0]
	v_pk_fma_f32 v[8:9], v[136:137], v[16:17] /*v[272:273]*/, 0 op_sel_hi:[0,1,0]
	s_set_vgpr_msb 0                        ;  msbs: dst=0 src0=0 src1=0 src2=0
	s_delay_alu instid0(VALU_DEP_2) | instskip(NEXT) | instid1(VALU_DEP_2)
	v_mul_lo_u32 v10, v10, v129
	v_pk_fma_f32 v[4:5], v[126:127], v[4:5], v[8:9] op_sel_hi:[0,1,1]
	v_cvt_f32_i32_e32 v7, v7
	s_delay_alu instid0(VALU_DEP_2) | instskip(SKIP_1) | instid1(VALU_DEP_2)
	v_pk_mul_f32 v[4:5], v[4:5], v[124:125]
	s_set_vgpr_msb 1                        ;  msbs: dst=0 src0=1 src1=0 src2=0
	v_pk_fma_f32 v[6:7], v[14:15] /*v[270:271]*/, v[6:7], 0 op_sel_hi:[1,1,0]
	s_set_vgpr_msb 0                        ;  msbs: dst=0 src0=0 src1=0 src2=0
	v_cvt_f32_i32_e32 v11, v10
	v_cvt_f32_i32_e32 v10, v12
	s_set_vgpr_msb 1                        ;  msbs: dst=0 src0=1 src1=0 src2=0
	s_delay_alu instid0(VALU_DEP_1) | instskip(SKIP_1) | instid1(VALU_DEP_1)
	v_pk_fma_f32 v[6:7], v[18:19] /*v[274:275]*/, v[10:11], v[6:7]
	s_set_vgpr_msb 0                        ;  msbs: dst=0 src0=0 src1=0 src2=0
	v_pk_fma_f32 v[4:5], v[6:7], v[116:117], v[4:5] neg_lo:[0,0,1] neg_hi:[0,0,1]
	s_delay_alu instid0(VALU_DEP_1) | instskip(SKIP_1) | instid1(VALU_DEP_1)
	v_pk_add_f32 v[102:103], v[102:103], v[4:5]
	v_or_b32_e32 v4, s5, v205
	v_lshlrev_b32_e32 v8, 2, v4
	s_set_vgpr_msb 64                       ;  msbs: dst=1 src0=0 src1=0 src2=0
	v_lshrrev_b32_e32 v28 /*v284*/, 1, v4
	s_set_vgpr_msb 0                        ;  msbs: dst=0 src0=0 src1=0 src2=0
	ds_load_b128 v[12:15], v8 offset:33280
	ds_load_b128 v[4:7], v8 offset:33296
	;; [unrolled: 1-line block ×4, first 2 shown]
	s_wait_dscnt 0x3
	v_bfe_i32 v20, v12, 0, 8
	v_perm_b32 v26, v12, v12, 0xc0c0201
	v_perm_b32 v27, v13, v12, 0x6050403
	s_set_vgpr_msb 64                       ;  msbs: dst=1 src0=0 src1=0 src2=0
	v_perm_b32 v14 /*v270*/, v14, v13, 0x6050403
	v_perm_b32 v21 /*v277*/, v15, v14, 0x6050403
	s_set_vgpr_msb 0                        ;  msbs: dst=0 src0=0 src1=0 src2=0
	v_mul_i32_i24_e32 v25, v20, v155
	s_wait_dscnt 0x2
	s_set_vgpr_msb 64                       ;  msbs: dst=1 src0=0 src1=0 src2=0
	v_perm_b32 v22 /*v278*/, v4, v15, 0x6050403
	s_set_vgpr_msb 0                        ;  msbs: dst=0 src0=0 src1=0 src2=0
	v_ashrrev_i32_e32 v21, 24, v4
	s_wait_dscnt 0x1
	v_bfe_i32 v22, v16, 0, 8
	v_bfe_i32 v23, v16, 8, 8
	v_dot4_i32_iu8 v25, v26, v156, v25 neg_lo:[1,1,0]
	s_set_vgpr_msb 64                       ;  msbs: dst=1 src0=0 src1=0 src2=0
	v_perm_b32 v15 /*v271*/, v17, v16, 0x5040302
	v_perm_b32 v16 /*v272*/, v18, v17, 0x5040302
	;; [unrolled: 1-line block ×3, first 2 shown]
	s_wait_dscnt 0x0
	v_perm_b32 v23 /*v279*/, v8, v19, 0x5040302
	s_set_vgpr_msb 0                        ;  msbs: dst=0 src0=0 src1=0 src2=0
	v_dot4_i32_iu8 v25, v27, v157, v25 neg_lo:[1,1,0]
	s_set_vgpr_msb 64                       ;  msbs: dst=1 src0=0 src1=0 src2=0
	v_perm_b32 v24 /*v280*/, v9, v8, 0x5040302
	v_perm_b32 v25 /*v281*/, v10, v9, 0x5040302
	s_set_vgpr_msb 0                        ;  msbs: dst=0 src0=0 src1=0 src2=0
	v_dot4_i32_iu8 v12, v12, v146, 0 neg_lo:[1,1,0]
	v_ashrrev_i32_e32 v24, 24, v8
	s_set_vgpr_msb 5                        ;  msbs: dst=0 src0=1 src1=1 src2=0
	v_dot4_i32_iu8 v25, v14 /*v270*/, v1 /*v257*/, v25 neg_lo:[1,1,0]
	s_set_vgpr_msb 0                        ;  msbs: dst=0 src0=0 src1=0 src2=0
	v_perm_b32 v9, v9, v9, 0xc0c0100
	v_dot4_i32_iu8 v12, v13, v147, v12 neg_lo:[1,1,0]
	v_perm_b32 v13, v17, v16, 0x6050403
	s_set_vgpr_msb 5                        ;  msbs: dst=0 src0=1 src1=1 src2=0
	v_dot4_i32_iu8 v25, v21 /*v277*/, v2 /*v258*/, v25 neg_lo:[1,1,0]
	s_set_vgpr_msb 0                        ;  msbs: dst=0 src0=0 src1=0 src2=0
	v_dot4_i32_iu8 v12, v14, v144, v12 neg_lo:[1,1,0]
	v_perm_b32 v14, v18, v17, 0x6050403
	s_set_vgpr_msb 5                        ;  msbs: dst=0 src0=1 src1=1 src2=0
	v_dot4_i32_iu8 v25, v22 /*v278*/, v3 /*v259*/, v25 neg_lo:[1,1,0]
	s_set_vgpr_msb 0                        ;  msbs: dst=0 src0=0 src1=0 src2=0
	v_perm_b32 v17, v226, v19, 0x6050403
	v_dot4_i32_iu8 v12, v15, v145, v12 neg_lo:[1,1,0]
	v_perm_b32 v15, v19, v18, 0x6050403
	v_mad_i32_i24 v25, v154, v21, v25
	s_delay_alu instid0(VALU_DEP_3) | instskip(SKIP_2) | instid1(VALU_DEP_3)
	v_dot4_i32_iu8 v4, v4, v142, v12 neg_lo:[1,1,0]
	v_perm_b32 v12, v16, v16, 0xc0c0201
	s_set_vgpr_msb 1                        ;  msbs: dst=0 src0=1 src1=0 src2=0
	v_dot4_i32_iu8 v25, v12 /*v268*/, v5, v25 neg_lo:[1,1,0]
	s_set_vgpr_msb 0                        ;  msbs: dst=0 src0=0 src1=0 src2=0
	v_perm_b32 v16, v8, v141, 0x6050403
	v_dot4_i32_iu8 v4, v5, v143, v4 neg_lo:[1,1,0]
	s_set_vgpr_msb 0x41                     ;  msbs: dst=1 src0=1 src1=0 src2=0
	v_dot4_i32_iu8 v20 /*v276*/, v13 /*v269*/, v6, v25 neg_lo:[1,1,0]
	s_set_vgpr_msb 1                        ;  msbs: dst=0 src0=1 src1=0 src2=0
	v_mul_i32_i24_e32 v25, v5 /*v261*/, v22
	s_delay_alu instid0(VALU_DEP_1) | instskip(SKIP_1) | instid1(VALU_DEP_1)
	v_mad_i32_i24 v25, v4 /*v260*/, v23, v25
	s_set_vgpr_msb 5                        ;  msbs: dst=0 src0=1 src1=1 src2=0
	v_dot4_i32_iu8 v25, v6 /*v262*/, v15 /*v271*/, v25 neg_lo:[1,1,0]
	s_delay_alu instid0(VALU_DEP_1) | instskip(NEXT) | instid1(VALU_DEP_1)
	v_dot4_i32_iu8 v25, v7 /*v263*/, v16 /*v272*/, v25 neg_lo:[1,1,0]
	v_dot4_i32_iu8 v25, v8 /*v264*/, v17 /*v273*/, v25 neg_lo:[1,1,0]
	s_delay_alu instid0(VALU_DEP_1) | instskip(NEXT) | instid1(VALU_DEP_1)
	v_dot4_i32_iu8 v25, v9 /*v265*/, v23 /*v279*/, v25 neg_lo:[1,1,0]
	v_dot4_i32_iu8 v25, v10 /*v266*/, v24 /*v280*/, v25 neg_lo:[1,1,0]
	s_set_vgpr_msb 0x45                     ;  msbs: dst=1 src0=1 src1=1 src2=0
	s_delay_alu instid0(VALU_DEP_1) | instskip(SKIP_2) | instid1(VALU_DEP_1)
	v_dot4_i32_iu8 v19 /*v275*/, v11 /*v267*/, v25 /*v281*/, v25 neg_lo:[1,1,0]
	s_set_vgpr_msb 0                        ;  msbs: dst=0 src0=0 src1=0 src2=0
	v_mul_i32_i24_e32 v25, v20, v151
	v_dot4_i32_iu8 v25, v26, v153, v25 neg_lo:[1,1,0]
	s_delay_alu instid0(VALU_DEP_1) | instskip(SKIP_1) | instid1(VALU_DEP_1)
	v_dot4_i32_iu8 v25, v27, v160, v25 neg_lo:[1,1,0]
	s_set_vgpr_msb 1                        ;  msbs: dst=0 src0=1 src1=0 src2=0
	v_dot4_i32_iu8 v25, v14 /*v270*/, v162, v25 neg_lo:[1,1,0]
	s_delay_alu instid0(VALU_DEP_1) | instskip(NEXT) | instid1(VALU_DEP_1)
	v_dot4_i32_iu8 v25, v21 /*v277*/, v163, v25 neg_lo:[1,1,0]
	v_dot4_i32_iu8 v25, v22 /*v278*/, v164, v25 neg_lo:[1,1,0]
	s_set_vgpr_msb 0                        ;  msbs: dst=0 src0=0 src1=0 src2=0
	s_delay_alu instid0(VALU_DEP_1) | instskip(NEXT) | instid1(VALU_DEP_1)
	v_mad_i32_i24 v25, v158, v21, v25
	v_dot4_i32_iu8 v25, v254, v5, v25 neg_lo:[1,1,0]
	s_set_vgpr_msb 64                       ;  msbs: dst=1 src0=0 src1=0 src2=0
	s_delay_alu instid0(VALU_DEP_1) | instskip(SKIP_2) | instid1(VALU_DEP_1)
	v_dot4_i32_iu8 v18 /*v274*/, v255, v6, v25 neg_lo:[1,1,0]
	s_set_vgpr_msb 0                        ;  msbs: dst=0 src0=0 src1=0 src2=0
	v_mul_i32_i24_e32 v25, v22, v166
	v_mad_i32_i24 v23, v23, v167, v25
	s_set_vgpr_msb 1                        ;  msbs: dst=0 src0=1 src1=0 src2=0
	s_delay_alu instid0(VALU_DEP_1) | instskip(NEXT) | instid1(VALU_DEP_1)
	v_dot4_i32_iu8 v23, v15 /*v271*/, v168, v23 neg_lo:[1,1,0]
	v_dot4_i32_iu8 v23, v16 /*v272*/, v239, v23 neg_lo:[1,1,0]
	s_set_vgpr_msb 64                       ;  msbs: dst=1 src0=0 src1=0 src2=0
	v_dot4_i32_iu8 v16 /*v272*/, v6, v138, v4 neg_lo:[1,1,0]
	s_set_vgpr_msb 0                        ;  msbs: dst=0 src0=0 src1=0 src2=0
	v_mul_i32_i24_e32 v4, v22, v228
	s_set_vgpr_msb 1                        ;  msbs: dst=0 src0=1 src1=0 src2=0
	v_dot4_i32_iu8 v23, v17 /*v273*/, v240, v23 neg_lo:[1,1,0]
	s_set_vgpr_msb 0                        ;  msbs: dst=0 src0=0 src1=0 src2=0
	s_delay_alu instid0(VALU_DEP_2) | instskip(SKIP_1) | instid1(VALU_DEP_2)
	v_dot4_i32_iu8 v4, v12, v247, v4 neg_lo:[1,1,0]
	s_set_vgpr_msb 1                        ;  msbs: dst=0 src0=1 src1=0 src2=0
	v_dot4_i32_iu8 v23, v23 /*v279*/, v241, v23 neg_lo:[1,1,0]
	s_set_vgpr_msb 0                        ;  msbs: dst=0 src0=0 src1=0 src2=0
	s_delay_alu instid0(VALU_DEP_2) | instskip(SKIP_1) | instid1(VALU_DEP_2)
	v_dot4_i32_iu8 v4, v13, v248, v4 neg_lo:[1,1,0]
	;; [unrolled: 5-line block ×3, first 2 shown]
	s_set_vgpr_msb 0x41                     ;  msbs: dst=1 src0=1 src1=0 src2=0
	v_dot4_i32_iu8 v17 /*v273*/, v25 /*v281*/, v243, v23 neg_lo:[1,1,0]
	s_set_vgpr_msb 0                        ;  msbs: dst=0 src0=0 src1=0 src2=0
	s_delay_alu instid0(VALU_DEP_2) | instskip(NEXT) | instid1(VALU_DEP_1)
	v_dot4_i32_iu8 v4, v15, v250, v4 neg_lo:[1,1,0]
	v_dot4_i32_iu8 v4, v17, v16, v4 neg_lo:[1,1,0]
	s_delay_alu instid0(VALU_DEP_1) | instskip(NEXT) | instid1(VALU_DEP_1)
	v_mad_i32_i24 v4, v227, v24, v4
	v_dot4_i32_iu8 v4, v251, v9, v4 neg_lo:[1,1,0]
	s_set_vgpr_msb 0x44                     ;  msbs: dst=1 src0=0 src1=1 src2=0
	s_delay_alu instid0(VALU_DEP_1) | instskip(SKIP_2) | instid1(VALU_DEP_1)
	v_dot4_i32_iu8 v15 /*v271*/, v252, v25 /*v281*/, v4 neg_lo:[1,1,0]
	s_set_vgpr_msb 0                        ;  msbs: dst=0 src0=0 src1=0 src2=0
	v_mul_i32_i24_e32 v4, v20, v169
	v_dot4_i32_iu8 v4, v26, v170, v4 neg_lo:[1,1,0]
	s_delay_alu instid0(VALU_DEP_1) | instskip(SKIP_1) | instid1(VALU_DEP_1)
	v_dot4_i32_iu8 v4, v27, v173, v4 neg_lo:[1,1,0]
	s_set_vgpr_msb 1                        ;  msbs: dst=0 src0=1 src1=0 src2=0
	v_dot4_i32_iu8 v4, v14 /*v270*/, v174, v4 neg_lo:[1,1,0]
	s_delay_alu instid0(VALU_DEP_1) | instskip(NEXT) | instid1(VALU_DEP_1)
	v_dot4_i32_iu8 v4, v21 /*v277*/, v221, v4 neg_lo:[1,1,0]
	v_dot4_i32_iu8 v4, v22 /*v278*/, v222, v4 neg_lo:[1,1,0]
	s_set_vgpr_msb 0                        ;  msbs: dst=0 src0=0 src1=0 src2=0
	s_delay_alu instid0(VALU_DEP_1) | instskip(NEXT) | instid1(VALU_DEP_1)
	v_mad_i32_i24 v4, v171, v21, v4
	v_dot4_i32_iu8 v4, v232, v5, v4 neg_lo:[1,1,0]
	v_perm_b32 v5, v8, v19, 0x6050403
	s_set_vgpr_msb 64                       ;  msbs: dst=1 src0=0 src1=0 src2=0
	s_delay_alu instid0(VALU_DEP_2) | instskip(SKIP_2) | instid1(VALU_DEP_1)
	v_dot4_i32_iu8 v14 /*v270*/, v233, v6, v4 neg_lo:[1,1,0]
	s_set_vgpr_msb 0                        ;  msbs: dst=0 src0=0 src1=0 src2=0
	v_mul_i32_i24_e32 v4, v22, v224
	v_dot4_i32_iu8 v4, v12, v234, v4 neg_lo:[1,1,0]
	s_delay_alu instid0(VALU_DEP_1) | instskip(NEXT) | instid1(VALU_DEP_1)
	v_dot4_i32_iu8 v4, v13, v0, v4 neg_lo:[1,1,0]
	v_dot4_i32_iu8 v4, v14, v1, v4 neg_lo:[1,1,0]
	s_delay_alu instid0(VALU_DEP_1) | instskip(NEXT) | instid1(VALU_DEP_1)
	v_dot4_i32_iu8 v4, v15, v2, v4 neg_lo:[1,1,0]
	v_dot4_i32_iu8 v4, v235, v5, v4 neg_lo:[1,1,0]
	s_delay_alu instid0(VALU_DEP_1) | instskip(NEXT) | instid1(VALU_DEP_1)
	v_mad_i32_i24 v4, v223, v24, v4
	v_dot4_i32_iu8 v4, v236, v9, v4 neg_lo:[1,1,0]
	s_set_vgpr_msb 4                        ;  msbs: dst=0 src0=0 src1=1 src2=0
	s_delay_alu instid0(VALU_DEP_1)
	v_dot4_i32_iu8 v6, v237, v25 /*v281*/, v4 neg_lo:[1,1,0]
	s_set_vgpr_msb 0                        ;  msbs: dst=0 src0=0 src1=0 src2=0
	v_or_b32_e32 v4, s5, v206
	s_add_co_i32 s5, s4, 8
	s_cmp_lt_u32 s4, 24
	s_mov_b32 s4, s5
	s_delay_alu instid0(VALU_DEP_1)
	v_dual_lshlrev_b32 v5, 2, v4 :: v_dual_lshrrev_b32 v4, 1, v4
	ds_load_b128 v[24:27], v5 offset:33280
	ds_load_b128 v[12:15], v5 offset:33296
	;; [unrolled: 1-line block ×4, first 2 shown]
	s_wait_dscnt 0x3
	s_set_vgpr_msb 64                       ;  msbs: dst=1 src0=0 src1=0 src2=0
	v_bfe_i32 v24 /*v280*/, v24, 0, 8
	v_perm_b32 v25 /*v281*/, v24, v24, 0xc0c0201
	v_perm_b32 v26 /*v282*/, v25, v24, 0x6050403
	;; [unrolled: 1-line block ×3, first 2 shown]
	s_wait_dscnt 0x2
	v_ashrrev_i32_e32 v23 /*v279*/, 24, v12
	s_set_vgpr_msb 1                        ;  msbs: dst=0 src0=1 src1=0 src2=0
	v_mul_i32_i24_e32 v5, v24 /*v280*/, v155
	s_wait_dscnt 0x1
	s_set_vgpr_msb 64                       ;  msbs: dst=1 src0=0 src1=0 src2=0
	v_bfe_i32 v22 /*v278*/, v16, 0, 8
	v_bfe_i32 v29 /*v285*/, v16, 8, 8
	v_perm_b32 v30 /*v286*/, v18, v17, 0x5040302
	v_perm_b32 v31 /*v287*/, v19, v18, 0x5040302
	s_set_vgpr_msb 1                        ;  msbs: dst=0 src0=1 src1=0 src2=0
	v_dot4_i32_iu8 v5, v25 /*v281*/, v156, v5 neg_lo:[1,1,0]
	s_wait_dscnt 0x0
	s_set_vgpr_msb 64                       ;  msbs: dst=1 src0=0 src1=0 src2=0
	v_ashrrev_i32_e32 v21 /*v277*/, 24, v20
	s_set_vgpr_msb 1                        ;  msbs: dst=0 src0=1 src1=0 src2=0
	v_dot4_i32_iu8 v5, v26 /*v282*/, v157, v5 neg_lo:[1,1,0]
	s_set_vgpr_msb 5                        ;  msbs: dst=0 src0=1 src1=1 src2=0
	s_delay_alu instid0(VALU_DEP_1) | instskip(SKIP_3) | instid1(VALU_DEP_1)
	v_dot4_i32_iu8 v5, v27 /*v283*/, v1 /*v257*/, v5 neg_lo:[1,1,0]
	s_set_vgpr_msb 64                       ;  msbs: dst=1 src0=0 src1=0 src2=0
	v_perm_b32 v1 /*v257*/, v27, v26, 0x6050403
	s_set_vgpr_msb 5                        ;  msbs: dst=0 src0=1 src1=1 src2=0
	v_dot4_i32_iu8 v5, v1 /*v257*/, v2 /*v258*/, v5 neg_lo:[1,1,0]
	s_set_vgpr_msb 64                       ;  msbs: dst=1 src0=0 src1=0 src2=0
	v_perm_b32 v2 /*v258*/, v12, v27, 0x6050403
	s_set_vgpr_msb 5                        ;  msbs: dst=0 src0=1 src1=1 src2=0
	s_delay_alu instid0(VALU_DEP_1) | instskip(SKIP_3) | instid1(VALU_DEP_2)
	v_dot4_i32_iu8 v5, v2 /*v258*/, v3 /*v259*/, v5 neg_lo:[1,1,0]
	s_set_vgpr_msb 64                       ;  msbs: dst=1 src0=0 src1=0 src2=0
	v_perm_b32 v3 /*v259*/, v22, v21, 0x5040302
	s_set_vgpr_msb 4                        ;  msbs: dst=0 src0=0 src1=1 src2=0
	v_mad_i32_i24 v5, v154, v23 /*v279*/, v5
	s_set_vgpr_msb 1                        ;  msbs: dst=0 src0=1 src1=0 src2=0
	s_delay_alu instid0(VALU_DEP_1) | instskip(SKIP_1) | instid1(VALU_DEP_1)
	v_dot4_i32_iu8 v5, v12 /*v268*/, v13, v5 neg_lo:[1,1,0]
	s_set_vgpr_msb 0x41                     ;  msbs: dst=1 src0=1 src1=0 src2=0
	v_dot4_i32_iu8 v12 /*v268*/, v13 /*v269*/, v14, v5 neg_lo:[1,1,0]
	s_set_vgpr_msb 5                        ;  msbs: dst=0 src0=1 src1=1 src2=0
	v_mul_i32_i24_e32 v5, v5 /*v261*/, v22 /*v278*/
	s_set_vgpr_msb 64                       ;  msbs: dst=1 src0=0 src1=0 src2=0
	v_perm_b32 v13 /*v269*/, v17, v16, 0x5040302
	s_set_vgpr_msb 5                        ;  msbs: dst=0 src0=1 src1=1 src2=0
	s_delay_alu instid0(VALU_DEP_2)
	v_mad_i32_i24 v5, v4 /*v260*/, v29 /*v285*/, v5
	ds_load_b64 v[8:9], v28 /*v284*/ offset:43584
	s_set_vgpr_msb 64                       ;  msbs: dst=1 src0=0 src1=0 src2=0
	ds_load_b64 v[4:5] /*v[260:261]*/, v4 offset:43584
	s_set_vgpr_msb 5                        ;  msbs: dst=0 src0=1 src1=1 src2=0
	v_dot4_i32_iu8 v5, v6 /*v262*/, v13 /*v269*/, v5 neg_lo:[1,1,0]
	s_delay_alu instid0(VALU_DEP_1) | instskip(NEXT) | instid1(VALU_DEP_1)
	v_dot4_i32_iu8 v5, v7 /*v263*/, v30 /*v286*/, v5 neg_lo:[1,1,0]
	v_dot4_i32_iu8 v5, v8 /*v264*/, v31 /*v287*/, v5 neg_lo:[1,1,0]
	s_set_vgpr_msb 64                       ;  msbs: dst=1 src0=0 src1=0 src2=0
	v_perm_b32 v8 /*v264*/, v20, v19, 0x5040302
	s_wait_dscnt 0x1
	s_set_vgpr_msb 0                        ;  msbs: dst=0 src0=0 src1=0 src2=0
	v_cvt_f32_f16_e32 v4, v8
	s_set_vgpr_msb 5                        ;  msbs: dst=0 src0=1 src1=1 src2=0
	v_dot4_i32_iu8 v5, v9 /*v265*/, v8 /*v264*/, v5 neg_lo:[1,1,0]
	s_set_vgpr_msb 64                       ;  msbs: dst=1 src0=0 src1=0 src2=0
	v_perm_b32 v9 /*v265*/, v21, v20, 0x5040302
	s_wait_dscnt 0x0
	s_set_vgpr_msb 4                        ;  msbs: dst=0 src0=0 src1=1 src2=0
	v_lshrrev_b32_e32 v154, 16, v4 /*v260*/
	s_set_vgpr_msb 1                        ;  msbs: dst=0 src0=1 src1=0 src2=0
	v_lshrrev_b32_e32 v8, 16, v8
	v_cvt_f32_f16_e64 v155, v5 /*v261*/
	s_set_vgpr_msb 0                        ;  msbs: dst=0 src0=0 src1=0 src2=0
	v_perm_b32 v21, v21, v21, 0xc0c0100
	s_set_vgpr_msb 5                        ;  msbs: dst=0 src0=1 src1=1 src2=0
	v_dot4_i32_iu8 v5, v10 /*v266*/, v9 /*v265*/, v5 neg_lo:[1,1,0]
	s_set_vgpr_msb 0                        ;  msbs: dst=0 src0=0 src1=0 src2=0
	v_cvt_f32_f16_e64 v157, v154
	v_cvt_f32_f16_e64 v156, v8
	;; [unrolled: 1-line block ×3, first 2 shown]
	v_lshrrev_b32_e32 v8, 16, v9
	s_set_vgpr_msb 0x45                     ;  msbs: dst=1 src0=1 src1=1 src2=0
	v_dot4_i32_iu8 v10 /*v266*/, v11 /*v267*/, v3 /*v259*/, v5 neg_lo:[1,1,0]
	s_set_vgpr_msb 1                        ;  msbs: dst=0 src0=1 src1=0 src2=0
	v_cvt_f32_f16_e64 v5, v4 /*v260*/
	s_set_vgpr_msb 0x50                     ;  msbs: dst=1 src0=0 src1=0 src2=1
	v_dot4_i32_iu8 v4 /*v260*/, v15, v253, v12 /*v268*/ neg_lo:[1,1,0]
	s_set_vgpr_msb 16                       ;  msbs: dst=0 src0=0 src1=0 src2=1
	v_dot4_i32_iu8 v253, v7, v253, v20 /*v276*/ neg_lo:[1,1,0]
	s_set_vgpr_msb 4                        ;  msbs: dst=0 src0=0 src1=1 src2=0
	v_lshrrev_b32_e32 v9, 16, v5 /*v261*/
	s_set_vgpr_msb 64                       ;  msbs: dst=1 src0=0 src1=0 src2=0
	v_pk_fma_f32 v[6:7] /*v[262:263]*/, v[132:133], v[156:157], 0 op_sel_hi:[0,1,0]
	s_set_vgpr_msb 0                        ;  msbs: dst=0 src0=0 src1=0 src2=0
	v_perm_b32 v132, v131, v10, 0x5040302
	v_perm_b32 v131, v131, v22, 0x5040302
	v_mul_lo_u32 v253, v253, v135
	s_set_vgpr_msb 1                        ;  msbs: dst=0 src0=1 src1=0 src2=0
	v_mul_lo_u32 v135, v4 /*v260*/, v135
	s_set_vgpr_msb 0                        ;  msbs: dst=0 src0=0 src1=0 src2=0
	v_cvt_f32_f16_e32 v9, v9
	v_cvt_f32_f16_e32 v8, v8
	s_set_vgpr_msb 64                       ;  msbs: dst=1 src0=0 src1=0 src2=0
	s_delay_alu instid0(VALU_DEP_4) | instskip(NEXT) | instid1(VALU_DEP_4)
	v_cvt_f32_i32_e32 v4 /*v260*/, v253
	v_cvt_f32_i32_e32 v5 /*v261*/, v135
	s_set_vgpr_msb 0                        ;  msbs: dst=0 src0=0 src1=0 src2=0
	v_perm_b32 v135, v11, v130, 0x5040302
	v_perm_b32 v130, v23, v130, 0x5040302
	v_perm_b32 v253, v23, v23, 0xc0c0302
	s_set_vgpr_msb 0x44                     ;  msbs: dst=1 src0=0 src1=1 src2=0
	v_pk_fma_f32 v[4:5] /*v[260:261]*/, v[4:5], v[4:5] /*v[260:261]*/, 0 op_sel_hi:[1,1,0]
	s_set_vgpr_msb 16                       ;  msbs: dst=0 src0=0 src1=0 src2=1
	v_dot4_i32_iu8 v132, v135, v132, v19 /*v275*/ neg_lo:[1,1,0]
	v_dot4_i32_iu8 v130, v130, v131, v10 /*v266*/ neg_lo:[1,1,0]
	s_set_vgpr_msb 64                       ;  msbs: dst=1 src0=0 src1=0 src2=0
	v_perm_b32 v10 /*v266*/, v11, v11, 0xc0c0302
	s_set_vgpr_msb 0                        ;  msbs: dst=0 src0=0 src1=0 src2=0
	v_pk_fma_f32 v[134:135], v[134:135], v[156:157], 0 op_sel_hi:[0,1,0]
	v_dot4_i32_iu8 v130, v245, v253, v130 neg_lo:[1,1,0]
	s_set_vgpr_msb 4                        ;  msbs: dst=0 src0=0 src1=1 src2=0
	v_dot4_i32_iu8 v131, v245, v10 /*v266*/, v132 neg_lo:[1,1,0]
	s_set_vgpr_msb 0                        ;  msbs: dst=0 src0=0 src1=0 src2=0
	s_delay_alu instid0(VALU_DEP_1) | instskip(SKIP_1) | instid1(VALU_DEP_2)
	v_mul_lo_u32 v132, v131, v127
	v_mul_lo_u32 v127, v130, v127
	v_cvt_f32_i32_e32 v130, v132
	s_delay_alu instid0(VALU_DEP_2)
	v_cvt_f32_i32_e32 v131, v127
	s_set_vgpr_msb 1                        ;  msbs: dst=0 src0=1 src1=0 src2=0
	v_mul_i32_i24_e32 v127, v24 /*v280*/, v151
	s_set_vgpr_msb 0                        ;  msbs: dst=0 src0=0 src1=0 src2=0
	v_perm_b32 v132, v23, v22, 0x5040302
	v_pk_fma_f32 v[22:23], v[152:153], v[8:9], v[134:135] op_sel_hi:[0,1,1]
	s_set_vgpr_msb 16                       ;  msbs: dst=0 src0=0 src1=0 src2=1
	v_pk_fma_f32 v[130:131], v[154:155], v[130:131], v[4:5] /*v[260:261]*/
	s_set_vgpr_msb 1                        ;  msbs: dst=0 src0=1 src1=0 src2=0
	v_dot4_i32_iu8 v127, v25 /*v281*/, v153, v127 neg_lo:[1,1,0]
	s_set_vgpr_msb 0x50                     ;  msbs: dst=1 src0=0 src1=0 src2=1
	v_pk_fma_f32 v[4:5] /*v[260:261]*/, v[128:129], v[8:9], v[6:7] /*v[262:263]*/ op_sel_hi:[0,1,1]
	s_set_vgpr_msb 1                        ;  msbs: dst=0 src0=1 src1=0 src2=0
	v_mul_i32_i24_e32 v128, v22 /*v278*/, v166
	s_set_vgpr_msb 0                        ;  msbs: dst=0 src0=0 src1=0 src2=0
	v_pk_mul_f32 v[22:23], v[22:23], v[120:121]
	s_set_vgpr_msb 1                        ;  msbs: dst=0 src0=1 src1=0 src2=0
	v_dot4_i32_iu8 v127, v26 /*v282*/, v160, v127 neg_lo:[1,1,0]
	s_set_vgpr_msb 0x41                     ;  msbs: dst=1 src0=1 src1=0 src2=0
	v_pk_mul_f32 v[4:5] /*v[260:261]*/, v[4:5] /*v[260:261]*/, v[118:119]
	s_set_vgpr_msb 1                        ;  msbs: dst=0 src0=1 src1=0 src2=0
	v_mad_i32_i24 v128, v29 /*v285*/, v167, v128
	v_dot4_i32_iu8 v127, v27 /*v283*/, v162, v127 neg_lo:[1,1,0]
	s_set_vgpr_msb 16                       ;  msbs: dst=0 src0=0 src1=0 src2=1
	v_pk_fma_f32 v[130:131], v[130:131], v[110:111], v[4:5] /*v[260:261]*/ neg_lo:[0,0,1] neg_hi:[0,0,1]
	s_set_vgpr_msb 1                        ;  msbs: dst=0 src0=1 src1=0 src2=0
	v_dot4_i32_iu8 v128, v13 /*v269*/, v168, v128 neg_lo:[1,1,0]
	v_dot4_i32_iu8 v127, v1 /*v257*/, v163, v127 neg_lo:[1,1,0]
	s_set_vgpr_msb 0                        ;  msbs: dst=0 src0=0 src1=0 src2=0
	v_pk_add_f32 v[72:73], v[72:73], v[130:131]
	s_set_vgpr_msb 1                        ;  msbs: dst=0 src0=1 src1=0 src2=0
	v_dot4_i32_iu8 v128, v30 /*v286*/, v239, v128 neg_lo:[1,1,0]
	s_set_vgpr_msb 20                       ;  msbs: dst=0 src0=0 src1=1 src2=1
	v_dot4_i32_iu8 v130, v7, v0 /*v256*/, v18 /*v274*/ neg_lo:[1,1,0]
	s_set_vgpr_msb 1                        ;  msbs: dst=0 src0=1 src1=0 src2=0
	v_dot4_i32_iu8 v127, v2 /*v258*/, v164, v127 neg_lo:[1,1,0]
	v_dot4_i32_iu8 v128, v31 /*v287*/, v240, v128 neg_lo:[1,1,0]
	s_set_vgpr_msb 0                        ;  msbs: dst=0 src0=0 src1=0 src2=0
	v_mul_lo_u32 v130, v130, v165
	s_set_vgpr_msb 4                        ;  msbs: dst=0 src0=0 src1=1 src2=0
	v_mad_i32_i24 v127, v158, v23 /*v279*/, v127
	s_set_vgpr_msb 1                        ;  msbs: dst=0 src0=1 src1=0 src2=0
	v_dot4_i32_iu8 v128, v8 /*v264*/, v241, v128 neg_lo:[1,1,0]
	s_set_vgpr_msb 0                        ;  msbs: dst=0 src0=0 src1=0 src2=0
	s_delay_alu instid0(VALU_DEP_2) | instskip(SKIP_1) | instid1(VALU_DEP_2)
	v_dot4_i32_iu8 v127, v254, v13, v127 neg_lo:[1,1,0]
	s_set_vgpr_msb 1                        ;  msbs: dst=0 src0=1 src1=0 src2=0
	v_dot4_i32_iu8 v128, v9 /*v265*/, v242, v128 neg_lo:[1,1,0]
	s_set_vgpr_msb 0                        ;  msbs: dst=0 src0=0 src1=0 src2=0
	v_cvt_f32_i32_e32 v130, v130
	v_dot4_i32_iu8 v127, v255, v14, v127 neg_lo:[1,1,0]
	s_set_vgpr_msb 1                        ;  msbs: dst=0 src0=1 src1=0 src2=0
	v_dot4_i32_iu8 v128, v3 /*v259*/, v243, v128 neg_lo:[1,1,0]
	s_set_vgpr_msb 4                        ;  msbs: dst=0 src0=0 src1=1 src2=0
	s_delay_alu instid0(VALU_DEP_2) | instskip(SKIP_1) | instid1(VALU_DEP_1)
	v_dot4_i32_iu8 v127, v15, v0 /*v256*/, v127 neg_lo:[1,1,0]
	s_set_vgpr_msb 0                        ;  msbs: dst=0 src0=0 src1=0 src2=0
	v_mul_lo_u32 v127, v127, v165
	s_delay_alu instid0(VALU_DEP_1) | instskip(SKIP_2) | instid1(VALU_DEP_3)
	v_cvt_f32_i32_e32 v131, v127
	v_perm_b32 v127, v11, v10, 0x5040302
	v_dot4_i32_iu8 v11, v132, v244, v128 neg_lo:[1,1,0]
	v_pk_fma_f32 v[130:131], v[4:5], v[130:131], 0 op_sel_hi:[1,1,0]
	s_set_vgpr_msb 16                       ;  msbs: dst=0 src0=0 src1=0 src2=1
	s_delay_alu instid0(VALU_DEP_3)
	v_dot4_i32_iu8 v10, v127, v244, v17 /*v273*/ neg_lo:[1,1,0]
	s_set_vgpr_msb 0                        ;  msbs: dst=0 src0=0 src1=0 src2=0
	v_dot4_i32_iu8 v11, v246, v253, v11 neg_lo:[1,1,0]
	v_dot4_i32_iu8 v6, v127, v3, v6 neg_lo:[1,1,0]
	s_set_vgpr_msb 4                        ;  msbs: dst=0 src0=0 src1=1 src2=0
	v_dot4_i32_iu8 v10, v246, v10 /*v266*/, v10 neg_lo:[1,1,0]
	s_set_vgpr_msb 0                        ;  msbs: dst=0 src0=0 src1=0 src2=0
	v_mul_lo_u32 v11, v11, v229
	s_delay_alu instid0(VALU_DEP_2) | instskip(NEXT) | instid1(VALU_DEP_2)
	v_mul_lo_u32 v10, v10, v229
	v_cvt_f32_i32_e32 v11, v11
	s_delay_alu instid0(VALU_DEP_2) | instskip(NEXT) | instid1(VALU_DEP_1)
	v_cvt_f32_i32_e32 v10, v10
	v_pk_fma_f32 v[10:11], v[154:155], v[10:11], v[130:131]
	s_delay_alu instid0(VALU_DEP_1) | instskip(SKIP_2) | instid1(VALU_DEP_2)
	v_pk_fma_f32 v[10:11], v[10:11], v[112:113], v[22:23] neg_lo:[0,0,1] neg_hi:[0,0,1]
	s_set_vgpr_msb 16                       ;  msbs: dst=0 src0=0 src1=0 src2=1
	v_dot4_i32_iu8 v23, v127, v230, v15 /*v271*/ neg_lo:[1,1,0]
	v_pk_add_f32 v[80:81], v[80:81], v[10:11]
	v_dot4_i32_iu8 v10, v24, v146, 0 neg_lo:[1,1,0]
	s_set_vgpr_msb 1                        ;  msbs: dst=0 src0=1 src1=0 src2=0
	v_mul_i32_i24_e32 v11, v22 /*v278*/, v228
	s_set_vgpr_msb 0                        ;  msbs: dst=0 src0=0 src1=0 src2=0
	v_perm_b32 v24, v17, v16, 0x6050403
	s_set_vgpr_msb 4                        ;  msbs: dst=0 src0=0 src1=1 src2=0
	v_dot4_i32_iu8 v23, v231, v10 /*v266*/, v23 neg_lo:[1,1,0]
	s_set_vgpr_msb 0                        ;  msbs: dst=0 src0=0 src1=0 src2=0
	v_dot4_i32_iu8 v10, v25, v147, v10 neg_lo:[1,1,0]
	v_perm_b32 v25, v18, v17, 0x6050403
	v_perm_b32 v18, v19, v18, 0x6050403
	;; [unrolled: 1-line block ×3, first 2 shown]
	s_delay_alu instid0(VALU_DEP_4) | instskip(SKIP_1) | instid1(VALU_DEP_2)
	v_dot4_i32_iu8 v10, v26, v144, v10 neg_lo:[1,1,0]
	v_mul_lo_u32 v26, v23, v172
	v_dot4_i32_iu8 v10, v27, v145, v10 neg_lo:[1,1,0]
	s_delay_alu instid0(VALU_DEP_1) | instskip(SKIP_2) | instid1(VALU_DEP_3)
	v_dot4_i32_iu8 v10, v12, v142, v10 neg_lo:[1,1,0]
	v_perm_b32 v12, v16, v16, 0xc0c0201
	v_perm_b32 v16, v20, v141, 0x6050403
	v_dot4_i32_iu8 v10, v13, v143, v10 neg_lo:[1,1,0]
	s_delay_alu instid0(VALU_DEP_3) | instskip(NEXT) | instid1(VALU_DEP_2)
	v_dot4_i32_iu8 v11, v12, v247, v11 neg_lo:[1,1,0]
	v_dot4_i32_iu8 v10, v14, v138, v10 neg_lo:[1,1,0]
	s_delay_alu instid0(VALU_DEP_2) | instskip(NEXT) | instid1(VALU_DEP_2)
	v_dot4_i32_iu8 v11, v24, v248, v11 neg_lo:[1,1,0]
	v_dot4_i32_iu8 v10, v15, v139, v10 neg_lo:[1,1,0]
	s_delay_alu instid0(VALU_DEP_2) | instskip(NEXT) | instid1(VALU_DEP_2)
	v_dot4_i32_iu8 v11, v25, v249, v11 neg_lo:[1,1,0]
	v_mul_lo_u32 v10, v10, v225
	s_delay_alu instid0(VALU_DEP_2) | instskip(NEXT) | instid1(VALU_DEP_1)
	v_dot4_i32_iu8 v11, v18, v250, v11 neg_lo:[1,1,0]
	v_dot4_i32_iu8 v11, v17, v16, v11 neg_lo:[1,1,0]
	s_set_vgpr_msb 4                        ;  msbs: dst=0 src0=0 src1=1 src2=0
	s_delay_alu instid0(VALU_DEP_1) | instskip(SKIP_1) | instid1(VALU_DEP_1)
	v_mad_i32_i24 v11, v227, v21 /*v277*/, v11
	s_set_vgpr_msb 0                        ;  msbs: dst=0 src0=0 src1=0 src2=0
	v_dot4_i32_iu8 v11, v251, v21, v11 neg_lo:[1,1,0]
	s_set_vgpr_msb 4                        ;  msbs: dst=0 src0=0 src1=1 src2=0
	s_delay_alu instid0(VALU_DEP_1) | instskip(SKIP_3) | instid1(VALU_DEP_2)
	v_dot4_i32_iu8 v22, v252, v3 /*v259*/, v11 neg_lo:[1,1,0]
	s_set_vgpr_msb 16                       ;  msbs: dst=0 src0=0 src1=0 src2=1
	v_dot4_i32_iu8 v11, v7, v139, v16 /*v272*/ neg_lo:[1,1,0]
	s_set_vgpr_msb 0                        ;  msbs: dst=0 src0=0 src1=0 src2=0
	v_dot4_i32_iu8 v22, v132, v230, v22 neg_lo:[1,1,0]
	s_delay_alu instid0(VALU_DEP_2) | instskip(SKIP_1) | instid1(VALU_DEP_3)
	v_mul_lo_u32 v16, v11, v225
	v_cvt_f32_i32_e32 v11, v10
	v_dot4_i32_iu8 v22, v231, v253, v22 neg_lo:[1,1,0]
	s_delay_alu instid0(VALU_DEP_1) | instskip(NEXT) | instid1(VALU_DEP_4)
	v_mul_lo_u32 v22, v22, v172
	v_cvt_f32_i32_e32 v10, v16
	v_pk_fma_f32 v[16:17], v[148:149], v[156:157], 0 op_sel_hi:[0,1,0]
	s_delay_alu instid0(VALU_DEP_2) | instskip(NEXT) | instid1(VALU_DEP_2)
	v_pk_fma_f32 v[10:11], v[4:5], v[10:11], 0 op_sel_hi:[1,1,0]
	v_pk_fma_f32 v[16:17], v[150:151], v[8:9], v[16:17] op_sel_hi:[0,1,1]
	v_cvt_f32_i32_e32 v23, v22
	v_cvt_f32_i32_e32 v22, v26
	s_delay_alu instid0(VALU_DEP_3) | instskip(NEXT) | instid1(VALU_DEP_2)
	v_pk_mul_f32 v[16:17], v[16:17], v[122:123]
	v_pk_fma_f32 v[10:11], v[154:155], v[22:23], v[10:11]
	s_delay_alu instid0(VALU_DEP_1) | instskip(NEXT) | instid1(VALU_DEP_1)
	v_pk_fma_f32 v[10:11], v[10:11], v[114:115], v[16:17] neg_lo:[0,0,1] neg_hi:[0,0,1]
	v_pk_add_f32 v[86:87], v[86:87], v[10:11]
	s_set_vgpr_msb 1                        ;  msbs: dst=0 src0=1 src1=0 src2=0
	v_mul_i32_i24_e32 v10, v24 /*v280*/, v169
	v_mul_i32_i24_e32 v11, v22 /*v278*/, v224
	s_delay_alu instid0(VALU_DEP_2) | instskip(SKIP_1) | instid1(VALU_DEP_2)
	v_dot4_i32_iu8 v10, v25 /*v281*/, v170, v10 neg_lo:[1,1,0]
	s_set_vgpr_msb 0                        ;  msbs: dst=0 src0=0 src1=0 src2=0
	v_dot4_i32_iu8 v11, v12, v234, v11 neg_lo:[1,1,0]
	s_set_vgpr_msb 1                        ;  msbs: dst=0 src0=1 src1=0 src2=0
	s_delay_alu instid0(VALU_DEP_2) | instskip(SKIP_1) | instid1(VALU_DEP_2)
	v_dot4_i32_iu8 v10, v26 /*v282*/, v173, v10 neg_lo:[1,1,0]
	s_set_vgpr_msb 0                        ;  msbs: dst=0 src0=0 src1=0 src2=0
	v_dot4_i32_iu8 v0, v24, v0, v11 neg_lo:[1,1,0]
	s_set_vgpr_msb 1                        ;  msbs: dst=0 src0=1 src1=0 src2=0
	s_delay_alu instid0(VALU_DEP_2) | instskip(SKIP_1) | instid1(VALU_DEP_2)
	v_dot4_i32_iu8 v10, v27 /*v283*/, v174, v10 neg_lo:[1,1,0]
	s_set_vgpr_msb 0                        ;  msbs: dst=0 src0=0 src1=0 src2=0
	v_dot4_i32_iu8 v0, v25, v1, v0 neg_lo:[1,1,0]
	v_perm_b32 v1, v20, v19, 0x6050403
	s_set_vgpr_msb 1                        ;  msbs: dst=0 src0=1 src1=0 src2=0
	v_dot4_i32_iu8 v10, v1 /*v257*/, v221, v10 neg_lo:[1,1,0]
	s_set_vgpr_msb 0                        ;  msbs: dst=0 src0=0 src1=0 src2=0
	v_dot4_i32_iu8 v0, v18, v2, v0 neg_lo:[1,1,0]
	s_set_vgpr_msb 1                        ;  msbs: dst=0 src0=1 src1=0 src2=0
	s_delay_alu instid0(VALU_DEP_2) | instskip(SKIP_1) | instid1(VALU_DEP_2)
	v_dot4_i32_iu8 v10, v2 /*v258*/, v222, v10 neg_lo:[1,1,0]
	s_set_vgpr_msb 0                        ;  msbs: dst=0 src0=0 src1=0 src2=0
	v_dot4_i32_iu8 v0, v235, v1, v0 neg_lo:[1,1,0]
	s_set_vgpr_msb 16                       ;  msbs: dst=0 src0=0 src1=0 src2=1
	v_dot4_i32_iu8 v1, v7, v238, v14 /*v270*/ neg_lo:[1,1,0]
	s_set_vgpr_msb 4                        ;  msbs: dst=0 src0=0 src1=1 src2=0
	v_mad_i32_i24 v10, v171, v23 /*v279*/, v10
	v_mad_i32_i24 v0, v223, v21 /*v277*/, v0
	s_set_vgpr_msb 0                        ;  msbs: dst=0 src0=0 src1=0 src2=0
	v_mul_lo_u32 v7, v1, v175
	s_delay_alu instid0(VALU_DEP_3) | instskip(NEXT) | instid1(VALU_DEP_3)
	v_dot4_i32_iu8 v10, v232, v13, v10 neg_lo:[1,1,0]
	v_dot4_i32_iu8 v0, v236, v21, v0 neg_lo:[1,1,0]
	s_delay_alu instid0(VALU_DEP_2) | instskip(SKIP_1) | instid1(VALU_DEP_2)
	v_dot4_i32_iu8 v10, v233, v14, v10 neg_lo:[1,1,0]
	s_set_vgpr_msb 4                        ;  msbs: dst=0 src0=0 src1=1 src2=0
	v_dot4_i32_iu8 v2, v237, v3 /*v259*/, v0 neg_lo:[1,1,0]
	s_set_vgpr_msb 0                        ;  msbs: dst=0 src0=0 src1=0 src2=0
	s_delay_alu instid0(VALU_DEP_2) | instskip(NEXT) | instid1(VALU_DEP_2)
	v_dot4_i32_iu8 v0, v15, v238, v10 neg_lo:[1,1,0]
	v_dot4_i32_iu8 v2, v132, v3, v2 neg_lo:[1,1,0]
	s_set_vgpr_msb 4                        ;  msbs: dst=0 src0=0 src1=1 src2=0
	v_dot4_i32_iu8 v3, v140, v10 /*v266*/, v6 neg_lo:[1,1,0]
	s_set_vgpr_msb 0                        ;  msbs: dst=0 src0=0 src1=0 src2=0
	v_mul_lo_u32 v0, v0, v175
	v_dot4_i32_iu8 v2, v140, v253, v2 neg_lo:[1,1,0]
	s_delay_alu instid0(VALU_DEP_3) | instskip(NEXT) | instid1(VALU_DEP_2)
	v_mul_lo_u32 v6, v3, v129
	v_mul_lo_u32 v2, v2, v129
	s_delay_alu instid0(VALU_DEP_4) | instskip(SKIP_1) | instid1(VALU_DEP_1)
	v_cvt_f32_i32_e32 v1, v0
	v_cvt_f32_i32_e32 v0, v7
	v_pk_fma_f32 v[0:1], v[4:5], v[0:1], 0 op_sel_hi:[1,1,0]
	v_pk_fma_f32 v[4:5], v[136:137], v[156:157], 0 op_sel_hi:[0,1,0]
	v_cvt_f32_i32_e32 v3, v2
	v_cvt_f32_i32_e32 v2, v6
	s_delay_alu instid0(VALU_DEP_1) | instskip(NEXT) | instid1(VALU_DEP_4)
	v_pk_fma_f32 v[0:1], v[154:155], v[2:3], v[0:1]
	v_pk_fma_f32 v[2:3], v[126:127], v[8:9], v[4:5] op_sel_hi:[0,1,1]
	s_delay_alu instid0(VALU_DEP_1) | instskip(NEXT) | instid1(VALU_DEP_1)
	v_pk_mul_f32 v[2:3], v[2:3], v[124:125]
	v_pk_fma_f32 v[0:1], v[0:1], v[116:117], v[2:3] neg_lo:[0,0,1] neg_hi:[0,0,1]
	s_delay_alu instid0(VALU_DEP_1)
	v_pk_add_f32 v[96:97], v[96:97], v[0:1]
	s_cbranch_scc1 .LBB154_8
; %bb.9:                                ;   in Loop: Header=BB154_5 Depth=1
	s_add_co_i32 s2, s2, 1
	s_delay_alu instid0(SALU_CYCLE_1)
	s_cmp_eq_u32 s2, s17
	s_barrier_signal -1
	s_barrier_wait -1
	s_cbranch_scc0 .LBB154_5
; %bb.10:
	v_cvt_pk_f16_f32 v20, v88, v89
	v_cvt_pk_f16_f32 v19, v98, v99
	;; [unrolled: 1-line block ×16, first 2 shown]
	v_dual_mov_b32 v4, v33 :: v_dual_mov_b32 v7, v39
.LBB154_11:
	s_wait_xcnt 0x0
	s_mov_b32 s0, exec_lo
	v_cmpx_gt_u32_e64 s6, v41
	s_cbranch_execz .LBB154_62
; %bb.12:
	v_mul_lo_u32 v21, v41, s14
	v_add_nc_u32_e32 v0, s16, v7
	s_delay_alu instid0(VALU_DEP_1)
	v_cmp_gt_u32_e32 vcc_lo, s14, v0
	s_and_saveexec_b32 s0, vcc_lo
	s_cbranch_execz .LBB154_14
; %bb.13:
	s_delay_alu instid0(VALU_DEP_3)
	v_add_nc_u32_e32 v7, v0, v21
	s_wait_kmcnt 0x0
	global_store_b16 v7, v20, s[12:13] scale_offset
.LBB154_14:
	s_wait_xcnt 0x0
	s_or_b32 exec_lo, exec_lo, s0
	v_add_nc_u32_e32 v7, 32, v0
	s_delay_alu instid0(VALU_DEP_1)
	v_cmp_gt_u32_e64 s0, s14, v7
	s_and_saveexec_b32 s1, s0
	s_cbranch_execz .LBB154_16
; %bb.15:
	v_add_nc_u32_e32 v9, v7, v21
	s_wait_kmcnt 0x0
	global_store_b16 v9, v19, s[12:13] scale_offset
.LBB154_16:
	s_wait_xcnt 0x0
	s_or_b32 exec_lo, exec_lo, s1
	v_add_nc_u32_e32 v9, 64, v0
	s_delay_alu instid0(VALU_DEP_1)
	v_cmp_gt_u32_e64 s1, s14, v9
	s_and_saveexec_b32 s2, s1
	s_cbranch_execz .LBB154_18
; %bb.17:
	v_add_nc_u32_e32 v10, v9, v21
	s_wait_kmcnt 0x0
	global_store_b16 v10, v18, s[12:13] scale_offset
.LBB154_18:
	;; [unrolled: 12-line block ×3, first 2 shown]
	s_wait_xcnt 0x0
	s_or_b32 exec_lo, exec_lo, s3
	v_add3_u32 v21, v4, s15, 8
	s_delay_alu instid0(VALU_DEP_1)
	v_cmp_gt_u32_e64 s3, s6, v21
	s_and_b32 exec_lo, exec_lo, s3
	s_cbranch_execz .LBB154_62
; %bb.21:
	v_mul_lo_u32 v21, v21, s14
	s_and_saveexec_b32 s3, vcc_lo
	s_cbranch_execnz .LBB154_63
; %bb.22:
	s_or_b32 exec_lo, exec_lo, s3
	s_and_saveexec_b32 s3, s0
	s_cbranch_execnz .LBB154_64
.LBB154_23:
	s_or_b32 exec_lo, exec_lo, s3
	s_and_saveexec_b32 s3, s1
	s_cbranch_execnz .LBB154_65
.LBB154_24:
	s_or_b32 exec_lo, exec_lo, s3
	s_and_saveexec_b32 s3, s2
	s_cbranch_execz .LBB154_26
.LBB154_25:
	v_add_nc_u32_e32 v18, v21, v10
	s_wait_kmcnt 0x0
	global_store_d16_hi_b16 v18, v17, s[12:13] scale_offset
.LBB154_26:
	s_wait_xcnt 0x0
	s_or_b32 exec_lo, exec_lo, s3
	v_add3_u32 v17, v4, s15, 16
	s_delay_alu instid0(VALU_DEP_1)
	v_cmp_gt_u32_e64 s3, s6, v17
	s_and_b32 exec_lo, exec_lo, s3
	s_cbranch_execz .LBB154_62
; %bb.27:
	v_mul_lo_u32 v17, v17, s14
	s_and_saveexec_b32 s3, vcc_lo
	s_cbranch_execnz .LBB154_66
; %bb.28:
	s_or_b32 exec_lo, exec_lo, s3
	s_and_saveexec_b32 s3, s0
	s_cbranch_execnz .LBB154_67
.LBB154_29:
	s_or_b32 exec_lo, exec_lo, s3
	s_and_saveexec_b32 s3, s1
	s_cbranch_execnz .LBB154_68
.LBB154_30:
	s_or_b32 exec_lo, exec_lo, s3
	s_and_saveexec_b32 s3, s2
	s_cbranch_execz .LBB154_32
.LBB154_31:
	v_add_nc_u32_e32 v17, v17, v10
	s_wait_kmcnt 0x0
	global_store_b16 v17, v13, s[12:13] scale_offset
.LBB154_32:
	s_wait_xcnt 0x0
	s_or_b32 exec_lo, exec_lo, s3
	v_add3_u32 v17, v4, s15, 24
	s_delay_alu instid0(VALU_DEP_1)
	v_cmp_gt_u32_e64 s3, s6, v17
	s_and_b32 exec_lo, exec_lo, s3
	s_cbranch_execz .LBB154_62
; %bb.33:
	v_mul_lo_u32 v17, v17, s14
	s_and_saveexec_b32 s3, vcc_lo
	s_cbranch_execnz .LBB154_69
; %bb.34:
	s_or_b32 exec_lo, exec_lo, s3
	s_and_saveexec_b32 s3, s0
	s_cbranch_execnz .LBB154_70
.LBB154_35:
	s_or_b32 exec_lo, exec_lo, s3
	s_and_saveexec_b32 s3, s1
	s_cbranch_execnz .LBB154_71
.LBB154_36:
	s_or_b32 exec_lo, exec_lo, s3
	s_and_saveexec_b32 s3, s2
	s_cbranch_execz .LBB154_38
.LBB154_37:
	v_add_nc_u32_e32 v14, v17, v10
	s_wait_kmcnt 0x0
	global_store_d16_hi_b16 v14, v13, s[12:13] scale_offset
.LBB154_38:
	s_wait_xcnt 0x0
	s_or_b32 exec_lo, exec_lo, s3
	v_add3_u32 v13, v4, s15, 32
	s_delay_alu instid0(VALU_DEP_1)
	v_cmp_gt_u32_e64 s3, s6, v13
	s_and_b32 exec_lo, exec_lo, s3
	s_cbranch_execz .LBB154_62
; %bb.39:
	v_mul_lo_u32 v13, v13, s14
	s_and_saveexec_b32 s3, vcc_lo
	s_cbranch_execnz .LBB154_72
; %bb.40:
	s_or_b32 exec_lo, exec_lo, s3
	s_and_saveexec_b32 s3, s0
	s_cbranch_execnz .LBB154_73
.LBB154_41:
	s_or_b32 exec_lo, exec_lo, s3
	s_and_saveexec_b32 s3, s1
	s_cbranch_execnz .LBB154_74
.LBB154_42:
	s_or_b32 exec_lo, exec_lo, s3
	s_and_saveexec_b32 s3, s2
	s_cbranch_execz .LBB154_44
.LBB154_43:
	v_add_nc_u32_e32 v13, v13, v10
	s_wait_kmcnt 0x0
	global_store_b16 v13, v6, s[12:13] scale_offset
.LBB154_44:
	s_wait_xcnt 0x0
	s_or_b32 exec_lo, exec_lo, s3
	v_add3_u32 v13, v4, s15, 40
	s_delay_alu instid0(VALU_DEP_1)
	v_cmp_gt_u32_e64 s3, s6, v13
	s_and_b32 exec_lo, exec_lo, s3
	s_cbranch_execz .LBB154_62
; %bb.45:
	v_mul_lo_u32 v13, v13, s14
	s_and_saveexec_b32 s3, vcc_lo
	s_cbranch_execnz .LBB154_75
; %bb.46:
	s_or_b32 exec_lo, exec_lo, s3
	s_and_saveexec_b32 s3, s0
	s_cbranch_execnz .LBB154_76
.LBB154_47:
	s_or_b32 exec_lo, exec_lo, s3
	s_and_saveexec_b32 s3, s1
	s_cbranch_execnz .LBB154_77
.LBB154_48:
	s_or_b32 exec_lo, exec_lo, s3
	s_and_saveexec_b32 s3, s2
	s_cbranch_execz .LBB154_50
.LBB154_49:
	v_add_nc_u32_e32 v8, v13, v10
	s_wait_kmcnt 0x0
	global_store_d16_hi_b16 v8, v6, s[12:13] scale_offset
.LBB154_50:
	s_wait_xcnt 0x0
	s_or_b32 exec_lo, exec_lo, s3
	v_add3_u32 v6, v4, s15, 48
	s_delay_alu instid0(VALU_DEP_1)
	v_cmp_gt_u32_e64 s3, s6, v6
	s_and_b32 exec_lo, exec_lo, s3
	s_cbranch_execz .LBB154_62
; %bb.51:
	v_mul_lo_u32 v6, v6, s14
	s_and_saveexec_b32 s3, vcc_lo
	s_cbranch_execnz .LBB154_78
; %bb.52:
	s_or_b32 exec_lo, exec_lo, s3
	s_and_saveexec_b32 s3, s0
	s_cbranch_execnz .LBB154_79
.LBB154_53:
	s_or_b32 exec_lo, exec_lo, s3
	s_and_saveexec_b32 s3, s1
	s_cbranch_execnz .LBB154_80
.LBB154_54:
	s_or_b32 exec_lo, exec_lo, s3
	s_and_saveexec_b32 s3, s2
	s_cbranch_execz .LBB154_56
.LBB154_55:
	v_add_nc_u32_e32 v6, v6, v10
	s_wait_kmcnt 0x0
	global_store_b16 v6, v1, s[12:13] scale_offset
.LBB154_56:
	s_wait_xcnt 0x0
	s_or_b32 exec_lo, exec_lo, s3
	v_add3_u32 v4, v4, s15, 56
	s_delay_alu instid0(VALU_DEP_1)
	v_cmp_gt_u32_e64 s3, s6, v4
	s_and_b32 exec_lo, exec_lo, s3
	s_cbranch_execz .LBB154_62
; %bb.57:
	v_mul_lo_u32 v4, v4, s14
	s_and_saveexec_b32 s3, vcc_lo
	s_cbranch_execnz .LBB154_81
; %bb.58:
	s_or_b32 exec_lo, exec_lo, s3
	s_and_saveexec_b32 s3, s0
	s_cbranch_execnz .LBB154_82
.LBB154_59:
	s_or_b32 exec_lo, exec_lo, s3
	s_and_saveexec_b32 s0, s1
	s_cbranch_execnz .LBB154_83
.LBB154_60:
	s_or_b32 exec_lo, exec_lo, s0
	s_delay_alu instid0(SALU_CYCLE_1)
	s_and_b32 exec_lo, exec_lo, s2
	s_cbranch_execz .LBB154_62
.LBB154_61:
	v_add_nc_u32_e32 v0, v4, v10
	s_wait_kmcnt 0x0
	global_store_d16_hi_b16 v0, v1, s[12:13] scale_offset
.LBB154_62:
	s_sendmsg sendmsg(MSG_DEALLOC_VGPRS)
	s_endpgm
.LBB154_63:
	s_delay_alu instid0(VALU_DEP_1)
	v_add_nc_u32_e32 v22, v21, v0
	s_wait_kmcnt 0x0
	global_store_d16_hi_b16 v22, v20, s[12:13] scale_offset
	s_wait_xcnt 0x0
	s_or_b32 exec_lo, exec_lo, s3
	s_and_saveexec_b32 s3, s0
	s_cbranch_execz .LBB154_23
.LBB154_64:
	s_delay_alu instid0(VALU_DEP_1)
	v_add_nc_u32_e32 v20, v21, v7
	s_wait_kmcnt 0x0
	global_store_d16_hi_b16 v20, v19, s[12:13] scale_offset
	s_wait_xcnt 0x0
	s_or_b32 exec_lo, exec_lo, s3
	s_and_saveexec_b32 s3, s1
	s_cbranch_execz .LBB154_24
.LBB154_65:
	s_delay_alu instid0(VALU_DEP_1)
	v_add_nc_u32_e32 v19, v21, v9
	s_wait_kmcnt 0x0
	global_store_d16_hi_b16 v19, v18, s[12:13] scale_offset
	s_wait_xcnt 0x0
	s_or_b32 exec_lo, exec_lo, s3
	s_and_saveexec_b32 s3, s2
	s_cbranch_execnz .LBB154_25
	s_branch .LBB154_26
.LBB154_66:
	s_delay_alu instid0(VALU_DEP_1)
	v_add_nc_u32_e32 v18, v17, v0
	s_wait_kmcnt 0x0
	global_store_b16 v18, v16, s[12:13] scale_offset
	s_wait_xcnt 0x0
	s_or_b32 exec_lo, exec_lo, s3
	s_and_saveexec_b32 s3, s0
	s_cbranch_execz .LBB154_29
.LBB154_67:
	s_delay_alu instid0(VALU_DEP_1)
	v_add_nc_u32_e32 v18, v17, v7
	s_wait_kmcnt 0x0
	global_store_b16 v18, v15, s[12:13] scale_offset
	s_wait_xcnt 0x0
	s_or_b32 exec_lo, exec_lo, s3
	s_and_saveexec_b32 s3, s1
	s_cbranch_execz .LBB154_30
.LBB154_68:
	s_delay_alu instid0(VALU_DEP_1)
	v_add_nc_u32_e32 v18, v17, v9
	s_wait_kmcnt 0x0
	global_store_b16 v18, v14, s[12:13] scale_offset
	s_wait_xcnt 0x0
	s_or_b32 exec_lo, exec_lo, s3
	s_and_saveexec_b32 s3, s2
	s_cbranch_execnz .LBB154_31
	s_branch .LBB154_32
.LBB154_69:
	s_delay_alu instid0(VALU_DEP_1)
	v_add_nc_u32_e32 v18, v17, v0
	s_wait_kmcnt 0x0
	global_store_d16_hi_b16 v18, v16, s[12:13] scale_offset
	s_wait_xcnt 0x0
	s_or_b32 exec_lo, exec_lo, s3
	s_and_saveexec_b32 s3, s0
	s_cbranch_execz .LBB154_35
.LBB154_70:
	s_delay_alu instid0(VALU_DEP_1)
	v_add_nc_u32_e32 v16, v17, v7
	s_wait_kmcnt 0x0
	global_store_d16_hi_b16 v16, v15, s[12:13] scale_offset
	s_wait_xcnt 0x0
	s_or_b32 exec_lo, exec_lo, s3
	s_and_saveexec_b32 s3, s1
	s_cbranch_execz .LBB154_36
.LBB154_71:
	s_delay_alu instid0(VALU_DEP_1)
	v_add_nc_u32_e32 v15, v17, v9
	s_wait_kmcnt 0x0
	global_store_d16_hi_b16 v15, v14, s[12:13] scale_offset
	s_wait_xcnt 0x0
	s_or_b32 exec_lo, exec_lo, s3
	s_and_saveexec_b32 s3, s2
	s_cbranch_execnz .LBB154_37
	s_branch .LBB154_38
.LBB154_72:
	s_delay_alu instid0(VALU_DEP_1)
	v_add_nc_u32_e32 v14, v13, v0
	s_wait_kmcnt 0x0
	global_store_b16 v14, v12, s[12:13] scale_offset
	s_wait_xcnt 0x0
	s_or_b32 exec_lo, exec_lo, s3
	s_and_saveexec_b32 s3, s0
	s_cbranch_execz .LBB154_41
.LBB154_73:
	s_delay_alu instid0(VALU_DEP_1)
	v_add_nc_u32_e32 v14, v13, v7
	s_wait_kmcnt 0x0
	global_store_b16 v14, v11, s[12:13] scale_offset
	s_wait_xcnt 0x0
	s_or_b32 exec_lo, exec_lo, s3
	s_and_saveexec_b32 s3, s1
	s_cbranch_execz .LBB154_42
.LBB154_74:
	s_delay_alu instid0(VALU_DEP_1)
	v_add_nc_u32_e32 v14, v13, v9
	s_wait_kmcnt 0x0
	global_store_b16 v14, v8, s[12:13] scale_offset
	s_wait_xcnt 0x0
	s_or_b32 exec_lo, exec_lo, s3
	s_and_saveexec_b32 s3, s2
	s_cbranch_execnz .LBB154_43
	s_branch .LBB154_44
.LBB154_75:
	s_delay_alu instid0(VALU_DEP_1)
	v_add_nc_u32_e32 v14, v13, v0
	s_wait_kmcnt 0x0
	global_store_d16_hi_b16 v14, v12, s[12:13] scale_offset
	s_wait_xcnt 0x0
	s_or_b32 exec_lo, exec_lo, s3
	s_and_saveexec_b32 s3, s0
	s_cbranch_execz .LBB154_47
.LBB154_76:
	s_delay_alu instid0(VALU_DEP_1)
	v_add_nc_u32_e32 v12, v13, v7
	s_wait_kmcnt 0x0
	global_store_d16_hi_b16 v12, v11, s[12:13] scale_offset
	s_wait_xcnt 0x0
	s_or_b32 exec_lo, exec_lo, s3
	s_and_saveexec_b32 s3, s1
	s_cbranch_execz .LBB154_48
.LBB154_77:
	s_delay_alu instid0(VALU_DEP_1)
	v_add_nc_u32_e32 v11, v13, v9
	s_wait_kmcnt 0x0
	global_store_d16_hi_b16 v11, v8, s[12:13] scale_offset
	s_wait_xcnt 0x0
	s_or_b32 exec_lo, exec_lo, s3
	s_and_saveexec_b32 s3, s2
	s_cbranch_execnz .LBB154_49
	s_branch .LBB154_50
.LBB154_78:
	s_delay_alu instid0(VALU_DEP_1)
	v_add_nc_u32_e32 v8, v6, v0
	s_wait_kmcnt 0x0
	global_store_b16 v8, v5, s[12:13] scale_offset
	s_wait_xcnt 0x0
	s_or_b32 exec_lo, exec_lo, s3
	s_and_saveexec_b32 s3, s0
	s_cbranch_execz .LBB154_53
.LBB154_79:
	s_delay_alu instid0(VALU_DEP_1)
	v_add_nc_u32_e32 v8, v6, v7
	s_wait_kmcnt 0x0
	global_store_b16 v8, v3, s[12:13] scale_offset
	s_wait_xcnt 0x0
	s_or_b32 exec_lo, exec_lo, s3
	s_and_saveexec_b32 s3, s1
	s_cbranch_execz .LBB154_54
.LBB154_80:
	s_delay_alu instid0(VALU_DEP_1)
	v_add_nc_u32_e32 v8, v6, v9
	s_wait_kmcnt 0x0
	global_store_b16 v8, v2, s[12:13] scale_offset
	s_wait_xcnt 0x0
	s_or_b32 exec_lo, exec_lo, s3
	s_and_saveexec_b32 s3, s2
	s_cbranch_execnz .LBB154_55
	s_branch .LBB154_56
.LBB154_81:
	s_delay_alu instid0(VALU_DEP_1)
	v_add_nc_u32_e32 v0, v4, v0
	s_wait_kmcnt 0x0
	global_store_d16_hi_b16 v0, v5, s[12:13] scale_offset
	s_wait_xcnt 0x0
	s_or_b32 exec_lo, exec_lo, s3
	s_and_saveexec_b32 s3, s0
	s_cbranch_execz .LBB154_59
.LBB154_82:
	s_delay_alu instid0(VALU_DEP_1)
	v_add_nc_u32_e32 v0, v4, v7
	s_wait_kmcnt 0x0
	global_store_d16_hi_b16 v0, v3, s[12:13] scale_offset
	s_wait_xcnt 0x0
	s_or_b32 exec_lo, exec_lo, s3
	s_and_saveexec_b32 s0, s1
	s_cbranch_execz .LBB154_60
.LBB154_83:
	s_delay_alu instid0(VALU_DEP_1) | instskip(SKIP_4) | instid1(SALU_CYCLE_1)
	v_add_nc_u32_e32 v0, v4, v9
	s_wait_kmcnt 0x0
	global_store_d16_hi_b16 v0, v2, s[12:13] scale_offset
	s_wait_xcnt 0x0
	s_or_b32 exec_lo, exec_lo, s0
	s_and_b32 exec_lo, exec_lo, s2
	s_cbranch_execnz .LBB154_61
	s_branch .LBB154_62
	.section	.rodata,"a",@progbits
	.p2align	6, 0x0
	.amdhsa_kernel _ZL12mul_mat_q5_KIN3c104HalfELb1EEvPKvS3_PT_iiiii
		.amdhsa_group_segment_fixed_size 45136
		.amdhsa_private_segment_fixed_size 0
		.amdhsa_kernarg_size 44
		.amdhsa_user_sgpr_count 2
		.amdhsa_user_sgpr_dispatch_ptr 0
		.amdhsa_user_sgpr_queue_ptr 0
		.amdhsa_user_sgpr_kernarg_segment_ptr 1
		.amdhsa_user_sgpr_dispatch_id 0
		.amdhsa_user_sgpr_kernarg_preload_length 0
		.amdhsa_user_sgpr_kernarg_preload_offset 0
		.amdhsa_user_sgpr_private_segment_size 0
		.amdhsa_wavefront_size32 1
		.amdhsa_uses_dynamic_stack 0
		.amdhsa_enable_private_segment 0
		.amdhsa_system_sgpr_workgroup_id_x 1
		.amdhsa_system_sgpr_workgroup_id_y 1
		.amdhsa_system_sgpr_workgroup_id_z 0
		.amdhsa_system_sgpr_workgroup_info 0
		.amdhsa_system_vgpr_workitem_id 1
		.amdhsa_next_free_vgpr 320
		.amdhsa_next_free_sgpr 19
		.amdhsa_named_barrier_count 0
		.amdhsa_reserve_vcc 1
		.amdhsa_float_round_mode_32 0
		.amdhsa_float_round_mode_16_64 0
		.amdhsa_float_denorm_mode_32 3
		.amdhsa_float_denorm_mode_16_64 3
		.amdhsa_fp16_overflow 0
		.amdhsa_memory_ordered 1
		.amdhsa_forward_progress 1
		.amdhsa_inst_pref_size 255
		.amdhsa_round_robin_scheduling 0
		.amdhsa_exception_fp_ieee_invalid_op 0
		.amdhsa_exception_fp_denorm_src 0
		.amdhsa_exception_fp_ieee_div_zero 0
		.amdhsa_exception_fp_ieee_overflow 0
		.amdhsa_exception_fp_ieee_underflow 0
		.amdhsa_exception_fp_ieee_inexact 0
		.amdhsa_exception_int_div_zero 0
	.end_amdhsa_kernel
	.section	.text._ZL12mul_mat_q5_KIN3c104HalfELb1EEvPKvS3_PT_iiiii,"axG",@progbits,_ZL12mul_mat_q5_KIN3c104HalfELb1EEvPKvS3_PT_iiiii,comdat
.Lfunc_end154:
	.size	_ZL12mul_mat_q5_KIN3c104HalfELb1EEvPKvS3_PT_iiiii, .Lfunc_end154-_ZL12mul_mat_q5_KIN3c104HalfELb1EEvPKvS3_PT_iiiii
                                        ; -- End function
	.set _ZL12mul_mat_q5_KIN3c104HalfELb1EEvPKvS3_PT_iiiii.num_vgpr, 320
	.set _ZL12mul_mat_q5_KIN3c104HalfELb1EEvPKvS3_PT_iiiii.num_agpr, 0
	.set _ZL12mul_mat_q5_KIN3c104HalfELb1EEvPKvS3_PT_iiiii.numbered_sgpr, 19
	.set _ZL12mul_mat_q5_KIN3c104HalfELb1EEvPKvS3_PT_iiiii.num_named_barrier, 0
	.set _ZL12mul_mat_q5_KIN3c104HalfELb1EEvPKvS3_PT_iiiii.private_seg_size, 0
	.set _ZL12mul_mat_q5_KIN3c104HalfELb1EEvPKvS3_PT_iiiii.uses_vcc, 1
	.set _ZL12mul_mat_q5_KIN3c104HalfELb1EEvPKvS3_PT_iiiii.uses_flat_scratch, 0
	.set _ZL12mul_mat_q5_KIN3c104HalfELb1EEvPKvS3_PT_iiiii.has_dyn_sized_stack, 0
	.set _ZL12mul_mat_q5_KIN3c104HalfELb1EEvPKvS3_PT_iiiii.has_recursion, 0
	.set _ZL12mul_mat_q5_KIN3c104HalfELb1EEvPKvS3_PT_iiiii.has_indirect_call, 0
	.section	.AMDGPU.csdata,"",@progbits
; Kernel info:
; codeLenInByte = 36712
; TotalNumSgprs: 21
; NumVgprs: 320
; ScratchSize: 0
; MemoryBound: 0
; FloatMode: 240
; IeeeMode: 1
; LDSByteSize: 45136 bytes/workgroup (compile time only)
; SGPRBlocks: 0
; VGPRBlocks: 19
; NumSGPRsForWavesPerEU: 21
; NumVGPRsForWavesPerEU: 320
; NamedBarCnt: 0
; Occupancy: 3
; WaveLimiterHint : 0
; COMPUTE_PGM_RSRC2:SCRATCH_EN: 0
; COMPUTE_PGM_RSRC2:USER_SGPR: 2
; COMPUTE_PGM_RSRC2:TRAP_HANDLER: 0
; COMPUTE_PGM_RSRC2:TGID_X_EN: 1
; COMPUTE_PGM_RSRC2:TGID_Y_EN: 1
; COMPUTE_PGM_RSRC2:TGID_Z_EN: 0
; COMPUTE_PGM_RSRC2:TIDIG_COMP_CNT: 1
	.section	.text._ZL12mul_mat_q6_KIN3c104HalfELb0EEvPKvS3_PT_iiiii,"axG",@progbits,_ZL12mul_mat_q6_KIN3c104HalfELb0EEvPKvS3_PT_iiiii,comdat
	.globl	_ZL12mul_mat_q6_KIN3c104HalfELb0EEvPKvS3_PT_iiiii ; -- Begin function _ZL12mul_mat_q6_KIN3c104HalfELb0EEvPKvS3_PT_iiiii
	.p2align	8
	.type	_ZL12mul_mat_q6_KIN3c104HalfELb0EEvPKvS3_PT_iiiii,@function
_ZL12mul_mat_q6_KIN3c104HalfELb0EEvPKvS3_PT_iiiii: ; @_ZL12mul_mat_q6_KIN3c104HalfELb0EEvPKvS3_PT_iiiii
; %bb.0:
	s_clause 0x1
	s_load_b32 s10, s[0:1], 0x18
	s_load_b96 s[4:6], s[0:1], 0x20
	s_bfe_u32 s2, ttmp6, 0x4000c
	s_bfe_u32 s7, ttmp6, 0x40010
	s_add_co_i32 s2, s2, 1
	s_and_b32 s3, ttmp6, 15
	s_mul_i32 s2, ttmp9, s2
	s_add_co_i32 s7, s7, 1
	s_add_co_i32 s3, s3, s2
	s_mul_i32 s2, ttmp7, s7
	s_bfe_u32 s7, ttmp6, 0x40004
	s_getreg_b32 s8, hwreg(HW_REG_IB_STS2, 6, 4)
	s_add_co_i32 s7, s7, s2
	s_cmp_eq_u32 s8, 0
	v_bfe_u32 v37, v0, 10, 10
	s_cselect_b32 s7, ttmp7, s7
	v_and_b32_e32 v45, 0x3ff, v0
	s_cselect_b32 s2, ttmp9, s3
	s_lshl_b32 s7, s7, 6
	s_mov_b32 s3, 0
	s_wait_kmcnt 0x0
	s_cmp_gt_i32 s10, 0xff
	s_cbranch_scc1 .LBB155_2
; %bb.1:
	v_bfe_u32 v4, v0, 10, 10
	v_and_b32_e32 v7, 0x3ff, v0
	s_delay_alu instid0(VALU_DEP_2)
	v_add_nc_u32_e32 v47, s7, v4
	s_branch .LBB155_3
.LBB155_2:
	s_mov_b32 s3, -1
                                        ; implicit-def: $vgpr4
                                        ; implicit-def: $vgpr7
                                        ; implicit-def: $vgpr47
.LBB155_3:
	s_load_b64 s[8:9], s[0:1], 0x10
	v_dual_mov_b32 v1, 0 :: v_dual_mov_b32 v6, 0
	v_dual_mov_b32 v13, 0 :: v_dual_mov_b32 v17, 0
	;; [unrolled: 1-line block ×8, first 2 shown]
	s_lshl_b32 s14, s2, 7
	s_and_not1_b32 vcc_lo, exec_lo, s3
	s_mov_b32 s11, 0
	s_cbranch_vccnz .LBB155_11
; %bb.4:
	v_dual_add_nc_u32 v47, s7, v37 :: v_dual_bitop2_b32 v1, 31, v0 bitop3:0x40
	s_add_co_i32 s16, s4, -1
	v_bfe_u32 v26, v0, 2, 8
	v_cvt_f64_i32_e32 v[2:3], s16
	s_delay_alu instid0(VALU_DEP_3)
	v_dual_lshlrev_b32 v20, 1, v1 :: v_dual_add_nc_u32 v6, 8, v47
	v_dual_add_nc_u32 v8, 16, v47 :: v_dual_add_nc_u32 v10, 24, v47
	v_dual_add_nc_u32 v12, 32, v47 :: v_dual_add_nc_u32 v14, 40, v47
	v_add_nc_u16 v16, v1, -16
	v_cvt_f64_u32_e32 v[4:5], v47
	v_cvt_f64_u32_e32 v[6:7], v6
	v_cvt_f64_u32_e32 v[8:9], v8
	v_cvt_f64_u32_e32 v[10:11], v10
	v_cmp_gt_u32_e32 vcc_lo, 16, v1
	v_cvt_f64_u32_e32 v[12:13], v12
	v_dual_add_nc_u32 v17, 48, v47 :: v_dual_add_nc_u32 v19, 56, v47
	v_cvt_f64_u32_e32 v[14:15], v14
	v_dual_cndmask_b32 v22, v16, v1 :: v_dual_lshrrev_b32 v21, 1, v0
	s_delay_alu instid0(VALU_DEP_3) | instskip(SKIP_3) | instid1(VALU_DEP_3)
	v_cvt_f64_u32_e32 v[16:17], v17
	v_dual_mov_b32 v39, 0 :: v_dual_add_nc_u32 v18, 0xe0, v20
	v_lshlrev_b32_e32 v38, 2, v1
	v_dual_add_nc_u32 v27, 56, v37 :: v_dual_bitop2_b32 v28, 3, v0 bitop3:0x40
	v_cndmask_b32_e32 v23, v18, v20, vcc_lo
	v_cvt_f64_u32_e32 v[18:19], v19
	s_ashr_i32 s12, s10, 31
	s_ashr_i32 s13, s5, 31
	s_lshr_b32 s12, s12, 24
	v_and_b32_e32 v23, 0xfe, v23
	v_and_b32_e32 v24, 7, v0
	s_add_co_i32 s10, s10, s12
	v_cmp_lt_u16_e32 vcc_lo, 7, v22
	s_ashr_i32 s15, s10, 8
	v_sub_nc_u32_e32 v1, v20, v23
	v_and_or_b32 v21, v21, 8, v24
	v_dual_mov_b32 v41, v39 :: v_dual_bitop2_b32 v20, 15, v0 bitop3:0x40
	v_dual_min_num_f64 v[4:5], v[4:5], v[2:3] :: v_dual_lshlrev_b32 v53, 5, v37
	s_delay_alu instid0(VALU_DEP_3)
	v_lshlrev_b32_e32 v40, 2, v21
	v_mul_u32_u24_e32 v21, 0x41, v37
	v_min_num_f64_e32 v[6:7], v[6:7], v[2:3]
	v_min_num_f64_e32 v[8:9], v[8:9], v[2:3]
	;; [unrolled: 1-line block ×3, first 2 shown]
	v_dual_min_num_f64 v[12:13], v[12:13], v[2:3] :: v_dual_lshlrev_b32 v1, 2, v1
	v_dual_min_num_f64 v[14:15], v[14:15], v[2:3] :: v_dual_lshlrev_b32 v20, 2, v20
	;; [unrolled: 1-line block ×3, first 2 shown]
	v_dual_lshlrev_b32 v25, 3, v37 :: v_dual_lshlrev_b32 v42, 2, v28
	s_lshr_b32 s10, s13, 27
	s_delay_alu instid0(VALU_DEP_2)
	v_add3_u32 v51, v1, v20, v21
	v_dual_add_nc_u32 v1, 8, v37 :: v_dual_add_nc_u32 v20, 16, v37
	v_dual_min_num_f64 v[2:3], v[18:19], v[2:3] :: v_dual_add_nc_u32 v19, v53, v45
	v_dual_add_nc_u32 v18, 24, v37 :: v_dual_add_nc_u32 v21, 32, v37
	v_add_nc_u32_e32 v29, v26, v25
	s_add_co_i32 s5, s5, s10
	s_delay_alu instid0(VALU_DEP_3) | instskip(SKIP_4) | instid1(VALU_DEP_2)
	v_lshrrev_b32_e32 v24, 3, v19
	v_and_b32_e32 v19, 0x7f, v19
	s_ashr_i32 s10, s5, 5
	s_lshl_b32 s5, s15, 3
	v_dual_add_nc_u32 v22, 40, v37 :: v_dual_add_nc_u32 v23, 48, v37
	v_dual_lshlrev_b32 v30, 2, v19 :: v_dual_bitop2_b32 v24, 12, v24 bitop3:0x40
	v_cvt_i32_f64_e32 v4, v[4:5]
	v_mad_i32_i24 v44, s15, v37, s5
	s_wait_xcnt 0x0
	s_load_b128 s[0:3], s[0:1], 0x0
	v_cvt_i32_f64_e32 v5, v[6:7]
	v_cvt_i32_f64_e32 v7, v[8:9]
	;; [unrolled: 1-line block ×4, first 2 shown]
	v_add_nc_u16 v8, v26, v25
	v_cvt_i32_f64_e32 v12, v[14:15]
	v_and_b32_e32 v6, 0x7f, v29
	v_bitop3_b32 v10, v29, 64, 0x7f bitop3:0x6c
	v_cvt_i32_f64_e32 v15, v[16:17]
	v_lshrrev_b16 v8, 1, v8
	v_and_b32_e32 v16, 63, v29
	v_lshl_or_b32 v13, v6, 4, v42
	v_dual_mov_b32 v43, v39 :: v_dual_lshrrev_b32 v14, 1, v10
	v_add3_u32 v57, v30, v24, 0xae40
	v_cvt_i32_f64_e32 v17, v[2:3]
	v_and_b32_e32 v2, 60, v8
	v_lshl_or_b32 v3, v10, 4, v42
	v_dual_lshlrev_b32 v24, 2, v45 :: v_dual_bitop2_b32 v8, 60, v14 bitop3:0x40
	v_or_b32_e32 v14, s7, v16
	s_delay_alu instid0(VALU_DEP_4) | instskip(SKIP_1) | instid1(VALU_DEP_4)
	v_add3_u32 v61, v13, v2, 0xa200
	v_lshl_or_b32 v13, v16, 4, v42
	v_add3_u32 v63, v3, v8, 0xa200
	s_delay_alu instid0(VALU_DEP_4) | instskip(SKIP_1) | instid1(VALU_DEP_4)
	v_dual_mov_b32 v3, v39 :: v_dual_min_i32 v8, s16, v14
	v_or_b32_e32 v14, 0x8200, v38
	v_add_nc_u32_e32 v67, 0xaa40, v13
	v_add_nc_u32_e32 v13, 64, v45
	v_bfe_u32 v36, v0, 5, 5
	v_mul_lo_u32 v69, s10, v4
	v_dual_lshlrev_b32 v4, 7, v37 :: v_dual_lshlrev_b32 v25, 7, v27
	s_delay_alu instid0(VALU_DEP_4)
	v_dual_lshrrev_b32 v16, 3, v13 :: v_dual_bitop2_b32 v2, 28, v24 bitop3:0x40
	v_mad_u32 v65, v8, s10, v28
	v_mul_lo_u32 v71, s10, v5
	v_mul_lo_u32 v93, s10, v12
	v_add_nc_u32_e32 v12, 32, v45
	v_lshlrev_b32_e32 v194, 5, v1
	v_mul_lo_u32 v113, s10, v15
	v_dual_lshlrev_b32 v15, 7, v23 :: v_dual_lshlrev_b32 v196, 5, v18
	s_delay_alu instid0(VALU_DEP_4) | instskip(SKIP_2) | instid1(VALU_DEP_4)
	v_lshrrev_b32_e32 v180, 3, v12
	v_add_nc_u32_e32 v46, s5, v44
	v_mul_lo_u32 v73, s10, v7
	v_add_nc_u32_e32 v187, v14, v15
	v_lshlrev_b32_e32 v199, 5, v23
	v_mul_lo_u32 v115, s10, v17
	v_add_nc_u32_e32 v48, s5, v46
	v_add_nc_u32_e32 v17, 0x60, v45
	v_dual_lshlrev_b32 v26, 2, v36 :: v_dual_lshlrev_b32 v202, 4, v13
	v_mul_lo_u32 v75, s10, v9
	s_delay_alu instid0(VALU_DEP_3) | instskip(SKIP_2) | instid1(VALU_DEP_3)
	v_dual_add_nc_u32 v50, s5, v48 :: v_dual_lshrrev_b32 v30, 3, v17
	v_mul_lo_u32 v83, s10, v11
	v_add_nc_u32_e32 v55, 0x30c0, v51
	v_dual_lshlrev_b32 v5, 7, v1 :: v_dual_add_nc_u32 v52, s5, v50
	v_dual_lshlrev_b32 v7, 7, v20 :: v_dual_lshlrev_b32 v8, 7, v18
	v_dual_lshlrev_b32 v9, 7, v21 :: v_dual_lshlrev_b32 v11, 7, v22
	s_delay_alu instid0(VALU_DEP_3) | instskip(SKIP_3) | instid1(VALU_DEP_4)
	v_add_nc_u32_e32 v54, s5, v52
	v_lshlrev_b32_e32 v201, 4, v12
	v_dual_add_nc_u32 v182, v14, v5 :: v_dual_bitop2_b32 v28, 60, v180 bitop3:0x40
	v_dual_add_nc_u32 v183, v14, v7 :: v_dual_bitop2_b32 v29, 60, v16 bitop3:0x40
	v_dual_add_nc_u32 v56, s5, v54 :: v_dual_add_nc_u32 v181, v14, v4
	v_add_nc_u32_e32 v185, v14, v9
	v_dual_add_nc_u32 v188, v14, v25 :: v_dual_bitop2_b32 v4, 60, v30 bitop3:0x40
	s_delay_alu instid0(VALU_DEP_3)
	v_add_nc_u32_e32 v60, s5, v56
	v_bfe_u32 v189, v0, 3, 7
	s_mul_i32 s12, s15, s14
	s_movk_i32 s10, 0x104
	s_movk_i32 s16, 0x2080
	v_add_nc_u32_e32 v62, s5, v60
	s_movk_i32 s17, 0x4100
	s_wait_kmcnt 0x0
	v_add_nc_u64_e32 v[58:59], s[2:3], v[2:3]
	v_mov_b64_e32 v[90:91], 0
	v_mov_b64_e32 v[84:85], 0
	v_add_nc_u32_e32 v66, s5, v62
	v_mov_b64_e32 v[78:79], 0
	v_mov_b64_e32 v[76:77], 0
	v_mov_b64_e32 v[100:101], 0
	v_mov_b64_e32 v[94:95], 0
	v_add_nc_u32_e32 v72, s5, v66
	v_mov_b64_e32 v[86:87], 0
	v_mov_b64_e32 v[80:81], 0
	;; [unrolled: 5-line block ×4, first 2 shown]
	s_ashr_i32 s13, s12, 31
	v_cndmask_b32_e64 v49, 0, 2, vcc_lo
	v_dual_add_nc_u32 v92, s5, v82 :: v_dual_add_nc_u32 v184, v14, v8
	v_add_nc_u32_e32 v186, v14, v11
	v_add3_u32 v190, v26, v24, 0xae40
	v_add3_u32 v191, v24, v28, 0xae40
	v_add3_u32 v192, v24, v29, 0xae40
	v_add3_u32 v193, v24, v4, 0xae40
	v_dual_lshlrev_b32 v195, 5, v20 :: v_dual_lshlrev_b32 v197, 5, v21
	v_dual_lshlrev_b32 v198, 5, v22 :: v_dual_lshlrev_b32 v200, 5, v27
	;; [unrolled: 1-line block ×4, first 2 shown]
	v_add_nc_u32_e32 v207, 0x5140, v51
	v_add_nc_u32_e32 v208, 0x5960, v51
	;; [unrolled: 1-line block ×6, first 2 shown]
	v_mul_i32_i24_e32 v64, s15, v19
	v_mul_i32_i24_e32 v68, s15, v6
	;; [unrolled: 1-line block ×3, first 2 shown]
	v_mul_u32_u24_e32 v213, 0x104, v45
	v_mad_u32_u24 v214, 0x104, v45, s16
	v_mad_u32_u24 v215, 0x104, v45, s17
	v_mad_u32_u24 v216, v45, s10, 0x6180
	v_dual_lshlrev_b32 v217, 2, v189 :: v_dual_lshlrev_b32 v218, 2, v180
	v_add_nc_u32_e32 v219, 0x800, v51
	v_add_nc_u32_e32 v220, 0x1000, v51
	;; [unrolled: 1-line block ×8, first 2 shown]
	v_mul_i32_i24_e32 v112, s15, v37
	v_add_nc_u32_e32 v114, s5, v92
	s_mul_u64 s[12:13], s[12:13], 0xd2
	s_mov_b32 s10, s11
	s_add_nc_u64 s[0:1], s[0:1], s[12:13]
.LBB155_5:                              ; =>This Loop Header: Depth=1
                                        ;     Child Loop BB155_6 Depth 2
                                        ;     Child Loop BB155_8 Depth 2
	s_mul_u64 s[12:13], s[10:11], 0xd2
	s_lshl_b32 s5, s10, 3
	s_add_nc_u64 s[12:13], s[0:1], s[12:13]
	s_mov_b32 s16, 0
	v_mad_nc_u64_u32 v[0:1], 0xd2, v36, s[12:13]
	s_delay_alu instid0(VALU_DEP_1)
	v_mad_nc_u64_u32 v[2:3], 0xd2, v112, v[0:1]
	v_mad_nc_u64_u32 v[4:5], 0xd2, v44, v[0:1]
	v_mad_nc_u64_u32 v[6:7], 0xd2, v46, v[0:1]
	v_mad_nc_u64_u32 v[8:9], 0xd2, v48, v[0:1]
	v_mad_nc_u64_u32 v[10:11], 0xd2, v50, v[0:1]
	v_mad_nc_u64_u32 v[12:13], 0xd2, v52, v[0:1]
	v_mad_nc_u64_u32 v[14:15], 0xd2, v54, v[0:1]
	v_mad_nc_u64_u32 v[16:17], 0xd2, v56, v[0:1]
	v_mad_nc_u64_u32 v[18:19], 0xd2, v60, v[0:1]
	v_mad_nc_u64_u32 v[124:125], 0xd2, v62, v[0:1]
	v_mad_nc_u64_u32 v[126:127], 0xd2, v66, v[0:1]
	v_add_nc_u64_e32 v[20:21], v[2:3], v[38:39]
	v_add_nc_u64_e32 v[22:23], v[2:3], v[40:41]
	;; [unrolled: 1-line block ×9, first 2 shown]
	global_load_b32 v2, v[20:21], off
	s_wait_xcnt 0x0
	v_add_nc_u64_e32 v[20:21], v[12:13], v[40:41]
	v_add_nc_u64_e32 v[116:117], v[10:11], v[38:39]
	;; [unrolled: 1-line block ×3, first 2 shown]
	s_clause 0x1
	global_load_b32 v4, v[22:23], off offset:128
	global_load_b32 v3, v[24:25], off
	s_wait_xcnt 0x1
	v_add_nc_u64_e32 v[22:23], v[14:15], v[38:39]
	s_wait_xcnt 0x0
	v_add_nc_u64_e32 v[24:25], v[14:15], v[40:41]
	s_clause 0x1
	global_load_b32 v6, v[26:27], off offset:128
	global_load_b32 v5, v[28:29], off
	s_wait_xcnt 0x1
	v_add_nc_u64_e32 v[26:27], v[16:17], v[38:39]
	s_wait_xcnt 0x0
	v_add_nc_u64_e32 v[28:29], v[16:17], v[40:41]
	s_clause 0x1
	global_load_b32 v8, v[30:31], off offset:128
	global_load_b32 v7, v[32:33], off
	s_wait_xcnt 0x1
	v_add_nc_u64_e32 v[30:31], v[18:19], v[38:39]
	s_clause 0x5
	global_load_b32 v10, v[34:35], off offset:128
	global_load_b32 v9, v[116:117], off
	global_load_b32 v12, v[118:119], off offset:128
	global_load_b32 v11, v[120:121], off
	;; [unrolled: 2-line block ×3, first 2 shown]
	s_wait_xcnt 0x1
	v_add_nc_u64_e32 v[20:21], v[18:19], v[40:41]
	s_clause 0x4
	global_load_b32 v18, v[24:25], off offset:128
	global_load_b32 v16, v[26:27], off
	global_load_b32 v17, v[28:29], off offset:128
	global_load_b32 v15, v[30:31], off
	global_load_b32 v19, v[20:21], off offset:128
	s_wait_xcnt 0x3
	v_add_nc_u32_e32 v26, s5, v189
	v_add_nc_u32_e32 v174, s5, v65
	v_mad_nc_u64_u32 v[22:23], 0xd2, v68, s[12:13]
	v_mad_nc_u64_u32 v[24:25], 0xd2, v70, s[12:13]
	s_wait_xcnt 0x0
	v_mad_nc_u64_u32 v[20:21], 0xd2, v64, s[12:13]
	v_dual_add_nc_u32 v28, v26, v69 :: v_dual_add_nc_u32 v34, v26, v75
	v_dual_add_nc_u32 v30, v26, v71 :: v_dual_add_nc_u32 v32, v26, v73
	;; [unrolled: 1-line block ×4, first 2 shown]
	v_mad_nc_u64_u32 v[26:27], v174, 36, s[2:3]
	v_mad_nc_i64_i32 v[28:29], v28, 36, v[58:59]
	v_mad_nc_i64_i32 v[30:31], v30, 36, v[58:59]
	;; [unrolled: 1-line block ×3, first 2 shown]
	v_add_nc_u64_e32 v[22:23], v[22:23], v[42:43]
	v_mad_nc_i64_i32 v[34:35], v34, 36, v[58:59]
	v_add_nc_u64_e32 v[24:25], v[24:25], v[42:43]
	v_mad_nc_i64_i32 v[116:117], v116, 36, v[58:59]
	v_mad_nc_i64_i32 v[118:119], v118, 36, v[58:59]
	;; [unrolled: 1-line block ×4, first 2 shown]
	global_load_b32 v136, v[26:27], off
	s_clause 0x2
	global_load_u16 v137, v[20:21], off offset:208
	global_load_b32 v138, v[22:23], off offset:192
	global_load_b32 v139, v[24:25], off offset:192
	s_clause 0x7
	global_load_b32 v140, v[28:29], off offset:4
	global_load_b32 v141, v[30:31], off offset:4
	;; [unrolled: 1-line block ×8, first 2 shown]
	s_wait_xcnt 0x9
	v_add_nc_u64_e32 v[22:23], v[124:125], v[40:41]
	v_mad_nc_u64_u32 v[128:129], 0xd2, v72, v[0:1]
	v_mad_nc_u64_u32 v[130:131], 0xd2, v74, v[0:1]
	;; [unrolled: 1-line block ×5, first 2 shown]
	v_add_nc_u64_e32 v[20:21], v[124:125], v[38:39]
	global_load_b32 v22, v[22:23], off offset:128
	s_wait_xcnt 0x9
	v_add_nc_u64_e32 v[24:25], v[126:127], v[38:39]
	v_add_nc_u64_e32 v[26:27], v[126:127], v[40:41]
	s_mov_b32 s12, -1
	s_wait_xcnt 0x8
	v_add_nc_u64_e32 v[28:29], v[128:129], v[38:39]
	s_wait_xcnt 0x7
	v_add_nc_u64_e32 v[30:31], v[128:129], v[40:41]
	;; [unrolled: 2-line block ×8, first 2 shown]
	v_add_nc_u64_e32 v[124:125], v[0:1], v[38:39]
	v_add_nc_u64_e32 v[0:1], v[0:1], v[40:41]
	s_clause 0xc
	global_load_b32 v23, v[20:21], off
	global_load_b32 v126, v[24:25], off
	global_load_b32 v127, v[26:27], off offset:128
	global_load_b32 v128, v[28:29], off
	global_load_b32 v129, v[30:31], off offset:128
	;; [unrolled: 2-line block ×6, first 2 shown]
	s_wait_loadcnt 0x2b
	s_wait_xcnt 0x0
	v_and_b32_e32 v0, 0xf0f0f0f, v2
	s_wait_loadcnt 0x2a
	v_dual_lshrrev_b32 v1, 4, v2 :: v_dual_ashrrev_i32 v2, v49, v4
	s_wait_loadcnt 0x29
	v_and_b32_e32 v4, 0xf0f0f0f, v3
	s_wait_loadcnt 0x28
	v_dual_lshrrev_b32 v3, 4, v3 :: v_dual_ashrrev_i32 v6, v49, v6
	s_wait_loadcnt 0x27
	;; [unrolled: 4-line block ×8, first 2 shown]
	v_and_b32_e32 v28, 0xf0f0f0f, v15
	v_dual_lshrrev_b32 v15, 4, v15 :: v_dual_lshlrev_b32 v29, 4, v2
	v_and_b32_e32 v1, 0xf0f0f0f, v1
	s_wait_loadcnt 0x1a
	v_dual_ashrrev_i32 v19, v49, v19 :: v_dual_lshlrev_b32 v30, 4, v6
	v_and_b32_e32 v3, 0xf0f0f0f, v3
	v_and_b32_e32 v5, 0xf0f0f0f, v5
	v_dual_lshlrev_b32 v31, 4, v8 :: v_dual_lshlrev_b32 v32, 4, v10
	v_and_b32_e32 v7, 0xf0f0f0f, v7
	v_and_b32_e32 v9, 0xf0f0f0f, v9
	v_dual_lshlrev_b32 v33, 4, v12 :: v_dual_lshlrev_b32 v34, 4, v14
	;; [unrolled: 3-line block ×3, first 2 shown]
	v_and_or_b32 v0, 0x30303030, v29, v0
	v_and_or_b32 v1, 0x30303030, v2, v1
	v_and_b32_e32 v16, 0xf0f0f0f, v16
	v_lshlrev_b32_e32 v117, 4, v19
	v_and_or_b32 v2, 0x30303030, v30, v4
	v_and_or_b32 v3, 0x30303030, v6, v3
	;; [unrolled: 1-line block ×13, first 2 shown]
	v_lshrrev_b32_e32 v18, 16, v0
	v_lshlrev_b16 v20, 8, v0
	v_dual_lshrrev_b32 v21, 16, v1 :: v_dual_lshrrev_b32 v25, 16, v2
	v_lshlrev_b16 v24, 8, v1
	v_and_or_b32 v16, 0x30303030, v17, v16
	v_and_or_b32 v17, 0x30303030, v117, v28
	v_lshlrev_b16 v26, 8, v2
	v_dual_lshrrev_b32 v27, 16, v3 :: v_dual_lshrrev_b32 v29, 16, v4
	v_lshlrev_b16 v28, 8, v3
	v_lshlrev_b16 v30, 8, v4
	v_dual_lshrrev_b32 v31, 16, v5 :: v_dual_lshrrev_b32 v33, 16, v6
	v_lshlrev_b16 v32, 8, v5
	;; [unrolled: 3-line block ×6, first 2 shown]
	v_lshlrev_b16 v154, 8, v14
	v_add_nc_u16 v20, 0xe000, v20
	v_lshlrev_b16 v158, 8, v18
	v_add_nc_u16 v24, 0xe000, v24
	;; [unrolled: 2-line block ×15, first 2 shown]
	v_lshlrev_b16 v172, 8, v153
	v_lshrrev_b16 v20, 8, v20
	v_add_nc_u16 v158, 0xe000, v158
	v_lshrrev_b16 v24, 8, v24
	v_add_nc_u16 v159, 0xe000, v159
	;; [unrolled: 2-line block ×10, first 2 shown]
	v_dual_lshrrev_b32 v155, 16, v16 :: v_dual_lshrrev_b32 v157, 16, v17
	v_lshlrev_b16 v156, 8, v16
	v_lshrrev_b16 v122, 8, v122
	v_add_nc_u16 v168, 0xe000, v168
	v_lshrrev_b16 v124, 8, v124
	v_add_nc_u16 v169, 0xe000, v169
	;; [unrolled: 2-line block ×5, first 2 shown]
	v_bitop3_b16 v0, v0, v20, 0x3f00 bitop3:0xec
	v_lshrrev_b16 v20, 8, v158
	v_bitop3_b16 v1, v1, v24, 0x3f00 bitop3:0xec
	v_lshrrev_b16 v24, 8, v159
	;; [unrolled: 2-line block ×10, first 2 shown]
	v_add_nc_u16 v156, 0xe000, v156
	v_lshlrev_b16 v173, 8, v155
	v_bitop3_b16 v10, v10, v122, 0x3f00 bitop3:0xec
	v_lshrrev_b16 v122, 8, v168
	v_bitop3_b16 v11, v11, v124, 0x3f00 bitop3:0xec
	v_lshrrev_b16 v124, 8, v169
	;; [unrolled: 2-line block ×5, first 2 shown]
	v_bitop3_b16 v18, v18, v20, 0x3f00 bitop3:0xec
	v_bitop3_b16 v20, v21, v24, 0x3f00 bitop3:0xec
	;; [unrolled: 1-line block ×10, first 2 shown]
	v_lshrrev_b16 v156, 8, v156
	v_add_nc_u16 v173, 0xe000, v173
	v_add_nc_u16 v0, 0xe000, v0
	;; [unrolled: 1-line block ×3, first 2 shown]
	v_bitop3_b16 v31, v121, v122, 0x3f00 bitop3:0xec
	v_bitop3_b16 v32, v123, v124, 0x3f00 bitop3:0xec
	v_bitop3_b16 v33, v125, v150, 0x3f00 bitop3:0xec
	v_bitop3_b16 v34, v151, v152, 0x3f00 bitop3:0xec
	v_bitop3_b16 v35, v153, v154, 0x3f00 bitop3:0xec
	v_add_nc_u16 v18, 0xe000, v18
	v_add_nc_u16 v20, 0xe000, v20
	;; [unrolled: 1-line block ×18, first 2 shown]
	v_bitop3_b16 v16, v16, v156, 0x3f00 bitop3:0xec
	v_lshrrev_b16 v156, 8, v173
	v_add_nc_u16 v10, 0xe000, v10
	v_add_nc_u16 v11, 0xe000, v11
	;; [unrolled: 1-line block ×4, first 2 shown]
	v_and_b32_e32 v0, 0xffff, v0
	v_and_b32_e32 v1, 0xffff, v1
	v_add_nc_u16 v31, 0xe000, v31
	v_add_nc_u16 v32, 0xe000, v32
	;; [unrolled: 1-line block ×5, first 2 shown]
	v_dual_lshlrev_b32 v18, 16, v18 :: v_dual_lshlrev_b32 v20, 16, v20
	v_and_b32_e32 v2, 0xffff, v2
	v_and_b32_e32 v3, 0xffff, v3
	v_dual_lshlrev_b32 v21, 16, v21 :: v_dual_lshlrev_b32 v24, 16, v24
	v_and_b32_e32 v4, 0xffff, v4
	v_and_b32_e32 v5, 0xffff, v5
	;; [unrolled: 3-line block ×4, first 2 shown]
	v_dual_lshlrev_b32 v29, 16, v29 :: v_dual_lshlrev_b32 v30, 16, v30
	v_and_b32_e32 v15, 0xf0f0f0f, v15
	v_bitop3_b16 v116, v155, v156, 0x3f00 bitop3:0xec
	v_and_b32_e32 v10, 0xffff, v10
	v_and_b32_e32 v11, 0xffff, v11
	;; [unrolled: 1-line block ×4, first 2 shown]
	v_dual_lshlrev_b32 v31, 16, v31 :: v_dual_lshlrev_b32 v32, 16, v32
	v_dual_lshlrev_b32 v33, 16, v33 :: v_dual_lshlrev_b32 v34, 16, v34
	v_dual_lshlrev_b32 v35, 16, v35 :: v_dual_bitop2_b32 v0, v0, v18 bitop3:0x54
	v_or_b32_e32 v1, v1, v20
	v_or_b32_e32 v2, v2, v21
	;; [unrolled: 1-line block ×9, first 2 shown]
	v_add_nc_u16 v16, 0xe000, v16
	v_or_b32_e32 v10, v10, v31
	v_or_b32_e32 v11, v11, v32
	;; [unrolled: 1-line block ×4, first 2 shown]
	ds_store_2addr_b32 v51, v0, v1 offset1:16
	ds_store_2addr_b32 v219, v2, v3 offset0:8 offset1:24
	ds_store_2addr_b32 v220, v4, v5 offset0:16 offset1:32
	;; [unrolled: 1-line block ×5, first 2 shown]
	ds_store_2addr_b32 v55, v12, v13 offset1:16
	v_add_nc_u16 v1, 0xe000, v116
	v_and_or_b32 v3, 0x30303030, v19, v15
	v_and_b32_e32 v2, 0xffff, v16
	v_lshlrev_b16 v0, 8, v17
	v_lshlrev_b16 v4, 8, v157
	s_delay_alu instid0(VALU_DEP_4)
	v_dual_lshlrev_b32 v1, 16, v1 :: v_dual_lshrrev_b32 v6, 16, v3
	s_wait_loadcnt 0xd
	v_ashrrev_i32_e32 v8, v49, v22
	v_add_nc_u16 v0, 0xe000, v0
	v_add_nc_u16 v4, 0xe000, v4
	v_or_b32_e32 v1, v2, v1
	v_lshlrev_b16 v2, 8, v3
	v_lshlrev_b16 v7, 8, v6
	v_lshrrev_b16 v0, 8, v0
	v_lshrrev_b16 v4, 8, v4
	s_wait_loadcnt 0xc
	v_and_b32_e32 v9, 0xf0f0f0f, v23
	v_add_nc_u16 v2, 0xe000, v2
	v_add_nc_u16 v7, 0xe000, v7
	v_lshlrev_b32_e32 v10, 4, v8
	v_bitop3_b16 v0, v17, v0, 0x3f00 bitop3:0xec
	v_bitop3_b16 v4, v157, v4, 0x3f00 bitop3:0xec
	v_lshrrev_b16 v2, 8, v2
	v_lshrrev_b16 v7, 8, v7
	v_and_or_b32 v9, 0x30303030, v10, v9
	v_add_nc_u16 v14, 0xe000, v14
	v_add_nc_u16 v0, 0xe000, v0
	v_bitop3_b16 v2, v3, v2, 0x3f00 bitop3:0xec
	v_bitop3_b16 v3, v6, v7, 0x3f00 bitop3:0xec
	v_add_nc_u16 v4, 0xe000, v4
	v_lshlrev_b16 v6, 8, v9
	v_lshrrev_b32_e32 v7, 16, v9
	v_add_nc_u16 v2, 0xe000, v2
	v_add_nc_u16 v3, 0xe000, v3
	v_lshrrev_b32_e32 v10, 4, v23
	v_and_b32_e32 v14, 0xffff, v14
	v_and_b32_e32 v0, 0xffff, v0
	v_lshlrev_b32_e32 v4, 16, v4
	v_add_nc_u16 v6, 0xe000, v6
	v_and_b32_e32 v2, 0xffff, v2
	v_lshlrev_b32_e32 v3, 16, v3
	v_lshlrev_b16 v11, 8, v7
	v_and_b32_e32 v10, 0xf0f0f0f, v10
	v_or_b32_e32 v5, v14, v35
	v_lshrrev_b16 v6, 8, v6
	v_or_b32_e32 v0, v0, v4
	v_or_b32_e32 v2, v2, v3
	v_add_nc_u16 v3, 0xe000, v11
	v_and_or_b32 v4, 0x30303030, v8, v10
	v_bitop3_b16 v6, v9, v6, 0x3f00 bitop3:0xec
	ds_store_2addr_b32 v224, v5, v1 offset0:8 offset1:24
	ds_store_2addr_b32 v225, v0, v2 offset0:16 offset1:32
	v_lshrrev_b16 v0, 8, v3
	v_lshlrev_b16 v1, 8, v4
	s_wait_loadcnt 0xa
	v_dual_ashrrev_i32 v3, v49, v127 :: v_dual_lshrrev_b32 v5, 16, v4
	v_add_nc_u16 v2, 0xe000, v6
	v_bitop3_b16 v0, v7, v0, 0x3f00 bitop3:0xec
	v_add_nc_u16 v1, 0xe000, v1
	v_and_b32_e32 v6, 0xf0f0f0f, v126
	v_lshlrev_b32_e32 v7, 4, v3
	v_lshlrev_b16 v8, 8, v5
	v_add_nc_u16 v0, 0xe000, v0
	v_lshrrev_b16 v1, 8, v1
	v_and_b32_e32 v2, 0xffff, v2
	v_and_or_b32 v6, 0x30303030, v7, v6
	v_add_nc_u16 v7, 0xe000, v8
	v_dual_lshrrev_b32 v8, 4, v126 :: v_dual_lshlrev_b32 v0, 16, v0
	v_bitop3_b16 v1, v4, v1, 0x3f00 bitop3:0xec
	s_delay_alu instid0(VALU_DEP_4) | instskip(NEXT) | instid1(VALU_DEP_4)
	v_lshlrev_b16 v4, 8, v6
	v_lshrrev_b16 v7, 8, v7
	s_delay_alu instid0(VALU_DEP_4)
	v_and_b32_e32 v8, 0xf0f0f0f, v8
	v_or_b32_e32 v0, v2, v0
	v_add_nc_u16 v1, 0xe000, v1
	v_add_nc_u16 v2, 0xe000, v4
	v_bitop3_b16 v4, v5, v7, 0x3f00 bitop3:0xec
	v_and_or_b32 v3, 0x30303030, v3, v8
	v_lshrrev_b32_e32 v5, 16, v6
	v_and_b32_e32 v1, 0xffff, v1
	v_lshrrev_b16 v2, 8, v2
	v_add_nc_u16 v4, 0xe000, v4
	v_lshrrev_b32_e32 v7, 16, v3
	v_lshlrev_b16 v8, 8, v5
	v_lshlrev_b16 v9, 8, v3
	v_bitop3_b16 v2, v6, v2, 0x3f00 bitop3:0xec
	v_lshlrev_b32_e32 v4, 16, v4
	v_lshlrev_b16 v6, 8, v7
	v_add_nc_u16 v8, 0xe000, v8
	v_add_nc_u16 v9, 0xe000, v9
	;; [unrolled: 1-line block ×3, first 2 shown]
	v_or_b32_e32 v1, v1, v4
	v_add_nc_u16 v4, 0xe000, v6
	v_lshrrev_b16 v6, 8, v8
	v_lshrrev_b16 v8, 8, v9
	s_wait_loadcnt 0x8
	v_ashrrev_i32_e32 v9, v49, v129
	v_and_b32_e32 v2, 0xffff, v2
	v_lshrrev_b16 v4, 8, v4
	v_bitop3_b16 v5, v5, v6, 0x3f00 bitop3:0xec
	v_bitop3_b16 v3, v3, v8, 0x3f00 bitop3:0xec
	v_and_b32_e32 v6, 0xf0f0f0f, v128
	v_lshlrev_b32_e32 v8, 4, v9
	v_bitop3_b16 v4, v7, v4, 0x3f00 bitop3:0xec
	v_add_nc_u16 v5, 0xe000, v5
	v_add_nc_u16 v3, 0xe000, v3
	s_delay_alu instid0(VALU_DEP_4) | instskip(NEXT) | instid1(VALU_DEP_4)
	v_and_or_b32 v6, 0x30303030, v8, v6
	v_add_nc_u16 v4, 0xe000, v4
	s_delay_alu instid0(VALU_DEP_4)
	v_dual_lshlrev_b32 v5, 16, v5 :: v_dual_lshrrev_b32 v7, 4, v128
	ds_store_2addr_b32 v226, v0, v1 offset0:24 offset1:40
	v_lshlrev_b16 v8, 8, v6
	v_dual_lshlrev_b32 v4, 16, v4 :: v_dual_bitop2_b32 v2, v2, v5 bitop3:0x54
	v_lshrrev_b32_e32 v5, 16, v6
	v_and_b32_e32 v3, 0xffff, v3
	v_and_b32_e32 v7, 0xf0f0f0f, v7
	v_add_nc_u16 v8, 0xe000, v8
	s_delay_alu instid0(VALU_DEP_4) | instskip(NEXT) | instid1(VALU_DEP_3)
	v_lshlrev_b16 v0, 8, v5
	v_and_or_b32 v7, 0x30303030, v9, v7
	v_or_b32_e32 v3, v3, v4
	s_delay_alu instid0(VALU_DEP_4) | instskip(NEXT) | instid1(VALU_DEP_4)
	v_lshrrev_b16 v4, 8, v8
	v_add_nc_u16 v0, 0xe000, v0
	s_wait_loadcnt 0x7
	v_and_b32_e32 v8, 0xf0f0f0f, v130
	v_lshrrev_b32_e32 v1, 16, v7
	ds_store_2addr_b32 v207, v2, v3 offset1:16
	v_bitop3_b16 v4, v6, v4, 0x3f00 bitop3:0xec
	v_lshrrev_b16 v0, 8, v0
	v_lshlrev_b16 v2, 8, v7
	v_lshlrev_b16 v3, 8, v1
	s_delay_alu instid0(VALU_DEP_4) | instskip(NEXT) | instid1(VALU_DEP_4)
	v_add_nc_u16 v4, 0xe000, v4
	v_bitop3_b16 v0, v5, v0, 0x3f00 bitop3:0xec
	s_delay_alu instid0(VALU_DEP_4) | instskip(NEXT) | instid1(VALU_DEP_4)
	v_add_nc_u16 v2, 0xe000, v2
	v_add_nc_u16 v3, 0xe000, v3
	s_delay_alu instid0(VALU_DEP_4) | instskip(NEXT) | instid1(VALU_DEP_4)
	v_and_b32_e32 v4, 0xffff, v4
	v_add_nc_u16 v0, 0xe000, v0
	s_wait_loadcnt 0x6
	v_ashrrev_i32_e32 v6, v49, v131
	v_lshrrev_b16 v2, 8, v2
	v_lshrrev_b16 v3, 8, v3
	s_delay_alu instid0(VALU_DEP_3) | instskip(NEXT) | instid1(VALU_DEP_3)
	v_dual_lshlrev_b32 v0, 16, v0 :: v_dual_lshlrev_b32 v9, 4, v6
	v_bitop3_b16 v2, v7, v2, 0x3f00 bitop3:0xec
	s_delay_alu instid0(VALU_DEP_3) | instskip(NEXT) | instid1(VALU_DEP_3)
	v_bitop3_b16 v1, v1, v3, 0x3f00 bitop3:0xec
	v_or_b32_e32 v0, v4, v0
	s_delay_alu instid0(VALU_DEP_4) | instskip(NEXT) | instid1(VALU_DEP_4)
	v_and_or_b32 v5, 0x30303030, v9, v8
	v_add_nc_u16 v2, 0xe000, v2
	s_delay_alu instid0(VALU_DEP_4)
	v_add_nc_u16 v1, 0xe000, v1
	v_lshrrev_b32_e32 v7, 4, v130
	s_wait_loadcnt 0x5
	v_and_b32_e32 v9, 0xf0f0f0f, v132
	v_lshrrev_b32_e32 v8, 16, v5
	v_lshlrev_b16 v3, 8, v5
	v_and_b32_e32 v2, 0xffff, v2
	v_lshlrev_b32_e32 v1, 16, v1
	v_and_b32_e32 v7, 0xf0f0f0f, v7
	v_lshlrev_b16 v4, 8, v8
	v_add_nc_u16 v3, 0xe000, v3
	s_delay_alu instid0(VALU_DEP_3) | instskip(NEXT) | instid1(VALU_DEP_3)
	v_and_or_b32 v6, 0x30303030, v6, v7
	v_add_nc_u16 v4, 0xe000, v4
	s_delay_alu instid0(VALU_DEP_3) | instskip(SKIP_1) | instid1(VALU_DEP_4)
	v_lshrrev_b16 v3, 8, v3
	v_or_b32_e32 v1, v2, v1
	v_lshlrev_b16 v7, 8, v6
	s_delay_alu instid0(VALU_DEP_4) | instskip(NEXT) | instid1(VALU_DEP_4)
	v_lshrrev_b16 v4, 8, v4
	v_bitop3_b16 v2, v5, v3, 0x3f00 bitop3:0xec
	s_wait_loadcnt 0x4
	v_dual_ashrrev_i32 v3, v49, v133 :: v_dual_lshrrev_b32 v5, 16, v6
	v_add_nc_u16 v7, 0xe000, v7
	v_bitop3_b16 v4, v8, v4, 0x3f00 bitop3:0xec
	v_add_nc_u16 v2, 0xe000, v2
	s_delay_alu instid0(VALU_DEP_4) | instskip(NEXT) | instid1(VALU_DEP_4)
	v_lshlrev_b16 v11, 8, v5
	v_lshrrev_b16 v7, 8, v7
	s_delay_alu instid0(VALU_DEP_4)
	v_add_nc_u16 v4, 0xe000, v4
	v_lshlrev_b32_e32 v10, 4, v3
	v_and_b32_e32 v2, 0xffff, v2
	v_add_nc_u16 v8, 0xe000, v11
	v_bitop3_b16 v6, v6, v7, 0x3f00 bitop3:0xec
	v_lshlrev_b32_e32 v4, 16, v4
	v_and_or_b32 v9, 0x30303030, v10, v9
	s_delay_alu instid0(VALU_DEP_4) | instskip(NEXT) | instid1(VALU_DEP_4)
	v_lshrrev_b16 v8, 8, v8
	v_add_nc_u16 v6, 0xe000, v6
	s_delay_alu instid0(VALU_DEP_3) | instskip(SKIP_1) | instid1(VALU_DEP_4)
	v_dual_lshrrev_b32 v10, 16, v9 :: v_dual_bitop2_b32 v2, v2, v4 bitop3:0x54
	v_lshlrev_b16 v7, 8, v9
	v_bitop3_b16 v5, v5, v8, 0x3f00 bitop3:0xec
	s_delay_alu instid0(VALU_DEP_4) | instskip(NEXT) | instid1(VALU_DEP_4)
	v_and_b32_e32 v6, 0xffff, v6
	v_lshlrev_b16 v11, 8, v10
	s_delay_alu instid0(VALU_DEP_4) | instskip(NEXT) | instid1(VALU_DEP_4)
	v_add_nc_u16 v7, 0xe000, v7
	v_add_nc_u16 v5, 0xe000, v5
	s_delay_alu instid0(VALU_DEP_3) | instskip(SKIP_1) | instid1(VALU_DEP_4)
	v_add_nc_u16 v8, 0xe000, v11
	v_lshrrev_b32_e32 v11, 4, v132
	v_lshrrev_b16 v7, 8, v7
	s_delay_alu instid0(VALU_DEP_4) | instskip(NEXT) | instid1(VALU_DEP_4)
	v_lshlrev_b32_e32 v5, 16, v5
	v_lshrrev_b16 v8, 8, v8
	s_delay_alu instid0(VALU_DEP_4) | instskip(NEXT) | instid1(VALU_DEP_4)
	v_and_b32_e32 v11, 0xf0f0f0f, v11
	v_bitop3_b16 v4, v9, v7, 0x3f00 bitop3:0xec
	s_wait_loadcnt 0x2
	v_dual_ashrrev_i32 v6, v49, v135 :: v_dual_bitop2_b32 v5, v6, v5 bitop3:0x54
	v_bitop3_b16 v7, v10, v8, 0x3f00 bitop3:0xec
	v_and_or_b32 v3, 0x30303030, v3, v11
	v_add_nc_u16 v4, 0xe000, v4
	v_and_b32_e32 v9, 0xf0f0f0f, v134
	v_lshlrev_b32_e32 v10, 4, v6
	v_add_nc_u16 v7, 0xe000, v7
	v_lshrrev_b32_e32 v8, 16, v3
	v_lshlrev_b16 v11, 8, v3
	v_and_b32_e32 v4, 0xffff, v4
	v_and_or_b32 v9, 0x30303030, v10, v9
	v_lshlrev_b32_e32 v7, 16, v7
	v_lshlrev_b16 v12, 8, v8
	v_add_nc_u16 v10, 0xe000, v11
	s_delay_alu instid0(VALU_DEP_4) | instskip(NEXT) | instid1(VALU_DEP_4)
	v_dual_lshrrev_b32 v11, 4, v134 :: v_dual_lshrrev_b32 v13, 16, v9
	v_or_b32_e32 v4, v4, v7
	s_delay_alu instid0(VALU_DEP_4) | instskip(SKIP_3) | instid1(VALU_DEP_4)
	v_add_nc_u16 v12, 0xe000, v12
	v_lshlrev_b16 v7, 8, v9
	v_lshrrev_b16 v10, 8, v10
	v_and_b32_e32 v11, 0xf0f0f0f, v11
	v_lshrrev_b16 v12, 8, v12
	s_delay_alu instid0(VALU_DEP_4) | instskip(NEXT) | instid1(VALU_DEP_4)
	v_add_nc_u16 v7, 0xe000, v7
	v_bitop3_b16 v3, v3, v10, 0x3f00 bitop3:0xec
	s_delay_alu instid0(VALU_DEP_4)
	v_and_or_b32 v6, 0x30303030, v6, v11
	v_lshlrev_b16 v10, 8, v13
	v_bitop3_b16 v8, v8, v12, 0x3f00 bitop3:0xec
	v_lshrrev_b16 v7, 8, v7
	v_add_nc_u16 v3, 0xe000, v3
	v_lshlrev_b16 v11, 8, v6
	v_add_nc_u16 v10, 0xe000, v10
	v_add_nc_u16 v8, 0xe000, v8
	v_bitop3_b16 v7, v9, v7, 0x3f00 bitop3:0xec
	v_and_b32_e32 v3, 0xffff, v3
	v_add_nc_u16 v9, 0xe000, v11
	v_lshrrev_b16 v10, 8, v10
	s_wait_loadcnt 0x0
	v_dual_lshlrev_b32 v8, 16, v8 :: v_dual_ashrrev_i32 v11, v49, v149
	v_lshrrev_b32_e32 v12, 4, v148
	v_lshrrev_b16 v9, 8, v9
	v_bitop3_b16 v10, v13, v10, 0x3f00 bitop3:0xec
	v_and_b32_e32 v13, 0xf0f0f0f, v148
	v_lshlrev_b32_e32 v14, 4, v11
	v_and_b32_e32 v12, 0xf0f0f0f, v12
	v_bitop3_b16 v9, v6, v9, 0x3f00 bitop3:0xec
	v_add_nc_u16 v10, 0xe000, v10
	v_add_nc_u16 v7, 0xe000, v7
	v_and_or_b32 v13, 0x30303030, v14, v13
	v_and_or_b32 v11, 0x30303030, v11, v12
	v_lshrrev_b32_e32 v6, 16, v6
	v_lshlrev_b32_e32 v10, 16, v10
	v_add_nc_u16 v9, 0xe000, v9
	s_delay_alu instid0(VALU_DEP_4) | instskip(NEXT) | instid1(VALU_DEP_4)
	v_dual_lshrrev_b32 v12, 16, v13 :: v_dual_lshrrev_b32 v14, 16, v11
	v_lshlrev_b16 v15, 8, v6
	v_lshlrev_b16 v16, 8, v13
	;; [unrolled: 1-line block ×3, first 2 shown]
	s_delay_alu instid0(VALU_DEP_4)
	v_lshlrev_b16 v17, 8, v12
	v_lshlrev_b16 v19, 8, v14
	v_add_nc_u16 v15, 0xe000, v15
	v_add_nc_u16 v16, 0xe000, v16
	;; [unrolled: 1-line block ×5, first 2 shown]
	v_lshrrev_b16 v15, 8, v15
	v_lshrrev_b16 v16, 8, v16
	;; [unrolled: 1-line block ×5, first 2 shown]
	v_bitop3_b16 v6, v6, v15, 0x3f00 bitop3:0xec
	v_bitop3_b16 v13, v13, v16, 0x3f00 bitop3:0xec
	;; [unrolled: 1-line block ×5, first 2 shown]
	v_add_nc_u16 v6, 0xe000, v6
	v_add_nc_u16 v13, 0xe000, v13
	;; [unrolled: 1-line block ×5, first 2 shown]
	v_and_b32_e32 v7, 0xffff, v7
	v_and_b32_e32 v9, 0xffff, v9
	s_delay_alu instid0(VALU_DEP_4)
	v_dual_lshlrev_b32 v6, 16, v6 :: v_dual_lshlrev_b32 v12, 16, v12
	v_and_b32_e32 v13, 0xffff, v13
	v_and_b32_e32 v11, 0xffff, v11
	v_dual_lshlrev_b32 v14, 16, v14 :: v_dual_bitop2_b32 v3, v3, v8 bitop3:0x54
	v_or_b32_e32 v7, v7, v10
	v_or_b32_e32 v6, v9, v6
	;; [unrolled: 1-line block ×3, first 2 shown]
	s_delay_alu instid0(VALU_DEP_4)
	v_or_b32_e32 v9, v11, v14
	ds_store_2addr_b32 v208, v0, v1 offset1:16
	ds_store_2addr_b32 v209, v2, v5 offset1:16
	;; [unrolled: 1-line block ×5, first 2 shown]
	v_cvt_f32_f16_e64 v0, v137
	v_cvt_f32_f16_e64 v1, v136
	ds_store_b32 v61, v138
	ds_store_b32 v63, v139
	;; [unrolled: 1-line block ×12, first 2 shown]
	s_wait_dscnt 0x0
	s_barrier_signal -1
	s_barrier_wait -1
	ds_load_b32 v24, v190
	ds_load_b32 v26, v191 offset:128
	ds_load_b32 v28, v192 offset:256
	;; [unrolled: 1-line block ×3, first 2 shown]
	s_wait_dscnt 0x2
	v_dual_mov_b32 v25, v24 :: v_dual_mov_b32 v27, v26
	s_wait_dscnt 0x0
	v_dual_mov_b32 v29, v28 :: v_dual_mov_b32 v31, v30
.LBB155_6:                              ;   Parent Loop BB155_5 Depth=1
                                        ; =>  This Inner Loop Header: Depth=2
	s_lshl_b32 s13, s16, 1
	s_lshr_b32 s17, s16, 1
	v_or_b32_e32 v0, s13, v53
	s_lshl_b32 s16, s16, 3
	s_add_co_i32 s17, s17, 0xa200
	s_and_b32 vcc_lo, exec_lo, s12
	v_add3_u32 v116, s17, v217, v204
	v_dual_lshlrev_b32 v1, 2, v0 :: v_dual_lshrrev_b32 v20, 1, v0
	v_add3_u32 v147, s17, v206, v203
	s_mov_b32 s12, 0
	ds_load_b128 v[8:11], v1 offset:33280
	ds_load_b128 v[12:15], v1 offset:33296
	;; [unrolled: 1-line block ×4, first 2 shown]
	v_add_nc_u32_e32 v117, s16, v213
	ds_load_2addr_b32 v[168:169], v117 offset0:6 offset1:7
	ds_load_2addr_b32 v[16:17], v117 offset0:4 offset1:5
	;; [unrolled: 1-line block ×3, first 2 shown]
	ds_load_2addr_b32 v[166:167], v117 offset1:1
	ds_load_b32 v130, v116
	ds_load_2addr_b32 v[170:171], v117 offset0:13 offset1:14
	ds_load_2addr_b32 v[148:149], v117 offset0:11 offset1:12
	ds_load_2addr_b32 v[172:173], v117 offset0:9 offset1:10
	ds_load_2addr_b32 v[150:151], v117 offset0:8 offset1:15
	s_set_vgpr_msb 64                       ;  msbs: dst=1 src0=0 src1=0 src2=0
	v_add_nc_u32_e32 v22 /*v278*/, s16, v216
	s_wait_dscnt 0xc
	s_set_vgpr_msb 0                        ;  msbs: dst=0 src0=0 src1=0 src2=0
	v_bfe_i32 v231, v10, 8, 8
	s_wait_dscnt 0xb
	v_ashrrev_i32_e32 v129, 24, v15
	s_wait_dscnt 0xa
	v_bfe_i32 v19, v6, 8, 8
	s_wait_dscnt 0x9
	v_bfe_i32 v32, v2, 8, 8
	v_perm_b32 v227, v0, v0, 0xc0c0001
	v_perm_b32 v232, v0, v0, 0xc0c0302
	;; [unrolled: 1-line block ×3, first 2 shown]
	v_bfe_i32 v179, v1, 16, 8
	v_perm_b32 v234, v2, v1, 0xc0c0403
	s_wait_dscnt 0x3
	v_bfe_i32 v116, v171, 8, 8
	s_wait_dscnt 0x2
	v_perm_b32 v119, v149, v149, 0xc0c0001
	v_bfe_i32 v118, v170, 16, 8
	v_perm_b32 v1, v171, v171, 0xc0c0302
	v_perm_b32 v2, v2, v2, 0xc0c0302
	v_mul_i32_i24_e32 v116, v116, v32
	v_perm_b32 v235, v4, v4, 0xc0c0001
	v_perm_b32 v236, v4, v4, 0xc0c0302
	s_wait_dscnt 0x1
	v_perm_b32 v4, v172, v172, 0xc0c0001
	v_perm_b32 v243, v5, v5, 0xc0c0001
	v_dot4_i32_iu8 v116, v119, v227, v116 neg_lo:[1,1,0]
	v_perm_b32 v119, v149, v149, 0xc0c0302
	v_bfe_i32 v18, v5, 16, 8
	v_perm_b32 v244, v6, v5, 0xc0c0403
	v_bfe_i32 v22, v6, 0, 8
	v_perm_b32 v6, v6, v6, 0xc0c0302
	v_dot4_i32_iu8 v0, v232, v119, v116 neg_lo:[1,1,0]
	v_perm_b32 v116, v170, v170, 0xc0c0001
	v_perm_b32 v240, v9, v9, 0xc0c0001
	v_perm_b32 v241, v9, v9, 0xc0c0302
	v_perm_b32 v242, v10, v10, 0xc030200
	v_perm_b32 v5, v5, v5, 0xc0c0302
	v_dot4_i32_iu8 v0, v233, v116, v0 neg_lo:[1,1,0]
	v_perm_b32 v116, v171, v170, 0xc0c0403
	v_bfe_i32 v33, v12, 8, 8
	v_perm_b32 v239, v12, v14, 0x6050401
	v_perm_b32 v246, v16, v168, 0x6050401
	v_mad_i32_i24 v0, v118, v179, v0
	v_bfe_i32 v35, v12, 16, 8
	v_perm_b32 v137, v13, v16, 0x6040503
	v_bfe_i32 v23, v14, 8, 8
	v_bfe_i32 v127, v14, 0, 8
	v_dot4_i32_iu8 v0, v234, v116, v0 neg_lo:[1,1,0]
	s_wait_dscnt 0x0
	v_perm_b32 v116, v150, v150, 0xc0c0001
	v_bfe_i32 v142, v14, 16, 8
	v_perm_b32 v249, v168, v17, 0x7060403
	v_lshrrev_b16 v21, 8, v13
	v_dot4_i32_iu8 v131, v2, v1, v0 neg_lo:[1,1,0]
	v_bfe_i32 v0, v173, 8, 8
	v_bfe_i32 v1, v172, 16, 8
	;; [unrolled: 1-line block ×4, first 2 shown]
	v_perm_b32 v144, v7, v7, 0xc0c0001
	v_mul_i32_i24_e32 v0, v0, v19
	v_ashrrev_i32_e32 v126, 24, v12
	v_bfe_i32 v21, v21, 0, 8
	v_bfe_i32 v140, v15, 0, 8
	;; [unrolled: 1-line block ×3, first 2 shown]
	v_dot4_i32_iu8 v0, v116, v235, v0 neg_lo:[1,1,0]
	v_perm_b32 v116, v150, v150, 0xc0c0302
	v_perm_b32 v253, v149, v149, 0x600010c
	s_set_vgpr_msb 64                       ;  msbs: dst=1 src0=0 src1=0 src2=0
	v_perm_b32 v0 /*v256*/, v17, v16, 0x6040503
	s_set_vgpr_msb 0                        ;  msbs: dst=0 src0=0 src1=0 src2=0
	v_bfe_i32 v229, v130, 8, 8
	v_bfe_i32 v247, v130, 16, 8
	v_dot4_i32_iu8 v0, v236, v116, v0 neg_lo:[1,1,0]
	v_dot4_i32_iu8 v131, v151, v3, v131 neg_lo:[1,1,0]
	v_bfe_i32 v230, v130, 0, 8
	s_set_vgpr_msb 64                       ;  msbs: dst=1 src0=0 src1=0 src2=0
	v_perm_b32 v1 /*v257*/, v166, v164, 0x6050401
	s_set_vgpr_msb 0                        ;  msbs: dst=0 src0=0 src1=0 src2=0
	v_ashrrev_i32_e32 v141, 24, v14
	v_dot4_i32_iu8 v0, v243, v4, v0 neg_lo:[1,1,0]
	v_perm_b32 v4, v167, v167, 0xc0c0001
	v_perm_b32 v14, v14, v13, 0x7060403
	s_delay_alu instid0(VALU_DEP_3) | instskip(SKIP_1) | instid1(VALU_DEP_1)
	v_mad_i32_i24 v0, v1, v18, v0
	v_perm_b32 v1, v173, v172, 0xc0c0403
	v_dot4_i32_iu8 v0, v244, v1, v0 neg_lo:[1,1,0]
	v_perm_b32 v1, v173, v173, 0xc0c0302
	s_delay_alu instid0(VALU_DEP_1) | instskip(SKIP_2) | instid1(VALU_DEP_3)
	v_dot4_i32_iu8 v132, v6, v1, v0 neg_lo:[1,1,0]
	v_bfe_i32 v1, v164, 8, 8
	v_dot4_i32_iu8 v0, v246, v239, 0 neg_lo:[1,1,0]
	v_dot4_i32_iu8 v132, v148, v7, v132 neg_lo:[1,1,0]
	s_delay_alu instid0(VALU_DEP_3) | instskip(NEXT) | instid1(VALU_DEP_1)
	v_mul_i32_i24_e32 v1, v1, v231
	v_dot4_i32_iu8 v1, v166, v8, v1 neg_lo:[1,1,0]
	s_delay_alu instid0(VALU_DEP_1) | instskip(SKIP_1) | instid1(VALU_DEP_1)
	v_dot4_i32_iu8 v1, v240, v4, v1 neg_lo:[1,1,0]
	v_perm_b32 v4, v167, v167, 0xc0c0302
	v_dot4_i32_iu8 v1, v241, v4, v1 neg_lo:[1,1,0]
	v_perm_b32 v4, v164, v164, 0xc030200
	s_delay_alu instid0(VALU_DEP_1)
	v_dot4_i32_iu8 v1, v4, v242, v1 neg_lo:[1,1,0]
	v_add_nc_u32_e32 v4, s16, v214
	ds_load_2addr_b32 v[118:119], v4 offset0:6 offset1:7
	ds_load_2addr_b32 v[124:125], v4 offset0:4 offset1:5
	v_dot4_i32_iu8 v133, v165, v11, v1 neg_lo:[1,1,0]
	v_add3_u32 v1, s17, v218, v201
	ds_load_2addr_b32 v[116:117], v4 offset0:2 offset1:3
	ds_load_2addr_b32 v[122:123], v4 offset1:1
	ds_load_b32 v245, v1
	ds_load_2addr_b32 v[158:159], v4 offset0:13 offset1:14
	ds_load_2addr_b32 v[120:121], v4 offset0:12 offset1:15
	ds_load_2addr_b32 v[160:161], v4 offset0:10 offset1:11
	ds_load_2addr_b32 v[162:163], v4 offset0:8 offset1:9
	s_set_vgpr_msb 64                       ;  msbs: dst=1 src0=0 src1=0 src2=0
	v_mul_lo_u32 v37 /*v293*/, v133, v230
	s_wait_dscnt 0x7
	s_set_vgpr_msb 0                        ;  msbs: dst=0 src0=0 src1=0 src2=0
	v_lshrrev_b16 v134, 8, v125
	v_bfe_i32 v138, v125, 16, 8
	v_perm_b32 v237, v125, v124, 0x6040503
	s_wait_dscnt 0x5
	v_perm_b32 v176, v122, v116, 0x6050401
	v_lshrrev_b16 v146, 8, v123
	v_bfe_i32 v134, v134, 0, 8
	s_set_vgpr_msb 64                       ;  msbs: dst=1 src0=0 src1=0 src2=0
	v_ashrrev_i32_e32 v21 /*v277*/, 24, v117
	s_wait_dscnt 0x3
	s_set_vgpr_msb 0                        ;  msbs: dst=0 src0=0 src1=0 src2=0
	v_bfe_i32 v1, v159, 8, 8
	s_wait_dscnt 0x2
	v_perm_b32 v136, v120, v120, 0xc0c0001
	v_bfe_i32 v135, v158, 16, 8
	s_wait_dscnt 0x1
	v_bfe_i32 v4, v160, 0, 8
	v_perm_b32 v143, v160, v160, 0xc0c0302
	v_mul_i32_i24_e32 v1, v1, v32
	v_mul_i32_i24_e32 v21, v134, v21
	v_bfe_i32 v134, v118, 0, 8
	s_wait_dscnt 0x0
	v_perm_b32 v251, v163, v162, 0x6040503
	v_perm_b32 v252, v160, v163, 0x7060403
	v_dot4_i32_iu8 v1, v136, v227, v1 neg_lo:[1,1,0]
	v_perm_b32 v136, v120, v120, 0xc0c0302
	s_set_vgpr_msb 64                       ;  msbs: dst=1 src0=0 src1=0 src2=0
	v_bfe_i32 v53 /*v309*/, v117, 8, 8
	v_bfe_i32 v54 /*v310*/, v117, 0, 8
	;; [unrolled: 1-line block ×4, first 2 shown]
	s_set_vgpr_msb 0                        ;  msbs: dst=0 src0=0 src1=0 src2=0
	v_dot4_i32_iu8 v1, v232, v136, v1 neg_lo:[1,1,0]
	v_perm_b32 v136, v158, v158, 0xc0c0001
	s_set_vgpr_msb 64                       ;  msbs: dst=1 src0=0 src1=0 src2=0
	v_bfe_i32 v46 /*v302*/, v123, 0, 8
	v_bfe_i32 v47 /*v303*/, v123, 16, 8
	;; [unrolled: 1-line block ×4, first 2 shown]
	s_set_vgpr_msb 0                        ;  msbs: dst=0 src0=0 src1=0 src2=0
	v_dot4_i32_iu8 v1, v233, v136, v1 neg_lo:[1,1,0]
	v_perm_b32 v136, v17, v12, 0x6040503
	v_bfe_i32 v168, v245, 8, 8
	v_bfe_i32 v175, v245, 0, 8
	s_delay_alu instid0(VALU_DEP_4) | instskip(SKIP_4) | instid1(VALU_DEP_4)
	v_mad_i32_i24 v1, v135, v179, v1
	v_perm_b32 v135, v159, v158, 0xc0c0403
	v_dot4_i32_iu8 v0, v137, v136, v0 neg_lo:[1,1,0]
	v_ashrrev_i32_e32 v136, 24, v125
	v_bfe_i32 v137, v125, 0, 8
	v_dot4_i32_iu8 v1, v234, v135, v1 neg_lo:[1,1,0]
	v_perm_b32 v135, v159, v159, 0xc0c0302
	v_dot4_i32_iu8 v0, v14, v249, v0 neg_lo:[1,1,0]
	s_set_vgpr_msb 64                       ;  msbs: dst=1 src0=0 src1=0 src2=0
	s_delay_alu instid0(VALU_DEP_2)
	v_dot4_i32_iu8 v14 /*v270*/, v2, v135, v1 neg_lo:[1,1,0]
	s_set_vgpr_msb 0                        ;  msbs: dst=0 src0=0 src1=0 src2=0
	v_bfe_i32 v1, v160, 8, 8
	v_perm_b32 v135, v162, v162, 0xc0c0001
	s_set_vgpr_msb 64                       ;  msbs: dst=1 src0=0 src1=0 src2=0
	v_dot4_i32_iu8 v16 /*v272*/, v169, v15, v0 neg_lo:[1,1,0]
	s_set_vgpr_msb 0                        ;  msbs: dst=0 src0=0 src1=0 src2=0
	v_bfe_i32 v0, v119, 8, 8
	v_mul_i32_i24_e32 v1, v1, v19
	s_delay_alu instid0(VALU_DEP_2) | instskip(SKIP_1) | instid1(VALU_DEP_3)
	v_mul_i32_i24_e32 v0, v0, v139
	v_bfe_i32 v139, v119, 16, 8
	v_dot4_i32_iu8 v1, v135, v235, v1 neg_lo:[1,1,0]
	v_perm_b32 v135, v162, v162, 0xc0c0302
	s_delay_alu instid0(VALU_DEP_3) | instskip(SKIP_1) | instid1(VALU_DEP_3)
	v_mul_i32_i24_e32 v128, v139, v128
	v_ashrrev_i32_e32 v139, 24, v119
	v_dot4_i32_iu8 v1, v236, v135, v1 neg_lo:[1,1,0]
	v_perm_b32 v135, v163, v163, 0xc0c0001
	s_delay_alu instid0(VALU_DEP_1) | instskip(SKIP_1) | instid1(VALU_DEP_1)
	v_dot4_i32_iu8 v1, v243, v135, v1 neg_lo:[1,1,0]
	v_perm_b32 v135, v163, v163, 0xc0c0302
	v_dot4_i32_iu8 v1, v5, v135, v1 neg_lo:[1,1,0]
	v_bfe_i32 v5, v124, 8, 8
	v_bfe_i32 v135, v13, 16, 8
	s_delay_alu instid0(VALU_DEP_3) | instskip(NEXT) | instid1(VALU_DEP_3)
	v_mad_i32_i24 v1, v4, v22, v1
	v_mul_i32_i24_e32 v5, v5, v33
	v_bfe_i32 v33, v124, 16, 8
	v_bfe_i32 v22, v124, 0, 8
	;; [unrolled: 1-line block ×3, first 2 shown]
	v_dot4_i32_iu8 v1, v6, v143, v1 neg_lo:[1,1,0]
	v_perm_b32 v143, v161, v161, 0xc0c0001
	v_mul_i32_i24_e32 v33, v35, v33
	v_ashrrev_i32_e32 v35, 24, v13
	v_mul_i32_i24_e32 v22, v22, v34
	v_ashrrev_i32_e32 v34, 24, v124
	s_set_vgpr_msb 64                       ;  msbs: dst=1 src0=0 src1=0 src2=0
	v_dot4_i32_iu8 v15 /*v271*/, v144, v143, v1 neg_lo:[1,1,0]
	s_set_vgpr_msb 0                        ;  msbs: dst=0 src0=0 src1=0 src2=0
	v_bfe_i32 v1, v119, 0, 8
	v_ashrrev_i32_e32 v143, 24, v118
	v_bfe_i32 v144, v118, 16, 8
	v_mul_i32_i24_e32 v34, v126, v34
	v_bfe_i32 v126, v13, 0, 8
	v_mul_i32_i24_e32 v1, v1, v140
	v_mul_i32_i24_e32 v141, v143, v141
	;; [unrolled: 1-line block ×3, first 2 shown]
	v_mad_i32_i24 v0, v136, v35, v0
	v_bfe_i32 v35, v122, 16, 8
	v_mad_i32_i24 v1, v138, v135, v1
	s_delay_alu instid0(VALU_DEP_4) | instskip(NEXT) | instid1(VALU_DEP_4)
	v_mad_i32_i24 v126, v137, v126, v142
	v_add3_u32 v0, v21, v141, v0
	s_delay_alu instid0(VALU_DEP_1)
	v_add3_u32 v0, v126, v1, v0
	v_mad_i32_i24 v1, v4, v23, v5
	v_mad_i32_i24 v4, v134, v127, v128
	v_ashrrev_i32_e32 v126, 24, v122
	v_mul_i32_i24_e32 v129, v139, v129
	v_add3_u32 v128, s17, v205, v202
	v_add3_u32 v0, v0, v22, v1
	;; [unrolled: 1-line block ×3, first 2 shown]
	v_bfe_i32 v33, v122, 8, 8
	v_bfe_i32 v34, v122, 0, 8
	s_set_vgpr_msb 64                       ;  msbs: dst=1 src0=0 src1=0 src2=0
	s_delay_alu instid0(VALU_DEP_3) | instskip(SKIP_4) | instid1(VALU_DEP_2)
	v_add3_u32 v17 /*v273*/, v0, v1, v129
	s_set_vgpr_msb 0                        ;  msbs: dst=0 src0=0 src1=0 src2=0
	v_perm_b32 v0, v8, v10, 0x6050401
	v_add_nc_u32_e32 v129, s16, v215
	s_mov_b32 s16, 8
	v_dot4_i32_iu8 v127, v176, v0, 0 neg_lo:[1,1,0]
	v_or_b32_e32 v0, s13, v194
	s_delay_alu instid0(VALU_DEP_1)
	v_dual_lshlrev_b32 v4, 2, v0 :: v_dual_lshrrev_b32 v5, 1, v0
	ds_load_b64 v[0:1], v20 offset:43584
	ds_load_2addr_b32 v[136:137], v129 offset0:6 offset1:7
	ds_load_2addr_b32 v[138:139], v129 offset0:4 offset1:5
	;; [unrolled: 1-line block ×3, first 2 shown]
	ds_load_b128 v[20:23], v4 offset:33280
	s_set_vgpr_msb 64                       ;  msbs: dst=1 src0=0 src1=0 src2=0
	ds_load_b128 v[2:5] /*v[258:261]*/, v4 offset:33296
	ds_load_b128 v[6:9] /*v[262:265]*/, v4 offset:33312
	;; [unrolled: 1-line block ×3, first 2 shown]
	v_dual_ashrrev_i32 v45 /*v301*/, 24, v123 :: v_dual_ashrrev_i32 v55 /*v311*/, 24, v116
	s_set_vgpr_msb 0                        ;  msbs: dst=0 src0=0 src1=0 src2=0
	ds_load_b64 v[4:5], v5 offset:43584
	s_wait_dscnt 0x6
	v_perm_b32 v228, v138, v136, 0x6050401
	s_wait_dscnt 0x4
	s_set_vgpr_msb 64                       ;  msbs: dst=1 src0=0 src1=0 src2=0
	v_bfe_i32 v24 /*v280*/, v20, 8, 8
	s_wait_dscnt 0x3
	s_set_vgpr_msb 0x45                     ;  msbs: dst=1 src0=1 src1=1 src2=0
	v_perm_b32 v34 /*v290*/, v2 /*v258*/, v4 /*v260*/, 0x6050401
	s_wait_dscnt 0x2
	s_set_vgpr_msb 1                        ;  msbs: dst=0 src0=1 src1=0 src2=0
	v_perm_b32 v143, v7 /*v263*/, v150, 0x6040503
	s_wait_dscnt 0x1
	s_set_vgpr_msb 0x45                     ;  msbs: dst=1 src0=1 src1=1 src2=0
	v_perm_b32 v31 /*v287*/, v12 /*v268*/, v12 /*v268*/, 0xc0c0c01
	s_set_vgpr_msb 1                        ;  msbs: dst=0 src0=1 src1=0 src2=0
	v_perm_b32 v140, v10 /*v266*/, v171, 0x6040501
	v_perm_b32 v142, v11 /*v267*/, v149, 0x6040503
	s_set_vgpr_msb 5                        ;  msbs: dst=0 src0=1 src1=1 src2=0
	v_perm_b32 v238, v3 /*v259*/, v2 /*v258*/, 0x6040503
	s_set_vgpr_msb 0x45                     ;  msbs: dst=1 src0=1 src1=1 src2=0
	v_perm_b32 v32 /*v288*/, v12 /*v268*/, v11 /*v267*/, 0x7060403
	s_set_vgpr_msb 4                        ;  msbs: dst=0 src0=0 src1=1 src2=0
	v_or_b32_e32 v141, v253, v31 /*v287*/
	s_set_vgpr_msb 0x45                     ;  msbs: dst=1 src0=1 src1=1 src2=0
	v_perm_b32 v35 /*v291*/, v4 /*v260*/, v3 /*v259*/, 0x7060403
	v_perm_b32 v33 /*v289*/, v8 /*v264*/, v7 /*v263*/, 0x7060403
	s_set_vgpr_msb 64                       ;  msbs: dst=1 src0=0 src1=0 src2=0
	v_bfe_i32 v25 /*v281*/, v20, 0, 8
	v_perm_b32 v38 /*v294*/, v20, v22, 0x6050401
	s_set_vgpr_msb 0                        ;  msbs: dst=0 src0=0 src1=0 src2=0
	v_dot4_i32_iu8 v140, v141, v140, 0 neg_lo:[1,1,0]
	s_set_vgpr_msb 4                        ;  msbs: dst=0 src0=0 src1=1 src2=0
	v_perm_b32 v141, v170, v10 /*v266*/, 0x6040503
	s_set_vgpr_msb 64                       ;  msbs: dst=1 src0=0 src1=0 src2=0
	v_bfe_i32 v26 /*v282*/, v20, 16, 8
	v_dual_ashrrev_i32 v27 /*v283*/, 24, v20 :: v_dual_ashrrev_i32 v30 /*v286*/, 24, v23
	s_set_vgpr_msb 5                        ;  msbs: dst=0 src0=1 src1=1 src2=0
	v_dot4_i32_iu8 v133, v38 /*v294*/, v1 /*v257*/, 0 neg_lo:[1,1,0]
	s_set_vgpr_msb 0                        ;  msbs: dst=0 src0=0 src1=0 src2=0
	v_dot4_i32_iu8 v140, v142, v141, v140 neg_lo:[1,1,0]
	v_perm_b32 v141, v170, v170, 0xc0c0c03
	v_perm_b32 v142, v171, v171, 0x706000c
	v_ashrrev_i32_e32 v248, 24, v130
	v_lshrrev_b16 v130, 8, v21
	s_set_vgpr_msb 0x41                     ;  msbs: dst=1 src0=1 src1=0 src2=0
	v_mul_i32_i24_e32 v24 /*v280*/, v24 /*v280*/, v33
	v_mul_i32_i24_e32 v25 /*v281*/, v25 /*v281*/, v34
	s_set_vgpr_msb 0                        ;  msbs: dst=0 src0=0 src1=0 src2=0
	v_or_b32_e32 v254, v142, v141
	s_set_vgpr_msb 1                        ;  msbs: dst=0 src0=1 src1=0 src2=0
	v_perm_b32 v141, v6 /*v262*/, v173, 0x6040501
	s_set_vgpr_msb 4                        ;  msbs: dst=0 src0=0 src1=1 src2=0
	v_perm_b32 v142, v150, v8 /*v264*/, 0x6040501
	s_set_vgpr_msb 0                        ;  msbs: dst=0 src0=0 src1=0 src2=0
	v_perm_b32 v33, v9, v8, 0x6040503
	v_perm_b32 v34, v167, v166, 0x6040503
	s_set_vgpr_msb 4                        ;  msbs: dst=0 src0=0 src1=1 src2=0
	v_dot4_i32_iu8 v140, v254, v32 /*v288*/, v140 neg_lo:[1,1,0]
	s_set_vgpr_msb 0                        ;  msbs: dst=0 src0=0 src1=0 src2=0
	v_perm_b32 v20, v21, v20, 0x6040503
	v_dot4_i32_iu8 v141, v142, v141, 0 neg_lo:[1,1,0]
	s_set_vgpr_msb 4                        ;  msbs: dst=0 src0=0 src1=1 src2=0
	v_perm_b32 v142, v172, v6 /*v262*/, 0x6040503
	v_mov_b32_e32 v17, v0
	s_set_vgpr_msb 1                        ;  msbs: dst=0 src0=1 src1=0 src2=0
	v_dot4_i32_iu8 v140, v13 /*v269*/, v151, v140 neg_lo:[1,1,0]
	s_set_vgpr_msb 0x41                     ;  msbs: dst=1 src0=1 src1=0 src2=0
	v_mul_i32_i24_e32 v27 /*v283*/, v27 /*v283*/, v126
	s_set_vgpr_msb 64                       ;  msbs: dst=1 src0=0 src1=0 src2=0
	v_dot4_i32_iu8 v51 /*v307*/, v20, v34, v133 neg_lo:[1,1,0]
	s_set_vgpr_msb 0                        ;  msbs: dst=0 src0=0 src1=0 src2=0
	v_dot4_i32_iu8 v141, v143, v142, v141 neg_lo:[1,1,0]
	v_perm_b32 v142, v172, v172, 0xc0c0c03
	v_perm_b32 v143, v173, v173, 0x706000c
	v_mul_lo_u32 v0, v140, v248
	s_set_vgpr_msb 64                       ;  msbs: dst=1 src0=0 src1=0 src2=0
	v_bfe_i32 v57 /*v313*/, v23, 8, 8
	v_ashrrev_i32_e32 v48 /*v304*/, 24, v21
	v_bfe_i32 v58 /*v314*/, v23, 0, 8
	s_set_vgpr_msb 0                        ;  msbs: dst=0 src0=0 src1=0 src2=0
	v_or_b32_e32 v255, v143, v142
	s_set_vgpr_msb 1                        ;  msbs: dst=0 src0=1 src1=0 src2=0
	v_dot4_i32_iu8 v142, v34 /*v290*/, v246, 0 neg_lo:[1,1,0]
	s_set_vgpr_msb 64                       ;  msbs: dst=1 src0=0 src1=0 src2=0
	v_ashrrev_i32_e32 v59 /*v315*/, 24, v22
	v_bfe_i32 v60 /*v316*/, v22, 16, 8
	v_bfe_i32 v29 /*v285*/, v23, 16, 8
	s_set_vgpr_msb 4                        ;  msbs: dst=0 src0=0 src1=1 src2=0
	v_dot4_i32_iu8 v141, v255, v33 /*v289*/, v141 neg_lo:[1,1,0]
	v_dot4_i32_iu8 v16, v238, v0 /*v256*/, v142 neg_lo:[1,1,0]
	ds_load_2addr_b32 v[142:143], v129 offset1:1
	s_set_vgpr_msb 64                       ;  msbs: dst=1 src0=0 src1=0 src2=0
	ds_load_b32 v39 /*v295*/, v128
	s_set_vgpr_msb 0                        ;  msbs: dst=0 src0=0 src1=0 src2=0
	ds_load_2addr_b32 v[154:155], v129 offset0:13 offset1:14
	ds_load_2addr_b32 v[156:157], v129 offset0:9 offset1:10
	;; [unrolled: 1-line block ×3, first 2 shown]
	s_set_vgpr_msb 1                        ;  msbs: dst=0 src0=1 src1=0 src2=0
	v_dot4_i32_iu8 v141, v9 /*v265*/, v148, v141 neg_lo:[1,1,0]
	v_dot4_i32_iu8 v16, v35 /*v291*/, v249, v16 neg_lo:[1,1,0]
	s_set_vgpr_msb 64                       ;  msbs: dst=1 src0=0 src1=0 src2=0
	v_bfe_i32 v49 /*v305*/, v21, 0, 8
	v_bfe_i32 v50 /*v306*/, v21, 16, 8
	;; [unrolled: 1-line block ×3, first 2 shown]
	s_set_vgpr_msb 0                        ;  msbs: dst=0 src0=0 src1=0 src2=0
	v_mad_u32 v0, v141, v247, v0
	s_set_vgpr_msb 1                        ;  msbs: dst=0 src0=1 src1=0 src2=0
	v_dot4_i32_iu8 v16, v5 /*v261*/, v169, v16 neg_lo:[1,1,0]
	s_set_vgpr_msb 0                        ;  msbs: dst=0 src0=0 src1=0 src2=0
	ds_load_2addr_b32 v[140:141], v129 offset0:11 offset1:12
	s_set_vgpr_msb 64                       ;  msbs: dst=1 src0=0 src1=0 src2=0
	v_bfe_i32 v28 /*v284*/, v22, 0, 8
	s_set_vgpr_msb 0x41                     ;  msbs: dst=1 src0=1 src1=0 src2=0
	v_mul_i32_i24_e32 v26 /*v282*/, v26 /*v282*/, v35
	s_set_vgpr_msb 64                       ;  msbs: dst=1 src0=0 src1=0 src2=0
	v_mul_lo_u32 v36 /*v292*/, v16, v229
	s_wait_dscnt 0x6
	s_set_vgpr_msb 0                        ;  msbs: dst=0 src0=0 src1=0 src2=0
	v_mov_b32_e32 v16, v4
	v_mul_lo_u32 v4, v132, v247
	v_cvt_f32_i32_e32 v152, v0
	v_mov_b32_e32 v0, v5
	s_wait_dscnt 0x3
	v_bfe_i32 v5, v154, 16, 8
	s_set_vgpr_msb 1                        ;  msbs: dst=0 src0=1 src1=0 src2=0
	v_bfe_i32 v177, v39 /*v295*/, 8, 8
	v_bfe_i32 v178, v39 /*v295*/, 0, 8
	s_set_vgpr_msb 0                        ;  msbs: dst=0 src0=0 src1=0 src2=0
	v_mad_u32 v4, v131, v248, v4
	s_wait_dscnt 0x0
	v_perm_b32 v128, v141, v141, 0xc0c0001
	s_delay_alu instid0(VALU_DEP_2) | instskip(SKIP_1) | instid1(VALU_DEP_1)
	v_cvt_f32_i32_e32 v153, v4
	v_bfe_i32 v4, v155, 8, 8
	v_mul_i32_i24_e32 v4, v4, v32
	s_delay_alu instid0(VALU_DEP_1) | instskip(SKIP_1) | instid1(VALU_DEP_1)
	v_dot4_i32_iu8 v4, v128, v227, v4 neg_lo:[1,1,0]
	v_perm_b32 v128, v141, v141, 0xc0c0302
	v_dot4_i32_iu8 v4, v232, v128, v4 neg_lo:[1,1,0]
	v_perm_b32 v128, v154, v154, 0xc0c0001
	s_delay_alu instid0(VALU_DEP_1) | instskip(SKIP_1) | instid1(VALU_DEP_2)
	v_dot4_i32_iu8 v4, v233, v128, v4 neg_lo:[1,1,0]
	v_perm_b32 v128, v144, v144, 0xc0c0001
	v_mad_i32_i24 v4, v5, v179, v4
	v_perm_b32 v5, v155, v154, 0xc0c0403
	s_delay_alu instid0(VALU_DEP_1) | instskip(SKIP_2) | instid1(VALU_DEP_1)
	v_dot4_i32_iu8 v4, v234, v5, v4 neg_lo:[1,1,0]
	v_perm_b32 v5, v155, v155, 0xc0c0302
	s_set_vgpr_msb 64                       ;  msbs: dst=1 src0=0 src1=0 src2=0
	v_dot4_i32_iu8 v40 /*v296*/, v2, v5, v4 neg_lo:[1,1,0]
	s_set_vgpr_msb 0                        ;  msbs: dst=0 src0=0 src1=0 src2=0
	v_bfe_i32 v4, v157, 8, 8
	v_bfe_i32 v5, v156, 16, 8
	s_delay_alu instid0(VALU_DEP_2) | instskip(NEXT) | instid1(VALU_DEP_1)
	v_mul_i32_i24_e32 v4, v4, v19
	v_dot4_i32_iu8 v4, v128, v235, v4 neg_lo:[1,1,0]
	v_perm_b32 v128, v144, v144, 0xc0c0302
	s_delay_alu instid0(VALU_DEP_1) | instskip(SKIP_1) | instid1(VALU_DEP_1)
	v_dot4_i32_iu8 v4, v236, v128, v4 neg_lo:[1,1,0]
	v_perm_b32 v128, v156, v156, 0xc0c0001
	v_dot4_i32_iu8 v4, v243, v128, v4 neg_lo:[1,1,0]
	v_perm_b32 v128, v13, v138, 0x6040503
	s_delay_alu instid0(VALU_DEP_2) | instskip(SKIP_1) | instid1(VALU_DEP_1)
	v_mad_i32_i24 v4, v5, v18, v4
	v_perm_b32 v5, v157, v156, 0xc0c0403
	v_dot4_i32_iu8 v4, v244, v5, v4 neg_lo:[1,1,0]
	v_perm_b32 v5, v157, v157, 0xc0c0302
	s_set_vgpr_msb 64                       ;  msbs: dst=1 src0=0 src1=0 src2=0
	s_delay_alu instid0(VALU_DEP_1) | instskip(SKIP_3) | instid1(VALU_DEP_1)
	v_dot4_i32_iu8 v41 /*v297*/, v6, v5, v4 neg_lo:[1,1,0]
	s_set_vgpr_msb 0                        ;  msbs: dst=0 src0=0 src1=0 src2=0
	v_dot4_i32_iu8 v4, v228, v239, 0 neg_lo:[1,1,0]
	v_perm_b32 v5, v139, v12, 0x6040503
	v_dot4_i32_iu8 v4, v128, v5, v4 neg_lo:[1,1,0]
	v_perm_b32 v5, v136, v139, 0x7060403
	s_set_vgpr_msb 1                        ;  msbs: dst=0 src0=1 src1=0 src2=0
	v_perm_b32 v128, v11 /*v267*/, v120, 0x6040503
	s_set_vgpr_msb 0                        ;  msbs: dst=0 src0=0 src1=0 src2=0
	s_delay_alu instid0(VALU_DEP_2) | instskip(SKIP_2) | instid1(VALU_DEP_2)
	v_dot4_i32_iu8 v4, v14, v5, v4 neg_lo:[1,1,0]
	v_perm_b32 v5, v143, v143, 0xc0c0001
	s_set_vgpr_msb 64                       ;  msbs: dst=1 src0=0 src1=0 src2=0
	v_dot4_i32_iu8 v42 /*v298*/, v137, v15, v4 neg_lo:[1,1,0]
	s_set_vgpr_msb 0                        ;  msbs: dst=0 src0=0 src1=0 src2=0
	v_bfe_i32 v4, v134, 8, 8
	s_delay_alu instid0(VALU_DEP_1) | instskip(NEXT) | instid1(VALU_DEP_1)
	v_mul_i32_i24_e32 v4, v4, v231
	v_dot4_i32_iu8 v4, v142, v8, v4 neg_lo:[1,1,0]
	s_delay_alu instid0(VALU_DEP_1) | instskip(SKIP_1) | instid1(VALU_DEP_1)
	v_dot4_i32_iu8 v4, v240, v5, v4 neg_lo:[1,1,0]
	v_perm_b32 v5, v143, v143, 0xc0c0302
	v_dot4_i32_iu8 v4, v241, v5, v4 neg_lo:[1,1,0]
	v_perm_b32 v5, v134, v134, 0xc030200
	s_delay_alu instid0(VALU_DEP_1) | instskip(SKIP_3) | instid1(VALU_DEP_2)
	v_dot4_i32_iu8 v4, v5, v242, v4 neg_lo:[1,1,0]
	s_set_vgpr_msb 4                        ;  msbs: dst=0 src0=0 src1=1 src2=0
	v_perm_b32 v5, v120, v12 /*v268*/, 0x6040501
	s_set_vgpr_msb 64                       ;  msbs: dst=1 src0=0 src1=0 src2=0
	v_dot4_i32_iu8 v43 /*v299*/, v135, v11, v4 neg_lo:[1,1,0]
	s_set_vgpr_msb 1                        ;  msbs: dst=0 src0=1 src1=0 src2=0
	v_perm_b32 v4, v10 /*v266*/, v159, 0x6040501
	s_set_vgpr_msb 0                        ;  msbs: dst=0 src0=0 src1=0 src2=0
	s_delay_alu instid0(VALU_DEP_1) | instskip(SKIP_3) | instid1(VALU_DEP_1)
	v_dot4_i32_iu8 v4, v5, v4, 0 neg_lo:[1,1,0]
	s_set_vgpr_msb 4                        ;  msbs: dst=0 src0=0 src1=1 src2=0
	v_perm_b32 v5, v158, v10 /*v266*/, 0x6040503
	s_set_vgpr_msb 0                        ;  msbs: dst=0 src0=0 src1=0 src2=0
	v_dot4_i32_iu8 v4, v128, v5, v4 neg_lo:[1,1,0]
	v_perm_b32 v5, v158, v158, 0xc0c0c03
	v_perm_b32 v128, v159, v159, 0x706000c
	s_delay_alu instid0(VALU_DEP_1) | instskip(SKIP_3) | instid1(VALU_DEP_2)
	v_or_b32_e32 v250, v128, v5
	s_set_vgpr_msb 4                        ;  msbs: dst=0 src0=0 src1=1 src2=0
	v_perm_b32 v5, v162, v8 /*v264*/, 0x6040501
	s_set_vgpr_msb 0x44                     ;  msbs: dst=1 src0=0 src1=1 src2=0
	v_dot4_i32_iu8 v12 /*v268*/, v250, v32 /*v288*/, v4 neg_lo:[1,1,0]
	s_set_vgpr_msb 1                        ;  msbs: dst=0 src0=1 src1=0 src2=0
	v_perm_b32 v4, v6 /*v262*/, v160, 0x6040501
	s_set_vgpr_msb 0                        ;  msbs: dst=0 src0=0 src1=0 src2=0
	s_delay_alu instid0(VALU_DEP_1) | instskip(SKIP_3) | instid1(VALU_DEP_1)
	v_dot4_i32_iu8 v4, v5, v4, 0 neg_lo:[1,1,0]
	s_set_vgpr_msb 5                        ;  msbs: dst=0 src0=1 src1=1 src2=0
	v_perm_b32 v5, v7 /*v263*/, v6 /*v262*/, 0x6040503
	s_set_vgpr_msb 0                        ;  msbs: dst=0 src0=0 src1=0 src2=0
	v_dot4_i32_iu8 v4, v251, v5, v4 neg_lo:[1,1,0]
	s_set_vgpr_msb 4                        ;  msbs: dst=0 src0=0 src1=1 src2=0
	v_perm_b32 v5, v124, v4 /*v260*/, 0x6050401
	s_set_vgpr_msb 0x44                     ;  msbs: dst=1 src0=0 src1=1 src2=0
	s_delay_alu instid0(VALU_DEP_2) | instskip(SKIP_3) | instid1(VALU_DEP_1)
	v_dot4_i32_iu8 v44 /*v300*/, v252, v33 /*v289*/, v4 neg_lo:[1,1,0]
	s_set_vgpr_msb 1                        ;  msbs: dst=0 src0=1 src1=0 src2=0
	v_perm_b32 v4, v2 /*v258*/, v118, 0x6050401
	s_set_vgpr_msb 0                        ;  msbs: dst=0 src0=0 src1=0 src2=0
	v_dot4_i32_iu8 v4, v5, v4, 0 neg_lo:[1,1,0]
	v_perm_b32 v5, v123, v122, 0x6040503
	s_delay_alu instid0(VALU_DEP_2) | instskip(SKIP_1) | instid1(VALU_DEP_3)
	v_dot4_i32_iu8 v4, v237, v238, v4 neg_lo:[1,1,0]
	v_perm_b32 v238, v118, v125, 0x7060403
	v_dot4_i32_iu8 v5, v5, v33, v127 neg_lo:[1,1,0]
	v_bfe_i32 v33, v130, 0, 8
	s_set_vgpr_msb 4                        ;  msbs: dst=0 src0=0 src1=1 src2=0
	s_delay_alu instid0(VALU_DEP_3) | instskip(SKIP_1) | instid1(VALU_DEP_1)
	v_dot4_i32_iu8 v4, v238, v35 /*v291*/, v4 neg_lo:[1,1,0]
	s_set_vgpr_msb 0x41                     ;  msbs: dst=1 src0=1 src1=0 src2=0
	v_dot4_i32_iu8 v35 /*v291*/, v5 /*v261*/, v119, v4 neg_lo:[1,1,0]
	s_set_vgpr_msb 0                        ;  msbs: dst=0 src0=0 src1=0 src2=0
	v_bfe_i32 v4, v146, 0, 8
	s_set_vgpr_msb 1                        ;  msbs: dst=0 src0=1 src1=0 src2=0
	ds_load_2addr_b32 v[130:131], v22 /*v278*/ offset0:6 offset1:7
	ds_load_2addr_b32 v[132:133], v22 /*v278*/ offset0:4 offset1:5
	ds_load_2addr_b32 v[126:127], v22 /*v278*/ offset0:2 offset1:3
	ds_load_2addr_b32 v[128:129], v22 /*v278*/ offset1:1
	s_set_vgpr_msb 64                       ;  msbs: dst=1 src0=0 src1=0 src2=0
	ds_load_b32 v61 /*v317*/, v147
	s_set_vgpr_msb 1                        ;  msbs: dst=0 src0=1 src1=0 src2=0
	ds_load_2addr_b32 v[146:147], v22 /*v278*/ offset0:13 offset1:14
	ds_load_2addr_b32 v[34:35], v22 /*v278*/ offset0:8 offset1:15
	s_set_vgpr_msb 64                       ;  msbs: dst=1 src0=0 src1=0 src2=0
	v_mul_i32_i24_e32 v52 /*v308*/, v33, v4
	s_wait_dscnt 0x5
	s_set_vgpr_msb 0                        ;  msbs: dst=0 src0=0 src1=0 src2=0
	v_perm_b32 v12, v133, v12, 0x6040503
	v_perm_b32 v13, v13, v132, 0x6040503
	s_wait_dscnt 0x1
	v_bfe_i32 v4, v147, 8, 8
	v_bfe_i32 v125, v146, 16, 8
	s_delay_alu instid0(VALU_DEP_2)
	v_mul_i32_i24_e32 v4, v4, v32
	s_set_vgpr_msb 1                        ;  msbs: dst=0 src0=1 src1=0 src2=0
	ds_load_2addr_b32 v[32:33], v22 /*v278*/ offset0:11 offset1:12
	s_wait_dscnt 0x0
	s_set_vgpr_msb 0                        ;  msbs: dst=0 src0=0 src1=0 src2=0
	v_perm_b32 v163, v33, v33, 0xc0c0001
	s_delay_alu instid0(VALU_DEP_1) | instskip(SKIP_2) | instid1(VALU_DEP_2)
	v_dot4_i32_iu8 v4, v163, v227, v4 neg_lo:[1,1,0]
	v_perm_b32 v163, v33, v33, 0xc0c0302
	v_perm_b32 v227, v132, v130, 0x6050401
	v_dot4_i32_iu8 v4, v232, v163, v4 neg_lo:[1,1,0]
	v_perm_b32 v163, v146, v146, 0xc0c0001
	s_set_vgpr_msb 1                        ;  msbs: dst=0 src0=1 src1=0 src2=0
	v_bfe_i32 v232, v39 /*v295*/, 16, 8
	s_set_vgpr_msb 0                        ;  msbs: dst=0 src0=0 src1=0 src2=0
	s_delay_alu instid0(VALU_DEP_2)
	v_dot4_i32_iu8 v4, v233, v163, v4 neg_lo:[1,1,0]
	v_perm_b32 v233, v142, v134, 0x6050401
	s_set_vgpr_msb 1                        ;  msbs: dst=0 src0=1 src1=0 src2=0
	v_bfe_i32 v163, v61 /*v317*/, 0, 8
	s_set_vgpr_msb 0                        ;  msbs: dst=0 src0=0 src1=0 src2=0
	v_mad_i32_i24 v4, v125, v179, v4
	v_perm_b32 v125, v147, v146, 0xc0c0403
	v_perm_b32 v179, v128, v126, 0x6050401
	s_delay_alu instid0(VALU_DEP_2) | instskip(SKIP_2) | instid1(VALU_DEP_2)
	v_dot4_i32_iu8 v4, v234, v125, v4 neg_lo:[1,1,0]
	v_perm_b32 v125, v147, v147, 0xc0c0302
	v_perm_b32 v234, v33, v33, 0x600010c
	v_dot4_i32_iu8 v2, v2, v125, v4 neg_lo:[1,1,0]
	v_dot4_i32_iu8 v4, v227, v239, 0 neg_lo:[1,1,0]
	v_perm_b32 v239, v116, v123, 0x7060403
	s_set_vgpr_msb 1                        ;  msbs: dst=0 src0=1 src1=0 src2=0
	v_bfe_i32 v125, v61 /*v317*/, 8, 8
	s_set_vgpr_msb 4                        ;  msbs: dst=0 src0=0 src1=1 src2=0
	v_ashrrev_i32_e32 v116, 24, v61 /*v317*/
	s_set_vgpr_msb 0                        ;  msbs: dst=0 src0=0 src1=0 src2=0
	v_dot4_i32_iu8 v4, v13, v12, v4 neg_lo:[1,1,0]
	v_perm_b32 v12, v130, v133, 0x7060403
	s_delay_alu instid0(VALU_DEP_1) | instskip(SKIP_3) | instid1(VALU_DEP_2)
	v_dot4_i32_iu8 v4, v14, v12, v4 neg_lo:[1,1,0]
	s_set_vgpr_msb 5                        ;  msbs: dst=0 src0=1 src1=1 src2=0
	v_mul_i32_i24_e32 v14, v29 /*v285*/, v20 /*v276*/
	s_set_vgpr_msb 0                        ;  msbs: dst=0 src0=0 src1=0 src2=0
	v_dot4_i32_iu8 v12, v131, v15, v4 neg_lo:[1,1,0]
	v_bfe_i32 v4, v126, 8, 8
	s_set_vgpr_msb 5                        ;  msbs: dst=0 src0=1 src1=1 src2=0
	v_mul_i32_i24_e32 v15, v30 /*v286*/, v21 /*v277*/
	s_set_vgpr_msb 0                        ;  msbs: dst=0 src0=0 src1=0 src2=0
	s_delay_alu instid0(VALU_DEP_2) | instskip(SKIP_3) | instid1(VALU_DEP_2)
	v_mul_i32_i24_e32 v4, v4, v231
	s_set_vgpr_msb 4                        ;  msbs: dst=0 src0=0 src1=1 src2=0
	v_ashrrev_i32_e32 v231, 24, v39 /*v295*/
	s_set_vgpr_msb 0                        ;  msbs: dst=0 src0=0 src1=0 src2=0
	v_dot4_i32_iu8 v4, v128, v8, v4 neg_lo:[1,1,0]
	v_perm_b32 v8, v129, v129, 0xc0c0001
	s_delay_alu instid0(VALU_DEP_1) | instskip(SKIP_2) | instid1(VALU_DEP_2)
	v_dot4_i32_iu8 v4, v240, v8, v4 neg_lo:[1,1,0]
	v_perm_b32 v8, v129, v129, 0xc0c0302
	v_bfe_i32 v240, v245, 16, 8
	v_dot4_i32_iu8 v4, v241, v8, v4 neg_lo:[1,1,0]
	v_perm_b32 v8, v126, v126, 0xc030200
	v_ashrrev_i32_e32 v241, 24, v245
	s_delay_alu instid0(VALU_DEP_2) | instskip(SKIP_1) | instid1(VALU_DEP_2)
	v_dot4_i32_iu8 v4, v8, v242, v4 neg_lo:[1,1,0]
	v_perm_b32 v242, v161, v161, 0x7060001
	v_dot4_i32_iu8 v13, v127, v11, v4 neg_lo:[1,1,0]
	v_perm_b32 v4, v10, v9, 0x7060403
	v_perm_b32 v10, v22, v21, 0x7060403
	s_set_vgpr_msb 5                        ;  msbs: dst=0 src0=1 src1=1 src2=0
	v_mul_i32_i24_e32 v9, v58 /*v314*/, v54 /*v310*/
	s_set_vgpr_msb 0                        ;  msbs: dst=0 src0=0 src1=0 src2=0
	v_dot4_i32_iu8 v4, v239, v4, v5 neg_lo:[1,1,0]
	s_set_vgpr_msb 17                       ;  msbs: dst=0 src0=1 src1=0 src2=1
	v_mad_u32 v5, v16 /*v272*/, v229, v37 /*v293*/
	s_set_vgpr_msb 5                        ;  msbs: dst=0 src0=1 src1=1 src2=0
	v_mad_i32_i24 v9, v50 /*v306*/, v47 /*v303*/, v9
	s_set_vgpr_msb 0                        ;  msbs: dst=0 src0=0 src1=0 src2=0
	v_dot4_i32_iu8 v8, v117, v11, v4 neg_lo:[1,1,0]
	v_perm_b32 v4, v164, v167, 0x7060403
	s_set_vgpr_msb 5                        ;  msbs: dst=0 src0=1 src1=1 src2=0
	v_mul_i32_i24_e32 v11, v57 /*v313*/, v53 /*v309*/
	s_set_vgpr_msb 16                       ;  msbs: dst=0 src0=0 src1=0 src2=1
	s_delay_alu instid0(VALU_DEP_2)
	v_dot4_i32_iu8 v4, v10, v4, v51 /*v307*/ neg_lo:[1,1,0]
	v_cvt_f32_i32_e32 v5, v5
	s_set_vgpr_msb 5                        ;  msbs: dst=0 src0=1 src1=1 src2=0
	v_mad_i32_i24 v11, v48 /*v304*/, v45 /*v301*/, v11
	s_set_vgpr_msb 0                        ;  msbs: dst=0 src0=0 src1=0 src2=0
	v_dot4_i32_iu8 v4, v23, v165, v4 neg_lo:[1,1,0]
	s_set_vgpr_msb 16                       ;  msbs: dst=0 src0=0 src1=0 src2=1
	s_delay_alu instid0(VALU_DEP_1) | instskip(NEXT) | instid1(VALU_DEP_1)
	v_mad_u32 v4, v4, v230, v36 /*v292*/
	v_cvt_f32_i32_e32 v4, v4
	s_delay_alu instid0(VALU_DEP_1) | instskip(SKIP_1) | instid1(VALU_DEP_1)
	v_pk_fma_f32 v[4:5], v[16:17], v[4:5], 0 op_sel_hi:[1,1,0]
	s_set_vgpr_msb 0                        ;  msbs: dst=0 src0=0 src1=0 src2=0
	v_pk_fma_f32 v[4:5], v[0:1], v[152:153], v[4:5]
	s_set_vgpr_msb 1                        ;  msbs: dst=0 src0=1 src1=0 src2=0
	ds_load_2addr_b32 v[152:153], v22 /*v278*/ offset0:9 offset1:10
	s_set_vgpr_msb 0                        ;  msbs: dst=0 src0=0 src1=0 src2=0
	v_pk_fma_f32 v[90:91], v[24:25], v[4:5], v[90:91]
	s_set_vgpr_msb 5                        ;  msbs: dst=0 src0=1 src1=1 src2=0
	v_mul_i32_i24_e32 v4, v60 /*v316*/, v56 /*v312*/
	v_mul_i32_i24_e32 v5, v59 /*v315*/, v55 /*v311*/
	s_delay_alu instid0(VALU_DEP_2) | instskip(SKIP_1) | instid1(VALU_DEP_2)
	v_mad_i32_i24 v4, v49 /*v305*/, v46 /*v302*/, v4
	s_set_vgpr_msb 1                        ;  msbs: dst=0 src0=1 src1=0 src2=0
	v_add3_u32 v5, v52 /*v308*/, v5, v11
	s_set_vgpr_msb 0                        ;  msbs: dst=0 src0=0 src1=0 src2=0
	v_perm_b32 v11, v7, v7, 0xc0c0302
	s_delay_alu instid0(VALU_DEP_2)
	v_add3_u32 v4, v4, v9, v5
	s_set_vgpr_msb 21                       ;  msbs: dst=0 src0=1 src1=1 src2=1
	v_mad_i32_i24 v5, v23 /*v279*/, v18 /*v274*/, v24 /*v280*/
	s_set_vgpr_msb 5                        ;  msbs: dst=0 src0=1 src1=1 src2=0
	v_mad_i32_i24 v9, v28 /*v284*/, v19 /*v275*/, v14
	s_set_vgpr_msb 16                       ;  msbs: dst=0 src0=0 src1=0 src2=1
	v_dot4_i32_iu8 v14, v121, v3, v14 /*v270*/ neg_lo:[1,1,0]
	s_set_vgpr_msb 4                        ;  msbs: dst=0 src0=0 src1=1 src2=0
	v_add3_u32 v4, v4, v25 /*v281*/, v5
	s_set_vgpr_msb 5                        ;  msbs: dst=0 src0=1 src1=1 src2=0
	v_add3_u32 v5, v26 /*v282*/, v27 /*v283*/, v9
	s_set_vgpr_msb 17                       ;  msbs: dst=0 src0=1 src1=0 src2=1
	v_dot4_i32_iu8 v9, v13 /*v269*/, v121, v12 /*v268*/ neg_lo:[1,1,0]
	s_set_vgpr_msb 0                        ;  msbs: dst=0 src0=0 src1=0 src2=0
	s_delay_alu instid0(VALU_DEP_2) | instskip(SKIP_4) | instid1(VALU_DEP_2)
	v_add3_u32 v4, v4, v5, v15
	v_perm_b32 v5, v161, v161, 0xc0c0302
	s_set_vgpr_msb 1                        ;  msbs: dst=0 src0=1 src1=0 src2=0
	v_bfe_i32 v161, v61 /*v317*/, 16, 8
	s_set_vgpr_msb 16                       ;  msbs: dst=0 src0=0 src1=0 src2=1
	v_dot4_i32_iu8 v11, v5, v11, v15 /*v271*/ neg_lo:[1,1,0]
	s_set_vgpr_msb 5                        ;  msbs: dst=0 src0=1 src1=1 src2=0
	v_perm_b32 v5, v9 /*v265*/, v9 /*v265*/, 0x3020001
	s_set_vgpr_msb 16                       ;  msbs: dst=0 src0=0 src1=0 src2=1
	s_delay_alu instid0(VALU_DEP_1) | instskip(SKIP_3) | instid1(VALU_DEP_2)
	v_dot4_i32_iu8 v15, v5, v242, v44 /*v300*/ neg_lo:[1,1,0]
	v_mul_lo_u32 v5, v8, v175
	s_set_vgpr_msb 1                        ;  msbs: dst=0 src0=1 src1=0 src2=0
	v_mul_lo_u32 v8, v35 /*v291*/, v168
	v_mad_u32 v5, v17 /*v273*/, v168, v5
	s_set_vgpr_msb 0                        ;  msbs: dst=0 src0=0 src1=0 src2=0
	s_delay_alu instid0(VALU_DEP_2)
	v_mad_u32 v4, v4, v175, v8
	v_mul_lo_u32 v8, v9, v241
	v_mul_lo_u32 v9, v11, v240
	v_perm_b32 v11, v34, v34, 0xc0c0001
	v_cvt_f32_i32_e32 v5, v5
	v_cvt_f32_i32_e32 v4, v4
	v_mad_u32 v8, v15, v240, v8
	v_mad_u32 v9, v14, v241, v9
	s_set_vgpr_msb 16                       ;  msbs: dst=0 src0=0 src1=0 src2=1
	v_dot4_i32_iu8 v15, v145, v3, v40 /*v296*/ neg_lo:[1,1,0]
	v_pk_fma_f32 v[4:5], v[16:17], v[4:5], 0 op_sel_hi:[1,1,0]
	s_delay_alu instid0(VALU_DEP_4) | instskip(NEXT) | instid1(VALU_DEP_4)
	v_cvt_f32_i32_e32 v8, v8
	v_cvt_f32_i32_e32 v9, v9
	s_set_vgpr_msb 0                        ;  msbs: dst=0 src0=0 src1=0 src2=0
	s_delay_alu instid0(VALU_DEP_1) | instskip(SKIP_3) | instid1(VALU_DEP_3)
	v_pk_fma_f32 v[4:5], v[0:1], v[8:9], v[4:5]
	s_wait_dscnt 0x0
	v_bfe_i32 v8, v153, 8, 8
	v_bfe_i32 v9, v152, 16, 8
	v_pk_fma_f32 v[100:101], v[26:27], v[4:5], v[100:101]
	s_delay_alu instid0(VALU_DEP_3) | instskip(SKIP_3) | instid1(VALU_DEP_2)
	v_mul_i32_i24_e32 v8, v8, v19
	s_set_vgpr_msb 1                        ;  msbs: dst=0 src0=1 src1=0 src2=0
	v_perm_b32 v4, v10 /*v266*/, v155, 0x6040501
	s_set_vgpr_msb 0                        ;  msbs: dst=0 src0=0 src1=0 src2=0
	v_dot4_i32_iu8 v8, v11, v235, v8 neg_lo:[1,1,0]
	v_perm_b32 v11, v34, v34, 0xc0c0302
	s_delay_alu instid0(VALU_DEP_1) | instskip(SKIP_1) | instid1(VALU_DEP_1)
	v_dot4_i32_iu8 v8, v236, v11, v8 neg_lo:[1,1,0]
	v_perm_b32 v11, v152, v152, 0xc0c0001
	v_dot4_i32_iu8 v8, v243, v11, v8 neg_lo:[1,1,0]
	v_perm_b32 v243, v141, v141, 0x600010c
	s_set_vgpr_msb 4                        ;  msbs: dst=0 src0=0 src1=1 src2=0
	v_perm_b32 v11, v139, v2 /*v258*/, 0x6040503
	s_set_vgpr_msb 0                        ;  msbs: dst=0 src0=0 src1=0 src2=0
	v_mad_i32_i24 v8, v9, v18, v8
	v_perm_b32 v9, v153, v152, 0xc0c0403
	s_set_vgpr_msb 4                        ;  msbs: dst=0 src0=0 src1=1 src2=0
	v_or_b32_e32 v5, v243, v31 /*v287*/
	s_set_vgpr_msb 0                        ;  msbs: dst=0 src0=0 src1=0 src2=0
	s_delay_alu instid0(VALU_DEP_2) | instskip(SKIP_1) | instid1(VALU_DEP_3)
	v_dot4_i32_iu8 v8, v244, v9, v8 neg_lo:[1,1,0]
	v_perm_b32 v9, v153, v153, 0xc0c0302
	v_dot4_i32_iu8 v4, v5, v4, 0 neg_lo:[1,1,0]
	s_set_vgpr_msb 4                        ;  msbs: dst=0 src0=0 src1=1 src2=0
	v_perm_b32 v5, v154, v10 /*v266*/, 0x6040503
	s_set_vgpr_msb 0                        ;  msbs: dst=0 src0=0 src1=0 src2=0
	v_dot4_i32_iu8 v6, v6, v9, v8 neg_lo:[1,1,0]
	s_set_vgpr_msb 1                        ;  msbs: dst=0 src0=1 src1=0 src2=0
	v_perm_b32 v8, v11 /*v267*/, v141, 0x6040503
	v_perm_b32 v9, v7 /*v263*/, v144, 0x6040503
	s_set_vgpr_msb 0                        ;  msbs: dst=0 src0=0 src1=0 src2=0
	v_dot4_i32_iu8 v6, v32, v7, v6 neg_lo:[1,1,0]
	s_delay_alu instid0(VALU_DEP_3) | instskip(SKIP_2) | instid1(VALU_DEP_4)
	v_dot4_i32_iu8 v4, v8, v5, v4 neg_lo:[1,1,0]
	v_perm_b32 v5, v154, v154, 0xc0c0c03
	v_perm_b32 v8, v155, v155, 0x706000c
	v_mul_lo_u32 v6, v6, v161
	s_delay_alu instid0(VALU_DEP_2)
	v_or_b32_e32 v244, v8, v5
	s_set_vgpr_msb 1                        ;  msbs: dst=0 src0=1 src1=0 src2=0
	v_perm_b32 v5, v6 /*v262*/, v157, 0x6040501
	s_set_vgpr_msb 4                        ;  msbs: dst=0 src0=0 src1=1 src2=0
	v_perm_b32 v8, v144, v8 /*v264*/, 0x6040501
	v_dot4_i32_iu8 v4, v244, v32 /*v288*/, v4 neg_lo:[1,1,0]
	s_set_vgpr_msb 0                        ;  msbs: dst=0 src0=0 src1=0 src2=0
	s_delay_alu instid0(VALU_DEP_2)
	v_dot4_i32_iu8 v5, v8, v5, 0 neg_lo:[1,1,0]
	s_set_vgpr_msb 4                        ;  msbs: dst=0 src0=0 src1=1 src2=0
	v_perm_b32 v8, v156, v6 /*v262*/, 0x6040503
	s_set_vgpr_msb 1                        ;  msbs: dst=0 src0=1 src1=0 src2=0
	v_dot4_i32_iu8 v14, v13 /*v269*/, v145, v4 neg_lo:[1,1,0]
	s_set_vgpr_msb 0                        ;  msbs: dst=0 src0=0 src1=0 src2=0
	s_delay_alu instid0(VALU_DEP_2) | instskip(SKIP_2) | instid1(VALU_DEP_1)
	v_dot4_i32_iu8 v5, v9, v8, v5 neg_lo:[1,1,0]
	v_perm_b32 v8, v156, v156, 0xc0c0c03
	v_perm_b32 v9, v157, v157, 0x706000c
	v_or_b32_e32 v245, v9, v8
	s_set_vgpr_msb 1                        ;  msbs: dst=0 src0=1 src1=0 src2=0
	v_dot4_i32_iu8 v8, v34 /*v290*/, v228, 0 neg_lo:[1,1,0]
	v_perm_b32 v9, v3 /*v259*/, v138, 0x6040503
	s_set_vgpr_msb 4                        ;  msbs: dst=0 src0=0 src1=1 src2=0
	v_dot4_i32_iu8 v5, v245, v33 /*v289*/, v5 neg_lo:[1,1,0]
	s_set_vgpr_msb 0                        ;  msbs: dst=0 src0=0 src1=0 src2=0
	s_delay_alu instid0(VALU_DEP_2)
	v_dot4_i32_iu8 v8, v11, v9, v8 neg_lo:[1,1,0]
	s_set_vgpr_msb 4                        ;  msbs: dst=0 src0=0 src1=1 src2=0
	v_perm_b32 v9, v136, v3 /*v259*/, 0x7060403
	s_set_vgpr_msb 1                        ;  msbs: dst=0 src0=1 src1=0 src2=0
	v_perm_b32 v11, v4 /*v260*/, v139, 0x7060403
	v_dot4_i32_iu8 v18, v9 /*v265*/, v140, v5 neg_lo:[1,1,0]
	v_mul_lo_u32 v5, v43 /*v299*/, v178
	s_set_vgpr_msb 0                        ;  msbs: dst=0 src0=0 src1=0 src2=0
	s_delay_alu instid0(VALU_DEP_3)
	v_dot4_i32_iu8 v8, v11, v9, v8 neg_lo:[1,1,0]
	s_set_vgpr_msb 1                        ;  msbs: dst=0 src0=1 src1=0 src2=0
	v_dot4_i32_iu8 v9, v38 /*v294*/, v233, 0 neg_lo:[1,1,0]
	s_set_vgpr_msb 0                        ;  msbs: dst=0 src0=0 src1=0 src2=0
	v_perm_b32 v11, v143, v142, 0x6040503
	s_set_vgpr_msb 1                        ;  msbs: dst=0 src0=1 src1=0 src2=0
	v_dot4_i32_iu8 v8, v5 /*v261*/, v137, v8 neg_lo:[1,1,0]
	s_set_vgpr_msb 0                        ;  msbs: dst=0 src0=0 src1=0 src2=0
	s_delay_alu instid0(VALU_DEP_2)
	v_dot4_i32_iu8 v9, v20, v11, v9 neg_lo:[1,1,0]
	v_perm_b32 v11, v134, v143, 0x7060403
	s_set_vgpr_msb 1                        ;  msbs: dst=0 src0=1 src1=0 src2=0
	v_mad_u32 v5, v42 /*v298*/, v177, v5
	s_set_vgpr_msb 0                        ;  msbs: dst=0 src0=0 src1=0 src2=0
	v_mul_lo_u32 v4, v8, v177
	v_dot4_i32_iu8 v9, v10, v11, v9 neg_lo:[1,1,0]
	s_set_vgpr_msb 16                       ;  msbs: dst=0 src0=0 src1=0 src2=1
	v_dot4_i32_iu8 v11, v140, v7, v41 /*v297*/ neg_lo:[1,1,0]
	s_set_vgpr_msb 0                        ;  msbs: dst=0 src0=0 src1=0 src2=0
	v_dot4_i32_iu8 v7, v35, v3, v2 neg_lo:[1,1,0]
	v_mul_lo_u32 v3, v13, v163
	v_dot4_i32_iu8 v9, v23, v135, v9 neg_lo:[1,1,0]
	v_mul_lo_u32 v8, v11, v232
	v_cvt_f32_i32_e32 v5, v5
	v_mad_u32 v6, v7, v116, v6
	s_delay_alu instid0(VALU_DEP_4) | instskip(SKIP_3) | instid1(VALU_DEP_4)
	v_mad_u32 v4, v9, v178, v4
	v_mul_lo_u32 v9, v14, v231
	v_mad_u32 v3, v12, v125, v3
	v_mad_u32 v8, v15, v231, v8
	v_cvt_f32_i32_e32 v4, v4
	s_delay_alu instid0(VALU_DEP_4) | instskip(NEXT) | instid1(VALU_DEP_4)
	v_mad_u32 v11, v18, v232, v9
	v_cvt_f32_i32_e32 v3, v3
	s_delay_alu instid0(VALU_DEP_3) | instskip(SKIP_1) | instid1(VALU_DEP_4)
	v_pk_fma_f32 v[4:5], v[16:17], v[4:5], 0 op_sel_hi:[1,1,0]
	v_cvt_f32_i32_e32 v9, v8
	v_cvt_f32_i32_e32 v8, v11
	s_set_vgpr_msb 4                        ;  msbs: dst=0 src0=0 src1=1 src2=0
	v_perm_b32 v11, v133, v2 /*v258*/, 0x6040503
	s_set_vgpr_msb 0                        ;  msbs: dst=0 src0=0 src1=0 src2=0
	s_delay_alu instid0(VALU_DEP_2)
	v_pk_fma_f32 v[4:5], v[0:1], v[8:9], v[4:5]
	s_set_vgpr_msb 1                        ;  msbs: dst=0 src0=1 src1=0 src2=0
	v_perm_b32 v8, v11 /*v267*/, v33, 0x6040503
	v_perm_b32 v9, v7 /*v263*/, v34, 0x6040503
	s_set_vgpr_msb 0                        ;  msbs: dst=0 src0=0 src1=0 src2=0
	v_pk_fma_f32 v[106:107], v[28:29], v[4:5], v[106:107]
	s_set_vgpr_msb 1                        ;  msbs: dst=0 src0=1 src1=0 src2=0
	v_perm_b32 v4, v10 /*v266*/, v147, 0x6040501
	s_set_vgpr_msb 4                        ;  msbs: dst=0 src0=0 src1=1 src2=0
	v_or_b32_e32 v5, v234, v31 /*v287*/
	s_set_vgpr_msb 0                        ;  msbs: dst=0 src0=0 src1=0 src2=0
	s_delay_alu instid0(VALU_DEP_1) | instskip(SKIP_3) | instid1(VALU_DEP_1)
	v_dot4_i32_iu8 v4, v5, v4, 0 neg_lo:[1,1,0]
	s_set_vgpr_msb 4                        ;  msbs: dst=0 src0=0 src1=1 src2=0
	v_perm_b32 v5, v146, v10 /*v266*/, 0x6040503
	s_set_vgpr_msb 0                        ;  msbs: dst=0 src0=0 src1=0 src2=0
	v_dot4_i32_iu8 v4, v8, v5, v4 neg_lo:[1,1,0]
	v_perm_b32 v5, v146, v146, 0xc0c0c03
	v_perm_b32 v8, v147, v147, 0x706000c
	s_delay_alu instid0(VALU_DEP_1)
	v_or_b32_e32 v235, v8, v5
	s_set_vgpr_msb 1                        ;  msbs: dst=0 src0=1 src1=0 src2=0
	v_perm_b32 v5, v6 /*v262*/, v153, 0x6040501
	s_set_vgpr_msb 4                        ;  msbs: dst=0 src0=0 src1=1 src2=0
	v_perm_b32 v8, v34, v8 /*v264*/, 0x6040501
	v_dot4_i32_iu8 v4, v235, v32 /*v288*/, v4 neg_lo:[1,1,0]
	s_set_vgpr_msb 0                        ;  msbs: dst=0 src0=0 src1=0 src2=0
	s_delay_alu instid0(VALU_DEP_2)
	v_dot4_i32_iu8 v5, v8, v5, 0 neg_lo:[1,1,0]
	s_set_vgpr_msb 4                        ;  msbs: dst=0 src0=0 src1=1 src2=0
	v_perm_b32 v8, v152, v6 /*v262*/, 0x6040503
	s_set_vgpr_msb 1                        ;  msbs: dst=0 src0=1 src1=0 src2=0
	v_dot4_i32_iu8 v4, v13 /*v269*/, v35, v4 neg_lo:[1,1,0]
	s_set_vgpr_msb 0                        ;  msbs: dst=0 src0=0 src1=0 src2=0
	s_delay_alu instid0(VALU_DEP_2) | instskip(SKIP_3) | instid1(VALU_DEP_2)
	v_dot4_i32_iu8 v5, v9, v8, v5 neg_lo:[1,1,0]
	v_perm_b32 v8, v152, v152, 0xc0c0c03
	v_perm_b32 v9, v153, v153, 0x706000c
	v_mul_lo_u32 v4, v4, v116
	v_or_b32_e32 v236, v9, v8
	s_set_vgpr_msb 1                        ;  msbs: dst=0 src0=1 src1=0 src2=0
	v_dot4_i32_iu8 v8, v34 /*v290*/, v227, 0 neg_lo:[1,1,0]
	v_perm_b32 v9, v3 /*v259*/, v132, 0x6040503
	s_set_vgpr_msb 4                        ;  msbs: dst=0 src0=0 src1=1 src2=0
	v_dot4_i32_iu8 v5, v236, v33 /*v289*/, v5 neg_lo:[1,1,0]
	s_set_vgpr_msb 0                        ;  msbs: dst=0 src0=0 src1=0 src2=0
	s_delay_alu instid0(VALU_DEP_2)
	v_dot4_i32_iu8 v8, v11, v9, v8 neg_lo:[1,1,0]
	s_set_vgpr_msb 4                        ;  msbs: dst=0 src0=0 src1=1 src2=0
	v_perm_b32 v9, v130, v3 /*v259*/, 0x7060403
	s_set_vgpr_msb 1                        ;  msbs: dst=0 src0=1 src1=0 src2=0
	v_perm_b32 v11, v4 /*v260*/, v133, 0x7060403
	v_dot4_i32_iu8 v5, v9 /*v265*/, v32, v5 neg_lo:[1,1,0]
	s_set_vgpr_msb 0                        ;  msbs: dst=0 src0=0 src1=0 src2=0
	s_delay_alu instid0(VALU_DEP_2)
	v_dot4_i32_iu8 v8, v11, v9, v8 neg_lo:[1,1,0]
	s_set_vgpr_msb 1                        ;  msbs: dst=0 src0=1 src1=0 src2=0
	v_dot4_i32_iu8 v9, v38 /*v294*/, v179, 0 neg_lo:[1,1,0]
	s_set_vgpr_msb 0                        ;  msbs: dst=0 src0=0 src1=0 src2=0
	v_perm_b32 v11, v129, v128, 0x6040503
	v_mad_u32 v4, v5, v161, v4
	v_cvt_f32_i32_e32 v5, v6
	s_set_vgpr_msb 1                        ;  msbs: dst=0 src0=1 src1=0 src2=0
	v_dot4_i32_iu8 v8, v5 /*v261*/, v131, v8 neg_lo:[1,1,0]
	s_set_vgpr_msb 0                        ;  msbs: dst=0 src0=0 src1=0 src2=0
	v_dot4_i32_iu8 v9, v20, v11, v9 neg_lo:[1,1,0]
	v_perm_b32 v11, v126, v129, 0x7060403
	s_delay_alu instid0(VALU_DEP_3) | instskip(NEXT) | instid1(VALU_DEP_2)
	v_mul_lo_u32 v2, v8, v125
	v_dot4_i32_iu8 v9, v10, v11, v9 neg_lo:[1,1,0]
	v_cvt_f32_i32_e32 v4, v4
	s_delay_alu instid0(VALU_DEP_2) | instskip(NEXT) | instid1(VALU_DEP_1)
	v_dot4_i32_iu8 v9, v23, v127, v9 neg_lo:[1,1,0]
	v_mad_u32 v2, v9, v163, v2
	s_delay_alu instid0(VALU_DEP_1) | instskip(NEXT) | instid1(VALU_DEP_1)
	v_cvt_f32_i32_e32 v2, v2
	v_pk_fma_f32 v[2:3], v[16:17], v[2:3], 0 op_sel_hi:[1,1,0]
	s_delay_alu instid0(VALU_DEP_1) | instskip(NEXT) | instid1(VALU_DEP_1)
	v_pk_fma_f32 v[0:1], v[0:1], v[4:5], v[2:3]
	v_pk_fma_f32 v[110:111], v[30:31], v[0:1], v[110:111]
	v_or_b32_e32 v0, s13, v195
	s_delay_alu instid0(VALU_DEP_1)
	v_lshlrev_b32_e32 v4, 2, v0
	s_set_vgpr_msb 64                       ;  msbs: dst=1 src0=0 src1=0 src2=0
	v_lshrrev_b32_e32 v2 /*v258*/, 1, v0
	s_set_vgpr_msb 0                        ;  msbs: dst=0 src0=0 src1=0 src2=0
	ds_load_b128 v[8:11], v4 offset:33280
	ds_load_b128 v[12:15], v4 offset:33296
	;; [unrolled: 1-line block ×4, first 2 shown]
	s_wait_dscnt 0x3
	s_set_vgpr_msb 64                       ;  msbs: dst=1 src0=0 src1=0 src2=0
	v_perm_b32 v6 /*v262*/, v9, v166, 0x6040503
	s_wait_dscnt 0x2
	s_set_vgpr_msb 0                        ;  msbs: dst=0 src0=0 src1=0 src2=0
	v_perm_b32 v21, v13, v12, 0x6040503
	s_wait_dscnt 0x1
	v_perm_b32 v20, v1, v150, 0x6040503
	s_wait_dscnt 0x0
	v_perm_b32 v17, v6, v6, 0xc0c0c01
	v_perm_b32 v16, v4, v171, 0x6040501
	;; [unrolled: 1-line block ×4, first 2 shown]
	s_set_vgpr_msb 64                       ;  msbs: dst=1 src0=0 src1=0 src2=0
	v_perm_b32 v7 /*v263*/, v167, v8, 0x6040503
	s_set_vgpr_msb 0                        ;  msbs: dst=0 src0=0 src1=0 src2=0
	v_or_b32_e32 v18, v253, v17
	s_delay_alu instid0(VALU_DEP_1) | instskip(SKIP_1) | instid1(VALU_DEP_1)
	v_dot4_i32_iu8 v16, v18, v16, 0 neg_lo:[1,1,0]
	v_perm_b32 v18, v170, v4, 0x6040503
	v_dot4_i32_iu8 v16, v19, v18, v16 neg_lo:[1,1,0]
	v_perm_b32 v18, v6, v5, 0x7060403
	v_perm_b32 v19, v150, v2, 0x6040501
	;; [unrolled: 1-line block ×3, first 2 shown]
	s_set_vgpr_msb 64                       ;  msbs: dst=1 src0=0 src1=0 src2=0
	s_delay_alu instid0(VALU_DEP_3) | instskip(SKIP_3) | instid1(VALU_DEP_2)
	v_dot4_i32_iu8 v3 /*v259*/, v254, v18, v16 neg_lo:[1,1,0]
	s_set_vgpr_msb 0                        ;  msbs: dst=0 src0=0 src1=0 src2=0
	v_perm_b32 v16, v0, v173, 0x6040501
	s_set_vgpr_msb 0x50                     ;  msbs: dst=1 src0=0 src1=0 src2=1
	v_dot4_i32_iu8 v29 /*v285*/, v7, v151, v3 /*v259*/ neg_lo:[1,1,0]
	s_set_vgpr_msb 0                        ;  msbs: dst=0 src0=0 src1=0 src2=0
	s_delay_alu instid0(VALU_DEP_2) | instskip(SKIP_1) | instid1(VALU_DEP_1)
	v_dot4_i32_iu8 v16, v19, v16, 0 neg_lo:[1,1,0]
	v_perm_b32 v19, v172, v0, 0x6040503
	v_dot4_i32_iu8 v16, v20, v19, v16 neg_lo:[1,1,0]
	v_perm_b32 v19, v2, v1, 0x7060403
	s_set_vgpr_msb 64                       ;  msbs: dst=1 src0=0 src1=0 src2=0
	s_delay_alu instid0(VALU_DEP_1) | instskip(SKIP_3) | instid1(VALU_DEP_2)
	v_dot4_i32_iu8 v4 /*v260*/, v255, v19, v16 neg_lo:[1,1,0]
	s_set_vgpr_msb 0                        ;  msbs: dst=0 src0=0 src1=0 src2=0
	v_perm_b32 v16, v12, v14, 0x6050401
	s_set_vgpr_msb 0x50                     ;  msbs: dst=1 src0=0 src1=0 src2=1
	v_dot4_i32_iu8 v28 /*v284*/, v3, v148, v4 /*v260*/ neg_lo:[1,1,0]
	s_set_vgpr_msb 0                        ;  msbs: dst=0 src0=0 src1=0 src2=0
	s_delay_alu instid0(VALU_DEP_2) | instskip(SKIP_1) | instid1(VALU_DEP_1)
	v_dot4_i32_iu8 v20, v16, v246, 0 neg_lo:[1,1,0]
	s_set_vgpr_msb 4                        ;  msbs: dst=0 src0=0 src1=1 src2=0
	v_dot4_i32_iu8 v20, v21, v0 /*v256*/, v20 neg_lo:[1,1,0]
	s_set_vgpr_msb 0                        ;  msbs: dst=0 src0=0 src1=0 src2=0
	s_delay_alu instid0(VALU_DEP_1) | instskip(SKIP_1) | instid1(VALU_DEP_1)
	v_dot4_i32_iu8 v20, v22, v249, v20 neg_lo:[1,1,0]
	s_set_vgpr_msb 64                       ;  msbs: dst=1 src0=0 src1=0 src2=0
	v_dot4_i32_iu8 v5 /*v261*/, v15, v169, v20 neg_lo:[1,1,0]
	s_set_vgpr_msb 0                        ;  msbs: dst=0 src0=0 src1=0 src2=0
	v_perm_b32 v20, v8, v10, 0x6050401
	s_set_vgpr_msb 4                        ;  msbs: dst=0 src0=0 src1=1 src2=0
	s_delay_alu instid0(VALU_DEP_1) | instskip(SKIP_1) | instid1(VALU_DEP_1)
	v_dot4_i32_iu8 v23, v20, v1 /*v257*/, 0 neg_lo:[1,1,0]
	s_set_vgpr_msb 5                        ;  msbs: dst=0 src0=1 src1=1 src2=0
	v_dot4_i32_iu8 v23, v7 /*v263*/, v6 /*v262*/, v23 neg_lo:[1,1,0]
	s_set_vgpr_msb 64                       ;  msbs: dst=1 src0=0 src1=0 src2=0
	v_perm_b32 v6 /*v262*/, v164, v9, 0x7060403
	v_perm_b32 v7 /*v263*/, v10, v167, 0x7060403
	s_set_vgpr_msb 5                        ;  msbs: dst=0 src0=1 src1=1 src2=0
	s_delay_alu instid0(VALU_DEP_1) | instskip(SKIP_2) | instid1(VALU_DEP_2)
	v_dot4_i32_iu8 v23, v7 /*v263*/, v6 /*v262*/, v23 neg_lo:[1,1,0]
	s_set_vgpr_msb 64                       ;  msbs: dst=1 src0=0 src1=0 src2=0
	v_perm_b32 v7 /*v263*/, v5, v120, 0x6040503
	v_dot4_i32_iu8 v6 /*v262*/, v11, v165, v23 neg_lo:[1,1,0]
	s_set_vgpr_msb 0                        ;  msbs: dst=0 src0=0 src1=0 src2=0
	v_perm_b32 v23, v4, v159, 0x6040501
	s_delay_alu instid0(VALU_DEP_1) | instskip(SKIP_2) | instid1(VALU_DEP_1)
	v_dot4_i32_iu8 v6, v6, v23, 0 neg_lo:[1,1,0]
	v_perm_b32 v23, v158, v4, 0x6040503
	s_set_vgpr_msb 1                        ;  msbs: dst=0 src0=1 src1=0 src2=0
	v_dot4_i32_iu8 v6, v7 /*v263*/, v23, v6 neg_lo:[1,1,0]
	s_set_vgpr_msb 0                        ;  msbs: dst=0 src0=0 src1=0 src2=0
	v_perm_b32 v23, v0, v160, 0x6040501
	s_set_vgpr_msb 64                       ;  msbs: dst=1 src0=0 src1=0 src2=0
	v_perm_b32 v7 /*v263*/, v162, v2, 0x6040501
	s_set_vgpr_msb 0                        ;  msbs: dst=0 src0=0 src1=0 src2=0
	v_dot4_i32_iu8 v6, v250, v18, v6 neg_lo:[1,1,0]
	s_set_vgpr_msb 1                        ;  msbs: dst=0 src0=1 src1=0 src2=0
	s_delay_alu instid0(VALU_DEP_2)
	v_dot4_i32_iu8 v23, v7 /*v263*/, v23, 0 neg_lo:[1,1,0]
	s_set_vgpr_msb 64                       ;  msbs: dst=1 src0=0 src1=0 src2=0
	v_perm_b32 v7 /*v263*/, v1, v0, 0x6040503
	s_set_vgpr_msb 0                        ;  msbs: dst=0 src0=0 src1=0 src2=0
	v_dot4_i32_iu8 v6, v7, v121, v6 neg_lo:[1,1,0]
	s_set_vgpr_msb 4                        ;  msbs: dst=0 src0=0 src1=1 src2=0
	s_delay_alu instid0(VALU_DEP_2) | instskip(SKIP_2) | instid1(VALU_DEP_2)
	v_dot4_i32_iu8 v23, v251, v7 /*v263*/, v23 neg_lo:[1,1,0]
	s_set_vgpr_msb 64                       ;  msbs: dst=1 src0=0 src1=0 src2=0
	v_perm_b32 v7 /*v263*/, v124, v14, 0x6050401
	v_dot4_i32_iu8 v8 /*v264*/, v252, v19, v23 neg_lo:[1,1,0]
	s_set_vgpr_msb 0                        ;  msbs: dst=0 src0=0 src1=0 src2=0
	v_perm_b32 v23, v12, v118, 0x6050401
	s_set_vgpr_msb 1                        ;  msbs: dst=0 src0=1 src1=0 src2=0
	s_delay_alu instid0(VALU_DEP_1) | instskip(SKIP_1) | instid1(VALU_DEP_1)
	v_dot4_i32_iu8 v23, v7 /*v263*/, v23, 0 neg_lo:[1,1,0]
	s_set_vgpr_msb 0                        ;  msbs: dst=0 src0=0 src1=0 src2=0
	v_dot4_i32_iu8 v21, v237, v21, v23 neg_lo:[1,1,0]
	v_perm_b32 v23, v123, v8, 0x6040503
	s_delay_alu instid0(VALU_DEP_2) | instskip(SKIP_2) | instid1(VALU_DEP_2)
	v_dot4_i32_iu8 v21, v238, v22, v21 neg_lo:[1,1,0]
	v_perm_b32 v22, v9, v122, 0x6040503
	s_set_vgpr_msb 64                       ;  msbs: dst=1 src0=0 src1=0 src2=0
	v_dot4_i32_iu8 v9 /*v265*/, v15, v119, v21 neg_lo:[1,1,0]
	s_set_vgpr_msb 0                        ;  msbs: dst=0 src0=0 src1=0 src2=0
	v_dot4_i32_iu8 v21, v20, v176, 0 neg_lo:[1,1,0]
	s_delay_alu instid0(VALU_DEP_1) | instskip(SKIP_3) | instid1(VALU_DEP_3)
	v_dot4_i32_iu8 v21, v23, v22, v21 neg_lo:[1,1,0]
	v_perm_b32 v22, v10, v9, 0x7060403
	v_perm_b32 v23, v5, v141, 0x6040503
	;; [unrolled: 1-line block ×3, first 2 shown]
	v_dot4_i32_iu8 v21, v239, v22, v21 neg_lo:[1,1,0]
	v_or_b32_e32 v22, v243, v17
	v_or_b32_e32 v17, v234, v17
	s_set_vgpr_msb 64                       ;  msbs: dst=1 src0=0 src1=0 src2=0
	s_delay_alu instid0(VALU_DEP_3) | instskip(SKIP_2) | instid1(VALU_DEP_1)
	v_dot4_i32_iu8 v10 /*v266*/, v11, v117, v21 neg_lo:[1,1,0]
	s_set_vgpr_msb 0                        ;  msbs: dst=0 src0=0 src1=0 src2=0
	v_perm_b32 v21, v4, v155, 0x6040501
	v_dot4_i32_iu8 v21, v22, v21, 0 neg_lo:[1,1,0]
	v_perm_b32 v22, v154, v4, 0x6040503
	s_delay_alu instid0(VALU_DEP_1)
	v_dot4_i32_iu8 v21, v23, v22, v21 neg_lo:[1,1,0]
	v_perm_b32 v22, v144, v2, 0x6040501
	v_perm_b32 v23, v1, v144, 0x6040503
	;; [unrolled: 1-line block ×4, first 2 shown]
	s_set_vgpr_msb 64                       ;  msbs: dst=1 src0=0 src1=0 src2=0
	v_dot4_i32_iu8 v11 /*v267*/, v244, v18, v21 neg_lo:[1,1,0]
	s_set_vgpr_msb 0                        ;  msbs: dst=0 src0=0 src1=0 src2=0
	v_perm_b32 v21, v0, v157, 0x6040501
	s_delay_alu instid0(VALU_DEP_1) | instskip(SKIP_1) | instid1(VALU_DEP_1)
	v_dot4_i32_iu8 v21, v22, v21, 0 neg_lo:[1,1,0]
	v_perm_b32 v22, v156, v0, 0x6040503
	v_dot4_i32_iu8 v21, v23, v22, v21 neg_lo:[1,1,0]
	v_perm_b32 v22, v13, v138, 0x6040503
	v_perm_b32 v23, v139, v12, 0x6040503
	s_set_vgpr_msb 64                       ;  msbs: dst=1 src0=0 src1=0 src2=0
	s_delay_alu instid0(VALU_DEP_3) | instskip(SKIP_2) | instid1(VALU_DEP_1)
	v_dot4_i32_iu8 v12 /*v268*/, v245, v19, v21 neg_lo:[1,1,0]
	s_set_vgpr_msb 0                        ;  msbs: dst=0 src0=0 src1=0 src2=0
	v_dot4_i32_iu8 v21, v16, v228, 0 neg_lo:[1,1,0]
	v_dot4_i32_iu8 v21, v23, v22, v21 neg_lo:[1,1,0]
	v_perm_b32 v22, v136, v13, 0x7060403
	v_perm_b32 v23, v14, v139, 0x7060403
	s_delay_alu instid0(VALU_DEP_1) | instskip(SKIP_3) | instid1(VALU_DEP_3)
	v_dot4_i32_iu8 v21, v23, v22, v21 neg_lo:[1,1,0]
	v_perm_b32 v22, v9, v142, 0x6040503
	v_perm_b32 v23, v143, v8, 0x6040503
	s_set_vgpr_msb 64                       ;  msbs: dst=1 src0=0 src1=0 src2=0
	v_dot4_i32_iu8 v13 /*v269*/, v15, v137, v21 neg_lo:[1,1,0]
	s_set_vgpr_msb 0                        ;  msbs: dst=0 src0=0 src1=0 src2=0
	v_dot4_i32_iu8 v21, v20, v233, 0 neg_lo:[1,1,0]
	s_delay_alu instid0(VALU_DEP_1) | instskip(SKIP_2) | instid1(VALU_DEP_1)
	v_dot4_i32_iu8 v21, v23, v22, v21 neg_lo:[1,1,0]
	v_perm_b32 v22, v134, v9, 0x7060403
	v_perm_b32 v23, v10, v143, 0x7060403
	v_dot4_i32_iu8 v21, v23, v22, v21 neg_lo:[1,1,0]
	s_set_vgpr_msb 64                       ;  msbs: dst=1 src0=0 src1=0 src2=0
	s_delay_alu instid0(VALU_DEP_1) | instskip(SKIP_3) | instid1(VALU_DEP_2)
	v_dot4_i32_iu8 v14 /*v270*/, v11, v135, v21 neg_lo:[1,1,0]
	s_set_vgpr_msb 0                        ;  msbs: dst=0 src0=0 src1=0 src2=0
	v_perm_b32 v21, v4, v147, 0x6040501
	v_perm_b32 v4, v146, v4, 0x6040503
	v_dot4_i32_iu8 v17, v17, v21, 0 neg_lo:[1,1,0]
	s_delay_alu instid0(VALU_DEP_1) | instskip(SKIP_1) | instid1(VALU_DEP_1)
	v_dot4_i32_iu8 v4, v5, v4, v17 neg_lo:[1,1,0]
	s_set_vgpr_msb 64                       ;  msbs: dst=1 src0=0 src1=0 src2=0
	v_dot4_i32_iu8 v15 /*v271*/, v235, v18, v4 neg_lo:[1,1,0]
	s_set_vgpr_msb 0                        ;  msbs: dst=0 src0=0 src1=0 src2=0
	v_perm_b32 v4, v0, v153, 0x6040501
	v_perm_b32 v0, v152, v0, 0x6040503
	s_delay_alu instid0(VALU_DEP_2) | instskip(SKIP_1) | instid1(VALU_DEP_2)
	v_dot4_i32_iu8 v2, v2, v4, 0 neg_lo:[1,1,0]
	v_perm_b32 v4, v133, v12, 0x6040503
	v_dot4_i32_iu8 v0, v1, v0, v2 neg_lo:[1,1,0]
	v_perm_b32 v1, v13, v132, 0x6040503
	s_delay_alu instid0(VALU_DEP_2) | instskip(SKIP_1) | instid1(VALU_DEP_1)
	v_dot4_i32_iu8 v2, v236, v19, v0 neg_lo:[1,1,0]
	v_dot4_i32_iu8 v0, v16, v227, 0 neg_lo:[1,1,0]
	;; [unrolled: 1-line block ×3, first 2 shown]
	v_perm_b32 v1, v130, v13, 0x7060403
	v_perm_b32 v4, v14, v133, 0x7060403
	s_delay_alu instid0(VALU_DEP_1) | instskip(SKIP_3) | instid1(VALU_DEP_3)
	v_dot4_i32_iu8 v0, v4, v1, v0 neg_lo:[1,1,0]
	v_perm_b32 v1, v9, v128, 0x6040503
	v_perm_b32 v4, v129, v8, 0x6040503
	s_set_vgpr_msb 64                       ;  msbs: dst=1 src0=0 src1=0 src2=0
	v_dot4_i32_iu8 v16 /*v272*/, v15, v131, v0 neg_lo:[1,1,0]
	s_set_vgpr_msb 0                        ;  msbs: dst=0 src0=0 src1=0 src2=0
	v_dot4_i32_iu8 v0, v20, v179, 0 neg_lo:[1,1,0]
	s_delay_alu instid0(VALU_DEP_1) | instskip(SKIP_2) | instid1(VALU_DEP_1)
	v_dot4_i32_iu8 v0, v4, v1, v0 neg_lo:[1,1,0]
	v_perm_b32 v1, v126, v9, 0x7060403
	v_perm_b32 v4, v10, v129, 0x7060403
	v_dot4_i32_iu8 v0, v4, v1, v0 neg_lo:[1,1,0]
	s_set_vgpr_msb 64                       ;  msbs: dst=1 src0=0 src1=0 src2=0
	s_delay_alu instid0(VALU_DEP_1) | instskip(SKIP_2) | instid1(VALU_DEP_1)
	v_dot4_i32_iu8 v17 /*v273*/, v11, v127, v0 neg_lo:[1,1,0]
	s_set_vgpr_msb 0                        ;  msbs: dst=0 src0=0 src1=0 src2=0
	v_or_b32_e32 v0, s13, v196
	v_lshlrev_b32_e32 v1, 2, v0
	ds_load_b128 v[8:11], v1 offset:33280
	ds_load_b128 v[12:15], v1 offset:33296
	;; [unrolled: 1-line block ×4, first 2 shown]
	v_lshrrev_b32_e32 v4, 1, v0
	s_wait_dscnt 0x3
	s_set_vgpr_msb 64                       ;  msbs: dst=1 src0=0 src1=0 src2=0
	v_perm_b32 v26 /*v282*/, v8, v10, 0x6050401
	s_wait_dscnt 0x2
	v_perm_b32 v22 /*v278*/, v12, v14, 0x6050401
	s_wait_dscnt 0x1
	v_perm_b32 v20 /*v276*/, v18, v17, 0x7060403
	s_wait_dscnt 0x0
	v_perm_b32 v18 /*v274*/, v22, v22, 0xc0c0c01
	s_set_vgpr_msb 0                        ;  msbs: dst=0 src0=0 src1=0 src2=0
	v_perm_b32 v0, v20, v171, 0x6040501
	v_perm_b32 v5, v21, v149, 0x6040503
	s_set_vgpr_msb 64                       ;  msbs: dst=1 src0=0 src1=0 src2=0
	v_perm_b32 v19 /*v275*/, v22, v21, 0x7060403
	v_perm_b32 v23 /*v279*/, v13, v12, 0x6040503
	s_set_vgpr_msb 4                        ;  msbs: dst=0 src0=0 src1=1 src2=0
	v_or_b32_e32 v1, v253, v18 /*v274*/
	s_set_vgpr_msb 64                       ;  msbs: dst=1 src0=0 src1=0 src2=0
	v_perm_b32 v24 /*v280*/, v14, v13, 0x7060403
	s_set_vgpr_msb 0                        ;  msbs: dst=0 src0=0 src1=0 src2=0
	s_delay_alu instid0(VALU_DEP_2) | instskip(SKIP_1) | instid1(VALU_DEP_1)
	v_dot4_i32_iu8 v0, v1, v0, 0 neg_lo:[1,1,0]
	v_perm_b32 v1, v170, v20, 0x6040503
	v_dot4_i32_iu8 v0, v5, v1, v0 neg_lo:[1,1,0]
	v_perm_b32 v1, v150, v18, 0x6040501
	v_perm_b32 v5, v17, v150, 0x6040503
	s_set_vgpr_msb 0x44                     ;  msbs: dst=1 src0=0 src1=1 src2=0
	s_delay_alu instid0(VALU_DEP_3) | instskip(SKIP_3) | instid1(VALU_DEP_2)
	v_dot4_i32_iu8 v7 /*v263*/, v254, v19 /*v275*/, v0 neg_lo:[1,1,0]
	s_set_vgpr_msb 0                        ;  msbs: dst=0 src0=0 src1=0 src2=0
	v_perm_b32 v0, v16, v173, 0x6040501
	s_set_vgpr_msb 0x50                     ;  msbs: dst=1 src0=0 src1=0 src2=1
	v_dot4_i32_iu8 v7 /*v263*/, v23, v151, v7 /*v263*/ neg_lo:[1,1,0]
	s_set_vgpr_msb 0                        ;  msbs: dst=0 src0=0 src1=0 src2=0
	s_delay_alu instid0(VALU_DEP_2) | instskip(SKIP_1) | instid1(VALU_DEP_1)
	v_dot4_i32_iu8 v0, v1, v0, 0 neg_lo:[1,1,0]
	v_perm_b32 v1, v172, v16, 0x6040503
	v_dot4_i32_iu8 v0, v5, v1, v0 neg_lo:[1,1,0]
	v_perm_b32 v1, v9, v166, 0x6040503
	v_perm_b32 v5, v167, v8, 0x6040503
	s_set_vgpr_msb 0x44                     ;  msbs: dst=1 src0=0 src1=1 src2=0
	s_delay_alu instid0(VALU_DEP_3) | instskip(SKIP_3) | instid1(VALU_DEP_2)
	v_dot4_i32_iu8 v21 /*v277*/, v255, v20 /*v276*/, v0 neg_lo:[1,1,0]
	s_set_vgpr_msb 1                        ;  msbs: dst=0 src0=1 src1=0 src2=0
	v_dot4_i32_iu8 v0, v22 /*v278*/, v246, 0 neg_lo:[1,1,0]
	s_set_vgpr_msb 0x50                     ;  msbs: dst=1 src0=0 src1=0 src2=1
	v_dot4_i32_iu8 v21 /*v277*/, v19, v148, v21 /*v277*/ neg_lo:[1,1,0]
	s_set_vgpr_msb 5                        ;  msbs: dst=0 src0=1 src1=1 src2=0
	s_delay_alu instid0(VALU_DEP_2) | instskip(SKIP_1) | instid1(VALU_DEP_1)
	v_dot4_i32_iu8 v0, v23 /*v279*/, v0 /*v256*/, v0 neg_lo:[1,1,0]
	s_set_vgpr_msb 1                        ;  msbs: dst=0 src0=1 src1=0 src2=0
	v_dot4_i32_iu8 v0, v24 /*v280*/, v249, v0 neg_lo:[1,1,0]
	s_set_vgpr_msb 64                       ;  msbs: dst=1 src0=0 src1=0 src2=0
	s_delay_alu instid0(VALU_DEP_1) | instskip(SKIP_3) | instid1(VALU_DEP_2)
	v_dot4_i32_iu8 v25 /*v281*/, v15, v169, v0 neg_lo:[1,1,0]
	s_set_vgpr_msb 5                        ;  msbs: dst=0 src0=1 src1=1 src2=0
	v_dot4_i32_iu8 v0, v26 /*v282*/, v1 /*v257*/, 0 neg_lo:[1,1,0]
	s_set_vgpr_msb 0x41                     ;  msbs: dst=1 src0=1 src1=0 src2=0
	v_mul_lo_u32 v3 /*v259*/, v25 /*v281*/, v229
	s_set_vgpr_msb 0                        ;  msbs: dst=0 src0=0 src1=0 src2=0
	s_delay_alu instid0(VALU_DEP_2) | instskip(SKIP_2) | instid1(VALU_DEP_1)
	v_dot4_i32_iu8 v0, v5, v1, v0 neg_lo:[1,1,0]
	v_perm_b32 v1, v164, v9, 0x7060403
	v_perm_b32 v5, v10, v167, 0x7060403
	v_dot4_i32_iu8 v0, v5, v1, v0 neg_lo:[1,1,0]
	s_set_vgpr_msb 64                       ;  msbs: dst=1 src0=0 src1=0 src2=0
	s_delay_alu instid0(VALU_DEP_1)
	v_dot4_i32_iu8 v27 /*v283*/, v11, v165, v0 neg_lo:[1,1,0]
	s_set_vgpr_msb 1                        ;  msbs: dst=0 src0=1 src1=0 src2=0
	ds_load_b64 v[0:1], v2 /*v258*/ offset:43584
	s_set_vgpr_msb 0                        ;  msbs: dst=0 src0=0 src1=0 src2=0
	ds_load_b64 v[4:5], v4 offset:43584
	s_set_vgpr_msb 0x51                     ;  msbs: dst=1 src0=1 src1=0 src2=1
	v_mul_lo_u32 v2 /*v258*/, v6 /*v262*/, v230
	v_mad_u32 v4 /*v260*/, v27 /*v283*/, v230, v3 /*v259*/
	s_delay_alu instid0(VALU_DEP_2)
	v_mad_u32 v2 /*v258*/, v5 /*v261*/, v229, v2 /*v258*/
	s_wait_dscnt 0x1
	s_set_vgpr_msb 64                       ;  msbs: dst=1 src0=0 src1=0 src2=0
	v_mov_b32_e32 v5 /*v261*/, v0
	s_set_vgpr_msb 1                        ;  msbs: dst=0 src0=1 src1=0 src2=0
	v_mul_lo_u32 v0, v28 /*v284*/, v247
	s_set_vgpr_msb 0x41                     ;  msbs: dst=1 src0=1 src1=0 src2=0
	s_delay_alu instid0(VALU_DEP_3)
	v_cvt_f32_i32_e32 v3 /*v259*/, v2 /*v258*/
	v_cvt_f32_i32_e32 v2 /*v258*/, v4 /*v260*/
	s_wait_dscnt 0x0
	s_set_vgpr_msb 64                       ;  msbs: dst=1 src0=0 src1=0 src2=0
	v_mov_b32_e32 v4 /*v260*/, v4
	s_set_vgpr_msb 1                        ;  msbs: dst=0 src0=1 src1=0 src2=0
	v_mul_lo_u32 v4, v7 /*v263*/, v248
	s_set_vgpr_msb 0x45                     ;  msbs: dst=1 src0=1 src1=1 src2=0
	s_delay_alu instid0(VALU_DEP_2) | instskip(SKIP_2) | instid1(VALU_DEP_3)
	v_pk_fma_f32 v[2:3] /*v[258:259]*/, v[4:5] /*v[260:261]*/, v[2:3] /*v[258:259]*/, 0 op_sel_hi:[1,1,0]
	s_set_vgpr_msb 1                        ;  msbs: dst=0 src0=1 src1=0 src2=0
	v_mad_u32 v0, v29 /*v285*/, v248, v0
	v_mad_u32 v4, v21 /*v277*/, v247, v4
	s_set_vgpr_msb 64                       ;  msbs: dst=1 src0=0 src1=0 src2=0
	s_delay_alu instid0(VALU_DEP_2) | instskip(SKIP_3) | instid1(VALU_DEP_3)
	v_cvt_f32_i32_e32 v7 /*v263*/, v0
	s_set_vgpr_msb 0                        ;  msbs: dst=0 src0=0 src1=0 src2=0
	v_mov_b32_e32 v0, v5
	s_set_vgpr_msb 64                       ;  msbs: dst=1 src0=0 src1=0 src2=0
	v_cvt_f32_i32_e32 v6 /*v262*/, v4
	s_set_vgpr_msb 20                       ;  msbs: dst=0 src0=0 src1=1 src2=1
	s_delay_alu instid0(VALU_DEP_1)
	v_pk_fma_f32 v[4:5], v[0:1], v[6:7] /*v[262:263]*/, v[2:3] /*v[258:259]*/
	s_set_vgpr_msb 64                       ;  msbs: dst=1 src0=0 src1=0 src2=0
	v_perm_b32 v2 /*v258*/, v124, v14, 0x6050401
	v_perm_b32 v3 /*v259*/, v9, v122, 0x6040503
	;; [unrolled: 1-line block ×3, first 2 shown]
	s_set_vgpr_msb 0                        ;  msbs: dst=0 src0=0 src1=0 src2=0
	v_pk_fma_f32 v[84:85], v[24:25], v[4:5], v[84:85]
	v_perm_b32 v4, v20, v159, 0x6040501
	v_perm_b32 v5, v120, v22, 0x6040501
	;; [unrolled: 1-line block ×3, first 2 shown]
	s_delay_alu instid0(VALU_DEP_2) | instskip(SKIP_1) | instid1(VALU_DEP_1)
	v_dot4_i32_iu8 v4, v5, v4, 0 neg_lo:[1,1,0]
	v_perm_b32 v5, v158, v20, 0x6040503
	v_dot4_i32_iu8 v4, v22, v5, v4 neg_lo:[1,1,0]
	v_perm_b32 v5, v16, v160, 0x6040501
	v_perm_b32 v22, v162, v18, 0x6040501
	s_set_vgpr_msb 4                        ;  msbs: dst=0 src0=0 src1=1 src2=0
	s_delay_alu instid0(VALU_DEP_3) | instskip(SKIP_1) | instid1(VALU_DEP_2)
	v_dot4_i32_iu8 v4, v250, v19 /*v275*/, v4 neg_lo:[1,1,0]
	s_set_vgpr_msb 0                        ;  msbs: dst=0 src0=0 src1=0 src2=0
	v_dot4_i32_iu8 v5, v22, v5, 0 neg_lo:[1,1,0]
	v_perm_b32 v22, v17, v16, 0x6040503
	s_delay_alu instid0(VALU_DEP_1) | instskip(SKIP_2) | instid1(VALU_DEP_2)
	v_dot4_i32_iu8 v5, v251, v22, v5 neg_lo:[1,1,0]
	v_perm_b32 v22, v12, v118, 0x6050401
	s_set_vgpr_msb 4                        ;  msbs: dst=0 src0=0 src1=1 src2=0
	v_dot4_i32_iu8 v5, v252, v20 /*v276*/, v5 neg_lo:[1,1,0]
	s_set_vgpr_msb 1                        ;  msbs: dst=0 src0=1 src1=0 src2=0
	s_delay_alu instid0(VALU_DEP_2) | instskip(SKIP_3) | instid1(VALU_DEP_2)
	v_dot4_i32_iu8 v22, v2 /*v258*/, v22, 0 neg_lo:[1,1,0]
	s_set_vgpr_msb 0x41                     ;  msbs: dst=1 src0=1 src1=0 src2=0
	v_dot4_i32_iu8 v2 /*v258*/, v26 /*v282*/, v176, 0 neg_lo:[1,1,0]
	s_set_vgpr_msb 4                        ;  msbs: dst=0 src0=0 src1=1 src2=0
	v_dot4_i32_iu8 v22, v237, v23 /*v279*/, v22 neg_lo:[1,1,0]
	s_set_vgpr_msb 0x55                     ;  msbs: dst=1 src0=1 src1=1 src2=1
	s_delay_alu instid0(VALU_DEP_2)
	v_dot4_i32_iu8 v2 /*v258*/, v6 /*v262*/, v3 /*v259*/, v2 /*v258*/ neg_lo:[1,1,0]
	s_set_vgpr_msb 64                       ;  msbs: dst=1 src0=0 src1=0 src2=0
	v_perm_b32 v3 /*v259*/, v10, v9, 0x7060403
	s_set_vgpr_msb 4                        ;  msbs: dst=0 src0=0 src1=1 src2=0
	v_dot4_i32_iu8 v22, v238, v24 /*v280*/, v22 neg_lo:[1,1,0]
	s_set_vgpr_msb 0x54                     ;  msbs: dst=1 src0=0 src1=1 src2=1
	s_delay_alu instid0(VALU_DEP_2)
	v_dot4_i32_iu8 v2 /*v258*/, v239, v3 /*v259*/, v2 /*v258*/ neg_lo:[1,1,0]
	s_set_vgpr_msb 64                       ;  msbs: dst=1 src0=0 src1=0 src2=0
	v_dot4_i32_iu8 v3 /*v259*/, v23, v121, v4 neg_lo:[1,1,0]
	s_set_vgpr_msb 0                        ;  msbs: dst=0 src0=0 src1=0 src2=0
	v_perm_b32 v4, v3, v3, 0x3020001
	v_dot4_i32_iu8 v22, v15, v119, v22 neg_lo:[1,1,0]
	s_set_vgpr_msb 0x50                     ;  msbs: dst=1 src0=0 src1=0 src2=1
	v_dot4_i32_iu8 v2 /*v258*/, v11, v117, v2 /*v258*/ neg_lo:[1,1,0]
	s_delay_alu instid0(VALU_DEP_3) | instskip(SKIP_3) | instid1(VALU_DEP_1)
	v_dot4_i32_iu8 v6 /*v262*/, v4, v242, v8 /*v264*/ neg_lo:[1,1,0]
	s_set_vgpr_msb 0                        ;  msbs: dst=0 src0=0 src1=0 src2=0
	v_perm_b32 v4, v19, v19, 0x3020001
	s_set_vgpr_msb 64                       ;  msbs: dst=1 src0=0 src1=0 src2=0
	v_dot4_i32_iu8 v7 /*v263*/, v4, v242, v5 neg_lo:[1,1,0]
	s_set_vgpr_msb 1                        ;  msbs: dst=0 src0=1 src1=0 src2=0
	v_mul_lo_u32 v4, v10 /*v266*/, v175
	s_set_vgpr_msb 0                        ;  msbs: dst=0 src0=0 src1=0 src2=0
	v_mul_lo_u32 v5, v22, v168
	s_set_vgpr_msb 1                        ;  msbs: dst=0 src0=1 src1=0 src2=0
	s_delay_alu instid0(VALU_DEP_2) | instskip(NEXT) | instid1(VALU_DEP_2)
	v_mad_u32 v4, v9 /*v265*/, v168, v4
	v_mad_u32 v22, v2 /*v258*/, v175, v5
	s_set_vgpr_msb 0x41                     ;  msbs: dst=1 src0=1 src1=0 src2=0
	v_mul_lo_u32 v2 /*v258*/, v3 /*v259*/, v241
	s_set_vgpr_msb 0                        ;  msbs: dst=0 src0=0 src1=0 src2=0
	s_delay_alu instid0(VALU_DEP_3) | instskip(NEXT) | instid1(VALU_DEP_3)
	v_cvt_f32_i32_e32 v5, v4
	v_cvt_f32_i32_e32 v4, v22
	s_set_vgpr_msb 1                        ;  msbs: dst=0 src0=1 src1=0 src2=0
	v_mul_lo_u32 v22, v6 /*v262*/, v240
	s_set_vgpr_msb 0x51                     ;  msbs: dst=1 src0=1 src1=0 src2=1
	s_delay_alu instid0(VALU_DEP_4)
	v_mad_u32 v2 /*v258*/, v7 /*v263*/, v240, v2 /*v258*/
	s_set_vgpr_msb 0x50                     ;  msbs: dst=1 src0=0 src1=0 src2=1
	v_dot4_i32_iu8 v6 /*v262*/, v7, v145, v11 /*v267*/ neg_lo:[1,1,0]
	s_set_vgpr_msb 16                       ;  msbs: dst=0 src0=0 src1=0 src2=1
	v_dot4_i32_iu8 v7, v7, v35, v15 /*v271*/ neg_lo:[1,1,0]
	s_set_vgpr_msb 1                        ;  msbs: dst=0 src0=1 src1=0 src2=0
	v_pk_fma_f32 v[4:5], v[4:5] /*v[260:261]*/, v[4:5], 0 op_sel_hi:[1,1,0]
	s_set_vgpr_msb 0                        ;  msbs: dst=0 src0=0 src1=0 src2=0
	v_mad_u32 v6, v6, v241, v22
	s_set_vgpr_msb 0x41                     ;  msbs: dst=1 src0=1 src1=0 src2=0
	v_cvt_f32_i32_e32 v2 /*v258*/, v2 /*v258*/
	s_set_vgpr_msb 0                        ;  msbs: dst=0 src0=0 src1=0 src2=0
	v_perm_b32 v22, v17, v144, 0x6040503
	s_set_vgpr_msb 64                       ;  msbs: dst=1 src0=0 src1=0 src2=0
	s_delay_alu instid0(VALU_DEP_3) | instskip(SKIP_3) | instid1(VALU_DEP_2)
	v_cvt_f32_i32_e32 v3 /*v259*/, v6
	s_set_vgpr_msb 0                        ;  msbs: dst=0 src0=0 src1=0 src2=0
	v_perm_b32 v6, v21, v141, 0x6040503
	s_set_vgpr_msb 4                        ;  msbs: dst=0 src0=0 src1=1 src2=0
	v_pk_fma_f32 v[4:5], v[0:1], v[2:3] /*v[258:259]*/, v[4:5]
	s_set_vgpr_msb 64                       ;  msbs: dst=1 src0=0 src1=0 src2=0
	v_perm_b32 v2 /*v258*/, v139, v12, 0x6040503
	v_perm_b32 v3 /*v259*/, v143, v8, 0x6040503
	s_set_vgpr_msb 0                        ;  msbs: dst=0 src0=0 src1=0 src2=0
	v_perm_b32 v12, v133, v12, 0x6040503
	v_perm_b32 v8, v129, v8, 0x6040503
	v_pk_fma_f32 v[94:95], v[26:27], v[4:5], v[94:95]
	v_perm_b32 v4, v20, v155, 0x6040501
	s_set_vgpr_msb 4                        ;  msbs: dst=0 src0=0 src1=1 src2=0
	v_or_b32_e32 v5, v243, v18 /*v274*/
	s_set_vgpr_msb 0                        ;  msbs: dst=0 src0=0 src1=0 src2=0
	s_delay_alu instid0(VALU_DEP_1) | instskip(SKIP_1) | instid1(VALU_DEP_1)
	v_dot4_i32_iu8 v4, v5, v4, 0 neg_lo:[1,1,0]
	v_perm_b32 v5, v154, v20, 0x6040503
	v_dot4_i32_iu8 v4, v6, v5, v4 neg_lo:[1,1,0]
	v_perm_b32 v5, v16, v157, 0x6040501
	v_perm_b32 v6, v144, v18, 0x6040501
	s_set_vgpr_msb 4                        ;  msbs: dst=0 src0=0 src1=1 src2=0
	s_delay_alu instid0(VALU_DEP_3) | instskip(SKIP_1) | instid1(VALU_DEP_2)
	v_dot4_i32_iu8 v4, v244, v19 /*v275*/, v4 neg_lo:[1,1,0]
	s_set_vgpr_msb 0                        ;  msbs: dst=0 src0=0 src1=0 src2=0
	v_dot4_i32_iu8 v5, v6, v5, 0 neg_lo:[1,1,0]
	v_perm_b32 v6, v156, v16, 0x6040503
	s_delay_alu instid0(VALU_DEP_1)
	v_dot4_i32_iu8 v5, v22, v6, v5 neg_lo:[1,1,0]
	s_set_vgpr_msb 1                        ;  msbs: dst=0 src0=1 src1=0 src2=0
	v_dot4_i32_iu8 v6, v22 /*v278*/, v228, 0 neg_lo:[1,1,0]
	s_set_vgpr_msb 0                        ;  msbs: dst=0 src0=0 src1=0 src2=0
	v_perm_b32 v22, v13, v138, 0x6040503
	s_set_vgpr_msb 4                        ;  msbs: dst=0 src0=0 src1=1 src2=0
	v_dot4_i32_iu8 v5, v245, v20 /*v276*/, v5 neg_lo:[1,1,0]
	s_set_vgpr_msb 1                        ;  msbs: dst=0 src0=1 src1=0 src2=0
	s_delay_alu instid0(VALU_DEP_2)
	v_dot4_i32_iu8 v6, v2 /*v258*/, v22, v6 neg_lo:[1,1,0]
	s_set_vgpr_msb 0                        ;  msbs: dst=0 src0=0 src1=0 src2=0
	v_perm_b32 v22, v136, v13, 0x7060403
	s_set_vgpr_msb 64                       ;  msbs: dst=1 src0=0 src1=0 src2=0
	v_perm_b32 v2 /*v258*/, v14, v139, 0x7060403
	v_dot4_i32_iu8 v7 /*v263*/, v19, v140, v5 neg_lo:[1,1,0]
	s_set_vgpr_msb 1                        ;  msbs: dst=0 src0=1 src1=0 src2=0
	s_delay_alu instid0(VALU_DEP_2)
	v_dot4_i32_iu8 v6, v2 /*v258*/, v22, v6 neg_lo:[1,1,0]
	v_dot4_i32_iu8 v22, v26 /*v282*/, v233, 0 neg_lo:[1,1,0]
	s_set_vgpr_msb 64                       ;  msbs: dst=1 src0=0 src1=0 src2=0
	v_perm_b32 v2 /*v258*/, v9, v142, 0x6040503
	s_set_vgpr_msb 0                        ;  msbs: dst=0 src0=0 src1=0 src2=0
	v_dot4_i32_iu8 v6, v15, v137, v6 neg_lo:[1,1,0]
	s_set_vgpr_msb 5                        ;  msbs: dst=0 src0=1 src1=1 src2=0
	s_delay_alu instid0(VALU_DEP_2)
	v_dot4_i32_iu8 v22, v3 /*v259*/, v2 /*v258*/, v22 neg_lo:[1,1,0]
	s_set_vgpr_msb 64                       ;  msbs: dst=1 src0=0 src1=0 src2=0
	v_perm_b32 v2 /*v258*/, v134, v9, 0x7060403
	v_perm_b32 v3 /*v259*/, v10, v143, 0x7060403
	s_set_vgpr_msb 0                        ;  msbs: dst=0 src0=0 src1=0 src2=0
	v_mul_lo_u32 v5, v6, v177
	v_perm_b32 v10, v10, v129, 0x7060403
	s_set_vgpr_msb 5                        ;  msbs: dst=0 src0=1 src1=1 src2=0
	v_dot4_i32_iu8 v22, v3 /*v259*/, v2 /*v258*/, v22 neg_lo:[1,1,0]
	s_set_vgpr_msb 64                       ;  msbs: dst=1 src0=0 src1=0 src2=0
	v_dot4_i32_iu8 v2 /*v258*/, v23, v145, v4 neg_lo:[1,1,0]
	s_set_vgpr_msb 1                        ;  msbs: dst=0 src0=1 src1=0 src2=0
	v_mul_lo_u32 v4, v14 /*v270*/, v178
	s_set_vgpr_msb 0x50                     ;  msbs: dst=1 src0=0 src1=0 src2=1
	v_dot4_i32_iu8 v3 /*v259*/, v3, v140, v12 /*v268*/ neg_lo:[1,1,0]
	s_set_vgpr_msb 0                        ;  msbs: dst=0 src0=0 src1=0 src2=0
	v_dot4_i32_iu8 v22, v11, v135, v22 neg_lo:[1,1,0]
	s_delay_alu instid0(VALU_DEP_1) | instskip(SKIP_3) | instid1(VALU_DEP_2)
	v_mad_u32 v6, v22, v178, v5
	s_set_vgpr_msb 1                        ;  msbs: dst=0 src0=1 src1=0 src2=0
	v_mul_lo_u32 v22, v2 /*v258*/, v231
	v_mad_u32 v4, v13 /*v269*/, v177, v4
	v_mad_u32 v22, v7 /*v263*/, v232, v22
	s_set_vgpr_msb 0                        ;  msbs: dst=0 src0=0 src1=0 src2=0
	s_delay_alu instid0(VALU_DEP_2) | instskip(SKIP_3) | instid1(VALU_DEP_2)
	v_cvt_f32_i32_e32 v5, v4
	v_cvt_f32_i32_e32 v4, v6
	s_set_vgpr_msb 1                        ;  msbs: dst=0 src0=1 src1=0 src2=0
	v_mul_lo_u32 v6, v3 /*v259*/, v232
	v_pk_fma_f32 v[4:5], v[4:5] /*v[260:261]*/, v[4:5], 0 op_sel_hi:[1,1,0]
	s_set_vgpr_msb 64                       ;  msbs: dst=1 src0=0 src1=0 src2=0
	v_cvt_f32_i32_e32 v2 /*v258*/, v22
	s_set_vgpr_msb 1                        ;  msbs: dst=0 src0=1 src1=0 src2=0
	s_delay_alu instid0(VALU_DEP_3) | instskip(SKIP_1) | instid1(VALU_DEP_1)
	v_mad_u32 v6, v6 /*v262*/, v231, v6
	s_set_vgpr_msb 64                       ;  msbs: dst=1 src0=0 src1=0 src2=0
	v_cvt_f32_i32_e32 v3 /*v259*/, v6
	s_set_vgpr_msb 0                        ;  msbs: dst=0 src0=0 src1=0 src2=0
	v_perm_b32 v6, v21, v33, 0x6040503
	s_set_vgpr_msb 4                        ;  msbs: dst=0 src0=0 src1=1 src2=0
	s_delay_alu instid0(VALU_DEP_2) | instskip(SKIP_1) | instid1(VALU_DEP_1)
	v_pk_fma_f32 v[4:5], v[0:1], v[2:3] /*v[258:259]*/, v[4:5]
	s_set_vgpr_msb 0                        ;  msbs: dst=0 src0=0 src1=0 src2=0
	v_pk_fma_f32 v[102:103], v[28:29], v[4:5], v[102:103]
	v_perm_b32 v4, v20, v147, 0x6040501
	s_set_vgpr_msb 4                        ;  msbs: dst=0 src0=0 src1=1 src2=0
	v_or_b32_e32 v5, v234, v18 /*v274*/
	s_set_vgpr_msb 0                        ;  msbs: dst=0 src0=0 src1=0 src2=0
	s_delay_alu instid0(VALU_DEP_1) | instskip(SKIP_1) | instid1(VALU_DEP_1)
	v_dot4_i32_iu8 v4, v5, v4, 0 neg_lo:[1,1,0]
	v_perm_b32 v5, v146, v20, 0x6040503
	v_dot4_i32_iu8 v4, v6, v5, v4 neg_lo:[1,1,0]
	v_perm_b32 v5, v16, v153, 0x6040501
	v_perm_b32 v6, v34, v18, 0x6040501
	s_set_vgpr_msb 4                        ;  msbs: dst=0 src0=0 src1=1 src2=0
	s_delay_alu instid0(VALU_DEP_3) | instskip(SKIP_1) | instid1(VALU_DEP_2)
	v_dot4_i32_iu8 v4, v235, v19 /*v275*/, v4 neg_lo:[1,1,0]
	s_set_vgpr_msb 0                        ;  msbs: dst=0 src0=0 src1=0 src2=0
	v_dot4_i32_iu8 v5, v6, v5, 0 neg_lo:[1,1,0]
	v_perm_b32 v6, v152, v16, 0x6040503
	v_perm_b32 v16, v17, v34, 0x6040503
	v_dot4_i32_iu8 v4, v23, v35, v4 neg_lo:[1,1,0]
	s_delay_alu instid0(VALU_DEP_2)
	v_dot4_i32_iu8 v5, v16, v6, v5 neg_lo:[1,1,0]
	s_set_vgpr_msb 1                        ;  msbs: dst=0 src0=1 src1=0 src2=0
	v_dot4_i32_iu8 v6, v22 /*v278*/, v227, 0 neg_lo:[1,1,0]
	s_set_vgpr_msb 0                        ;  msbs: dst=0 src0=0 src1=0 src2=0
	v_perm_b32 v16, v13, v132, 0x6040503
	v_mul_lo_u32 v4, v4, v116
	s_set_vgpr_msb 4                        ;  msbs: dst=0 src0=0 src1=1 src2=0
	v_dot4_i32_iu8 v5, v236, v20 /*v276*/, v5 neg_lo:[1,1,0]
	s_set_vgpr_msb 0                        ;  msbs: dst=0 src0=0 src1=0 src2=0
	v_dot4_i32_iu8 v6, v12, v16, v6 neg_lo:[1,1,0]
	v_perm_b32 v12, v130, v13, 0x7060403
	v_perm_b32 v13, v14, v133, 0x7060403
	v_dot4_i32_iu8 v5, v19, v32, v5 neg_lo:[1,1,0]
	s_delay_alu instid0(VALU_DEP_2)
	v_dot4_i32_iu8 v6, v13, v12, v6 neg_lo:[1,1,0]
	s_set_vgpr_msb 1                        ;  msbs: dst=0 src0=1 src1=0 src2=0
	v_dot4_i32_iu8 v12, v26 /*v282*/, v179, 0 neg_lo:[1,1,0]
	s_set_vgpr_msb 0                        ;  msbs: dst=0 src0=0 src1=0 src2=0
	v_perm_b32 v13, v9, v128, 0x6040503
	v_perm_b32 v9, v126, v9, 0x7060403
	v_mad_u32 v4, v5, v161, v4
	v_dot4_i32_iu8 v6, v15, v131, v6 neg_lo:[1,1,0]
	s_delay_alu instid0(VALU_DEP_4) | instskip(NEXT) | instid1(VALU_DEP_1)
	v_dot4_i32_iu8 v8, v8, v13, v12 neg_lo:[1,1,0]
	v_dot4_i32_iu8 v8, v10, v9, v8 neg_lo:[1,1,0]
	v_dot4_i32_iu8 v9, v3, v32, v2 neg_lo:[1,1,0]
	s_set_vgpr_msb 1                        ;  msbs: dst=0 src0=1 src1=0 src2=0
	v_mul_lo_u32 v2, v17 /*v273*/, v163
	s_set_vgpr_msb 0                        ;  msbs: dst=0 src0=0 src1=0 src2=0
	v_mul_lo_u32 v3, v6, v125
	v_cvt_f32_i32_e32 v4, v4
	v_dot4_i32_iu8 v8, v11, v127, v8 neg_lo:[1,1,0]
	s_set_vgpr_msb 1                        ;  msbs: dst=0 src0=1 src1=0 src2=0
	s_delay_alu instid0(VALU_DEP_4) | instskip(SKIP_1) | instid1(VALU_DEP_2)
	v_mad_u32 v2, v16 /*v272*/, v125, v2
	s_set_vgpr_msb 0                        ;  msbs: dst=0 src0=0 src1=0 src2=0
	v_mad_u32 v6, v8, v163, v3
	s_delay_alu instid0(VALU_DEP_2) | instskip(NEXT) | instid1(VALU_DEP_2)
	v_cvt_f32_i32_e32 v3, v2
	v_cvt_f32_i32_e32 v2, v6
	v_mul_lo_u32 v6, v9, v161
	s_set_vgpr_msb 1                        ;  msbs: dst=0 src0=1 src1=0 src2=0
	s_delay_alu instid0(VALU_DEP_2) | instskip(SKIP_1) | instid1(VALU_DEP_2)
	v_pk_fma_f32 v[2:3], v[4:5] /*v[260:261]*/, v[2:3], 0 op_sel_hi:[1,1,0]
	s_set_vgpr_msb 0                        ;  msbs: dst=0 src0=0 src1=0 src2=0
	v_mad_u32 v5, v7, v116, v6
	s_delay_alu instid0(VALU_DEP_1) | instskip(NEXT) | instid1(VALU_DEP_1)
	v_cvt_f32_i32_e32 v5, v5
	v_pk_fma_f32 v[0:1], v[0:1], v[4:5], v[2:3]
	s_delay_alu instid0(VALU_DEP_1) | instskip(SKIP_1) | instid1(VALU_DEP_1)
	v_pk_fma_f32 v[108:109], v[30:31], v[0:1], v[108:109]
	v_or_b32_e32 v0, s13, v197
	v_lshlrev_b32_e32 v4, 2, v0
	s_set_vgpr_msb 64                       ;  msbs: dst=1 src0=0 src1=0 src2=0
	v_lshrrev_b32_e32 v2 /*v258*/, 1, v0
	s_set_vgpr_msb 0                        ;  msbs: dst=0 src0=0 src1=0 src2=0
	ds_load_b128 v[8:11], v4 offset:33280
	ds_load_b128 v[12:15], v4 offset:33296
	;; [unrolled: 1-line block ×4, first 2 shown]
	s_wait_dscnt 0x3
	s_set_vgpr_msb 64                       ;  msbs: dst=1 src0=0 src1=0 src2=0
	v_perm_b32 v6 /*v262*/, v9, v166, 0x6040503
	s_wait_dscnt 0x2
	s_set_vgpr_msb 0                        ;  msbs: dst=0 src0=0 src1=0 src2=0
	v_perm_b32 v21, v13, v12, 0x6040503
	s_wait_dscnt 0x1
	v_perm_b32 v20, v1, v150, 0x6040503
	s_wait_dscnt 0x0
	v_perm_b32 v17, v6, v6, 0xc0c0c01
	v_perm_b32 v16, v4, v171, 0x6040501
	;; [unrolled: 1-line block ×4, first 2 shown]
	s_set_vgpr_msb 64                       ;  msbs: dst=1 src0=0 src1=0 src2=0
	v_perm_b32 v7 /*v263*/, v167, v8, 0x6040503
	s_set_vgpr_msb 0                        ;  msbs: dst=0 src0=0 src1=0 src2=0
	v_or_b32_e32 v18, v253, v17
	s_delay_alu instid0(VALU_DEP_1) | instskip(SKIP_1) | instid1(VALU_DEP_1)
	v_dot4_i32_iu8 v16, v18, v16, 0 neg_lo:[1,1,0]
	v_perm_b32 v18, v170, v4, 0x6040503
	v_dot4_i32_iu8 v16, v19, v18, v16 neg_lo:[1,1,0]
	v_perm_b32 v18, v6, v5, 0x7060403
	v_perm_b32 v19, v150, v2, 0x6040501
	;; [unrolled: 1-line block ×3, first 2 shown]
	s_set_vgpr_msb 64                       ;  msbs: dst=1 src0=0 src1=0 src2=0
	s_delay_alu instid0(VALU_DEP_3) | instskip(SKIP_3) | instid1(VALU_DEP_2)
	v_dot4_i32_iu8 v3 /*v259*/, v254, v18, v16 neg_lo:[1,1,0]
	s_set_vgpr_msb 0                        ;  msbs: dst=0 src0=0 src1=0 src2=0
	v_perm_b32 v16, v0, v173, 0x6040501
	s_set_vgpr_msb 0x50                     ;  msbs: dst=1 src0=0 src1=0 src2=1
	v_dot4_i32_iu8 v29 /*v285*/, v7, v151, v3 /*v259*/ neg_lo:[1,1,0]
	s_set_vgpr_msb 0                        ;  msbs: dst=0 src0=0 src1=0 src2=0
	s_delay_alu instid0(VALU_DEP_2) | instskip(SKIP_1) | instid1(VALU_DEP_1)
	v_dot4_i32_iu8 v16, v19, v16, 0 neg_lo:[1,1,0]
	v_perm_b32 v19, v172, v0, 0x6040503
	v_dot4_i32_iu8 v16, v20, v19, v16 neg_lo:[1,1,0]
	v_perm_b32 v19, v2, v1, 0x7060403
	s_set_vgpr_msb 64                       ;  msbs: dst=1 src0=0 src1=0 src2=0
	s_delay_alu instid0(VALU_DEP_1) | instskip(SKIP_3) | instid1(VALU_DEP_2)
	v_dot4_i32_iu8 v4 /*v260*/, v255, v19, v16 neg_lo:[1,1,0]
	s_set_vgpr_msb 0                        ;  msbs: dst=0 src0=0 src1=0 src2=0
	v_perm_b32 v16, v12, v14, 0x6050401
	s_set_vgpr_msb 0x50                     ;  msbs: dst=1 src0=0 src1=0 src2=1
	v_dot4_i32_iu8 v28 /*v284*/, v3, v148, v4 /*v260*/ neg_lo:[1,1,0]
	s_set_vgpr_msb 0                        ;  msbs: dst=0 src0=0 src1=0 src2=0
	s_delay_alu instid0(VALU_DEP_2) | instskip(SKIP_1) | instid1(VALU_DEP_1)
	v_dot4_i32_iu8 v20, v16, v246, 0 neg_lo:[1,1,0]
	s_set_vgpr_msb 4                        ;  msbs: dst=0 src0=0 src1=1 src2=0
	v_dot4_i32_iu8 v20, v21, v0 /*v256*/, v20 neg_lo:[1,1,0]
	s_set_vgpr_msb 0                        ;  msbs: dst=0 src0=0 src1=0 src2=0
	s_delay_alu instid0(VALU_DEP_1) | instskip(SKIP_1) | instid1(VALU_DEP_1)
	v_dot4_i32_iu8 v20, v22, v249, v20 neg_lo:[1,1,0]
	s_set_vgpr_msb 64                       ;  msbs: dst=1 src0=0 src1=0 src2=0
	v_dot4_i32_iu8 v5 /*v261*/, v15, v169, v20 neg_lo:[1,1,0]
	s_set_vgpr_msb 0                        ;  msbs: dst=0 src0=0 src1=0 src2=0
	v_perm_b32 v20, v8, v10, 0x6050401
	s_set_vgpr_msb 4                        ;  msbs: dst=0 src0=0 src1=1 src2=0
	s_delay_alu instid0(VALU_DEP_1) | instskip(SKIP_1) | instid1(VALU_DEP_1)
	v_dot4_i32_iu8 v23, v20, v1 /*v257*/, 0 neg_lo:[1,1,0]
	s_set_vgpr_msb 5                        ;  msbs: dst=0 src0=1 src1=1 src2=0
	v_dot4_i32_iu8 v23, v7 /*v263*/, v6 /*v262*/, v23 neg_lo:[1,1,0]
	s_set_vgpr_msb 64                       ;  msbs: dst=1 src0=0 src1=0 src2=0
	v_perm_b32 v6 /*v262*/, v164, v9, 0x7060403
	v_perm_b32 v7 /*v263*/, v10, v167, 0x7060403
	s_set_vgpr_msb 5                        ;  msbs: dst=0 src0=1 src1=1 src2=0
	s_delay_alu instid0(VALU_DEP_1) | instskip(SKIP_2) | instid1(VALU_DEP_2)
	v_dot4_i32_iu8 v23, v7 /*v263*/, v6 /*v262*/, v23 neg_lo:[1,1,0]
	s_set_vgpr_msb 64                       ;  msbs: dst=1 src0=0 src1=0 src2=0
	v_perm_b32 v7 /*v263*/, v5, v120, 0x6040503
	v_dot4_i32_iu8 v6 /*v262*/, v11, v165, v23 neg_lo:[1,1,0]
	s_set_vgpr_msb 0                        ;  msbs: dst=0 src0=0 src1=0 src2=0
	v_perm_b32 v23, v4, v159, 0x6040501
	s_delay_alu instid0(VALU_DEP_1) | instskip(SKIP_2) | instid1(VALU_DEP_1)
	v_dot4_i32_iu8 v6, v6, v23, 0 neg_lo:[1,1,0]
	v_perm_b32 v23, v158, v4, 0x6040503
	s_set_vgpr_msb 1                        ;  msbs: dst=0 src0=1 src1=0 src2=0
	v_dot4_i32_iu8 v6, v7 /*v263*/, v23, v6 neg_lo:[1,1,0]
	s_set_vgpr_msb 0                        ;  msbs: dst=0 src0=0 src1=0 src2=0
	v_perm_b32 v23, v0, v160, 0x6040501
	s_set_vgpr_msb 64                       ;  msbs: dst=1 src0=0 src1=0 src2=0
	v_perm_b32 v7 /*v263*/, v162, v2, 0x6040501
	s_set_vgpr_msb 0                        ;  msbs: dst=0 src0=0 src1=0 src2=0
	v_dot4_i32_iu8 v6, v250, v18, v6 neg_lo:[1,1,0]
	s_set_vgpr_msb 1                        ;  msbs: dst=0 src0=1 src1=0 src2=0
	s_delay_alu instid0(VALU_DEP_2)
	v_dot4_i32_iu8 v23, v7 /*v263*/, v23, 0 neg_lo:[1,1,0]
	s_set_vgpr_msb 64                       ;  msbs: dst=1 src0=0 src1=0 src2=0
	v_perm_b32 v7 /*v263*/, v1, v0, 0x6040503
	s_set_vgpr_msb 0                        ;  msbs: dst=0 src0=0 src1=0 src2=0
	v_dot4_i32_iu8 v6, v7, v121, v6 neg_lo:[1,1,0]
	s_set_vgpr_msb 4                        ;  msbs: dst=0 src0=0 src1=1 src2=0
	s_delay_alu instid0(VALU_DEP_2) | instskip(SKIP_2) | instid1(VALU_DEP_2)
	v_dot4_i32_iu8 v23, v251, v7 /*v263*/, v23 neg_lo:[1,1,0]
	s_set_vgpr_msb 64                       ;  msbs: dst=1 src0=0 src1=0 src2=0
	v_perm_b32 v7 /*v263*/, v124, v14, 0x6050401
	v_dot4_i32_iu8 v8 /*v264*/, v252, v19, v23 neg_lo:[1,1,0]
	s_set_vgpr_msb 0                        ;  msbs: dst=0 src0=0 src1=0 src2=0
	v_perm_b32 v23, v12, v118, 0x6050401
	s_set_vgpr_msb 1                        ;  msbs: dst=0 src0=1 src1=0 src2=0
	s_delay_alu instid0(VALU_DEP_1) | instskip(SKIP_1) | instid1(VALU_DEP_1)
	v_dot4_i32_iu8 v23, v7 /*v263*/, v23, 0 neg_lo:[1,1,0]
	s_set_vgpr_msb 0                        ;  msbs: dst=0 src0=0 src1=0 src2=0
	v_dot4_i32_iu8 v21, v237, v21, v23 neg_lo:[1,1,0]
	v_perm_b32 v23, v123, v8, 0x6040503
	s_delay_alu instid0(VALU_DEP_2) | instskip(SKIP_2) | instid1(VALU_DEP_2)
	v_dot4_i32_iu8 v21, v238, v22, v21 neg_lo:[1,1,0]
	v_perm_b32 v22, v9, v122, 0x6040503
	s_set_vgpr_msb 64                       ;  msbs: dst=1 src0=0 src1=0 src2=0
	v_dot4_i32_iu8 v9 /*v265*/, v15, v119, v21 neg_lo:[1,1,0]
	s_set_vgpr_msb 0                        ;  msbs: dst=0 src0=0 src1=0 src2=0
	v_dot4_i32_iu8 v21, v20, v176, 0 neg_lo:[1,1,0]
	s_delay_alu instid0(VALU_DEP_1) | instskip(SKIP_3) | instid1(VALU_DEP_3)
	v_dot4_i32_iu8 v21, v23, v22, v21 neg_lo:[1,1,0]
	v_perm_b32 v22, v10, v9, 0x7060403
	v_perm_b32 v23, v5, v141, 0x6040503
	;; [unrolled: 1-line block ×3, first 2 shown]
	v_dot4_i32_iu8 v21, v239, v22, v21 neg_lo:[1,1,0]
	v_or_b32_e32 v22, v243, v17
	v_or_b32_e32 v17, v234, v17
	s_set_vgpr_msb 64                       ;  msbs: dst=1 src0=0 src1=0 src2=0
	s_delay_alu instid0(VALU_DEP_3) | instskip(SKIP_2) | instid1(VALU_DEP_1)
	v_dot4_i32_iu8 v10 /*v266*/, v11, v117, v21 neg_lo:[1,1,0]
	s_set_vgpr_msb 0                        ;  msbs: dst=0 src0=0 src1=0 src2=0
	v_perm_b32 v21, v4, v155, 0x6040501
	v_dot4_i32_iu8 v21, v22, v21, 0 neg_lo:[1,1,0]
	v_perm_b32 v22, v154, v4, 0x6040503
	s_delay_alu instid0(VALU_DEP_1)
	v_dot4_i32_iu8 v21, v23, v22, v21 neg_lo:[1,1,0]
	v_perm_b32 v22, v144, v2, 0x6040501
	v_perm_b32 v23, v1, v144, 0x6040503
	;; [unrolled: 1-line block ×4, first 2 shown]
	s_set_vgpr_msb 64                       ;  msbs: dst=1 src0=0 src1=0 src2=0
	v_dot4_i32_iu8 v11 /*v267*/, v244, v18, v21 neg_lo:[1,1,0]
	s_set_vgpr_msb 0                        ;  msbs: dst=0 src0=0 src1=0 src2=0
	v_perm_b32 v21, v0, v157, 0x6040501
	s_delay_alu instid0(VALU_DEP_1) | instskip(SKIP_1) | instid1(VALU_DEP_1)
	v_dot4_i32_iu8 v21, v22, v21, 0 neg_lo:[1,1,0]
	v_perm_b32 v22, v156, v0, 0x6040503
	v_dot4_i32_iu8 v21, v23, v22, v21 neg_lo:[1,1,0]
	v_perm_b32 v22, v13, v138, 0x6040503
	v_perm_b32 v23, v139, v12, 0x6040503
	s_set_vgpr_msb 64                       ;  msbs: dst=1 src0=0 src1=0 src2=0
	s_delay_alu instid0(VALU_DEP_3) | instskip(SKIP_2) | instid1(VALU_DEP_1)
	v_dot4_i32_iu8 v12 /*v268*/, v245, v19, v21 neg_lo:[1,1,0]
	s_set_vgpr_msb 0                        ;  msbs: dst=0 src0=0 src1=0 src2=0
	v_dot4_i32_iu8 v21, v16, v228, 0 neg_lo:[1,1,0]
	v_dot4_i32_iu8 v21, v23, v22, v21 neg_lo:[1,1,0]
	v_perm_b32 v22, v136, v13, 0x7060403
	v_perm_b32 v23, v14, v139, 0x7060403
	s_delay_alu instid0(VALU_DEP_1) | instskip(SKIP_3) | instid1(VALU_DEP_3)
	v_dot4_i32_iu8 v21, v23, v22, v21 neg_lo:[1,1,0]
	v_perm_b32 v22, v9, v142, 0x6040503
	v_perm_b32 v23, v143, v8, 0x6040503
	s_set_vgpr_msb 64                       ;  msbs: dst=1 src0=0 src1=0 src2=0
	v_dot4_i32_iu8 v13 /*v269*/, v15, v137, v21 neg_lo:[1,1,0]
	s_set_vgpr_msb 0                        ;  msbs: dst=0 src0=0 src1=0 src2=0
	v_dot4_i32_iu8 v21, v20, v233, 0 neg_lo:[1,1,0]
	s_delay_alu instid0(VALU_DEP_1) | instskip(SKIP_2) | instid1(VALU_DEP_1)
	v_dot4_i32_iu8 v21, v23, v22, v21 neg_lo:[1,1,0]
	v_perm_b32 v22, v134, v9, 0x7060403
	v_perm_b32 v23, v10, v143, 0x7060403
	v_dot4_i32_iu8 v21, v23, v22, v21 neg_lo:[1,1,0]
	s_set_vgpr_msb 64                       ;  msbs: dst=1 src0=0 src1=0 src2=0
	s_delay_alu instid0(VALU_DEP_1) | instskip(SKIP_3) | instid1(VALU_DEP_2)
	v_dot4_i32_iu8 v14 /*v270*/, v11, v135, v21 neg_lo:[1,1,0]
	s_set_vgpr_msb 0                        ;  msbs: dst=0 src0=0 src1=0 src2=0
	v_perm_b32 v21, v4, v147, 0x6040501
	v_perm_b32 v4, v146, v4, 0x6040503
	v_dot4_i32_iu8 v17, v17, v21, 0 neg_lo:[1,1,0]
	s_delay_alu instid0(VALU_DEP_1) | instskip(SKIP_1) | instid1(VALU_DEP_1)
	v_dot4_i32_iu8 v4, v5, v4, v17 neg_lo:[1,1,0]
	s_set_vgpr_msb 64                       ;  msbs: dst=1 src0=0 src1=0 src2=0
	v_dot4_i32_iu8 v15 /*v271*/, v235, v18, v4 neg_lo:[1,1,0]
	s_set_vgpr_msb 0                        ;  msbs: dst=0 src0=0 src1=0 src2=0
	v_perm_b32 v4, v0, v153, 0x6040501
	v_perm_b32 v0, v152, v0, 0x6040503
	s_delay_alu instid0(VALU_DEP_2) | instskip(SKIP_1) | instid1(VALU_DEP_2)
	v_dot4_i32_iu8 v2, v2, v4, 0 neg_lo:[1,1,0]
	v_perm_b32 v4, v133, v12, 0x6040503
	v_dot4_i32_iu8 v0, v1, v0, v2 neg_lo:[1,1,0]
	v_perm_b32 v1, v13, v132, 0x6040503
	s_delay_alu instid0(VALU_DEP_2) | instskip(SKIP_1) | instid1(VALU_DEP_1)
	v_dot4_i32_iu8 v2, v236, v19, v0 neg_lo:[1,1,0]
	v_dot4_i32_iu8 v0, v16, v227, 0 neg_lo:[1,1,0]
	;; [unrolled: 1-line block ×3, first 2 shown]
	v_perm_b32 v1, v130, v13, 0x7060403
	v_perm_b32 v4, v14, v133, 0x7060403
	s_delay_alu instid0(VALU_DEP_1) | instskip(SKIP_3) | instid1(VALU_DEP_3)
	v_dot4_i32_iu8 v0, v4, v1, v0 neg_lo:[1,1,0]
	v_perm_b32 v1, v9, v128, 0x6040503
	v_perm_b32 v4, v129, v8, 0x6040503
	s_set_vgpr_msb 64                       ;  msbs: dst=1 src0=0 src1=0 src2=0
	v_dot4_i32_iu8 v16 /*v272*/, v15, v131, v0 neg_lo:[1,1,0]
	s_set_vgpr_msb 0                        ;  msbs: dst=0 src0=0 src1=0 src2=0
	v_dot4_i32_iu8 v0, v20, v179, 0 neg_lo:[1,1,0]
	s_delay_alu instid0(VALU_DEP_1) | instskip(SKIP_2) | instid1(VALU_DEP_1)
	v_dot4_i32_iu8 v0, v4, v1, v0 neg_lo:[1,1,0]
	v_perm_b32 v1, v126, v9, 0x7060403
	v_perm_b32 v4, v10, v129, 0x7060403
	v_dot4_i32_iu8 v0, v4, v1, v0 neg_lo:[1,1,0]
	s_set_vgpr_msb 64                       ;  msbs: dst=1 src0=0 src1=0 src2=0
	s_delay_alu instid0(VALU_DEP_1) | instskip(SKIP_2) | instid1(VALU_DEP_1)
	v_dot4_i32_iu8 v17 /*v273*/, v11, v127, v0 neg_lo:[1,1,0]
	s_set_vgpr_msb 0                        ;  msbs: dst=0 src0=0 src1=0 src2=0
	v_or_b32_e32 v0, s13, v198
	v_lshlrev_b32_e32 v1, 2, v0
	ds_load_b128 v[8:11], v1 offset:33280
	ds_load_b128 v[12:15], v1 offset:33296
	ds_load_b128 v[16:19], v1 offset:33312
	ds_load_b128 v[20:23], v1 offset:33328
	v_lshrrev_b32_e32 v4, 1, v0
	s_wait_dscnt 0x3
	s_set_vgpr_msb 64                       ;  msbs: dst=1 src0=0 src1=0 src2=0
	v_perm_b32 v26 /*v282*/, v8, v10, 0x6050401
	s_wait_dscnt 0x2
	v_perm_b32 v22 /*v278*/, v12, v14, 0x6050401
	s_wait_dscnt 0x1
	;; [unrolled: 2-line block ×3, first 2 shown]
	v_perm_b32 v18 /*v274*/, v22, v22, 0xc0c0c01
	s_set_vgpr_msb 0                        ;  msbs: dst=0 src0=0 src1=0 src2=0
	v_perm_b32 v0, v20, v171, 0x6040501
	v_perm_b32 v5, v21, v149, 0x6040503
	s_set_vgpr_msb 64                       ;  msbs: dst=1 src0=0 src1=0 src2=0
	v_perm_b32 v19 /*v275*/, v22, v21, 0x7060403
	v_perm_b32 v23 /*v279*/, v13, v12, 0x6040503
	s_set_vgpr_msb 4                        ;  msbs: dst=0 src0=0 src1=1 src2=0
	v_or_b32_e32 v1, v253, v18 /*v274*/
	s_set_vgpr_msb 64                       ;  msbs: dst=1 src0=0 src1=0 src2=0
	v_perm_b32 v24 /*v280*/, v14, v13, 0x7060403
	s_set_vgpr_msb 0                        ;  msbs: dst=0 src0=0 src1=0 src2=0
	s_delay_alu instid0(VALU_DEP_2) | instskip(SKIP_1) | instid1(VALU_DEP_1)
	v_dot4_i32_iu8 v0, v1, v0, 0 neg_lo:[1,1,0]
	v_perm_b32 v1, v170, v20, 0x6040503
	v_dot4_i32_iu8 v0, v5, v1, v0 neg_lo:[1,1,0]
	v_perm_b32 v1, v150, v18, 0x6040501
	v_perm_b32 v5, v17, v150, 0x6040503
	s_set_vgpr_msb 0x44                     ;  msbs: dst=1 src0=0 src1=1 src2=0
	s_delay_alu instid0(VALU_DEP_3) | instskip(SKIP_3) | instid1(VALU_DEP_2)
	v_dot4_i32_iu8 v7 /*v263*/, v254, v19 /*v275*/, v0 neg_lo:[1,1,0]
	s_set_vgpr_msb 0                        ;  msbs: dst=0 src0=0 src1=0 src2=0
	v_perm_b32 v0, v16, v173, 0x6040501
	s_set_vgpr_msb 0x50                     ;  msbs: dst=1 src0=0 src1=0 src2=1
	v_dot4_i32_iu8 v7 /*v263*/, v23, v151, v7 /*v263*/ neg_lo:[1,1,0]
	s_set_vgpr_msb 0                        ;  msbs: dst=0 src0=0 src1=0 src2=0
	s_delay_alu instid0(VALU_DEP_2) | instskip(SKIP_1) | instid1(VALU_DEP_1)
	v_dot4_i32_iu8 v0, v1, v0, 0 neg_lo:[1,1,0]
	v_perm_b32 v1, v172, v16, 0x6040503
	v_dot4_i32_iu8 v0, v5, v1, v0 neg_lo:[1,1,0]
	v_perm_b32 v1, v9, v166, 0x6040503
	v_perm_b32 v5, v167, v8, 0x6040503
	s_set_vgpr_msb 0x44                     ;  msbs: dst=1 src0=0 src1=1 src2=0
	s_delay_alu instid0(VALU_DEP_3) | instskip(SKIP_3) | instid1(VALU_DEP_2)
	v_dot4_i32_iu8 v21 /*v277*/, v255, v20 /*v276*/, v0 neg_lo:[1,1,0]
	s_set_vgpr_msb 1                        ;  msbs: dst=0 src0=1 src1=0 src2=0
	v_dot4_i32_iu8 v0, v22 /*v278*/, v246, 0 neg_lo:[1,1,0]
	s_set_vgpr_msb 0x50                     ;  msbs: dst=1 src0=0 src1=0 src2=1
	v_dot4_i32_iu8 v21 /*v277*/, v19, v148, v21 /*v277*/ neg_lo:[1,1,0]
	s_set_vgpr_msb 5                        ;  msbs: dst=0 src0=1 src1=1 src2=0
	s_delay_alu instid0(VALU_DEP_2) | instskip(SKIP_1) | instid1(VALU_DEP_1)
	v_dot4_i32_iu8 v0, v23 /*v279*/, v0 /*v256*/, v0 neg_lo:[1,1,0]
	s_set_vgpr_msb 1                        ;  msbs: dst=0 src0=1 src1=0 src2=0
	v_dot4_i32_iu8 v0, v24 /*v280*/, v249, v0 neg_lo:[1,1,0]
	s_set_vgpr_msb 64                       ;  msbs: dst=1 src0=0 src1=0 src2=0
	s_delay_alu instid0(VALU_DEP_1) | instskip(SKIP_3) | instid1(VALU_DEP_2)
	v_dot4_i32_iu8 v25 /*v281*/, v15, v169, v0 neg_lo:[1,1,0]
	s_set_vgpr_msb 5                        ;  msbs: dst=0 src0=1 src1=1 src2=0
	v_dot4_i32_iu8 v0, v26 /*v282*/, v1 /*v257*/, 0 neg_lo:[1,1,0]
	s_set_vgpr_msb 0x41                     ;  msbs: dst=1 src0=1 src1=0 src2=0
	v_mul_lo_u32 v3 /*v259*/, v25 /*v281*/, v229
	s_set_vgpr_msb 0                        ;  msbs: dst=0 src0=0 src1=0 src2=0
	s_delay_alu instid0(VALU_DEP_2) | instskip(SKIP_2) | instid1(VALU_DEP_1)
	v_dot4_i32_iu8 v0, v5, v1, v0 neg_lo:[1,1,0]
	v_perm_b32 v1, v164, v9, 0x7060403
	v_perm_b32 v5, v10, v167, 0x7060403
	v_dot4_i32_iu8 v0, v5, v1, v0 neg_lo:[1,1,0]
	s_set_vgpr_msb 64                       ;  msbs: dst=1 src0=0 src1=0 src2=0
	s_delay_alu instid0(VALU_DEP_1)
	v_dot4_i32_iu8 v27 /*v283*/, v11, v165, v0 neg_lo:[1,1,0]
	s_set_vgpr_msb 1                        ;  msbs: dst=0 src0=1 src1=0 src2=0
	ds_load_b64 v[0:1], v2 /*v258*/ offset:43584
	s_set_vgpr_msb 0                        ;  msbs: dst=0 src0=0 src1=0 src2=0
	ds_load_b64 v[4:5], v4 offset:43584
	s_set_vgpr_msb 0x51                     ;  msbs: dst=1 src0=1 src1=0 src2=1
	v_mul_lo_u32 v2 /*v258*/, v6 /*v262*/, v230
	v_mad_u32 v4 /*v260*/, v27 /*v283*/, v230, v3 /*v259*/
	s_delay_alu instid0(VALU_DEP_2)
	v_mad_u32 v2 /*v258*/, v5 /*v261*/, v229, v2 /*v258*/
	s_wait_dscnt 0x1
	s_set_vgpr_msb 64                       ;  msbs: dst=1 src0=0 src1=0 src2=0
	v_mov_b32_e32 v5 /*v261*/, v0
	s_set_vgpr_msb 1                        ;  msbs: dst=0 src0=1 src1=0 src2=0
	v_mul_lo_u32 v0, v28 /*v284*/, v247
	s_set_vgpr_msb 0x41                     ;  msbs: dst=1 src0=1 src1=0 src2=0
	s_delay_alu instid0(VALU_DEP_3)
	v_cvt_f32_i32_e32 v3 /*v259*/, v2 /*v258*/
	v_cvt_f32_i32_e32 v2 /*v258*/, v4 /*v260*/
	s_wait_dscnt 0x0
	s_set_vgpr_msb 64                       ;  msbs: dst=1 src0=0 src1=0 src2=0
	v_mov_b32_e32 v4 /*v260*/, v4
	s_set_vgpr_msb 1                        ;  msbs: dst=0 src0=1 src1=0 src2=0
	v_mul_lo_u32 v4, v7 /*v263*/, v248
	s_set_vgpr_msb 0x45                     ;  msbs: dst=1 src0=1 src1=1 src2=0
	s_delay_alu instid0(VALU_DEP_2) | instskip(SKIP_2) | instid1(VALU_DEP_3)
	v_pk_fma_f32 v[2:3] /*v[258:259]*/, v[4:5] /*v[260:261]*/, v[2:3] /*v[258:259]*/, 0 op_sel_hi:[1,1,0]
	s_set_vgpr_msb 1                        ;  msbs: dst=0 src0=1 src1=0 src2=0
	v_mad_u32 v0, v29 /*v285*/, v248, v0
	v_mad_u32 v4, v21 /*v277*/, v247, v4
	s_set_vgpr_msb 64                       ;  msbs: dst=1 src0=0 src1=0 src2=0
	s_delay_alu instid0(VALU_DEP_2) | instskip(SKIP_3) | instid1(VALU_DEP_3)
	v_cvt_f32_i32_e32 v7 /*v263*/, v0
	s_set_vgpr_msb 0                        ;  msbs: dst=0 src0=0 src1=0 src2=0
	v_mov_b32_e32 v0, v5
	s_set_vgpr_msb 64                       ;  msbs: dst=1 src0=0 src1=0 src2=0
	v_cvt_f32_i32_e32 v6 /*v262*/, v4
	s_set_vgpr_msb 20                       ;  msbs: dst=0 src0=0 src1=1 src2=1
	s_delay_alu instid0(VALU_DEP_1)
	v_pk_fma_f32 v[4:5], v[0:1], v[6:7] /*v[262:263]*/, v[2:3] /*v[258:259]*/
	s_set_vgpr_msb 64                       ;  msbs: dst=1 src0=0 src1=0 src2=0
	v_perm_b32 v2 /*v258*/, v124, v14, 0x6050401
	v_perm_b32 v3 /*v259*/, v9, v122, 0x6040503
	;; [unrolled: 1-line block ×3, first 2 shown]
	s_set_vgpr_msb 0                        ;  msbs: dst=0 src0=0 src1=0 src2=0
	v_pk_fma_f32 v[78:79], v[24:25], v[4:5], v[78:79]
	v_perm_b32 v4, v20, v159, 0x6040501
	v_perm_b32 v5, v120, v22, 0x6040501
	;; [unrolled: 1-line block ×3, first 2 shown]
	s_delay_alu instid0(VALU_DEP_2) | instskip(SKIP_1) | instid1(VALU_DEP_1)
	v_dot4_i32_iu8 v4, v5, v4, 0 neg_lo:[1,1,0]
	v_perm_b32 v5, v158, v20, 0x6040503
	v_dot4_i32_iu8 v4, v22, v5, v4 neg_lo:[1,1,0]
	v_perm_b32 v5, v16, v160, 0x6040501
	v_perm_b32 v22, v162, v18, 0x6040501
	s_set_vgpr_msb 4                        ;  msbs: dst=0 src0=0 src1=1 src2=0
	s_delay_alu instid0(VALU_DEP_3) | instskip(SKIP_1) | instid1(VALU_DEP_2)
	v_dot4_i32_iu8 v4, v250, v19 /*v275*/, v4 neg_lo:[1,1,0]
	s_set_vgpr_msb 0                        ;  msbs: dst=0 src0=0 src1=0 src2=0
	v_dot4_i32_iu8 v5, v22, v5, 0 neg_lo:[1,1,0]
	v_perm_b32 v22, v17, v16, 0x6040503
	s_delay_alu instid0(VALU_DEP_1) | instskip(SKIP_2) | instid1(VALU_DEP_2)
	v_dot4_i32_iu8 v5, v251, v22, v5 neg_lo:[1,1,0]
	v_perm_b32 v22, v12, v118, 0x6050401
	s_set_vgpr_msb 4                        ;  msbs: dst=0 src0=0 src1=1 src2=0
	v_dot4_i32_iu8 v5, v252, v20 /*v276*/, v5 neg_lo:[1,1,0]
	s_set_vgpr_msb 1                        ;  msbs: dst=0 src0=1 src1=0 src2=0
	s_delay_alu instid0(VALU_DEP_2) | instskip(SKIP_3) | instid1(VALU_DEP_2)
	v_dot4_i32_iu8 v22, v2 /*v258*/, v22, 0 neg_lo:[1,1,0]
	s_set_vgpr_msb 0x41                     ;  msbs: dst=1 src0=1 src1=0 src2=0
	v_dot4_i32_iu8 v2 /*v258*/, v26 /*v282*/, v176, 0 neg_lo:[1,1,0]
	s_set_vgpr_msb 4                        ;  msbs: dst=0 src0=0 src1=1 src2=0
	v_dot4_i32_iu8 v22, v237, v23 /*v279*/, v22 neg_lo:[1,1,0]
	s_set_vgpr_msb 0x55                     ;  msbs: dst=1 src0=1 src1=1 src2=1
	s_delay_alu instid0(VALU_DEP_2)
	v_dot4_i32_iu8 v2 /*v258*/, v6 /*v262*/, v3 /*v259*/, v2 /*v258*/ neg_lo:[1,1,0]
	s_set_vgpr_msb 64                       ;  msbs: dst=1 src0=0 src1=0 src2=0
	v_perm_b32 v3 /*v259*/, v10, v9, 0x7060403
	s_set_vgpr_msb 4                        ;  msbs: dst=0 src0=0 src1=1 src2=0
	v_dot4_i32_iu8 v22, v238, v24 /*v280*/, v22 neg_lo:[1,1,0]
	s_set_vgpr_msb 0x54                     ;  msbs: dst=1 src0=0 src1=1 src2=1
	s_delay_alu instid0(VALU_DEP_2)
	v_dot4_i32_iu8 v2 /*v258*/, v239, v3 /*v259*/, v2 /*v258*/ neg_lo:[1,1,0]
	s_set_vgpr_msb 64                       ;  msbs: dst=1 src0=0 src1=0 src2=0
	v_dot4_i32_iu8 v3 /*v259*/, v23, v121, v4 neg_lo:[1,1,0]
	s_set_vgpr_msb 0                        ;  msbs: dst=0 src0=0 src1=0 src2=0
	v_perm_b32 v4, v3, v3, 0x3020001
	v_dot4_i32_iu8 v22, v15, v119, v22 neg_lo:[1,1,0]
	s_set_vgpr_msb 0x50                     ;  msbs: dst=1 src0=0 src1=0 src2=1
	v_dot4_i32_iu8 v2 /*v258*/, v11, v117, v2 /*v258*/ neg_lo:[1,1,0]
	s_delay_alu instid0(VALU_DEP_3) | instskip(SKIP_3) | instid1(VALU_DEP_1)
	v_dot4_i32_iu8 v6 /*v262*/, v4, v242, v8 /*v264*/ neg_lo:[1,1,0]
	s_set_vgpr_msb 0                        ;  msbs: dst=0 src0=0 src1=0 src2=0
	v_perm_b32 v4, v19, v19, 0x3020001
	s_set_vgpr_msb 64                       ;  msbs: dst=1 src0=0 src1=0 src2=0
	v_dot4_i32_iu8 v7 /*v263*/, v4, v242, v5 neg_lo:[1,1,0]
	s_set_vgpr_msb 1                        ;  msbs: dst=0 src0=1 src1=0 src2=0
	v_mul_lo_u32 v4, v10 /*v266*/, v175
	s_set_vgpr_msb 0                        ;  msbs: dst=0 src0=0 src1=0 src2=0
	v_mul_lo_u32 v5, v22, v168
	s_set_vgpr_msb 1                        ;  msbs: dst=0 src0=1 src1=0 src2=0
	s_delay_alu instid0(VALU_DEP_2) | instskip(NEXT) | instid1(VALU_DEP_2)
	v_mad_u32 v4, v9 /*v265*/, v168, v4
	v_mad_u32 v22, v2 /*v258*/, v175, v5
	s_set_vgpr_msb 0x41                     ;  msbs: dst=1 src0=1 src1=0 src2=0
	v_mul_lo_u32 v2 /*v258*/, v3 /*v259*/, v241
	s_set_vgpr_msb 0                        ;  msbs: dst=0 src0=0 src1=0 src2=0
	s_delay_alu instid0(VALU_DEP_3) | instskip(NEXT) | instid1(VALU_DEP_3)
	v_cvt_f32_i32_e32 v5, v4
	v_cvt_f32_i32_e32 v4, v22
	s_set_vgpr_msb 1                        ;  msbs: dst=0 src0=1 src1=0 src2=0
	v_mul_lo_u32 v22, v6 /*v262*/, v240
	s_set_vgpr_msb 0x51                     ;  msbs: dst=1 src0=1 src1=0 src2=1
	s_delay_alu instid0(VALU_DEP_4)
	v_mad_u32 v2 /*v258*/, v7 /*v263*/, v240, v2 /*v258*/
	s_set_vgpr_msb 0x50                     ;  msbs: dst=1 src0=0 src1=0 src2=1
	v_dot4_i32_iu8 v6 /*v262*/, v7, v145, v11 /*v267*/ neg_lo:[1,1,0]
	s_set_vgpr_msb 16                       ;  msbs: dst=0 src0=0 src1=0 src2=1
	v_dot4_i32_iu8 v7, v7, v35, v15 /*v271*/ neg_lo:[1,1,0]
	s_set_vgpr_msb 1                        ;  msbs: dst=0 src0=1 src1=0 src2=0
	v_pk_fma_f32 v[4:5], v[4:5] /*v[260:261]*/, v[4:5], 0 op_sel_hi:[1,1,0]
	s_set_vgpr_msb 0                        ;  msbs: dst=0 src0=0 src1=0 src2=0
	v_mad_u32 v6, v6, v241, v22
	s_set_vgpr_msb 0x41                     ;  msbs: dst=1 src0=1 src1=0 src2=0
	v_cvt_f32_i32_e32 v2 /*v258*/, v2 /*v258*/
	s_set_vgpr_msb 0                        ;  msbs: dst=0 src0=0 src1=0 src2=0
	v_perm_b32 v22, v17, v144, 0x6040503
	s_set_vgpr_msb 64                       ;  msbs: dst=1 src0=0 src1=0 src2=0
	s_delay_alu instid0(VALU_DEP_3) | instskip(SKIP_3) | instid1(VALU_DEP_2)
	v_cvt_f32_i32_e32 v3 /*v259*/, v6
	s_set_vgpr_msb 0                        ;  msbs: dst=0 src0=0 src1=0 src2=0
	v_perm_b32 v6, v21, v141, 0x6040503
	s_set_vgpr_msb 4                        ;  msbs: dst=0 src0=0 src1=1 src2=0
	v_pk_fma_f32 v[4:5], v[0:1], v[2:3] /*v[258:259]*/, v[4:5]
	s_set_vgpr_msb 64                       ;  msbs: dst=1 src0=0 src1=0 src2=0
	v_perm_b32 v2 /*v258*/, v139, v12, 0x6040503
	v_perm_b32 v3 /*v259*/, v143, v8, 0x6040503
	s_set_vgpr_msb 0                        ;  msbs: dst=0 src0=0 src1=0 src2=0
	v_perm_b32 v12, v133, v12, 0x6040503
	v_perm_b32 v8, v129, v8, 0x6040503
	v_pk_fma_f32 v[86:87], v[26:27], v[4:5], v[86:87]
	v_perm_b32 v4, v20, v155, 0x6040501
	s_set_vgpr_msb 4                        ;  msbs: dst=0 src0=0 src1=1 src2=0
	v_or_b32_e32 v5, v243, v18 /*v274*/
	s_set_vgpr_msb 0                        ;  msbs: dst=0 src0=0 src1=0 src2=0
	s_delay_alu instid0(VALU_DEP_1) | instskip(SKIP_1) | instid1(VALU_DEP_1)
	v_dot4_i32_iu8 v4, v5, v4, 0 neg_lo:[1,1,0]
	v_perm_b32 v5, v154, v20, 0x6040503
	v_dot4_i32_iu8 v4, v6, v5, v4 neg_lo:[1,1,0]
	v_perm_b32 v5, v16, v157, 0x6040501
	v_perm_b32 v6, v144, v18, 0x6040501
	s_set_vgpr_msb 4                        ;  msbs: dst=0 src0=0 src1=1 src2=0
	s_delay_alu instid0(VALU_DEP_3) | instskip(SKIP_1) | instid1(VALU_DEP_2)
	v_dot4_i32_iu8 v4, v244, v19 /*v275*/, v4 neg_lo:[1,1,0]
	s_set_vgpr_msb 0                        ;  msbs: dst=0 src0=0 src1=0 src2=0
	v_dot4_i32_iu8 v5, v6, v5, 0 neg_lo:[1,1,0]
	v_perm_b32 v6, v156, v16, 0x6040503
	s_delay_alu instid0(VALU_DEP_1)
	v_dot4_i32_iu8 v5, v22, v6, v5 neg_lo:[1,1,0]
	s_set_vgpr_msb 1                        ;  msbs: dst=0 src0=1 src1=0 src2=0
	v_dot4_i32_iu8 v6, v22 /*v278*/, v228, 0 neg_lo:[1,1,0]
	s_set_vgpr_msb 0                        ;  msbs: dst=0 src0=0 src1=0 src2=0
	v_perm_b32 v22, v13, v138, 0x6040503
	s_set_vgpr_msb 4                        ;  msbs: dst=0 src0=0 src1=1 src2=0
	v_dot4_i32_iu8 v5, v245, v20 /*v276*/, v5 neg_lo:[1,1,0]
	s_set_vgpr_msb 1                        ;  msbs: dst=0 src0=1 src1=0 src2=0
	s_delay_alu instid0(VALU_DEP_2)
	v_dot4_i32_iu8 v6, v2 /*v258*/, v22, v6 neg_lo:[1,1,0]
	s_set_vgpr_msb 0                        ;  msbs: dst=0 src0=0 src1=0 src2=0
	v_perm_b32 v22, v136, v13, 0x7060403
	s_set_vgpr_msb 64                       ;  msbs: dst=1 src0=0 src1=0 src2=0
	v_perm_b32 v2 /*v258*/, v14, v139, 0x7060403
	v_dot4_i32_iu8 v7 /*v263*/, v19, v140, v5 neg_lo:[1,1,0]
	s_set_vgpr_msb 1                        ;  msbs: dst=0 src0=1 src1=0 src2=0
	s_delay_alu instid0(VALU_DEP_2)
	v_dot4_i32_iu8 v6, v2 /*v258*/, v22, v6 neg_lo:[1,1,0]
	v_dot4_i32_iu8 v22, v26 /*v282*/, v233, 0 neg_lo:[1,1,0]
	s_set_vgpr_msb 64                       ;  msbs: dst=1 src0=0 src1=0 src2=0
	v_perm_b32 v2 /*v258*/, v9, v142, 0x6040503
	s_set_vgpr_msb 0                        ;  msbs: dst=0 src0=0 src1=0 src2=0
	v_dot4_i32_iu8 v6, v15, v137, v6 neg_lo:[1,1,0]
	s_set_vgpr_msb 5                        ;  msbs: dst=0 src0=1 src1=1 src2=0
	s_delay_alu instid0(VALU_DEP_2)
	v_dot4_i32_iu8 v22, v3 /*v259*/, v2 /*v258*/, v22 neg_lo:[1,1,0]
	s_set_vgpr_msb 64                       ;  msbs: dst=1 src0=0 src1=0 src2=0
	v_perm_b32 v2 /*v258*/, v134, v9, 0x7060403
	v_perm_b32 v3 /*v259*/, v10, v143, 0x7060403
	s_set_vgpr_msb 0                        ;  msbs: dst=0 src0=0 src1=0 src2=0
	v_mul_lo_u32 v5, v6, v177
	v_perm_b32 v10, v10, v129, 0x7060403
	s_set_vgpr_msb 5                        ;  msbs: dst=0 src0=1 src1=1 src2=0
	v_dot4_i32_iu8 v22, v3 /*v259*/, v2 /*v258*/, v22 neg_lo:[1,1,0]
	s_set_vgpr_msb 64                       ;  msbs: dst=1 src0=0 src1=0 src2=0
	v_dot4_i32_iu8 v2 /*v258*/, v23, v145, v4 neg_lo:[1,1,0]
	s_set_vgpr_msb 1                        ;  msbs: dst=0 src0=1 src1=0 src2=0
	v_mul_lo_u32 v4, v14 /*v270*/, v178
	s_set_vgpr_msb 0x50                     ;  msbs: dst=1 src0=0 src1=0 src2=1
	v_dot4_i32_iu8 v3 /*v259*/, v3, v140, v12 /*v268*/ neg_lo:[1,1,0]
	s_set_vgpr_msb 0                        ;  msbs: dst=0 src0=0 src1=0 src2=0
	v_dot4_i32_iu8 v22, v11, v135, v22 neg_lo:[1,1,0]
	s_delay_alu instid0(VALU_DEP_1) | instskip(SKIP_3) | instid1(VALU_DEP_2)
	v_mad_u32 v6, v22, v178, v5
	s_set_vgpr_msb 1                        ;  msbs: dst=0 src0=1 src1=0 src2=0
	v_mul_lo_u32 v22, v2 /*v258*/, v231
	v_mad_u32 v4, v13 /*v269*/, v177, v4
	v_mad_u32 v22, v7 /*v263*/, v232, v22
	s_set_vgpr_msb 0                        ;  msbs: dst=0 src0=0 src1=0 src2=0
	s_delay_alu instid0(VALU_DEP_2) | instskip(SKIP_3) | instid1(VALU_DEP_2)
	v_cvt_f32_i32_e32 v5, v4
	v_cvt_f32_i32_e32 v4, v6
	s_set_vgpr_msb 1                        ;  msbs: dst=0 src0=1 src1=0 src2=0
	v_mul_lo_u32 v6, v3 /*v259*/, v232
	v_pk_fma_f32 v[4:5], v[4:5] /*v[260:261]*/, v[4:5], 0 op_sel_hi:[1,1,0]
	s_set_vgpr_msb 64                       ;  msbs: dst=1 src0=0 src1=0 src2=0
	v_cvt_f32_i32_e32 v2 /*v258*/, v22
	s_set_vgpr_msb 1                        ;  msbs: dst=0 src0=1 src1=0 src2=0
	s_delay_alu instid0(VALU_DEP_3) | instskip(SKIP_1) | instid1(VALU_DEP_1)
	v_mad_u32 v6, v6 /*v262*/, v231, v6
	s_set_vgpr_msb 64                       ;  msbs: dst=1 src0=0 src1=0 src2=0
	v_cvt_f32_i32_e32 v3 /*v259*/, v6
	s_set_vgpr_msb 0                        ;  msbs: dst=0 src0=0 src1=0 src2=0
	v_perm_b32 v6, v21, v33, 0x6040503
	s_set_vgpr_msb 4                        ;  msbs: dst=0 src0=0 src1=1 src2=0
	s_delay_alu instid0(VALU_DEP_2) | instskip(SKIP_1) | instid1(VALU_DEP_1)
	v_pk_fma_f32 v[4:5], v[0:1], v[2:3] /*v[258:259]*/, v[4:5]
	s_set_vgpr_msb 0                        ;  msbs: dst=0 src0=0 src1=0 src2=0
	v_pk_fma_f32 v[96:97], v[28:29], v[4:5], v[96:97]
	v_perm_b32 v4, v20, v147, 0x6040501
	s_set_vgpr_msb 4                        ;  msbs: dst=0 src0=0 src1=1 src2=0
	v_or_b32_e32 v5, v234, v18 /*v274*/
	s_set_vgpr_msb 0                        ;  msbs: dst=0 src0=0 src1=0 src2=0
	s_delay_alu instid0(VALU_DEP_1) | instskip(SKIP_1) | instid1(VALU_DEP_1)
	v_dot4_i32_iu8 v4, v5, v4, 0 neg_lo:[1,1,0]
	v_perm_b32 v5, v146, v20, 0x6040503
	v_dot4_i32_iu8 v4, v6, v5, v4 neg_lo:[1,1,0]
	v_perm_b32 v5, v16, v153, 0x6040501
	v_perm_b32 v6, v34, v18, 0x6040501
	s_set_vgpr_msb 4                        ;  msbs: dst=0 src0=0 src1=1 src2=0
	s_delay_alu instid0(VALU_DEP_3) | instskip(SKIP_1) | instid1(VALU_DEP_2)
	v_dot4_i32_iu8 v4, v235, v19 /*v275*/, v4 neg_lo:[1,1,0]
	s_set_vgpr_msb 0                        ;  msbs: dst=0 src0=0 src1=0 src2=0
	v_dot4_i32_iu8 v5, v6, v5, 0 neg_lo:[1,1,0]
	v_perm_b32 v6, v152, v16, 0x6040503
	v_perm_b32 v16, v17, v34, 0x6040503
	v_dot4_i32_iu8 v4, v23, v35, v4 neg_lo:[1,1,0]
	s_delay_alu instid0(VALU_DEP_2)
	v_dot4_i32_iu8 v5, v16, v6, v5 neg_lo:[1,1,0]
	s_set_vgpr_msb 1                        ;  msbs: dst=0 src0=1 src1=0 src2=0
	v_dot4_i32_iu8 v6, v22 /*v278*/, v227, 0 neg_lo:[1,1,0]
	s_set_vgpr_msb 0                        ;  msbs: dst=0 src0=0 src1=0 src2=0
	v_perm_b32 v16, v13, v132, 0x6040503
	v_mul_lo_u32 v4, v4, v116
	s_set_vgpr_msb 4                        ;  msbs: dst=0 src0=0 src1=1 src2=0
	v_dot4_i32_iu8 v5, v236, v20 /*v276*/, v5 neg_lo:[1,1,0]
	s_set_vgpr_msb 0                        ;  msbs: dst=0 src0=0 src1=0 src2=0
	v_dot4_i32_iu8 v6, v12, v16, v6 neg_lo:[1,1,0]
	v_perm_b32 v12, v130, v13, 0x7060403
	v_perm_b32 v13, v14, v133, 0x7060403
	v_dot4_i32_iu8 v5, v19, v32, v5 neg_lo:[1,1,0]
	s_delay_alu instid0(VALU_DEP_2)
	v_dot4_i32_iu8 v6, v13, v12, v6 neg_lo:[1,1,0]
	s_set_vgpr_msb 1                        ;  msbs: dst=0 src0=1 src1=0 src2=0
	v_dot4_i32_iu8 v12, v26 /*v282*/, v179, 0 neg_lo:[1,1,0]
	s_set_vgpr_msb 0                        ;  msbs: dst=0 src0=0 src1=0 src2=0
	v_perm_b32 v13, v9, v128, 0x6040503
	v_perm_b32 v9, v126, v9, 0x7060403
	v_mad_u32 v4, v5, v161, v4
	v_dot4_i32_iu8 v6, v15, v131, v6 neg_lo:[1,1,0]
	s_delay_alu instid0(VALU_DEP_4) | instskip(NEXT) | instid1(VALU_DEP_1)
	v_dot4_i32_iu8 v8, v8, v13, v12 neg_lo:[1,1,0]
	v_dot4_i32_iu8 v8, v10, v9, v8 neg_lo:[1,1,0]
	;; [unrolled: 1-line block ×3, first 2 shown]
	s_set_vgpr_msb 1                        ;  msbs: dst=0 src0=1 src1=0 src2=0
	v_mul_lo_u32 v2, v17 /*v273*/, v163
	s_set_vgpr_msb 0                        ;  msbs: dst=0 src0=0 src1=0 src2=0
	v_mul_lo_u32 v3, v6, v125
	v_cvt_f32_i32_e32 v4, v4
	v_dot4_i32_iu8 v8, v11, v127, v8 neg_lo:[1,1,0]
	s_set_vgpr_msb 1                        ;  msbs: dst=0 src0=1 src1=0 src2=0
	s_delay_alu instid0(VALU_DEP_4) | instskip(SKIP_1) | instid1(VALU_DEP_2)
	v_mad_u32 v2, v16 /*v272*/, v125, v2
	s_set_vgpr_msb 0                        ;  msbs: dst=0 src0=0 src1=0 src2=0
	v_mad_u32 v6, v8, v163, v3
	s_delay_alu instid0(VALU_DEP_2) | instskip(NEXT) | instid1(VALU_DEP_2)
	v_cvt_f32_i32_e32 v3, v2
	v_cvt_f32_i32_e32 v2, v6
	v_mul_lo_u32 v6, v9, v161
	s_set_vgpr_msb 1                        ;  msbs: dst=0 src0=1 src1=0 src2=0
	s_delay_alu instid0(VALU_DEP_2) | instskip(SKIP_1) | instid1(VALU_DEP_2)
	v_pk_fma_f32 v[2:3], v[4:5] /*v[260:261]*/, v[2:3], 0 op_sel_hi:[1,1,0]
	s_set_vgpr_msb 0                        ;  msbs: dst=0 src0=0 src1=0 src2=0
	v_mad_u32 v5, v7, v116, v6
	s_delay_alu instid0(VALU_DEP_1) | instskip(NEXT) | instid1(VALU_DEP_1)
	v_cvt_f32_i32_e32 v5, v5
	v_pk_fma_f32 v[0:1], v[0:1], v[4:5], v[2:3]
	s_delay_alu instid0(VALU_DEP_1) | instskip(SKIP_1) | instid1(VALU_DEP_1)
	v_pk_fma_f32 v[104:105], v[30:31], v[0:1], v[104:105]
	v_or_b32_e32 v0, s13, v199
	v_lshlrev_b32_e32 v4, 2, v0
	s_set_vgpr_msb 64                       ;  msbs: dst=1 src0=0 src1=0 src2=0
	v_lshrrev_b32_e32 v12 /*v268*/, 1, v0
	s_set_vgpr_msb 0                        ;  msbs: dst=0 src0=0 src1=0 src2=0
	ds_load_b128 v[8:11], v4 offset:33280
	ds_load_b128 v[12:15], v4 offset:33296
	ds_load_b128 v[0:3], v4 offset:33312
	ds_load_b128 v[4:7], v4 offset:33328
	s_wait_dscnt 0x3
	s_set_vgpr_msb 64                       ;  msbs: dst=1 src0=0 src1=0 src2=0
	v_perm_b32 v2 /*v258*/, v9, v166, 0x6040503
	s_wait_dscnt 0x2
	s_set_vgpr_msb 0                        ;  msbs: dst=0 src0=0 src1=0 src2=0
	v_perm_b32 v21, v13, v12, 0x6040503
	s_wait_dscnt 0x1
	v_perm_b32 v20, v1, v150, 0x6040503
	s_wait_dscnt 0x0
	v_perm_b32 v17, v6, v6, 0xc0c0c01
	v_perm_b32 v16, v4, v171, 0x6040501
	v_perm_b32 v19, v5, v149, 0x6040503
	v_perm_b32 v22, v14, v13, 0x7060403
	s_set_vgpr_msb 64                       ;  msbs: dst=1 src0=0 src1=0 src2=0
	v_perm_b32 v3 /*v259*/, v167, v8, 0x6040503
	s_set_vgpr_msb 0                        ;  msbs: dst=0 src0=0 src1=0 src2=0
	v_or_b32_e32 v18, v253, v17
	s_delay_alu instid0(VALU_DEP_1) | instskip(SKIP_1) | instid1(VALU_DEP_1)
	v_dot4_i32_iu8 v16, v18, v16, 0 neg_lo:[1,1,0]
	v_perm_b32 v18, v170, v4, 0x6040503
	v_dot4_i32_iu8 v16, v19, v18, v16 neg_lo:[1,1,0]
	v_perm_b32 v18, v6, v5, 0x7060403
	v_perm_b32 v19, v150, v2, 0x6040501
	;; [unrolled: 1-line block ×3, first 2 shown]
	s_set_vgpr_msb 64                       ;  msbs: dst=1 src0=0 src1=0 src2=0
	s_delay_alu instid0(VALU_DEP_3) | instskip(SKIP_2) | instid1(VALU_DEP_1)
	v_dot4_i32_iu8 v13 /*v269*/, v254, v18, v16 neg_lo:[1,1,0]
	s_set_vgpr_msb 0                        ;  msbs: dst=0 src0=0 src1=0 src2=0
	v_perm_b32 v16, v0, v173, 0x6040501
	v_dot4_i32_iu8 v16, v19, v16, 0 neg_lo:[1,1,0]
	v_perm_b32 v19, v172, v0, 0x6040503
	s_delay_alu instid0(VALU_DEP_1) | instskip(SKIP_2) | instid1(VALU_DEP_1)
	v_dot4_i32_iu8 v16, v20, v19, v16 neg_lo:[1,1,0]
	v_perm_b32 v19, v2, v1, 0x7060403
	s_set_vgpr_msb 64                       ;  msbs: dst=1 src0=0 src1=0 src2=0
	v_dot4_i32_iu8 v14 /*v270*/, v255, v19, v16 neg_lo:[1,1,0]
	s_set_vgpr_msb 0                        ;  msbs: dst=0 src0=0 src1=0 src2=0
	v_perm_b32 v16, v12, v14, 0x6050401
	s_delay_alu instid0(VALU_DEP_1) | instskip(SKIP_1) | instid1(VALU_DEP_1)
	v_dot4_i32_iu8 v20, v16, v246, 0 neg_lo:[1,1,0]
	s_set_vgpr_msb 4                        ;  msbs: dst=0 src0=0 src1=1 src2=0
	v_dot4_i32_iu8 v20, v21, v0 /*v256*/, v20 neg_lo:[1,1,0]
	s_set_vgpr_msb 0                        ;  msbs: dst=0 src0=0 src1=0 src2=0
	s_delay_alu instid0(VALU_DEP_1) | instskip(SKIP_1) | instid1(VALU_DEP_1)
	v_dot4_i32_iu8 v20, v22, v249, v20 neg_lo:[1,1,0]
	s_set_vgpr_msb 64                       ;  msbs: dst=1 src0=0 src1=0 src2=0
	v_dot4_i32_iu8 v15 /*v271*/, v15, v169, v20 neg_lo:[1,1,0]
	s_set_vgpr_msb 0                        ;  msbs: dst=0 src0=0 src1=0 src2=0
	v_perm_b32 v20, v8, v10, 0x6050401
	s_set_vgpr_msb 4                        ;  msbs: dst=0 src0=0 src1=1 src2=0
	s_delay_alu instid0(VALU_DEP_1) | instskip(SKIP_1) | instid1(VALU_DEP_1)
	v_dot4_i32_iu8 v23, v20, v1 /*v257*/, 0 neg_lo:[1,1,0]
	s_set_vgpr_msb 5                        ;  msbs: dst=0 src0=1 src1=1 src2=0
	v_dot4_i32_iu8 v23, v3 /*v259*/, v2 /*v258*/, v23 neg_lo:[1,1,0]
	s_set_vgpr_msb 64                       ;  msbs: dst=1 src0=0 src1=0 src2=0
	v_perm_b32 v2 /*v258*/, v164, v9, 0x7060403
	v_perm_b32 v3 /*v259*/, v10, v167, 0x7060403
	s_set_vgpr_msb 5                        ;  msbs: dst=0 src0=1 src1=1 src2=0
	s_delay_alu instid0(VALU_DEP_1) | instskip(SKIP_2) | instid1(VALU_DEP_2)
	v_dot4_i32_iu8 v23, v3 /*v259*/, v2 /*v258*/, v23 neg_lo:[1,1,0]
	s_set_vgpr_msb 64                       ;  msbs: dst=1 src0=0 src1=0 src2=0
	v_perm_b32 v2 /*v258*/, v5, v120, 0x6040503
	v_dot4_i32_iu8 v16 /*v272*/, v11, v165, v23 neg_lo:[1,1,0]
	s_set_vgpr_msb 0                        ;  msbs: dst=0 src0=0 src1=0 src2=0
	v_perm_b32 v23, v4, v159, 0x6040501
	s_delay_alu instid0(VALU_DEP_1) | instskip(SKIP_2) | instid1(VALU_DEP_1)
	v_dot4_i32_iu8 v6, v6, v23, 0 neg_lo:[1,1,0]
	v_perm_b32 v23, v158, v4, 0x6040503
	s_set_vgpr_msb 1                        ;  msbs: dst=0 src0=1 src1=0 src2=0
	v_dot4_i32_iu8 v6, v2 /*v258*/, v23, v6 neg_lo:[1,1,0]
	s_set_vgpr_msb 0                        ;  msbs: dst=0 src0=0 src1=0 src2=0
	v_perm_b32 v23, v162, v2, 0x6040501
	s_set_vgpr_msb 64                       ;  msbs: dst=1 src0=0 src1=0 src2=0
	s_delay_alu instid0(VALU_DEP_2) | instskip(SKIP_2) | instid1(VALU_DEP_1)
	v_dot4_i32_iu8 v8 /*v264*/, v250, v18, v6 neg_lo:[1,1,0]
	s_set_vgpr_msb 0                        ;  msbs: dst=0 src0=0 src1=0 src2=0
	v_perm_b32 v6, v0, v160, 0x6040501
	v_dot4_i32_iu8 v6, v23, v6, 0 neg_lo:[1,1,0]
	v_perm_b32 v23, v1, v0, 0x6040503
	s_delay_alu instid0(VALU_DEP_1) | instskip(SKIP_2) | instid1(VALU_DEP_2)
	v_dot4_i32_iu8 v6, v251, v23, v6 neg_lo:[1,1,0]
	v_perm_b32 v23, v124, v14, 0x6050401
	s_set_vgpr_msb 64                       ;  msbs: dst=1 src0=0 src1=0 src2=0
	v_dot4_i32_iu8 v10 /*v266*/, v252, v19, v6 neg_lo:[1,1,0]
	s_set_vgpr_msb 0                        ;  msbs: dst=0 src0=0 src1=0 src2=0
	v_perm_b32 v6, v12, v118, 0x6050401
	s_delay_alu instid0(VALU_DEP_1) | instskip(NEXT) | instid1(VALU_DEP_1)
	v_dot4_i32_iu8 v6, v23, v6, 0 neg_lo:[1,1,0]
	v_dot4_i32_iu8 v6, v237, v21, v6 neg_lo:[1,1,0]
	v_perm_b32 v21, v9, v122, 0x6040503
	s_delay_alu instid0(VALU_DEP_2) | instskip(SKIP_2) | instid1(VALU_DEP_2)
	v_dot4_i32_iu8 v6, v238, v22, v6 neg_lo:[1,1,0]
	v_perm_b32 v22, v123, v8, 0x6040503
	s_set_vgpr_msb 64                       ;  msbs: dst=1 src0=0 src1=0 src2=0
	v_dot4_i32_iu8 v9 /*v265*/, v15, v119, v6 neg_lo:[1,1,0]
	s_set_vgpr_msb 0                        ;  msbs: dst=0 src0=0 src1=0 src2=0
	v_dot4_i32_iu8 v6, v20, v176, 0 neg_lo:[1,1,0]
	s_delay_alu instid0(VALU_DEP_1) | instskip(SKIP_3) | instid1(VALU_DEP_3)
	v_dot4_i32_iu8 v6, v22, v21, v6 neg_lo:[1,1,0]
	v_perm_b32 v21, v10, v9, 0x7060403
	v_perm_b32 v22, v5, v141, 0x6040503
	;; [unrolled: 1-line block ×3, first 2 shown]
	v_dot4_i32_iu8 v6, v239, v21, v6 neg_lo:[1,1,0]
	v_or_b32_e32 v21, v243, v17
	v_or_b32_e32 v17, v234, v17
	s_set_vgpr_msb 64                       ;  msbs: dst=1 src0=0 src1=0 src2=0
	s_delay_alu instid0(VALU_DEP_3) | instskip(SKIP_2) | instid1(VALU_DEP_1)
	v_dot4_i32_iu8 v11 /*v267*/, v11, v117, v6 neg_lo:[1,1,0]
	s_set_vgpr_msb 0                        ;  msbs: dst=0 src0=0 src1=0 src2=0
	v_perm_b32 v6, v4, v155, 0x6040501
	v_dot4_i32_iu8 v6, v21, v6, 0 neg_lo:[1,1,0]
	v_perm_b32 v21, v154, v4, 0x6040503
	s_delay_alu instid0(VALU_DEP_1)
	v_dot4_i32_iu8 v6, v22, v21, v6 neg_lo:[1,1,0]
	v_perm_b32 v21, v144, v2, 0x6040501
	v_perm_b32 v22, v1, v144, 0x6040503
	;; [unrolled: 1-line block ×4, first 2 shown]
	s_set_vgpr_msb 64                       ;  msbs: dst=1 src0=0 src1=0 src2=0
	v_dot4_i32_iu8 v4 /*v260*/, v244, v18, v6 neg_lo:[1,1,0]
	s_set_vgpr_msb 0                        ;  msbs: dst=0 src0=0 src1=0 src2=0
	v_perm_b32 v6, v0, v157, 0x6040501
	s_delay_alu instid0(VALU_DEP_1) | instskip(SKIP_1) | instid1(VALU_DEP_1)
	v_dot4_i32_iu8 v6, v21, v6, 0 neg_lo:[1,1,0]
	v_perm_b32 v21, v156, v0, 0x6040503
	v_dot4_i32_iu8 v6, v22, v21, v6 neg_lo:[1,1,0]
	v_perm_b32 v21, v13, v138, 0x6040503
	v_perm_b32 v22, v139, v12, 0x6040503
	s_set_vgpr_msb 64                       ;  msbs: dst=1 src0=0 src1=0 src2=0
	s_delay_alu instid0(VALU_DEP_3) | instskip(SKIP_2) | instid1(VALU_DEP_1)
	v_dot4_i32_iu8 v5 /*v261*/, v245, v19, v6 neg_lo:[1,1,0]
	s_set_vgpr_msb 0                        ;  msbs: dst=0 src0=0 src1=0 src2=0
	v_dot4_i32_iu8 v6, v16, v228, 0 neg_lo:[1,1,0]
	v_dot4_i32_iu8 v6, v22, v21, v6 neg_lo:[1,1,0]
	v_perm_b32 v21, v136, v13, 0x7060403
	v_perm_b32 v22, v14, v139, 0x7060403
	s_delay_alu instid0(VALU_DEP_1) | instskip(SKIP_3) | instid1(VALU_DEP_3)
	v_dot4_i32_iu8 v6, v22, v21, v6 neg_lo:[1,1,0]
	v_perm_b32 v21, v9, v142, 0x6040503
	v_perm_b32 v22, v143, v8, 0x6040503
	s_set_vgpr_msb 64                       ;  msbs: dst=1 src0=0 src1=0 src2=0
	v_dot4_i32_iu8 v6 /*v262*/, v15, v137, v6 neg_lo:[1,1,0]
	s_set_vgpr_msb 0                        ;  msbs: dst=0 src0=0 src1=0 src2=0
	v_dot4_i32_iu8 v6, v20, v233, 0 neg_lo:[1,1,0]
	s_delay_alu instid0(VALU_DEP_1) | instskip(SKIP_2) | instid1(VALU_DEP_1)
	v_dot4_i32_iu8 v6, v22, v21, v6 neg_lo:[1,1,0]
	v_perm_b32 v21, v134, v9, 0x7060403
	v_perm_b32 v22, v10, v143, 0x7060403
	v_dot4_i32_iu8 v6, v22, v21, v6 neg_lo:[1,1,0]
	s_set_vgpr_msb 64                       ;  msbs: dst=1 src0=0 src1=0 src2=0
	s_delay_alu instid0(VALU_DEP_1) | instskip(SKIP_3) | instid1(VALU_DEP_2)
	v_dot4_i32_iu8 v7 /*v263*/, v11, v135, v6 neg_lo:[1,1,0]
	s_set_vgpr_msb 0                        ;  msbs: dst=0 src0=0 src1=0 src2=0
	v_perm_b32 v6, v4, v147, 0x6040501
	v_perm_b32 v4, v146, v4, 0x6040503
	v_dot4_i32_iu8 v6, v17, v6, 0 neg_lo:[1,1,0]
	s_delay_alu instid0(VALU_DEP_1) | instskip(NEXT) | instid1(VALU_DEP_1)
	v_dot4_i32_iu8 v4, v5, v4, v6 neg_lo:[1,1,0]
	v_dot4_i32_iu8 v6, v235, v18, v4 neg_lo:[1,1,0]
	v_perm_b32 v4, v0, v153, 0x6040501
	v_perm_b32 v0, v152, v0, 0x6040503
	s_delay_alu instid0(VALU_DEP_3) | instskip(NEXT) | instid1(VALU_DEP_3)
	v_dot4_i32_iu8 v6, v7, v35, v6 neg_lo:[1,1,0]
	v_dot4_i32_iu8 v2, v2, v4, 0 neg_lo:[1,1,0]
	v_perm_b32 v4, v133, v12, 0x6040503
	s_delay_alu instid0(VALU_DEP_2) | instskip(SKIP_1) | instid1(VALU_DEP_2)
	v_dot4_i32_iu8 v0, v1, v0, v2 neg_lo:[1,1,0]
	v_perm_b32 v1, v13, v132, 0x6040503
	v_dot4_i32_iu8 v2, v236, v19, v0 neg_lo:[1,1,0]
	v_dot4_i32_iu8 v0, v16, v227, 0 neg_lo:[1,1,0]
	s_delay_alu instid0(VALU_DEP_1) | instskip(SKIP_2) | instid1(VALU_DEP_1)
	v_dot4_i32_iu8 v0, v4, v1, v0 neg_lo:[1,1,0]
	v_perm_b32 v1, v130, v13, 0x7060403
	v_perm_b32 v4, v14, v133, 0x7060403
	v_dot4_i32_iu8 v0, v4, v1, v0 neg_lo:[1,1,0]
	v_perm_b32 v1, v9, v128, 0x6040503
	v_perm_b32 v4, v129, v8, 0x6040503
	s_set_vgpr_msb 64                       ;  msbs: dst=1 src0=0 src1=0 src2=0
	s_delay_alu instid0(VALU_DEP_3) | instskip(SKIP_2) | instid1(VALU_DEP_1)
	v_dot4_i32_iu8 v2 /*v258*/, v15, v131, v0 neg_lo:[1,1,0]
	s_set_vgpr_msb 0                        ;  msbs: dst=0 src0=0 src1=0 src2=0
	v_dot4_i32_iu8 v0, v20, v179, 0 neg_lo:[1,1,0]
	v_dot4_i32_iu8 v0, v4, v1, v0 neg_lo:[1,1,0]
	v_perm_b32 v1, v126, v9, 0x7060403
	v_perm_b32 v4, v10, v129, 0x7060403
	s_delay_alu instid0(VALU_DEP_1) | instskip(SKIP_1) | instid1(VALU_DEP_1)
	v_dot4_i32_iu8 v0, v4, v1, v0 neg_lo:[1,1,0]
	s_set_vgpr_msb 64                       ;  msbs: dst=1 src0=0 src1=0 src2=0
	v_dot4_i32_iu8 v3 /*v259*/, v11, v127, v0 neg_lo:[1,1,0]
	s_set_vgpr_msb 0                        ;  msbs: dst=0 src0=0 src1=0 src2=0
	v_or_b32_e32 v0, s13, v200
	s_delay_alu instid0(VALU_DEP_1)
	v_lshlrev_b32_e32 v1, 2, v0
	ds_load_b128 v[12:15], v1 offset:33280
	ds_load_b128 v[20:23], v1 offset:33296
	;; [unrolled: 1-line block ×4, first 2 shown]
	v_lshrrev_b32_e32 v4, 1, v0
	s_wait_dscnt 0x3
	v_perm_b32 v122, v13, v122, 0x6040503
	s_wait_dscnt 0x2
	v_perm_b32 v118, v20, v118, 0x6050401
	v_perm_b32 v124, v124, v22, 0x6050401
	s_wait_dscnt 0x0
	v_perm_b32 v0, v16, v171, 0x6040501
	v_perm_b32 v171, v18, v18, 0xc0c0c01
	;; [unrolled: 1-line block ×4, first 2 shown]
	v_dot4_i32_iu8 v118, v124, v118, 0 neg_lo:[1,1,0]
	v_perm_b32 v123, v123, v12, 0x6040503
	v_or_b32_e32 v1, v253, v171
	s_delay_alu instid0(VALU_DEP_1) | instskip(SKIP_4) | instid1(VALU_DEP_4)
	v_dot4_i32_iu8 v0, v1, v0, 0 neg_lo:[1,1,0]
	v_perm_b32 v1, v170, v16, 0x6040503
	v_perm_b32 v170, v18, v17, 0x7060403
	;; [unrolled: 1-line block ×4, first 2 shown]
	v_dot4_i32_iu8 v0, v5, v1, v0 neg_lo:[1,1,0]
	v_perm_b32 v1, v150, v10, 0x6040501
	v_perm_b32 v150, v10, v9, 0x7060403
	s_delay_alu instid0(VALU_DEP_3) | instskip(SKIP_4) | instid1(VALU_DEP_3)
	v_dot4_i32_iu8 v5, v254, v170, v0 neg_lo:[1,1,0]
	v_perm_b32 v0, v8, v173, 0x6040501
	v_perm_b32 v173, v21, v20, 0x6040503
	s_set_vgpr_msb 16                       ;  msbs: dst=0 src0=0 src1=0 src2=1
	v_dot4_i32_iu8 v254, v3, v148, v14 /*v270*/ neg_lo:[1,1,0]
	v_dot4_i32_iu8 v0, v1, v0, 0 neg_lo:[1,1,0]
	v_perm_b32 v1, v172, v8, 0x6040503
	v_perm_b32 v172, v20, v22, 0x6050401
	s_set_vgpr_msb 0                        ;  msbs: dst=0 src0=0 src1=0 src2=0
	v_dot4_i32_iu8 v118, v237, v173, v118 neg_lo:[1,1,0]
	s_delay_alu instid0(VALU_DEP_3) | instskip(SKIP_3) | instid1(VALU_DEP_4)
	v_dot4_i32_iu8 v0, v149, v1, v0 neg_lo:[1,1,0]
	v_perm_b32 v149, v12, v14, 0x6050401
	v_perm_b32 v1, v13, v166, 0x6040503
	;; [unrolled: 1-line block ×3, first 2 shown]
	v_dot4_i32_iu8 v253, v255, v150, v0 neg_lo:[1,1,0]
	v_dot4_i32_iu8 v0, v172, v246, 0 neg_lo:[1,1,0]
	v_perm_b32 v246, v22, v21, 0x7060403
	s_delay_alu instid0(VALU_DEP_3) | instskip(SKIP_1) | instid1(VALU_DEP_3)
	v_dot4_i32_iu8 v148, v11, v148, v253 neg_lo:[1,1,0]
	s_set_vgpr_msb 4                        ;  msbs: dst=0 src0=0 src1=1 src2=0
	v_dot4_i32_iu8 v0, v173, v0 /*v256*/, v0 neg_lo:[1,1,0]
	s_set_vgpr_msb 0                        ;  msbs: dst=0 src0=0 src1=0 src2=0
	v_dot4_i32_iu8 v118, v238, v246, v118 neg_lo:[1,1,0]
	s_delay_alu instid0(VALU_DEP_2)
	v_dot4_i32_iu8 v0, v246, v249, v0 neg_lo:[1,1,0]
	v_dot4_i32_iu8 v249, v19, v151, v5 neg_lo:[1,1,0]
	s_set_vgpr_msb 16                       ;  msbs: dst=0 src0=0 src1=0 src2=1
	v_dot4_i32_iu8 v151, v7, v151, v13 /*v269*/ neg_lo:[1,1,0]
	s_set_vgpr_msb 0                        ;  msbs: dst=0 src0=0 src1=0 src2=0
	v_dot4_i32_iu8 v118, v23, v119, v118 neg_lo:[1,1,0]
	v_dot4_i32_iu8 v119, v149, v176, 0 neg_lo:[1,1,0]
	;; [unrolled: 1-line block ×3, first 2 shown]
	s_set_vgpr_msb 4                        ;  msbs: dst=0 src0=0 src1=1 src2=0
	v_dot4_i32_iu8 v0, v149, v1 /*v257*/, 0 neg_lo:[1,1,0]
	s_set_vgpr_msb 0                        ;  msbs: dst=0 src0=0 src1=0 src2=0
	v_mul_lo_u32 v118, v118, v168
	v_dot4_i32_iu8 v119, v123, v122, v119 neg_lo:[1,1,0]
	v_mul_lo_u32 v5, v169, v229
	v_dot4_i32_iu8 v0, v166, v1, v0 neg_lo:[1,1,0]
	v_perm_b32 v1, v164, v13, 0x7060403
	v_perm_b32 v164, v14, v167, 0x7060403
	;; [unrolled: 1-line block ×3, first 2 shown]
	s_delay_alu instid0(VALU_DEP_2) | instskip(NEXT) | instid1(VALU_DEP_2)
	v_dot4_i32_iu8 v0, v164, v1, v0 neg_lo:[1,1,0]
	v_dot4_i32_iu8 v119, v239, v122, v119 neg_lo:[1,1,0]
	s_delay_alu instid0(VALU_DEP_2)
	v_dot4_i32_iu8 v166, v15, v165, v0 neg_lo:[1,1,0]
	s_set_vgpr_msb 1                        ;  msbs: dst=0 src0=1 src1=0 src2=0
	ds_load_b64 v[0:1], v12 /*v268*/ offset:43584
	s_set_vgpr_msb 0                        ;  msbs: dst=0 src0=0 src1=0 src2=0
	ds_load_b64 v[164:165], v4 offset:43584
	s_set_vgpr_msb 1                        ;  msbs: dst=0 src0=1 src1=0 src2=0
	v_mul_lo_u32 v4, v16 /*v272*/, v230
	s_set_vgpr_msb 0                        ;  msbs: dst=0 src0=0 src1=0 src2=0
	v_dot4_i32_iu8 v117, v15, v117, v119 neg_lo:[1,1,0]
	v_perm_b32 v119, v3, v3, 0x3020001
	v_mad_u32 v5, v166, v230, v5
	s_delay_alu instid0(VALU_DEP_3) | instskip(SKIP_1) | instid1(VALU_DEP_3)
	v_mad_u32 v117, v117, v175, v118
	s_set_vgpr_msb 16                       ;  msbs: dst=0 src0=0 src1=0 src2=1
	v_dot4_i32_iu8 v122, v119, v242, v10 /*v266*/ neg_lo:[1,1,0]
	v_perm_b32 v119, v11, v11, 0x3020001
	s_set_vgpr_msb 1                        ;  msbs: dst=0 src0=1 src1=0 src2=0
	v_mad_u32 v4, v15 /*v271*/, v229, v4
	s_set_vgpr_msb 0                        ;  msbs: dst=0 src0=0 src1=0 src2=0
	v_cvt_f32_i32_e32 v166, v5
	s_wait_dscnt 0x1
	v_mov_b32_e32 v5, v0
	v_mul_lo_u32 v0, v254, v247
	s_delay_alu instid0(VALU_DEP_4) | instskip(SKIP_3) | instid1(VALU_DEP_2)
	v_cvt_f32_i32_e32 v167, v4
	s_wait_dscnt 0x0
	v_mov_b32_e32 v4, v164
	v_mul_lo_u32 v164, v249, v248
	v_pk_fma_f32 v[166:167], v[4:5], v[166:167], 0 op_sel_hi:[1,1,0]
	v_mad_u32 v0, v151, v248, v0
	s_delay_alu instid0(VALU_DEP_3) | instskip(NEXT) | instid1(VALU_DEP_2)
	v_mad_u32 v148, v148, v247, v164
	v_cvt_f32_i32_e32 v249, v0
	v_mov_b32_e32 v0, v165
	s_delay_alu instid0(VALU_DEP_3) | instskip(SKIP_1) | instid1(VALU_DEP_2)
	v_cvt_f32_i32_e32 v248, v148
	v_perm_b32 v148, v16, v159, 0x6040501
	v_pk_fma_f32 v[164:165], v[0:1], v[248:249], v[166:167]
	s_delay_alu instid0(VALU_DEP_2) | instskip(SKIP_1) | instid1(VALU_DEP_3)
	v_dot4_i32_iu8 v18, v18, v148, 0 neg_lo:[1,1,0]
	v_perm_b32 v148, v158, v16, 0x6040503
	v_pk_fma_f32 v[76:77], v[24:25], v[164:165], v[76:77]
	s_delay_alu instid0(VALU_DEP_2) | instskip(SKIP_2) | instid1(VALU_DEP_3)
	v_dot4_i32_iu8 v18, v120, v148, v18 neg_lo:[1,1,0]
	v_perm_b32 v120, v8, v160, 0x6040501
	v_perm_b32 v148, v162, v10, 0x6040501
	v_dot4_i32_iu8 v18, v250, v170, v18 neg_lo:[1,1,0]
	s_delay_alu instid0(VALU_DEP_2) | instskip(SKIP_1) | instid1(VALU_DEP_3)
	v_dot4_i32_iu8 v120, v148, v120, 0 neg_lo:[1,1,0]
	v_perm_b32 v148, v9, v8, 0x6040503
	v_dot4_i32_iu8 v18, v19, v121, v18 neg_lo:[1,1,0]
	s_set_vgpr_msb 16                       ;  msbs: dst=0 src0=0 src1=0 src2=1
	v_dot4_i32_iu8 v121, v7, v121, v8 /*v264*/ neg_lo:[1,1,0]
	s_set_vgpr_msb 0                        ;  msbs: dst=0 src0=0 src1=0 src2=0
	v_dot4_i32_iu8 v120, v251, v148, v120 neg_lo:[1,1,0]
	v_mul_lo_u32 v18, v18, v241
	s_delay_alu instid0(VALU_DEP_2) | instskip(NEXT) | instid1(VALU_DEP_1)
	v_dot4_i32_iu8 v120, v252, v150, v120 neg_lo:[1,1,0]
	v_dot4_i32_iu8 v120, v119, v242, v120 neg_lo:[1,1,0]
	s_set_vgpr_msb 1                        ;  msbs: dst=0 src0=1 src1=0 src2=0
	v_mul_lo_u32 v119, v11 /*v267*/, v175
	s_set_vgpr_msb 0                        ;  msbs: dst=0 src0=0 src1=0 src2=0
	s_delay_alu instid0(VALU_DEP_2) | instskip(SKIP_1) | instid1(VALU_DEP_2)
	v_mad_u32 v18, v120, v240, v18
	s_set_vgpr_msb 1                        ;  msbs: dst=0 src0=1 src1=0 src2=0
	v_mad_u32 v118, v9 /*v265*/, v168, v119
	s_set_vgpr_msb 0                        ;  msbs: dst=0 src0=0 src1=0 src2=0
	s_delay_alu instid0(VALU_DEP_2) | instskip(SKIP_1) | instid1(VALU_DEP_3)
	v_cvt_f32_i32_e32 v120, v18
	v_perm_b32 v18, v16, v155, 0x6040501
	v_cvt_f32_i32_e32 v119, v118
	v_cvt_f32_i32_e32 v118, v117
	v_mul_lo_u32 v117, v122, v240
	s_set_vgpr_msb 1                        ;  msbs: dst=0 src0=1 src1=0 src2=0
	v_mul_lo_u32 v122, v7 /*v263*/, v178
	s_set_vgpr_msb 0                        ;  msbs: dst=0 src0=0 src1=0 src2=0
	v_pk_fma_f32 v[118:119], v[4:5], v[118:119], 0 op_sel_hi:[1,1,0]
	s_delay_alu instid0(VALU_DEP_3) | instskip(NEXT) | instid1(VALU_DEP_1)
	v_mad_u32 v117, v121, v241, v117
	v_cvt_f32_i32_e32 v121, v117
	v_or_b32_e32 v117, v243, v171
	s_delay_alu instid0(VALU_DEP_2) | instskip(NEXT) | instid1(VALU_DEP_2)
	v_pk_fma_f32 v[118:119], v[0:1], v[120:121], v[118:119]
	v_dot4_i32_iu8 v18, v117, v18, 0 neg_lo:[1,1,0]
	v_perm_b32 v117, v154, v16, 0x6040503
	v_perm_b32 v120, v139, v20, 0x6040503
	;; [unrolled: 1-line block ×3, first 2 shown]
	v_pk_fma_f32 v[80:81], v[26:27], v[118:119], v[80:81]
	v_perm_b32 v118, v17, v141, 0x6040503
	v_perm_b32 v119, v9, v144, 0x6040503
	;; [unrolled: 1-line block ×5, first 2 shown]
	v_dot4_i32_iu8 v18, v118, v117, v18 neg_lo:[1,1,0]
	v_perm_b32 v117, v8, v157, 0x6040501
	v_perm_b32 v118, v144, v10, 0x6040501
	;; [unrolled: 1-line block ×3, first 2 shown]
	s_delay_alu instid0(VALU_DEP_4) | instskip(NEXT) | instid1(VALU_DEP_3)
	v_dot4_i32_iu8 v18, v244, v170, v18 neg_lo:[1,1,0]
	v_dot4_i32_iu8 v117, v118, v117, 0 neg_lo:[1,1,0]
	v_perm_b32 v118, v156, v8, 0x6040503
	s_delay_alu instid0(VALU_DEP_3) | instskip(NEXT) | instid1(VALU_DEP_2)
	v_dot4_i32_iu8 v18, v19, v145, v18 neg_lo:[1,1,0]
	v_dot4_i32_iu8 v117, v119, v118, v117 neg_lo:[1,1,0]
	;; [unrolled: 1-line block ×3, first 2 shown]
	v_perm_b32 v119, v21, v138, 0x6040503
	s_delay_alu instid0(VALU_DEP_4) | instskip(NEXT) | instid1(VALU_DEP_4)
	v_mul_lo_u32 v18, v18, v231
	v_dot4_i32_iu8 v117, v245, v150, v117 neg_lo:[1,1,0]
	s_delay_alu instid0(VALU_DEP_3) | instskip(SKIP_2) | instid1(VALU_DEP_4)
	v_dot4_i32_iu8 v118, v120, v119, v118 neg_lo:[1,1,0]
	v_perm_b32 v119, v136, v21, 0x7060403
	v_perm_b32 v120, v22, v139, 0x7060403
	v_dot4_i32_iu8 v117, v11, v140, v117 neg_lo:[1,1,0]
	s_delay_alu instid0(VALU_DEP_2) | instskip(SKIP_2) | instid1(VALU_DEP_4)
	v_dot4_i32_iu8 v118, v120, v119, v118 neg_lo:[1,1,0]
	v_dot4_i32_iu8 v119, v149, v233, 0 neg_lo:[1,1,0]
	v_perm_b32 v120, v13, v142, 0x6040503
	v_mad_u32 v18, v117, v232, v18
	s_delay_alu instid0(VALU_DEP_4) | instskip(NEXT) | instid1(VALU_DEP_3)
	v_dot4_i32_iu8 v118, v23, v137, v118 neg_lo:[1,1,0]
	v_dot4_i32_iu8 v119, v121, v120, v119 neg_lo:[1,1,0]
	v_perm_b32 v120, v134, v13, 0x7060403
	v_perm_b32 v121, v14, v143, 0x7060403
	s_delay_alu instid0(VALU_DEP_4) | instskip(NEXT) | instid1(VALU_DEP_2)
	v_mul_lo_u32 v118, v118, v177
	v_dot4_i32_iu8 v119, v121, v120, v119 neg_lo:[1,1,0]
	s_set_vgpr_msb 16                       ;  msbs: dst=0 src0=0 src1=0 src2=1
	v_dot4_i32_iu8 v120, v3, v140, v5 /*v261*/ neg_lo:[1,1,0]
	v_dot4_i32_iu8 v121, v7, v145, v4 /*v260*/ neg_lo:[1,1,0]
	s_set_vgpr_msb 0                        ;  msbs: dst=0 src0=0 src1=0 src2=0
	v_dot4_i32_iu8 v119, v15, v135, v119 neg_lo:[1,1,0]
	s_delay_alu instid0(VALU_DEP_3) | instskip(NEXT) | instid1(VALU_DEP_2)
	v_mul_lo_u32 v120, v120, v232
	v_mad_u32 v118, v119, v178, v118
	s_set_vgpr_msb 1                        ;  msbs: dst=0 src0=1 src1=0 src2=0
	v_mad_u32 v119, v6 /*v262*/, v177, v122
	s_set_vgpr_msb 0                        ;  msbs: dst=0 src0=0 src1=0 src2=0
	s_delay_alu instid0(VALU_DEP_3)
	v_mad_u32 v117, v121, v231, v120
	v_cvt_f32_i32_e32 v120, v18
	v_perm_b32 v18, v16, v147, 0x6040501
	v_perm_b32 v16, v146, v16, 0x6040503
	v_cvt_f32_i32_e32 v118, v118
	v_cvt_f32_i32_e32 v119, v119
	s_delay_alu instid0(VALU_DEP_1) | instskip(SKIP_2) | instid1(VALU_DEP_2)
	v_pk_fma_f32 v[118:119], v[4:5], v[118:119], 0 op_sel_hi:[1,1,0]
	v_cvt_f32_i32_e32 v121, v117
	v_or_b32_e32 v117, v234, v171
	v_pk_fma_f32 v[118:119], v[0:1], v[120:121], v[118:119]
	s_delay_alu instid0(VALU_DEP_2) | instskip(NEXT) | instid1(VALU_DEP_2)
	v_dot4_i32_iu8 v18, v117, v18, 0 neg_lo:[1,1,0]
	v_pk_fma_f32 v[88:89], v[28:29], v[118:119], v[88:89]
	s_delay_alu instid0(VALU_DEP_2) | instskip(SKIP_2) | instid1(VALU_DEP_3)
	v_dot4_i32_iu8 v16, v17, v16, v18 neg_lo:[1,1,0]
	v_perm_b32 v17, v8, v153, 0x6040501
	v_perm_b32 v8, v152, v8, 0x6040503
	v_dot4_i32_iu8 v16, v235, v170, v16 neg_lo:[1,1,0]
	s_delay_alu instid0(VALU_DEP_3) | instskip(SKIP_1) | instid1(VALU_DEP_2)
	v_dot4_i32_iu8 v10, v10, v17, 0 neg_lo:[1,1,0]
	v_perm_b32 v17, v133, v20, 0x6040503
	v_dot4_i32_iu8 v8, v9, v8, v10 neg_lo:[1,1,0]
	v_dot4_i32_iu8 v9, v172, v227, 0 neg_lo:[1,1,0]
	v_perm_b32 v10, v21, v132, 0x6040503
	s_delay_alu instid0(VALU_DEP_3) | instskip(NEXT) | instid1(VALU_DEP_2)
	v_dot4_i32_iu8 v8, v236, v150, v8 neg_lo:[1,1,0]
	v_dot4_i32_iu8 v9, v17, v10, v9 neg_lo:[1,1,0]
	v_perm_b32 v10, v130, v21, 0x7060403
	v_perm_b32 v17, v22, v133, 0x7060403
	s_delay_alu instid0(VALU_DEP_4) | instskip(NEXT) | instid1(VALU_DEP_2)
	v_dot4_i32_iu8 v7, v11, v32, v8 neg_lo:[1,1,0]
	v_dot4_i32_iu8 v9, v17, v10, v9 neg_lo:[1,1,0]
	;; [unrolled: 1-line block ×3, first 2 shown]
	v_perm_b32 v17, v13, v128, 0x6040503
	s_delay_alu instid0(VALU_DEP_3) | instskip(NEXT) | instid1(VALU_DEP_2)
	v_dot4_i32_iu8 v9, v23, v131, v9 neg_lo:[1,1,0]
	v_dot4_i32_iu8 v10, v12, v17, v10 neg_lo:[1,1,0]
	v_perm_b32 v12, v126, v13, 0x7060403
	v_perm_b32 v13, v14, v129, 0x7060403
	s_delay_alu instid0(VALU_DEP_1)
	v_dot4_i32_iu8 v10, v13, v12, v10 neg_lo:[1,1,0]
	v_dot4_i32_iu8 v13, v3, v32, v2 neg_lo:[1,1,0]
	s_set_vgpr_msb 1                        ;  msbs: dst=0 src0=1 src1=0 src2=0
	v_mul_lo_u32 v2, v3 /*v259*/, v163
	s_set_vgpr_msb 0                        ;  msbs: dst=0 src0=0 src1=0 src2=0
	v_mul_lo_u32 v3, v9, v125
	v_dot4_i32_iu8 v12, v19, v35, v16 neg_lo:[1,1,0]
	v_dot4_i32_iu8 v10, v15, v127, v10 neg_lo:[1,1,0]
	s_set_vgpr_msb 1                        ;  msbs: dst=0 src0=1 src1=0 src2=0
	s_delay_alu instid0(VALU_DEP_4) | instskip(SKIP_1) | instid1(VALU_DEP_2)
	v_mad_u32 v2, v2 /*v258*/, v125, v2
	s_set_vgpr_msb 0                        ;  msbs: dst=0 src0=0 src1=0 src2=0
	v_mad_u32 v8, v10, v163, v3
	s_delay_alu instid0(VALU_DEP_2) | instskip(NEXT) | instid1(VALU_DEP_2)
	v_cvt_f32_i32_e32 v3, v2
	v_cvt_f32_i32_e32 v2, v8
	s_delay_alu instid0(VALU_DEP_1) | instskip(SKIP_2) | instid1(VALU_DEP_2)
	v_pk_fma_f32 v[2:3], v[4:5], v[2:3], 0 op_sel_hi:[1,1,0]
	v_mul_lo_u32 v4, v13, v161
	v_mul_lo_u32 v5, v12, v116
	v_mad_u32 v4, v6, v116, v4
	s_delay_alu instid0(VALU_DEP_2) | instskip(NEXT) | instid1(VALU_DEP_2)
	v_mad_u32 v7, v7, v161, v5
	v_cvt_f32_i32_e32 v5, v4
	s_delay_alu instid0(VALU_DEP_2) | instskip(NEXT) | instid1(VALU_DEP_1)
	v_cvt_f32_i32_e32 v4, v7
	v_pk_fma_f32 v[0:1], v[0:1], v[4:5], v[2:3]
	s_delay_alu instid0(VALU_DEP_1)
	v_pk_fma_f32 v[98:99], v[30:31], v[0:1], v[98:99]
	s_cbranch_vccnz .LBB155_6
; %bb.7:                                ;   in Loop: Header=BB155_5 Depth=1
	v_dual_add_nc_u32 v8, s5, v180 :: v_dual_add_nc_u32 v4, 4, v174
	s_barrier_signal -1
	s_barrier_wait -1
	s_delay_alu instid0(VALU_DEP_1)
	v_dual_add_nc_u32 v6, v8, v115 :: v_dual_add_nc_u32 v14, v8, v93
	v_dual_add_nc_u32 v0, v8, v69 :: v_dual_add_nc_u32 v2, v8, v71
	;; [unrolled: 1-line block ×3, first 2 shown]
	v_mad_nc_u64_u32 v[4:5], v4, 36, s[2:3]
	v_dual_add_nc_u32 v12, v8, v83 :: v_dual_add_nc_u32 v16, v8, v113
	v_mad_nc_i64_i32 v[6:7], v6, 36, v[58:59]
	v_mad_nc_i64_i32 v[0:1], v0, 36, v[58:59]
	;; [unrolled: 1-line block ×8, first 2 shown]
	s_clause 0x8
	global_load_b32 v18, v[4:5], off
	global_load_b32 v19, v[6:7], off offset:4
	global_load_b32 v20, v[0:1], off offset:4
	global_load_b32 v21, v[2:3], off offset:4
	global_load_b32 v22, v[8:9], off offset:4
	global_load_b32 v23, v[10:11], off offset:4
	global_load_b32 v24, v[12:13], off offset:4
	global_load_b32 v25, v[14:15], off offset:4
	global_load_b32 v26, v[16:17], off offset:4
	s_mov_b32 s5, 16
	s_wait_loadcnt 0x8
	s_wait_xcnt 0x6
	v_cvt_f32_f16_e32 v0, v18
	s_wait_loadcnt 0x7
	ds_store_b32 v188, v19
	s_wait_loadcnt 0x6
	ds_store_b32 v181, v20
	;; [unrolled: 2-line block ×8, first 2 shown]
	ds_store_b32 v67, v0
	s_wait_dscnt 0x0
	s_barrier_signal -1
	s_barrier_wait -1
	ds_load_b32 v116, v190
	ds_load_b32 v118, v191 offset:128
	ds_load_b32 v120, v192 offset:256
	;; [unrolled: 1-line block ×3, first 2 shown]
	s_wait_dscnt 0x2
	v_dual_mov_b32 v117, v116 :: v_dual_mov_b32 v119, v118
	s_wait_dscnt 0x0
	v_dual_mov_b32 v121, v120 :: v_dual_mov_b32 v123, v122
.LBB155_8:                              ;   Parent Loop BB155_5 Depth=1
                                        ; =>  This Inner Loop Header: Depth=2
	s_lshl_b32 s12, s5, 1
	s_lshl_b32 s16, s5, 3
	s_and_b32 s12, s12, 16
	s_lshr_b32 s13, s5, 1
	v_or_b32_e32 v0, s12, v53
	s_add_co_i32 s13, s13, 0xa200
	v_add_nc_u32_e32 v29, s16, v213
	v_add3_u32 v28, s13, v217, v204
	v_add3_u32 v127, s13, v218, v201
	v_dual_lshlrev_b32 v8, 2, v0 :: v_dual_lshrrev_b32 v18, 1, v0
	ds_load_b128 v[4:7], v8 offset:33280
	ds_load_b128 v[0:3], v8 offset:33296
	ds_load_b128 v[12:15], v8 offset:33312
	ds_load_b128 v[8:11], v8 offset:33328
	s_set_vgpr_msb 64                       ;  msbs: dst=1 src0=0 src1=0 src2=0
	v_add3_u32 v12 /*v268*/, s13, v205, v202
	v_add3_u32 v13 /*v269*/, s13, v206, v203
	s_set_vgpr_msb 0                        ;  msbs: dst=0 src0=0 src1=0 src2=0
	ds_load_2addr_b32 v[166:167], v29 offset0:6 offset1:7
	ds_load_2addr_b32 v[176:177], v29 offset0:4 offset1:5
	ds_load_2addr_b32 v[168:169], v29 offset0:2 offset1:3
	ds_load_2addr_b32 v[174:175], v29 offset1:1
	ds_load_2addr_b32 v[16:17], v29 offset0:13 offset1:14
	ds_load_2addr_b32 v[170:171], v29 offset0:11 offset1:12
	;; [unrolled: 1-line block ×4, first 2 shown]
	v_add_nc_u32_e32 v160, s16, v215
	s_wait_dscnt 0xb
	v_bfe_i32 v235, v6, 8, 8
	s_wait_dscnt 0xa
	v_ashrrev_i32_e32 v27, 24, v0
	s_wait_dscnt 0x9
	v_bfe_i32 v229, v14, 8, 8
	v_perm_b32 v236, v12, v12, 0xc0c0001
	v_perm_b32 v238, v12, v12, 0xc0c0302
	s_wait_dscnt 0x1
	v_perm_b32 v31, v172, v172, 0xc0c0001
	s_wait_dscnt 0x0
	v_bfe_i32 v29, v179, 8, 8
	v_perm_b32 v239, v13, v13, 0xc0c0001
	v_bfe_i32 v230, v13, 16, 8
	v_bfe_i32 v30, v178, 16, 8
	v_perm_b32 v240, v14, v13, 0xc0c0403
	v_mul_i32_i24_e32 v29, v29, v229
	v_perm_b32 v241, v14, v14, 0xc0c0302
	v_perm_b32 v253, v5, v5, 0xc0c0001
	s_set_vgpr_msb 64                       ;  msbs: dst=1 src0=0 src1=0 src2=0
	v_perm_b32 v5 /*v261*/, v5, v5, 0xc0c0302
	v_perm_b32 v10 /*v266*/, v6, v6, 0xc030200
	s_set_vgpr_msb 0                        ;  msbs: dst=0 src0=0 src1=0 src2=0
	v_dot4_i32_iu8 v29, v236, v31, v29 neg_lo:[1,1,0]
	v_perm_b32 v31, v172, v172, 0xc0c0302
	v_perm_b32 v142, v171, v10, 0x6040501
	;; [unrolled: 1-line block ×4, first 2 shown]
	v_bfe_i32 v126, v10, 8, 8
	v_dot4_i32_iu8 v12, v238, v31, v29 neg_lo:[1,1,0]
	v_perm_b32 v29, v178, v178, 0xc0c0001
	v_dot4_i32_iu8 v142, v143, v142, 0 neg_lo:[1,1,0]
	v_perm_b32 v143, v9, v171, 0x6040503
	v_bfe_i32 v20, v8, 8, 8
	v_ashrrev_i32_e32 v146, 24, v10
	v_dot4_i32_iu8 v12, v239, v29, v12 neg_lo:[1,1,0]
	v_perm_b32 v29, v179, v178, 0xc0c0403
	v_dot4_i32_iu8 v142, v144, v143, v142 neg_lo:[1,1,0]
	v_bfe_i32 v147, v10, 16, 8
	v_bfe_i32 v148, v10, 0, 8
	v_mad_i32_i24 v12, v30, v230, v12
	v_perm_b32 v30, v175, v175, 0xc0c0001
	v_perm_b32 v254, v17, v16, 0x7060403
	;; [unrolled: 1-line block ×3, first 2 shown]
	v_bfe_i32 v21, v8, 0, 8
	v_dot4_i32_iu8 v12, v240, v29, v12 neg_lo:[1,1,0]
	v_perm_b32 v29, v179, v179, 0xc0c0302
	v_bfe_i32 v23, v11, 8, 8
	v_dot4_i32_iu8 v150, v10, v254, v142 neg_lo:[1,1,0]
	v_bfe_i32 v140, v9, 0, 8
	v_ashrrev_i32_e32 v141, 24, v8
	v_dot4_i32_iu8 v35, v241, v29, v12 neg_lo:[1,1,0]
	v_bfe_i32 v29, v168, 8, 8
	v_bfe_i32 v164, v8, 16, 8
	;; [unrolled: 1-line block ×3, first 2 shown]
	v_perm_b32 v12, v176, v166, 0x6050401
	v_perm_b32 v252, v0, v2, 0x6050401
	v_mul_i32_i24_e32 v29, v29, v235
	v_lshrrev_b16 v19, 8, v1
	v_bfe_i32 v26, v0, 0, 8
	v_perm_b32 v13, v13, v13, 0xc0c0302
	v_dot4_i32_iu8 v12, v12, v252, 0 neg_lo:[1,1,0]
	v_dot4_i32_iu8 v29, v174, v4, v29 neg_lo:[1,1,0]
	v_bfe_i32 v19, v19, 0, 8
	v_perm_b32 v14, v14, v14, 0xc030200
	v_perm_b32 v255, v166, v177, 0x7060403
	s_set_vgpr_msb 64                       ;  msbs: dst=1 src0=0 src1=0 src2=0
	v_perm_b32 v11 /*v267*/, v2, v1, 0x7060403
	s_set_vgpr_msb 0                        ;  msbs: dst=0 src0=0 src1=0 src2=0
	v_dot4_i32_iu8 v29, v253, v30, v29 neg_lo:[1,1,0]
	v_perm_b32 v30, v175, v175, 0xc0c0302
	v_bfe_i32 v25, v0, 8, 8
	v_bfe_i32 v24, v2, 8, 8
	s_set_vgpr_msb 64                       ;  msbs: dst=1 src0=0 src1=0 src2=0
	v_perm_b32 v2 /*v258*/, v171, v17, 0x6040501
	v_perm_b32 v3 /*v259*/, v16, v171, 0x6040503
	s_set_vgpr_msb 1                        ;  msbs: dst=0 src0=1 src1=0 src2=0
	v_dot4_i32_iu8 v29, v5 /*v261*/, v30, v29 neg_lo:[1,1,0]
	s_set_vgpr_msb 0                        ;  msbs: dst=0 src0=0 src1=0 src2=0
	v_perm_b32 v30, v168, v168, 0xc030200
	v_dot4_i32_iu8 v35, v170, v15, v35 neg_lo:[1,1,0]
	v_dot4_i32_iu8 v150, v11, v173, v150 neg_lo:[1,1,0]
	s_set_vgpr_msb 64                       ;  msbs: dst=1 src0=0 src1=0 src2=0
	v_perm_b32 v20 /*v276*/, v8, v8, 0xc0c0001
	s_set_vgpr_msb 4                        ;  msbs: dst=0 src0=0 src1=1 src2=0
	v_dot4_i32_iu8 v124, v30, v10 /*v266*/, v29 neg_lo:[1,1,0]
	s_set_vgpr_msb 0                        ;  msbs: dst=0 src0=0 src1=0 src2=0
	v_add_nc_u32_e32 v29, s16, v214
	ds_load_2addr_b32 v[132:133], v29 offset0:6 offset1:7
	ds_load_2addr_b32 v[138:139], v29 offset0:4 offset1:5
	;; [unrolled: 1-line block ×3, first 2 shown]
	ds_load_2addr_b32 v[136:137], v29 offset1:1
	ds_load_u16 v129, v29 offset:48
	ds_load_b96 v[32:34], v29 offset:50
	ds_load_u16 v130, v29 offset:62
	v_ashrrev_i32_e32 v149, 24, v9
	s_wait_dscnt 0x2
	v_lshrrev_b16 v131, 8, v129
	s_wait_dscnt 0x1
	v_ashrrev_i32_e32 v143, 24, v32
	v_lshrrev_b16 v31, 8, v32
	v_bfe_i32 v142, v34, 8, 8
	v_bfe_i32 v151, v34, 0, 8
	;; [unrolled: 1-line block ×3, first 2 shown]
	v_ashrrev_i32_e32 v125, 24, v33
	v_bfe_i32 v144, v32, 16, 8
	v_bfe_i32 v31, v31, 0, 8
	;; [unrolled: 1-line block ×3, first 2 shown]
	v_mul_i32_i24_e32 v20, v131, v20
	v_bfe_i32 v131, v129, 0, 8
	v_bfe_i32 v152, v33, 16, 8
	;; [unrolled: 1-line block ×3, first 2 shown]
	v_mul_i32_i24_e32 v147, v151, v147
	v_mul_i32_i24_e32 v142, v142, v146
	;; [unrolled: 1-line block ×3, first 2 shown]
	v_bfe_i32 v131, v9, 8, 8
	v_ashrrev_i32_e32 v146, 24, v34
	v_mul_i32_i24_e32 v145, v145, v164
	v_mul_i32_i24_e32 v31, v31, v141
	v_bfe_i32 v141, v33, 0, 8
	v_mul_i32_i24_e32 v149, v153, v149
	v_mul_i32_i24_e32 v148, v152, v148
	;; [unrolled: 1-line block ×3, first 2 shown]
	v_mad_i32_i24 v140, v144, v140, v147
	v_mad_i32_i24 v131, v143, v131, v142
	ds_load_2addr_b32 v[142:143], v29 offset0:8 offset1:9
	v_mad_i32_i24 v21, v125, v126, v21
	v_mad_i32_i24 v22, v141, v22, v23
	v_lshrrev_b16 v30, 8, v139
	v_add3_u32 v31, v31, v148, v131
	v_add3_u32 v131, v145, v149, v140
	ds_load_2addr_b32 v[140:141], v29 offset0:10 offset1:11
	v_ashrrev_i32_e32 v23, 24, v138
	v_perm_b32 v29, v177, v0, 0x6040503
	v_bfe_i32 v30, v30, 0, 8
	v_add3_u32 v20, v131, v31, v20
	v_perm_b32 v31, v1, v176, 0x6040503
	v_bfe_i32 v125, v139, 0, 8
	v_ashrrev_i32_e32 v144, 24, v2
	v_mul_i32_i24_e32 v19, v30, v19
	v_add3_u32 v131, v20, v21, v22
	v_bfe_i32 v22, v138, 0, 8
	v_dot4_i32_iu8 v12, v31, v29, v12 neg_lo:[1,1,0]
	v_bfe_i32 v30, v3, 8, 8
	v_bfe_i32 v29, v139, 16, 8
	s_wait_dscnt 0x1
	v_perm_b32 v21, v142, v142, 0xc0c0001
	v_mul_i32_i24_e32 v22, v22, v26
	v_ashrrev_i32_e32 v26, 24, v1
	v_mul_i32_i24_e32 v23, v23, v27
	v_bfe_i32 v27, v1, 0, 8
	s_set_vgpr_msb 1                        ;  msbs: dst=0 src0=1 src1=0 src2=0
	v_dot4_i32_iu8 v151, v11 /*v267*/, v255, v12 neg_lo:[1,1,0]
	s_wait_dscnt 0x0
	s_set_vgpr_msb 0                        ;  msbs: dst=0 src0=0 src1=0 src2=0
	v_bfe_i32 v20, v140, 8, 8
	v_perm_b32 v146, v140, v140, 0xc030200
	v_bfe_i32 v12, v133, 8, 8
	v_mul_i32_i24_e32 v27, v125, v27
	v_bfe_i32 v125, v3, 0, 8
	v_mul_i32_i24_e32 v20, v20, v229
	v_ashrrev_i32_e32 v31, 24, v139
	v_bfe_i32 v145, v2, 16, 8
	v_bfe_i32 v147, v132, 16, 8
	v_mul_i32_i24_e32 v12, v12, v30
	v_dot4_i32_iu8 v20, v236, v21, v20 neg_lo:[1,1,0]
	v_perm_b32 v21, v142, v142, 0xc0c0302
	v_perm_b32 v2, v2, v0, 0xc0c0402
	v_mul_i32_i24_e32 v145, v147, v145
	v_mad_i32_i24 v12, v31, v26, v12
	v_ashrrev_i32_e32 v228, 24, v136
	v_dot4_i32_iu8 v20, v238, v21, v20 neg_lo:[1,1,0]
	v_perm_b32 v21, v143, v143, 0xc0c0001
	v_perm_b32 v249, v32, v129, 0x400010c
	v_bfe_i32 v163, v136, 8, 8
	v_perm_b32 v232, v139, v138, 0x6040503
	v_perm_b32 v233, v132, v139, 0x7060403
	v_dot4_i32_iu8 v20, v239, v21, v20 neg_lo:[1,1,0]
	v_perm_b32 v21, v143, v143, 0xc0c0302
	v_perm_b32 v250, v33, v32, 0x4020301
	;; [unrolled: 1-line block ×4, first 2 shown]
	v_lshrrev_b16 v128, 8, v137
	v_dot4_i32_iu8 v13, v13, v21, v20 neg_lo:[1,1,0]
	v_bfe_i32 v21, v138, 8, 8
	v_bfe_i32 v20, v132, 8, 8
	;; [unrolled: 1-line block ×3, first 2 shown]
	s_set_vgpr_msb 64                       ;  msbs: dst=1 src0=0 src1=0 src2=0
	v_bfe_i32 v26 /*v282*/, v135, 0, 8
	s_set_vgpr_msb 0                        ;  msbs: dst=0 src0=0 src1=0 src2=0
	v_dot4_i32_iu8 v14, v146, v14, v13 neg_lo:[1,1,0]
	v_bfe_i32 v13, v133, 0, 8
	v_mul_i32_i24_e32 v21, v21, v25
	v_bfe_i32 v25, v1, 16, 8
	v_ashrrev_i32_e32 v146, 24, v132
	s_set_vgpr_msb 64                       ;  msbs: dst=1 src0=0 src1=0 src2=0
	v_bfe_i32 v28 /*v284*/, v134, 16, 8
	s_set_vgpr_msb 0                        ;  msbs: dst=0 src0=0 src1=0 src2=0
	v_mul_i32_i24_e32 v13, v13, v125
	v_bfe_i32 v162, v134, 8, 8
	v_dot4_i32_iu8 v14, v141, v15, v14 neg_lo:[1,1,0]
	v_mul_i32_i24_e32 v144, v146, v144
	s_delay_alu instid0(VALU_DEP_4) | instskip(NEXT) | instid1(VALU_DEP_2)
	v_mad_i32_i24 v13, v29, v25, v13
	v_add3_u32 v12, v19, v144, v12
	v_perm_b32 v19, v132, v138, 0xc0c0402
	s_delay_alu instid0(VALU_DEP_3) | instskip(NEXT) | instid1(VALU_DEP_2)
	v_add3_u32 v13, v27, v145, v13
	v_dot4_i32_iu8 v2, v19, v2, v23 neg_lo:[1,1,0]
	s_delay_alu instid0(VALU_DEP_2) | instskip(SKIP_1) | instid1(VALU_DEP_1)
	v_add3_u32 v12, v13, v12, v22
	v_mad_i32_i24 v13, v20, v24, v21
	v_add3_u32 v2, v12, v13, v2
	v_perm_b32 v12, v136, v134, 0x6050401
	v_perm_b32 v13, v4, v6, 0x6050401
	s_delay_alu instid0(VALU_DEP_1) | instskip(SKIP_1) | instid1(VALU_DEP_1)
	v_dot4_i32_iu8 v237, v12, v13, 0 neg_lo:[1,1,0]
	v_or_b32_e32 v12, s12, v194
	v_dual_lshlrev_b32 v30, 2, v12 :: v_dual_lshrrev_b32 v31, 1, v12
	ds_load_b64 v[12:13], v18 offset:43584
	ds_load_b32 v18, v28
	s_wait_dscnt 0x0
	s_set_vgpr_msb 64                       ;  msbs: dst=1 src0=0 src1=0 src2=0
	v_bfe_i32 v0 /*v256*/, v18, 0, 8
	v_bfe_i32 v1 /*v257*/, v18, 8, 8
	s_set_vgpr_msb 0                        ;  msbs: dst=0 src0=0 src1=0 src2=0
	v_bfe_i32 v247, v18, 16, 8
	v_ashrrev_i32_e32 v248, 24, v18
	ds_load_2addr_b32 v[144:145], v160 offset0:6 offset1:7
	ds_load_2addr_b32 v[148:149], v160 offset0:4 offset1:5
	;; [unrolled: 1-line block ×3, first 2 shown]
	ds_load_b128 v[18:21], v30 offset:33280
	ds_load_b128 v[22:25], v30 offset:33296
	;; [unrolled: 1-line block ×3, first 2 shown]
	s_set_vgpr_msb 64                       ;  msbs: dst=1 src0=0 src1=0 src2=0
	ds_load_b128 v[6:9] /*v[262:265]*/, v30 offset:33328
	s_set_vgpr_msb 0                        ;  msbs: dst=0 src0=0 src1=0 src2=0
	ds_load_b64 v[30:31], v31 offset:43584
	ds_load_2addr_b32 v[154:155], v160 offset1:1
	ds_load_2addr_b32 v[158:159], v160 offset0:13 offset1:14
	ds_load_2addr_b32 v[156:157], v160 offset0:8 offset1:15
	s_wait_dscnt 0x7
	s_set_vgpr_msb 64                       ;  msbs: dst=1 src0=0 src1=0 src2=0
	v_dual_ashrrev_i32 v27 /*v283*/, 24, v134 :: v_dual_ashrrev_i32 v31 /*v287*/, 24, v20
	s_wait_dscnt 0x6
	s_set_vgpr_msb 0                        ;  msbs: dst=0 src0=0 src1=0 src2=0
	v_perm_b32 v153, v23, v176, 0x6040503
	s_wait_dscnt 0x5
	v_perm_b32 v152, v27, v172, 0x6040503
	s_wait_dscnt 0x4
	s_set_vgpr_msb 5                        ;  msbs: dst=0 src0=1 src1=1 src2=0
	v_perm_b32 v17, v6 /*v262*/, v8 /*v264*/, 0x6040501
	v_perm_b32 v171, v7 /*v263*/, v6 /*v262*/, 0x6040503
	s_set_vgpr_msb 0x45                     ;  msbs: dst=1 src0=1 src1=1 src2=0
	v_perm_b32 v15 /*v271*/, v8 /*v264*/, v7 /*v263*/, 0x7060403
	s_set_vgpr_msb 64                       ;  msbs: dst=1 src0=0 src1=0 src2=0
	v_perm_b32 v16 /*v272*/, v28, v27, 0x7060403
	s_set_vgpr_msb 0                        ;  msbs: dst=0 src0=0 src1=0 src2=0
	v_perm_b32 v246, v24, v23, 0x7060403
	s_set_vgpr_msb 4                        ;  msbs: dst=0 src0=0 src1=1 src2=0
	v_dot4_i32_iu8 v17, v17, v2 /*v258*/, 0 neg_lo:[1,1,0]
	s_set_vgpr_msb 0                        ;  msbs: dst=0 src0=0 src1=0 src2=0
	v_ashrrev_i32_e32 v245, 24, v18
	v_bfe_i32 v234, v18, 8, 8
	v_lshrrev_b16 v242, 8, v19
	v_bfe_i32 v244, v18, 0, 8
	s_set_vgpr_msb 4                        ;  msbs: dst=0 src0=0 src1=1 src2=0
	v_dot4_i32_iu8 v16, v171, v3 /*v259*/, v17 neg_lo:[1,1,0]
	s_set_vgpr_msb 0                        ;  msbs: dst=0 src0=0 src1=0 src2=0
	v_perm_b32 v17, v172, v28, 0x6040501
	v_mul_i32_i24_e32 v139, v234, v163
	v_mul_i32_i24_e32 v163, v228, v245
	v_perm_b32 v234, v137, v136, 0x6040503
	s_set_vgpr_msb 1                        ;  msbs: dst=0 src0=1 src1=0 src2=0
	v_dot4_i32_iu8 v16, v15 /*v271*/, v254, v16 neg_lo:[1,1,0]
	s_set_vgpr_msb 64                       ;  msbs: dst=1 src0=0 src1=0 src2=0
	v_perm_b32 v25 /*v281*/, v19, v174, 0x6040503
	v_bfe_i32 v29 /*v285*/, v21, 8, 8
	v_bfe_i32 v30 /*v286*/, v21, 0, 8
	s_set_vgpr_msb 0                        ;  msbs: dst=0 src0=0 src1=0 src2=0
	v_ashrrev_i32_e32 v245, 24, v19
	s_set_vgpr_msb 4                        ;  msbs: dst=0 src0=0 src1=1 src2=0
	v_dot4_i32_iu8 v125, v173, v9 /*v265*/, v16 neg_lo:[1,1,0]
	s_set_vgpr_msb 0                        ;  msbs: dst=0 src0=0 src1=0 src2=0
	v_perm_b32 v16, v26, v179, 0x6040501
	s_set_vgpr_msb 64                       ;  msbs: dst=1 src0=0 src1=0 src2=0
	v_bfe_i32 v32 /*v288*/, v20, 16, 8
	s_set_vgpr_msb 0                        ;  msbs: dst=0 src0=0 src1=0 src2=0
	v_bfe_i32 v243, v20, 8, 8
	v_ashrrev_i32_e32 v228, 24, v137
	v_dot4_i32_iu8 v16, v17, v16, 0 neg_lo:[1,1,0]
	v_perm_b32 v17, v178, v26, 0x6040503
	s_delay_alu instid0(VALU_DEP_1) | instskip(SKIP_3) | instid1(VALU_DEP_1)
	v_dot4_i32_iu8 v16, v152, v17, v16 neg_lo:[1,1,0]
	v_perm_b32 v17, v178, v178, 0xc0c0c03
	v_perm_b32 v152, v179, v179, 0x706000c
	s_set_vgpr_msb 64                       ;  msbs: dst=1 src0=0 src1=0 src2=0
	v_dual_add_nc_u32 v14 /*v270*/, s16, v216 :: v_dual_bitop2_b32 v4 /*v260*/, v152, v17 bitop3:0x54
	s_set_vgpr_msb 0                        ;  msbs: dst=0 src0=0 src1=0 src2=0
	v_perm_b32 v17, v176, v24, 0x6050401
	s_set_vgpr_msb 5                        ;  msbs: dst=0 src0=1 src1=1 src2=0
	s_delay_alu instid0(VALU_DEP_2) | instskip(SKIP_1) | instid1(VALU_DEP_1)
	v_dot4_i32_iu8 v16, v4 /*v260*/, v16 /*v272*/, v16 neg_lo:[1,1,0]
	s_set_vgpr_msb 0                        ;  msbs: dst=0 src0=0 src1=0 src2=0
	v_dot4_i32_iu8 v152, v29, v170, v16 neg_lo:[1,1,0]
	v_perm_b32 v16, v22, v166, 0x6050401
	s_delay_alu instid0(VALU_DEP_1) | instskip(SKIP_1) | instid1(VALU_DEP_1)
	v_dot4_i32_iu8 v16, v17, v16, 0 neg_lo:[1,1,0]
	v_perm_b32 v17, v177, v22, 0x6040503
	v_dot4_i32_iu8 v16, v153, v17, v16 neg_lo:[1,1,0]
	v_dot4_i32_iu8 v17, v7, v169, v124 neg_lo:[1,1,0]
	s_delay_alu instid0(VALU_DEP_2) | instskip(SKIP_1) | instid1(VALU_DEP_2)
	v_dot4_i32_iu8 v16, v246, v255, v16 neg_lo:[1,1,0]
	s_set_vgpr_msb 0x44                     ;  msbs: dst=1 src0=0 src1=1 src2=0
	v_mul_lo_u32 v18 /*v274*/, v17, v0 /*v256*/
	s_set_vgpr_msb 0                        ;  msbs: dst=0 src0=0 src1=0 src2=0
	v_perm_b32 v17, v174, v20, 0x6050401
	v_dot4_i32_iu8 v16, v25, v167, v16 neg_lo:[1,1,0]
	s_set_vgpr_msb 0x44                     ;  msbs: dst=1 src0=0 src1=1 src2=0
	s_delay_alu instid0(VALU_DEP_1) | instskip(SKIP_3) | instid1(VALU_DEP_1)
	v_mul_lo_u32 v17 /*v273*/, v16, v1 /*v257*/
	s_set_vgpr_msb 0                        ;  msbs: dst=0 src0=0 src1=0 src2=0
	v_perm_b32 v16, v18, v168, 0x6050401
	s_set_vgpr_msb 64                       ;  msbs: dst=1 src0=0 src1=0 src2=0
	v_dot4_i32_iu8 v19 /*v275*/, v17, v16, 0 neg_lo:[1,1,0]
	s_wait_dscnt 0x3
	s_set_vgpr_msb 0                        ;  msbs: dst=0 src0=0 src1=0 src2=0
	v_dual_mov_b32 v16, v30 :: v_dual_mov_b32 v17, v12
	v_mul_lo_u32 v12, v125, v248
	v_mul_lo_u32 v30, v35, v247
	s_delay_alu instid0(VALU_DEP_2)
	v_mad_u32 v12, v152, v247, v12
	ds_load_2addr_b32 v[152:153], v160 offset0:11 offset1:12
	v_mad_u32 v30, v150, v248, v30
	ds_load_2addr_b32 v[160:161], v160 offset0:9 offset1:10
	v_mul_i32_i24_e32 v150, v244, v165
	v_bfe_i32 v165, v137, 16, 8
	v_bfe_i32 v244, v19, 16, 8
	v_cvt_f32_i32_e32 v124, v12
	v_mov_b32_e32 v12, v31
	v_cvt_f32_i32_e32 v125, v30
	s_wait_dscnt 0x3
	v_bfe_i32 v30, v159, 8, 8
	s_delay_alu instid0(VALU_DEP_1) | instskip(SKIP_4) | instid1(VALU_DEP_2)
	v_mul_i32_i24_e32 v30, v30, v126
	s_wait_dscnt 0x1
	v_perm_b32 v35, v153, v153, 0xc0c0001
	v_bfe_i32 v31, v153, 16, 8
	s_set_vgpr_msb 1                        ;  msbs: dst=0 src0=1 src1=0 src2=0
	v_dot4_i32_iu8 v30, v20 /*v276*/, v35, v30 neg_lo:[1,1,0]
	s_set_vgpr_msb 0                        ;  msbs: dst=0 src0=0 src1=0 src2=0
	v_perm_b32 v35, v158, v8, 0x6040503
	s_delay_alu instid0(VALU_DEP_2) | instskip(SKIP_1) | instid1(VALU_DEP_1)
	v_mad_i32_i24 v30, v164, v31, v30
	v_perm_b32 v31, v9, v153, 0x6040503
	v_dot4_i32_iu8 v30, v35, v31, v30 neg_lo:[1,1,0]
	v_perm_b32 v31, v158, v158, 0xc0c0c03
	v_perm_b32 v35, v159, v159, 0x706000c
	s_delay_alu instid0(VALU_DEP_1)
	v_or_b32_e32 v227, v35, v31
	v_perm_b32 v35, v156, v156, 0xc0c0001
	s_wait_dscnt 0x0
	v_bfe_i32 v31, v160, 16, 8
	s_set_vgpr_msb 64                       ;  msbs: dst=1 src0=0 src1=0 src2=0
	v_dot4_i32_iu8 v21 /*v277*/, v10, v227, v30 neg_lo:[1,1,0]
	s_set_vgpr_msb 0                        ;  msbs: dst=0 src0=0 src1=0 src2=0
	v_bfe_i32 v30, v161, 8, 8
	s_delay_alu instid0(VALU_DEP_1) | instskip(NEXT) | instid1(VALU_DEP_1)
	v_mul_i32_i24_e32 v30, v30, v229
	v_dot4_i32_iu8 v30, v236, v35, v30 neg_lo:[1,1,0]
	v_perm_b32 v35, v156, v156, 0xc0c0302
	s_delay_alu instid0(VALU_DEP_1) | instskip(SKIP_1) | instid1(VALU_DEP_1)
	v_dot4_i32_iu8 v30, v238, v35, v30 neg_lo:[1,1,0]
	v_perm_b32 v35, v160, v160, 0xc0c0001
	v_dot4_i32_iu8 v30, v239, v35, v30 neg_lo:[1,1,0]
	v_perm_b32 v35, v1, v148, 0x6040503
	s_delay_alu instid0(VALU_DEP_2) | instskip(SKIP_1) | instid1(VALU_DEP_1)
	v_mad_i32_i24 v30, v31, v230, v30
	v_perm_b32 v31, v161, v160, 0xc0c0403
	v_dot4_i32_iu8 v30, v240, v31, v30 neg_lo:[1,1,0]
	v_perm_b32 v31, v161, v161, 0xc0c0302
	s_set_vgpr_msb 64                       ;  msbs: dst=1 src0=0 src1=0 src2=0
	s_delay_alu instid0(VALU_DEP_1) | instskip(SKIP_3) | instid1(VALU_DEP_2)
	v_dot4_i32_iu8 v22 /*v278*/, v241, v31, v30 neg_lo:[1,1,0]
	s_set_vgpr_msb 0                        ;  msbs: dst=0 src0=0 src1=0 src2=0
	v_perm_b32 v30, v148, v144, 0x6050401
	v_perm_b32 v31, v149, v0, 0x6040503
	v_dot4_i32_iu8 v30, v30, v252, 0 neg_lo:[1,1,0]
	s_delay_alu instid0(VALU_DEP_1) | instskip(SKIP_3) | instid1(VALU_DEP_2)
	v_dot4_i32_iu8 v30, v35, v31, v30 neg_lo:[1,1,0]
	v_perm_b32 v31, v144, v149, 0x7060403
	v_perm_b32 v35, v28, v143, 0x7060403
	s_set_vgpr_msb 0x41                     ;  msbs: dst=1 src0=1 src1=0 src2=0
	v_dot4_i32_iu8 v23 /*v279*/, v11 /*v267*/, v31, v30 neg_lo:[1,1,0]
	s_set_vgpr_msb 0                        ;  msbs: dst=0 src0=0 src1=0 src2=0
	v_bfe_i32 v30, v146, 8, 8
	v_perm_b32 v31, v155, v155, 0xc0c0001
	s_delay_alu instid0(VALU_DEP_2) | instskip(NEXT) | instid1(VALU_DEP_1)
	v_mul_i32_i24_e32 v30, v30, v235
	v_dot4_i32_iu8 v30, v154, v4, v30 neg_lo:[1,1,0]
	s_delay_alu instid0(VALU_DEP_1) | instskip(SKIP_2) | instid1(VALU_DEP_1)
	v_dot4_i32_iu8 v30, v253, v31, v30 neg_lo:[1,1,0]
	v_perm_b32 v31, v155, v155, 0xc0c0302
	s_set_vgpr_msb 1                        ;  msbs: dst=0 src0=1 src1=0 src2=0
	v_dot4_i32_iu8 v30, v5 /*v261*/, v31, v30 neg_lo:[1,1,0]
	s_set_vgpr_msb 0                        ;  msbs: dst=0 src0=0 src1=0 src2=0
	v_perm_b32 v31, v146, v146, 0xc030200
	s_set_vgpr_msb 0x44                     ;  msbs: dst=1 src0=0 src1=1 src2=0
	s_delay_alu instid0(VALU_DEP_1)
	v_dot4_i32_iu8 v24 /*v280*/, v31, v10 /*v266*/, v30 neg_lo:[1,1,0]
	s_set_vgpr_msb 5                        ;  msbs: dst=0 src0=1 src1=1 src2=0
	v_perm_b32 v31, v8 /*v264*/, v8 /*v264*/, 0xc0c0c01
	s_set_vgpr_msb 1                        ;  msbs: dst=0 src0=1 src1=0 src2=0
	v_perm_b32 v30, v6 /*v262*/, v33, 0x6040503
	s_set_vgpr_msb 0                        ;  msbs: dst=0 src0=0 src1=0 src2=0
	s_delay_alu instid0(VALU_DEP_2) | instskip(NEXT) | instid1(VALU_DEP_1)
	v_or_b32_e32 v31, v249, v31
	v_dot4_i32_iu8 v30, v31, v30, 0 neg_lo:[1,1,0]
	v_perm_b32 v31, v142, v28, 0x6040501
	s_delay_alu instid0(VALU_DEP_2) | instskip(SKIP_2) | instid1(VALU_DEP_2)
	v_dot4_i32_iu8 v30, v171, v250, v30 neg_lo:[1,1,0]
	v_perm_b32 v171, v23, v22, 0x6040503
	s_set_vgpr_msb 4                        ;  msbs: dst=0 src0=0 src1=1 src2=0
	v_dot4_i32_iu8 v32, v251, v15 /*v271*/, v30 neg_lo:[1,1,0]
	s_set_vgpr_msb 0                        ;  msbs: dst=0 src0=0 src1=0 src2=0
	v_perm_b32 v30, v26, v140, 0x6040501
	s_delay_alu instid0(VALU_DEP_1) | instskip(SKIP_1) | instid1(VALU_DEP_1)
	v_dot4_i32_iu8 v30, v31, v30, 0 neg_lo:[1,1,0]
	v_perm_b32 v31, v27, v26, 0x6040503
	v_dot4_i32_iu8 v30, v231, v31, v30 neg_lo:[1,1,0]
	v_perm_b32 v31, v140, v27, 0x7060403
	s_delay_alu instid0(VALU_DEP_1) | instskip(SKIP_2) | instid1(VALU_DEP_3)
	v_dot4_i32_iu8 v35, v35, v31, v30 neg_lo:[1,1,0]
	v_perm_b32 v30, v22, v132, 0x6050401
	v_perm_b32 v31, v138, v24, 0x6050401
	v_dot4_i32_iu8 v35, v29, v141, v35 neg_lo:[1,1,0]
	s_delay_alu instid0(VALU_DEP_2) | instskip(SKIP_1) | instid1(VALU_DEP_2)
	v_dot4_i32_iu8 v30, v31, v30, 0 neg_lo:[1,1,0]
	v_bfe_i32 v31, v137, 0, 8
	v_dot4_i32_iu8 v30, v232, v171, v30 neg_lo:[1,1,0]
	s_delay_alu instid0(VALU_DEP_1)
	v_dot4_i32_iu8 v129, v233, v246, v30 neg_lo:[1,1,0]
	v_bfe_i32 v30, v128, 0, 8
	v_perm_b32 v128, v5, v4, 0x6040503
	v_perm_b32 v246, v175, v18, 0x6040503
	;; [unrolled: 1-line block ×4, first 2 shown]
	s_delay_alu instid0(VALU_DEP_4)
	v_dot4_i32_iu8 v128, v234, v128, v237 neg_lo:[1,1,0]
	v_bfe_i32 v237, v242, 0, 8
	s_set_vgpr_msb 17                       ;  msbs: dst=0 src0=1 src1=0 src2=1
	v_dot4_i32_iu8 v246, v25 /*v281*/, v246, v19 /*v275*/ neg_lo:[1,1,0]
	s_set_vgpr_msb 0                        ;  msbs: dst=0 src0=0 src1=0 src2=0
	v_bfe_i32 v242, v19, 0, 8
	s_set_vgpr_msb 64                       ;  msbs: dst=1 src0=0 src1=0 src2=0
	v_bfe_i32 v25 /*v281*/, v135, 8, 8
	v_mul_i32_i24_e32 v19 /*v275*/, v237, v30
	s_set_vgpr_msb 0                        ;  msbs: dst=0 src0=0 src1=0 src2=0
	v_perm_b32 v237, v134, v137, 0x7060403
	v_perm_b32 v137, v20, v19, 0x7060403
	v_dot4_i32_iu8 v30, v3, v167, v151 neg_lo:[1,1,0]
	v_mul_i32_i24_e32 v242, v242, v31
	s_delay_alu instid0(VALU_DEP_4) | instskip(NEXT) | instid1(VALU_DEP_4)
	v_dot4_i32_iu8 v5, v237, v5, v128 neg_lo:[1,1,0]
	v_dot4_i32_iu8 v6, v137, v6, v246 neg_lo:[1,1,0]
	s_set_vgpr_msb 20                       ;  msbs: dst=0 src0=0 src1=1 src2=1
	v_mad_u32 v30, v30, v1 /*v257*/, v18 /*v274*/
	s_set_vgpr_msb 0                        ;  msbs: dst=0 src0=0 src1=0 src2=0
	v_perm_b32 v246, v130, v34, 0x5040203
	v_dot4_i32_iu8 v5, v7, v135, v5 neg_lo:[1,1,0]
	v_dot4_i32_iu8 v6, v21, v169, v6 neg_lo:[1,1,0]
	s_set_vgpr_msb 20                       ;  msbs: dst=0 src0=0 src1=1 src2=1
	s_delay_alu instid0(VALU_DEP_1) | instskip(SKIP_1) | instid1(VALU_DEP_2)
	v_mad_u32 v6, v6, v0 /*v256*/, v17 /*v273*/
	v_cvt_f32_i32_e32 v31, v30
	v_cvt_f32_i32_e32 v30, v6
	s_set_vgpr_msb 5                        ;  msbs: dst=0 src0=1 src1=1 src2=0
	v_mul_i32_i24_e32 v6, v32 /*v288*/, v28 /*v284*/
	s_set_vgpr_msb 0                        ;  msbs: dst=0 src0=0 src1=0 src2=0
	s_delay_alu instid0(VALU_DEP_2) | instskip(NEXT) | instid1(VALU_DEP_1)
	v_pk_fma_f32 v[30:31], v[16:17], v[30:31], 0 op_sel_hi:[1,1,0]
	v_pk_fma_f32 v[30:31], v[12:13], v[124:125], v[30:31]
	s_set_vgpr_msb 5                        ;  msbs: dst=0 src0=1 src1=1 src2=0
	v_mul_i32_i24_e32 v124, v29 /*v285*/, v25 /*v281*/
	s_set_vgpr_msb 0                        ;  msbs: dst=0 src0=0 src1=0 src2=0
	s_delay_alu instid0(VALU_DEP_2)
	v_pk_fma_f32 v[90:91], v[116:117], v[30:31], v[90:91]
	s_set_vgpr_msb 5                        ;  msbs: dst=0 src0=1 src1=1 src2=0
	v_mul_i32_i24_e32 v31, v30 /*v286*/, v26 /*v282*/
	v_mul_i32_i24_e32 v30, v31 /*v287*/, v27 /*v283*/
	s_set_vgpr_msb 0                        ;  msbs: dst=0 src0=0 src1=0 src2=0
	v_mad_i32_i24 v124, v245, v228, v124
	s_delay_alu instid0(VALU_DEP_3) | instskip(SKIP_1) | instid1(VALU_DEP_2)
	v_mad_i32_i24 v31, v244, v165, v31
	s_set_vgpr_msb 1                        ;  msbs: dst=0 src0=1 src1=0 src2=0
	v_add3_u32 v30, v19 /*v275*/, v30, v124
	s_set_vgpr_msb 0                        ;  msbs: dst=0 src0=0 src1=0 src2=0
	v_perm_b32 v124, v20, v136, 0xc0c0402
	v_add3_u32 v6, v242, v6, v31
	v_perm_b32 v31, v134, v18, 0xc0c0402
	s_delay_alu instid0(VALU_DEP_2) | instskip(SKIP_1) | instid1(VALU_DEP_3)
	v_add3_u32 v6, v6, v30, v150
	v_mad_i32_i24 v30, v243, v162, v139
	v_dot4_i32_iu8 v31, v124, v31, v163 neg_lo:[1,1,0]
	v_perm_b32 v124, v3, v3, 0xc0c0302
	s_delay_alu instid0(VALU_DEP_2)
	v_add3_u32 v6, v6, v30, v31
	ds_load_b32 v30, v127
	v_perm_b32 v31, v11, v11, 0xc030200
	s_wait_dscnt 0x0
	v_bfe_i32 v244, v30, 8, 8
	v_bfe_i32 v245, v30, 0, 8
	;; [unrolled: 1-line block ×3, first 2 shown]
	v_ashrrev_i32_e32 v243, 24, v30
	s_set_vgpr_msb 5                        ;  msbs: dst=0 src0=1 src1=1 src2=0
	v_perm_b32 v30, v9 /*v265*/, v9 /*v265*/, 0x3020001
	s_set_vgpr_msb 0                        ;  msbs: dst=0 src0=0 src1=0 src2=0
	v_mul_lo_u32 v5, v5, v245
	s_delay_alu instid0(VALU_DEP_2) | instskip(SKIP_1) | instid1(VALU_DEP_1)
	v_dot4_i32_iu8 v32, v246, v30, v32 neg_lo:[1,1,0]
	v_perm_b32 v30, v130, v34, 0xc050402
	v_dot4_i32_iu8 v34, v31, v30, v131 neg_lo:[1,1,0]
	v_perm_b32 v31, v133, v133, 0xc0c0302
	v_dot4_i32_iu8 v30, v25, v133, v129 neg_lo:[1,1,0]
	s_delay_alu instid0(VALU_DEP_2) | instskip(NEXT) | instid1(VALU_DEP_2)
	v_dot4_i32_iu8 v2, v124, v31, v2 neg_lo:[1,1,0]
	v_mul_lo_u32 v30, v30, v244
	v_perm_b32 v31, v135, v135, 0xc0c0302
	v_perm_b32 v124, v21, v21, 0xc0c0302
	s_delay_alu instid0(VALU_DEP_4) | instskip(SKIP_2) | instid1(VALU_DEP_4)
	v_mad_u32 v2, v2, v244, v5
	v_mul_lo_u32 v5, v14, v242
	v_perm_b32 v14, v19, v154, 0x6040503
	v_dot4_i32_iu8 v6, v124, v31, v6 neg_lo:[1,1,0]
	s_delay_alu instid0(VALU_DEP_1) | instskip(SKIP_3) | instid1(VALU_DEP_4)
	v_mad_u32 v6, v6, v245, v30
	v_cvt_f32_i32_e32 v31, v2
	v_mul_lo_u32 v2, v32, v243
	v_mad_u32 v5, v34, v243, v5
	v_cvt_f32_i32_e32 v30, v6
	s_delay_alu instid0(VALU_DEP_3) | instskip(NEXT) | instid1(VALU_DEP_2)
	v_mad_u32 v2, v35, v242, v2
	v_pk_fma_f32 v[30:31], v[16:17], v[30:31], 0 op_sel_hi:[1,1,0]
	s_delay_alu instid0(VALU_DEP_4) | instskip(NEXT) | instid1(VALU_DEP_3)
	v_cvt_f32_i32_e32 v35, v5
	v_cvt_f32_i32_e32 v34, v2
	s_delay_alu instid0(VALU_DEP_1)
	v_pk_fma_f32 v[30:31], v[12:13], v[34:35], v[30:31]
	s_set_vgpr_msb 1                        ;  msbs: dst=0 src0=1 src1=0 src2=0
	ds_load_2addr_b32 v[34:35], v14 /*v270*/ offset0:6 offset1:7
	ds_load_2addr_b32 v[150:151], v14 /*v270*/ offset0:4 offset1:5
	ds_load_2addr_b32 v[124:125], v14 /*v270*/ offset0:2 offset1:3
	ds_load_2addr_b32 v[130:131], v14 /*v270*/ offset1:1
	ds_load_2addr_b32 v[162:163], v14 /*v270*/ offset0:13 offset1:14
	ds_load_2addr_b32 v[128:129], v14 /*v270*/ offset0:8 offset1:15
	s_set_vgpr_msb 0                        ;  msbs: dst=0 src0=0 src1=0 src2=0
	v_pk_fma_f32 v[100:101], v[118:119], v[30:31], v[100:101]
	s_set_vgpr_msb 16                       ;  msbs: dst=0 src0=0 src1=0 src2=1
	v_dot4_i32_iu8 v30, v11, v157, v21 /*v277*/ neg_lo:[1,1,0]
	s_wait_dscnt 0x4
	v_perm_b32 v0, v151, v0, 0x6040503
	v_perm_b32 v1, v1, v150, 0x6040503
	s_wait_dscnt 0x1
	v_bfe_i32 v2, v163, 8, 8
	s_delay_alu instid0(VALU_DEP_1)
	v_mul_i32_i24_e32 v2, v2, v126
	s_set_vgpr_msb 1                        ;  msbs: dst=0 src0=1 src1=0 src2=0
	ds_load_2addr_b32 v[126:127], v14 /*v270*/ offset0:11 offset1:12
	s_wait_dscnt 0x0
	s_set_vgpr_msb 0                        ;  msbs: dst=0 src0=0 src1=0 src2=0
	v_perm_b32 v6, v127, v127, 0xc0c0001
	v_bfe_i32 v5, v127, 16, 8
	s_set_vgpr_msb 1                        ;  msbs: dst=0 src0=1 src1=0 src2=0
	s_delay_alu instid0(VALU_DEP_2) | instskip(SKIP_3) | instid1(VALU_DEP_3)
	v_dot4_i32_iu8 v2, v20 /*v276*/, v6, v2 neg_lo:[1,1,0]
	s_set_vgpr_msb 0                        ;  msbs: dst=0 src0=0 src1=0 src2=0
	v_perm_b32 v6, v162, v8, 0x6040503
	v_perm_b32 v8, v128, v128, 0xc0c0001
	v_mad_i32_i24 v2, v164, v5, v2
	s_set_vgpr_msb 1                        ;  msbs: dst=0 src0=1 src1=0 src2=0
	ds_load_2addr_b32 v[164:165], v14 /*v270*/ offset0:9 offset1:10
	s_set_vgpr_msb 0                        ;  msbs: dst=0 src0=0 src1=0 src2=0
	v_perm_b32 v5, v9, v127, 0x6040503
	s_delay_alu instid0(VALU_DEP_1) | instskip(SKIP_2) | instid1(VALU_DEP_1)
	v_dot4_i32_iu8 v2, v6, v5, v2 neg_lo:[1,1,0]
	v_perm_b32 v5, v162, v162, 0xc0c0c03
	v_perm_b32 v6, v163, v163, 0x706000c
	v_or_b32_e32 v228, v6, v5
	s_delay_alu instid0(VALU_DEP_1)
	v_dot4_i32_iu8 v2, v10, v228, v2 neg_lo:[1,1,0]
	v_perm_b32 v10, v24, v149, 0x7060403
	s_wait_dscnt 0x0
	v_bfe_i32 v5, v165, 8, 8
	v_bfe_i32 v6, v164, 16, 8
	v_dot4_i32_iu8 v2, v11, v129, v2 neg_lo:[1,1,0]
	s_delay_alu instid0(VALU_DEP_3) | instskip(SKIP_1) | instid1(VALU_DEP_2)
	v_mul_i32_i24_e32 v5, v5, v229
	v_perm_b32 v229, v151, v150, 0x6040503
	v_dot4_i32_iu8 v5, v236, v8, v5 neg_lo:[1,1,0]
	v_perm_b32 v8, v128, v128, 0xc0c0302
	s_delay_alu instid0(VALU_DEP_1) | instskip(SKIP_1) | instid1(VALU_DEP_1)
	v_dot4_i32_iu8 v5, v238, v8, v5 neg_lo:[1,1,0]
	v_perm_b32 v8, v164, v164, 0xc0c0001
	v_dot4_i32_iu8 v5, v239, v8, v5 neg_lo:[1,1,0]
	s_delay_alu instid0(VALU_DEP_1) | instskip(SKIP_1) | instid1(VALU_DEP_1)
	v_mad_i32_i24 v5, v6, v230, v5
	v_perm_b32 v6, v165, v164, 0xc0c0403
	v_dot4_i32_iu8 v5, v240, v6, v5 neg_lo:[1,1,0]
	v_perm_b32 v6, v165, v165, 0xc0c0302
	s_delay_alu instid0(VALU_DEP_1) | instskip(SKIP_2) | instid1(VALU_DEP_3)
	v_dot4_i32_iu8 v6, v241, v6, v5 neg_lo:[1,1,0]
	v_perm_b32 v5, v150, v34, 0x6050401
	v_perm_b32 v241, v149, v148, 0x6040503
	v_dot4_i32_iu8 v6, v126, v15, v6 neg_lo:[1,1,0]
	s_delay_alu instid0(VALU_DEP_3) | instskip(SKIP_1) | instid1(VALU_DEP_2)
	v_dot4_i32_iu8 v5, v5, v252, 0 neg_lo:[1,1,0]
	v_perm_b32 v252, v131, v130, 0x6040503
	v_dot4_i32_iu8 v0, v1, v0, v5 neg_lo:[1,1,0]
	v_perm_b32 v1, v34, v151, 0x7060403
	v_perm_b32 v5, v27, v156, 0x6040503
	s_set_vgpr_msb 1                        ;  msbs: dst=0 src0=1 src1=0 src2=0
	s_delay_alu instid0(VALU_DEP_2) | instskip(SKIP_3) | instid1(VALU_DEP_2)
	v_dot4_i32_iu8 v8, v11 /*v267*/, v1, v0 neg_lo:[1,1,0]
	s_set_vgpr_msb 0                        ;  msbs: dst=0 src0=0 src1=0 src2=0
	v_bfe_i32 v0, v124, 8, 8
	v_perm_b32 v1, v131, v131, 0xc0c0001
	v_mul_i32_i24_e32 v0, v0, v235
	s_delay_alu instid0(VALU_DEP_1) | instskip(SKIP_3) | instid1(VALU_DEP_2)
	v_dot4_i32_iu8 v0, v130, v4, v0 neg_lo:[1,1,0]
	s_set_vgpr_msb 1                        ;  msbs: dst=0 src0=1 src1=0 src2=0
	v_perm_b32 v4, v7 /*v263*/, v153, 0x6040503
	s_set_vgpr_msb 0                        ;  msbs: dst=0 src0=0 src1=0 src2=0
	v_dot4_i32_iu8 v0, v253, v1, v0 neg_lo:[1,1,0]
	v_perm_b32 v1, v131, v131, 0xc0c0302
	v_perm_b32 v253, v155, v154, 0x6040503
	s_set_vgpr_msb 1                        ;  msbs: dst=0 src0=1 src1=0 src2=0
	s_delay_alu instid0(VALU_DEP_2)
	v_dot4_i32_iu8 v0, v5 /*v261*/, v1, v0 neg_lo:[1,1,0]
	s_set_vgpr_msb 0                        ;  msbs: dst=0 src0=0 src1=0 src2=0
	v_perm_b32 v1, v124, v124, 0xc030200
	s_set_vgpr_msb 64                       ;  msbs: dst=1 src0=0 src1=0 src2=0
	v_perm_b32 v5 /*v261*/, v175, v174, 0x6040503
	s_set_vgpr_msb 4                        ;  msbs: dst=0 src0=0 src1=1 src2=0
	s_delay_alu instid0(VALU_DEP_2)
	v_dot4_i32_iu8 v9, v1, v10 /*v266*/, v0 neg_lo:[1,1,0]
	s_set_vgpr_msb 1                        ;  msbs: dst=0 src0=1 src1=0 src2=0
	v_perm_b32 v0, v6 /*v262*/, v159, 0x6040501
	s_set_vgpr_msb 4                        ;  msbs: dst=0 src0=0 src1=1 src2=0
	v_perm_b32 v1, v153, v8 /*v264*/, 0x6040501
	s_set_vgpr_msb 0                        ;  msbs: dst=0 src0=0 src1=0 src2=0
	s_delay_alu instid0(VALU_DEP_1) | instskip(SKIP_3) | instid1(VALU_DEP_1)
	v_dot4_i32_iu8 v0, v1, v0, 0 neg_lo:[1,1,0]
	s_set_vgpr_msb 4                        ;  msbs: dst=0 src0=0 src1=1 src2=0
	v_perm_b32 v1, v158, v6 /*v262*/, 0x6040503
	s_set_vgpr_msb 0                        ;  msbs: dst=0 src0=0 src1=0 src2=0
	v_dot4_i32_iu8 v0, v4, v1, v0 neg_lo:[1,1,0]
	v_perm_b32 v1, v26, v161, 0x6040501
	v_perm_b32 v4, v156, v28, 0x6040501
	s_set_vgpr_msb 4                        ;  msbs: dst=0 src0=0 src1=1 src2=0
	s_delay_alu instid0(VALU_DEP_3) | instskip(SKIP_1) | instid1(VALU_DEP_2)
	v_dot4_i32_iu8 v0, v227, v15 /*v271*/, v0 neg_lo:[1,1,0]
	s_set_vgpr_msb 0                        ;  msbs: dst=0 src0=0 src1=0 src2=0
	v_dot4_i32_iu8 v1, v4, v1, 0 neg_lo:[1,1,0]
	v_perm_b32 v4, v160, v26, 0x6040503
	s_delay_alu instid0(VALU_DEP_1) | instskip(SKIP_2) | instid1(VALU_DEP_1)
	v_dot4_i32_iu8 v1, v5, v4, v1 neg_lo:[1,1,0]
	v_perm_b32 v4, v160, v160, 0xc0c0c03
	v_perm_b32 v5, v161, v161, 0x706000c
	v_or_b32_e32 v240, v5, v4
	v_perm_b32 v4, v22, v144, 0x6050401
	v_perm_b32 v5, v148, v24, 0x6050401
	s_set_vgpr_msb 4                        ;  msbs: dst=0 src0=0 src1=1 src2=0
	s_delay_alu instid0(VALU_DEP_3) | instskip(SKIP_1) | instid1(VALU_DEP_2)
	v_dot4_i32_iu8 v1, v240, v16 /*v272*/, v1 neg_lo:[1,1,0]
	s_set_vgpr_msb 0                        ;  msbs: dst=0 src0=0 src1=0 src2=0
	v_dot4_i32_iu8 v4, v5, v4, 0 neg_lo:[1,1,0]
	v_perm_b32 v5, v144, v23, 0x7060403
	s_delay_alu instid0(VALU_DEP_3) | instskip(SKIP_4) | instid1(VALU_DEP_1)
	v_dot4_i32_iu8 v31, v29, v152, v1 neg_lo:[1,1,0]
	s_set_vgpr_msb 16                       ;  msbs: dst=0 src0=0 src1=0 src2=1
	v_dot4_i32_iu8 v1, v7, v147, v24 /*v280*/ neg_lo:[1,1,0]
	s_set_vgpr_msb 0                        ;  msbs: dst=0 src0=0 src1=0 src2=0
	v_dot4_i32_iu8 v4, v241, v171, v4 neg_lo:[1,1,0]
	v_dot4_i32_iu8 v4, v10, v5, v4 neg_lo:[1,1,0]
	v_perm_b32 v5, v18, v146, 0x6050401
	v_perm_b32 v10, v154, v20, 0x6050401
	s_delay_alu instid0(VALU_DEP_1) | instskip(SKIP_1) | instid1(VALU_DEP_1)
	v_dot4_i32_iu8 v5, v10, v5, 0 neg_lo:[1,1,0]
	v_perm_b32 v10, v155, v18, 0x6040503
	v_dot4_i32_iu8 v5, v14, v10, v5 neg_lo:[1,1,0]
	v_perm_b32 v10, v146, v155, 0x7060403
	s_set_vgpr_msb 4                        ;  msbs: dst=0 src0=0 src1=1 src2=0
	v_dot4_i32_iu8 v14, v157, v9 /*v265*/, v0 neg_lo:[1,1,0]
	s_set_vgpr_msb 0                        ;  msbs: dst=0 src0=0 src1=0 src2=0
	v_dot4_i32_iu8 v0, v25, v145, v4 neg_lo:[1,1,0]
	v_dot4_i32_iu8 v5, v137, v10, v5 neg_lo:[1,1,0]
	s_set_vgpr_msb 1                        ;  msbs: dst=0 src0=1 src1=0 src2=0
	ds_load_b32 v10, v12 /*v268*/
	s_set_vgpr_msb 0                        ;  msbs: dst=0 src0=0 src1=0 src2=0
	v_dot4_i32_iu8 v4, v21, v147, v5 neg_lo:[1,1,0]
	s_set_vgpr_msb 16                       ;  msbs: dst=0 src0=0 src1=0 src2=1
	v_dot4_i32_iu8 v5, v3, v145, v23 /*v279*/ neg_lo:[1,1,0]
	s_set_vgpr_msb 0                        ;  msbs: dst=0 src0=0 src1=0 src2=0
	v_dot4_i32_iu8 v3, v3, v35, v8 neg_lo:[1,1,0]
	s_wait_dscnt 0x0
	v_bfe_i32 v238, v10, 0, 8
	v_bfe_i32 v239, v10, 8, 8
	v_ashrrev_i32_e32 v235, 24, v10
	v_bfe_i32 v236, v10, 16, 8
	s_set_vgpr_msb 16                       ;  msbs: dst=0 src0=0 src1=0 src2=1
	v_dot4_i32_iu8 v10, v152, v15, v22 /*v278*/ neg_lo:[1,1,0]
	v_mul_lo_u32 v1, v1, v238
	v_mul_lo_u32 v0, v0, v239
	s_set_vgpr_msb 0                        ;  msbs: dst=0 src0=0 src1=0 src2=0
	s_delay_alu instid0(VALU_DEP_2) | instskip(NEXT) | instid1(VALU_DEP_2)
	v_mad_u32 v1, v5, v239, v1
	v_mad_u32 v0, v4, v238, v0
	v_mul_lo_u32 v4, v10, v236
	v_mul_lo_u32 v5, v14, v235
	v_perm_b32 v14, v19, v130, 0x6040503
	v_cvt_f32_i32_e32 v1, v1
	v_cvt_f32_i32_e32 v0, v0
	v_mad_u32 v4, v30, v235, v4
	v_mad_u32 v10, v31, v236, v5
	s_delay_alu instid0(VALU_DEP_3) | instskip(NEXT) | instid1(VALU_DEP_3)
	v_pk_fma_f32 v[0:1], v[16:17], v[0:1], 0 op_sel_hi:[1,1,0]
	v_cvt_f32_i32_e32 v5, v4
	s_delay_alu instid0(VALU_DEP_3) | instskip(SKIP_1) | instid1(VALU_DEP_2)
	v_cvt_f32_i32_e32 v4, v10
	v_perm_b32 v10, v24, v151, 0x7060403
	v_pk_fma_f32 v[0:1], v[12:13], v[4:5], v[0:1]
	s_set_vgpr_msb 1                        ;  msbs: dst=0 src0=1 src1=0 src2=0
	v_perm_b32 v4, v7 /*v263*/, v127, 0x6040503
	s_set_vgpr_msb 0                        ;  msbs: dst=0 src0=0 src1=0 src2=0
	v_perm_b32 v5, v27, v128, 0x6040503
	v_pk_fma_f32 v[106:107], v[120:121], v[0:1], v[106:107]
	s_set_vgpr_msb 1                        ;  msbs: dst=0 src0=1 src1=0 src2=0
	v_perm_b32 v0, v6 /*v262*/, v163, 0x6040501
	s_set_vgpr_msb 4                        ;  msbs: dst=0 src0=0 src1=1 src2=0
	v_perm_b32 v1, v127, v8 /*v264*/, 0x6040501
	s_set_vgpr_msb 0                        ;  msbs: dst=0 src0=0 src1=0 src2=0
	s_delay_alu instid0(VALU_DEP_1) | instskip(SKIP_3) | instid1(VALU_DEP_1)
	v_dot4_i32_iu8 v0, v1, v0, 0 neg_lo:[1,1,0]
	s_set_vgpr_msb 4                        ;  msbs: dst=0 src0=0 src1=1 src2=0
	v_perm_b32 v1, v162, v6 /*v262*/, 0x6040503
	s_set_vgpr_msb 0                        ;  msbs: dst=0 src0=0 src1=0 src2=0
	v_dot4_i32_iu8 v0, v4, v1, v0 neg_lo:[1,1,0]
	v_perm_b32 v1, v26, v165, 0x6040501
	v_perm_b32 v4, v128, v28, 0x6040501
	s_set_vgpr_msb 4                        ;  msbs: dst=0 src0=0 src1=1 src2=0
	s_delay_alu instid0(VALU_DEP_3) | instskip(SKIP_1) | instid1(VALU_DEP_2)
	v_dot4_i32_iu8 v0, v228, v15 /*v271*/, v0 neg_lo:[1,1,0]
	s_set_vgpr_msb 0                        ;  msbs: dst=0 src0=0 src1=0 src2=0
	v_dot4_i32_iu8 v1, v4, v1, 0 neg_lo:[1,1,0]
	v_perm_b32 v4, v164, v26, 0x6040503
	s_delay_alu instid0(VALU_DEP_1) | instskip(SKIP_2) | instid1(VALU_DEP_1)
	v_dot4_i32_iu8 v1, v5, v4, v1 neg_lo:[1,1,0]
	v_perm_b32 v4, v164, v164, 0xc0c0c03
	v_perm_b32 v5, v165, v165, 0x706000c
	v_or_b32_e32 v230, v5, v4
	v_perm_b32 v4, v22, v34, 0x6050401
	v_perm_b32 v5, v150, v24, 0x6050401
	s_set_vgpr_msb 4                        ;  msbs: dst=0 src0=0 src1=1 src2=0
	s_delay_alu instid0(VALU_DEP_3) | instskip(SKIP_1) | instid1(VALU_DEP_2)
	v_dot4_i32_iu8 v1, v230, v16 /*v272*/, v1 neg_lo:[1,1,0]
	s_set_vgpr_msb 0                        ;  msbs: dst=0 src0=0 src1=0 src2=0
	v_dot4_i32_iu8 v4, v5, v4, 0 neg_lo:[1,1,0]
	v_perm_b32 v5, v34, v23, 0x7060403
	s_delay_alu instid0(VALU_DEP_3) | instskip(SKIP_1) | instid1(VALU_DEP_4)
	v_dot4_i32_iu8 v11, v29, v126, v1 neg_lo:[1,1,0]
	v_dot4_i32_iu8 v1, v7, v125, v9 neg_lo:[1,1,0]
	v_dot4_i32_iu8 v4, v229, v171, v4 neg_lo:[1,1,0]
	s_delay_alu instid0(VALU_DEP_1) | instskip(SKIP_2) | instid1(VALU_DEP_1)
	v_dot4_i32_iu8 v4, v10, v5, v4 neg_lo:[1,1,0]
	v_perm_b32 v5, v18, v124, 0x6050401
	v_perm_b32 v10, v130, v20, 0x6050401
	v_dot4_i32_iu8 v5, v10, v5, 0 neg_lo:[1,1,0]
	v_perm_b32 v10, v131, v18, 0x6040503
	s_delay_alu instid0(VALU_DEP_1) | instskip(SKIP_1) | instid1(VALU_DEP_1)
	v_dot4_i32_iu8 v5, v14, v10, v5 neg_lo:[1,1,0]
	v_perm_b32 v10, v124, v131, 0x7060403
	v_dot4_i32_iu8 v5, v137, v10, v5 neg_lo:[1,1,0]
	s_set_vgpr_msb 1                        ;  msbs: dst=0 src0=1 src1=0 src2=0
	ds_load_b32 v10, v13 /*v269*/
	s_wait_dscnt 0x0
	s_set_vgpr_msb 0                        ;  msbs: dst=0 src0=0 src1=0 src2=0
	v_bfe_i32 v139, v10, 0, 8
	v_bfe_i32 v171, v10, 8, 8
	v_ashrrev_i32_e32 v32, 24, v10
	v_bfe_i32 v137, v10, 16, 8
	s_set_vgpr_msb 4                        ;  msbs: dst=0 src0=0 src1=1 src2=0
	v_dot4_i32_iu8 v10, v129, v9 /*v265*/, v0 neg_lo:[1,1,0]
	s_set_vgpr_msb 0                        ;  msbs: dst=0 src0=0 src1=0 src2=0
	v_dot4_i32_iu8 v0, v25, v35, v4 neg_lo:[1,1,0]
	v_mul_lo_u32 v1, v1, v139
	v_dot4_i32_iu8 v4, v21, v125, v5 neg_lo:[1,1,0]
	s_delay_alu instid0(VALU_DEP_3) | instskip(NEXT) | instid1(VALU_DEP_3)
	v_mul_lo_u32 v0, v0, v171
	v_mad_u32 v1, v3, v171, v1
	v_mul_lo_u32 v3, v6, v137
	s_delay_alu instid0(VALU_DEP_3) | instskip(SKIP_1) | instid1(VALU_DEP_4)
	v_mad_u32 v0, v4, v139, v0
	v_mul_lo_u32 v4, v10, v32
	v_cvt_f32_i32_e32 v1, v1
	s_delay_alu instid0(VALU_DEP_4) | instskip(NEXT) | instid1(VALU_DEP_4)
	v_mad_u32 v2, v2, v32, v3
	v_cvt_f32_i32_e32 v0, v0
	s_delay_alu instid0(VALU_DEP_4) | instskip(NEXT) | instid1(VALU_DEP_2)
	v_mad_u32 v4, v11, v137, v4
	v_pk_fma_f32 v[0:1], v[16:17], v[0:1], 0 op_sel_hi:[1,1,0]
	s_delay_alu instid0(VALU_DEP_4) | instskip(NEXT) | instid1(VALU_DEP_3)
	v_cvt_f32_i32_e32 v3, v2
	v_cvt_f32_i32_e32 v2, v4
	s_delay_alu instid0(VALU_DEP_1) | instskip(NEXT) | instid1(VALU_DEP_1)
	v_pk_fma_f32 v[0:1], v[12:13], v[2:3], v[0:1]
	v_pk_fma_f32 v[110:111], v[122:123], v[0:1], v[110:111]
	v_or_b32_e32 v0, s12, v195
	s_delay_alu instid0(VALU_DEP_1)
	v_lshlrev_b32_e32 v12, 2, v0
	s_set_vgpr_msb 64                       ;  msbs: dst=1 src0=0 src1=0 src2=0
	v_lshrrev_b32_e32 v6 /*v262*/, 1, v0
	s_set_vgpr_msb 0                        ;  msbs: dst=0 src0=0 src1=0 src2=0
	ds_load_b128 v[4:7], v12 offset:33280
	ds_load_b128 v[0:3], v12 offset:33296
	;; [unrolled: 1-line block ×4, first 2 shown]
	s_wait_dscnt 0x3
	v_perm_b32 v22, v168, v5, 0x7060403
	s_wait_dscnt 0x2
	v_perm_b32 v21, v1, v176, 0x6040503
	;; [unrolled: 2-line block ×4, first 2 shown]
	v_perm_b32 v17, v13, v12, 0x6040503
	v_perm_b32 v18, v14, v13, 0x7060403
	v_perm_b32 v20, v9, v172, 0x6040503
	v_perm_b32 v23, v6, v175, 0x7060403
	s_set_vgpr_msb 4                        ;  msbs: dst=0 src0=0 src1=1 src2=0
	v_dot4_i32_iu8 v16, v16, v2 /*v258*/, 0 neg_lo:[1,1,0]
	s_delay_alu instid0(VALU_DEP_1) | instskip(SKIP_1) | instid1(VALU_DEP_1)
	v_dot4_i32_iu8 v16, v17, v3 /*v259*/, v16 neg_lo:[1,1,0]
	s_set_vgpr_msb 64                       ;  msbs: dst=1 src0=0 src1=0 src2=0
	v_dot4_i32_iu8 v7 /*v263*/, v18, v254, v16 neg_lo:[1,1,0]
	s_set_vgpr_msb 0                        ;  msbs: dst=0 src0=0 src1=0 src2=0
	v_perm_b32 v16, v8, v179, 0x6040501
	s_set_vgpr_msb 0x50                     ;  msbs: dst=1 src0=0 src1=0 src2=1
	s_delay_alu instid0(VALU_DEP_2) | instskip(SKIP_1) | instid1(VALU_DEP_2)
	v_dot4_i32_iu8 v7 /*v263*/, v15, v173, v7 /*v263*/ neg_lo:[1,1,0]
	s_set_vgpr_msb 0                        ;  msbs: dst=0 src0=0 src1=0 src2=0
	v_dot4_i32_iu8 v16, v19, v16, 0 neg_lo:[1,1,0]
	v_perm_b32 v19, v178, v8, 0x6040503
	s_delay_alu instid0(VALU_DEP_1) | instskip(SKIP_3) | instid1(VALU_DEP_2)
	v_dot4_i32_iu8 v16, v20, v19, v16 neg_lo:[1,1,0]
	v_perm_b32 v19, v10, v9, 0x7060403
	v_perm_b32 v20, v176, v2, 0x6050401
	s_set_vgpr_msb 0x41                     ;  msbs: dst=1 src0=1 src1=0 src2=0
	v_dot4_i32_iu8 v8 /*v264*/, v4 /*v260*/, v19, v16 neg_lo:[1,1,0]
	s_set_vgpr_msb 0                        ;  msbs: dst=0 src0=0 src1=0 src2=0
	v_perm_b32 v16, v0, v166, 0x6050401
	s_set_vgpr_msb 0x50                     ;  msbs: dst=1 src0=0 src1=0 src2=1
	s_delay_alu instid0(VALU_DEP_2) | instskip(SKIP_1) | instid1(VALU_DEP_2)
	v_dot4_i32_iu8 v8 /*v264*/, v170, v11, v8 /*v264*/ neg_lo:[1,1,0]
	s_set_vgpr_msb 0                        ;  msbs: dst=0 src0=0 src1=0 src2=0
	v_dot4_i32_iu8 v16, v20, v16, 0 neg_lo:[1,1,0]
	v_perm_b32 v20, v177, v0, 0x6040503
	s_delay_alu instid0(VALU_DEP_1) | instskip(SKIP_3) | instid1(VALU_DEP_2)
	v_dot4_i32_iu8 v16, v21, v20, v16 neg_lo:[1,1,0]
	v_perm_b32 v20, v2, v1, 0x7060403
	v_perm_b32 v21, v174, v6, 0x6050401
	s_set_vgpr_msb 64                       ;  msbs: dst=1 src0=0 src1=0 src2=0
	v_dot4_i32_iu8 v9 /*v265*/, v20, v255, v16 neg_lo:[1,1,0]
	s_set_vgpr_msb 0                        ;  msbs: dst=0 src0=0 src1=0 src2=0
	v_perm_b32 v16, v4, v168, 0x6050401
	s_delay_alu instid0(VALU_DEP_1) | instskip(SKIP_2) | instid1(VALU_DEP_1)
	v_dot4_i32_iu8 v16, v21, v16, 0 neg_lo:[1,1,0]
	v_perm_b32 v21, v5, v4, 0x6040503
	s_set_vgpr_msb 1                        ;  msbs: dst=0 src0=1 src1=0 src2=0
	v_dot4_i32_iu8 v16, v5 /*v261*/, v21, v16 neg_lo:[1,1,0]
	s_set_vgpr_msb 64                       ;  msbs: dst=1 src0=0 src1=0 src2=0
	s_delay_alu instid0(VALU_DEP_1) | instskip(SKIP_3) | instid1(VALU_DEP_2)
	v_dot4_i32_iu8 v10 /*v266*/, v23, v22, v16 neg_lo:[1,1,0]
	s_set_vgpr_msb 0                        ;  msbs: dst=0 src0=0 src1=0 src2=0
	v_perm_b32 v22, v14, v14, 0xc0c0c01
	v_perm_b32 v16, v12, v33, 0x6040503
	v_or_b32_e32 v22, v249, v22
	s_delay_alu instid0(VALU_DEP_1) | instskip(SKIP_1) | instid1(VALU_DEP_2)
	v_dot4_i32_iu8 v16, v22, v16, 0 neg_lo:[1,1,0]
	v_perm_b32 v22, v10, v143, 0x7060403
	v_dot4_i32_iu8 v16, v17, v250, v16 neg_lo:[1,1,0]
	v_perm_b32 v17, v142, v10, 0x6040501
	s_set_vgpr_msb 64                       ;  msbs: dst=1 src0=0 src1=0 src2=0
	s_delay_alu instid0(VALU_DEP_2) | instskip(SKIP_2) | instid1(VALU_DEP_1)
	v_dot4_i32_iu8 v11 /*v267*/, v251, v18, v16 neg_lo:[1,1,0]
	s_set_vgpr_msb 0                        ;  msbs: dst=0 src0=0 src1=0 src2=0
	v_perm_b32 v16, v8, v140, 0x6040501
	v_dot4_i32_iu8 v16, v17, v16, 0 neg_lo:[1,1,0]
	v_perm_b32 v17, v9, v8, 0x6040503
	s_delay_alu instid0(VALU_DEP_1) | instskip(SKIP_2) | instid1(VALU_DEP_1)
	v_dot4_i32_iu8 v16, v231, v17, v16 neg_lo:[1,1,0]
	v_perm_b32 v17, v140, v9, 0x7060403
	s_set_vgpr_msb 64                       ;  msbs: dst=1 src0=0 src1=0 src2=0
	v_dot4_i32_iu8 v12 /*v268*/, v22, v17, v16 neg_lo:[1,1,0]
	s_set_vgpr_msb 0                        ;  msbs: dst=0 src0=0 src1=0 src2=0
	v_perm_b32 v16, v0, v132, 0x6050401
	v_perm_b32 v17, v138, v2, 0x6050401
	;; [unrolled: 1-line block ×4, first 2 shown]
	s_delay_alu instid0(VALU_DEP_3) | instskip(SKIP_1) | instid1(VALU_DEP_1)
	v_dot4_i32_iu8 v16, v17, v16, 0 neg_lo:[1,1,0]
	v_perm_b32 v17, v1, v0, 0x6040503
	v_dot4_i32_iu8 v16, v232, v17, v16 neg_lo:[1,1,0]
	s_set_vgpr_msb 64                       ;  msbs: dst=1 src0=0 src1=0 src2=0
	s_delay_alu instid0(VALU_DEP_1) | instskip(SKIP_3) | instid1(VALU_DEP_1)
	v_dot4_i32_iu8 v13 /*v269*/, v233, v20, v16 neg_lo:[1,1,0]
	s_set_vgpr_msb 0                        ;  msbs: dst=0 src0=0 src1=0 src2=0
	v_perm_b32 v16, v4, v134, 0x6050401
	v_perm_b32 v20, v136, v6, 0x6050401
	v_dot4_i32_iu8 v16, v20, v16, 0 neg_lo:[1,1,0]
	v_perm_b32 v20, v6, v5, 0x7060403
	s_delay_alu instid0(VALU_DEP_2) | instskip(SKIP_1) | instid1(VALU_DEP_1)
	v_dot4_i32_iu8 v16, v234, v21, v16 neg_lo:[1,1,0]
	s_set_vgpr_msb 64                       ;  msbs: dst=1 src0=0 src1=0 src2=0
	v_dot4_i32_iu8 v14 /*v270*/, v237, v20, v16 neg_lo:[1,1,0]
	s_set_vgpr_msb 0                        ;  msbs: dst=0 src0=0 src1=0 src2=0
	v_perm_b32 v16, v12, v159, 0x6040501
	v_perm_b32 v20, v153, v14, 0x6040501
	;; [unrolled: 1-line block ×3, first 2 shown]
	s_delay_alu instid0(VALU_DEP_2) | instskip(SKIP_1) | instid1(VALU_DEP_1)
	v_dot4_i32_iu8 v16, v20, v16, 0 neg_lo:[1,1,0]
	v_perm_b32 v20, v158, v12, 0x6040503
	v_dot4_i32_iu8 v16, v22, v20, v16 neg_lo:[1,1,0]
	v_perm_b32 v20, v156, v10, 0x6040501
	v_perm_b32 v22, v9, v156, 0x6040503
	;; [unrolled: 1-line block ×4, first 2 shown]
	s_set_vgpr_msb 64                       ;  msbs: dst=1 src0=0 src1=0 src2=0
	v_dot4_i32_iu8 v15 /*v271*/, v227, v18, v16 neg_lo:[1,1,0]
	s_set_vgpr_msb 0                        ;  msbs: dst=0 src0=0 src1=0 src2=0
	v_perm_b32 v16, v8, v161, 0x6040501
	s_delay_alu instid0(VALU_DEP_1) | instskip(SKIP_1) | instid1(VALU_DEP_1)
	v_dot4_i32_iu8 v16, v20, v16, 0 neg_lo:[1,1,0]
	v_perm_b32 v20, v160, v8, 0x6040503
	v_dot4_i32_iu8 v16, v22, v20, v16 neg_lo:[1,1,0]
	v_perm_b32 v20, v148, v2, 0x6050401
	v_perm_b32 v22, v2, v149, 0x7060403
	s_set_vgpr_msb 64                       ;  msbs: dst=1 src0=0 src1=0 src2=0
	s_delay_alu instid0(VALU_DEP_3) | instskip(SKIP_3) | instid1(VALU_DEP_2)
	v_dot4_i32_iu8 v16 /*v272*/, v240, v19, v16 neg_lo:[1,1,0]
	s_set_vgpr_msb 0                        ;  msbs: dst=0 src0=0 src1=0 src2=0
	v_perm_b32 v16, v0, v144, 0x6050401
	v_perm_b32 v0, v0, v34, 0x6050401
	v_dot4_i32_iu8 v16, v20, v16, 0 neg_lo:[1,1,0]
	v_perm_b32 v20, v144, v1, 0x7060403
	v_perm_b32 v1, v34, v1, 0x7060403
	s_delay_alu instid0(VALU_DEP_3) | instskip(SKIP_1) | instid1(VALU_DEP_1)
	v_dot4_i32_iu8 v16, v241, v17, v16 neg_lo:[1,1,0]
	s_set_vgpr_msb 64                       ;  msbs: dst=1 src0=0 src1=0 src2=0
	v_dot4_i32_iu8 v17 /*v273*/, v22, v20, v16 neg_lo:[1,1,0]
	s_set_vgpr_msb 0                        ;  msbs: dst=0 src0=0 src1=0 src2=0
	v_perm_b32 v16, v4, v146, 0x6050401
	v_perm_b32 v20, v154, v6, 0x6050401
	;; [unrolled: 1-line block ×3, first 2 shown]
	s_delay_alu instid0(VALU_DEP_2) | instskip(SKIP_1) | instid1(VALU_DEP_2)
	v_dot4_i32_iu8 v16, v20, v16, 0 neg_lo:[1,1,0]
	v_perm_b32 v20, v146, v5, 0x7060403
	v_dot4_i32_iu8 v16, v253, v21, v16 neg_lo:[1,1,0]
	s_set_vgpr_msb 64                       ;  msbs: dst=1 src0=0 src1=0 src2=0
	s_delay_alu instid0(VALU_DEP_1) | instskip(SKIP_3) | instid1(VALU_DEP_2)
	v_dot4_i32_iu8 v18 /*v274*/, v22, v20, v16 neg_lo:[1,1,0]
	s_set_vgpr_msb 0                        ;  msbs: dst=0 src0=0 src1=0 src2=0
	v_perm_b32 v16, v12, v163, 0x6040501
	v_perm_b32 v12, v162, v12, 0x6040503
	v_dot4_i32_iu8 v14, v14, v16, 0 neg_lo:[1,1,0]
	s_delay_alu instid0(VALU_DEP_1) | instskip(NEXT) | instid1(VALU_DEP_1)
	v_dot4_i32_iu8 v12, v13, v12, v14 neg_lo:[1,1,0]
	v_dot4_i32_iu8 v14, v228, v18, v12 neg_lo:[1,1,0]
	v_perm_b32 v12, v8, v165, 0x6040501
	v_perm_b32 v8, v164, v8, 0x6040503
	s_delay_alu instid0(VALU_DEP_2) | instskip(NEXT) | instid1(VALU_DEP_1)
	v_dot4_i32_iu8 v10, v10, v12, 0 neg_lo:[1,1,0]
	v_dot4_i32_iu8 v8, v9, v8, v10 neg_lo:[1,1,0]
	s_delay_alu instid0(VALU_DEP_1) | instskip(SKIP_2) | instid1(VALU_DEP_3)
	v_dot4_i32_iu8 v10, v230, v19, v8 neg_lo:[1,1,0]
	v_perm_b32 v8, v150, v2, 0x6050401
	v_perm_b32 v2, v2, v151, 0x7060403
	v_dot4_i32_iu8 v10, v126, v11, v10 neg_lo:[1,1,0]
	s_delay_alu instid0(VALU_DEP_3) | instskip(NEXT) | instid1(VALU_DEP_1)
	v_dot4_i32_iu8 v0, v8, v0, 0 neg_lo:[1,1,0]
	v_dot4_i32_iu8 v0, v229, v17, v0 neg_lo:[1,1,0]
	s_delay_alu instid0(VALU_DEP_1) | instskip(SKIP_3) | instid1(VALU_DEP_4)
	v_dot4_i32_iu8 v2, v2, v1, v0 neg_lo:[1,1,0]
	v_perm_b32 v0, v4, v124, 0x6050401
	v_perm_b32 v1, v130, v6, 0x6050401
	;; [unrolled: 1-line block ×3, first 2 shown]
	v_dot4_i32_iu8 v2, v3, v35, v2 neg_lo:[1,1,0]
	s_delay_alu instid0(VALU_DEP_3) | instskip(SKIP_1) | instid1(VALU_DEP_2)
	v_dot4_i32_iu8 v0, v1, v0, 0 neg_lo:[1,1,0]
	v_perm_b32 v1, v124, v5, 0x7060403
	v_dot4_i32_iu8 v0, v252, v21, v0 neg_lo:[1,1,0]
	s_delay_alu instid0(VALU_DEP_1) | instskip(SKIP_1) | instid1(VALU_DEP_2)
	v_dot4_i32_iu8 v6, v4, v1, v0 neg_lo:[1,1,0]
	v_or_b32_e32 v0, s12, v196
	v_dot4_i32_iu8 v6, v7, v125, v6 neg_lo:[1,1,0]
	s_delay_alu instid0(VALU_DEP_2)
	v_dual_lshlrev_b32 v1, 2, v0 :: v_dual_lshrrev_b32 v4, 1, v0
	ds_load_b128 v[16:19], v1 offset:33280
	ds_load_b128 v[20:23], v1 offset:33296
	;; [unrolled: 1-line block ×4, first 2 shown]
	v_mul_lo_u32 v6, v6, v139
	s_delay_alu instid0(VALU_DEP_1)
	v_mad_u32 v2, v2, v171, v6
	v_mul_lo_u32 v6, v10, v137
	s_wait_dscnt 0x3
	s_set_vgpr_msb 64                       ;  msbs: dst=1 src0=0 src1=0 src2=0
	v_perm_b32 v23 /*v279*/, v17, v16, 0x6040503
	s_wait_dscnt 0x2
	v_perm_b32 v22 /*v278*/, v22, v21, 0x7060403
	s_wait_dscnt 0x1
	s_set_vgpr_msb 0                        ;  msbs: dst=0 src0=0 src1=0 src2=0
	v_perm_b32 v1, v172, v26, 0x6040501
	s_wait_dscnt 0x0
	v_perm_b32 v0, v28, v30, 0x6040501
	s_set_vgpr_msb 64                       ;  msbs: dst=1 src0=0 src1=0 src2=0
	v_perm_b32 v19 /*v275*/, v29, v28, 0x6040503
	v_perm_b32 v20 /*v276*/, v30, v29, 0x7060403
	s_set_vgpr_msb 0                        ;  msbs: dst=0 src0=0 src1=0 src2=0
	v_perm_b32 v5, v25, v172, 0x6040503
	s_set_vgpr_msb 64                       ;  msbs: dst=1 src0=0 src1=0 src2=0
	v_perm_b32 v21 /*v277*/, v26, v25, 0x7060403
	s_set_vgpr_msb 4                        ;  msbs: dst=0 src0=0 src1=1 src2=0
	v_dot4_i32_iu8 v0, v0, v2 /*v258*/, 0 neg_lo:[1,1,0]
	s_set_vgpr_msb 5                        ;  msbs: dst=0 src0=1 src1=1 src2=0
	s_delay_alu instid0(VALU_DEP_1) | instskip(SKIP_1) | instid1(VALU_DEP_1)
	v_dot4_i32_iu8 v0, v19 /*v275*/, v3 /*v259*/, v0 neg_lo:[1,1,0]
	s_set_vgpr_msb 1                        ;  msbs: dst=0 src0=1 src1=0 src2=0
	v_dot4_i32_iu8 v8, v20 /*v276*/, v254, v0 neg_lo:[1,1,0]
	s_set_vgpr_msb 0                        ;  msbs: dst=0 src0=0 src1=0 src2=0
	v_perm_b32 v0, v24, v179, 0x6040501
	s_delay_alu instid0(VALU_DEP_1) | instskip(SKIP_1) | instid1(VALU_DEP_1)
	v_dot4_i32_iu8 v0, v1, v0, 0 neg_lo:[1,1,0]
	v_perm_b32 v1, v178, v24, 0x6040503
	v_dot4_i32_iu8 v0, v5, v1, v0 neg_lo:[1,1,0]
	v_perm_b32 v1, v176, v22, 0x6050401
	v_perm_b32 v5, v21, v176, 0x6040503
	s_set_vgpr_msb 5                        ;  msbs: dst=0 src0=1 src1=1 src2=0
	s_delay_alu instid0(VALU_DEP_3) | instskip(SKIP_3) | instid1(VALU_DEP_2)
	v_dot4_i32_iu8 v9, v4 /*v260*/, v21 /*v277*/, v0 neg_lo:[1,1,0]
	s_set_vgpr_msb 0                        ;  msbs: dst=0 src0=0 src1=0 src2=0
	v_perm_b32 v0, v20, v166, 0x6050401
	s_set_vgpr_msb 64                       ;  msbs: dst=1 src0=0 src1=0 src2=0
	v_dot4_i32_iu8 v24 /*v280*/, v27, v170, v9 neg_lo:[1,1,0]
	s_set_vgpr_msb 16                       ;  msbs: dst=0 src0=0 src1=0 src2=1
	s_delay_alu instid0(VALU_DEP_2) | instskip(SKIP_3) | instid1(VALU_DEP_2)
	v_dot4_i32_iu8 v0, v1, v0, 0 neg_lo:[1,1,0]
	v_perm_b32 v1, v177, v20, 0x6040503
	v_dot4_i32_iu8 v9, v7, v169, v10 /*v266*/ neg_lo:[1,1,0]
	s_set_vgpr_msb 0                        ;  msbs: dst=0 src0=0 src1=0 src2=0
	v_dot4_i32_iu8 v0, v5, v1, v0 neg_lo:[1,1,0]
	v_perm_b32 v1, v174, v18, 0x6050401
	v_perm_b32 v5, v18, v175, 0x7060403
	s_set_vgpr_msb 4                        ;  msbs: dst=0 src0=0 src1=1 src2=0
	v_mul_lo_u32 v9, v9, v0 /*v256*/
	s_set_vgpr_msb 1                        ;  msbs: dst=0 src0=1 src1=0 src2=0
	v_dot4_i32_iu8 v12, v22 /*v278*/, v255, v0 neg_lo:[1,1,0]
	s_set_vgpr_msb 0                        ;  msbs: dst=0 src0=0 src1=0 src2=0
	v_perm_b32 v0, v16, v168, 0x6050401
	s_delay_alu instid0(VALU_DEP_1) | instskip(SKIP_2) | instid1(VALU_DEP_2)
	v_dot4_i32_iu8 v0, v1, v0, 0 neg_lo:[1,1,0]
	v_perm_b32 v1, v168, v17, 0x7060403
	s_set_vgpr_msb 5                        ;  msbs: dst=0 src0=1 src1=1 src2=0
	v_dot4_i32_iu8 v0, v5 /*v261*/, v23 /*v279*/, v0 neg_lo:[1,1,0]
	s_set_vgpr_msb 0                        ;  msbs: dst=0 src0=0 src1=0 src2=0
	s_delay_alu instid0(VALU_DEP_1)
	v_dot4_i32_iu8 v13, v5, v1, v0 neg_lo:[1,1,0]
	s_set_vgpr_msb 1                        ;  msbs: dst=0 src0=1 src1=0 src2=0
	ds_load_b64 v[0:1], v6 /*v262*/ offset:43584
	s_set_vgpr_msb 0                        ;  msbs: dst=0 src0=0 src1=0 src2=0
	ds_load_b64 v[4:5], v4 offset:43584
	s_set_vgpr_msb 64                       ;  msbs: dst=1 src0=0 src1=0 src2=0
	v_dot4_i32_iu8 v6 /*v262*/, v173, v31, v8 neg_lo:[1,1,0]
	s_set_vgpr_msb 0                        ;  msbs: dst=0 src0=0 src1=0 src2=0
	v_dot4_i32_iu8 v8, v23, v167, v12 neg_lo:[1,1,0]
	s_set_vgpr_msb 16                       ;  msbs: dst=0 src0=0 src1=0 src2=1
	v_dot4_i32_iu8 v12, v3, v167, v9 /*v265*/ neg_lo:[1,1,0]
	s_set_vgpr_msb 0                        ;  msbs: dst=0 src0=0 src1=0 src2=0
	v_dot4_i32_iu8 v13, v19, v169, v13 neg_lo:[1,1,0]
	s_set_vgpr_msb 4                        ;  msbs: dst=0 src0=0 src1=1 src2=0
	v_mul_lo_u32 v8, v8, v1 /*v257*/
	v_mad_u32 v9, v12, v1 /*v257*/, v9
	s_delay_alu instid0(VALU_DEP_2)
	v_mad_u32 v8, v13, v0 /*v256*/, v8
	s_wait_dscnt 0x0
	v_dual_mov_b32 v13, v0 :: v_dual_mov_b32 v12, v4
	s_set_vgpr_msb 1                        ;  msbs: dst=0 src0=1 src1=0 src2=0
	v_mul_lo_u32 v0, v8 /*v264*/, v247
	v_mul_lo_u32 v4, v6 /*v262*/, v248
	s_set_vgpr_msb 0                        ;  msbs: dst=0 src0=0 src1=0 src2=0
	v_cvt_f32_i32_e32 v9, v9
	s_set_vgpr_msb 0x50                     ;  msbs: dst=1 src0=0 src1=0 src2=1
	v_dot4_i32_iu8 v8 /*v264*/, v141, v11, v12 /*v268*/ neg_lo:[1,1,0]
	s_set_vgpr_msb 0                        ;  msbs: dst=0 src0=0 src1=0 src2=0
	v_cvt_f32_i32_e32 v8, v8
	s_set_vgpr_msb 1                        ;  msbs: dst=0 src0=1 src1=0 src2=0
	v_mad_u32 v0, v7 /*v263*/, v248, v0
	v_mad_u32 v4, v24 /*v280*/, v247, v4
	s_set_vgpr_msb 64                       ;  msbs: dst=1 src0=0 src1=0 src2=0
	s_delay_alu instid0(VALU_DEP_2) | instskip(NEXT) | instid1(VALU_DEP_2)
	v_cvt_f32_i32_e32 v7 /*v263*/, v0
	v_cvt_f32_i32_e32 v6 /*v262*/, v4
	s_set_vgpr_msb 0                        ;  msbs: dst=0 src0=0 src1=0 src2=0
	v_mov_b32_e32 v0, v5
	v_pk_fma_f32 v[8:9], v[12:13], v[8:9], 0 op_sel_hi:[1,1,0]
	s_set_vgpr_msb 4                        ;  msbs: dst=0 src0=0 src1=1 src2=0
	s_delay_alu instid0(VALU_DEP_1)
	v_pk_fma_f32 v[4:5], v[0:1], v[6:7] /*v[262:263]*/, v[8:9]
	s_set_vgpr_msb 0                        ;  msbs: dst=0 src0=0 src1=0 src2=0
	v_perm_b32 v8, v142, v26, 0x6040501
	v_perm_b32 v9, v26, v143, 0x7060403
	s_set_vgpr_msb 64                       ;  msbs: dst=1 src0=0 src1=0 src2=0
	v_perm_b32 v7 /*v263*/, v136, v18, 0x6050401
	v_perm_b32 v6 /*v262*/, v21, v20, 0x6040503
	s_set_vgpr_msb 0                        ;  msbs: dst=0 src0=0 src1=0 src2=0
	v_pk_fma_f32 v[84:85], v[116:117], v[4:5], v[84:85]
	v_perm_b32 v5, v30, v30, 0xc0c0c01
	v_perm_b32 v4, v28, v33, 0x6040503
	s_delay_alu instid0(VALU_DEP_2) | instskip(NEXT) | instid1(VALU_DEP_1)
	v_or_b32_e32 v5, v249, v5
	v_dot4_i32_iu8 v4, v5, v4, 0 neg_lo:[1,1,0]
	v_perm_b32 v5, v24, v140, 0x6040501
	s_set_vgpr_msb 1                        ;  msbs: dst=0 src0=1 src1=0 src2=0
	s_delay_alu instid0(VALU_DEP_2) | instskip(SKIP_1) | instid1(VALU_DEP_2)
	v_dot4_i32_iu8 v4, v19 /*v275*/, v250, v4 neg_lo:[1,1,0]
	s_set_vgpr_msb 0                        ;  msbs: dst=0 src0=0 src1=0 src2=0
	v_dot4_i32_iu8 v5, v8, v5, 0 neg_lo:[1,1,0]
	v_perm_b32 v8, v25, v24, 0x6040503
	s_set_vgpr_msb 4                        ;  msbs: dst=0 src0=0 src1=1 src2=0
	v_dot4_i32_iu8 v4, v251, v20 /*v276*/, v4 neg_lo:[1,1,0]
	s_set_vgpr_msb 0                        ;  msbs: dst=0 src0=0 src1=0 src2=0
	s_delay_alu instid0(VALU_DEP_2) | instskip(SKIP_1) | instid1(VALU_DEP_1)
	v_dot4_i32_iu8 v5, v231, v8, v5 neg_lo:[1,1,0]
	v_perm_b32 v8, v140, v25, 0x7060403
	v_dot4_i32_iu8 v5, v9, v8, v5 neg_lo:[1,1,0]
	v_perm_b32 v8, v20, v132, 0x6050401
	v_perm_b32 v9, v138, v22, 0x6050401
	s_set_vgpr_msb 64                       ;  msbs: dst=1 src0=0 src1=0 src2=0
	s_delay_alu instid0(VALU_DEP_3) | instskip(SKIP_4) | instid1(VALU_DEP_3)
	v_dot4_i32_iu8 v10 /*v266*/, v27, v141, v5 neg_lo:[1,1,0]
	s_set_vgpr_msb 16                       ;  msbs: dst=0 src0=0 src1=0 src2=1
	v_dot4_i32_iu8 v5, v7, v135, v14 /*v270*/ neg_lo:[1,1,0]
	v_dot4_i32_iu8 v8, v9, v8, 0 neg_lo:[1,1,0]
	v_perm_b32 v9, v16, v134, 0x6050401
	v_mul_lo_u32 v5, v5, v245
	s_set_vgpr_msb 4                        ;  msbs: dst=0 src0=0 src1=1 src2=0
	s_delay_alu instid0(VALU_DEP_3)
	v_dot4_i32_iu8 v8, v232, v6 /*v262*/, v8 neg_lo:[1,1,0]
	s_set_vgpr_msb 1                        ;  msbs: dst=0 src0=1 src1=0 src2=0
	v_dot4_i32_iu8 v9, v7 /*v263*/, v9, 0 neg_lo:[1,1,0]
	s_set_vgpr_msb 64                       ;  msbs: dst=1 src0=0 src1=0 src2=0
	v_perm_b32 v7 /*v263*/, v18, v17, 0x7060403
	s_set_vgpr_msb 4                        ;  msbs: dst=0 src0=0 src1=1 src2=0
	v_dot4_i32_iu8 v8, v233, v22 /*v278*/, v8 neg_lo:[1,1,0]
	v_dot4_i32_iu8 v9, v234, v23 /*v279*/, v9 neg_lo:[1,1,0]
	s_delay_alu instid0(VALU_DEP_1) | instskip(SKIP_3) | instid1(VALU_DEP_2)
	v_dot4_i32_iu8 v9, v237, v7 /*v263*/, v9 neg_lo:[1,1,0]
	s_set_vgpr_msb 64                       ;  msbs: dst=1 src0=0 src1=0 src2=0
	v_perm_b32 v7 /*v263*/, v31, v31, 0x3020001
	s_set_vgpr_msb 0                        ;  msbs: dst=0 src0=0 src1=0 src2=0
	v_dot4_i32_iu8 v9, v19, v135, v9 neg_lo:[1,1,0]
	s_set_vgpr_msb 0x44                     ;  msbs: dst=1 src0=0 src1=1 src2=0
	s_delay_alu instid0(VALU_DEP_2) | instskip(SKIP_3) | instid1(VALU_DEP_1)
	v_dot4_i32_iu8 v7 /*v263*/, v246, v7 /*v263*/, v4 neg_lo:[1,1,0]
	s_set_vgpr_msb 0                        ;  msbs: dst=0 src0=0 src1=0 src2=0
	v_perm_b32 v4, v15, v15, 0x3020001
	s_set_vgpr_msb 0x50                     ;  msbs: dst=1 src0=0 src1=0 src2=1
	v_dot4_i32_iu8 v9 /*v265*/, v4, v246, v11 /*v267*/ neg_lo:[1,1,0]
	s_set_vgpr_msb 0                        ;  msbs: dst=0 src0=0 src1=0 src2=0
	v_dot4_i32_iu8 v4, v23, v133, v8 neg_lo:[1,1,0]
	s_set_vgpr_msb 16                       ;  msbs: dst=0 src0=0 src1=0 src2=1
	v_dot4_i32_iu8 v8, v3, v133, v13 /*v269*/ neg_lo:[1,1,0]
	s_delay_alu instid0(VALU_DEP_2) | instskip(SKIP_1) | instid1(VALU_DEP_2)
	v_mul_lo_u32 v4, v4, v244
	s_set_vgpr_msb 0                        ;  msbs: dst=0 src0=0 src1=0 src2=0
	v_mad_u32 v5, v8, v244, v5
	s_set_vgpr_msb 1                        ;  msbs: dst=0 src0=1 src1=0 src2=0
	v_mul_lo_u32 v8, v8 /*v264*/, v242
	s_set_vgpr_msb 64                       ;  msbs: dst=1 src0=0 src1=0 src2=0
	v_perm_b32 v8 /*v264*/, v18, v155, 0x7060403
	s_set_vgpr_msb 0                        ;  msbs: dst=0 src0=0 src1=0 src2=0
	s_delay_alu instid0(VALU_DEP_4) | instskip(SKIP_2) | instid1(VALU_DEP_4)
	v_mad_u32 v4, v9, v245, v4
	s_set_vgpr_msb 1                        ;  msbs: dst=0 src0=1 src1=0 src2=0
	v_mul_lo_u32 v9, v7 /*v263*/, v243
	v_mad_u32 v8, v9 /*v265*/, v243, v8
	s_set_vgpr_msb 0                        ;  msbs: dst=0 src0=0 src1=0 src2=0
	v_cvt_f32_i32_e32 v5, v5
	s_set_vgpr_msb 0x50                     ;  msbs: dst=1 src0=0 src1=0 src2=1
	v_dot4_i32_iu8 v9 /*v265*/, v15, v157, v15 /*v271*/ neg_lo:[1,1,0]
	s_set_vgpr_msb 0                        ;  msbs: dst=0 src0=0 src1=0 src2=0
	v_cvt_f32_i32_e32 v4, v4
	s_set_vgpr_msb 0x41                     ;  msbs: dst=1 src0=1 src1=0 src2=0
	v_mad_u32 v7 /*v263*/, v10 /*v266*/, v242, v9
	s_set_vgpr_msb 0                        ;  msbs: dst=0 src0=0 src1=0 src2=0
	v_cvt_f32_i32_e32 v9, v8
	v_pk_fma_f32 v[4:5], v[12:13], v[4:5], 0 op_sel_hi:[1,1,0]
	s_set_vgpr_msb 1                        ;  msbs: dst=0 src0=1 src1=0 src2=0
	s_delay_alu instid0(VALU_DEP_3) | instskip(SKIP_3) | instid1(VALU_DEP_2)
	v_cvt_f32_i32_e32 v8, v7 /*v263*/
	s_set_vgpr_msb 64                       ;  msbs: dst=1 src0=0 src1=0 src2=0
	v_perm_b32 v7 /*v263*/, v22, v149, 0x7060403
	s_set_vgpr_msb 0                        ;  msbs: dst=0 src0=0 src1=0 src2=0
	v_pk_fma_f32 v[4:5], v[0:1], v[8:9], v[4:5]
	v_perm_b32 v8, v29, v153, 0x6040503
	v_perm_b32 v9, v25, v156, 0x6040503
	s_delay_alu instid0(VALU_DEP_3) | instskip(SKIP_2) | instid1(VALU_DEP_1)
	v_pk_fma_f32 v[94:95], v[118:119], v[4:5], v[94:95]
	v_perm_b32 v4, v28, v159, 0x6040501
	v_perm_b32 v5, v153, v30, 0x6040501
	v_dot4_i32_iu8 v4, v5, v4, 0 neg_lo:[1,1,0]
	v_perm_b32 v5, v158, v28, 0x6040503
	s_delay_alu instid0(VALU_DEP_1) | instskip(SKIP_3) | instid1(VALU_DEP_3)
	v_dot4_i32_iu8 v4, v8, v5, v4 neg_lo:[1,1,0]
	v_perm_b32 v5, v24, v161, 0x6040501
	v_perm_b32 v8, v156, v26, 0x6040501
	s_set_vgpr_msb 4                        ;  msbs: dst=0 src0=0 src1=1 src2=0
	v_dot4_i32_iu8 v4, v227, v20 /*v276*/, v4 neg_lo:[1,1,0]
	s_set_vgpr_msb 0                        ;  msbs: dst=0 src0=0 src1=0 src2=0
	s_delay_alu instid0(VALU_DEP_2) | instskip(SKIP_1) | instid1(VALU_DEP_1)
	v_dot4_i32_iu8 v5, v8, v5, 0 neg_lo:[1,1,0]
	v_perm_b32 v8, v160, v24, 0x6040503
	v_dot4_i32_iu8 v5, v9, v8, v5 neg_lo:[1,1,0]
	v_perm_b32 v8, v20, v144, 0x6050401
	v_perm_b32 v9, v148, v22, 0x6050401
	s_set_vgpr_msb 4                        ;  msbs: dst=0 src0=0 src1=1 src2=0
	s_delay_alu instid0(VALU_DEP_3) | instskip(SKIP_1) | instid1(VALU_DEP_2)
	v_dot4_i32_iu8 v5, v240, v21 /*v277*/, v5 neg_lo:[1,1,0]
	s_set_vgpr_msb 0                        ;  msbs: dst=0 src0=0 src1=0 src2=0
	v_dot4_i32_iu8 v8, v9, v8, 0 neg_lo:[1,1,0]
	v_perm_b32 v9, v144, v21, 0x7060403
	s_set_vgpr_msb 64                       ;  msbs: dst=1 src0=0 src1=0 src2=0
	v_dot4_i32_iu8 v10 /*v266*/, v27, v152, v5 neg_lo:[1,1,0]
	s_set_vgpr_msb 16                       ;  msbs: dst=0 src0=0 src1=0 src2=1
	v_dot4_i32_iu8 v5, v7, v147, v18 /*v274*/ neg_lo:[1,1,0]
	s_set_vgpr_msb 4                        ;  msbs: dst=0 src0=0 src1=1 src2=0
	v_dot4_i32_iu8 v8, v241, v6 /*v262*/, v8 neg_lo:[1,1,0]
	s_set_vgpr_msb 0                        ;  msbs: dst=0 src0=0 src1=0 src2=0
	s_delay_alu instid0(VALU_DEP_2) | instskip(SKIP_1) | instid1(VALU_DEP_2)
	v_mul_lo_u32 v5, v5, v238
	s_set_vgpr_msb 1                        ;  msbs: dst=0 src0=1 src1=0 src2=0
	v_dot4_i32_iu8 v8, v7 /*v263*/, v9, v8 neg_lo:[1,1,0]
	s_set_vgpr_msb 0                        ;  msbs: dst=0 src0=0 src1=0 src2=0
	v_perm_b32 v9, v16, v146, 0x6050401
	s_set_vgpr_msb 64                       ;  msbs: dst=1 src0=0 src1=0 src2=0
	v_perm_b32 v7 /*v263*/, v154, v18, 0x6050401
	s_set_vgpr_msb 1                        ;  msbs: dst=0 src0=1 src1=0 src2=0
	s_delay_alu instid0(VALU_DEP_1) | instskip(SKIP_3) | instid1(VALU_DEP_2)
	v_dot4_i32_iu8 v9, v7 /*v263*/, v9, 0 neg_lo:[1,1,0]
	s_set_vgpr_msb 64                       ;  msbs: dst=1 src0=0 src1=0 src2=0
	v_perm_b32 v7 /*v263*/, v146, v17, 0x7060403
	s_set_vgpr_msb 4                        ;  msbs: dst=0 src0=0 src1=1 src2=0
	v_dot4_i32_iu8 v9, v253, v23 /*v279*/, v9 neg_lo:[1,1,0]
	s_set_vgpr_msb 5                        ;  msbs: dst=0 src0=1 src1=1 src2=0
	s_delay_alu instid0(VALU_DEP_1)
	v_dot4_i32_iu8 v9, v8 /*v264*/, v7 /*v263*/, v9 neg_lo:[1,1,0]
	s_set_vgpr_msb 64                       ;  msbs: dst=1 src0=0 src1=0 src2=0
	v_dot4_i32_iu8 v7 /*v263*/, v157, v31, v4 neg_lo:[1,1,0]
	s_set_vgpr_msb 0                        ;  msbs: dst=0 src0=0 src1=0 src2=0
	v_dot4_i32_iu8 v4, v23, v145, v8 neg_lo:[1,1,0]
	s_set_vgpr_msb 0x50                     ;  msbs: dst=1 src0=0 src1=0 src2=1
	v_dot4_i32_iu8 v8 /*v264*/, v152, v11, v16 /*v272*/ neg_lo:[1,1,0]
	s_set_vgpr_msb 16                       ;  msbs: dst=0 src0=0 src1=0 src2=1
	v_dot4_i32_iu8 v8, v3, v145, v17 /*v273*/ neg_lo:[1,1,0]
	s_set_vgpr_msb 0                        ;  msbs: dst=0 src0=0 src1=0 src2=0
	v_dot4_i32_iu8 v9, v19, v147, v9 neg_lo:[1,1,0]
	v_dot4_i32_iu8 v11, v15, v129, v14 neg_lo:[1,1,0]
	v_mul_lo_u32 v4, v4, v239
	v_mad_u32 v5, v8, v239, v5
	s_set_vgpr_msb 1                        ;  msbs: dst=0 src0=1 src1=0 src2=0
	v_mul_lo_u32 v8, v8 /*v264*/, v236
	s_set_vgpr_msb 0                        ;  msbs: dst=0 src0=0 src1=0 src2=0
	s_delay_alu instid0(VALU_DEP_3) | instskip(SKIP_3) | instid1(VALU_DEP_4)
	v_mad_u32 v4, v9, v238, v4
	s_set_vgpr_msb 1                        ;  msbs: dst=0 src0=1 src1=0 src2=0
	v_mul_lo_u32 v9, v7 /*v263*/, v235
	s_set_vgpr_msb 0                        ;  msbs: dst=0 src0=0 src1=0 src2=0
	v_cvt_f32_i32_e32 v5, v5
	s_set_vgpr_msb 1                        ;  msbs: dst=0 src0=1 src1=0 src2=0
	s_delay_alu instid0(VALU_DEP_4) | instskip(SKIP_1) | instid1(VALU_DEP_4)
	v_mad_u32 v8, v9 /*v265*/, v235, v8
	s_set_vgpr_msb 0                        ;  msbs: dst=0 src0=0 src1=0 src2=0
	v_cvt_f32_i32_e32 v4, v4
	s_set_vgpr_msb 0x41                     ;  msbs: dst=1 src0=1 src1=0 src2=0
	s_delay_alu instid0(VALU_DEP_4) | instskip(SKIP_1) | instid1(VALU_DEP_3)
	v_mad_u32 v7 /*v263*/, v10 /*v266*/, v236, v9
	s_set_vgpr_msb 0                        ;  msbs: dst=0 src0=0 src1=0 src2=0
	v_cvt_f32_i32_e32 v9, v8
	v_pk_fma_f32 v[4:5], v[12:13], v[4:5], 0 op_sel_hi:[1,1,0]
	s_set_vgpr_msb 1                        ;  msbs: dst=0 src0=1 src1=0 src2=0
	s_delay_alu instid0(VALU_DEP_3) | instskip(SKIP_1) | instid1(VALU_DEP_1)
	v_cvt_f32_i32_e32 v8, v7 /*v263*/
	s_set_vgpr_msb 0                        ;  msbs: dst=0 src0=0 src1=0 src2=0
	v_pk_fma_f32 v[4:5], v[0:1], v[8:9], v[4:5]
	v_perm_b32 v8, v29, v127, 0x6040503
	v_perm_b32 v9, v25, v128, 0x6040503
	s_delay_alu instid0(VALU_DEP_3) | instskip(SKIP_2) | instid1(VALU_DEP_1)
	v_pk_fma_f32 v[102:103], v[120:121], v[4:5], v[102:103]
	v_perm_b32 v4, v28, v163, 0x6040501
	v_perm_b32 v5, v127, v30, 0x6040501
	v_dot4_i32_iu8 v4, v5, v4, 0 neg_lo:[1,1,0]
	v_perm_b32 v5, v162, v28, 0x6040503
	s_delay_alu instid0(VALU_DEP_1) | instskip(SKIP_3) | instid1(VALU_DEP_3)
	v_dot4_i32_iu8 v4, v8, v5, v4 neg_lo:[1,1,0]
	v_perm_b32 v5, v24, v165, 0x6040501
	v_perm_b32 v8, v128, v26, 0x6040501
	s_set_vgpr_msb 4                        ;  msbs: dst=0 src0=0 src1=1 src2=0
	v_dot4_i32_iu8 v4, v228, v20 /*v276*/, v4 neg_lo:[1,1,0]
	s_set_vgpr_msb 0                        ;  msbs: dst=0 src0=0 src1=0 src2=0
	s_delay_alu instid0(VALU_DEP_2) | instskip(SKIP_1) | instid1(VALU_DEP_3)
	v_dot4_i32_iu8 v5, v8, v5, 0 neg_lo:[1,1,0]
	v_perm_b32 v8, v164, v24, 0x6040503
	v_dot4_i32_iu8 v4, v129, v31, v4 neg_lo:[1,1,0]
	s_delay_alu instid0(VALU_DEP_2)
	v_dot4_i32_iu8 v5, v9, v8, v5 neg_lo:[1,1,0]
	v_perm_b32 v8, v20, v34, 0x6050401
	v_perm_b32 v9, v150, v22, 0x6050401
	;; [unrolled: 1-line block ×3, first 2 shown]
	v_mul_lo_u32 v4, v4, v32
	s_set_vgpr_msb 4                        ;  msbs: dst=0 src0=0 src1=1 src2=0
	v_dot4_i32_iu8 v5, v230, v21 /*v277*/, v5 neg_lo:[1,1,0]
	s_set_vgpr_msb 0                        ;  msbs: dst=0 src0=0 src1=0 src2=0
	v_dot4_i32_iu8 v8, v9, v8, 0 neg_lo:[1,1,0]
	v_perm_b32 v9, v34, v21, 0x7060403
	s_delay_alu instid0(VALU_DEP_3) | instskip(SKIP_1) | instid1(VALU_DEP_3)
	v_dot4_i32_iu8 v5, v27, v126, v5 neg_lo:[1,1,0]
	s_set_vgpr_msb 4                        ;  msbs: dst=0 src0=0 src1=1 src2=0
	v_dot4_i32_iu8 v8, v229, v6 /*v262*/, v8 neg_lo:[1,1,0]
	s_set_vgpr_msb 0                        ;  msbs: dst=0 src0=0 src1=0 src2=0
	s_delay_alu instid0(VALU_DEP_2) | instskip(SKIP_1) | instid1(VALU_DEP_3)
	v_mad_u32 v4, v5, v137, v4
	v_mad_u32 v5, v11, v32, v6
	v_dot4_i32_iu8 v8, v20, v9, v8 neg_lo:[1,1,0]
	v_perm_b32 v9, v16, v124, 0x6050401
	v_perm_b32 v16, v130, v18, 0x6050401
	s_delay_alu instid0(VALU_DEP_3) | instskip(NEXT) | instid1(VALU_DEP_2)
	v_dot4_i32_iu8 v8, v23, v35, v8 neg_lo:[1,1,0]
	v_dot4_i32_iu8 v9, v16, v9, 0 neg_lo:[1,1,0]
	v_perm_b32 v16, v124, v17, 0x7060403
	v_perm_b32 v17, v18, v131, 0x7060403
	s_delay_alu instid0(VALU_DEP_4)
	v_mul_lo_u32 v7, v8, v171
	v_cvt_f32_i32_e32 v5, v5
	s_set_vgpr_msb 4                        ;  msbs: dst=0 src0=0 src1=1 src2=0
	v_dot4_i32_iu8 v9, v252, v23 /*v279*/, v9 neg_lo:[1,1,0]
	v_cvt_f32_i32_e32 v4, v4
	s_set_vgpr_msb 0                        ;  msbs: dst=0 src0=0 src1=0 src2=0
	s_delay_alu instid0(VALU_DEP_2) | instskip(NEXT) | instid1(VALU_DEP_1)
	v_dot4_i32_iu8 v9, v17, v16, v9 neg_lo:[1,1,0]
	v_dot4_i32_iu8 v3, v19, v125, v9 neg_lo:[1,1,0]
	s_delay_alu instid0(VALU_DEP_1) | instskip(SKIP_1) | instid1(VALU_DEP_2)
	v_mad_u32 v7, v3, v139, v7
	v_cvt_f32_i32_e32 v3, v2
	v_cvt_f32_i32_e32 v2, v7
	s_delay_alu instid0(VALU_DEP_1) | instskip(NEXT) | instid1(VALU_DEP_1)
	v_pk_fma_f32 v[2:3], v[12:13], v[2:3], 0 op_sel_hi:[1,1,0]
	v_pk_fma_f32 v[0:1], v[0:1], v[4:5], v[2:3]
	s_delay_alu instid0(VALU_DEP_1) | instskip(SKIP_1) | instid1(VALU_DEP_1)
	v_pk_fma_f32 v[108:109], v[122:123], v[0:1], v[108:109]
	v_or_b32_e32 v0, s12, v197
	v_lshlrev_b32_e32 v12, 2, v0
	s_set_vgpr_msb 64                       ;  msbs: dst=1 src0=0 src1=0 src2=0
	v_lshrrev_b32_e32 v6 /*v262*/, 1, v0
	s_set_vgpr_msb 0                        ;  msbs: dst=0 src0=0 src1=0 src2=0
	ds_load_b128 v[4:7], v12 offset:33280
	ds_load_b128 v[0:3], v12 offset:33296
	ds_load_b128 v[8:11], v12 offset:33312
	ds_load_b128 v[12:15], v12 offset:33328
	s_wait_dscnt 0x3
	v_perm_b32 v22, v168, v5, 0x7060403
	s_wait_dscnt 0x2
	v_perm_b32 v21, v1, v176, 0x6040503
	s_wait_dscnt 0x1
	v_perm_b32 v19, v172, v10, 0x6040501
	s_wait_dscnt 0x0
	v_perm_b32 v16, v12, v14, 0x6040501
	v_perm_b32 v17, v13, v12, 0x6040503
	v_perm_b32 v18, v14, v13, 0x7060403
	;; [unrolled: 1-line block ×4, first 2 shown]
	s_set_vgpr_msb 4                        ;  msbs: dst=0 src0=0 src1=1 src2=0
	v_dot4_i32_iu8 v16, v16, v2 /*v258*/, 0 neg_lo:[1,1,0]
	s_delay_alu instid0(VALU_DEP_1) | instskip(SKIP_1) | instid1(VALU_DEP_1)
	v_dot4_i32_iu8 v16, v17, v3 /*v259*/, v16 neg_lo:[1,1,0]
	s_set_vgpr_msb 64                       ;  msbs: dst=1 src0=0 src1=0 src2=0
	v_dot4_i32_iu8 v7 /*v263*/, v18, v254, v16 neg_lo:[1,1,0]
	s_set_vgpr_msb 0                        ;  msbs: dst=0 src0=0 src1=0 src2=0
	v_perm_b32 v16, v8, v179, 0x6040501
	s_set_vgpr_msb 0x50                     ;  msbs: dst=1 src0=0 src1=0 src2=1
	s_delay_alu instid0(VALU_DEP_2) | instskip(SKIP_1) | instid1(VALU_DEP_2)
	v_dot4_i32_iu8 v7 /*v263*/, v15, v173, v7 /*v263*/ neg_lo:[1,1,0]
	s_set_vgpr_msb 0                        ;  msbs: dst=0 src0=0 src1=0 src2=0
	v_dot4_i32_iu8 v16, v19, v16, 0 neg_lo:[1,1,0]
	v_perm_b32 v19, v178, v8, 0x6040503
	s_delay_alu instid0(VALU_DEP_1) | instskip(SKIP_3) | instid1(VALU_DEP_2)
	v_dot4_i32_iu8 v16, v20, v19, v16 neg_lo:[1,1,0]
	v_perm_b32 v19, v10, v9, 0x7060403
	v_perm_b32 v20, v176, v2, 0x6050401
	s_set_vgpr_msb 0x41                     ;  msbs: dst=1 src0=1 src1=0 src2=0
	v_dot4_i32_iu8 v8 /*v264*/, v4 /*v260*/, v19, v16 neg_lo:[1,1,0]
	s_set_vgpr_msb 0                        ;  msbs: dst=0 src0=0 src1=0 src2=0
	v_perm_b32 v16, v0, v166, 0x6050401
	s_set_vgpr_msb 0x50                     ;  msbs: dst=1 src0=0 src1=0 src2=1
	s_delay_alu instid0(VALU_DEP_2) | instskip(SKIP_1) | instid1(VALU_DEP_2)
	v_dot4_i32_iu8 v8 /*v264*/, v170, v11, v8 /*v264*/ neg_lo:[1,1,0]
	s_set_vgpr_msb 0                        ;  msbs: dst=0 src0=0 src1=0 src2=0
	v_dot4_i32_iu8 v16, v20, v16, 0 neg_lo:[1,1,0]
	v_perm_b32 v20, v177, v0, 0x6040503
	s_delay_alu instid0(VALU_DEP_1) | instskip(SKIP_3) | instid1(VALU_DEP_2)
	v_dot4_i32_iu8 v16, v21, v20, v16 neg_lo:[1,1,0]
	v_perm_b32 v20, v2, v1, 0x7060403
	v_perm_b32 v21, v174, v6, 0x6050401
	s_set_vgpr_msb 64                       ;  msbs: dst=1 src0=0 src1=0 src2=0
	v_dot4_i32_iu8 v9 /*v265*/, v20, v255, v16 neg_lo:[1,1,0]
	s_set_vgpr_msb 0                        ;  msbs: dst=0 src0=0 src1=0 src2=0
	v_perm_b32 v16, v4, v168, 0x6050401
	s_delay_alu instid0(VALU_DEP_1) | instskip(SKIP_2) | instid1(VALU_DEP_1)
	v_dot4_i32_iu8 v16, v21, v16, 0 neg_lo:[1,1,0]
	v_perm_b32 v21, v5, v4, 0x6040503
	s_set_vgpr_msb 1                        ;  msbs: dst=0 src0=1 src1=0 src2=0
	v_dot4_i32_iu8 v16, v5 /*v261*/, v21, v16 neg_lo:[1,1,0]
	s_set_vgpr_msb 64                       ;  msbs: dst=1 src0=0 src1=0 src2=0
	s_delay_alu instid0(VALU_DEP_1) | instskip(SKIP_3) | instid1(VALU_DEP_2)
	v_dot4_i32_iu8 v10 /*v266*/, v23, v22, v16 neg_lo:[1,1,0]
	s_set_vgpr_msb 0                        ;  msbs: dst=0 src0=0 src1=0 src2=0
	v_perm_b32 v22, v14, v14, 0xc0c0c01
	v_perm_b32 v16, v12, v33, 0x6040503
	v_or_b32_e32 v22, v249, v22
	s_delay_alu instid0(VALU_DEP_1) | instskip(SKIP_1) | instid1(VALU_DEP_2)
	v_dot4_i32_iu8 v16, v22, v16, 0 neg_lo:[1,1,0]
	v_perm_b32 v22, v10, v143, 0x7060403
	v_dot4_i32_iu8 v16, v17, v250, v16 neg_lo:[1,1,0]
	v_perm_b32 v17, v142, v10, 0x6040501
	s_set_vgpr_msb 64                       ;  msbs: dst=1 src0=0 src1=0 src2=0
	s_delay_alu instid0(VALU_DEP_2) | instskip(SKIP_2) | instid1(VALU_DEP_1)
	v_dot4_i32_iu8 v11 /*v267*/, v251, v18, v16 neg_lo:[1,1,0]
	s_set_vgpr_msb 0                        ;  msbs: dst=0 src0=0 src1=0 src2=0
	v_perm_b32 v16, v8, v140, 0x6040501
	v_dot4_i32_iu8 v16, v17, v16, 0 neg_lo:[1,1,0]
	v_perm_b32 v17, v9, v8, 0x6040503
	s_delay_alu instid0(VALU_DEP_1) | instskip(SKIP_2) | instid1(VALU_DEP_1)
	v_dot4_i32_iu8 v16, v231, v17, v16 neg_lo:[1,1,0]
	v_perm_b32 v17, v140, v9, 0x7060403
	s_set_vgpr_msb 64                       ;  msbs: dst=1 src0=0 src1=0 src2=0
	v_dot4_i32_iu8 v12 /*v268*/, v22, v17, v16 neg_lo:[1,1,0]
	s_set_vgpr_msb 0                        ;  msbs: dst=0 src0=0 src1=0 src2=0
	v_perm_b32 v16, v0, v132, 0x6050401
	v_perm_b32 v17, v138, v2, 0x6050401
	;; [unrolled: 1-line block ×4, first 2 shown]
	s_delay_alu instid0(VALU_DEP_3) | instskip(SKIP_1) | instid1(VALU_DEP_1)
	v_dot4_i32_iu8 v16, v17, v16, 0 neg_lo:[1,1,0]
	v_perm_b32 v17, v1, v0, 0x6040503
	v_dot4_i32_iu8 v16, v232, v17, v16 neg_lo:[1,1,0]
	s_set_vgpr_msb 64                       ;  msbs: dst=1 src0=0 src1=0 src2=0
	s_delay_alu instid0(VALU_DEP_1) | instskip(SKIP_3) | instid1(VALU_DEP_1)
	v_dot4_i32_iu8 v13 /*v269*/, v233, v20, v16 neg_lo:[1,1,0]
	s_set_vgpr_msb 0                        ;  msbs: dst=0 src0=0 src1=0 src2=0
	v_perm_b32 v16, v4, v134, 0x6050401
	v_perm_b32 v20, v136, v6, 0x6050401
	v_dot4_i32_iu8 v16, v20, v16, 0 neg_lo:[1,1,0]
	v_perm_b32 v20, v6, v5, 0x7060403
	s_delay_alu instid0(VALU_DEP_2) | instskip(SKIP_1) | instid1(VALU_DEP_1)
	v_dot4_i32_iu8 v16, v234, v21, v16 neg_lo:[1,1,0]
	s_set_vgpr_msb 64                       ;  msbs: dst=1 src0=0 src1=0 src2=0
	v_dot4_i32_iu8 v14 /*v270*/, v237, v20, v16 neg_lo:[1,1,0]
	s_set_vgpr_msb 0                        ;  msbs: dst=0 src0=0 src1=0 src2=0
	v_perm_b32 v16, v12, v159, 0x6040501
	v_perm_b32 v20, v153, v14, 0x6040501
	;; [unrolled: 1-line block ×3, first 2 shown]
	s_delay_alu instid0(VALU_DEP_2) | instskip(SKIP_1) | instid1(VALU_DEP_1)
	v_dot4_i32_iu8 v16, v20, v16, 0 neg_lo:[1,1,0]
	v_perm_b32 v20, v158, v12, 0x6040503
	v_dot4_i32_iu8 v16, v22, v20, v16 neg_lo:[1,1,0]
	v_perm_b32 v20, v156, v10, 0x6040501
	v_perm_b32 v22, v9, v156, 0x6040503
	;; [unrolled: 1-line block ×4, first 2 shown]
	s_set_vgpr_msb 64                       ;  msbs: dst=1 src0=0 src1=0 src2=0
	v_dot4_i32_iu8 v15 /*v271*/, v227, v18, v16 neg_lo:[1,1,0]
	s_set_vgpr_msb 0                        ;  msbs: dst=0 src0=0 src1=0 src2=0
	v_perm_b32 v16, v8, v161, 0x6040501
	s_delay_alu instid0(VALU_DEP_1) | instskip(SKIP_1) | instid1(VALU_DEP_1)
	v_dot4_i32_iu8 v16, v20, v16, 0 neg_lo:[1,1,0]
	v_perm_b32 v20, v160, v8, 0x6040503
	v_dot4_i32_iu8 v16, v22, v20, v16 neg_lo:[1,1,0]
	v_perm_b32 v20, v148, v2, 0x6050401
	v_perm_b32 v22, v2, v149, 0x7060403
	s_set_vgpr_msb 64                       ;  msbs: dst=1 src0=0 src1=0 src2=0
	s_delay_alu instid0(VALU_DEP_3) | instskip(SKIP_3) | instid1(VALU_DEP_2)
	v_dot4_i32_iu8 v16 /*v272*/, v240, v19, v16 neg_lo:[1,1,0]
	s_set_vgpr_msb 0                        ;  msbs: dst=0 src0=0 src1=0 src2=0
	v_perm_b32 v16, v0, v144, 0x6050401
	v_perm_b32 v0, v0, v34, 0x6050401
	v_dot4_i32_iu8 v16, v20, v16, 0 neg_lo:[1,1,0]
	v_perm_b32 v20, v144, v1, 0x7060403
	v_perm_b32 v1, v34, v1, 0x7060403
	s_delay_alu instid0(VALU_DEP_3) | instskip(SKIP_1) | instid1(VALU_DEP_1)
	v_dot4_i32_iu8 v16, v241, v17, v16 neg_lo:[1,1,0]
	s_set_vgpr_msb 64                       ;  msbs: dst=1 src0=0 src1=0 src2=0
	v_dot4_i32_iu8 v17 /*v273*/, v22, v20, v16 neg_lo:[1,1,0]
	s_set_vgpr_msb 0                        ;  msbs: dst=0 src0=0 src1=0 src2=0
	v_perm_b32 v16, v4, v146, 0x6050401
	v_perm_b32 v20, v154, v6, 0x6050401
	;; [unrolled: 1-line block ×3, first 2 shown]
	s_delay_alu instid0(VALU_DEP_2) | instskip(SKIP_1) | instid1(VALU_DEP_2)
	v_dot4_i32_iu8 v16, v20, v16, 0 neg_lo:[1,1,0]
	v_perm_b32 v20, v146, v5, 0x7060403
	v_dot4_i32_iu8 v16, v253, v21, v16 neg_lo:[1,1,0]
	s_set_vgpr_msb 64                       ;  msbs: dst=1 src0=0 src1=0 src2=0
	s_delay_alu instid0(VALU_DEP_1) | instskip(SKIP_3) | instid1(VALU_DEP_2)
	v_dot4_i32_iu8 v18 /*v274*/, v22, v20, v16 neg_lo:[1,1,0]
	s_set_vgpr_msb 0                        ;  msbs: dst=0 src0=0 src1=0 src2=0
	v_perm_b32 v16, v12, v163, 0x6040501
	v_perm_b32 v12, v162, v12, 0x6040503
	v_dot4_i32_iu8 v14, v14, v16, 0 neg_lo:[1,1,0]
	s_delay_alu instid0(VALU_DEP_1) | instskip(NEXT) | instid1(VALU_DEP_1)
	v_dot4_i32_iu8 v12, v13, v12, v14 neg_lo:[1,1,0]
	v_dot4_i32_iu8 v14, v228, v18, v12 neg_lo:[1,1,0]
	v_perm_b32 v12, v8, v165, 0x6040501
	v_perm_b32 v8, v164, v8, 0x6040503
	s_delay_alu instid0(VALU_DEP_2) | instskip(NEXT) | instid1(VALU_DEP_1)
	v_dot4_i32_iu8 v10, v10, v12, 0 neg_lo:[1,1,0]
	v_dot4_i32_iu8 v8, v9, v8, v10 neg_lo:[1,1,0]
	s_delay_alu instid0(VALU_DEP_1) | instskip(SKIP_2) | instid1(VALU_DEP_3)
	v_dot4_i32_iu8 v10, v230, v19, v8 neg_lo:[1,1,0]
	v_perm_b32 v8, v150, v2, 0x6050401
	v_perm_b32 v2, v2, v151, 0x7060403
	v_dot4_i32_iu8 v10, v126, v11, v10 neg_lo:[1,1,0]
	s_delay_alu instid0(VALU_DEP_3) | instskip(NEXT) | instid1(VALU_DEP_1)
	v_dot4_i32_iu8 v0, v8, v0, 0 neg_lo:[1,1,0]
	v_dot4_i32_iu8 v0, v229, v17, v0 neg_lo:[1,1,0]
	s_delay_alu instid0(VALU_DEP_1) | instskip(SKIP_3) | instid1(VALU_DEP_4)
	v_dot4_i32_iu8 v2, v2, v1, v0 neg_lo:[1,1,0]
	v_perm_b32 v0, v4, v124, 0x6050401
	v_perm_b32 v1, v130, v6, 0x6050401
	;; [unrolled: 1-line block ×3, first 2 shown]
	v_dot4_i32_iu8 v2, v3, v35, v2 neg_lo:[1,1,0]
	s_delay_alu instid0(VALU_DEP_3) | instskip(SKIP_1) | instid1(VALU_DEP_2)
	v_dot4_i32_iu8 v0, v1, v0, 0 neg_lo:[1,1,0]
	v_perm_b32 v1, v124, v5, 0x7060403
	v_dot4_i32_iu8 v0, v252, v21, v0 neg_lo:[1,1,0]
	s_delay_alu instid0(VALU_DEP_1) | instskip(SKIP_1) | instid1(VALU_DEP_2)
	v_dot4_i32_iu8 v6, v4, v1, v0 neg_lo:[1,1,0]
	v_or_b32_e32 v0, s12, v198
	v_dot4_i32_iu8 v6, v7, v125, v6 neg_lo:[1,1,0]
	s_delay_alu instid0(VALU_DEP_2)
	v_lshlrev_b32_e32 v1, 2, v0
	ds_load_b128 v[16:19], v1 offset:33280
	ds_load_b128 v[20:23], v1 offset:33296
	ds_load_b128 v[24:27], v1 offset:33312
	ds_load_b128 v[28:31], v1 offset:33328
	v_lshrrev_b32_e32 v4, 1, v0
	v_mul_lo_u32 v6, v6, v139
	s_delay_alu instid0(VALU_DEP_1)
	v_mad_u32 v2, v2, v171, v6
	v_mul_lo_u32 v6, v10, v137
	s_wait_dscnt 0x3
	s_set_vgpr_msb 64                       ;  msbs: dst=1 src0=0 src1=0 src2=0
	v_perm_b32 v23 /*v279*/, v17, v16, 0x6040503
	s_wait_dscnt 0x2
	v_perm_b32 v22 /*v278*/, v22, v21, 0x7060403
	s_wait_dscnt 0x1
	s_set_vgpr_msb 0                        ;  msbs: dst=0 src0=0 src1=0 src2=0
	v_perm_b32 v1, v172, v26, 0x6040501
	s_wait_dscnt 0x0
	v_perm_b32 v0, v28, v30, 0x6040501
	s_set_vgpr_msb 64                       ;  msbs: dst=1 src0=0 src1=0 src2=0
	v_perm_b32 v19 /*v275*/, v29, v28, 0x6040503
	v_perm_b32 v20 /*v276*/, v30, v29, 0x7060403
	s_set_vgpr_msb 0                        ;  msbs: dst=0 src0=0 src1=0 src2=0
	v_perm_b32 v5, v25, v172, 0x6040503
	s_set_vgpr_msb 64                       ;  msbs: dst=1 src0=0 src1=0 src2=0
	v_perm_b32 v21 /*v277*/, v26, v25, 0x7060403
	s_set_vgpr_msb 4                        ;  msbs: dst=0 src0=0 src1=1 src2=0
	v_dot4_i32_iu8 v0, v0, v2 /*v258*/, 0 neg_lo:[1,1,0]
	s_set_vgpr_msb 5                        ;  msbs: dst=0 src0=1 src1=1 src2=0
	s_delay_alu instid0(VALU_DEP_1) | instskip(SKIP_1) | instid1(VALU_DEP_1)
	v_dot4_i32_iu8 v0, v19 /*v275*/, v3 /*v259*/, v0 neg_lo:[1,1,0]
	s_set_vgpr_msb 1                        ;  msbs: dst=0 src0=1 src1=0 src2=0
	v_dot4_i32_iu8 v8, v20 /*v276*/, v254, v0 neg_lo:[1,1,0]
	s_set_vgpr_msb 0                        ;  msbs: dst=0 src0=0 src1=0 src2=0
	v_perm_b32 v0, v24, v179, 0x6040501
	s_delay_alu instid0(VALU_DEP_1) | instskip(SKIP_1) | instid1(VALU_DEP_1)
	v_dot4_i32_iu8 v0, v1, v0, 0 neg_lo:[1,1,0]
	v_perm_b32 v1, v178, v24, 0x6040503
	v_dot4_i32_iu8 v0, v5, v1, v0 neg_lo:[1,1,0]
	v_perm_b32 v1, v176, v22, 0x6050401
	v_perm_b32 v5, v21, v176, 0x6040503
	s_set_vgpr_msb 5                        ;  msbs: dst=0 src0=1 src1=1 src2=0
	s_delay_alu instid0(VALU_DEP_3) | instskip(SKIP_3) | instid1(VALU_DEP_2)
	v_dot4_i32_iu8 v9, v4 /*v260*/, v21 /*v277*/, v0 neg_lo:[1,1,0]
	s_set_vgpr_msb 0                        ;  msbs: dst=0 src0=0 src1=0 src2=0
	v_perm_b32 v0, v20, v166, 0x6050401
	s_set_vgpr_msb 64                       ;  msbs: dst=1 src0=0 src1=0 src2=0
	v_dot4_i32_iu8 v24 /*v280*/, v27, v170, v9 neg_lo:[1,1,0]
	s_set_vgpr_msb 16                       ;  msbs: dst=0 src0=0 src1=0 src2=1
	s_delay_alu instid0(VALU_DEP_2) | instskip(SKIP_3) | instid1(VALU_DEP_2)
	v_dot4_i32_iu8 v0, v1, v0, 0 neg_lo:[1,1,0]
	v_perm_b32 v1, v177, v20, 0x6040503
	v_dot4_i32_iu8 v9, v7, v169, v10 /*v266*/ neg_lo:[1,1,0]
	s_set_vgpr_msb 0                        ;  msbs: dst=0 src0=0 src1=0 src2=0
	v_dot4_i32_iu8 v0, v5, v1, v0 neg_lo:[1,1,0]
	v_perm_b32 v1, v174, v18, 0x6050401
	v_perm_b32 v5, v18, v175, 0x7060403
	s_set_vgpr_msb 4                        ;  msbs: dst=0 src0=0 src1=1 src2=0
	v_mul_lo_u32 v9, v9, v0 /*v256*/
	s_set_vgpr_msb 1                        ;  msbs: dst=0 src0=1 src1=0 src2=0
	v_dot4_i32_iu8 v12, v22 /*v278*/, v255, v0 neg_lo:[1,1,0]
	s_set_vgpr_msb 0                        ;  msbs: dst=0 src0=0 src1=0 src2=0
	v_perm_b32 v0, v16, v168, 0x6050401
	s_delay_alu instid0(VALU_DEP_1) | instskip(SKIP_2) | instid1(VALU_DEP_2)
	v_dot4_i32_iu8 v0, v1, v0, 0 neg_lo:[1,1,0]
	v_perm_b32 v1, v168, v17, 0x7060403
	s_set_vgpr_msb 5                        ;  msbs: dst=0 src0=1 src1=1 src2=0
	v_dot4_i32_iu8 v0, v5 /*v261*/, v23 /*v279*/, v0 neg_lo:[1,1,0]
	s_set_vgpr_msb 0                        ;  msbs: dst=0 src0=0 src1=0 src2=0
	s_delay_alu instid0(VALU_DEP_1)
	v_dot4_i32_iu8 v13, v5, v1, v0 neg_lo:[1,1,0]
	s_set_vgpr_msb 1                        ;  msbs: dst=0 src0=1 src1=0 src2=0
	ds_load_b64 v[0:1], v6 /*v262*/ offset:43584
	s_set_vgpr_msb 0                        ;  msbs: dst=0 src0=0 src1=0 src2=0
	ds_load_b64 v[4:5], v4 offset:43584
	s_set_vgpr_msb 64                       ;  msbs: dst=1 src0=0 src1=0 src2=0
	v_dot4_i32_iu8 v6 /*v262*/, v173, v31, v8 neg_lo:[1,1,0]
	s_set_vgpr_msb 0                        ;  msbs: dst=0 src0=0 src1=0 src2=0
	v_dot4_i32_iu8 v8, v23, v167, v12 neg_lo:[1,1,0]
	s_set_vgpr_msb 16                       ;  msbs: dst=0 src0=0 src1=0 src2=1
	v_dot4_i32_iu8 v12, v3, v167, v9 /*v265*/ neg_lo:[1,1,0]
	s_set_vgpr_msb 0                        ;  msbs: dst=0 src0=0 src1=0 src2=0
	v_dot4_i32_iu8 v13, v19, v169, v13 neg_lo:[1,1,0]
	s_set_vgpr_msb 4                        ;  msbs: dst=0 src0=0 src1=1 src2=0
	v_mul_lo_u32 v8, v8, v1 /*v257*/
	v_mad_u32 v9, v12, v1 /*v257*/, v9
	s_delay_alu instid0(VALU_DEP_2)
	v_mad_u32 v8, v13, v0 /*v256*/, v8
	s_wait_dscnt 0x0
	v_dual_mov_b32 v13, v0 :: v_dual_mov_b32 v12, v4
	s_set_vgpr_msb 1                        ;  msbs: dst=0 src0=1 src1=0 src2=0
	v_mul_lo_u32 v0, v8 /*v264*/, v247
	v_mul_lo_u32 v4, v6 /*v262*/, v248
	s_set_vgpr_msb 0                        ;  msbs: dst=0 src0=0 src1=0 src2=0
	v_cvt_f32_i32_e32 v9, v9
	s_set_vgpr_msb 0x50                     ;  msbs: dst=1 src0=0 src1=0 src2=1
	v_dot4_i32_iu8 v8 /*v264*/, v141, v11, v12 /*v268*/ neg_lo:[1,1,0]
	s_set_vgpr_msb 0                        ;  msbs: dst=0 src0=0 src1=0 src2=0
	v_cvt_f32_i32_e32 v8, v8
	s_set_vgpr_msb 1                        ;  msbs: dst=0 src0=1 src1=0 src2=0
	v_mad_u32 v0, v7 /*v263*/, v248, v0
	v_mad_u32 v4, v24 /*v280*/, v247, v4
	s_set_vgpr_msb 0                        ;  msbs: dst=0 src0=0 src1=0 src2=0
	v_pk_fma_f32 v[8:9], v[12:13], v[8:9], 0 op_sel_hi:[1,1,0]
	s_set_vgpr_msb 64                       ;  msbs: dst=1 src0=0 src1=0 src2=0
	s_delay_alu instid0(VALU_DEP_3) | instskip(NEXT) | instid1(VALU_DEP_3)
	v_cvt_f32_i32_e32 v7 /*v263*/, v0
	v_cvt_f32_i32_e32 v6 /*v262*/, v4
	s_set_vgpr_msb 4                        ;  msbs: dst=0 src0=0 src1=1 src2=0
	v_mov_b32_e32 v0, v5
	s_delay_alu instid0(VALU_DEP_1)
	v_pk_fma_f32 v[4:5], v[0:1], v[6:7] /*v[262:263]*/, v[8:9]
	s_set_vgpr_msb 0                        ;  msbs: dst=0 src0=0 src1=0 src2=0
	v_perm_b32 v8, v142, v26, 0x6040501
	v_perm_b32 v9, v26, v143, 0x7060403
	s_set_vgpr_msb 64                       ;  msbs: dst=1 src0=0 src1=0 src2=0
	v_perm_b32 v7 /*v263*/, v136, v18, 0x6050401
	v_perm_b32 v6 /*v262*/, v21, v20, 0x6040503
	s_set_vgpr_msb 0                        ;  msbs: dst=0 src0=0 src1=0 src2=0
	v_pk_fma_f32 v[78:79], v[116:117], v[4:5], v[78:79]
	v_perm_b32 v5, v30, v30, 0xc0c0c01
	v_perm_b32 v4, v28, v33, 0x6040503
	s_delay_alu instid0(VALU_DEP_2) | instskip(NEXT) | instid1(VALU_DEP_1)
	v_or_b32_e32 v5, v249, v5
	v_dot4_i32_iu8 v4, v5, v4, 0 neg_lo:[1,1,0]
	v_perm_b32 v5, v24, v140, 0x6040501
	s_set_vgpr_msb 1                        ;  msbs: dst=0 src0=1 src1=0 src2=0
	s_delay_alu instid0(VALU_DEP_2) | instskip(SKIP_1) | instid1(VALU_DEP_2)
	v_dot4_i32_iu8 v4, v19 /*v275*/, v250, v4 neg_lo:[1,1,0]
	s_set_vgpr_msb 0                        ;  msbs: dst=0 src0=0 src1=0 src2=0
	v_dot4_i32_iu8 v5, v8, v5, 0 neg_lo:[1,1,0]
	v_perm_b32 v8, v25, v24, 0x6040503
	s_set_vgpr_msb 4                        ;  msbs: dst=0 src0=0 src1=1 src2=0
	v_dot4_i32_iu8 v4, v251, v20 /*v276*/, v4 neg_lo:[1,1,0]
	s_set_vgpr_msb 0                        ;  msbs: dst=0 src0=0 src1=0 src2=0
	s_delay_alu instid0(VALU_DEP_2) | instskip(SKIP_1) | instid1(VALU_DEP_1)
	v_dot4_i32_iu8 v5, v231, v8, v5 neg_lo:[1,1,0]
	v_perm_b32 v8, v140, v25, 0x7060403
	v_dot4_i32_iu8 v5, v9, v8, v5 neg_lo:[1,1,0]
	v_perm_b32 v8, v20, v132, 0x6050401
	v_perm_b32 v9, v138, v22, 0x6050401
	s_set_vgpr_msb 64                       ;  msbs: dst=1 src0=0 src1=0 src2=0
	s_delay_alu instid0(VALU_DEP_3) | instskip(SKIP_4) | instid1(VALU_DEP_3)
	v_dot4_i32_iu8 v10 /*v266*/, v27, v141, v5 neg_lo:[1,1,0]
	s_set_vgpr_msb 16                       ;  msbs: dst=0 src0=0 src1=0 src2=1
	v_dot4_i32_iu8 v5, v7, v135, v14 /*v270*/ neg_lo:[1,1,0]
	v_dot4_i32_iu8 v8, v9, v8, 0 neg_lo:[1,1,0]
	v_perm_b32 v9, v16, v134, 0x6050401
	v_mul_lo_u32 v5, v5, v245
	s_set_vgpr_msb 4                        ;  msbs: dst=0 src0=0 src1=1 src2=0
	s_delay_alu instid0(VALU_DEP_3)
	v_dot4_i32_iu8 v8, v232, v6 /*v262*/, v8 neg_lo:[1,1,0]
	s_set_vgpr_msb 1                        ;  msbs: dst=0 src0=1 src1=0 src2=0
	v_dot4_i32_iu8 v9, v7 /*v263*/, v9, 0 neg_lo:[1,1,0]
	s_set_vgpr_msb 64                       ;  msbs: dst=1 src0=0 src1=0 src2=0
	v_perm_b32 v7 /*v263*/, v18, v17, 0x7060403
	s_set_vgpr_msb 4                        ;  msbs: dst=0 src0=0 src1=1 src2=0
	v_dot4_i32_iu8 v8, v233, v22 /*v278*/, v8 neg_lo:[1,1,0]
	v_dot4_i32_iu8 v9, v234, v23 /*v279*/, v9 neg_lo:[1,1,0]
	s_delay_alu instid0(VALU_DEP_1) | instskip(SKIP_3) | instid1(VALU_DEP_2)
	v_dot4_i32_iu8 v9, v237, v7 /*v263*/, v9 neg_lo:[1,1,0]
	s_set_vgpr_msb 64                       ;  msbs: dst=1 src0=0 src1=0 src2=0
	v_perm_b32 v7 /*v263*/, v31, v31, 0x3020001
	s_set_vgpr_msb 0                        ;  msbs: dst=0 src0=0 src1=0 src2=0
	v_dot4_i32_iu8 v9, v19, v135, v9 neg_lo:[1,1,0]
	s_set_vgpr_msb 0x44                     ;  msbs: dst=1 src0=0 src1=1 src2=0
	s_delay_alu instid0(VALU_DEP_2) | instskip(SKIP_3) | instid1(VALU_DEP_1)
	v_dot4_i32_iu8 v7 /*v263*/, v246, v7 /*v263*/, v4 neg_lo:[1,1,0]
	s_set_vgpr_msb 0                        ;  msbs: dst=0 src0=0 src1=0 src2=0
	v_perm_b32 v4, v15, v15, 0x3020001
	s_set_vgpr_msb 0x50                     ;  msbs: dst=1 src0=0 src1=0 src2=1
	v_dot4_i32_iu8 v9 /*v265*/, v4, v246, v11 /*v267*/ neg_lo:[1,1,0]
	s_set_vgpr_msb 0                        ;  msbs: dst=0 src0=0 src1=0 src2=0
	v_dot4_i32_iu8 v4, v23, v133, v8 neg_lo:[1,1,0]
	s_set_vgpr_msb 16                       ;  msbs: dst=0 src0=0 src1=0 src2=1
	v_dot4_i32_iu8 v8, v3, v133, v13 /*v269*/ neg_lo:[1,1,0]
	s_delay_alu instid0(VALU_DEP_2) | instskip(SKIP_1) | instid1(VALU_DEP_2)
	v_mul_lo_u32 v4, v4, v244
	s_set_vgpr_msb 0                        ;  msbs: dst=0 src0=0 src1=0 src2=0
	v_mad_u32 v5, v8, v244, v5
	s_set_vgpr_msb 1                        ;  msbs: dst=0 src0=1 src1=0 src2=0
	v_mul_lo_u32 v8, v8 /*v264*/, v242
	s_set_vgpr_msb 64                       ;  msbs: dst=1 src0=0 src1=0 src2=0
	v_perm_b32 v8 /*v264*/, v18, v155, 0x7060403
	s_set_vgpr_msb 0                        ;  msbs: dst=0 src0=0 src1=0 src2=0
	s_delay_alu instid0(VALU_DEP_4) | instskip(SKIP_2) | instid1(VALU_DEP_4)
	v_mad_u32 v4, v9, v245, v4
	s_set_vgpr_msb 1                        ;  msbs: dst=0 src0=1 src1=0 src2=0
	v_mul_lo_u32 v9, v7 /*v263*/, v243
	v_mad_u32 v8, v9 /*v265*/, v243, v8
	s_set_vgpr_msb 0                        ;  msbs: dst=0 src0=0 src1=0 src2=0
	v_cvt_f32_i32_e32 v5, v5
	s_set_vgpr_msb 0x50                     ;  msbs: dst=1 src0=0 src1=0 src2=1
	v_dot4_i32_iu8 v9 /*v265*/, v15, v157, v15 /*v271*/ neg_lo:[1,1,0]
	s_set_vgpr_msb 0                        ;  msbs: dst=0 src0=0 src1=0 src2=0
	v_cvt_f32_i32_e32 v4, v4
	s_set_vgpr_msb 0x41                     ;  msbs: dst=1 src0=1 src1=0 src2=0
	v_mad_u32 v7 /*v263*/, v10 /*v266*/, v242, v9
	s_set_vgpr_msb 0                        ;  msbs: dst=0 src0=0 src1=0 src2=0
	v_cvt_f32_i32_e32 v9, v8
	v_pk_fma_f32 v[4:5], v[12:13], v[4:5], 0 op_sel_hi:[1,1,0]
	s_set_vgpr_msb 1                        ;  msbs: dst=0 src0=1 src1=0 src2=0
	s_delay_alu instid0(VALU_DEP_3) | instskip(SKIP_3) | instid1(VALU_DEP_2)
	v_cvt_f32_i32_e32 v8, v7 /*v263*/
	s_set_vgpr_msb 64                       ;  msbs: dst=1 src0=0 src1=0 src2=0
	v_perm_b32 v7 /*v263*/, v22, v149, 0x7060403
	s_set_vgpr_msb 0                        ;  msbs: dst=0 src0=0 src1=0 src2=0
	v_pk_fma_f32 v[4:5], v[0:1], v[8:9], v[4:5]
	v_perm_b32 v8, v29, v153, 0x6040503
	v_perm_b32 v9, v25, v156, 0x6040503
	s_delay_alu instid0(VALU_DEP_3) | instskip(SKIP_2) | instid1(VALU_DEP_1)
	v_pk_fma_f32 v[86:87], v[118:119], v[4:5], v[86:87]
	v_perm_b32 v4, v28, v159, 0x6040501
	v_perm_b32 v5, v153, v30, 0x6040501
	v_dot4_i32_iu8 v4, v5, v4, 0 neg_lo:[1,1,0]
	v_perm_b32 v5, v158, v28, 0x6040503
	s_delay_alu instid0(VALU_DEP_1) | instskip(SKIP_3) | instid1(VALU_DEP_3)
	v_dot4_i32_iu8 v4, v8, v5, v4 neg_lo:[1,1,0]
	v_perm_b32 v5, v24, v161, 0x6040501
	v_perm_b32 v8, v156, v26, 0x6040501
	s_set_vgpr_msb 4                        ;  msbs: dst=0 src0=0 src1=1 src2=0
	v_dot4_i32_iu8 v4, v227, v20 /*v276*/, v4 neg_lo:[1,1,0]
	s_set_vgpr_msb 0                        ;  msbs: dst=0 src0=0 src1=0 src2=0
	s_delay_alu instid0(VALU_DEP_2) | instskip(SKIP_1) | instid1(VALU_DEP_1)
	v_dot4_i32_iu8 v5, v8, v5, 0 neg_lo:[1,1,0]
	v_perm_b32 v8, v160, v24, 0x6040503
	v_dot4_i32_iu8 v5, v9, v8, v5 neg_lo:[1,1,0]
	v_perm_b32 v8, v20, v144, 0x6050401
	v_perm_b32 v9, v148, v22, 0x6050401
	s_set_vgpr_msb 4                        ;  msbs: dst=0 src0=0 src1=1 src2=0
	s_delay_alu instid0(VALU_DEP_3) | instskip(SKIP_1) | instid1(VALU_DEP_2)
	v_dot4_i32_iu8 v5, v240, v21 /*v277*/, v5 neg_lo:[1,1,0]
	s_set_vgpr_msb 0                        ;  msbs: dst=0 src0=0 src1=0 src2=0
	v_dot4_i32_iu8 v8, v9, v8, 0 neg_lo:[1,1,0]
	v_perm_b32 v9, v144, v21, 0x7060403
	s_set_vgpr_msb 64                       ;  msbs: dst=1 src0=0 src1=0 src2=0
	v_dot4_i32_iu8 v10 /*v266*/, v27, v152, v5 neg_lo:[1,1,0]
	s_set_vgpr_msb 16                       ;  msbs: dst=0 src0=0 src1=0 src2=1
	v_dot4_i32_iu8 v5, v7, v147, v18 /*v274*/ neg_lo:[1,1,0]
	s_set_vgpr_msb 4                        ;  msbs: dst=0 src0=0 src1=1 src2=0
	v_dot4_i32_iu8 v8, v241, v6 /*v262*/, v8 neg_lo:[1,1,0]
	s_set_vgpr_msb 0                        ;  msbs: dst=0 src0=0 src1=0 src2=0
	s_delay_alu instid0(VALU_DEP_2) | instskip(SKIP_1) | instid1(VALU_DEP_2)
	v_mul_lo_u32 v5, v5, v238
	s_set_vgpr_msb 1                        ;  msbs: dst=0 src0=1 src1=0 src2=0
	v_dot4_i32_iu8 v8, v7 /*v263*/, v9, v8 neg_lo:[1,1,0]
	s_set_vgpr_msb 0                        ;  msbs: dst=0 src0=0 src1=0 src2=0
	v_perm_b32 v9, v16, v146, 0x6050401
	s_set_vgpr_msb 64                       ;  msbs: dst=1 src0=0 src1=0 src2=0
	v_perm_b32 v7 /*v263*/, v154, v18, 0x6050401
	s_set_vgpr_msb 1                        ;  msbs: dst=0 src0=1 src1=0 src2=0
	s_delay_alu instid0(VALU_DEP_1) | instskip(SKIP_3) | instid1(VALU_DEP_2)
	v_dot4_i32_iu8 v9, v7 /*v263*/, v9, 0 neg_lo:[1,1,0]
	s_set_vgpr_msb 64                       ;  msbs: dst=1 src0=0 src1=0 src2=0
	v_perm_b32 v7 /*v263*/, v146, v17, 0x7060403
	s_set_vgpr_msb 4                        ;  msbs: dst=0 src0=0 src1=1 src2=0
	v_dot4_i32_iu8 v9, v253, v23 /*v279*/, v9 neg_lo:[1,1,0]
	s_set_vgpr_msb 5                        ;  msbs: dst=0 src0=1 src1=1 src2=0
	s_delay_alu instid0(VALU_DEP_1)
	v_dot4_i32_iu8 v9, v8 /*v264*/, v7 /*v263*/, v9 neg_lo:[1,1,0]
	s_set_vgpr_msb 64                       ;  msbs: dst=1 src0=0 src1=0 src2=0
	v_dot4_i32_iu8 v7 /*v263*/, v157, v31, v4 neg_lo:[1,1,0]
	s_set_vgpr_msb 0                        ;  msbs: dst=0 src0=0 src1=0 src2=0
	v_dot4_i32_iu8 v4, v23, v145, v8 neg_lo:[1,1,0]
	s_set_vgpr_msb 0x50                     ;  msbs: dst=1 src0=0 src1=0 src2=1
	v_dot4_i32_iu8 v8 /*v264*/, v152, v11, v16 /*v272*/ neg_lo:[1,1,0]
	s_set_vgpr_msb 16                       ;  msbs: dst=0 src0=0 src1=0 src2=1
	v_dot4_i32_iu8 v8, v3, v145, v17 /*v273*/ neg_lo:[1,1,0]
	s_set_vgpr_msb 0                        ;  msbs: dst=0 src0=0 src1=0 src2=0
	v_dot4_i32_iu8 v9, v19, v147, v9 neg_lo:[1,1,0]
	v_dot4_i32_iu8 v11, v15, v129, v14 neg_lo:[1,1,0]
	v_mul_lo_u32 v4, v4, v239
	v_mad_u32 v5, v8, v239, v5
	s_set_vgpr_msb 1                        ;  msbs: dst=0 src0=1 src1=0 src2=0
	v_mul_lo_u32 v8, v8 /*v264*/, v236
	s_set_vgpr_msb 0                        ;  msbs: dst=0 src0=0 src1=0 src2=0
	s_delay_alu instid0(VALU_DEP_3) | instskip(SKIP_3) | instid1(VALU_DEP_4)
	v_mad_u32 v4, v9, v238, v4
	s_set_vgpr_msb 1                        ;  msbs: dst=0 src0=1 src1=0 src2=0
	v_mul_lo_u32 v9, v7 /*v263*/, v235
	s_set_vgpr_msb 0                        ;  msbs: dst=0 src0=0 src1=0 src2=0
	v_cvt_f32_i32_e32 v5, v5
	s_set_vgpr_msb 1                        ;  msbs: dst=0 src0=1 src1=0 src2=0
	s_delay_alu instid0(VALU_DEP_4) | instskip(SKIP_1) | instid1(VALU_DEP_4)
	v_mad_u32 v8, v9 /*v265*/, v235, v8
	s_set_vgpr_msb 0                        ;  msbs: dst=0 src0=0 src1=0 src2=0
	v_cvt_f32_i32_e32 v4, v4
	s_set_vgpr_msb 0x41                     ;  msbs: dst=1 src0=1 src1=0 src2=0
	s_delay_alu instid0(VALU_DEP_4) | instskip(SKIP_1) | instid1(VALU_DEP_3)
	v_mad_u32 v7 /*v263*/, v10 /*v266*/, v236, v9
	s_set_vgpr_msb 0                        ;  msbs: dst=0 src0=0 src1=0 src2=0
	v_cvt_f32_i32_e32 v9, v8
	v_pk_fma_f32 v[4:5], v[12:13], v[4:5], 0 op_sel_hi:[1,1,0]
	s_set_vgpr_msb 1                        ;  msbs: dst=0 src0=1 src1=0 src2=0
	s_delay_alu instid0(VALU_DEP_3) | instskip(SKIP_1) | instid1(VALU_DEP_1)
	v_cvt_f32_i32_e32 v8, v7 /*v263*/
	s_set_vgpr_msb 0                        ;  msbs: dst=0 src0=0 src1=0 src2=0
	v_pk_fma_f32 v[4:5], v[0:1], v[8:9], v[4:5]
	v_perm_b32 v8, v29, v127, 0x6040503
	v_perm_b32 v9, v25, v128, 0x6040503
	s_delay_alu instid0(VALU_DEP_3) | instskip(SKIP_2) | instid1(VALU_DEP_1)
	v_pk_fma_f32 v[96:97], v[120:121], v[4:5], v[96:97]
	v_perm_b32 v4, v28, v163, 0x6040501
	v_perm_b32 v5, v127, v30, 0x6040501
	v_dot4_i32_iu8 v4, v5, v4, 0 neg_lo:[1,1,0]
	v_perm_b32 v5, v162, v28, 0x6040503
	s_delay_alu instid0(VALU_DEP_1) | instskip(SKIP_3) | instid1(VALU_DEP_3)
	v_dot4_i32_iu8 v4, v8, v5, v4 neg_lo:[1,1,0]
	v_perm_b32 v5, v24, v165, 0x6040501
	v_perm_b32 v8, v128, v26, 0x6040501
	s_set_vgpr_msb 4                        ;  msbs: dst=0 src0=0 src1=1 src2=0
	v_dot4_i32_iu8 v4, v228, v20 /*v276*/, v4 neg_lo:[1,1,0]
	s_set_vgpr_msb 0                        ;  msbs: dst=0 src0=0 src1=0 src2=0
	s_delay_alu instid0(VALU_DEP_2) | instskip(SKIP_1) | instid1(VALU_DEP_3)
	v_dot4_i32_iu8 v5, v8, v5, 0 neg_lo:[1,1,0]
	v_perm_b32 v8, v164, v24, 0x6040503
	v_dot4_i32_iu8 v4, v129, v31, v4 neg_lo:[1,1,0]
	s_delay_alu instid0(VALU_DEP_2)
	v_dot4_i32_iu8 v5, v9, v8, v5 neg_lo:[1,1,0]
	v_perm_b32 v8, v20, v34, 0x6050401
	v_perm_b32 v9, v150, v22, 0x6050401
	v_perm_b32 v20, v22, v151, 0x7060403
	v_mul_lo_u32 v4, v4, v32
	s_set_vgpr_msb 4                        ;  msbs: dst=0 src0=0 src1=1 src2=0
	v_dot4_i32_iu8 v5, v230, v21 /*v277*/, v5 neg_lo:[1,1,0]
	s_set_vgpr_msb 0                        ;  msbs: dst=0 src0=0 src1=0 src2=0
	v_dot4_i32_iu8 v8, v9, v8, 0 neg_lo:[1,1,0]
	v_perm_b32 v9, v34, v21, 0x7060403
	s_delay_alu instid0(VALU_DEP_3) | instskip(SKIP_1) | instid1(VALU_DEP_3)
	v_dot4_i32_iu8 v5, v27, v126, v5 neg_lo:[1,1,0]
	s_set_vgpr_msb 4                        ;  msbs: dst=0 src0=0 src1=1 src2=0
	v_dot4_i32_iu8 v8, v229, v6 /*v262*/, v8 neg_lo:[1,1,0]
	s_set_vgpr_msb 0                        ;  msbs: dst=0 src0=0 src1=0 src2=0
	s_delay_alu instid0(VALU_DEP_2) | instskip(SKIP_1) | instid1(VALU_DEP_3)
	v_mad_u32 v4, v5, v137, v4
	v_mad_u32 v5, v11, v32, v6
	v_dot4_i32_iu8 v8, v20, v9, v8 neg_lo:[1,1,0]
	v_perm_b32 v9, v16, v124, 0x6050401
	v_perm_b32 v16, v130, v18, 0x6050401
	s_delay_alu instid0(VALU_DEP_3) | instskip(NEXT) | instid1(VALU_DEP_2)
	v_dot4_i32_iu8 v8, v23, v35, v8 neg_lo:[1,1,0]
	v_dot4_i32_iu8 v9, v16, v9, 0 neg_lo:[1,1,0]
	v_perm_b32 v16, v124, v17, 0x7060403
	v_perm_b32 v17, v18, v131, 0x7060403
	s_delay_alu instid0(VALU_DEP_4)
	v_mul_lo_u32 v7, v8, v171
	v_cvt_f32_i32_e32 v5, v5
	s_set_vgpr_msb 4                        ;  msbs: dst=0 src0=0 src1=1 src2=0
	v_dot4_i32_iu8 v9, v252, v23 /*v279*/, v9 neg_lo:[1,1,0]
	v_cvt_f32_i32_e32 v4, v4
	s_set_vgpr_msb 0                        ;  msbs: dst=0 src0=0 src1=0 src2=0
	s_delay_alu instid0(VALU_DEP_2) | instskip(NEXT) | instid1(VALU_DEP_1)
	v_dot4_i32_iu8 v9, v17, v16, v9 neg_lo:[1,1,0]
	v_dot4_i32_iu8 v3, v19, v125, v9 neg_lo:[1,1,0]
	s_delay_alu instid0(VALU_DEP_1) | instskip(SKIP_1) | instid1(VALU_DEP_2)
	v_mad_u32 v7, v3, v139, v7
	v_cvt_f32_i32_e32 v3, v2
	v_cvt_f32_i32_e32 v2, v7
	s_delay_alu instid0(VALU_DEP_1) | instskip(NEXT) | instid1(VALU_DEP_1)
	v_pk_fma_f32 v[2:3], v[12:13], v[2:3], 0 op_sel_hi:[1,1,0]
	v_pk_fma_f32 v[0:1], v[0:1], v[4:5], v[2:3]
	s_delay_alu instid0(VALU_DEP_1) | instskip(SKIP_1) | instid1(VALU_DEP_1)
	v_pk_fma_f32 v[104:105], v[122:123], v[0:1], v[104:105]
	v_or_b32_e32 v0, s12, v199
	v_lshlrev_b32_e32 v12, 2, v0
	s_set_vgpr_msb 64                       ;  msbs: dst=1 src0=0 src1=0 src2=0
	v_lshrrev_b32_e32 v15 /*v271*/, 1, v0
	s_set_vgpr_msb 0                        ;  msbs: dst=0 src0=0 src1=0 src2=0
	ds_load_b128 v[4:7], v12 offset:33280
	ds_load_b128 v[0:3], v12 offset:33296
	ds_load_b128 v[8:11], v12 offset:33312
	ds_load_b128 v[12:15], v12 offset:33328
	s_wait_dscnt 0x3
	v_perm_b32 v22, v168, v5, 0x7060403
	s_wait_dscnt 0x2
	v_perm_b32 v21, v1, v176, 0x6040503
	;; [unrolled: 2-line block ×4, first 2 shown]
	v_perm_b32 v17, v13, v12, 0x6040503
	v_perm_b32 v18, v14, v13, 0x7060403
	;; [unrolled: 1-line block ×4, first 2 shown]
	s_set_vgpr_msb 4                        ;  msbs: dst=0 src0=0 src1=1 src2=0
	v_dot4_i32_iu8 v16, v16, v2 /*v258*/, 0 neg_lo:[1,1,0]
	s_delay_alu instid0(VALU_DEP_1) | instskip(SKIP_1) | instid1(VALU_DEP_1)
	v_dot4_i32_iu8 v16, v17, v3 /*v259*/, v16 neg_lo:[1,1,0]
	s_set_vgpr_msb 64                       ;  msbs: dst=1 src0=0 src1=0 src2=0
	v_dot4_i32_iu8 v16 /*v272*/, v18, v254, v16 neg_lo:[1,1,0]
	s_set_vgpr_msb 0                        ;  msbs: dst=0 src0=0 src1=0 src2=0
	v_perm_b32 v16, v8, v179, 0x6040501
	s_delay_alu instid0(VALU_DEP_1) | instskip(SKIP_1) | instid1(VALU_DEP_1)
	v_dot4_i32_iu8 v16, v19, v16, 0 neg_lo:[1,1,0]
	v_perm_b32 v19, v178, v8, 0x6040503
	v_dot4_i32_iu8 v16, v20, v19, v16 neg_lo:[1,1,0]
	v_perm_b32 v19, v10, v9, 0x7060403
	v_perm_b32 v20, v176, v2, 0x6050401
	s_set_vgpr_msb 0x41                     ;  msbs: dst=1 src0=1 src1=0 src2=0
	s_delay_alu instid0(VALU_DEP_2) | instskip(SKIP_2) | instid1(VALU_DEP_1)
	v_dot4_i32_iu8 v17 /*v273*/, v4 /*v260*/, v19, v16 neg_lo:[1,1,0]
	s_set_vgpr_msb 0                        ;  msbs: dst=0 src0=0 src1=0 src2=0
	v_perm_b32 v16, v0, v166, 0x6050401
	v_dot4_i32_iu8 v16, v20, v16, 0 neg_lo:[1,1,0]
	v_perm_b32 v20, v177, v0, 0x6040503
	s_delay_alu instid0(VALU_DEP_1) | instskip(SKIP_3) | instid1(VALU_DEP_2)
	v_dot4_i32_iu8 v16, v21, v20, v16 neg_lo:[1,1,0]
	v_perm_b32 v20, v2, v1, 0x7060403
	v_perm_b32 v21, v174, v6, 0x6050401
	s_set_vgpr_msb 64                       ;  msbs: dst=1 src0=0 src1=0 src2=0
	v_dot4_i32_iu8 v18 /*v274*/, v20, v255, v16 neg_lo:[1,1,0]
	s_set_vgpr_msb 0                        ;  msbs: dst=0 src0=0 src1=0 src2=0
	v_perm_b32 v16, v4, v168, 0x6050401
	s_delay_alu instid0(VALU_DEP_1) | instskip(SKIP_2) | instid1(VALU_DEP_1)
	v_dot4_i32_iu8 v16, v21, v16, 0 neg_lo:[1,1,0]
	v_perm_b32 v21, v5, v4, 0x6040503
	s_set_vgpr_msb 1                        ;  msbs: dst=0 src0=1 src1=0 src2=0
	v_dot4_i32_iu8 v16, v5 /*v261*/, v21, v16 neg_lo:[1,1,0]
	s_set_vgpr_msb 64                       ;  msbs: dst=1 src0=0 src1=0 src2=0
	s_delay_alu instid0(VALU_DEP_1) | instskip(SKIP_3) | instid1(VALU_DEP_2)
	v_dot4_i32_iu8 v19 /*v275*/, v23, v22, v16 neg_lo:[1,1,0]
	s_set_vgpr_msb 0                        ;  msbs: dst=0 src0=0 src1=0 src2=0
	v_perm_b32 v22, v14, v14, 0xc0c0c01
	v_perm_b32 v16, v12, v33, 0x6040503
	v_or_b32_e32 v22, v249, v22
	s_delay_alu instid0(VALU_DEP_1) | instskip(SKIP_1) | instid1(VALU_DEP_2)
	v_dot4_i32_iu8 v16, v22, v16, 0 neg_lo:[1,1,0]
	v_perm_b32 v22, v10, v143, 0x7060403
	v_dot4_i32_iu8 v16, v17, v250, v16 neg_lo:[1,1,0]
	v_perm_b32 v17, v142, v10, 0x6040501
	s_set_vgpr_msb 64                       ;  msbs: dst=1 src0=0 src1=0 src2=0
	s_delay_alu instid0(VALU_DEP_2) | instskip(SKIP_2) | instid1(VALU_DEP_1)
	v_dot4_i32_iu8 v10 /*v266*/, v251, v18, v16 neg_lo:[1,1,0]
	s_set_vgpr_msb 0                        ;  msbs: dst=0 src0=0 src1=0 src2=0
	v_perm_b32 v16, v8, v140, 0x6040501
	v_dot4_i32_iu8 v16, v17, v16, 0 neg_lo:[1,1,0]
	v_perm_b32 v17, v9, v8, 0x6040503
	s_delay_alu instid0(VALU_DEP_1) | instskip(SKIP_2) | instid1(VALU_DEP_1)
	v_dot4_i32_iu8 v16, v231, v17, v16 neg_lo:[1,1,0]
	v_perm_b32 v17, v140, v9, 0x7060403
	s_set_vgpr_msb 64                       ;  msbs: dst=1 src0=0 src1=0 src2=0
	v_dot4_i32_iu8 v12 /*v268*/, v22, v17, v16 neg_lo:[1,1,0]
	s_set_vgpr_msb 0                        ;  msbs: dst=0 src0=0 src1=0 src2=0
	v_perm_b32 v16, v0, v132, 0x6050401
	v_perm_b32 v17, v138, v2, 0x6050401
	;; [unrolled: 1-line block ×4, first 2 shown]
	s_delay_alu instid0(VALU_DEP_3) | instskip(SKIP_1) | instid1(VALU_DEP_1)
	v_dot4_i32_iu8 v16, v17, v16, 0 neg_lo:[1,1,0]
	v_perm_b32 v17, v1, v0, 0x6040503
	v_dot4_i32_iu8 v16, v232, v17, v16 neg_lo:[1,1,0]
	s_set_vgpr_msb 64                       ;  msbs: dst=1 src0=0 src1=0 src2=0
	s_delay_alu instid0(VALU_DEP_1) | instskip(SKIP_3) | instid1(VALU_DEP_1)
	v_dot4_i32_iu8 v11 /*v267*/, v233, v20, v16 neg_lo:[1,1,0]
	s_set_vgpr_msb 0                        ;  msbs: dst=0 src0=0 src1=0 src2=0
	v_perm_b32 v16, v4, v134, 0x6050401
	v_perm_b32 v20, v136, v6, 0x6050401
	v_dot4_i32_iu8 v16, v20, v16, 0 neg_lo:[1,1,0]
	v_perm_b32 v20, v6, v5, 0x7060403
	s_delay_alu instid0(VALU_DEP_2) | instskip(SKIP_1) | instid1(VALU_DEP_1)
	v_dot4_i32_iu8 v16, v234, v21, v16 neg_lo:[1,1,0]
	s_set_vgpr_msb 64                       ;  msbs: dst=1 src0=0 src1=0 src2=0
	v_dot4_i32_iu8 v13 /*v269*/, v237, v20, v16 neg_lo:[1,1,0]
	s_set_vgpr_msb 0                        ;  msbs: dst=0 src0=0 src1=0 src2=0
	v_perm_b32 v16, v12, v159, 0x6040501
	v_perm_b32 v20, v153, v14, 0x6040501
	;; [unrolled: 1-line block ×3, first 2 shown]
	s_delay_alu instid0(VALU_DEP_2) | instskip(SKIP_1) | instid1(VALU_DEP_1)
	v_dot4_i32_iu8 v16, v20, v16, 0 neg_lo:[1,1,0]
	v_perm_b32 v20, v158, v12, 0x6040503
	v_dot4_i32_iu8 v16, v22, v20, v16 neg_lo:[1,1,0]
	v_perm_b32 v20, v156, v10, 0x6040501
	v_perm_b32 v22, v9, v156, 0x6040503
	;; [unrolled: 1-line block ×4, first 2 shown]
	s_set_vgpr_msb 64                       ;  msbs: dst=1 src0=0 src1=0 src2=0
	v_dot4_i32_iu8 v6 /*v262*/, v227, v18, v16 neg_lo:[1,1,0]
	s_set_vgpr_msb 0                        ;  msbs: dst=0 src0=0 src1=0 src2=0
	v_perm_b32 v16, v8, v161, 0x6040501
	s_delay_alu instid0(VALU_DEP_1) | instskip(SKIP_1) | instid1(VALU_DEP_1)
	v_dot4_i32_iu8 v16, v20, v16, 0 neg_lo:[1,1,0]
	v_perm_b32 v20, v160, v8, 0x6040503
	v_dot4_i32_iu8 v16, v22, v20, v16 neg_lo:[1,1,0]
	v_perm_b32 v20, v148, v2, 0x6050401
	v_perm_b32 v22, v2, v149, 0x7060403
	s_set_vgpr_msb 64                       ;  msbs: dst=1 src0=0 src1=0 src2=0
	s_delay_alu instid0(VALU_DEP_3) | instskip(SKIP_3) | instid1(VALU_DEP_2)
	v_dot4_i32_iu8 v7 /*v263*/, v240, v19, v16 neg_lo:[1,1,0]
	s_set_vgpr_msb 0                        ;  msbs: dst=0 src0=0 src1=0 src2=0
	v_perm_b32 v16, v0, v144, 0x6050401
	v_perm_b32 v0, v0, v34, 0x6050401
	v_dot4_i32_iu8 v16, v20, v16, 0 neg_lo:[1,1,0]
	v_perm_b32 v20, v144, v1, 0x7060403
	v_perm_b32 v1, v34, v1, 0x7060403
	s_delay_alu instid0(VALU_DEP_3) | instskip(SKIP_1) | instid1(VALU_DEP_1)
	v_dot4_i32_iu8 v16, v241, v17, v16 neg_lo:[1,1,0]
	s_set_vgpr_msb 64                       ;  msbs: dst=1 src0=0 src1=0 src2=0
	v_dot4_i32_iu8 v8 /*v264*/, v22, v20, v16 neg_lo:[1,1,0]
	s_set_vgpr_msb 0                        ;  msbs: dst=0 src0=0 src1=0 src2=0
	v_perm_b32 v16, v4, v146, 0x6050401
	v_perm_b32 v20, v154, v6, 0x6050401
	;; [unrolled: 1-line block ×3, first 2 shown]
	s_delay_alu instid0(VALU_DEP_2) | instskip(SKIP_1) | instid1(VALU_DEP_2)
	v_dot4_i32_iu8 v16, v20, v16, 0 neg_lo:[1,1,0]
	v_perm_b32 v20, v146, v5, 0x7060403
	v_dot4_i32_iu8 v16, v253, v21, v16 neg_lo:[1,1,0]
	s_set_vgpr_msb 64                       ;  msbs: dst=1 src0=0 src1=0 src2=0
	s_delay_alu instid0(VALU_DEP_1) | instskip(SKIP_3) | instid1(VALU_DEP_2)
	v_dot4_i32_iu8 v9 /*v265*/, v22, v20, v16 neg_lo:[1,1,0]
	s_set_vgpr_msb 0                        ;  msbs: dst=0 src0=0 src1=0 src2=0
	v_perm_b32 v16, v12, v163, 0x6040501
	v_perm_b32 v12, v162, v12, 0x6040503
	v_dot4_i32_iu8 v14, v14, v16, 0 neg_lo:[1,1,0]
	s_delay_alu instid0(VALU_DEP_1) | instskip(NEXT) | instid1(VALU_DEP_1)
	v_dot4_i32_iu8 v12, v13, v12, v14 neg_lo:[1,1,0]
	v_dot4_i32_iu8 v14, v228, v18, v12 neg_lo:[1,1,0]
	v_perm_b32 v12, v8, v165, 0x6040501
	v_perm_b32 v8, v164, v8, 0x6040503
	s_delay_alu instid0(VALU_DEP_2) | instskip(NEXT) | instid1(VALU_DEP_1)
	v_dot4_i32_iu8 v10, v10, v12, 0 neg_lo:[1,1,0]
	v_dot4_i32_iu8 v8, v9, v8, v10 neg_lo:[1,1,0]
	s_delay_alu instid0(VALU_DEP_1) | instskip(SKIP_2) | instid1(VALU_DEP_3)
	v_dot4_i32_iu8 v10, v230, v19, v8 neg_lo:[1,1,0]
	v_perm_b32 v8, v150, v2, 0x6050401
	v_perm_b32 v2, v2, v151, 0x7060403
	v_dot4_i32_iu8 v10, v126, v11, v10 neg_lo:[1,1,0]
	s_delay_alu instid0(VALU_DEP_3) | instskip(NEXT) | instid1(VALU_DEP_1)
	v_dot4_i32_iu8 v0, v8, v0, 0 neg_lo:[1,1,0]
	v_dot4_i32_iu8 v0, v229, v17, v0 neg_lo:[1,1,0]
	s_delay_alu instid0(VALU_DEP_1) | instskip(SKIP_3) | instid1(VALU_DEP_4)
	v_dot4_i32_iu8 v2, v2, v1, v0 neg_lo:[1,1,0]
	v_perm_b32 v0, v4, v124, 0x6050401
	v_perm_b32 v1, v130, v6, 0x6050401
	;; [unrolled: 1-line block ×3, first 2 shown]
	v_dot4_i32_iu8 v2, v3, v35, v2 neg_lo:[1,1,0]
	s_delay_alu instid0(VALU_DEP_3) | instskip(SKIP_1) | instid1(VALU_DEP_2)
	v_dot4_i32_iu8 v0, v1, v0, 0 neg_lo:[1,1,0]
	v_perm_b32 v1, v124, v5, 0x7060403
	v_dot4_i32_iu8 v0, v252, v21, v0 neg_lo:[1,1,0]
	s_delay_alu instid0(VALU_DEP_1)
	v_dot4_i32_iu8 v6, v4, v1, v0 neg_lo:[1,1,0]
	v_or_b32_e32 v0, s12, v200
	s_add_co_i32 s12, s5, 8
	s_cmp_lt_u32 s5, 24
	s_mov_b32 s5, s12
	v_dot4_i32_iu8 v6, v7, v125, v6 neg_lo:[1,1,0]
	v_lshlrev_b32_e32 v1, 2, v0
	ds_load_b128 v[16:19], v1 offset:33280
	ds_load_b128 v[20:23], v1 offset:33296
	;; [unrolled: 1-line block ×4, first 2 shown]
	v_lshrrev_b32_e32 v4, 1, v0
	v_mul_lo_u32 v6, v6, v139
	s_delay_alu instid0(VALU_DEP_1)
	v_mad_u32 v2, v2, v171, v6
	s_wait_dscnt 0x1
	v_perm_b32 v1, v172, v26, 0x6040501
	s_wait_dscnt 0x0
	v_perm_b32 v0, v28, v30, 0x6040501
	s_set_vgpr_msb 64                       ;  msbs: dst=1 src0=0 src1=0 src2=0
	v_perm_b32 v14 /*v270*/, v29, v28, 0x6040503
	s_set_vgpr_msb 0                        ;  msbs: dst=0 src0=0 src1=0 src2=0
	v_perm_b32 v8, v25, v172, 0x6040503
	v_perm_b32 v172, v26, v25, 0x7060403
	s_set_vgpr_msb 4                        ;  msbs: dst=0 src0=0 src1=1 src2=0
	v_dot4_i32_iu8 v0, v0, v2 /*v258*/, 0 neg_lo:[1,1,0]
	s_set_vgpr_msb 64                       ;  msbs: dst=1 src0=0 src1=0 src2=0
	v_perm_b32 v2 /*v258*/, v30, v29, 0x7060403
	s_set_vgpr_msb 5                        ;  msbs: dst=0 src0=1 src1=1 src2=0
	s_delay_alu instid0(VALU_DEP_2) | instskip(SKIP_1) | instid1(VALU_DEP_1)
	v_dot4_i32_iu8 v0, v14 /*v270*/, v3 /*v259*/, v0 neg_lo:[1,1,0]
	s_set_vgpr_msb 1                        ;  msbs: dst=0 src0=1 src1=0 src2=0
	v_dot4_i32_iu8 v5, v2 /*v258*/, v254, v0 neg_lo:[1,1,0]
	s_set_vgpr_msb 0                        ;  msbs: dst=0 src0=0 src1=0 src2=0
	v_perm_b32 v0, v24, v179, 0x6040501
	s_delay_alu instid0(VALU_DEP_1) | instskip(SKIP_1) | instid1(VALU_DEP_1)
	v_dot4_i32_iu8 v0, v1, v0, 0 neg_lo:[1,1,0]
	v_perm_b32 v1, v178, v24, 0x6040503
	v_dot4_i32_iu8 v0, v8, v1, v0 neg_lo:[1,1,0]
	v_perm_b32 v1, v176, v22, 0x6050401
	v_perm_b32 v8, v21, v176, 0x6040503
	v_perm_b32 v176, v22, v21, 0x7060403
	s_set_vgpr_msb 1                        ;  msbs: dst=0 src0=1 src1=0 src2=0
	v_dot4_i32_iu8 v12, v4 /*v260*/, v172, v0 neg_lo:[1,1,0]
	s_set_vgpr_msb 0                        ;  msbs: dst=0 src0=0 src1=0 src2=0
	v_perm_b32 v0, v20, v166, 0x6050401
	v_perm_b32 v166, v17, v16, 0x6040503
	s_delay_alu instid0(VALU_DEP_2) | instskip(SKIP_1) | instid1(VALU_DEP_1)
	v_dot4_i32_iu8 v0, v1, v0, 0 neg_lo:[1,1,0]
	v_perm_b32 v1, v177, v20, 0x6040503
	v_dot4_i32_iu8 v0, v8, v1, v0 neg_lo:[1,1,0]
	v_perm_b32 v1, v174, v18, 0x6050401
	v_perm_b32 v8, v18, v175, 0x7060403
	s_set_vgpr_msb 16                       ;  msbs: dst=0 src0=0 src1=0 src2=1
	v_dot4_i32_iu8 v174, v170, v11, v17 /*v273*/ neg_lo:[1,1,0]
	s_set_vgpr_msb 0                        ;  msbs: dst=0 src0=0 src1=0 src2=0
	v_dot4_i32_iu8 v170, v27, v170, v12 neg_lo:[1,1,0]
	v_dot4_i32_iu8 v13, v176, v255, v0 neg_lo:[1,1,0]
	v_perm_b32 v0, v16, v168, 0x6050401
	s_set_vgpr_msb 16                       ;  msbs: dst=0 src0=0 src1=0 src2=1
	v_dot4_i32_iu8 v12, v3, v167, v18 /*v274*/ neg_lo:[1,1,0]
	s_delay_alu instid0(VALU_DEP_2)
	v_dot4_i32_iu8 v0, v1, v0, 0 neg_lo:[1,1,0]
	v_perm_b32 v1, v168, v17, 0x7060403
	s_set_vgpr_msb 0                        ;  msbs: dst=0 src0=0 src1=0 src2=0
	v_dot4_i32_iu8 v168, v173, v31, v5 neg_lo:[1,1,0]
	s_set_vgpr_msb 16                       ;  msbs: dst=0 src0=0 src1=0 src2=1
	v_dot4_i32_iu8 v5, v7, v169, v19 /*v275*/ neg_lo:[1,1,0]
	v_dot4_i32_iu8 v173, v15, v173, v16 /*v272*/ neg_lo:[1,1,0]
	s_set_vgpr_msb 1                        ;  msbs: dst=0 src0=1 src1=0 src2=0
	v_dot4_i32_iu8 v0, v5 /*v261*/, v166, v0 neg_lo:[1,1,0]
	s_set_vgpr_msb 4                        ;  msbs: dst=0 src0=0 src1=1 src2=0
	v_mul_lo_u32 v5, v5, v0 /*v256*/
	s_set_vgpr_msb 0                        ;  msbs: dst=0 src0=0 src1=0 src2=0
	s_delay_alu instid0(VALU_DEP_2)
	v_dot4_i32_iu8 v175, v8, v1, v0 neg_lo:[1,1,0]
	s_set_vgpr_msb 1                        ;  msbs: dst=0 src0=1 src1=0 src2=0
	ds_load_b64 v[0:1], v15 /*v271*/ offset:43584
	s_set_vgpr_msb 0                        ;  msbs: dst=0 src0=0 src1=0 src2=0
	ds_load_b64 v[8:9], v4 offset:43584
	v_dot4_i32_iu8 v4, v23, v167, v13 neg_lo:[1,1,0]
	v_dot4_i32_iu8 v13, v19, v169, v175 neg_lo:[1,1,0]
	s_set_vgpr_msb 4                        ;  msbs: dst=0 src0=0 src1=1 src2=0
	s_delay_alu instid0(VALU_DEP_2) | instskip(SKIP_1) | instid1(VALU_DEP_2)
	v_mul_lo_u32 v4, v4, v1 /*v257*/
	v_mad_u32 v5, v12, v1 /*v257*/, v5
	v_mad_u32 v4, v13, v0 /*v256*/, v4
	s_delay_alu instid0(VALU_DEP_2) | instskip(SKIP_4) | instid1(VALU_DEP_4)
	v_cvt_f32_i32_e32 v13, v5
	s_wait_dscnt 0x1
	v_mov_b32_e32 v5, v0
	s_set_vgpr_msb 0                        ;  msbs: dst=0 src0=0 src1=0 src2=0
	v_mul_lo_u32 v0, v174, v247
	v_cvt_f32_i32_e32 v12, v4
	s_wait_dscnt 0x0
	v_mov_b32_e32 v4, v8
	v_mul_lo_u32 v8, v168, v248
	s_delay_alu instid0(VALU_DEP_4) | instskip(NEXT) | instid1(VALU_DEP_3)
	v_mad_u32 v0, v173, v248, v0
	v_pk_fma_f32 v[12:13], v[4:5], v[12:13], 0 op_sel_hi:[1,1,0]
	s_delay_alu instid0(VALU_DEP_3) | instskip(NEXT) | instid1(VALU_DEP_3)
	v_mad_u32 v8, v170, v247, v8
	v_cvt_f32_i32_e32 v169, v0
	v_mov_b32_e32 v0, v9
	s_delay_alu instid0(VALU_DEP_3) | instskip(NEXT) | instid1(VALU_DEP_1)
	v_cvt_f32_i32_e32 v168, v8
	v_pk_fma_f32 v[8:9], v[0:1], v[168:169], v[12:13]
	v_perm_b32 v12, v142, v26, 0x6040501
	v_perm_b32 v13, v26, v143, 0x7060403
	s_delay_alu instid0(VALU_DEP_3) | instskip(SKIP_3) | instid1(VALU_DEP_3)
	v_pk_fma_f32 v[76:77], v[116:117], v[8:9], v[76:77]
	v_perm_b32 v9, v30, v30, 0xc0c0c01
	v_perm_b32 v8, v28, v33, 0x6040503
	;; [unrolled: 1-line block ×3, first 2 shown]
	v_or_b32_e32 v9, v249, v9
	s_delay_alu instid0(VALU_DEP_1) | instskip(SKIP_2) | instid1(VALU_DEP_2)
	v_dot4_i32_iu8 v8, v9, v8, 0 neg_lo:[1,1,0]
	v_perm_b32 v9, v24, v140, 0x6040501
	s_set_vgpr_msb 1                        ;  msbs: dst=0 src0=1 src1=0 src2=0
	v_dot4_i32_iu8 v8, v14 /*v270*/, v250, v8 neg_lo:[1,1,0]
	s_set_vgpr_msb 0                        ;  msbs: dst=0 src0=0 src1=0 src2=0
	s_delay_alu instid0(VALU_DEP_2) | instskip(SKIP_4) | instid1(VALU_DEP_2)
	v_dot4_i32_iu8 v9, v12, v9, 0 neg_lo:[1,1,0]
	v_perm_b32 v12, v25, v24, 0x6040503
	s_set_vgpr_msb 4                        ;  msbs: dst=0 src0=0 src1=1 src2=0
	v_dot4_i32_iu8 v8, v251, v2 /*v258*/, v8 neg_lo:[1,1,0]
	s_set_vgpr_msb 0                        ;  msbs: dst=0 src0=0 src1=0 src2=0
	v_dot4_i32_iu8 v9, v231, v12, v9 neg_lo:[1,1,0]
	v_perm_b32 v12, v140, v25, 0x7060403
	s_delay_alu instid0(VALU_DEP_1) | instskip(SKIP_3) | instid1(VALU_DEP_4)
	v_dot4_i32_iu8 v9, v13, v12, v9 neg_lo:[1,1,0]
	v_perm_b32 v12, v20, v132, 0x6050401
	v_perm_b32 v13, v138, v22, 0x6050401
	;; [unrolled: 1-line block ×3, first 2 shown]
	v_dot4_i32_iu8 v138, v27, v141, v9 neg_lo:[1,1,0]
	s_set_vgpr_msb 16                       ;  msbs: dst=0 src0=0 src1=0 src2=1
	v_dot4_i32_iu8 v9, v7, v135, v13 /*v269*/ neg_lo:[1,1,0]
	v_dot4_i32_iu8 v12, v13, v12, 0 neg_lo:[1,1,0]
	v_perm_b32 v13, v16, v134, 0x6050401
	v_dot4_i32_iu8 v134, v141, v11, v12 /*v268*/ neg_lo:[1,1,0]
	s_delay_alu instid0(VALU_DEP_4) | instskip(SKIP_4) | instid1(VALU_DEP_3)
	v_mul_lo_u32 v9, v9, v245
	s_set_vgpr_msb 0                        ;  msbs: dst=0 src0=0 src1=0 src2=0
	v_dot4_i32_iu8 v12, v232, v33, v12 neg_lo:[1,1,0]
	v_dot4_i32_iu8 v13, v132, v13, 0 neg_lo:[1,1,0]
	v_perm_b32 v132, v18, v17, 0x7060403
	v_dot4_i32_iu8 v12, v233, v176, v12 neg_lo:[1,1,0]
	s_delay_alu instid0(VALU_DEP_3) | instskip(NEXT) | instid1(VALU_DEP_1)
	v_dot4_i32_iu8 v13, v234, v166, v13 neg_lo:[1,1,0]
	v_dot4_i32_iu8 v13, v237, v132, v13 neg_lo:[1,1,0]
	v_perm_b32 v132, v31, v31, 0x3020001
	s_delay_alu instid0(VALU_DEP_2) | instskip(NEXT) | instid1(VALU_DEP_2)
	v_dot4_i32_iu8 v13, v19, v135, v13 neg_lo:[1,1,0]
	v_dot4_i32_iu8 v132, v246, v132, v8 neg_lo:[1,1,0]
	v_perm_b32 v8, v15, v15, 0x3020001
	s_set_vgpr_msb 16                       ;  msbs: dst=0 src0=0 src1=0 src2=1
	s_delay_alu instid0(VALU_DEP_1)
	v_dot4_i32_iu8 v136, v8, v246, v10 /*v266*/ neg_lo:[1,1,0]
	s_set_vgpr_msb 0                        ;  msbs: dst=0 src0=0 src1=0 src2=0
	v_dot4_i32_iu8 v8, v23, v133, v12 neg_lo:[1,1,0]
	s_set_vgpr_msb 16                       ;  msbs: dst=0 src0=0 src1=0 src2=1
	v_dot4_i32_iu8 v12, v3, v133, v11 /*v267*/ neg_lo:[1,1,0]
	v_perm_b32 v133, v18, v155, 0x7060403
	s_delay_alu instid0(VALU_DEP_3) | instskip(SKIP_1) | instid1(VALU_DEP_3)
	v_mul_lo_u32 v8, v8, v244
	s_set_vgpr_msb 0                        ;  msbs: dst=0 src0=0 src1=0 src2=0
	v_mad_u32 v9, v12, v244, v9
	v_mul_lo_u32 v12, v134, v242
	s_set_vgpr_msb 16                       ;  msbs: dst=0 src0=0 src1=0 src2=1
	v_dot4_i32_iu8 v134, v15, v157, v6 /*v262*/ neg_lo:[1,1,0]
	s_set_vgpr_msb 0                        ;  msbs: dst=0 src0=0 src1=0 src2=0
	s_delay_alu instid0(VALU_DEP_4) | instskip(SKIP_1) | instid1(VALU_DEP_4)
	v_mad_u32 v8, v13, v245, v8
	v_mul_lo_u32 v13, v132, v243
	v_mad_u32 v12, v136, v243, v12
	v_cvt_f32_i32_e32 v9, v9
	s_delay_alu instid0(VALU_DEP_4) | instskip(NEXT) | instid1(VALU_DEP_4)
	v_cvt_f32_i32_e32 v8, v8
	v_mad_u32 v132, v138, v242, v13
	s_delay_alu instid0(VALU_DEP_4) | instskip(NEXT) | instid1(VALU_DEP_3)
	v_cvt_f32_i32_e32 v13, v12
	v_pk_fma_f32 v[8:9], v[4:5], v[8:9], 0 op_sel_hi:[1,1,0]
	s_delay_alu instid0(VALU_DEP_3) | instskip(SKIP_1) | instid1(VALU_DEP_2)
	v_cvt_f32_i32_e32 v12, v132
	v_perm_b32 v132, v22, v149, 0x7060403
	v_pk_fma_f32 v[8:9], v[0:1], v[12:13], v[8:9]
	v_perm_b32 v12, v29, v153, 0x6040503
	v_perm_b32 v13, v25, v156, 0x6040503
	s_delay_alu instid0(VALU_DEP_3) | instskip(SKIP_2) | instid1(VALU_DEP_1)
	v_pk_fma_f32 v[80:81], v[118:119], v[8:9], v[80:81]
	v_perm_b32 v8, v28, v159, 0x6040501
	v_perm_b32 v9, v153, v30, 0x6040501
	v_dot4_i32_iu8 v8, v9, v8, 0 neg_lo:[1,1,0]
	v_perm_b32 v9, v158, v28, 0x6040503
	s_delay_alu instid0(VALU_DEP_1) | instskip(SKIP_3) | instid1(VALU_DEP_3)
	v_dot4_i32_iu8 v8, v12, v9, v8 neg_lo:[1,1,0]
	v_perm_b32 v9, v24, v161, 0x6040501
	v_perm_b32 v12, v156, v26, 0x6040501
	s_set_vgpr_msb 4                        ;  msbs: dst=0 src0=0 src1=1 src2=0
	v_dot4_i32_iu8 v8, v227, v2 /*v258*/, v8 neg_lo:[1,1,0]
	s_set_vgpr_msb 0                        ;  msbs: dst=0 src0=0 src1=0 src2=0
	s_delay_alu instid0(VALU_DEP_2) | instskip(SKIP_1) | instid1(VALU_DEP_1)
	v_dot4_i32_iu8 v9, v12, v9, 0 neg_lo:[1,1,0]
	v_perm_b32 v12, v160, v24, 0x6040503
	v_dot4_i32_iu8 v9, v13, v12, v9 neg_lo:[1,1,0]
	v_perm_b32 v12, v20, v144, 0x6050401
	v_perm_b32 v13, v148, v22, 0x6050401
	s_delay_alu instid0(VALU_DEP_3) | instskip(NEXT) | instid1(VALU_DEP_2)
	v_dot4_i32_iu8 v9, v240, v172, v9 neg_lo:[1,1,0]
	v_dot4_i32_iu8 v12, v13, v12, 0 neg_lo:[1,1,0]
	v_perm_b32 v13, v144, v21, 0x7060403
	s_delay_alu instid0(VALU_DEP_3) | instskip(SKIP_4) | instid1(VALU_DEP_2)
	v_dot4_i32_iu8 v135, v27, v152, v9 neg_lo:[1,1,0]
	s_set_vgpr_msb 16                       ;  msbs: dst=0 src0=0 src1=0 src2=1
	v_dot4_i32_iu8 v9, v7, v147, v9 /*v265*/ neg_lo:[1,1,0]
	s_set_vgpr_msb 0                        ;  msbs: dst=0 src0=0 src1=0 src2=0
	v_dot4_i32_iu8 v12, v241, v33, v12 neg_lo:[1,1,0]
	v_mul_lo_u32 v9, v9, v238
	s_delay_alu instid0(VALU_DEP_2) | instskip(SKIP_2) | instid1(VALU_DEP_1)
	v_dot4_i32_iu8 v12, v132, v13, v12 neg_lo:[1,1,0]
	v_perm_b32 v13, v16, v146, 0x6050401
	v_perm_b32 v132, v154, v18, 0x6050401
	v_dot4_i32_iu8 v13, v132, v13, 0 neg_lo:[1,1,0]
	v_perm_b32 v132, v146, v17, 0x7060403
	s_delay_alu instid0(VALU_DEP_2) | instskip(NEXT) | instid1(VALU_DEP_1)
	v_dot4_i32_iu8 v13, v253, v166, v13 neg_lo:[1,1,0]
	v_dot4_i32_iu8 v13, v133, v132, v13 neg_lo:[1,1,0]
	;; [unrolled: 1-line block ×4, first 2 shown]
	s_set_vgpr_msb 16                       ;  msbs: dst=0 src0=0 src1=0 src2=1
	v_dot4_i32_iu8 v133, v152, v11, v7 /*v263*/ neg_lo:[1,1,0]
	v_dot4_i32_iu8 v12, v3, v145, v8 /*v264*/ neg_lo:[1,1,0]
	s_set_vgpr_msb 0                        ;  msbs: dst=0 src0=0 src1=0 src2=0
	v_dot4_i32_iu8 v13, v19, v147, v13 neg_lo:[1,1,0]
	v_dot4_i32_iu8 v11, v15, v129, v14 neg_lo:[1,1,0]
	v_mul_lo_u32 v8, v8, v239
	v_mad_u32 v9, v12, v239, v9
	v_mul_lo_u32 v12, v133, v236
	s_delay_alu instid0(VALU_DEP_3) | instskip(SKIP_1) | instid1(VALU_DEP_4)
	v_mad_u32 v8, v13, v238, v8
	v_mul_lo_u32 v13, v132, v235
	v_cvt_f32_i32_e32 v9, v9
	s_delay_alu instid0(VALU_DEP_4) | instskip(NEXT) | instid1(VALU_DEP_4)
	v_mad_u32 v12, v134, v235, v12
	v_cvt_f32_i32_e32 v8, v8
	s_delay_alu instid0(VALU_DEP_4) | instskip(NEXT) | instid1(VALU_DEP_3)
	v_mad_u32 v132, v135, v236, v13
	v_cvt_f32_i32_e32 v13, v12
	s_delay_alu instid0(VALU_DEP_3) | instskip(NEXT) | instid1(VALU_DEP_3)
	v_pk_fma_f32 v[8:9], v[4:5], v[8:9], 0 op_sel_hi:[1,1,0]
	v_cvt_f32_i32_e32 v12, v132
	s_delay_alu instid0(VALU_DEP_1) | instskip(SKIP_2) | instid1(VALU_DEP_3)
	v_pk_fma_f32 v[8:9], v[0:1], v[12:13], v[8:9]
	v_perm_b32 v12, v29, v127, 0x6040503
	v_perm_b32 v13, v25, v128, 0x6040503
	v_pk_fma_f32 v[88:89], v[120:121], v[8:9], v[88:89]
	v_perm_b32 v8, v28, v163, 0x6040501
	v_perm_b32 v9, v127, v30, 0x6040501
	s_delay_alu instid0(VALU_DEP_1) | instskip(SKIP_1) | instid1(VALU_DEP_1)
	v_dot4_i32_iu8 v8, v9, v8, 0 neg_lo:[1,1,0]
	v_perm_b32 v9, v162, v28, 0x6040503
	v_dot4_i32_iu8 v8, v12, v9, v8 neg_lo:[1,1,0]
	v_perm_b32 v9, v24, v165, 0x6040501
	v_perm_b32 v12, v128, v26, 0x6040501
	s_set_vgpr_msb 4                        ;  msbs: dst=0 src0=0 src1=1 src2=0
	s_delay_alu instid0(VALU_DEP_3) | instskip(SKIP_1) | instid1(VALU_DEP_2)
	v_dot4_i32_iu8 v8, v228, v2 /*v258*/, v8 neg_lo:[1,1,0]
	s_set_vgpr_msb 0                        ;  msbs: dst=0 src0=0 src1=0 src2=0
	v_dot4_i32_iu8 v9, v12, v9, 0 neg_lo:[1,1,0]
	v_perm_b32 v12, v164, v24, 0x6040503
	s_delay_alu instid0(VALU_DEP_3) | instskip(NEXT) | instid1(VALU_DEP_2)
	v_dot4_i32_iu8 v8, v129, v31, v8 neg_lo:[1,1,0]
	v_dot4_i32_iu8 v9, v13, v12, v9 neg_lo:[1,1,0]
	v_perm_b32 v12, v20, v34, 0x6050401
	v_perm_b32 v13, v150, v22, 0x6050401
	;; [unrolled: 1-line block ×3, first 2 shown]
	s_delay_alu instid0(VALU_DEP_4) | instskip(NEXT) | instid1(VALU_DEP_3)
	v_dot4_i32_iu8 v9, v230, v172, v9 neg_lo:[1,1,0]
	v_dot4_i32_iu8 v12, v13, v12, 0 neg_lo:[1,1,0]
	v_perm_b32 v13, v34, v21, 0x7060403
	s_delay_alu instid0(VALU_DEP_3) | instskip(NEXT) | instid1(VALU_DEP_3)
	v_dot4_i32_iu8 v9, v27, v126, v9 neg_lo:[1,1,0]
	v_dot4_i32_iu8 v12, v229, v33, v12 neg_lo:[1,1,0]
	s_delay_alu instid0(VALU_DEP_1) | instskip(SKIP_2) | instid1(VALU_DEP_3)
	v_dot4_i32_iu8 v12, v20, v13, v12 neg_lo:[1,1,0]
	v_perm_b32 v13, v16, v124, 0x6050401
	v_perm_b32 v16, v130, v18, 0x6050401
	v_dot4_i32_iu8 v12, v23, v35, v12 neg_lo:[1,1,0]
	s_delay_alu instid0(VALU_DEP_2) | instskip(SKIP_2) | instid1(VALU_DEP_4)
	v_dot4_i32_iu8 v13, v16, v13, 0 neg_lo:[1,1,0]
	v_perm_b32 v16, v124, v17, 0x7060403
	v_perm_b32 v17, v18, v131, 0x7060403
	v_mul_lo_u32 v7, v12, v171
	s_delay_alu instid0(VALU_DEP_4) | instskip(NEXT) | instid1(VALU_DEP_1)
	v_dot4_i32_iu8 v13, v252, v166, v13 neg_lo:[1,1,0]
	v_dot4_i32_iu8 v13, v17, v16, v13 neg_lo:[1,1,0]
	s_delay_alu instid0(VALU_DEP_1) | instskip(NEXT) | instid1(VALU_DEP_1)
	v_dot4_i32_iu8 v3, v19, v125, v13 neg_lo:[1,1,0]
	v_mad_u32 v7, v3, v139, v7
	v_cvt_f32_i32_e32 v3, v2
	s_delay_alu instid0(VALU_DEP_2) | instskip(NEXT) | instid1(VALU_DEP_1)
	v_cvt_f32_i32_e32 v2, v7
	v_pk_fma_f32 v[2:3], v[4:5], v[2:3], 0 op_sel_hi:[1,1,0]
	v_mul_lo_u32 v4, v10, v137
	v_mul_lo_u32 v5, v8, v32
	s_delay_alu instid0(VALU_DEP_2) | instskip(NEXT) | instid1(VALU_DEP_2)
	v_mad_u32 v4, v11, v32, v4
	v_mad_u32 v6, v9, v137, v5
	s_delay_alu instid0(VALU_DEP_2) | instskip(NEXT) | instid1(VALU_DEP_2)
	v_cvt_f32_i32_e32 v5, v4
	v_cvt_f32_i32_e32 v4, v6
	s_delay_alu instid0(VALU_DEP_1) | instskip(NEXT) | instid1(VALU_DEP_1)
	v_pk_fma_f32 v[0:1], v[0:1], v[4:5], v[2:3]
	v_pk_fma_f32 v[98:99], v[122:123], v[0:1], v[98:99]
	s_cbranch_scc1 .LBB155_8
; %bb.9:                                ;   in Loop: Header=BB155_5 Depth=1
	s_add_co_i32 s10, s10, 1
	s_delay_alu instid0(SALU_CYCLE_1)
	s_cmp_eq_u32 s10, s15
	s_barrier_signal -1
	s_barrier_wait -1
	s_cbranch_scc0 .LBB155_5
; %bb.10:
	v_cvt_pk_f16_f32 v20, v90, v91
	v_cvt_pk_f16_f32 v19, v100, v101
	;; [unrolled: 1-line block ×16, first 2 shown]
	v_dual_mov_b32 v4, v37 :: v_dual_mov_b32 v7, v45
.LBB155_11:
	s_wait_xcnt 0x0
	s_mov_b32 s0, exec_lo
	v_cmpx_gt_u32_e64 s4, v47
	s_cbranch_execz .LBB155_62
; %bb.12:
	v_mul_lo_u32 v21, v47, s6
	v_add_nc_u32_e32 v0, s14, v7
	s_delay_alu instid0(VALU_DEP_1)
	v_cmp_gt_u32_e32 vcc_lo, s6, v0
	s_and_saveexec_b32 s0, vcc_lo
	s_cbranch_execz .LBB155_14
; %bb.13:
	s_delay_alu instid0(VALU_DEP_3)
	v_add_nc_u32_e32 v7, v0, v21
	s_wait_kmcnt 0x0
	global_store_d16_hi_b16 v7, v20, s[8:9] scale_offset
.LBB155_14:
	s_wait_xcnt 0x0
	s_or_b32 exec_lo, exec_lo, s0
	v_add_nc_u32_e32 v7, 32, v0
	s_delay_alu instid0(VALU_DEP_1)
	v_cmp_gt_u32_e64 s0, s6, v7
	s_and_saveexec_b32 s1, s0
	s_cbranch_execz .LBB155_16
; %bb.15:
	v_add_nc_u32_e32 v9, v7, v21
	s_wait_kmcnt 0x0
	global_store_d16_hi_b16 v9, v19, s[8:9] scale_offset
.LBB155_16:
	s_wait_xcnt 0x0
	s_or_b32 exec_lo, exec_lo, s1
	v_add_nc_u32_e32 v9, 64, v0
	s_delay_alu instid0(VALU_DEP_1)
	v_cmp_gt_u32_e64 s1, s6, v9
	s_and_saveexec_b32 s2, s1
	s_cbranch_execz .LBB155_18
; %bb.17:
	v_add_nc_u32_e32 v10, v9, v21
	s_wait_kmcnt 0x0
	global_store_d16_hi_b16 v10, v18, s[8:9] scale_offset
.LBB155_18:
	s_wait_xcnt 0x0
	s_or_b32 exec_lo, exec_lo, s2
	v_add_nc_u32_e32 v10, 0x60, v0
	s_delay_alu instid0(VALU_DEP_1)
	v_cmp_gt_u32_e64 s2, s6, v10
	s_and_saveexec_b32 s3, s2
	s_cbranch_execz .LBB155_20
; %bb.19:
	v_add_nc_u32_e32 v21, v10, v21
	s_wait_kmcnt 0x0
	global_store_d16_hi_b16 v21, v17, s[8:9] scale_offset
.LBB155_20:
	s_wait_xcnt 0x0
	s_or_b32 exec_lo, exec_lo, s3
	v_add3_u32 v21, v4, s7, 8
	s_delay_alu instid0(VALU_DEP_1)
	v_cmp_gt_u32_e64 s3, s4, v21
	s_and_b32 exec_lo, exec_lo, s3
	s_cbranch_execz .LBB155_62
; %bb.21:
	v_mul_lo_u32 v21, v21, s6
	s_and_saveexec_b32 s3, vcc_lo
	s_cbranch_execnz .LBB155_63
; %bb.22:
	s_or_b32 exec_lo, exec_lo, s3
	s_and_saveexec_b32 s3, s0
	s_cbranch_execnz .LBB155_64
.LBB155_23:
	s_or_b32 exec_lo, exec_lo, s3
	s_and_saveexec_b32 s3, s1
	s_cbranch_execnz .LBB155_65
.LBB155_24:
	s_or_b32 exec_lo, exec_lo, s3
	s_and_saveexec_b32 s3, s2
	s_cbranch_execz .LBB155_26
.LBB155_25:
	v_add_nc_u32_e32 v18, v21, v10
	s_wait_kmcnt 0x0
	global_store_b16 v18, v17, s[8:9] scale_offset
.LBB155_26:
	s_wait_xcnt 0x0
	s_or_b32 exec_lo, exec_lo, s3
	v_add3_u32 v17, v4, s7, 16
	s_delay_alu instid0(VALU_DEP_1)
	v_cmp_gt_u32_e64 s3, s4, v17
	s_and_b32 exec_lo, exec_lo, s3
	s_cbranch_execz .LBB155_62
; %bb.27:
	v_mul_lo_u32 v17, v17, s6
	s_and_saveexec_b32 s3, vcc_lo
	s_cbranch_execnz .LBB155_66
; %bb.28:
	s_or_b32 exec_lo, exec_lo, s3
	s_and_saveexec_b32 s3, s0
	s_cbranch_execnz .LBB155_67
.LBB155_29:
	s_or_b32 exec_lo, exec_lo, s3
	s_and_saveexec_b32 s3, s1
	s_cbranch_execnz .LBB155_68
.LBB155_30:
	s_or_b32 exec_lo, exec_lo, s3
	s_and_saveexec_b32 s3, s2
	s_cbranch_execz .LBB155_32
.LBB155_31:
	v_add_nc_u32_e32 v17, v17, v10
	s_wait_kmcnt 0x0
	global_store_d16_hi_b16 v17, v13, s[8:9] scale_offset
.LBB155_32:
	s_wait_xcnt 0x0
	s_or_b32 exec_lo, exec_lo, s3
	v_add3_u32 v17, v4, s7, 24
	s_delay_alu instid0(VALU_DEP_1)
	v_cmp_gt_u32_e64 s3, s4, v17
	s_and_b32 exec_lo, exec_lo, s3
	s_cbranch_execz .LBB155_62
; %bb.33:
	v_mul_lo_u32 v17, v17, s6
	s_and_saveexec_b32 s3, vcc_lo
	s_cbranch_execnz .LBB155_69
; %bb.34:
	s_or_b32 exec_lo, exec_lo, s3
	s_and_saveexec_b32 s3, s0
	s_cbranch_execnz .LBB155_70
.LBB155_35:
	s_or_b32 exec_lo, exec_lo, s3
	s_and_saveexec_b32 s3, s1
	s_cbranch_execnz .LBB155_71
.LBB155_36:
	s_or_b32 exec_lo, exec_lo, s3
	s_and_saveexec_b32 s3, s2
	s_cbranch_execz .LBB155_38
.LBB155_37:
	v_add_nc_u32_e32 v14, v17, v10
	s_wait_kmcnt 0x0
	global_store_b16 v14, v13, s[8:9] scale_offset
.LBB155_38:
	s_wait_xcnt 0x0
	s_or_b32 exec_lo, exec_lo, s3
	v_add3_u32 v13, v4, s7, 32
	s_delay_alu instid0(VALU_DEP_1)
	v_cmp_gt_u32_e64 s3, s4, v13
	s_and_b32 exec_lo, exec_lo, s3
	s_cbranch_execz .LBB155_62
; %bb.39:
	v_mul_lo_u32 v13, v13, s6
	s_and_saveexec_b32 s3, vcc_lo
	s_cbranch_execnz .LBB155_72
; %bb.40:
	s_or_b32 exec_lo, exec_lo, s3
	s_and_saveexec_b32 s3, s0
	s_cbranch_execnz .LBB155_73
.LBB155_41:
	s_or_b32 exec_lo, exec_lo, s3
	s_and_saveexec_b32 s3, s1
	s_cbranch_execnz .LBB155_74
.LBB155_42:
	s_or_b32 exec_lo, exec_lo, s3
	s_and_saveexec_b32 s3, s2
	s_cbranch_execz .LBB155_44
.LBB155_43:
	v_add_nc_u32_e32 v13, v13, v10
	s_wait_kmcnt 0x0
	global_store_d16_hi_b16 v13, v6, s[8:9] scale_offset
.LBB155_44:
	s_wait_xcnt 0x0
	s_or_b32 exec_lo, exec_lo, s3
	v_add3_u32 v13, v4, s7, 40
	s_delay_alu instid0(VALU_DEP_1)
	v_cmp_gt_u32_e64 s3, s4, v13
	s_and_b32 exec_lo, exec_lo, s3
	s_cbranch_execz .LBB155_62
; %bb.45:
	v_mul_lo_u32 v13, v13, s6
	s_and_saveexec_b32 s3, vcc_lo
	s_cbranch_execnz .LBB155_75
; %bb.46:
	s_or_b32 exec_lo, exec_lo, s3
	s_and_saveexec_b32 s3, s0
	s_cbranch_execnz .LBB155_76
.LBB155_47:
	s_or_b32 exec_lo, exec_lo, s3
	s_and_saveexec_b32 s3, s1
	s_cbranch_execnz .LBB155_77
.LBB155_48:
	s_or_b32 exec_lo, exec_lo, s3
	s_and_saveexec_b32 s3, s2
	s_cbranch_execz .LBB155_50
.LBB155_49:
	v_add_nc_u32_e32 v8, v13, v10
	s_wait_kmcnt 0x0
	global_store_b16 v8, v6, s[8:9] scale_offset
.LBB155_50:
	s_wait_xcnt 0x0
	s_or_b32 exec_lo, exec_lo, s3
	v_add3_u32 v6, v4, s7, 48
	s_delay_alu instid0(VALU_DEP_1)
	v_cmp_gt_u32_e64 s3, s4, v6
	s_and_b32 exec_lo, exec_lo, s3
	s_cbranch_execz .LBB155_62
; %bb.51:
	v_mul_lo_u32 v6, v6, s6
	s_and_saveexec_b32 s3, vcc_lo
	s_cbranch_execnz .LBB155_78
; %bb.52:
	s_or_b32 exec_lo, exec_lo, s3
	s_and_saveexec_b32 s3, s0
	s_cbranch_execnz .LBB155_79
.LBB155_53:
	s_or_b32 exec_lo, exec_lo, s3
	s_and_saveexec_b32 s3, s1
	s_cbranch_execnz .LBB155_80
.LBB155_54:
	s_or_b32 exec_lo, exec_lo, s3
	s_and_saveexec_b32 s3, s2
	s_cbranch_execz .LBB155_56
.LBB155_55:
	v_add_nc_u32_e32 v6, v6, v10
	s_wait_kmcnt 0x0
	global_store_d16_hi_b16 v6, v1, s[8:9] scale_offset
.LBB155_56:
	s_wait_xcnt 0x0
	s_or_b32 exec_lo, exec_lo, s3
	v_add3_u32 v4, v4, s7, 56
	s_delay_alu instid0(VALU_DEP_1)
	v_cmp_gt_u32_e64 s3, s4, v4
	s_and_b32 exec_lo, exec_lo, s3
	s_cbranch_execz .LBB155_62
; %bb.57:
	v_mul_lo_u32 v4, v4, s6
	s_and_saveexec_b32 s3, vcc_lo
	s_cbranch_execnz .LBB155_81
; %bb.58:
	s_or_b32 exec_lo, exec_lo, s3
	s_and_saveexec_b32 s3, s0
	s_cbranch_execnz .LBB155_82
.LBB155_59:
	s_or_b32 exec_lo, exec_lo, s3
	s_and_saveexec_b32 s0, s1
	s_cbranch_execnz .LBB155_83
.LBB155_60:
	s_or_b32 exec_lo, exec_lo, s0
	s_delay_alu instid0(SALU_CYCLE_1)
	s_and_b32 exec_lo, exec_lo, s2
	s_cbranch_execz .LBB155_62
.LBB155_61:
	v_add_nc_u32_e32 v0, v4, v10
	s_wait_kmcnt 0x0
	global_store_b16 v0, v1, s[8:9] scale_offset
.LBB155_62:
	s_sendmsg sendmsg(MSG_DEALLOC_VGPRS)
	s_endpgm
.LBB155_63:
	s_delay_alu instid0(VALU_DEP_1)
	v_add_nc_u32_e32 v22, v21, v0
	s_wait_kmcnt 0x0
	global_store_b16 v22, v20, s[8:9] scale_offset
	s_wait_xcnt 0x0
	s_or_b32 exec_lo, exec_lo, s3
	s_and_saveexec_b32 s3, s0
	s_cbranch_execz .LBB155_23
.LBB155_64:
	s_delay_alu instid0(VALU_DEP_1)
	v_add_nc_u32_e32 v20, v21, v7
	s_wait_kmcnt 0x0
	global_store_b16 v20, v19, s[8:9] scale_offset
	s_wait_xcnt 0x0
	s_or_b32 exec_lo, exec_lo, s3
	s_and_saveexec_b32 s3, s1
	s_cbranch_execz .LBB155_24
.LBB155_65:
	s_delay_alu instid0(VALU_DEP_1)
	v_add_nc_u32_e32 v19, v21, v9
	s_wait_kmcnt 0x0
	global_store_b16 v19, v18, s[8:9] scale_offset
	s_wait_xcnt 0x0
	s_or_b32 exec_lo, exec_lo, s3
	s_and_saveexec_b32 s3, s2
	s_cbranch_execnz .LBB155_25
	s_branch .LBB155_26
.LBB155_66:
	s_delay_alu instid0(VALU_DEP_1)
	v_add_nc_u32_e32 v18, v17, v0
	s_wait_kmcnt 0x0
	global_store_d16_hi_b16 v18, v16, s[8:9] scale_offset
	s_wait_xcnt 0x0
	s_or_b32 exec_lo, exec_lo, s3
	s_and_saveexec_b32 s3, s0
	s_cbranch_execz .LBB155_29
.LBB155_67:
	s_delay_alu instid0(VALU_DEP_1)
	v_add_nc_u32_e32 v18, v17, v7
	s_wait_kmcnt 0x0
	global_store_d16_hi_b16 v18, v15, s[8:9] scale_offset
	s_wait_xcnt 0x0
	s_or_b32 exec_lo, exec_lo, s3
	s_and_saveexec_b32 s3, s1
	s_cbranch_execz .LBB155_30
.LBB155_68:
	s_delay_alu instid0(VALU_DEP_1)
	v_add_nc_u32_e32 v18, v17, v9
	s_wait_kmcnt 0x0
	global_store_d16_hi_b16 v18, v14, s[8:9] scale_offset
	s_wait_xcnt 0x0
	s_or_b32 exec_lo, exec_lo, s3
	s_and_saveexec_b32 s3, s2
	s_cbranch_execnz .LBB155_31
	s_branch .LBB155_32
.LBB155_69:
	s_delay_alu instid0(VALU_DEP_1)
	v_add_nc_u32_e32 v18, v17, v0
	s_wait_kmcnt 0x0
	global_store_b16 v18, v16, s[8:9] scale_offset
	s_wait_xcnt 0x0
	s_or_b32 exec_lo, exec_lo, s3
	s_and_saveexec_b32 s3, s0
	s_cbranch_execz .LBB155_35
.LBB155_70:
	s_delay_alu instid0(VALU_DEP_1)
	v_add_nc_u32_e32 v16, v17, v7
	s_wait_kmcnt 0x0
	global_store_b16 v16, v15, s[8:9] scale_offset
	s_wait_xcnt 0x0
	s_or_b32 exec_lo, exec_lo, s3
	s_and_saveexec_b32 s3, s1
	s_cbranch_execz .LBB155_36
.LBB155_71:
	s_delay_alu instid0(VALU_DEP_1)
	v_add_nc_u32_e32 v15, v17, v9
	s_wait_kmcnt 0x0
	global_store_b16 v15, v14, s[8:9] scale_offset
	s_wait_xcnt 0x0
	s_or_b32 exec_lo, exec_lo, s3
	s_and_saveexec_b32 s3, s2
	s_cbranch_execnz .LBB155_37
	s_branch .LBB155_38
.LBB155_72:
	s_delay_alu instid0(VALU_DEP_1)
	v_add_nc_u32_e32 v14, v13, v0
	s_wait_kmcnt 0x0
	global_store_d16_hi_b16 v14, v12, s[8:9] scale_offset
	s_wait_xcnt 0x0
	s_or_b32 exec_lo, exec_lo, s3
	s_and_saveexec_b32 s3, s0
	s_cbranch_execz .LBB155_41
.LBB155_73:
	s_delay_alu instid0(VALU_DEP_1)
	v_add_nc_u32_e32 v14, v13, v7
	s_wait_kmcnt 0x0
	global_store_d16_hi_b16 v14, v11, s[8:9] scale_offset
	s_wait_xcnt 0x0
	s_or_b32 exec_lo, exec_lo, s3
	s_and_saveexec_b32 s3, s1
	s_cbranch_execz .LBB155_42
.LBB155_74:
	s_delay_alu instid0(VALU_DEP_1)
	v_add_nc_u32_e32 v14, v13, v9
	s_wait_kmcnt 0x0
	global_store_d16_hi_b16 v14, v8, s[8:9] scale_offset
	s_wait_xcnt 0x0
	s_or_b32 exec_lo, exec_lo, s3
	s_and_saveexec_b32 s3, s2
	s_cbranch_execnz .LBB155_43
	s_branch .LBB155_44
.LBB155_75:
	s_delay_alu instid0(VALU_DEP_1)
	v_add_nc_u32_e32 v14, v13, v0
	s_wait_kmcnt 0x0
	global_store_b16 v14, v12, s[8:9] scale_offset
	s_wait_xcnt 0x0
	s_or_b32 exec_lo, exec_lo, s3
	s_and_saveexec_b32 s3, s0
	s_cbranch_execz .LBB155_47
.LBB155_76:
	s_delay_alu instid0(VALU_DEP_1)
	v_add_nc_u32_e32 v12, v13, v7
	s_wait_kmcnt 0x0
	global_store_b16 v12, v11, s[8:9] scale_offset
	s_wait_xcnt 0x0
	s_or_b32 exec_lo, exec_lo, s3
	s_and_saveexec_b32 s3, s1
	s_cbranch_execz .LBB155_48
.LBB155_77:
	s_delay_alu instid0(VALU_DEP_1)
	v_add_nc_u32_e32 v11, v13, v9
	s_wait_kmcnt 0x0
	global_store_b16 v11, v8, s[8:9] scale_offset
	s_wait_xcnt 0x0
	s_or_b32 exec_lo, exec_lo, s3
	s_and_saveexec_b32 s3, s2
	s_cbranch_execnz .LBB155_49
	s_branch .LBB155_50
.LBB155_78:
	s_delay_alu instid0(VALU_DEP_1)
	v_add_nc_u32_e32 v8, v6, v0
	s_wait_kmcnt 0x0
	global_store_d16_hi_b16 v8, v5, s[8:9] scale_offset
	s_wait_xcnt 0x0
	s_or_b32 exec_lo, exec_lo, s3
	s_and_saveexec_b32 s3, s0
	s_cbranch_execz .LBB155_53
.LBB155_79:
	s_delay_alu instid0(VALU_DEP_1)
	v_add_nc_u32_e32 v8, v6, v7
	s_wait_kmcnt 0x0
	global_store_d16_hi_b16 v8, v3, s[8:9] scale_offset
	s_wait_xcnt 0x0
	s_or_b32 exec_lo, exec_lo, s3
	s_and_saveexec_b32 s3, s1
	s_cbranch_execz .LBB155_54
.LBB155_80:
	s_delay_alu instid0(VALU_DEP_1)
	v_add_nc_u32_e32 v8, v6, v9
	s_wait_kmcnt 0x0
	global_store_d16_hi_b16 v8, v2, s[8:9] scale_offset
	s_wait_xcnt 0x0
	s_or_b32 exec_lo, exec_lo, s3
	s_and_saveexec_b32 s3, s2
	s_cbranch_execnz .LBB155_55
	s_branch .LBB155_56
.LBB155_81:
	s_delay_alu instid0(VALU_DEP_1)
	v_add_nc_u32_e32 v0, v4, v0
	s_wait_kmcnt 0x0
	global_store_b16 v0, v5, s[8:9] scale_offset
	s_wait_xcnt 0x0
	s_or_b32 exec_lo, exec_lo, s3
	s_and_saveexec_b32 s3, s0
	s_cbranch_execz .LBB155_59
.LBB155_82:
	s_delay_alu instid0(VALU_DEP_1)
	v_add_nc_u32_e32 v0, v4, v7
	s_wait_kmcnt 0x0
	global_store_b16 v0, v3, s[8:9] scale_offset
	s_wait_xcnt 0x0
	s_or_b32 exec_lo, exec_lo, s3
	s_and_saveexec_b32 s0, s1
	s_cbranch_execz .LBB155_60
.LBB155_83:
	s_delay_alu instid0(VALU_DEP_1) | instskip(SKIP_4) | instid1(SALU_CYCLE_1)
	v_add_nc_u32_e32 v0, v4, v9
	s_wait_kmcnt 0x0
	global_store_b16 v0, v2, s[8:9] scale_offset
	s_wait_xcnt 0x0
	s_or_b32 exec_lo, exec_lo, s0
	s_and_b32 exec_lo, exec_lo, s2
	s_cbranch_execnz .LBB155_61
	s_branch .LBB155_62
	.section	.rodata,"a",@progbits
	.p2align	6, 0x0
	.amdhsa_kernel _ZL12mul_mat_q6_KIN3c104HalfELb0EEvPKvS3_PT_iiiii
		.amdhsa_group_segment_fixed_size 45136
		.amdhsa_private_segment_fixed_size 0
		.amdhsa_kernarg_size 44
		.amdhsa_user_sgpr_count 2
		.amdhsa_user_sgpr_dispatch_ptr 0
		.amdhsa_user_sgpr_queue_ptr 0
		.amdhsa_user_sgpr_kernarg_segment_ptr 1
		.amdhsa_user_sgpr_dispatch_id 0
		.amdhsa_user_sgpr_kernarg_preload_length 0
		.amdhsa_user_sgpr_kernarg_preload_offset 0
		.amdhsa_user_sgpr_private_segment_size 0
		.amdhsa_wavefront_size32 1
		.amdhsa_uses_dynamic_stack 0
		.amdhsa_enable_private_segment 0
		.amdhsa_system_sgpr_workgroup_id_x 1
		.amdhsa_system_sgpr_workgroup_id_y 1
		.amdhsa_system_sgpr_workgroup_id_z 0
		.amdhsa_system_sgpr_workgroup_info 0
		.amdhsa_system_vgpr_workitem_id 1
		.amdhsa_next_free_vgpr 318
		.amdhsa_next_free_sgpr 18
		.amdhsa_named_barrier_count 0
		.amdhsa_reserve_vcc 1
		.amdhsa_float_round_mode_32 0
		.amdhsa_float_round_mode_16_64 0
		.amdhsa_float_denorm_mode_32 3
		.amdhsa_float_denorm_mode_16_64 3
		.amdhsa_fp16_overflow 0
		.amdhsa_memory_ordered 1
		.amdhsa_forward_progress 1
		.amdhsa_inst_pref_size 255
		.amdhsa_round_robin_scheduling 0
		.amdhsa_exception_fp_ieee_invalid_op 0
		.amdhsa_exception_fp_denorm_src 0
		.amdhsa_exception_fp_ieee_div_zero 0
		.amdhsa_exception_fp_ieee_overflow 0
		.amdhsa_exception_fp_ieee_underflow 0
		.amdhsa_exception_fp_ieee_inexact 0
		.amdhsa_exception_int_div_zero 0
	.end_amdhsa_kernel
	.section	.text._ZL12mul_mat_q6_KIN3c104HalfELb0EEvPKvS3_PT_iiiii,"axG",@progbits,_ZL12mul_mat_q6_KIN3c104HalfELb0EEvPKvS3_PT_iiiii,comdat
.Lfunc_end155:
	.size	_ZL12mul_mat_q6_KIN3c104HalfELb0EEvPKvS3_PT_iiiii, .Lfunc_end155-_ZL12mul_mat_q6_KIN3c104HalfELb0EEvPKvS3_PT_iiiii
                                        ; -- End function
	.set _ZL12mul_mat_q6_KIN3c104HalfELb0EEvPKvS3_PT_iiiii.num_vgpr, 318
	.set _ZL12mul_mat_q6_KIN3c104HalfELb0EEvPKvS3_PT_iiiii.num_agpr, 0
	.set _ZL12mul_mat_q6_KIN3c104HalfELb0EEvPKvS3_PT_iiiii.numbered_sgpr, 18
	.set _ZL12mul_mat_q6_KIN3c104HalfELb0EEvPKvS3_PT_iiiii.num_named_barrier, 0
	.set _ZL12mul_mat_q6_KIN3c104HalfELb0EEvPKvS3_PT_iiiii.private_seg_size, 0
	.set _ZL12mul_mat_q6_KIN3c104HalfELb0EEvPKvS3_PT_iiiii.uses_vcc, 1
	.set _ZL12mul_mat_q6_KIN3c104HalfELb0EEvPKvS3_PT_iiiii.uses_flat_scratch, 0
	.set _ZL12mul_mat_q6_KIN3c104HalfELb0EEvPKvS3_PT_iiiii.has_dyn_sized_stack, 0
	.set _ZL12mul_mat_q6_KIN3c104HalfELb0EEvPKvS3_PT_iiiii.has_recursion, 0
	.set _ZL12mul_mat_q6_KIN3c104HalfELb0EEvPKvS3_PT_iiiii.has_indirect_call, 0
	.section	.AMDGPU.csdata,"",@progbits
; Kernel info:
; codeLenInByte = 46840
; TotalNumSgprs: 20
; NumVgprs: 318
; ScratchSize: 0
; MemoryBound: 0
; FloatMode: 240
; IeeeMode: 1
; LDSByteSize: 45136 bytes/workgroup (compile time only)
; SGPRBlocks: 0
; VGPRBlocks: 19
; NumSGPRsForWavesPerEU: 20
; NumVGPRsForWavesPerEU: 318
; NamedBarCnt: 0
; Occupancy: 3
; WaveLimiterHint : 0
; COMPUTE_PGM_RSRC2:SCRATCH_EN: 0
; COMPUTE_PGM_RSRC2:USER_SGPR: 2
; COMPUTE_PGM_RSRC2:TRAP_HANDLER: 0
; COMPUTE_PGM_RSRC2:TGID_X_EN: 1
; COMPUTE_PGM_RSRC2:TGID_Y_EN: 1
; COMPUTE_PGM_RSRC2:TGID_Z_EN: 0
; COMPUTE_PGM_RSRC2:TIDIG_COMP_CNT: 1
	.section	.text._ZL12mul_mat_q6_KIN3c104HalfELb1EEvPKvS3_PT_iiiii,"axG",@progbits,_ZL12mul_mat_q6_KIN3c104HalfELb1EEvPKvS3_PT_iiiii,comdat
	.globl	_ZL12mul_mat_q6_KIN3c104HalfELb1EEvPKvS3_PT_iiiii ; -- Begin function _ZL12mul_mat_q6_KIN3c104HalfELb1EEvPKvS3_PT_iiiii
	.p2align	8
	.type	_ZL12mul_mat_q6_KIN3c104HalfELb1EEvPKvS3_PT_iiiii,@function
_ZL12mul_mat_q6_KIN3c104HalfELb1EEvPKvS3_PT_iiiii: ; @_ZL12mul_mat_q6_KIN3c104HalfELb1EEvPKvS3_PT_iiiii
; %bb.0:
	s_clause 0x1
	s_load_b128 s[4:7], s[0:1], 0x18
	s_load_b32 s14, s[0:1], 0x28
	s_bfe_u32 s2, ttmp6, 0x4000c
	s_bfe_u32 s8, ttmp6, 0x40010
	s_add_co_i32 s2, s2, 1
	s_and_b32 s3, ttmp6, 15
	s_mul_i32 s2, ttmp9, s2
	s_add_co_i32 s8, s8, 1
	s_add_co_i32 s3, s3, s2
	s_mul_i32 s2, ttmp7, s8
	s_bfe_u32 s8, ttmp6, 0x40004
	s_getreg_b32 s9, hwreg(HW_REG_IB_STS2, 6, 4)
	s_add_co_i32 s8, s8, s2
	s_cmp_eq_u32 s9, 0
	v_bfe_u32 v43, v0, 10, 10
	s_cselect_b32 s8, ttmp7, s8
	v_and_b32_e32 v47, 0x3ff, v0
	s_cselect_b32 s2, ttmp9, s3
	s_lshl_b32 s15, s8, 6
	s_mov_b32 s3, 0
	s_wait_kmcnt 0x0
	s_cmp_gt_i32 s4, 0xff
	s_cbranch_scc1 .LBB156_2
; %bb.1:
	v_bfe_u32 v4, v0, 10, 10
	v_and_b32_e32 v7, 0x3ff, v0
	s_delay_alu instid0(VALU_DEP_2)
	v_add_nc_u32_e32 v49, s15, v4
	s_branch .LBB156_3
.LBB156_2:
	s_mov_b32 s3, -1
                                        ; implicit-def: $vgpr4
                                        ; implicit-def: $vgpr7
                                        ; implicit-def: $vgpr49
.LBB156_3:
	s_load_b64 s[8:9], s[0:1], 0x10
	v_dual_mov_b32 v1, 0 :: v_dual_mov_b32 v6, 0
	v_dual_mov_b32 v13, 0 :: v_dual_mov_b32 v17, 0
	;; [unrolled: 1-line block ×8, first 2 shown]
	s_lshl_b32 s16, s2, 7
	s_and_not1_b32 vcc_lo, exec_lo, s3
	s_mov_b32 s11, 0
	s_cbranch_vccnz .LBB156_11
; %bb.4:
	v_and_b32_e32 v1, 31, v0
	s_ashr_i32 s2, s4, 31
	v_dual_add_nc_u32 v23, 16, v43 :: v_dual_add_nc_u32 v24, 24, v43
	s_lshr_b32 s10, s2, 24
	s_delay_alu instid0(VALU_DEP_2)
	v_add_nc_u16 v3, v1, -16
	v_cmp_gt_u32_e32 vcc_lo, 16, v1
	v_lshlrev_b32_e32 v2, 1, v1
	s_add_co_i32 s4, s4, s10
	s_ashr_i32 s10, s7, 31
	v_dual_mov_b32 v37, 0 :: v_dual_cndmask_b32 v20, v3, v1
	s_delay_alu instid0(VALU_DEP_2) | instskip(SKIP_3) | instid1(VALU_DEP_2)
	v_add_nc_u32_e32 v4, 0xe0, v2
	s_ashr_i32 s17, s4, 8
	s_lshr_b32 s4, s10, 27
	v_dual_lshlrev_b32 v55, 5, v43 :: v_dual_bitop2_b32 v5, 7, v0 bitop3:0x40
	v_dual_add_nc_u32 v49, s15, v43 :: v_dual_cndmask_b32 v3, v4, v2, vcc_lo
	v_lshrrev_b32_e32 v4, 1, v0
	s_add_co_i32 s4, s7, s4
	s_not_b32 s7, s16
	s_delay_alu instid0(VALU_DEP_2)
	v_add_nc_u32_e32 v6, 8, v49
	v_and_b32_e32 v3, 0xfe, v3
	s_add_co_i32 s5, s5, s7
	v_and_or_b32 v4, v4, 8, v5
	v_min_i32_e32 v26, s5, v23
	v_dual_add_nc_u32 v28, 32, v43 :: v_dual_min_i32 v27, s5, v24
	v_dual_sub_nc_u32 v2, v2, v3 :: v_dual_bitop2_b32 v3, 15, v0 bitop3:0x40
	s_add_co_i32 s7, s6, -1
	v_dual_lshlrev_b32 v36, 2, v1 :: v_dual_lshlrev_b32 v38, 2, v4
	v_dual_add_nc_u32 v8, 16, v49 :: v_dual_add_nc_u32 v10, 24, v49
	s_delay_alu instid0(VALU_DEP_3)
	v_add_lshl_u32 v22, v2, v3, 2
	v_cvt_f64_i32_e32 v[2:3], s7
	v_cvt_f64_u32_e32 v[4:5], v49
	v_cvt_f64_u32_e32 v[6:7], v6
	v_dual_add_nc_u32 v18, v55, v47 :: v_dual_min_i32 v29, s5, v28
	v_dual_add_nc_u32 v12, 32, v49 :: v_dual_add_nc_u32 v14, 40, v49
	v_cvt_f64_u32_e32 v[8:9], v8
	v_bfe_u32 v30, v0, 2, 8
	s_delay_alu instid0(VALU_DEP_4) | instskip(SKIP_3) | instid1(VALU_DEP_4)
	v_and_b32_e32 v32, 0x7f, v18
	v_dual_add_nc_u32 v16, 48, v49 :: v_dual_add_nc_u32 v19, 56, v49
	v_cvt_f64_u32_e32 v[10:11], v10
	v_cvt_f64_u32_e32 v[12:13], v12
	v_dual_add_nc_u32 v31, 40, v43 :: v_dual_min_i32 v32, s5, v32
	v_lshl_add_u32 v30, v43, 3, v30
	v_cvt_f64_u32_e32 v[14:15], v14
	v_cvt_f64_u32_e32 v[16:17], v16
	;; [unrolled: 1-line block ×3, first 2 shown]
	v_dual_ashrrev_i32 v40, 31, v32 :: v_dual_min_i32 v33, s5, v31
	v_dual_add_nc_u32 v34, 48, v43 :: v_dual_add_nc_u32 v44, 56, v43
	v_and_b32_e32 v35, 0x7f, v30
	v_bitop3_b32 v41, v30, 64, 0x7f bitop3:0x6c
	s_delay_alu instid0(VALU_DEP_3) | instskip(NEXT) | instid1(VALU_DEP_3)
	v_dual_lshrrev_b32 v40, 27, v40 :: v_dual_min_i32 v58, s5, v34
	v_dual_lshlrev_b32 v46, 2, v32 :: v_dual_min_i32 v35, s5, v35
	s_delay_alu instid0(VALU_DEP_2) | instskip(SKIP_1) | instid1(VALU_DEP_3)
	v_dual_add_nc_u32 v40, v32, v40 :: v_dual_min_i32 v78, s5, v41
	v_dual_min_num_f64 v[4:5], v[4:5], v[2:3] :: v_dual_min_i32 v60, s5, v44
	v_ashrrev_i32_e32 v42, 31, v35
	s_delay_alu instid0(VALU_DEP_3)
	v_dual_min_num_f64 v[6:7], v[6:7], v[2:3] :: v_dual_ashrrev_i32 v40, 5, v40
	s_ashr_i32 s4, s4, 5
	s_wait_xcnt 0x0
	s_load_b128 s[0:3], s[0:1], 0x0
	v_lshrrev_b32_e32 v41, 29, v42
	v_dual_ashrrev_i32 v42, 31, v78 :: v_dual_add_nc_u32 v1, 8, v43
	v_min_i32_e32 v21, s5, v43
	v_add_min_i32_e64 v62, v43, 64, s5
	v_min_num_f64_e32 v[10:11], v[10:11], v[2:3]
	s_delay_alu instid0(VALU_DEP_4) | instskip(SKIP_3) | instid1(VALU_DEP_3)
	v_lshrrev_b32_e32 v42, 29, v42
	v_dual_min_num_f64 v[8:9], v[8:9], v[2:3] :: v_dual_add_nc_u32 v41, v35, v41
	v_min_num_f64_e32 v[12:13], v[12:13], v[2:3]
	v_dual_min_num_f64 v[14:15], v[14:15], v[2:3] :: v_dual_min_i32 v25, s5, v1
	v_dual_mov_b32 v39, v37 :: v_dual_ashrrev_i32 v41, 3, v41
	v_min_num_f64_e32 v[16:17], v[16:17], v[2:3]
	v_min_num_f64_e32 v[2:3], v[18:19], v[2:3]
	v_dual_add_nc_u32 v19, v78, v42 :: v_dual_bitop2_b32 v42, 3, v0 bitop3:0x40
	s_delay_alu instid0(VALU_DEP_4) | instskip(SKIP_2) | instid1(VALU_DEP_4)
	v_dual_lshlrev_b32 v18, 2, v40 :: v_dual_lshlrev_b32 v41, 2, v41
	v_mad_u32 v51, 0x104, v21, v22
	v_mad_u32 v53, 0x104, v25, v22
	v_lshlrev_b32_e32 v40, 2, v42
	v_dual_ashrrev_i32 v19, 3, v19 :: v_dual_bitop2_b32 v30, 63, v30 bitop3:0x40
	v_add3_u32 v65, v18, v46, 0xae40
	v_cvt_i32_f64_e32 v4, v[4:5]
	s_delay_alu instid0(VALU_DEP_4) | instskip(NEXT) | instid1(VALU_DEP_4)
	v_add3_u32 v41, v41, v40, 0xa200
	v_dual_lshlrev_b32 v18, 2, v19 :: v_dual_bitop2_b32 v45, s15, v30 bitop3:0x54
	v_cvt_i32_f64_e32 v6, v[6:7]
	v_lshlrev_b32_e32 v5, 4, v78
	v_or_b32_e32 v7, 0x8200, v36
	s_delay_alu instid0(VALU_DEP_4)
	v_min_i32_e32 v45, s7, v45
	v_add3_u32 v18, v18, v40, 0xa200
	v_add_min_i32_e64 v19, 0x48, v43, s5
	v_mad_u32 v57, 0x104, v26, v22
	v_cvt_i32_f64_e32 v10, v[10:11]
	v_mad_u32 v67, v45, s4, v42
	v_cvt_i32_f64_e32 v8, v[8:9]
	v_lshlrev_b32_e32 v42, 4, v35
	v_cvt_i32_f64_e32 v12, v[12:13]
	v_cvt_i32_f64_e32 v14, v[14:15]
	v_dual_lshlrev_b32 v9, 7, v43 :: v_dual_lshlrev_b32 v11, 7, v1
	v_dual_lshlrev_b32 v13, 7, v23 :: v_dual_lshlrev_b32 v15, 7, v24
	v_cvt_i32_f64_e32 v16, v[16:17]
	v_cvt_i32_f64_e32 v45, v[2:3]
	v_dual_lshlrev_b32 v17, 7, v28 :: v_dual_lshlrev_b32 v2, 7, v31
	v_dual_add_nc_u32 v69, v41, v42 :: v_dual_add_nc_u32 v71, v18, v5
	v_dual_lshlrev_b32 v3, 7, v34 :: v_dual_lshlrev_b32 v5, 7, v44
	s_delay_alu instid0(VALU_DEP_3)
	v_dual_add_nc_u32 v83, v7, v17 :: v_dual_add_nc_u32 v85, v7, v2
	v_dual_lshlrev_b32 v17, 2, v47 :: v_dual_mov_b32 v41, v37
	v_mul_lo_u32 v193, s4, v4
	v_dual_add_nc_u32 v4, 32, v47 :: v_dual_add_nc_u32 v73, v7, v9
	v_add_nc_u32_e32 v75, v7, v11
	v_mul_lo_u32 v194, s4, v6
	v_dual_add_nc_u32 v6, 64, v47 :: v_dual_add_nc_u32 v77, v7, v13
	v_add_nc_u32_e32 v81, v7, v15
	v_dual_add_nc_u32 v180, v7, v3 :: v_dual_add_nc_u32 v181, v7, v5
	v_add_min_i32_e64 v5, 0x50, v43, s5
	v_add_min_i32_e64 v7, 0x58, v43, s5
	v_mul_lo_u32 v195, s4, v8
	v_add_nc_u32_e32 v8, 0x60, v47
	v_add_min_i32_e64 v9, 0x60, v43, s5
	v_add_min_i32_e64 v11, 0x68, v43, s5
	;; [unrolled: 1-line block ×4, first 2 shown]
	v_lshl_or_b32 v18, v30, 4, v40
	v_mul_lo_u32 v196, s4, v10
	v_mul_lo_u32 v197, s4, v12
	v_bfe_u32 v42, v0, 5, 5
	v_dual_lshrrev_b32 v200, 3, v4 :: v_dual_lshrrev_b32 v10, 3, v6
	v_dual_lshrrev_b32 v12, 3, v8 :: v_dual_bitop2_b32 v2, 28, v17 bitop3:0x40
	v_mov_b32_e32 v3, v37
	v_mad_u32 v59, 0x104, v27, v22
	v_mad_u32 v61, 0x104, v29, v22
	;; [unrolled: 1-line block ×13, first 2 shown]
	v_mul_lo_u32 v198, s4, v14
	v_mul_lo_u32 v199, s4, v16
	;; [unrolled: 1-line block ×22, first 2 shown]
	v_add_nc_u32_e32 v192, 0xaa40, v18
	v_dual_lshlrev_b32 v14, 2, v42 :: v_dual_bitop2_b32 v16, 60, v200 bitop3:0x40
	v_dual_lshlrev_b32 v207, 5, v1 :: v_dual_bitop2_b32 v18, 60, v10 bitop3:0x40
	;; [unrolled: 1-line block ×3, first 2 shown]
	v_lshlrev_b32_e32 v211, 5, v31
	v_bfe_u32 v202, v0, 3, 7
	v_cmp_lt_u16_e32 vcc_lo, 7, v20
	s_mul_i32 s12, s17, s16
	v_dual_lshlrev_b32 v213, 5, v44 :: v_dual_lshlrev_b32 v217, 2, v17
	s_movk_i32 s4, 0x2080
	s_movk_i32 s5, 0x4100
	;; [unrolled: 1-line block ×3, first 2 shown]
	s_wait_kmcnt 0x0
	v_add_nc_u64_e32 v[44:45], s[2:3], v[2:3]
	v_mov_b64_e32 v[96:97], 0
	v_mov_b64_e32 v[90:91], 0
	;; [unrolled: 1-line block ×16, first 2 shown]
	s_ashr_i32 s13, s12, 31
	v_add3_u32 v203, v14, v17, 0xae40
	v_add3_u32 v204, v17, v16, 0xae40
	;; [unrolled: 1-line block ×4, first 2 shown]
	v_dual_lshlrev_b32 v209, 5, v24 :: v_dual_lshlrev_b32 v212, 5, v34
	v_dual_lshlrev_b32 v210, 5, v28 :: v_dual_lshlrev_b32 v215, 4, v6
	;; [unrolled: 1-line block ×4, first 2 shown]
	v_lshlrev_b32_e32 v219, 2, v12
	v_cndmask_b32_e64 v220, 0, 2, vcc_lo
	v_mul_u32_u24_e32 v221, 0x104, v47
	v_mad_u32_u24 v222, 0x104, v47, s4
	v_mad_u32_u24 v223, 0x104, v47, s5
	;; [unrolled: 1-line block ×3, first 2 shown]
	v_lshlrev_b32_e32 v226, 2, v200
	s_mul_u64 s[12:13], s[12:13], 0xd2
	s_mov_b32 s10, s11
	s_add_nc_u64 s[0:1], s[0:1], s[12:13]
.LBB156_5:                              ; =>This Loop Header: Depth=1
                                        ;     Child Loop BB156_6 Depth 2
                                        ;     Child Loop BB156_8 Depth 2
	s_mul_u64 s[4:5], s[10:11], 0xd2
	s_lshl_b32 s7, s10, 3
	s_add_nc_u64 s[4:5], s[0:1], s[4:5]
	s_mov_b32 s12, 0
	v_mad_nc_u64_u32 v[0:1], 0xd2, v42, s[4:5]
	v_add_nc_u32_e32 v174, s7, v67
	s_delay_alu instid0(VALU_DEP_2)
	v_mad_nc_i64_i32 v[2:3], 0xd2, v46, v[0:1]
	v_mad_nc_i64_i32 v[4:5], 0xd2, v48, v[0:1]
	;; [unrolled: 1-line block ×11, first 2 shown]
	v_add_nc_u64_e32 v[14:15], v[2:3], v[36:37]
	v_add_nc_u64_e32 v[2:3], v[2:3], v[38:39]
	;; [unrolled: 1-line block ×12, first 2 shown]
	s_clause 0x2
	global_load_b32 v11, v[14:15], off
	global_load_b32 v13, v[2:3], off offset:128
	global_load_b32 v12, v[18:19], off
	s_wait_xcnt 0x1
	v_add_nc_u64_e32 v[2:3], v[16:17], v[36:37]
	s_clause 0x1
	global_load_b32 v15, v[4:5], off offset:128
	global_load_b32 v14, v[22:23], off
	s_wait_xcnt 0x1
	v_add_nc_u64_e32 v[4:5], v[16:17], v[38:39]
	s_clause 0x1
	;; [unrolled: 5-line block ×6, first 2 shown]
	global_load_b32 v28, v[4:5], off offset:128
	global_load_b32 v26, v[6:7], off
	global_load_b32 v27, v[8:9], off offset:128
	global_load_b32 v24, v[30:31], off
	global_load_b32 v25, v[2:3], off offset:128
	s_wait_xcnt 0x3
	v_add_nc_u32_e32 v6, s7, v202
	s_wait_xcnt 0x0
	v_mad_nc_i64_i32 v[2:3], 0xd2, v82, s[4:5]
	v_mad_nc_i64_i32 v[4:5], 0xd2, v84, s[4:5]
	v_mad_nc_u64_u32 v[32:33], v174, 36, s[2:3]
	v_mad_nc_i64_i32 v[30:31], 0xd2, v80, s[4:5]
	v_dual_add_nc_u32 v7, v6, v193 :: v_dual_add_nc_u32 v8, v6, v194
	v_dual_add_nc_u32 v9, v6, v195 :: v_dual_add_nc_u32 v10, v6, v196
	;; [unrolled: 1-line block ×3, first 2 shown]
	s_delay_alu instid0(VALU_DEP_3)
	v_mad_nc_i64_i32 v[34:35], v7, 36, v[44:45]
	v_mad_nc_i64_i32 v[134:135], 0xd2, v68, v[0:1]
	v_dual_add_nc_u32 v126, v6, v199 :: v_dual_add_nc_u32 v6, v6, v201
	v_mad_nc_i64_i32 v[116:117], v8, 36, v[44:45]
	v_mad_nc_i64_i32 v[118:119], v9, 36, v[44:45]
	v_mad_nc_i64_i32 v[136:137], 0xd2, v70, v[0:1]
	v_add_nc_u64_e32 v[138:139], v[2:3], v[40:41]
	v_mad_nc_i64_i32 v[120:121], v10, 36, v[44:45]
	v_add_nc_u64_e32 v[140:141], v[4:5], v[40:41]
	v_mad_nc_i64_i32 v[142:143], 0xd2, v72, v[0:1]
	v_mad_nc_i64_i32 v[144:145], 0xd2, v74, v[0:1]
	;; [unrolled: 1-line block ×7, first 2 shown]
	global_load_b32 v6, v[32:33], off
	s_clause 0x2
	global_load_u16 v29, v[30:31], off offset:208
	global_load_b32 v4, v[138:139], off offset:192
	global_load_b32 v5, v[140:141], off offset:192
	s_clause 0x7
	global_load_b32 v0, v[34:35], off offset:4
	global_load_b32 v7, v[116:117], off offset:4
	;; [unrolled: 1-line block ×8, first 2 shown]
	s_wait_xcnt 0xa
	v_add_nc_u64_e32 v[30:31], v[130:131], v[36:37]
	v_add_nc_u64_e32 v[32:33], v[130:131], v[38:39]
	s_wait_xcnt 0x7
	v_add_nc_u64_e32 v[34:35], v[132:133], v[36:37]
	s_wait_xcnt 0x6
	;; [unrolled: 2-line block ×8, first 2 shown]
	v_add_nc_u64_e32 v[128:129], v[142:143], v[38:39]
	v_add_nc_u64_e32 v[130:131], v[144:145], v[36:37]
	;; [unrolled: 1-line block ×5, first 2 shown]
	s_clause 0xd
	global_load_b32 v138, v[30:31], off
	global_load_b32 v139, v[32:33], off offset:128
	global_load_b32 v140, v[34:35], off
	global_load_b32 v141, v[116:117], off offset:128
	;; [unrolled: 2-line block ×7, first 2 shown]
	s_mov_b32 s4, -1
	s_wait_loadcnt 0x2b
	s_wait_xcnt 0xd
	v_and_b32_e32 v30, 0xf0f0f0f, v11
	s_wait_loadcnt 0x2a
	v_dual_lshrrev_b32 v11, 4, v11 :: v_dual_ashrrev_i32 v13, v220, v13
	s_wait_loadcnt 0x29
	v_and_b32_e32 v31, 0xf0f0f0f, v12
	s_wait_loadcnt 0x28
	v_dual_lshrrev_b32 v12, 4, v12 :: v_dual_ashrrev_i32 v15, v220, v15
	s_wait_loadcnt 0x27
	s_wait_xcnt 0xc
	v_and_b32_e32 v32, 0xf0f0f0f, v14
	s_wait_loadcnt 0x26
	v_dual_lshrrev_b32 v14, 4, v14 :: v_dual_ashrrev_i32 v17, v220, v17
	s_wait_loadcnt 0x25
	v_and_b32_e32 v33, 0xf0f0f0f, v16
	s_wait_loadcnt 0x24
	v_dual_lshrrev_b32 v16, 4, v16 :: v_dual_ashrrev_i32 v19, v220, v19
	;; [unrolled: 9-line block ×4, first 2 shown]
	v_and_b32_e32 v11, 0xf0f0f0f, v11
	s_wait_xcnt 0x8
	v_dual_lshlrev_b32 v119, 4, v13 :: v_dual_lshlrev_b32 v120, 4, v15
	s_wait_loadcnt 0x1b
	v_and_b32_e32 v118, 0xf0f0f0f, v24
	s_wait_loadcnt 0x1a
	v_dual_lshrrev_b32 v24, 4, v24 :: v_dual_ashrrev_i32 v25, v220, v25
	v_and_b32_e32 v12, 0xf0f0f0f, v12
	v_and_b32_e32 v14, 0xf0f0f0f, v14
	s_wait_xcnt 0x7
	v_dual_lshlrev_b32 v121, 4, v17 :: v_dual_lshlrev_b32 v122, 4, v19
	v_and_b32_e32 v16, 0xf0f0f0f, v16
	v_and_b32_e32 v18, 0xf0f0f0f, v18
	s_wait_xcnt 0x6
	v_dual_lshlrev_b32 v123, 4, v21 :: v_dual_lshlrev_b32 v124, 4, v23
	;; [unrolled: 4-line block ×3, first 2 shown]
	v_and_or_b32 v30, 0x30303030, v119, v30
	v_and_or_b32 v11, 0x30303030, v13, v11
	v_and_b32_e32 v26, 0xf0f0f0f, v26
	v_lshlrev_b32_e32 v127, 4, v25
	v_and_or_b32 v13, 0x30303030, v120, v31
	v_and_or_b32 v12, 0x30303030, v15, v12
	;; [unrolled: 1-line block ×13, first 2 shown]
	v_lshrrev_b32_e32 v31, 16, v30
	v_lshlrev_b16 v32, 8, v30
	v_dual_lshrrev_b32 v33, 16, v11 :: v_dual_lshrrev_b32 v35, 16, v13
	v_lshlrev_b16 v34, 8, v11
	v_and_or_b32 v26, 0x30303030, v27, v26
	v_and_or_b32 v27, 0x30303030, v127, v118
	v_lshlrev_b16 v116, 8, v13
	v_dual_lshrrev_b32 v117, 16, v12 :: v_dual_lshrrev_b32 v119, 16, v15
	v_lshlrev_b16 v118, 8, v12
	v_lshlrev_b16 v120, 8, v15
	v_dual_lshrrev_b32 v121, 16, v14 :: v_dual_lshrrev_b32 v123, 16, v17
	v_lshlrev_b16 v122, 8, v14
	;; [unrolled: 3-line block ×3, first 2 shown]
	s_wait_xcnt 0x4
	v_lshlrev_b16 v128, 8, v19
	s_wait_xcnt 0x3
	v_dual_lshrrev_b32 v129, 16, v18 :: v_dual_lshrrev_b32 v131, 16, v21
	v_lshlrev_b16 v130, 8, v18
	s_wait_xcnt 0x2
	v_lshlrev_b16 v132, 8, v21
	s_wait_xcnt 0x1
	v_dual_lshrrev_b32 v133, 16, v20 :: v_dual_lshrrev_b32 v135, 16, v23
	v_lshlrev_b16 v134, 8, v20
	s_wait_xcnt 0x0
	v_lshlrev_b16 v136, 8, v23
	v_dual_lshrrev_b32 v137, 16, v22 :: v_dual_lshrrev_b32 v153, 16, v28
	v_lshlrev_b16 v152, 8, v22
	v_lshlrev_b16 v154, 8, v28
	v_add_nc_u16 v32, 0xe000, v32
	v_lshlrev_b16 v158, 8, v31
	v_add_nc_u16 v34, 0xe000, v34
	;; [unrolled: 2-line block ×15, first 2 shown]
	v_lshlrev_b16 v172, 8, v153
	v_lshrrev_b16 v32, 8, v32
	v_add_nc_u16 v158, 0xe000, v158
	v_lshrrev_b16 v34, 8, v34
	v_add_nc_u16 v159, 0xe000, v159
	;; [unrolled: 2-line block ×15, first 2 shown]
	v_bitop3_b16 v30, v30, v32, 0x3f00 bitop3:0xec
	v_lshrrev_b16 v32, 8, v158
	v_bitop3_b16 v11, v11, v34, 0x3f00 bitop3:0xec
	v_lshrrev_b16 v34, 8, v159
	;; [unrolled: 2-line block ×10, first 2 shown]
	v_dual_lshrrev_b32 v155, 16, v26 :: v_dual_lshrrev_b32 v157, 16, v27
	v_lshlrev_b16 v156, 8, v26
	v_bitop3_b16 v21, v21, v132, 0x3f00 bitop3:0xec
	v_lshrrev_b16 v132, 8, v168
	v_bitop3_b16 v20, v20, v134, 0x3f00 bitop3:0xec
	v_lshrrev_b16 v134, 8, v169
	;; [unrolled: 2-line block ×5, first 2 shown]
	v_bitop3_b16 v31, v31, v32, 0x3f00 bitop3:0xec
	v_bitop3_b16 v32, v33, v34, 0x3f00 bitop3:0xec
	;; [unrolled: 1-line block ×10, first 2 shown]
	v_add_nc_u16 v156, 0xe000, v156
	v_lshlrev_b16 v173, 8, v155
	v_add_nc_u16 v30, 0xe000, v30
	v_add_nc_u16 v11, 0xe000, v11
	v_bitop3_b16 v121, v131, v132, 0x3f00 bitop3:0xec
	v_bitop3_b16 v122, v133, v134, 0x3f00 bitop3:0xec
	v_bitop3_b16 v123, v135, v136, 0x3f00 bitop3:0xec
	v_bitop3_b16 v124, v137, v152, 0x3f00 bitop3:0xec
	v_bitop3_b16 v125, v153, v154, 0x3f00 bitop3:0xec
	v_add_nc_u16 v31, 0xe000, v31
	v_add_nc_u16 v32, 0xe000, v32
	;; [unrolled: 1-line block ×18, first 2 shown]
	v_lshrrev_b16 v156, 8, v156
	v_add_nc_u16 v173, 0xe000, v173
	v_add_nc_u16 v21, 0xe000, v21
	;; [unrolled: 1-line block ×5, first 2 shown]
	v_and_b32_e32 v30, 0xffff, v30
	v_and_b32_e32 v11, 0xffff, v11
	v_add_nc_u16 v121, 0xe000, v121
	v_add_nc_u16 v122, 0xe000, v122
	v_add_nc_u16 v123, 0xe000, v123
	v_add_nc_u16 v124, 0xe000, v124
	v_add_nc_u16 v125, 0xe000, v125
	v_dual_lshlrev_b32 v31, 16, v31 :: v_dual_lshlrev_b32 v32, 16, v32
	v_and_b32_e32 v13, 0xffff, v13
	v_and_b32_e32 v12, 0xffff, v12
	v_dual_lshlrev_b32 v33, 16, v33 :: v_dual_lshlrev_b32 v34, 16, v34
	v_and_b32_e32 v15, 0xffff, v15
	v_and_b32_e32 v14, 0xffff, v14
	;; [unrolled: 3-line block ×4, first 2 shown]
	v_dual_lshlrev_b32 v119, 16, v119 :: v_dual_lshlrev_b32 v120, 16, v120
	v_and_b32_e32 v24, 0xf0f0f0f, v24
	v_bitop3_b16 v26, v26, v156, 0x3f00 bitop3:0xec
	v_lshrrev_b16 v156, 8, v173
	v_and_b32_e32 v21, 0xffff, v21
	v_and_b32_e32 v20, 0xffff, v20
	;; [unrolled: 1-line block ×4, first 2 shown]
	v_dual_lshlrev_b32 v121, 16, v121 :: v_dual_lshlrev_b32 v122, 16, v122
	v_dual_lshlrev_b32 v123, 16, v123 :: v_dual_lshlrev_b32 v124, 16, v124
	v_dual_lshlrev_b32 v125, 16, v125 :: v_dual_bitop2_b32 v30, v30, v31 bitop3:0x54
	v_or_b32_e32 v11, v11, v32
	v_or_b32_e32 v13, v13, v33
	;; [unrolled: 1-line block ×9, first 2 shown]
	v_bitop3_b16 v126, v155, v156, 0x3f00 bitop3:0xec
	v_or_b32_e32 v21, v21, v121
	v_or_b32_e32 v20, v20, v122
	;; [unrolled: 1-line block ×4, first 2 shown]
	ds_store_2addr_b32 v51, v30, v11 offset1:16
	ds_store_2addr_b32 v53, v13, v12 offset1:16
	;; [unrolled: 1-line block ×7, first 2 shown]
	v_and_or_b32 v12, 0x30303030, v25, v24
	v_add_nc_u16 v11, 0xe000, v26
	v_add_nc_u16 v14, 0xe000, v126
	v_lshlrev_b16 v15, 8, v157
	v_lshlrev_b16 v13, 8, v27
	v_lshrrev_b32_e32 v16, 16, v12
	v_and_b32_e32 v11, 0xffff, v11
	v_lshlrev_b32_e32 v14, 16, v14
	v_add_nc_u16 v15, 0xe000, v15
	v_lshlrev_b16 v17, 8, v12
	v_lshlrev_b16 v18, 8, v16
	v_add_nc_u16 v13, 0xe000, v13
	v_or_b32_e32 v11, v11, v14
	v_lshrrev_b16 v14, 8, v15
	v_add_nc_u16 v15, 0xe000, v17
	v_add_nc_u16 v17, 0xe000, v18
	s_wait_loadcnt 0xc
	v_ashrrev_i32_e32 v18, v220, v139
	v_lshrrev_b16 v13, 8, v13
	v_and_b32_e32 v19, 0xf0f0f0f, v138
	v_lshrrev_b16 v15, 8, v15
	v_lshrrev_b16 v17, 8, v17
	v_lshlrev_b32_e32 v20, 4, v18
	v_bitop3_b16 v13, v27, v13, 0x3f00 bitop3:0xec
	v_bitop3_b16 v14, v157, v14, 0x3f00 bitop3:0xec
	;; [unrolled: 1-line block ×4, first 2 shown]
	v_and_or_b32 v16, 0x30303030, v20, v19
	v_add_nc_u16 v28, 0xe000, v28
	v_add_nc_u16 v13, 0xe000, v13
	;; [unrolled: 1-line block ×5, first 2 shown]
	v_dual_lshrrev_b32 v17, 16, v16 :: v_dual_lshrrev_b32 v19, 4, v138
	v_and_b32_e32 v28, 0xffff, v28
	v_and_b32_e32 v13, 0xffff, v13
	v_lshlrev_b32_e32 v14, 16, v14
	v_and_b32_e32 v12, 0xffff, v12
	v_lshlrev_b16 v20, 8, v16
	v_lshlrev_b32_e32 v15, 16, v15
	v_lshlrev_b16 v21, 8, v17
	v_and_b32_e32 v19, 0xf0f0f0f, v19
	v_or_b32_e32 v28, v28, v125
	v_or_b32_e32 v13, v13, v14
	v_add_nc_u16 v14, 0xe000, v20
	v_or_b32_e32 v12, v12, v15
	v_add_nc_u16 v15, 0xe000, v21
	v_and_or_b32 v18, 0x30303030, v18, v19
	ds_store_2addr_b32 v183, v28, v11 offset1:16
	v_lshrrev_b16 v11, 8, v14
	ds_store_2addr_b32 v184, v13, v12 offset1:16
	v_lshrrev_b16 v12, 8, v15
	s_wait_loadcnt 0xa
	v_dual_lshrrev_b32 v13, 16, v18 :: v_dual_ashrrev_i32 v15, v220, v141
	v_bitop3_b16 v11, v16, v11, 0x3f00 bitop3:0xec
	v_lshlrev_b16 v14, 8, v18
	v_bitop3_b16 v12, v17, v12, 0x3f00 bitop3:0xec
	s_delay_alu instid0(VALU_DEP_4)
	v_lshlrev_b16 v16, 8, v13
	v_and_b32_e32 v17, 0xf0f0f0f, v140
	v_lshlrev_b32_e32 v19, 4, v15
	v_add_nc_u16 v14, 0xe000, v14
	v_add_nc_u16 v11, 0xe000, v11
	;; [unrolled: 1-line block ×4, first 2 shown]
	v_and_or_b32 v17, 0x30303030, v19, v17
	v_lshrrev_b16 v14, 8, v14
	v_and_b32_e32 v11, 0xffff, v11
	v_lshrrev_b16 v16, 8, v16
	s_delay_alu instid0(VALU_DEP_4) | instskip(NEXT) | instid1(VALU_DEP_4)
	v_dual_lshlrev_b32 v12, 16, v12 :: v_dual_lshrrev_b32 v19, 16, v17
	v_bitop3_b16 v14, v18, v14, 0x3f00 bitop3:0xec
	v_lshlrev_b16 v18, 8, v17
	s_delay_alu instid0(VALU_DEP_4)
	v_bitop3_b16 v13, v13, v16, 0x3f00 bitop3:0xec
	v_lshrrev_b32_e32 v16, 4, v140
	v_lshlrev_b16 v20, 8, v19
	v_add_nc_u16 v14, 0xe000, v14
	v_add_nc_u16 v18, 0xe000, v18
	;; [unrolled: 1-line block ×3, first 2 shown]
	v_and_b32_e32 v16, 0xf0f0f0f, v16
	v_add_nc_u16 v20, 0xe000, v20
	v_and_b32_e32 v14, 0xffff, v14
	v_lshrrev_b16 v18, 8, v18
	v_lshlrev_b32_e32 v13, 16, v13
	v_and_or_b32 v15, 0x30303030, v15, v16
	v_lshrrev_b16 v16, 8, v20
	v_or_b32_e32 v11, v11, v12
	v_bitop3_b16 v12, v17, v18, 0x3f00 bitop3:0xec
	s_wait_loadcnt 0x9
	v_and_b32_e32 v18, 0xf0f0f0f, v142
	v_lshlrev_b16 v17, 8, v15
	v_bitop3_b16 v16, v19, v16, 0x3f00 bitop3:0xec
	v_lshrrev_b32_e32 v19, 4, v142
	v_add_nc_u16 v12, 0xe000, v12
	v_cvt_f32_f16_e32 v6, v6
	s_delay_alu instid0(VALU_DEP_4) | instskip(SKIP_1) | instid1(VALU_DEP_4)
	v_add_nc_u16 v16, 0xe000, v16
	v_dual_lshrrev_b32 v14, 16, v15 :: v_dual_bitop2_b32 v13, v14, v13 bitop3:0x54
	v_and_b32_e32 v12, 0xffff, v12
	s_delay_alu instid0(VALU_DEP_3)
	v_lshlrev_b32_e32 v16, 16, v16
	ds_store_2addr_b32 v185, v11, v13 offset1:16
	v_lshlrev_b16 v11, 8, v14
	v_add_nc_u16 v13, 0xe000, v17
	s_wait_loadcnt 0x8
	v_ashrrev_i32_e32 v17, v220, v143
	v_or_b32_e32 v12, v12, v16
	v_add_nc_u16 v11, 0xe000, v11
	v_lshrrev_b16 v13, 8, v13
	s_delay_alu instid0(VALU_DEP_4) | instskip(NEXT) | instid1(VALU_DEP_3)
	v_lshlrev_b32_e32 v20, 4, v17
	v_lshrrev_b16 v11, 8, v11
	s_delay_alu instid0(VALU_DEP_3) | instskip(SKIP_1) | instid1(VALU_DEP_4)
	v_bitop3_b16 v13, v15, v13, 0x3f00 bitop3:0xec
	v_and_b32_e32 v15, 0xf0f0f0f, v19
	v_and_or_b32 v18, 0x30303030, v20, v18
	s_delay_alu instid0(VALU_DEP_4) | instskip(NEXT) | instid1(VALU_DEP_4)
	v_bitop3_b16 v11, v14, v11, 0x3f00 bitop3:0xec
	v_add_nc_u16 v13, 0xe000, v13
	s_delay_alu instid0(VALU_DEP_4) | instskip(NEXT) | instid1(VALU_DEP_4)
	v_and_or_b32 v14, 0x30303030, v17, v15
	v_lshlrev_b16 v15, 8, v18
	s_delay_alu instid0(VALU_DEP_4) | instskip(SKIP_2) | instid1(VALU_DEP_4)
	v_add_nc_u16 v11, 0xe000, v11
	v_lshrrev_b32_e32 v16, 16, v18
	v_and_b32_e32 v13, 0xffff, v13
	v_add_nc_u16 v15, 0xe000, v15
	v_lshlrev_b16 v20, 8, v14
	v_dual_lshlrev_b32 v11, 16, v11 :: v_dual_lshrrev_b32 v17, 16, v14
	v_lshlrev_b16 v19, 8, v16
	s_delay_alu instid0(VALU_DEP_4) | instskip(NEXT) | instid1(VALU_DEP_3)
	v_lshrrev_b16 v15, 8, v15
	v_or_b32_e32 v11, v13, v11
	s_delay_alu instid0(VALU_DEP_4) | instskip(NEXT) | instid1(VALU_DEP_4)
	v_lshlrev_b16 v21, 8, v17
	v_add_nc_u16 v13, 0xe000, v19
	v_add_nc_u16 v19, 0xe000, v20
	v_bitop3_b16 v15, v18, v15, 0x3f00 bitop3:0xec
	s_wait_loadcnt 0x6
	v_ashrrev_i32_e32 v18, v220, v145
	v_add_nc_u16 v20, 0xe000, v21
	v_lshrrev_b16 v13, 8, v13
	v_lshrrev_b16 v19, 8, v19
	v_and_b32_e32 v21, 0xf0f0f0f, v144
	v_add_nc_u16 v15, 0xe000, v15
	v_lshrrev_b16 v20, 8, v20
	v_bitop3_b16 v13, v16, v13, 0x3f00 bitop3:0xec
	v_bitop3_b16 v14, v14, v19, 0x3f00 bitop3:0xec
	ds_store_2addr_b32 v186, v12, v11 offset1:16
	v_and_b32_e32 v15, 0xffff, v15
	v_bitop3_b16 v16, v17, v20, 0x3f00 bitop3:0xec
	v_add_nc_u16 v13, 0xe000, v13
	v_dual_lshrrev_b32 v20, 4, v144 :: v_dual_lshlrev_b32 v22, 4, v18
	v_add_nc_u16 v14, 0xe000, v14
	s_delay_alu instid0(VALU_DEP_4) | instskip(NEXT) | instid1(VALU_DEP_4)
	v_add_nc_u16 v16, 0xe000, v16
	v_lshlrev_b32_e32 v13, 16, v13
	s_delay_alu instid0(VALU_DEP_4) | instskip(SKIP_2) | instid1(VALU_DEP_4)
	v_and_b32_e32 v20, 0xf0f0f0f, v20
	v_and_or_b32 v17, 0x30303030, v22, v21
	v_and_b32_e32 v14, 0xffff, v14
	v_dual_lshlrev_b32 v16, 16, v16 :: v_dual_bitop2_b32 v13, v15, v13 bitop3:0x54
	s_delay_alu instid0(VALU_DEP_4) | instskip(NEXT) | instid1(VALU_DEP_4)
	v_and_or_b32 v12, 0x30303030, v18, v20
	v_lshlrev_b16 v19, 8, v17
	s_delay_alu instid0(VALU_DEP_3) | instskip(SKIP_2) | instid1(VALU_DEP_3)
	v_dual_lshrrev_b32 v15, 16, v17 :: v_dual_bitop2_b32 v14, v14, v16 bitop3:0x54
	s_wait_loadcnt 0x5
	v_and_b32_e32 v18, 0xf0f0f0f, v146
	v_add_nc_u16 v19, 0xe000, v19
	s_delay_alu instid0(VALU_DEP_3)
	v_lshlrev_b16 v11, 8, v15
	ds_store_2addr_b32 v187, v13, v14 offset1:16
	s_wait_loadcnt 0x4
	v_ashrrev_i32_e32 v14, v220, v147
	v_lshrrev_b16 v16, 8, v19
	v_add_nc_u16 v11, 0xe000, v11
	s_delay_alu instid0(VALU_DEP_2) | instskip(SKIP_1) | instid1(VALU_DEP_3)
	v_bitop3_b16 v13, v17, v16, 0x3f00 bitop3:0xec
	v_lshrrev_b32_e32 v16, 16, v12
	v_lshrrev_b16 v11, 8, v11
	v_lshlrev_b16 v17, 8, v12
	s_delay_alu instid0(VALU_DEP_4) | instskip(NEXT) | instid1(VALU_DEP_4)
	v_add_nc_u16 v13, 0xe000, v13
	v_lshlrev_b16 v20, 8, v16
	s_delay_alu instid0(VALU_DEP_4) | instskip(NEXT) | instid1(VALU_DEP_4)
	v_bitop3_b16 v11, v15, v11, 0x3f00 bitop3:0xec
	v_add_nc_u16 v17, 0xe000, v17
	s_delay_alu instid0(VALU_DEP_4) | instskip(NEXT) | instid1(VALU_DEP_4)
	v_and_b32_e32 v13, 0xffff, v13
	v_add_nc_u16 v15, 0xe000, v20
	s_delay_alu instid0(VALU_DEP_4) | instskip(SKIP_2) | instid1(VALU_DEP_4)
	v_add_nc_u16 v11, 0xe000, v11
	v_lshlrev_b32_e32 v19, 4, v14
	v_lshrrev_b16 v17, 8, v17
	v_lshrrev_b16 v15, 8, v15
	s_delay_alu instid0(VALU_DEP_4) | instskip(NEXT) | instid1(VALU_DEP_4)
	v_lshlrev_b32_e32 v11, 16, v11
	v_and_or_b32 v18, 0x30303030, v19, v18
	s_delay_alu instid0(VALU_DEP_4) | instskip(NEXT) | instid1(VALU_DEP_4)
	v_bitop3_b16 v12, v12, v17, 0x3f00 bitop3:0xec
	v_bitop3_b16 v15, v16, v15, 0x3f00 bitop3:0xec
	s_delay_alu instid0(VALU_DEP_4) | instskip(NEXT) | instid1(VALU_DEP_4)
	v_or_b32_e32 v11, v13, v11
	v_lshlrev_b16 v17, 8, v18
	s_delay_alu instid0(VALU_DEP_4) | instskip(NEXT) | instid1(VALU_DEP_4)
	v_add_nc_u16 v12, 0xe000, v12
	v_add_nc_u16 v15, 0xe000, v15
	v_lshrrev_b32_e32 v19, 16, v18
	s_delay_alu instid0(VALU_DEP_4) | instskip(NEXT) | instid1(VALU_DEP_4)
	v_add_nc_u16 v16, 0xe000, v17
	v_and_b32_e32 v12, 0xffff, v12
	s_delay_alu instid0(VALU_DEP_4) | instskip(NEXT) | instid1(VALU_DEP_4)
	v_lshlrev_b32_e32 v15, 16, v15
	v_lshlrev_b16 v20, 8, v19
	s_delay_alu instid0(VALU_DEP_4) | instskip(NEXT) | instid1(VALU_DEP_2)
	v_lshrrev_b16 v16, 8, v16
	v_add_nc_u16 v17, 0xe000, v20
	v_lshrrev_b32_e32 v20, 4, v146
	s_delay_alu instid0(VALU_DEP_3)
	v_bitop3_b16 v13, v18, v16, 0x3f00 bitop3:0xec
	s_wait_loadcnt 0x3
	v_and_b32_e32 v18, 0xf0f0f0f, v148
	v_lshrrev_b16 v17, 8, v17
	v_and_b32_e32 v20, 0xf0f0f0f, v20
	v_add_nc_u16 v13, 0xe000, v13
	s_delay_alu instid0(VALU_DEP_3) | instskip(NEXT) | instid1(VALU_DEP_3)
	v_bitop3_b16 v16, v19, v17, 0x3f00 bitop3:0xec
	v_and_or_b32 v14, 0x30303030, v14, v20
	v_or_b32_e32 v12, v12, v15
	s_delay_alu instid0(VALU_DEP_4) | instskip(NEXT) | instid1(VALU_DEP_4)
	v_and_b32_e32 v13, 0xffff, v13
	v_add_nc_u16 v16, 0xe000, v16
	s_wait_loadcnt 0x2
	v_dual_ashrrev_i32 v15, v220, v149 :: v_dual_lshrrev_b32 v17, 16, v14
	v_lshlrev_b16 v20, 8, v14
	ds_store_2addr_b32 v188, v11, v12 offset1:16
	v_dual_lshlrev_b32 v16, 16, v16 :: v_dual_lshlrev_b32 v19, 4, v15
	v_lshlrev_b16 v21, 8, v17
	v_cvt_f32_f16_e32 v11, v29
	s_delay_alu instid0(VALU_DEP_3) | instskip(SKIP_3) | instid1(VALU_DEP_4)
	v_and_or_b32 v18, 0x30303030, v19, v18
	v_add_nc_u16 v19, 0xe000, v20
	v_lshrrev_b32_e32 v20, 4, v148
	v_add_nc_u16 v21, 0xe000, v21
	v_dual_lshrrev_b32 v22, 16, v18 :: v_dual_bitop2_b32 v13, v13, v16 bitop3:0x54
	v_lshlrev_b16 v16, 8, v18
	v_lshrrev_b16 v19, 8, v19
	v_and_b32_e32 v20, 0xf0f0f0f, v20
	v_lshrrev_b16 v21, 8, v21
	s_delay_alu instid0(VALU_DEP_4) | instskip(NEXT) | instid1(VALU_DEP_4)
	v_add_nc_u16 v16, 0xe000, v16
	v_bitop3_b16 v14, v14, v19, 0x3f00 bitop3:0xec
	s_delay_alu instid0(VALU_DEP_4) | instskip(NEXT) | instid1(VALU_DEP_4)
	v_and_or_b32 v15, 0x30303030, v15, v20
	v_bitop3_b16 v17, v17, v21, 0x3f00 bitop3:0xec
	v_lshlrev_b16 v19, 8, v22
	v_lshrrev_b16 v16, 8, v16
	v_add_nc_u16 v14, 0xe000, v14
	v_lshlrev_b16 v20, 8, v15
	v_add_nc_u16 v17, 0xe000, v17
	v_add_nc_u16 v19, 0xe000, v19
	v_bitop3_b16 v16, v18, v16, 0x3f00 bitop3:0xec
	v_and_b32_e32 v14, 0xffff, v14
	v_add_nc_u16 v18, 0xe000, v20
	s_wait_loadcnt 0x0
	v_dual_lshlrev_b32 v17, 16, v17 :: v_dual_ashrrev_i32 v20, v220, v151
	v_lshrrev_b16 v19, 8, v19
	v_lshrrev_b32_e32 v21, 4, v150
	v_lshrrev_b16 v18, 8, v18
	v_add_nc_u16 v16, 0xe000, v16
	v_lshlrev_b32_e32 v23, 4, v20
	v_bitop3_b16 v19, v22, v19, 0x3f00 bitop3:0xec
	v_and_b32_e32 v22, 0xf0f0f0f, v150
	v_and_b32_e32 v21, 0xf0f0f0f, v21
	v_bitop3_b16 v18, v15, v18, 0x3f00 bitop3:0xec
	v_and_b32_e32 v16, 0xffff, v16
	v_add_nc_u16 v19, 0xe000, v19
	v_and_or_b32 v22, 0x30303030, v23, v22
	v_and_or_b32 v20, 0x30303030, v20, v21
	v_lshrrev_b32_e32 v15, 16, v15
	v_add_nc_u16 v18, 0xe000, v18
	s_delay_alu instid0(VALU_DEP_4) | instskip(NEXT) | instid1(VALU_DEP_4)
	v_dual_lshlrev_b32 v19, 16, v19 :: v_dual_lshrrev_b32 v21, 16, v22
	v_lshrrev_b32_e32 v23, 16, v20
	s_delay_alu instid0(VALU_DEP_4)
	v_lshlrev_b16 v24, 8, v15
	v_lshlrev_b16 v25, 8, v22
	;; [unrolled: 1-line block ×5, first 2 shown]
	v_add_nc_u16 v24, 0xe000, v24
	v_add_nc_u16 v25, 0xe000, v25
	;; [unrolled: 1-line block ×5, first 2 shown]
	v_lshrrev_b16 v24, 8, v24
	v_lshrrev_b16 v25, 8, v25
	;; [unrolled: 1-line block ×5, first 2 shown]
	v_bitop3_b16 v15, v15, v24, 0x3f00 bitop3:0xec
	v_bitop3_b16 v22, v22, v25, 0x3f00 bitop3:0xec
	;; [unrolled: 1-line block ×5, first 2 shown]
	v_add_nc_u16 v15, 0xe000, v15
	v_add_nc_u16 v22, 0xe000, v22
	;; [unrolled: 1-line block ×5, first 2 shown]
	v_and_b32_e32 v18, 0xffff, v18
	v_lshlrev_b32_e32 v15, 16, v15
	v_and_b32_e32 v22, 0xffff, v22
	v_lshlrev_b32_e32 v21, 16, v21
	v_and_b32_e32 v20, 0xffff, v20
	v_dual_lshlrev_b32 v23, 16, v23 :: v_dual_bitop2_b32 v14, v14, v17 bitop3:0x54
	v_or_b32_e32 v16, v16, v19
	v_or_b32_e32 v15, v18, v15
	;; [unrolled: 1-line block ×3, first 2 shown]
	s_delay_alu instid0(VALU_DEP_4)
	v_or_b32_e32 v18, v20, v23
	ds_store_2addr_b32 v189, v13, v14 offset1:16
	ds_store_2addr_b32 v190, v16, v15 offset1:16
	;; [unrolled: 1-line block ×3, first 2 shown]
	ds_store_b32 v65, v11
	ds_store_b32 v69, v4
	;; [unrolled: 1-line block ×12, first 2 shown]
	s_wait_dscnt 0x0
	s_barrier_signal -1
	s_barrier_wait -1
	ds_load_b32 v24, v203
	ds_load_b32 v26, v204 offset:128
	ds_load_b32 v28, v205 offset:256
	;; [unrolled: 1-line block ×3, first 2 shown]
	s_wait_dscnt 0x2
	v_dual_mov_b32 v25, v24 :: v_dual_mov_b32 v27, v26
	s_wait_dscnt 0x0
	v_dual_mov_b32 v29, v28 :: v_dual_mov_b32 v31, v30
.LBB156_6:                              ;   Parent Loop BB156_5 Depth=1
                                        ; =>  This Inner Loop Header: Depth=2
	s_lshl_b32 s5, s12, 1
	s_lshr_b32 s13, s12, 1
	v_or_b32_e32 v0, s5, v55
	s_lshl_b32 s12, s12, 3
	s_add_co_i32 s13, s13, 0xa200
	s_and_b32 vcc_lo, exec_lo, s4
	v_add3_u32 v116, s13, v225, v217
	v_dual_lshlrev_b32 v1, 2, v0 :: v_dual_lshrrev_b32 v20, 1, v0
	v_add3_u32 v147, s13, v219, v216
	s_mov_b32 s4, 0
	ds_load_b128 v[8:11], v1 offset:33280
	ds_load_b128 v[12:15], v1 offset:33296
	ds_load_b128 v[4:7], v1 offset:33312
	ds_load_b128 v[0:3], v1 offset:33328
	v_add_nc_u32_e32 v117, s12, v221
	ds_load_2addr_b32 v[168:169], v117 offset0:6 offset1:7
	ds_load_2addr_b32 v[16:17], v117 offset0:4 offset1:5
	;; [unrolled: 1-line block ×3, first 2 shown]
	ds_load_2addr_b32 v[166:167], v117 offset1:1
	ds_load_b32 v130, v116
	ds_load_2addr_b32 v[170:171], v117 offset0:13 offset1:14
	ds_load_2addr_b32 v[148:149], v117 offset0:11 offset1:12
	;; [unrolled: 1-line block ×4, first 2 shown]
	s_set_vgpr_msb 64                       ;  msbs: dst=1 src0=0 src1=0 src2=0
	v_add_nc_u32_e32 v22 /*v278*/, s12, v224
	s_wait_dscnt 0xc
	s_set_vgpr_msb 0                        ;  msbs: dst=0 src0=0 src1=0 src2=0
	v_bfe_i32 v231, v10, 8, 8
	s_wait_dscnt 0xb
	v_ashrrev_i32_e32 v129, 24, v15
	s_wait_dscnt 0xa
	v_bfe_i32 v19, v6, 8, 8
	s_wait_dscnt 0x9
	v_bfe_i32 v32, v2, 8, 8
	v_perm_b32 v227, v0, v0, 0xc0c0001
	v_perm_b32 v232, v0, v0, 0xc0c0302
	;; [unrolled: 1-line block ×3, first 2 shown]
	v_bfe_i32 v179, v1, 16, 8
	v_perm_b32 v234, v2, v1, 0xc0c0403
	s_wait_dscnt 0x3
	v_bfe_i32 v116, v171, 8, 8
	s_wait_dscnt 0x2
	v_perm_b32 v119, v149, v149, 0xc0c0001
	v_bfe_i32 v118, v170, 16, 8
	v_perm_b32 v1, v171, v171, 0xc0c0302
	v_perm_b32 v2, v2, v2, 0xc0c0302
	v_mul_i32_i24_e32 v116, v116, v32
	v_perm_b32 v235, v4, v4, 0xc0c0001
	v_perm_b32 v236, v4, v4, 0xc0c0302
	s_wait_dscnt 0x1
	v_perm_b32 v4, v172, v172, 0xc0c0001
	v_perm_b32 v243, v5, v5, 0xc0c0001
	v_dot4_i32_iu8 v116, v119, v227, v116 neg_lo:[1,1,0]
	v_perm_b32 v119, v149, v149, 0xc0c0302
	v_bfe_i32 v18, v5, 16, 8
	v_perm_b32 v244, v6, v5, 0xc0c0403
	v_bfe_i32 v22, v6, 0, 8
	v_perm_b32 v6, v6, v6, 0xc0c0302
	v_dot4_i32_iu8 v0, v232, v119, v116 neg_lo:[1,1,0]
	v_perm_b32 v116, v170, v170, 0xc0c0001
	v_perm_b32 v240, v9, v9, 0xc0c0001
	;; [unrolled: 1-line block ×5, first 2 shown]
	v_dot4_i32_iu8 v0, v233, v116, v0 neg_lo:[1,1,0]
	v_perm_b32 v116, v171, v170, 0xc0c0403
	v_bfe_i32 v33, v12, 8, 8
	v_perm_b32 v239, v12, v14, 0x6050401
	v_perm_b32 v246, v16, v168, 0x6050401
	v_mad_i32_i24 v0, v118, v179, v0
	v_bfe_i32 v35, v12, 16, 8
	v_perm_b32 v137, v13, v16, 0x6040503
	v_bfe_i32 v23, v14, 8, 8
	v_bfe_i32 v127, v14, 0, 8
	v_dot4_i32_iu8 v0, v234, v116, v0 neg_lo:[1,1,0]
	s_wait_dscnt 0x0
	v_perm_b32 v116, v150, v150, 0xc0c0001
	v_bfe_i32 v142, v14, 16, 8
	v_perm_b32 v249, v168, v17, 0x7060403
	v_lshrrev_b16 v21, 8, v13
	v_dot4_i32_iu8 v131, v2, v1, v0 neg_lo:[1,1,0]
	v_bfe_i32 v0, v173, 8, 8
	v_bfe_i32 v1, v172, 16, 8
	;; [unrolled: 1-line block ×4, first 2 shown]
	v_perm_b32 v144, v7, v7, 0xc0c0001
	v_mul_i32_i24_e32 v0, v0, v19
	v_ashrrev_i32_e32 v126, 24, v12
	v_bfe_i32 v21, v21, 0, 8
	v_bfe_i32 v140, v15, 0, 8
	;; [unrolled: 1-line block ×3, first 2 shown]
	v_dot4_i32_iu8 v0, v116, v235, v0 neg_lo:[1,1,0]
	v_perm_b32 v116, v150, v150, 0xc0c0302
	v_perm_b32 v253, v149, v149, 0x600010c
	s_set_vgpr_msb 64                       ;  msbs: dst=1 src0=0 src1=0 src2=0
	v_perm_b32 v0 /*v256*/, v17, v16, 0x6040503
	s_set_vgpr_msb 0                        ;  msbs: dst=0 src0=0 src1=0 src2=0
	v_bfe_i32 v229, v130, 8, 8
	v_bfe_i32 v247, v130, 16, 8
	v_dot4_i32_iu8 v0, v236, v116, v0 neg_lo:[1,1,0]
	v_dot4_i32_iu8 v131, v151, v3, v131 neg_lo:[1,1,0]
	v_bfe_i32 v230, v130, 0, 8
	s_set_vgpr_msb 64                       ;  msbs: dst=1 src0=0 src1=0 src2=0
	v_perm_b32 v1 /*v257*/, v166, v164, 0x6050401
	s_set_vgpr_msb 0                        ;  msbs: dst=0 src0=0 src1=0 src2=0
	v_ashrrev_i32_e32 v141, 24, v14
	v_dot4_i32_iu8 v0, v243, v4, v0 neg_lo:[1,1,0]
	v_perm_b32 v4, v167, v167, 0xc0c0001
	v_perm_b32 v14, v14, v13, 0x7060403
	v_ashrrev_i32_e32 v248, 24, v130
	s_delay_alu instid0(VALU_DEP_4) | instskip(SKIP_1) | instid1(VALU_DEP_1)
	v_mad_i32_i24 v0, v1, v18, v0
	v_perm_b32 v1, v173, v172, 0xc0c0403
	v_dot4_i32_iu8 v0, v244, v1, v0 neg_lo:[1,1,0]
	v_perm_b32 v1, v173, v173, 0xc0c0302
	s_delay_alu instid0(VALU_DEP_1) | instskip(SKIP_2) | instid1(VALU_DEP_3)
	v_dot4_i32_iu8 v132, v6, v1, v0 neg_lo:[1,1,0]
	v_bfe_i32 v1, v164, 8, 8
	v_dot4_i32_iu8 v0, v246, v239, 0 neg_lo:[1,1,0]
	v_dot4_i32_iu8 v132, v148, v7, v132 neg_lo:[1,1,0]
	s_delay_alu instid0(VALU_DEP_3) | instskip(NEXT) | instid1(VALU_DEP_1)
	v_mul_i32_i24_e32 v1, v1, v231
	v_dot4_i32_iu8 v1, v166, v8, v1 neg_lo:[1,1,0]
	s_delay_alu instid0(VALU_DEP_1) | instskip(SKIP_1) | instid1(VALU_DEP_1)
	v_dot4_i32_iu8 v1, v240, v4, v1 neg_lo:[1,1,0]
	v_perm_b32 v4, v167, v167, 0xc0c0302
	v_dot4_i32_iu8 v1, v241, v4, v1 neg_lo:[1,1,0]
	v_perm_b32 v4, v164, v164, 0xc030200
	s_delay_alu instid0(VALU_DEP_1)
	v_dot4_i32_iu8 v1, v4, v242, v1 neg_lo:[1,1,0]
	v_add_nc_u32_e32 v4, s12, v222
	ds_load_2addr_b32 v[118:119], v4 offset0:6 offset1:7
	ds_load_2addr_b32 v[124:125], v4 offset0:4 offset1:5
	v_dot4_i32_iu8 v133, v165, v11, v1 neg_lo:[1,1,0]
	v_add3_u32 v1, s13, v226, v214
	ds_load_2addr_b32 v[116:117], v4 offset0:2 offset1:3
	ds_load_2addr_b32 v[122:123], v4 offset1:1
	ds_load_b32 v245, v1
	ds_load_2addr_b32 v[158:159], v4 offset0:13 offset1:14
	ds_load_2addr_b32 v[120:121], v4 offset0:12 offset1:15
	;; [unrolled: 1-line block ×4, first 2 shown]
	s_set_vgpr_msb 64                       ;  msbs: dst=1 src0=0 src1=0 src2=0
	v_mul_lo_u32 v37 /*v293*/, v133, v230
	s_wait_dscnt 0x7
	s_set_vgpr_msb 0                        ;  msbs: dst=0 src0=0 src1=0 src2=0
	v_lshrrev_b16 v134, 8, v125
	v_bfe_i32 v138, v125, 16, 8
	v_perm_b32 v237, v125, v124, 0x6040503
	s_wait_dscnt 0x5
	v_perm_b32 v176, v122, v116, 0x6050401
	v_lshrrev_b16 v146, 8, v123
	v_bfe_i32 v134, v134, 0, 8
	s_set_vgpr_msb 64                       ;  msbs: dst=1 src0=0 src1=0 src2=0
	v_ashrrev_i32_e32 v21 /*v277*/, 24, v117
	s_wait_dscnt 0x3
	s_set_vgpr_msb 0                        ;  msbs: dst=0 src0=0 src1=0 src2=0
	v_bfe_i32 v1, v159, 8, 8
	s_wait_dscnt 0x2
	v_perm_b32 v136, v120, v120, 0xc0c0001
	v_bfe_i32 v135, v158, 16, 8
	s_wait_dscnt 0x1
	v_bfe_i32 v4, v160, 0, 8
	v_perm_b32 v143, v160, v160, 0xc0c0302
	v_mul_i32_i24_e32 v1, v1, v32
	v_mul_i32_i24_e32 v21, v134, v21
	v_bfe_i32 v134, v118, 0, 8
	s_wait_dscnt 0x0
	v_perm_b32 v251, v163, v162, 0x6040503
	v_perm_b32 v252, v160, v163, 0x7060403
	v_dot4_i32_iu8 v1, v136, v227, v1 neg_lo:[1,1,0]
	v_perm_b32 v136, v120, v120, 0xc0c0302
	s_set_vgpr_msb 64                       ;  msbs: dst=1 src0=0 src1=0 src2=0
	v_bfe_i32 v53 /*v309*/, v117, 8, 8
	v_bfe_i32 v54 /*v310*/, v117, 0, 8
	v_bfe_i32 v56 /*v312*/, v116, 16, 8
	v_bfe_i32 v20 /*v276*/, v117, 16, 8
	s_set_vgpr_msb 0                        ;  msbs: dst=0 src0=0 src1=0 src2=0
	v_dot4_i32_iu8 v1, v232, v136, v1 neg_lo:[1,1,0]
	v_perm_b32 v136, v158, v158, 0xc0c0001
	s_set_vgpr_msb 64                       ;  msbs: dst=1 src0=0 src1=0 src2=0
	v_bfe_i32 v46 /*v302*/, v123, 0, 8
	v_bfe_i32 v47 /*v303*/, v123, 16, 8
	;; [unrolled: 1-line block ×4, first 2 shown]
	s_set_vgpr_msb 0                        ;  msbs: dst=0 src0=0 src1=0 src2=0
	v_dot4_i32_iu8 v1, v233, v136, v1 neg_lo:[1,1,0]
	v_perm_b32 v136, v17, v12, 0x6040503
	v_bfe_i32 v168, v245, 8, 8
	v_bfe_i32 v175, v245, 0, 8
	s_delay_alu instid0(VALU_DEP_4) | instskip(SKIP_4) | instid1(VALU_DEP_4)
	v_mad_i32_i24 v1, v135, v179, v1
	v_perm_b32 v135, v159, v158, 0xc0c0403
	v_dot4_i32_iu8 v0, v137, v136, v0 neg_lo:[1,1,0]
	v_ashrrev_i32_e32 v136, 24, v125
	v_bfe_i32 v137, v125, 0, 8
	v_dot4_i32_iu8 v1, v234, v135, v1 neg_lo:[1,1,0]
	v_perm_b32 v135, v159, v159, 0xc0c0302
	v_dot4_i32_iu8 v0, v14, v249, v0 neg_lo:[1,1,0]
	s_set_vgpr_msb 64                       ;  msbs: dst=1 src0=0 src1=0 src2=0
	s_delay_alu instid0(VALU_DEP_2)
	v_dot4_i32_iu8 v14 /*v270*/, v2, v135, v1 neg_lo:[1,1,0]
	s_set_vgpr_msb 0                        ;  msbs: dst=0 src0=0 src1=0 src2=0
	v_bfe_i32 v1, v160, 8, 8
	v_perm_b32 v135, v162, v162, 0xc0c0001
	s_set_vgpr_msb 64                       ;  msbs: dst=1 src0=0 src1=0 src2=0
	v_dot4_i32_iu8 v16 /*v272*/, v169, v15, v0 neg_lo:[1,1,0]
	s_set_vgpr_msb 0                        ;  msbs: dst=0 src0=0 src1=0 src2=0
	v_bfe_i32 v0, v119, 8, 8
	v_mul_i32_i24_e32 v1, v1, v19
	s_delay_alu instid0(VALU_DEP_2) | instskip(SKIP_1) | instid1(VALU_DEP_3)
	v_mul_i32_i24_e32 v0, v0, v139
	v_bfe_i32 v139, v119, 16, 8
	v_dot4_i32_iu8 v1, v135, v235, v1 neg_lo:[1,1,0]
	v_perm_b32 v135, v162, v162, 0xc0c0302
	s_delay_alu instid0(VALU_DEP_3) | instskip(SKIP_1) | instid1(VALU_DEP_3)
	v_mul_i32_i24_e32 v128, v139, v128
	v_ashrrev_i32_e32 v139, 24, v119
	v_dot4_i32_iu8 v1, v236, v135, v1 neg_lo:[1,1,0]
	v_perm_b32 v135, v163, v163, 0xc0c0001
	s_delay_alu instid0(VALU_DEP_1) | instskip(SKIP_1) | instid1(VALU_DEP_1)
	v_dot4_i32_iu8 v1, v243, v135, v1 neg_lo:[1,1,0]
	v_perm_b32 v135, v163, v163, 0xc0c0302
	v_dot4_i32_iu8 v1, v5, v135, v1 neg_lo:[1,1,0]
	v_bfe_i32 v5, v124, 8, 8
	v_bfe_i32 v135, v13, 16, 8
	s_delay_alu instid0(VALU_DEP_3) | instskip(NEXT) | instid1(VALU_DEP_3)
	v_mad_i32_i24 v1, v4, v22, v1
	v_mul_i32_i24_e32 v5, v5, v33
	v_bfe_i32 v33, v124, 16, 8
	v_bfe_i32 v22, v124, 0, 8
	;; [unrolled: 1-line block ×3, first 2 shown]
	v_dot4_i32_iu8 v1, v6, v143, v1 neg_lo:[1,1,0]
	v_perm_b32 v143, v161, v161, 0xc0c0001
	v_mul_i32_i24_e32 v33, v35, v33
	v_ashrrev_i32_e32 v35, 24, v13
	v_mul_i32_i24_e32 v22, v22, v34
	v_ashrrev_i32_e32 v34, 24, v124
	s_set_vgpr_msb 64                       ;  msbs: dst=1 src0=0 src1=0 src2=0
	v_dot4_i32_iu8 v15 /*v271*/, v144, v143, v1 neg_lo:[1,1,0]
	s_set_vgpr_msb 0                        ;  msbs: dst=0 src0=0 src1=0 src2=0
	v_bfe_i32 v1, v119, 0, 8
	v_ashrrev_i32_e32 v143, 24, v118
	v_bfe_i32 v144, v118, 16, 8
	v_mul_i32_i24_e32 v34, v126, v34
	v_bfe_i32 v126, v13, 0, 8
	v_mul_i32_i24_e32 v1, v1, v140
	v_mul_i32_i24_e32 v141, v143, v141
	;; [unrolled: 1-line block ×3, first 2 shown]
	v_mad_i32_i24 v0, v136, v35, v0
	v_bfe_i32 v35, v122, 16, 8
	v_mad_i32_i24 v1, v138, v135, v1
	s_delay_alu instid0(VALU_DEP_4) | instskip(NEXT) | instid1(VALU_DEP_4)
	v_mad_i32_i24 v126, v137, v126, v142
	v_add3_u32 v0, v21, v141, v0
	s_delay_alu instid0(VALU_DEP_1)
	v_add3_u32 v0, v126, v1, v0
	v_mad_i32_i24 v1, v4, v23, v5
	v_mad_i32_i24 v4, v134, v127, v128
	v_ashrrev_i32_e32 v126, 24, v122
	v_mul_i32_i24_e32 v129, v139, v129
	v_add3_u32 v128, s13, v218, v215
	v_add3_u32 v0, v0, v22, v1
	;; [unrolled: 1-line block ×3, first 2 shown]
	v_bfe_i32 v33, v122, 8, 8
	v_bfe_i32 v34, v122, 0, 8
	s_set_vgpr_msb 64                       ;  msbs: dst=1 src0=0 src1=0 src2=0
	s_delay_alu instid0(VALU_DEP_3) | instskip(SKIP_2) | instid1(VALU_DEP_1)
	v_add3_u32 v17 /*v273*/, v0, v1, v129
	s_set_vgpr_msb 0                        ;  msbs: dst=0 src0=0 src1=0 src2=0
	v_perm_b32 v0, v8, v10, 0x6050401
	v_dot4_i32_iu8 v127, v176, v0, 0 neg_lo:[1,1,0]
	v_or_b32_e32 v0, s5, v207
	v_add_nc_u32_e32 v129, s12, v223
	s_mov_b32 s12, 8
	s_delay_alu instid0(VALU_DEP_2)
	v_dual_lshlrev_b32 v4, 2, v0 :: v_dual_lshrrev_b32 v5, 1, v0
	ds_load_b64 v[0:1], v20 offset:43584
	ds_load_2addr_b32 v[136:137], v129 offset0:6 offset1:7
	ds_load_2addr_b32 v[138:139], v129 offset0:4 offset1:5
	;; [unrolled: 1-line block ×3, first 2 shown]
	ds_load_b128 v[20:23], v4 offset:33280
	s_set_vgpr_msb 64                       ;  msbs: dst=1 src0=0 src1=0 src2=0
	ds_load_b128 v[2:5] /*v[258:261]*/, v4 offset:33296
	ds_load_b128 v[6:9] /*v[262:265]*/, v4 offset:33312
	;; [unrolled: 1-line block ×3, first 2 shown]
	v_dual_ashrrev_i32 v45 /*v301*/, 24, v123 :: v_dual_ashrrev_i32 v55 /*v311*/, 24, v116
	s_wait_dscnt 0x5
	s_set_vgpr_msb 0                        ;  msbs: dst=0 src0=0 src1=0 src2=0
	v_perm_b32 v228, v138, v136, 0x6050401
	s_wait_dscnt 0x3
	s_set_vgpr_msb 64                       ;  msbs: dst=1 src0=0 src1=0 src2=0
	v_bfe_i32 v24 /*v280*/, v20, 8, 8
	s_wait_dscnt 0x2
	s_set_vgpr_msb 0x45                     ;  msbs: dst=1 src0=1 src1=1 src2=0
	v_perm_b32 v34 /*v290*/, v2 /*v258*/, v4 /*v260*/, 0x6050401
	s_wait_dscnt 0x1
	s_set_vgpr_msb 1                        ;  msbs: dst=0 src0=1 src1=0 src2=0
	v_perm_b32 v143, v7 /*v263*/, v150, 0x6040503
	s_wait_dscnt 0x0
	s_set_vgpr_msb 0x45                     ;  msbs: dst=1 src0=1 src1=1 src2=0
	v_perm_b32 v31 /*v287*/, v12 /*v268*/, v12 /*v268*/, 0xc0c0c01
	s_set_vgpr_msb 1                        ;  msbs: dst=0 src0=1 src1=0 src2=0
	v_perm_b32 v140, v10 /*v266*/, v171, 0x6040501
	v_perm_b32 v142, v11 /*v267*/, v149, 0x6040503
	s_set_vgpr_msb 5                        ;  msbs: dst=0 src0=1 src1=1 src2=0
	v_perm_b32 v238, v3 /*v259*/, v2 /*v258*/, 0x6040503
	s_set_vgpr_msb 0x45                     ;  msbs: dst=1 src0=1 src1=1 src2=0
	v_perm_b32 v32 /*v288*/, v12 /*v268*/, v11 /*v267*/, 0x7060403
	s_set_vgpr_msb 4                        ;  msbs: dst=0 src0=0 src1=1 src2=0
	v_or_b32_e32 v141, v253, v31 /*v287*/
	s_set_vgpr_msb 0x45                     ;  msbs: dst=1 src0=1 src1=1 src2=0
	v_perm_b32 v35 /*v291*/, v4 /*v260*/, v3 /*v259*/, 0x7060403
	v_perm_b32 v33 /*v289*/, v8 /*v264*/, v7 /*v263*/, 0x7060403
	s_set_vgpr_msb 64                       ;  msbs: dst=1 src0=0 src1=0 src2=0
	v_bfe_i32 v25 /*v281*/, v20, 0, 8
	v_perm_b32 v38 /*v294*/, v20, v22, 0x6050401
	s_set_vgpr_msb 0                        ;  msbs: dst=0 src0=0 src1=0 src2=0
	v_dot4_i32_iu8 v140, v141, v140, 0 neg_lo:[1,1,0]
	s_set_vgpr_msb 4                        ;  msbs: dst=0 src0=0 src1=1 src2=0
	v_perm_b32 v141, v170, v10 /*v266*/, 0x6040503
	s_set_vgpr_msb 0                        ;  msbs: dst=0 src0=0 src1=0 src2=0
	v_lshrrev_b16 v130, 8, v21
	s_set_vgpr_msb 64                       ;  msbs: dst=1 src0=0 src1=0 src2=0
	v_bfe_i32 v26 /*v282*/, v20, 16, 8
	v_dual_ashrrev_i32 v27 /*v283*/, 24, v20 :: v_dual_ashrrev_i32 v30 /*v286*/, 24, v23
	s_set_vgpr_msb 0                        ;  msbs: dst=0 src0=0 src1=0 src2=0
	v_dot4_i32_iu8 v140, v142, v141, v140 neg_lo:[1,1,0]
	v_perm_b32 v141, v170, v170, 0xc0c0c03
	v_perm_b32 v142, v171, v171, 0x706000c
	s_set_vgpr_msb 5                        ;  msbs: dst=0 src0=1 src1=1 src2=0
	v_dot4_i32_iu8 v133, v38 /*v294*/, v1 /*v257*/, 0 neg_lo:[1,1,0]
	s_set_vgpr_msb 0x41                     ;  msbs: dst=1 src0=1 src1=0 src2=0
	v_mul_i32_i24_e32 v24 /*v280*/, v24 /*v280*/, v33
	v_mul_i32_i24_e32 v25 /*v281*/, v25 /*v281*/, v34
	s_set_vgpr_msb 0                        ;  msbs: dst=0 src0=0 src1=0 src2=0
	v_perm_b32 v33, v9, v8, 0x6040503
	v_or_b32_e32 v254, v142, v141
	s_set_vgpr_msb 1                        ;  msbs: dst=0 src0=1 src1=0 src2=0
	v_perm_b32 v141, v6 /*v262*/, v173, 0x6040501
	s_set_vgpr_msb 4                        ;  msbs: dst=0 src0=0 src1=1 src2=0
	v_perm_b32 v142, v150, v8 /*v264*/, 0x6040501
	ds_load_b64 v[4:5], v5 offset:43584
	s_set_vgpr_msb 0                        ;  msbs: dst=0 src0=0 src1=0 src2=0
	v_perm_b32 v34, v167, v166, 0x6040503
	s_set_vgpr_msb 4                        ;  msbs: dst=0 src0=0 src1=1 src2=0
	v_dot4_i32_iu8 v140, v254, v32 /*v288*/, v140 neg_lo:[1,1,0]
	s_set_vgpr_msb 0                        ;  msbs: dst=0 src0=0 src1=0 src2=0
	v_perm_b32 v20, v21, v20, 0x6040503
	v_dot4_i32_iu8 v141, v142, v141, 0 neg_lo:[1,1,0]
	s_set_vgpr_msb 4                        ;  msbs: dst=0 src0=0 src1=1 src2=0
	v_perm_b32 v142, v172, v6 /*v262*/, 0x6040503
	v_mov_b32_e32 v17, v0
	s_set_vgpr_msb 1                        ;  msbs: dst=0 src0=1 src1=0 src2=0
	v_dot4_i32_iu8 v140, v13 /*v269*/, v151, v140 neg_lo:[1,1,0]
	s_set_vgpr_msb 0x41                     ;  msbs: dst=1 src0=1 src1=0 src2=0
	v_mul_i32_i24_e32 v27 /*v283*/, v27 /*v283*/, v126
	s_set_vgpr_msb 64                       ;  msbs: dst=1 src0=0 src1=0 src2=0
	v_dot4_i32_iu8 v51 /*v307*/, v20, v34, v133 neg_lo:[1,1,0]
	s_set_vgpr_msb 0                        ;  msbs: dst=0 src0=0 src1=0 src2=0
	v_dot4_i32_iu8 v141, v143, v142, v141 neg_lo:[1,1,0]
	v_perm_b32 v142, v172, v172, 0xc0c0c03
	v_perm_b32 v143, v173, v173, 0x706000c
	v_mul_lo_u32 v0, v140, v248
	s_set_vgpr_msb 64                       ;  msbs: dst=1 src0=0 src1=0 src2=0
	v_bfe_i32 v57 /*v313*/, v23, 8, 8
	v_ashrrev_i32_e32 v48 /*v304*/, 24, v21
	v_bfe_i32 v58 /*v314*/, v23, 0, 8
	s_set_vgpr_msb 0                        ;  msbs: dst=0 src0=0 src1=0 src2=0
	v_or_b32_e32 v255, v143, v142
	s_set_vgpr_msb 1                        ;  msbs: dst=0 src0=1 src1=0 src2=0
	v_dot4_i32_iu8 v142, v34 /*v290*/, v246, 0 neg_lo:[1,1,0]
	s_set_vgpr_msb 64                       ;  msbs: dst=1 src0=0 src1=0 src2=0
	v_ashrrev_i32_e32 v59 /*v315*/, 24, v22
	v_bfe_i32 v60 /*v316*/, v22, 16, 8
	v_bfe_i32 v29 /*v285*/, v23, 16, 8
	s_set_vgpr_msb 4                        ;  msbs: dst=0 src0=0 src1=1 src2=0
	v_dot4_i32_iu8 v141, v255, v33 /*v289*/, v141 neg_lo:[1,1,0]
	v_dot4_i32_iu8 v16, v238, v0 /*v256*/, v142 neg_lo:[1,1,0]
	ds_load_2addr_b32 v[142:143], v129 offset1:1
	s_set_vgpr_msb 64                       ;  msbs: dst=1 src0=0 src1=0 src2=0
	ds_load_b32 v39 /*v295*/, v128
	s_set_vgpr_msb 0                        ;  msbs: dst=0 src0=0 src1=0 src2=0
	ds_load_2addr_b32 v[154:155], v129 offset0:13 offset1:14
	ds_load_2addr_b32 v[156:157], v129 offset0:9 offset1:10
	;; [unrolled: 1-line block ×3, first 2 shown]
	s_set_vgpr_msb 1                        ;  msbs: dst=0 src0=1 src1=0 src2=0
	v_dot4_i32_iu8 v141, v9 /*v265*/, v148, v141 neg_lo:[1,1,0]
	v_dot4_i32_iu8 v16, v35 /*v291*/, v249, v16 neg_lo:[1,1,0]
	s_set_vgpr_msb 64                       ;  msbs: dst=1 src0=0 src1=0 src2=0
	v_bfe_i32 v49 /*v305*/, v21, 0, 8
	v_bfe_i32 v50 /*v306*/, v21, 16, 8
	v_bfe_i32 v23 /*v279*/, v22, 8, 8
	s_set_vgpr_msb 0                        ;  msbs: dst=0 src0=0 src1=0 src2=0
	v_mad_u32 v0, v141, v247, v0
	s_set_vgpr_msb 1                        ;  msbs: dst=0 src0=1 src1=0 src2=0
	v_dot4_i32_iu8 v16, v5 /*v261*/, v169, v16 neg_lo:[1,1,0]
	s_set_vgpr_msb 0                        ;  msbs: dst=0 src0=0 src1=0 src2=0
	ds_load_2addr_b32 v[140:141], v129 offset0:11 offset1:12
	s_set_vgpr_msb 64                       ;  msbs: dst=1 src0=0 src1=0 src2=0
	v_bfe_i32 v28 /*v284*/, v22, 0, 8
	s_set_vgpr_msb 0x41                     ;  msbs: dst=1 src0=1 src1=0 src2=0
	v_mul_i32_i24_e32 v26 /*v282*/, v26 /*v282*/, v35
	s_set_vgpr_msb 64                       ;  msbs: dst=1 src0=0 src1=0 src2=0
	v_mul_lo_u32 v36 /*v292*/, v16, v229
	s_wait_dscnt 0x6
	s_set_vgpr_msb 0                        ;  msbs: dst=0 src0=0 src1=0 src2=0
	v_mov_b32_e32 v16, v4
	v_mul_lo_u32 v4, v132, v247
	v_cvt_f32_i32_e32 v152, v0
	v_mov_b32_e32 v0, v5
	s_wait_dscnt 0x3
	v_bfe_i32 v5, v154, 16, 8
	s_set_vgpr_msb 1                        ;  msbs: dst=0 src0=1 src1=0 src2=0
	v_bfe_i32 v177, v39 /*v295*/, 8, 8
	v_bfe_i32 v178, v39 /*v295*/, 0, 8
	s_set_vgpr_msb 0                        ;  msbs: dst=0 src0=0 src1=0 src2=0
	v_mad_u32 v4, v131, v248, v4
	s_wait_dscnt 0x0
	v_perm_b32 v128, v141, v141, 0xc0c0001
	s_delay_alu instid0(VALU_DEP_2) | instskip(SKIP_1) | instid1(VALU_DEP_1)
	v_cvt_f32_i32_e32 v153, v4
	v_bfe_i32 v4, v155, 8, 8
	v_mul_i32_i24_e32 v4, v4, v32
	s_delay_alu instid0(VALU_DEP_1) | instskip(SKIP_1) | instid1(VALU_DEP_1)
	v_dot4_i32_iu8 v4, v128, v227, v4 neg_lo:[1,1,0]
	v_perm_b32 v128, v141, v141, 0xc0c0302
	v_dot4_i32_iu8 v4, v232, v128, v4 neg_lo:[1,1,0]
	v_perm_b32 v128, v154, v154, 0xc0c0001
	s_delay_alu instid0(VALU_DEP_1) | instskip(SKIP_1) | instid1(VALU_DEP_2)
	v_dot4_i32_iu8 v4, v233, v128, v4 neg_lo:[1,1,0]
	v_perm_b32 v128, v144, v144, 0xc0c0001
	v_mad_i32_i24 v4, v5, v179, v4
	v_perm_b32 v5, v155, v154, 0xc0c0403
	s_delay_alu instid0(VALU_DEP_1) | instskip(SKIP_2) | instid1(VALU_DEP_1)
	v_dot4_i32_iu8 v4, v234, v5, v4 neg_lo:[1,1,0]
	v_perm_b32 v5, v155, v155, 0xc0c0302
	s_set_vgpr_msb 64                       ;  msbs: dst=1 src0=0 src1=0 src2=0
	v_dot4_i32_iu8 v40 /*v296*/, v2, v5, v4 neg_lo:[1,1,0]
	s_set_vgpr_msb 0                        ;  msbs: dst=0 src0=0 src1=0 src2=0
	v_bfe_i32 v4, v157, 8, 8
	v_bfe_i32 v5, v156, 16, 8
	s_delay_alu instid0(VALU_DEP_2) | instskip(NEXT) | instid1(VALU_DEP_1)
	v_mul_i32_i24_e32 v4, v4, v19
	v_dot4_i32_iu8 v4, v128, v235, v4 neg_lo:[1,1,0]
	v_perm_b32 v128, v144, v144, 0xc0c0302
	s_delay_alu instid0(VALU_DEP_1) | instskip(SKIP_1) | instid1(VALU_DEP_1)
	v_dot4_i32_iu8 v4, v236, v128, v4 neg_lo:[1,1,0]
	v_perm_b32 v128, v156, v156, 0xc0c0001
	v_dot4_i32_iu8 v4, v243, v128, v4 neg_lo:[1,1,0]
	v_perm_b32 v128, v13, v138, 0x6040503
	s_delay_alu instid0(VALU_DEP_2) | instskip(SKIP_1) | instid1(VALU_DEP_1)
	v_mad_i32_i24 v4, v5, v18, v4
	v_perm_b32 v5, v157, v156, 0xc0c0403
	v_dot4_i32_iu8 v4, v244, v5, v4 neg_lo:[1,1,0]
	v_perm_b32 v5, v157, v157, 0xc0c0302
	s_set_vgpr_msb 64                       ;  msbs: dst=1 src0=0 src1=0 src2=0
	s_delay_alu instid0(VALU_DEP_1) | instskip(SKIP_3) | instid1(VALU_DEP_1)
	v_dot4_i32_iu8 v41 /*v297*/, v6, v5, v4 neg_lo:[1,1,0]
	s_set_vgpr_msb 0                        ;  msbs: dst=0 src0=0 src1=0 src2=0
	v_dot4_i32_iu8 v4, v228, v239, 0 neg_lo:[1,1,0]
	v_perm_b32 v5, v139, v12, 0x6040503
	v_dot4_i32_iu8 v4, v128, v5, v4 neg_lo:[1,1,0]
	v_perm_b32 v5, v136, v139, 0x7060403
	s_set_vgpr_msb 1                        ;  msbs: dst=0 src0=1 src1=0 src2=0
	v_perm_b32 v128, v11 /*v267*/, v120, 0x6040503
	s_set_vgpr_msb 0                        ;  msbs: dst=0 src0=0 src1=0 src2=0
	s_delay_alu instid0(VALU_DEP_2) | instskip(SKIP_2) | instid1(VALU_DEP_2)
	v_dot4_i32_iu8 v4, v14, v5, v4 neg_lo:[1,1,0]
	v_perm_b32 v5, v143, v143, 0xc0c0001
	s_set_vgpr_msb 64                       ;  msbs: dst=1 src0=0 src1=0 src2=0
	v_dot4_i32_iu8 v42 /*v298*/, v137, v15, v4 neg_lo:[1,1,0]
	s_set_vgpr_msb 0                        ;  msbs: dst=0 src0=0 src1=0 src2=0
	v_bfe_i32 v4, v134, 8, 8
	s_delay_alu instid0(VALU_DEP_1) | instskip(NEXT) | instid1(VALU_DEP_1)
	v_mul_i32_i24_e32 v4, v4, v231
	v_dot4_i32_iu8 v4, v142, v8, v4 neg_lo:[1,1,0]
	s_delay_alu instid0(VALU_DEP_1) | instskip(SKIP_1) | instid1(VALU_DEP_1)
	v_dot4_i32_iu8 v4, v240, v5, v4 neg_lo:[1,1,0]
	v_perm_b32 v5, v143, v143, 0xc0c0302
	v_dot4_i32_iu8 v4, v241, v5, v4 neg_lo:[1,1,0]
	v_perm_b32 v5, v134, v134, 0xc030200
	s_delay_alu instid0(VALU_DEP_1) | instskip(SKIP_3) | instid1(VALU_DEP_2)
	v_dot4_i32_iu8 v4, v5, v242, v4 neg_lo:[1,1,0]
	s_set_vgpr_msb 4                        ;  msbs: dst=0 src0=0 src1=1 src2=0
	v_perm_b32 v5, v120, v12 /*v268*/, 0x6040501
	s_set_vgpr_msb 64                       ;  msbs: dst=1 src0=0 src1=0 src2=0
	v_dot4_i32_iu8 v43 /*v299*/, v135, v11, v4 neg_lo:[1,1,0]
	s_set_vgpr_msb 1                        ;  msbs: dst=0 src0=1 src1=0 src2=0
	v_perm_b32 v4, v10 /*v266*/, v159, 0x6040501
	s_set_vgpr_msb 0                        ;  msbs: dst=0 src0=0 src1=0 src2=0
	s_delay_alu instid0(VALU_DEP_1) | instskip(SKIP_3) | instid1(VALU_DEP_1)
	v_dot4_i32_iu8 v4, v5, v4, 0 neg_lo:[1,1,0]
	s_set_vgpr_msb 4                        ;  msbs: dst=0 src0=0 src1=1 src2=0
	v_perm_b32 v5, v158, v10 /*v266*/, 0x6040503
	s_set_vgpr_msb 0                        ;  msbs: dst=0 src0=0 src1=0 src2=0
	v_dot4_i32_iu8 v4, v128, v5, v4 neg_lo:[1,1,0]
	v_perm_b32 v5, v158, v158, 0xc0c0c03
	v_perm_b32 v128, v159, v159, 0x706000c
	s_delay_alu instid0(VALU_DEP_1) | instskip(SKIP_3) | instid1(VALU_DEP_2)
	v_or_b32_e32 v250, v128, v5
	s_set_vgpr_msb 4                        ;  msbs: dst=0 src0=0 src1=1 src2=0
	v_perm_b32 v5, v162, v8 /*v264*/, 0x6040501
	s_set_vgpr_msb 0x44                     ;  msbs: dst=1 src0=0 src1=1 src2=0
	v_dot4_i32_iu8 v12 /*v268*/, v250, v32 /*v288*/, v4 neg_lo:[1,1,0]
	s_set_vgpr_msb 1                        ;  msbs: dst=0 src0=1 src1=0 src2=0
	v_perm_b32 v4, v6 /*v262*/, v160, 0x6040501
	s_set_vgpr_msb 0                        ;  msbs: dst=0 src0=0 src1=0 src2=0
	s_delay_alu instid0(VALU_DEP_1) | instskip(SKIP_3) | instid1(VALU_DEP_1)
	v_dot4_i32_iu8 v4, v5, v4, 0 neg_lo:[1,1,0]
	s_set_vgpr_msb 5                        ;  msbs: dst=0 src0=1 src1=1 src2=0
	v_perm_b32 v5, v7 /*v263*/, v6 /*v262*/, 0x6040503
	s_set_vgpr_msb 0                        ;  msbs: dst=0 src0=0 src1=0 src2=0
	v_dot4_i32_iu8 v4, v251, v5, v4 neg_lo:[1,1,0]
	s_set_vgpr_msb 4                        ;  msbs: dst=0 src0=0 src1=1 src2=0
	v_perm_b32 v5, v124, v4 /*v260*/, 0x6050401
	s_set_vgpr_msb 0x44                     ;  msbs: dst=1 src0=0 src1=1 src2=0
	s_delay_alu instid0(VALU_DEP_2) | instskip(SKIP_3) | instid1(VALU_DEP_1)
	v_dot4_i32_iu8 v44 /*v300*/, v252, v33 /*v289*/, v4 neg_lo:[1,1,0]
	s_set_vgpr_msb 1                        ;  msbs: dst=0 src0=1 src1=0 src2=0
	v_perm_b32 v4, v2 /*v258*/, v118, 0x6050401
	s_set_vgpr_msb 0                        ;  msbs: dst=0 src0=0 src1=0 src2=0
	v_dot4_i32_iu8 v4, v5, v4, 0 neg_lo:[1,1,0]
	v_perm_b32 v5, v123, v122, 0x6040503
	s_delay_alu instid0(VALU_DEP_2) | instskip(SKIP_1) | instid1(VALU_DEP_3)
	v_dot4_i32_iu8 v4, v237, v238, v4 neg_lo:[1,1,0]
	v_perm_b32 v238, v118, v125, 0x7060403
	v_dot4_i32_iu8 v5, v5, v33, v127 neg_lo:[1,1,0]
	v_bfe_i32 v33, v130, 0, 8
	s_set_vgpr_msb 4                        ;  msbs: dst=0 src0=0 src1=1 src2=0
	s_delay_alu instid0(VALU_DEP_3) | instskip(SKIP_1) | instid1(VALU_DEP_1)
	v_dot4_i32_iu8 v4, v238, v35 /*v291*/, v4 neg_lo:[1,1,0]
	s_set_vgpr_msb 0x41                     ;  msbs: dst=1 src0=1 src1=0 src2=0
	v_dot4_i32_iu8 v35 /*v291*/, v5 /*v261*/, v119, v4 neg_lo:[1,1,0]
	s_set_vgpr_msb 0                        ;  msbs: dst=0 src0=0 src1=0 src2=0
	v_bfe_i32 v4, v146, 0, 8
	s_set_vgpr_msb 1                        ;  msbs: dst=0 src0=1 src1=0 src2=0
	ds_load_2addr_b32 v[130:131], v22 /*v278*/ offset0:6 offset1:7
	ds_load_2addr_b32 v[132:133], v22 /*v278*/ offset0:4 offset1:5
	;; [unrolled: 1-line block ×3, first 2 shown]
	ds_load_2addr_b32 v[128:129], v22 /*v278*/ offset1:1
	s_set_vgpr_msb 64                       ;  msbs: dst=1 src0=0 src1=0 src2=0
	ds_load_b32 v61 /*v317*/, v147
	s_set_vgpr_msb 1                        ;  msbs: dst=0 src0=1 src1=0 src2=0
	ds_load_2addr_b32 v[146:147], v22 /*v278*/ offset0:13 offset1:14
	ds_load_2addr_b32 v[34:35], v22 /*v278*/ offset0:8 offset1:15
	s_set_vgpr_msb 64                       ;  msbs: dst=1 src0=0 src1=0 src2=0
	v_mul_i32_i24_e32 v52 /*v308*/, v33, v4
	s_wait_dscnt 0x5
	s_set_vgpr_msb 0                        ;  msbs: dst=0 src0=0 src1=0 src2=0
	v_perm_b32 v12, v133, v12, 0x6040503
	v_perm_b32 v13, v13, v132, 0x6040503
	s_wait_dscnt 0x1
	v_bfe_i32 v4, v147, 8, 8
	v_bfe_i32 v125, v146, 16, 8
	s_delay_alu instid0(VALU_DEP_2)
	v_mul_i32_i24_e32 v4, v4, v32
	s_set_vgpr_msb 1                        ;  msbs: dst=0 src0=1 src1=0 src2=0
	ds_load_2addr_b32 v[32:33], v22 /*v278*/ offset0:11 offset1:12
	s_wait_dscnt 0x0
	s_set_vgpr_msb 0                        ;  msbs: dst=0 src0=0 src1=0 src2=0
	v_perm_b32 v163, v33, v33, 0xc0c0001
	s_delay_alu instid0(VALU_DEP_1) | instskip(SKIP_2) | instid1(VALU_DEP_2)
	v_dot4_i32_iu8 v4, v163, v227, v4 neg_lo:[1,1,0]
	v_perm_b32 v163, v33, v33, 0xc0c0302
	v_perm_b32 v227, v132, v130, 0x6050401
	v_dot4_i32_iu8 v4, v232, v163, v4 neg_lo:[1,1,0]
	v_perm_b32 v163, v146, v146, 0xc0c0001
	s_set_vgpr_msb 1                        ;  msbs: dst=0 src0=1 src1=0 src2=0
	v_bfe_i32 v232, v39 /*v295*/, 16, 8
	s_set_vgpr_msb 0                        ;  msbs: dst=0 src0=0 src1=0 src2=0
	s_delay_alu instid0(VALU_DEP_2)
	v_dot4_i32_iu8 v4, v233, v163, v4 neg_lo:[1,1,0]
	v_perm_b32 v233, v142, v134, 0x6050401
	s_set_vgpr_msb 1                        ;  msbs: dst=0 src0=1 src1=0 src2=0
	v_bfe_i32 v163, v61 /*v317*/, 0, 8
	s_set_vgpr_msb 0                        ;  msbs: dst=0 src0=0 src1=0 src2=0
	v_mad_i32_i24 v4, v125, v179, v4
	v_perm_b32 v125, v147, v146, 0xc0c0403
	v_perm_b32 v179, v128, v126, 0x6050401
	s_delay_alu instid0(VALU_DEP_2) | instskip(SKIP_2) | instid1(VALU_DEP_2)
	v_dot4_i32_iu8 v4, v234, v125, v4 neg_lo:[1,1,0]
	v_perm_b32 v125, v147, v147, 0xc0c0302
	v_perm_b32 v234, v33, v33, 0x600010c
	v_dot4_i32_iu8 v2, v2, v125, v4 neg_lo:[1,1,0]
	v_dot4_i32_iu8 v4, v227, v239, 0 neg_lo:[1,1,0]
	v_perm_b32 v239, v116, v123, 0x7060403
	s_set_vgpr_msb 1                        ;  msbs: dst=0 src0=1 src1=0 src2=0
	v_bfe_i32 v125, v61 /*v317*/, 8, 8
	s_set_vgpr_msb 4                        ;  msbs: dst=0 src0=0 src1=1 src2=0
	v_ashrrev_i32_e32 v116, 24, v61 /*v317*/
	s_set_vgpr_msb 0                        ;  msbs: dst=0 src0=0 src1=0 src2=0
	v_dot4_i32_iu8 v4, v13, v12, v4 neg_lo:[1,1,0]
	v_perm_b32 v12, v130, v133, 0x7060403
	s_delay_alu instid0(VALU_DEP_1) | instskip(SKIP_3) | instid1(VALU_DEP_2)
	v_dot4_i32_iu8 v4, v14, v12, v4 neg_lo:[1,1,0]
	s_set_vgpr_msb 5                        ;  msbs: dst=0 src0=1 src1=1 src2=0
	v_mul_i32_i24_e32 v14, v29 /*v285*/, v20 /*v276*/
	s_set_vgpr_msb 0                        ;  msbs: dst=0 src0=0 src1=0 src2=0
	v_dot4_i32_iu8 v12, v131, v15, v4 neg_lo:[1,1,0]
	v_bfe_i32 v4, v126, 8, 8
	s_set_vgpr_msb 5                        ;  msbs: dst=0 src0=1 src1=1 src2=0
	v_mul_i32_i24_e32 v15, v30 /*v286*/, v21 /*v277*/
	s_set_vgpr_msb 0                        ;  msbs: dst=0 src0=0 src1=0 src2=0
	s_delay_alu instid0(VALU_DEP_2) | instskip(SKIP_3) | instid1(VALU_DEP_2)
	v_mul_i32_i24_e32 v4, v4, v231
	s_set_vgpr_msb 4                        ;  msbs: dst=0 src0=0 src1=1 src2=0
	v_ashrrev_i32_e32 v231, 24, v39 /*v295*/
	s_set_vgpr_msb 0                        ;  msbs: dst=0 src0=0 src1=0 src2=0
	v_dot4_i32_iu8 v4, v128, v8, v4 neg_lo:[1,1,0]
	v_perm_b32 v8, v129, v129, 0xc0c0001
	s_delay_alu instid0(VALU_DEP_1) | instskip(SKIP_2) | instid1(VALU_DEP_2)
	v_dot4_i32_iu8 v4, v240, v8, v4 neg_lo:[1,1,0]
	v_perm_b32 v8, v129, v129, 0xc0c0302
	v_bfe_i32 v240, v245, 16, 8
	v_dot4_i32_iu8 v4, v241, v8, v4 neg_lo:[1,1,0]
	v_perm_b32 v8, v126, v126, 0xc030200
	v_ashrrev_i32_e32 v241, 24, v245
	s_delay_alu instid0(VALU_DEP_2) | instskip(SKIP_1) | instid1(VALU_DEP_2)
	v_dot4_i32_iu8 v4, v8, v242, v4 neg_lo:[1,1,0]
	v_perm_b32 v242, v161, v161, 0x7060001
	v_dot4_i32_iu8 v13, v127, v11, v4 neg_lo:[1,1,0]
	v_perm_b32 v4, v10, v9, 0x7060403
	v_perm_b32 v10, v22, v21, 0x7060403
	s_set_vgpr_msb 5                        ;  msbs: dst=0 src0=1 src1=1 src2=0
	v_mul_i32_i24_e32 v9, v58 /*v314*/, v54 /*v310*/
	s_set_vgpr_msb 0                        ;  msbs: dst=0 src0=0 src1=0 src2=0
	v_dot4_i32_iu8 v4, v239, v4, v5 neg_lo:[1,1,0]
	s_set_vgpr_msb 17                       ;  msbs: dst=0 src0=1 src1=0 src2=1
	v_mad_u32 v5, v16 /*v272*/, v229, v37 /*v293*/
	s_set_vgpr_msb 5                        ;  msbs: dst=0 src0=1 src1=1 src2=0
	v_mad_i32_i24 v9, v50 /*v306*/, v47 /*v303*/, v9
	s_set_vgpr_msb 0                        ;  msbs: dst=0 src0=0 src1=0 src2=0
	v_dot4_i32_iu8 v8, v117, v11, v4 neg_lo:[1,1,0]
	v_perm_b32 v4, v164, v167, 0x7060403
	s_set_vgpr_msb 5                        ;  msbs: dst=0 src0=1 src1=1 src2=0
	v_mul_i32_i24_e32 v11, v57 /*v313*/, v53 /*v309*/
	s_set_vgpr_msb 16                       ;  msbs: dst=0 src0=0 src1=0 src2=1
	s_delay_alu instid0(VALU_DEP_2)
	v_dot4_i32_iu8 v4, v10, v4, v51 /*v307*/ neg_lo:[1,1,0]
	v_cvt_f32_i32_e32 v5, v5
	s_set_vgpr_msb 5                        ;  msbs: dst=0 src0=1 src1=1 src2=0
	v_mad_i32_i24 v11, v48 /*v304*/, v45 /*v301*/, v11
	s_set_vgpr_msb 0                        ;  msbs: dst=0 src0=0 src1=0 src2=0
	v_dot4_i32_iu8 v4, v23, v165, v4 neg_lo:[1,1,0]
	s_set_vgpr_msb 16                       ;  msbs: dst=0 src0=0 src1=0 src2=1
	s_delay_alu instid0(VALU_DEP_1) | instskip(NEXT) | instid1(VALU_DEP_1)
	v_mad_u32 v4, v4, v230, v36 /*v292*/
	v_cvt_f32_i32_e32 v4, v4
	s_delay_alu instid0(VALU_DEP_1) | instskip(SKIP_1) | instid1(VALU_DEP_1)
	v_pk_fma_f32 v[4:5], v[16:17], v[4:5], 0 op_sel_hi:[1,1,0]
	s_set_vgpr_msb 0                        ;  msbs: dst=0 src0=0 src1=0 src2=0
	v_pk_fma_f32 v[4:5], v[0:1], v[152:153], v[4:5]
	s_set_vgpr_msb 1                        ;  msbs: dst=0 src0=1 src1=0 src2=0
	ds_load_2addr_b32 v[152:153], v22 /*v278*/ offset0:9 offset1:10
	s_set_vgpr_msb 0                        ;  msbs: dst=0 src0=0 src1=0 src2=0
	v_pk_fma_f32 v[96:97], v[24:25], v[4:5], v[96:97]
	s_set_vgpr_msb 5                        ;  msbs: dst=0 src0=1 src1=1 src2=0
	v_mul_i32_i24_e32 v4, v60 /*v316*/, v56 /*v312*/
	v_mul_i32_i24_e32 v5, v59 /*v315*/, v55 /*v311*/
	s_delay_alu instid0(VALU_DEP_2) | instskip(SKIP_1) | instid1(VALU_DEP_2)
	v_mad_i32_i24 v4, v49 /*v305*/, v46 /*v302*/, v4
	s_set_vgpr_msb 1                        ;  msbs: dst=0 src0=1 src1=0 src2=0
	v_add3_u32 v5, v52 /*v308*/, v5, v11
	s_set_vgpr_msb 0                        ;  msbs: dst=0 src0=0 src1=0 src2=0
	v_perm_b32 v11, v7, v7, 0xc0c0302
	s_delay_alu instid0(VALU_DEP_2)
	v_add3_u32 v4, v4, v9, v5
	s_set_vgpr_msb 21                       ;  msbs: dst=0 src0=1 src1=1 src2=1
	v_mad_i32_i24 v5, v23 /*v279*/, v18 /*v274*/, v24 /*v280*/
	s_set_vgpr_msb 5                        ;  msbs: dst=0 src0=1 src1=1 src2=0
	v_mad_i32_i24 v9, v28 /*v284*/, v19 /*v275*/, v14
	s_set_vgpr_msb 16                       ;  msbs: dst=0 src0=0 src1=0 src2=1
	v_dot4_i32_iu8 v14, v121, v3, v14 /*v270*/ neg_lo:[1,1,0]
	s_set_vgpr_msb 4                        ;  msbs: dst=0 src0=0 src1=1 src2=0
	v_add3_u32 v4, v4, v25 /*v281*/, v5
	s_set_vgpr_msb 5                        ;  msbs: dst=0 src0=1 src1=1 src2=0
	v_add3_u32 v5, v26 /*v282*/, v27 /*v283*/, v9
	s_set_vgpr_msb 17                       ;  msbs: dst=0 src0=1 src1=0 src2=1
	v_dot4_i32_iu8 v9, v13 /*v269*/, v121, v12 /*v268*/ neg_lo:[1,1,0]
	s_set_vgpr_msb 0                        ;  msbs: dst=0 src0=0 src1=0 src2=0
	s_delay_alu instid0(VALU_DEP_2) | instskip(SKIP_4) | instid1(VALU_DEP_2)
	v_add3_u32 v4, v4, v5, v15
	v_perm_b32 v5, v161, v161, 0xc0c0302
	s_set_vgpr_msb 1                        ;  msbs: dst=0 src0=1 src1=0 src2=0
	v_bfe_i32 v161, v61 /*v317*/, 16, 8
	s_set_vgpr_msb 16                       ;  msbs: dst=0 src0=0 src1=0 src2=1
	v_dot4_i32_iu8 v11, v5, v11, v15 /*v271*/ neg_lo:[1,1,0]
	s_set_vgpr_msb 5                        ;  msbs: dst=0 src0=1 src1=1 src2=0
	v_perm_b32 v5, v9 /*v265*/, v9 /*v265*/, 0x3020001
	s_set_vgpr_msb 16                       ;  msbs: dst=0 src0=0 src1=0 src2=1
	s_delay_alu instid0(VALU_DEP_1) | instskip(SKIP_3) | instid1(VALU_DEP_2)
	v_dot4_i32_iu8 v15, v5, v242, v44 /*v300*/ neg_lo:[1,1,0]
	v_mul_lo_u32 v5, v8, v175
	s_set_vgpr_msb 1                        ;  msbs: dst=0 src0=1 src1=0 src2=0
	v_mul_lo_u32 v8, v35 /*v291*/, v168
	v_mad_u32 v5, v17 /*v273*/, v168, v5
	s_set_vgpr_msb 0                        ;  msbs: dst=0 src0=0 src1=0 src2=0
	s_delay_alu instid0(VALU_DEP_2)
	v_mad_u32 v4, v4, v175, v8
	v_mul_lo_u32 v8, v9, v241
	v_mul_lo_u32 v9, v11, v240
	v_perm_b32 v11, v34, v34, 0xc0c0001
	v_cvt_f32_i32_e32 v5, v5
	v_cvt_f32_i32_e32 v4, v4
	v_mad_u32 v8, v15, v240, v8
	v_mad_u32 v9, v14, v241, v9
	s_set_vgpr_msb 16                       ;  msbs: dst=0 src0=0 src1=0 src2=1
	v_dot4_i32_iu8 v15, v145, v3, v40 /*v296*/ neg_lo:[1,1,0]
	v_pk_fma_f32 v[4:5], v[16:17], v[4:5], 0 op_sel_hi:[1,1,0]
	s_delay_alu instid0(VALU_DEP_4) | instskip(NEXT) | instid1(VALU_DEP_4)
	v_cvt_f32_i32_e32 v8, v8
	v_cvt_f32_i32_e32 v9, v9
	s_set_vgpr_msb 0                        ;  msbs: dst=0 src0=0 src1=0 src2=0
	s_delay_alu instid0(VALU_DEP_1) | instskip(SKIP_3) | instid1(VALU_DEP_3)
	v_pk_fma_f32 v[4:5], v[0:1], v[8:9], v[4:5]
	s_wait_dscnt 0x0
	v_bfe_i32 v8, v153, 8, 8
	v_bfe_i32 v9, v152, 16, 8
	v_pk_fma_f32 v[104:105], v[26:27], v[4:5], v[104:105]
	s_delay_alu instid0(VALU_DEP_3) | instskip(SKIP_3) | instid1(VALU_DEP_2)
	v_mul_i32_i24_e32 v8, v8, v19
	s_set_vgpr_msb 1                        ;  msbs: dst=0 src0=1 src1=0 src2=0
	v_perm_b32 v4, v10 /*v266*/, v155, 0x6040501
	s_set_vgpr_msb 0                        ;  msbs: dst=0 src0=0 src1=0 src2=0
	v_dot4_i32_iu8 v8, v11, v235, v8 neg_lo:[1,1,0]
	v_perm_b32 v11, v34, v34, 0xc0c0302
	s_delay_alu instid0(VALU_DEP_1) | instskip(SKIP_1) | instid1(VALU_DEP_1)
	v_dot4_i32_iu8 v8, v236, v11, v8 neg_lo:[1,1,0]
	v_perm_b32 v11, v152, v152, 0xc0c0001
	v_dot4_i32_iu8 v8, v243, v11, v8 neg_lo:[1,1,0]
	v_perm_b32 v243, v141, v141, 0x600010c
	s_set_vgpr_msb 4                        ;  msbs: dst=0 src0=0 src1=1 src2=0
	v_perm_b32 v11, v139, v2 /*v258*/, 0x6040503
	s_set_vgpr_msb 0                        ;  msbs: dst=0 src0=0 src1=0 src2=0
	v_mad_i32_i24 v8, v9, v18, v8
	v_perm_b32 v9, v153, v152, 0xc0c0403
	s_set_vgpr_msb 4                        ;  msbs: dst=0 src0=0 src1=1 src2=0
	v_or_b32_e32 v5, v243, v31 /*v287*/
	s_set_vgpr_msb 0                        ;  msbs: dst=0 src0=0 src1=0 src2=0
	s_delay_alu instid0(VALU_DEP_2) | instskip(SKIP_1) | instid1(VALU_DEP_3)
	v_dot4_i32_iu8 v8, v244, v9, v8 neg_lo:[1,1,0]
	v_perm_b32 v9, v153, v153, 0xc0c0302
	v_dot4_i32_iu8 v4, v5, v4, 0 neg_lo:[1,1,0]
	s_set_vgpr_msb 4                        ;  msbs: dst=0 src0=0 src1=1 src2=0
	v_perm_b32 v5, v154, v10 /*v266*/, 0x6040503
	s_set_vgpr_msb 0                        ;  msbs: dst=0 src0=0 src1=0 src2=0
	v_dot4_i32_iu8 v6, v6, v9, v8 neg_lo:[1,1,0]
	s_set_vgpr_msb 1                        ;  msbs: dst=0 src0=1 src1=0 src2=0
	v_perm_b32 v8, v11 /*v267*/, v141, 0x6040503
	v_perm_b32 v9, v7 /*v263*/, v144, 0x6040503
	s_set_vgpr_msb 0                        ;  msbs: dst=0 src0=0 src1=0 src2=0
	v_dot4_i32_iu8 v6, v32, v7, v6 neg_lo:[1,1,0]
	s_delay_alu instid0(VALU_DEP_3) | instskip(SKIP_2) | instid1(VALU_DEP_4)
	v_dot4_i32_iu8 v4, v8, v5, v4 neg_lo:[1,1,0]
	v_perm_b32 v5, v154, v154, 0xc0c0c03
	v_perm_b32 v8, v155, v155, 0x706000c
	v_mul_lo_u32 v6, v6, v161
	s_delay_alu instid0(VALU_DEP_2)
	v_or_b32_e32 v244, v8, v5
	s_set_vgpr_msb 1                        ;  msbs: dst=0 src0=1 src1=0 src2=0
	v_perm_b32 v5, v6 /*v262*/, v157, 0x6040501
	s_set_vgpr_msb 4                        ;  msbs: dst=0 src0=0 src1=1 src2=0
	v_perm_b32 v8, v144, v8 /*v264*/, 0x6040501
	v_dot4_i32_iu8 v4, v244, v32 /*v288*/, v4 neg_lo:[1,1,0]
	s_set_vgpr_msb 0                        ;  msbs: dst=0 src0=0 src1=0 src2=0
	s_delay_alu instid0(VALU_DEP_2)
	v_dot4_i32_iu8 v5, v8, v5, 0 neg_lo:[1,1,0]
	s_set_vgpr_msb 4                        ;  msbs: dst=0 src0=0 src1=1 src2=0
	v_perm_b32 v8, v156, v6 /*v262*/, 0x6040503
	s_set_vgpr_msb 1                        ;  msbs: dst=0 src0=1 src1=0 src2=0
	v_dot4_i32_iu8 v14, v13 /*v269*/, v145, v4 neg_lo:[1,1,0]
	s_set_vgpr_msb 0                        ;  msbs: dst=0 src0=0 src1=0 src2=0
	s_delay_alu instid0(VALU_DEP_2) | instskip(SKIP_2) | instid1(VALU_DEP_1)
	v_dot4_i32_iu8 v5, v9, v8, v5 neg_lo:[1,1,0]
	v_perm_b32 v8, v156, v156, 0xc0c0c03
	v_perm_b32 v9, v157, v157, 0x706000c
	v_or_b32_e32 v245, v9, v8
	s_set_vgpr_msb 1                        ;  msbs: dst=0 src0=1 src1=0 src2=0
	v_dot4_i32_iu8 v8, v34 /*v290*/, v228, 0 neg_lo:[1,1,0]
	v_perm_b32 v9, v3 /*v259*/, v138, 0x6040503
	s_set_vgpr_msb 4                        ;  msbs: dst=0 src0=0 src1=1 src2=0
	v_dot4_i32_iu8 v5, v245, v33 /*v289*/, v5 neg_lo:[1,1,0]
	s_set_vgpr_msb 0                        ;  msbs: dst=0 src0=0 src1=0 src2=0
	s_delay_alu instid0(VALU_DEP_2)
	v_dot4_i32_iu8 v8, v11, v9, v8 neg_lo:[1,1,0]
	s_set_vgpr_msb 4                        ;  msbs: dst=0 src0=0 src1=1 src2=0
	v_perm_b32 v9, v136, v3 /*v259*/, 0x7060403
	s_set_vgpr_msb 1                        ;  msbs: dst=0 src0=1 src1=0 src2=0
	v_perm_b32 v11, v4 /*v260*/, v139, 0x7060403
	v_dot4_i32_iu8 v18, v9 /*v265*/, v140, v5 neg_lo:[1,1,0]
	v_mul_lo_u32 v5, v43 /*v299*/, v178
	s_set_vgpr_msb 0                        ;  msbs: dst=0 src0=0 src1=0 src2=0
	s_delay_alu instid0(VALU_DEP_3)
	v_dot4_i32_iu8 v8, v11, v9, v8 neg_lo:[1,1,0]
	s_set_vgpr_msb 1                        ;  msbs: dst=0 src0=1 src1=0 src2=0
	v_dot4_i32_iu8 v9, v38 /*v294*/, v233, 0 neg_lo:[1,1,0]
	s_set_vgpr_msb 0                        ;  msbs: dst=0 src0=0 src1=0 src2=0
	v_perm_b32 v11, v143, v142, 0x6040503
	s_set_vgpr_msb 1                        ;  msbs: dst=0 src0=1 src1=0 src2=0
	v_dot4_i32_iu8 v8, v5 /*v261*/, v137, v8 neg_lo:[1,1,0]
	s_set_vgpr_msb 0                        ;  msbs: dst=0 src0=0 src1=0 src2=0
	s_delay_alu instid0(VALU_DEP_2)
	v_dot4_i32_iu8 v9, v20, v11, v9 neg_lo:[1,1,0]
	v_perm_b32 v11, v134, v143, 0x7060403
	s_set_vgpr_msb 1                        ;  msbs: dst=0 src0=1 src1=0 src2=0
	v_mad_u32 v5, v42 /*v298*/, v177, v5
	s_set_vgpr_msb 0                        ;  msbs: dst=0 src0=0 src1=0 src2=0
	v_mul_lo_u32 v4, v8, v177
	v_dot4_i32_iu8 v9, v10, v11, v9 neg_lo:[1,1,0]
	s_set_vgpr_msb 16                       ;  msbs: dst=0 src0=0 src1=0 src2=1
	v_dot4_i32_iu8 v11, v140, v7, v41 /*v297*/ neg_lo:[1,1,0]
	s_set_vgpr_msb 0                        ;  msbs: dst=0 src0=0 src1=0 src2=0
	v_dot4_i32_iu8 v7, v35, v3, v2 neg_lo:[1,1,0]
	v_mul_lo_u32 v3, v13, v163
	v_dot4_i32_iu8 v9, v23, v135, v9 neg_lo:[1,1,0]
	v_mul_lo_u32 v8, v11, v232
	v_cvt_f32_i32_e32 v5, v5
	v_mad_u32 v6, v7, v116, v6
	s_delay_alu instid0(VALU_DEP_4) | instskip(SKIP_3) | instid1(VALU_DEP_4)
	v_mad_u32 v4, v9, v178, v4
	v_mul_lo_u32 v9, v14, v231
	v_mad_u32 v3, v12, v125, v3
	v_mad_u32 v8, v15, v231, v8
	v_cvt_f32_i32_e32 v4, v4
	s_delay_alu instid0(VALU_DEP_4) | instskip(NEXT) | instid1(VALU_DEP_4)
	v_mad_u32 v11, v18, v232, v9
	v_cvt_f32_i32_e32 v3, v3
	s_delay_alu instid0(VALU_DEP_3) | instskip(SKIP_1) | instid1(VALU_DEP_4)
	v_pk_fma_f32 v[4:5], v[16:17], v[4:5], 0 op_sel_hi:[1,1,0]
	v_cvt_f32_i32_e32 v9, v8
	v_cvt_f32_i32_e32 v8, v11
	s_set_vgpr_msb 4                        ;  msbs: dst=0 src0=0 src1=1 src2=0
	v_perm_b32 v11, v133, v2 /*v258*/, 0x6040503
	s_set_vgpr_msb 0                        ;  msbs: dst=0 src0=0 src1=0 src2=0
	s_delay_alu instid0(VALU_DEP_2)
	v_pk_fma_f32 v[4:5], v[0:1], v[8:9], v[4:5]
	s_set_vgpr_msb 1                        ;  msbs: dst=0 src0=1 src1=0 src2=0
	v_perm_b32 v8, v11 /*v267*/, v33, 0x6040503
	v_perm_b32 v9, v7 /*v263*/, v34, 0x6040503
	s_set_vgpr_msb 0                        ;  msbs: dst=0 src0=0 src1=0 src2=0
	v_pk_fma_f32 v[110:111], v[28:29], v[4:5], v[110:111]
	s_set_vgpr_msb 1                        ;  msbs: dst=0 src0=1 src1=0 src2=0
	v_perm_b32 v4, v10 /*v266*/, v147, 0x6040501
	s_set_vgpr_msb 4                        ;  msbs: dst=0 src0=0 src1=1 src2=0
	v_or_b32_e32 v5, v234, v31 /*v287*/
	s_set_vgpr_msb 0                        ;  msbs: dst=0 src0=0 src1=0 src2=0
	s_delay_alu instid0(VALU_DEP_1) | instskip(SKIP_3) | instid1(VALU_DEP_1)
	v_dot4_i32_iu8 v4, v5, v4, 0 neg_lo:[1,1,0]
	s_set_vgpr_msb 4                        ;  msbs: dst=0 src0=0 src1=1 src2=0
	v_perm_b32 v5, v146, v10 /*v266*/, 0x6040503
	s_set_vgpr_msb 0                        ;  msbs: dst=0 src0=0 src1=0 src2=0
	v_dot4_i32_iu8 v4, v8, v5, v4 neg_lo:[1,1,0]
	v_perm_b32 v5, v146, v146, 0xc0c0c03
	v_perm_b32 v8, v147, v147, 0x706000c
	s_delay_alu instid0(VALU_DEP_1)
	v_or_b32_e32 v235, v8, v5
	s_set_vgpr_msb 1                        ;  msbs: dst=0 src0=1 src1=0 src2=0
	v_perm_b32 v5, v6 /*v262*/, v153, 0x6040501
	s_set_vgpr_msb 4                        ;  msbs: dst=0 src0=0 src1=1 src2=0
	v_perm_b32 v8, v34, v8 /*v264*/, 0x6040501
	v_dot4_i32_iu8 v4, v235, v32 /*v288*/, v4 neg_lo:[1,1,0]
	s_set_vgpr_msb 0                        ;  msbs: dst=0 src0=0 src1=0 src2=0
	s_delay_alu instid0(VALU_DEP_2)
	v_dot4_i32_iu8 v5, v8, v5, 0 neg_lo:[1,1,0]
	s_set_vgpr_msb 4                        ;  msbs: dst=0 src0=0 src1=1 src2=0
	v_perm_b32 v8, v152, v6 /*v262*/, 0x6040503
	s_set_vgpr_msb 1                        ;  msbs: dst=0 src0=1 src1=0 src2=0
	v_dot4_i32_iu8 v4, v13 /*v269*/, v35, v4 neg_lo:[1,1,0]
	s_set_vgpr_msb 0                        ;  msbs: dst=0 src0=0 src1=0 src2=0
	s_delay_alu instid0(VALU_DEP_2) | instskip(SKIP_3) | instid1(VALU_DEP_2)
	v_dot4_i32_iu8 v5, v9, v8, v5 neg_lo:[1,1,0]
	v_perm_b32 v8, v152, v152, 0xc0c0c03
	v_perm_b32 v9, v153, v153, 0x706000c
	v_mul_lo_u32 v4, v4, v116
	v_or_b32_e32 v236, v9, v8
	s_set_vgpr_msb 1                        ;  msbs: dst=0 src0=1 src1=0 src2=0
	v_dot4_i32_iu8 v8, v34 /*v290*/, v227, 0 neg_lo:[1,1,0]
	v_perm_b32 v9, v3 /*v259*/, v132, 0x6040503
	s_set_vgpr_msb 4                        ;  msbs: dst=0 src0=0 src1=1 src2=0
	v_dot4_i32_iu8 v5, v236, v33 /*v289*/, v5 neg_lo:[1,1,0]
	s_set_vgpr_msb 0                        ;  msbs: dst=0 src0=0 src1=0 src2=0
	s_delay_alu instid0(VALU_DEP_2)
	v_dot4_i32_iu8 v8, v11, v9, v8 neg_lo:[1,1,0]
	s_set_vgpr_msb 4                        ;  msbs: dst=0 src0=0 src1=1 src2=0
	v_perm_b32 v9, v130, v3 /*v259*/, 0x7060403
	s_set_vgpr_msb 1                        ;  msbs: dst=0 src0=1 src1=0 src2=0
	v_perm_b32 v11, v4 /*v260*/, v133, 0x7060403
	v_dot4_i32_iu8 v5, v9 /*v265*/, v32, v5 neg_lo:[1,1,0]
	s_set_vgpr_msb 0                        ;  msbs: dst=0 src0=0 src1=0 src2=0
	s_delay_alu instid0(VALU_DEP_2)
	v_dot4_i32_iu8 v8, v11, v9, v8 neg_lo:[1,1,0]
	s_set_vgpr_msb 1                        ;  msbs: dst=0 src0=1 src1=0 src2=0
	v_dot4_i32_iu8 v9, v38 /*v294*/, v179, 0 neg_lo:[1,1,0]
	s_set_vgpr_msb 0                        ;  msbs: dst=0 src0=0 src1=0 src2=0
	v_perm_b32 v11, v129, v128, 0x6040503
	v_mad_u32 v4, v5, v161, v4
	v_cvt_f32_i32_e32 v5, v6
	s_set_vgpr_msb 1                        ;  msbs: dst=0 src0=1 src1=0 src2=0
	v_dot4_i32_iu8 v8, v5 /*v261*/, v131, v8 neg_lo:[1,1,0]
	s_set_vgpr_msb 0                        ;  msbs: dst=0 src0=0 src1=0 src2=0
	v_dot4_i32_iu8 v9, v20, v11, v9 neg_lo:[1,1,0]
	v_perm_b32 v11, v126, v129, 0x7060403
	s_delay_alu instid0(VALU_DEP_3) | instskip(NEXT) | instid1(VALU_DEP_2)
	v_mul_lo_u32 v2, v8, v125
	v_dot4_i32_iu8 v9, v10, v11, v9 neg_lo:[1,1,0]
	v_cvt_f32_i32_e32 v4, v4
	s_delay_alu instid0(VALU_DEP_2) | instskip(NEXT) | instid1(VALU_DEP_1)
	v_dot4_i32_iu8 v9, v23, v127, v9 neg_lo:[1,1,0]
	v_mad_u32 v2, v9, v163, v2
	s_delay_alu instid0(VALU_DEP_1) | instskip(NEXT) | instid1(VALU_DEP_1)
	v_cvt_f32_i32_e32 v2, v2
	v_pk_fma_f32 v[2:3], v[16:17], v[2:3], 0 op_sel_hi:[1,1,0]
	s_delay_alu instid0(VALU_DEP_1) | instskip(NEXT) | instid1(VALU_DEP_1)
	v_pk_fma_f32 v[0:1], v[0:1], v[4:5], v[2:3]
	v_pk_fma_f32 v[114:115], v[30:31], v[0:1], v[114:115]
	v_or_b32_e32 v0, s5, v208
	s_delay_alu instid0(VALU_DEP_1)
	v_lshlrev_b32_e32 v4, 2, v0
	s_set_vgpr_msb 64                       ;  msbs: dst=1 src0=0 src1=0 src2=0
	v_lshrrev_b32_e32 v2 /*v258*/, 1, v0
	s_set_vgpr_msb 0                        ;  msbs: dst=0 src0=0 src1=0 src2=0
	ds_load_b128 v[8:11], v4 offset:33280
	ds_load_b128 v[12:15], v4 offset:33296
	;; [unrolled: 1-line block ×4, first 2 shown]
	s_wait_dscnt 0x3
	s_set_vgpr_msb 64                       ;  msbs: dst=1 src0=0 src1=0 src2=0
	v_perm_b32 v6 /*v262*/, v9, v166, 0x6040503
	s_wait_dscnt 0x2
	s_set_vgpr_msb 0                        ;  msbs: dst=0 src0=0 src1=0 src2=0
	v_perm_b32 v21, v13, v12, 0x6040503
	s_wait_dscnt 0x1
	v_perm_b32 v20, v1, v150, 0x6040503
	s_wait_dscnt 0x0
	v_perm_b32 v17, v6, v6, 0xc0c0c01
	v_perm_b32 v16, v4, v171, 0x6040501
	;; [unrolled: 1-line block ×4, first 2 shown]
	s_set_vgpr_msb 64                       ;  msbs: dst=1 src0=0 src1=0 src2=0
	v_perm_b32 v7 /*v263*/, v167, v8, 0x6040503
	s_set_vgpr_msb 0                        ;  msbs: dst=0 src0=0 src1=0 src2=0
	v_or_b32_e32 v18, v253, v17
	s_delay_alu instid0(VALU_DEP_1) | instskip(SKIP_1) | instid1(VALU_DEP_1)
	v_dot4_i32_iu8 v16, v18, v16, 0 neg_lo:[1,1,0]
	v_perm_b32 v18, v170, v4, 0x6040503
	v_dot4_i32_iu8 v16, v19, v18, v16 neg_lo:[1,1,0]
	v_perm_b32 v18, v6, v5, 0x7060403
	v_perm_b32 v19, v150, v2, 0x6040501
	;; [unrolled: 1-line block ×3, first 2 shown]
	s_set_vgpr_msb 64                       ;  msbs: dst=1 src0=0 src1=0 src2=0
	s_delay_alu instid0(VALU_DEP_3) | instskip(SKIP_3) | instid1(VALU_DEP_2)
	v_dot4_i32_iu8 v3 /*v259*/, v254, v18, v16 neg_lo:[1,1,0]
	s_set_vgpr_msb 0                        ;  msbs: dst=0 src0=0 src1=0 src2=0
	v_perm_b32 v16, v0, v173, 0x6040501
	s_set_vgpr_msb 0x50                     ;  msbs: dst=1 src0=0 src1=0 src2=1
	v_dot4_i32_iu8 v29 /*v285*/, v7, v151, v3 /*v259*/ neg_lo:[1,1,0]
	s_set_vgpr_msb 0                        ;  msbs: dst=0 src0=0 src1=0 src2=0
	s_delay_alu instid0(VALU_DEP_2) | instskip(SKIP_1) | instid1(VALU_DEP_1)
	v_dot4_i32_iu8 v16, v19, v16, 0 neg_lo:[1,1,0]
	v_perm_b32 v19, v172, v0, 0x6040503
	v_dot4_i32_iu8 v16, v20, v19, v16 neg_lo:[1,1,0]
	v_perm_b32 v19, v2, v1, 0x7060403
	s_set_vgpr_msb 64                       ;  msbs: dst=1 src0=0 src1=0 src2=0
	s_delay_alu instid0(VALU_DEP_1) | instskip(SKIP_3) | instid1(VALU_DEP_2)
	v_dot4_i32_iu8 v4 /*v260*/, v255, v19, v16 neg_lo:[1,1,0]
	s_set_vgpr_msb 0                        ;  msbs: dst=0 src0=0 src1=0 src2=0
	v_perm_b32 v16, v12, v14, 0x6050401
	s_set_vgpr_msb 0x50                     ;  msbs: dst=1 src0=0 src1=0 src2=1
	v_dot4_i32_iu8 v28 /*v284*/, v3, v148, v4 /*v260*/ neg_lo:[1,1,0]
	s_set_vgpr_msb 0                        ;  msbs: dst=0 src0=0 src1=0 src2=0
	s_delay_alu instid0(VALU_DEP_2) | instskip(SKIP_1) | instid1(VALU_DEP_1)
	v_dot4_i32_iu8 v20, v16, v246, 0 neg_lo:[1,1,0]
	s_set_vgpr_msb 4                        ;  msbs: dst=0 src0=0 src1=1 src2=0
	v_dot4_i32_iu8 v20, v21, v0 /*v256*/, v20 neg_lo:[1,1,0]
	s_set_vgpr_msb 0                        ;  msbs: dst=0 src0=0 src1=0 src2=0
	s_delay_alu instid0(VALU_DEP_1) | instskip(SKIP_1) | instid1(VALU_DEP_1)
	v_dot4_i32_iu8 v20, v22, v249, v20 neg_lo:[1,1,0]
	s_set_vgpr_msb 64                       ;  msbs: dst=1 src0=0 src1=0 src2=0
	v_dot4_i32_iu8 v5 /*v261*/, v15, v169, v20 neg_lo:[1,1,0]
	s_set_vgpr_msb 0                        ;  msbs: dst=0 src0=0 src1=0 src2=0
	v_perm_b32 v20, v8, v10, 0x6050401
	s_set_vgpr_msb 4                        ;  msbs: dst=0 src0=0 src1=1 src2=0
	s_delay_alu instid0(VALU_DEP_1) | instskip(SKIP_1) | instid1(VALU_DEP_1)
	v_dot4_i32_iu8 v23, v20, v1 /*v257*/, 0 neg_lo:[1,1,0]
	s_set_vgpr_msb 5                        ;  msbs: dst=0 src0=1 src1=1 src2=0
	v_dot4_i32_iu8 v23, v7 /*v263*/, v6 /*v262*/, v23 neg_lo:[1,1,0]
	s_set_vgpr_msb 64                       ;  msbs: dst=1 src0=0 src1=0 src2=0
	v_perm_b32 v6 /*v262*/, v164, v9, 0x7060403
	v_perm_b32 v7 /*v263*/, v10, v167, 0x7060403
	s_set_vgpr_msb 5                        ;  msbs: dst=0 src0=1 src1=1 src2=0
	s_delay_alu instid0(VALU_DEP_1) | instskip(SKIP_2) | instid1(VALU_DEP_2)
	v_dot4_i32_iu8 v23, v7 /*v263*/, v6 /*v262*/, v23 neg_lo:[1,1,0]
	s_set_vgpr_msb 64                       ;  msbs: dst=1 src0=0 src1=0 src2=0
	v_perm_b32 v7 /*v263*/, v5, v120, 0x6040503
	v_dot4_i32_iu8 v6 /*v262*/, v11, v165, v23 neg_lo:[1,1,0]
	s_set_vgpr_msb 0                        ;  msbs: dst=0 src0=0 src1=0 src2=0
	v_perm_b32 v23, v4, v159, 0x6040501
	s_delay_alu instid0(VALU_DEP_1) | instskip(SKIP_2) | instid1(VALU_DEP_1)
	v_dot4_i32_iu8 v6, v6, v23, 0 neg_lo:[1,1,0]
	v_perm_b32 v23, v158, v4, 0x6040503
	s_set_vgpr_msb 1                        ;  msbs: dst=0 src0=1 src1=0 src2=0
	v_dot4_i32_iu8 v6, v7 /*v263*/, v23, v6 neg_lo:[1,1,0]
	s_set_vgpr_msb 0                        ;  msbs: dst=0 src0=0 src1=0 src2=0
	v_perm_b32 v23, v0, v160, 0x6040501
	s_set_vgpr_msb 64                       ;  msbs: dst=1 src0=0 src1=0 src2=0
	v_perm_b32 v7 /*v263*/, v162, v2, 0x6040501
	s_set_vgpr_msb 0                        ;  msbs: dst=0 src0=0 src1=0 src2=0
	v_dot4_i32_iu8 v6, v250, v18, v6 neg_lo:[1,1,0]
	s_set_vgpr_msb 1                        ;  msbs: dst=0 src0=1 src1=0 src2=0
	s_delay_alu instid0(VALU_DEP_2)
	v_dot4_i32_iu8 v23, v7 /*v263*/, v23, 0 neg_lo:[1,1,0]
	s_set_vgpr_msb 64                       ;  msbs: dst=1 src0=0 src1=0 src2=0
	v_perm_b32 v7 /*v263*/, v1, v0, 0x6040503
	s_set_vgpr_msb 0                        ;  msbs: dst=0 src0=0 src1=0 src2=0
	v_dot4_i32_iu8 v6, v7, v121, v6 neg_lo:[1,1,0]
	s_set_vgpr_msb 4                        ;  msbs: dst=0 src0=0 src1=1 src2=0
	s_delay_alu instid0(VALU_DEP_2) | instskip(SKIP_2) | instid1(VALU_DEP_2)
	v_dot4_i32_iu8 v23, v251, v7 /*v263*/, v23 neg_lo:[1,1,0]
	s_set_vgpr_msb 64                       ;  msbs: dst=1 src0=0 src1=0 src2=0
	v_perm_b32 v7 /*v263*/, v124, v14, 0x6050401
	v_dot4_i32_iu8 v8 /*v264*/, v252, v19, v23 neg_lo:[1,1,0]
	s_set_vgpr_msb 0                        ;  msbs: dst=0 src0=0 src1=0 src2=0
	v_perm_b32 v23, v12, v118, 0x6050401
	s_set_vgpr_msb 1                        ;  msbs: dst=0 src0=1 src1=0 src2=0
	s_delay_alu instid0(VALU_DEP_1) | instskip(SKIP_1) | instid1(VALU_DEP_1)
	v_dot4_i32_iu8 v23, v7 /*v263*/, v23, 0 neg_lo:[1,1,0]
	s_set_vgpr_msb 0                        ;  msbs: dst=0 src0=0 src1=0 src2=0
	v_dot4_i32_iu8 v21, v237, v21, v23 neg_lo:[1,1,0]
	v_perm_b32 v23, v123, v8, 0x6040503
	s_delay_alu instid0(VALU_DEP_2) | instskip(SKIP_2) | instid1(VALU_DEP_2)
	v_dot4_i32_iu8 v21, v238, v22, v21 neg_lo:[1,1,0]
	v_perm_b32 v22, v9, v122, 0x6040503
	s_set_vgpr_msb 64                       ;  msbs: dst=1 src0=0 src1=0 src2=0
	v_dot4_i32_iu8 v9 /*v265*/, v15, v119, v21 neg_lo:[1,1,0]
	s_set_vgpr_msb 0                        ;  msbs: dst=0 src0=0 src1=0 src2=0
	v_dot4_i32_iu8 v21, v20, v176, 0 neg_lo:[1,1,0]
	s_delay_alu instid0(VALU_DEP_1) | instskip(SKIP_3) | instid1(VALU_DEP_3)
	v_dot4_i32_iu8 v21, v23, v22, v21 neg_lo:[1,1,0]
	v_perm_b32 v22, v10, v9, 0x7060403
	v_perm_b32 v23, v5, v141, 0x6040503
	;; [unrolled: 1-line block ×3, first 2 shown]
	v_dot4_i32_iu8 v21, v239, v22, v21 neg_lo:[1,1,0]
	v_or_b32_e32 v22, v243, v17
	v_or_b32_e32 v17, v234, v17
	s_set_vgpr_msb 64                       ;  msbs: dst=1 src0=0 src1=0 src2=0
	s_delay_alu instid0(VALU_DEP_3) | instskip(SKIP_2) | instid1(VALU_DEP_1)
	v_dot4_i32_iu8 v10 /*v266*/, v11, v117, v21 neg_lo:[1,1,0]
	s_set_vgpr_msb 0                        ;  msbs: dst=0 src0=0 src1=0 src2=0
	v_perm_b32 v21, v4, v155, 0x6040501
	v_dot4_i32_iu8 v21, v22, v21, 0 neg_lo:[1,1,0]
	v_perm_b32 v22, v154, v4, 0x6040503
	s_delay_alu instid0(VALU_DEP_1)
	v_dot4_i32_iu8 v21, v23, v22, v21 neg_lo:[1,1,0]
	v_perm_b32 v22, v144, v2, 0x6040501
	v_perm_b32 v23, v1, v144, 0x6040503
	;; [unrolled: 1-line block ×4, first 2 shown]
	s_set_vgpr_msb 64                       ;  msbs: dst=1 src0=0 src1=0 src2=0
	v_dot4_i32_iu8 v11 /*v267*/, v244, v18, v21 neg_lo:[1,1,0]
	s_set_vgpr_msb 0                        ;  msbs: dst=0 src0=0 src1=0 src2=0
	v_perm_b32 v21, v0, v157, 0x6040501
	s_delay_alu instid0(VALU_DEP_1) | instskip(SKIP_1) | instid1(VALU_DEP_1)
	v_dot4_i32_iu8 v21, v22, v21, 0 neg_lo:[1,1,0]
	v_perm_b32 v22, v156, v0, 0x6040503
	v_dot4_i32_iu8 v21, v23, v22, v21 neg_lo:[1,1,0]
	v_perm_b32 v22, v13, v138, 0x6040503
	v_perm_b32 v23, v139, v12, 0x6040503
	s_set_vgpr_msb 64                       ;  msbs: dst=1 src0=0 src1=0 src2=0
	s_delay_alu instid0(VALU_DEP_3) | instskip(SKIP_2) | instid1(VALU_DEP_1)
	v_dot4_i32_iu8 v12 /*v268*/, v245, v19, v21 neg_lo:[1,1,0]
	s_set_vgpr_msb 0                        ;  msbs: dst=0 src0=0 src1=0 src2=0
	v_dot4_i32_iu8 v21, v16, v228, 0 neg_lo:[1,1,0]
	v_dot4_i32_iu8 v21, v23, v22, v21 neg_lo:[1,1,0]
	v_perm_b32 v22, v136, v13, 0x7060403
	v_perm_b32 v23, v14, v139, 0x7060403
	s_delay_alu instid0(VALU_DEP_1) | instskip(SKIP_3) | instid1(VALU_DEP_3)
	v_dot4_i32_iu8 v21, v23, v22, v21 neg_lo:[1,1,0]
	v_perm_b32 v22, v9, v142, 0x6040503
	v_perm_b32 v23, v143, v8, 0x6040503
	s_set_vgpr_msb 64                       ;  msbs: dst=1 src0=0 src1=0 src2=0
	v_dot4_i32_iu8 v13 /*v269*/, v15, v137, v21 neg_lo:[1,1,0]
	s_set_vgpr_msb 0                        ;  msbs: dst=0 src0=0 src1=0 src2=0
	v_dot4_i32_iu8 v21, v20, v233, 0 neg_lo:[1,1,0]
	s_delay_alu instid0(VALU_DEP_1) | instskip(SKIP_2) | instid1(VALU_DEP_1)
	v_dot4_i32_iu8 v21, v23, v22, v21 neg_lo:[1,1,0]
	v_perm_b32 v22, v134, v9, 0x7060403
	v_perm_b32 v23, v10, v143, 0x7060403
	v_dot4_i32_iu8 v21, v23, v22, v21 neg_lo:[1,1,0]
	s_set_vgpr_msb 64                       ;  msbs: dst=1 src0=0 src1=0 src2=0
	s_delay_alu instid0(VALU_DEP_1) | instskip(SKIP_3) | instid1(VALU_DEP_2)
	v_dot4_i32_iu8 v14 /*v270*/, v11, v135, v21 neg_lo:[1,1,0]
	s_set_vgpr_msb 0                        ;  msbs: dst=0 src0=0 src1=0 src2=0
	v_perm_b32 v21, v4, v147, 0x6040501
	v_perm_b32 v4, v146, v4, 0x6040503
	v_dot4_i32_iu8 v17, v17, v21, 0 neg_lo:[1,1,0]
	s_delay_alu instid0(VALU_DEP_1) | instskip(SKIP_1) | instid1(VALU_DEP_1)
	v_dot4_i32_iu8 v4, v5, v4, v17 neg_lo:[1,1,0]
	s_set_vgpr_msb 64                       ;  msbs: dst=1 src0=0 src1=0 src2=0
	v_dot4_i32_iu8 v15 /*v271*/, v235, v18, v4 neg_lo:[1,1,0]
	s_set_vgpr_msb 0                        ;  msbs: dst=0 src0=0 src1=0 src2=0
	v_perm_b32 v4, v0, v153, 0x6040501
	v_perm_b32 v0, v152, v0, 0x6040503
	s_delay_alu instid0(VALU_DEP_2) | instskip(SKIP_1) | instid1(VALU_DEP_2)
	v_dot4_i32_iu8 v2, v2, v4, 0 neg_lo:[1,1,0]
	v_perm_b32 v4, v133, v12, 0x6040503
	v_dot4_i32_iu8 v0, v1, v0, v2 neg_lo:[1,1,0]
	v_perm_b32 v1, v13, v132, 0x6040503
	s_delay_alu instid0(VALU_DEP_2) | instskip(SKIP_1) | instid1(VALU_DEP_1)
	v_dot4_i32_iu8 v2, v236, v19, v0 neg_lo:[1,1,0]
	v_dot4_i32_iu8 v0, v16, v227, 0 neg_lo:[1,1,0]
	;; [unrolled: 1-line block ×3, first 2 shown]
	v_perm_b32 v1, v130, v13, 0x7060403
	v_perm_b32 v4, v14, v133, 0x7060403
	s_delay_alu instid0(VALU_DEP_1) | instskip(SKIP_3) | instid1(VALU_DEP_3)
	v_dot4_i32_iu8 v0, v4, v1, v0 neg_lo:[1,1,0]
	v_perm_b32 v1, v9, v128, 0x6040503
	v_perm_b32 v4, v129, v8, 0x6040503
	s_set_vgpr_msb 64                       ;  msbs: dst=1 src0=0 src1=0 src2=0
	v_dot4_i32_iu8 v16 /*v272*/, v15, v131, v0 neg_lo:[1,1,0]
	s_set_vgpr_msb 0                        ;  msbs: dst=0 src0=0 src1=0 src2=0
	v_dot4_i32_iu8 v0, v20, v179, 0 neg_lo:[1,1,0]
	s_delay_alu instid0(VALU_DEP_1) | instskip(SKIP_2) | instid1(VALU_DEP_1)
	v_dot4_i32_iu8 v0, v4, v1, v0 neg_lo:[1,1,0]
	v_perm_b32 v1, v126, v9, 0x7060403
	v_perm_b32 v4, v10, v129, 0x7060403
	v_dot4_i32_iu8 v0, v4, v1, v0 neg_lo:[1,1,0]
	s_set_vgpr_msb 64                       ;  msbs: dst=1 src0=0 src1=0 src2=0
	s_delay_alu instid0(VALU_DEP_1) | instskip(SKIP_2) | instid1(VALU_DEP_1)
	v_dot4_i32_iu8 v17 /*v273*/, v11, v127, v0 neg_lo:[1,1,0]
	s_set_vgpr_msb 0                        ;  msbs: dst=0 src0=0 src1=0 src2=0
	v_or_b32_e32 v0, s5, v209
	v_lshlrev_b32_e32 v1, 2, v0
	ds_load_b128 v[8:11], v1 offset:33280
	ds_load_b128 v[12:15], v1 offset:33296
	;; [unrolled: 1-line block ×4, first 2 shown]
	v_lshrrev_b32_e32 v4, 1, v0
	s_wait_dscnt 0x3
	s_set_vgpr_msb 64                       ;  msbs: dst=1 src0=0 src1=0 src2=0
	v_perm_b32 v26 /*v282*/, v8, v10, 0x6050401
	s_wait_dscnt 0x2
	v_perm_b32 v22 /*v278*/, v12, v14, 0x6050401
	s_wait_dscnt 0x1
	;; [unrolled: 2-line block ×3, first 2 shown]
	v_perm_b32 v18 /*v274*/, v22, v22, 0xc0c0c01
	s_set_vgpr_msb 0                        ;  msbs: dst=0 src0=0 src1=0 src2=0
	v_perm_b32 v0, v20, v171, 0x6040501
	v_perm_b32 v5, v21, v149, 0x6040503
	s_set_vgpr_msb 64                       ;  msbs: dst=1 src0=0 src1=0 src2=0
	v_perm_b32 v19 /*v275*/, v22, v21, 0x7060403
	v_perm_b32 v23 /*v279*/, v13, v12, 0x6040503
	s_set_vgpr_msb 4                        ;  msbs: dst=0 src0=0 src1=1 src2=0
	v_or_b32_e32 v1, v253, v18 /*v274*/
	s_set_vgpr_msb 64                       ;  msbs: dst=1 src0=0 src1=0 src2=0
	v_perm_b32 v24 /*v280*/, v14, v13, 0x7060403
	s_set_vgpr_msb 0                        ;  msbs: dst=0 src0=0 src1=0 src2=0
	s_delay_alu instid0(VALU_DEP_2) | instskip(SKIP_1) | instid1(VALU_DEP_1)
	v_dot4_i32_iu8 v0, v1, v0, 0 neg_lo:[1,1,0]
	v_perm_b32 v1, v170, v20, 0x6040503
	v_dot4_i32_iu8 v0, v5, v1, v0 neg_lo:[1,1,0]
	v_perm_b32 v1, v150, v18, 0x6040501
	v_perm_b32 v5, v17, v150, 0x6040503
	s_set_vgpr_msb 0x44                     ;  msbs: dst=1 src0=0 src1=1 src2=0
	s_delay_alu instid0(VALU_DEP_3) | instskip(SKIP_3) | instid1(VALU_DEP_2)
	v_dot4_i32_iu8 v7 /*v263*/, v254, v19 /*v275*/, v0 neg_lo:[1,1,0]
	s_set_vgpr_msb 0                        ;  msbs: dst=0 src0=0 src1=0 src2=0
	v_perm_b32 v0, v16, v173, 0x6040501
	s_set_vgpr_msb 0x50                     ;  msbs: dst=1 src0=0 src1=0 src2=1
	v_dot4_i32_iu8 v7 /*v263*/, v23, v151, v7 /*v263*/ neg_lo:[1,1,0]
	s_set_vgpr_msb 0                        ;  msbs: dst=0 src0=0 src1=0 src2=0
	s_delay_alu instid0(VALU_DEP_2) | instskip(SKIP_1) | instid1(VALU_DEP_1)
	v_dot4_i32_iu8 v0, v1, v0, 0 neg_lo:[1,1,0]
	v_perm_b32 v1, v172, v16, 0x6040503
	v_dot4_i32_iu8 v0, v5, v1, v0 neg_lo:[1,1,0]
	v_perm_b32 v1, v9, v166, 0x6040503
	v_perm_b32 v5, v167, v8, 0x6040503
	s_set_vgpr_msb 0x44                     ;  msbs: dst=1 src0=0 src1=1 src2=0
	s_delay_alu instid0(VALU_DEP_3) | instskip(SKIP_3) | instid1(VALU_DEP_2)
	v_dot4_i32_iu8 v21 /*v277*/, v255, v20 /*v276*/, v0 neg_lo:[1,1,0]
	s_set_vgpr_msb 1                        ;  msbs: dst=0 src0=1 src1=0 src2=0
	v_dot4_i32_iu8 v0, v22 /*v278*/, v246, 0 neg_lo:[1,1,0]
	s_set_vgpr_msb 0x50                     ;  msbs: dst=1 src0=0 src1=0 src2=1
	v_dot4_i32_iu8 v21 /*v277*/, v19, v148, v21 /*v277*/ neg_lo:[1,1,0]
	s_set_vgpr_msb 5                        ;  msbs: dst=0 src0=1 src1=1 src2=0
	s_delay_alu instid0(VALU_DEP_2) | instskip(SKIP_1) | instid1(VALU_DEP_1)
	v_dot4_i32_iu8 v0, v23 /*v279*/, v0 /*v256*/, v0 neg_lo:[1,1,0]
	s_set_vgpr_msb 1                        ;  msbs: dst=0 src0=1 src1=0 src2=0
	v_dot4_i32_iu8 v0, v24 /*v280*/, v249, v0 neg_lo:[1,1,0]
	s_set_vgpr_msb 64                       ;  msbs: dst=1 src0=0 src1=0 src2=0
	s_delay_alu instid0(VALU_DEP_1) | instskip(SKIP_3) | instid1(VALU_DEP_2)
	v_dot4_i32_iu8 v25 /*v281*/, v15, v169, v0 neg_lo:[1,1,0]
	s_set_vgpr_msb 5                        ;  msbs: dst=0 src0=1 src1=1 src2=0
	v_dot4_i32_iu8 v0, v26 /*v282*/, v1 /*v257*/, 0 neg_lo:[1,1,0]
	s_set_vgpr_msb 0x41                     ;  msbs: dst=1 src0=1 src1=0 src2=0
	v_mul_lo_u32 v3 /*v259*/, v25 /*v281*/, v229
	s_set_vgpr_msb 0                        ;  msbs: dst=0 src0=0 src1=0 src2=0
	s_delay_alu instid0(VALU_DEP_2) | instskip(SKIP_2) | instid1(VALU_DEP_1)
	v_dot4_i32_iu8 v0, v5, v1, v0 neg_lo:[1,1,0]
	v_perm_b32 v1, v164, v9, 0x7060403
	v_perm_b32 v5, v10, v167, 0x7060403
	v_dot4_i32_iu8 v0, v5, v1, v0 neg_lo:[1,1,0]
	s_set_vgpr_msb 64                       ;  msbs: dst=1 src0=0 src1=0 src2=0
	s_delay_alu instid0(VALU_DEP_1)
	v_dot4_i32_iu8 v27 /*v283*/, v11, v165, v0 neg_lo:[1,1,0]
	s_set_vgpr_msb 1                        ;  msbs: dst=0 src0=1 src1=0 src2=0
	ds_load_b64 v[0:1], v2 /*v258*/ offset:43584
	s_set_vgpr_msb 0                        ;  msbs: dst=0 src0=0 src1=0 src2=0
	ds_load_b64 v[4:5], v4 offset:43584
	s_set_vgpr_msb 0x51                     ;  msbs: dst=1 src0=1 src1=0 src2=1
	v_mul_lo_u32 v2 /*v258*/, v6 /*v262*/, v230
	v_mad_u32 v4 /*v260*/, v27 /*v283*/, v230, v3 /*v259*/
	s_delay_alu instid0(VALU_DEP_2)
	v_mad_u32 v2 /*v258*/, v5 /*v261*/, v229, v2 /*v258*/
	s_wait_dscnt 0x1
	s_set_vgpr_msb 64                       ;  msbs: dst=1 src0=0 src1=0 src2=0
	v_mov_b32_e32 v5 /*v261*/, v0
	s_set_vgpr_msb 1                        ;  msbs: dst=0 src0=1 src1=0 src2=0
	v_mul_lo_u32 v0, v28 /*v284*/, v247
	s_set_vgpr_msb 0x41                     ;  msbs: dst=1 src0=1 src1=0 src2=0
	s_delay_alu instid0(VALU_DEP_3)
	v_cvt_f32_i32_e32 v3 /*v259*/, v2 /*v258*/
	v_cvt_f32_i32_e32 v2 /*v258*/, v4 /*v260*/
	s_wait_dscnt 0x0
	s_set_vgpr_msb 64                       ;  msbs: dst=1 src0=0 src1=0 src2=0
	v_mov_b32_e32 v4 /*v260*/, v4
	s_set_vgpr_msb 1                        ;  msbs: dst=0 src0=1 src1=0 src2=0
	v_mul_lo_u32 v4, v7 /*v263*/, v248
	s_set_vgpr_msb 0x45                     ;  msbs: dst=1 src0=1 src1=1 src2=0
	s_delay_alu instid0(VALU_DEP_2) | instskip(SKIP_2) | instid1(VALU_DEP_3)
	v_pk_fma_f32 v[2:3] /*v[258:259]*/, v[4:5] /*v[260:261]*/, v[2:3] /*v[258:259]*/, 0 op_sel_hi:[1,1,0]
	s_set_vgpr_msb 1                        ;  msbs: dst=0 src0=1 src1=0 src2=0
	v_mad_u32 v0, v29 /*v285*/, v248, v0
	v_mad_u32 v4, v21 /*v277*/, v247, v4
	s_set_vgpr_msb 64                       ;  msbs: dst=1 src0=0 src1=0 src2=0
	s_delay_alu instid0(VALU_DEP_2) | instskip(SKIP_3) | instid1(VALU_DEP_3)
	v_cvt_f32_i32_e32 v7 /*v263*/, v0
	s_set_vgpr_msb 0                        ;  msbs: dst=0 src0=0 src1=0 src2=0
	v_mov_b32_e32 v0, v5
	s_set_vgpr_msb 64                       ;  msbs: dst=1 src0=0 src1=0 src2=0
	v_cvt_f32_i32_e32 v6 /*v262*/, v4
	s_set_vgpr_msb 20                       ;  msbs: dst=0 src0=0 src1=1 src2=1
	s_delay_alu instid0(VALU_DEP_1)
	v_pk_fma_f32 v[4:5], v[0:1], v[6:7] /*v[262:263]*/, v[2:3] /*v[258:259]*/
	s_set_vgpr_msb 64                       ;  msbs: dst=1 src0=0 src1=0 src2=0
	v_perm_b32 v2 /*v258*/, v124, v14, 0x6050401
	v_perm_b32 v3 /*v259*/, v9, v122, 0x6040503
	;; [unrolled: 1-line block ×3, first 2 shown]
	s_set_vgpr_msb 0                        ;  msbs: dst=0 src0=0 src1=0 src2=0
	v_pk_fma_f32 v[90:91], v[24:25], v[4:5], v[90:91]
	v_perm_b32 v4, v20, v159, 0x6040501
	v_perm_b32 v5, v120, v22, 0x6040501
	;; [unrolled: 1-line block ×3, first 2 shown]
	s_delay_alu instid0(VALU_DEP_2) | instskip(SKIP_1) | instid1(VALU_DEP_1)
	v_dot4_i32_iu8 v4, v5, v4, 0 neg_lo:[1,1,0]
	v_perm_b32 v5, v158, v20, 0x6040503
	v_dot4_i32_iu8 v4, v22, v5, v4 neg_lo:[1,1,0]
	v_perm_b32 v5, v16, v160, 0x6040501
	v_perm_b32 v22, v162, v18, 0x6040501
	s_set_vgpr_msb 4                        ;  msbs: dst=0 src0=0 src1=1 src2=0
	s_delay_alu instid0(VALU_DEP_3) | instskip(SKIP_1) | instid1(VALU_DEP_2)
	v_dot4_i32_iu8 v4, v250, v19 /*v275*/, v4 neg_lo:[1,1,0]
	s_set_vgpr_msb 0                        ;  msbs: dst=0 src0=0 src1=0 src2=0
	v_dot4_i32_iu8 v5, v22, v5, 0 neg_lo:[1,1,0]
	v_perm_b32 v22, v17, v16, 0x6040503
	s_delay_alu instid0(VALU_DEP_1) | instskip(SKIP_2) | instid1(VALU_DEP_2)
	v_dot4_i32_iu8 v5, v251, v22, v5 neg_lo:[1,1,0]
	v_perm_b32 v22, v12, v118, 0x6050401
	s_set_vgpr_msb 4                        ;  msbs: dst=0 src0=0 src1=1 src2=0
	v_dot4_i32_iu8 v5, v252, v20 /*v276*/, v5 neg_lo:[1,1,0]
	s_set_vgpr_msb 1                        ;  msbs: dst=0 src0=1 src1=0 src2=0
	s_delay_alu instid0(VALU_DEP_2) | instskip(SKIP_3) | instid1(VALU_DEP_2)
	v_dot4_i32_iu8 v22, v2 /*v258*/, v22, 0 neg_lo:[1,1,0]
	s_set_vgpr_msb 0x41                     ;  msbs: dst=1 src0=1 src1=0 src2=0
	v_dot4_i32_iu8 v2 /*v258*/, v26 /*v282*/, v176, 0 neg_lo:[1,1,0]
	s_set_vgpr_msb 4                        ;  msbs: dst=0 src0=0 src1=1 src2=0
	v_dot4_i32_iu8 v22, v237, v23 /*v279*/, v22 neg_lo:[1,1,0]
	s_set_vgpr_msb 0x55                     ;  msbs: dst=1 src0=1 src1=1 src2=1
	s_delay_alu instid0(VALU_DEP_2)
	v_dot4_i32_iu8 v2 /*v258*/, v6 /*v262*/, v3 /*v259*/, v2 /*v258*/ neg_lo:[1,1,0]
	s_set_vgpr_msb 64                       ;  msbs: dst=1 src0=0 src1=0 src2=0
	v_perm_b32 v3 /*v259*/, v10, v9, 0x7060403
	s_set_vgpr_msb 4                        ;  msbs: dst=0 src0=0 src1=1 src2=0
	v_dot4_i32_iu8 v22, v238, v24 /*v280*/, v22 neg_lo:[1,1,0]
	s_set_vgpr_msb 0x54                     ;  msbs: dst=1 src0=0 src1=1 src2=1
	s_delay_alu instid0(VALU_DEP_2)
	v_dot4_i32_iu8 v2 /*v258*/, v239, v3 /*v259*/, v2 /*v258*/ neg_lo:[1,1,0]
	s_set_vgpr_msb 64                       ;  msbs: dst=1 src0=0 src1=0 src2=0
	v_dot4_i32_iu8 v3 /*v259*/, v23, v121, v4 neg_lo:[1,1,0]
	s_set_vgpr_msb 0                        ;  msbs: dst=0 src0=0 src1=0 src2=0
	v_perm_b32 v4, v3, v3, 0x3020001
	v_dot4_i32_iu8 v22, v15, v119, v22 neg_lo:[1,1,0]
	s_set_vgpr_msb 0x50                     ;  msbs: dst=1 src0=0 src1=0 src2=1
	v_dot4_i32_iu8 v2 /*v258*/, v11, v117, v2 /*v258*/ neg_lo:[1,1,0]
	s_delay_alu instid0(VALU_DEP_3) | instskip(SKIP_3) | instid1(VALU_DEP_1)
	v_dot4_i32_iu8 v6 /*v262*/, v4, v242, v8 /*v264*/ neg_lo:[1,1,0]
	s_set_vgpr_msb 0                        ;  msbs: dst=0 src0=0 src1=0 src2=0
	v_perm_b32 v4, v19, v19, 0x3020001
	s_set_vgpr_msb 64                       ;  msbs: dst=1 src0=0 src1=0 src2=0
	v_dot4_i32_iu8 v7 /*v263*/, v4, v242, v5 neg_lo:[1,1,0]
	s_set_vgpr_msb 1                        ;  msbs: dst=0 src0=1 src1=0 src2=0
	v_mul_lo_u32 v4, v10 /*v266*/, v175
	s_set_vgpr_msb 0                        ;  msbs: dst=0 src0=0 src1=0 src2=0
	v_mul_lo_u32 v5, v22, v168
	s_set_vgpr_msb 1                        ;  msbs: dst=0 src0=1 src1=0 src2=0
	s_delay_alu instid0(VALU_DEP_2) | instskip(NEXT) | instid1(VALU_DEP_2)
	v_mad_u32 v4, v9 /*v265*/, v168, v4
	v_mad_u32 v22, v2 /*v258*/, v175, v5
	s_set_vgpr_msb 0x41                     ;  msbs: dst=1 src0=1 src1=0 src2=0
	v_mul_lo_u32 v2 /*v258*/, v3 /*v259*/, v241
	s_set_vgpr_msb 0                        ;  msbs: dst=0 src0=0 src1=0 src2=0
	s_delay_alu instid0(VALU_DEP_3) | instskip(NEXT) | instid1(VALU_DEP_3)
	v_cvt_f32_i32_e32 v5, v4
	v_cvt_f32_i32_e32 v4, v22
	s_set_vgpr_msb 1                        ;  msbs: dst=0 src0=1 src1=0 src2=0
	v_mul_lo_u32 v22, v6 /*v262*/, v240
	s_set_vgpr_msb 0x51                     ;  msbs: dst=1 src0=1 src1=0 src2=1
	s_delay_alu instid0(VALU_DEP_4)
	v_mad_u32 v2 /*v258*/, v7 /*v263*/, v240, v2 /*v258*/
	s_set_vgpr_msb 0x50                     ;  msbs: dst=1 src0=0 src1=0 src2=1
	v_dot4_i32_iu8 v6 /*v262*/, v7, v145, v11 /*v267*/ neg_lo:[1,1,0]
	s_set_vgpr_msb 16                       ;  msbs: dst=0 src0=0 src1=0 src2=1
	v_dot4_i32_iu8 v7, v7, v35, v15 /*v271*/ neg_lo:[1,1,0]
	s_set_vgpr_msb 1                        ;  msbs: dst=0 src0=1 src1=0 src2=0
	v_pk_fma_f32 v[4:5], v[4:5] /*v[260:261]*/, v[4:5], 0 op_sel_hi:[1,1,0]
	s_set_vgpr_msb 0                        ;  msbs: dst=0 src0=0 src1=0 src2=0
	v_mad_u32 v6, v6, v241, v22
	s_set_vgpr_msb 0x41                     ;  msbs: dst=1 src0=1 src1=0 src2=0
	v_cvt_f32_i32_e32 v2 /*v258*/, v2 /*v258*/
	s_set_vgpr_msb 0                        ;  msbs: dst=0 src0=0 src1=0 src2=0
	v_perm_b32 v22, v17, v144, 0x6040503
	s_set_vgpr_msb 64                       ;  msbs: dst=1 src0=0 src1=0 src2=0
	s_delay_alu instid0(VALU_DEP_3) | instskip(SKIP_3) | instid1(VALU_DEP_2)
	v_cvt_f32_i32_e32 v3 /*v259*/, v6
	s_set_vgpr_msb 0                        ;  msbs: dst=0 src0=0 src1=0 src2=0
	v_perm_b32 v6, v21, v141, 0x6040503
	s_set_vgpr_msb 4                        ;  msbs: dst=0 src0=0 src1=1 src2=0
	v_pk_fma_f32 v[4:5], v[0:1], v[2:3] /*v[258:259]*/, v[4:5]
	s_set_vgpr_msb 64                       ;  msbs: dst=1 src0=0 src1=0 src2=0
	v_perm_b32 v2 /*v258*/, v139, v12, 0x6040503
	v_perm_b32 v3 /*v259*/, v143, v8, 0x6040503
	s_set_vgpr_msb 0                        ;  msbs: dst=0 src0=0 src1=0 src2=0
	v_perm_b32 v12, v133, v12, 0x6040503
	v_perm_b32 v8, v129, v8, 0x6040503
	v_pk_fma_f32 v[98:99], v[26:27], v[4:5], v[98:99]
	v_perm_b32 v4, v20, v155, 0x6040501
	s_set_vgpr_msb 4                        ;  msbs: dst=0 src0=0 src1=1 src2=0
	v_or_b32_e32 v5, v243, v18 /*v274*/
	s_set_vgpr_msb 0                        ;  msbs: dst=0 src0=0 src1=0 src2=0
	s_delay_alu instid0(VALU_DEP_1) | instskip(SKIP_1) | instid1(VALU_DEP_1)
	v_dot4_i32_iu8 v4, v5, v4, 0 neg_lo:[1,1,0]
	v_perm_b32 v5, v154, v20, 0x6040503
	v_dot4_i32_iu8 v4, v6, v5, v4 neg_lo:[1,1,0]
	v_perm_b32 v5, v16, v157, 0x6040501
	v_perm_b32 v6, v144, v18, 0x6040501
	s_set_vgpr_msb 4                        ;  msbs: dst=0 src0=0 src1=1 src2=0
	s_delay_alu instid0(VALU_DEP_3) | instskip(SKIP_1) | instid1(VALU_DEP_2)
	v_dot4_i32_iu8 v4, v244, v19 /*v275*/, v4 neg_lo:[1,1,0]
	s_set_vgpr_msb 0                        ;  msbs: dst=0 src0=0 src1=0 src2=0
	v_dot4_i32_iu8 v5, v6, v5, 0 neg_lo:[1,1,0]
	v_perm_b32 v6, v156, v16, 0x6040503
	s_delay_alu instid0(VALU_DEP_1)
	v_dot4_i32_iu8 v5, v22, v6, v5 neg_lo:[1,1,0]
	s_set_vgpr_msb 1                        ;  msbs: dst=0 src0=1 src1=0 src2=0
	v_dot4_i32_iu8 v6, v22 /*v278*/, v228, 0 neg_lo:[1,1,0]
	s_set_vgpr_msb 0                        ;  msbs: dst=0 src0=0 src1=0 src2=0
	v_perm_b32 v22, v13, v138, 0x6040503
	s_set_vgpr_msb 4                        ;  msbs: dst=0 src0=0 src1=1 src2=0
	v_dot4_i32_iu8 v5, v245, v20 /*v276*/, v5 neg_lo:[1,1,0]
	s_set_vgpr_msb 1                        ;  msbs: dst=0 src0=1 src1=0 src2=0
	s_delay_alu instid0(VALU_DEP_2)
	v_dot4_i32_iu8 v6, v2 /*v258*/, v22, v6 neg_lo:[1,1,0]
	s_set_vgpr_msb 0                        ;  msbs: dst=0 src0=0 src1=0 src2=0
	v_perm_b32 v22, v136, v13, 0x7060403
	s_set_vgpr_msb 64                       ;  msbs: dst=1 src0=0 src1=0 src2=0
	v_perm_b32 v2 /*v258*/, v14, v139, 0x7060403
	v_dot4_i32_iu8 v7 /*v263*/, v19, v140, v5 neg_lo:[1,1,0]
	s_set_vgpr_msb 1                        ;  msbs: dst=0 src0=1 src1=0 src2=0
	s_delay_alu instid0(VALU_DEP_2)
	v_dot4_i32_iu8 v6, v2 /*v258*/, v22, v6 neg_lo:[1,1,0]
	v_dot4_i32_iu8 v22, v26 /*v282*/, v233, 0 neg_lo:[1,1,0]
	s_set_vgpr_msb 64                       ;  msbs: dst=1 src0=0 src1=0 src2=0
	v_perm_b32 v2 /*v258*/, v9, v142, 0x6040503
	s_set_vgpr_msb 0                        ;  msbs: dst=0 src0=0 src1=0 src2=0
	v_dot4_i32_iu8 v6, v15, v137, v6 neg_lo:[1,1,0]
	s_set_vgpr_msb 5                        ;  msbs: dst=0 src0=1 src1=1 src2=0
	s_delay_alu instid0(VALU_DEP_2)
	v_dot4_i32_iu8 v22, v3 /*v259*/, v2 /*v258*/, v22 neg_lo:[1,1,0]
	s_set_vgpr_msb 64                       ;  msbs: dst=1 src0=0 src1=0 src2=0
	v_perm_b32 v2 /*v258*/, v134, v9, 0x7060403
	v_perm_b32 v3 /*v259*/, v10, v143, 0x7060403
	s_set_vgpr_msb 0                        ;  msbs: dst=0 src0=0 src1=0 src2=0
	v_mul_lo_u32 v5, v6, v177
	v_perm_b32 v10, v10, v129, 0x7060403
	s_set_vgpr_msb 5                        ;  msbs: dst=0 src0=1 src1=1 src2=0
	v_dot4_i32_iu8 v22, v3 /*v259*/, v2 /*v258*/, v22 neg_lo:[1,1,0]
	s_set_vgpr_msb 64                       ;  msbs: dst=1 src0=0 src1=0 src2=0
	v_dot4_i32_iu8 v2 /*v258*/, v23, v145, v4 neg_lo:[1,1,0]
	s_set_vgpr_msb 1                        ;  msbs: dst=0 src0=1 src1=0 src2=0
	v_mul_lo_u32 v4, v14 /*v270*/, v178
	s_set_vgpr_msb 0x50                     ;  msbs: dst=1 src0=0 src1=0 src2=1
	v_dot4_i32_iu8 v3 /*v259*/, v3, v140, v12 /*v268*/ neg_lo:[1,1,0]
	s_set_vgpr_msb 0                        ;  msbs: dst=0 src0=0 src1=0 src2=0
	v_dot4_i32_iu8 v22, v11, v135, v22 neg_lo:[1,1,0]
	s_delay_alu instid0(VALU_DEP_1) | instskip(SKIP_3) | instid1(VALU_DEP_2)
	v_mad_u32 v6, v22, v178, v5
	s_set_vgpr_msb 1                        ;  msbs: dst=0 src0=1 src1=0 src2=0
	v_mul_lo_u32 v22, v2 /*v258*/, v231
	v_mad_u32 v4, v13 /*v269*/, v177, v4
	v_mad_u32 v22, v7 /*v263*/, v232, v22
	s_set_vgpr_msb 0                        ;  msbs: dst=0 src0=0 src1=0 src2=0
	s_delay_alu instid0(VALU_DEP_2) | instskip(SKIP_3) | instid1(VALU_DEP_2)
	v_cvt_f32_i32_e32 v5, v4
	v_cvt_f32_i32_e32 v4, v6
	s_set_vgpr_msb 1                        ;  msbs: dst=0 src0=1 src1=0 src2=0
	v_mul_lo_u32 v6, v3 /*v259*/, v232
	v_pk_fma_f32 v[4:5], v[4:5] /*v[260:261]*/, v[4:5], 0 op_sel_hi:[1,1,0]
	s_set_vgpr_msb 64                       ;  msbs: dst=1 src0=0 src1=0 src2=0
	v_cvt_f32_i32_e32 v2 /*v258*/, v22
	s_set_vgpr_msb 1                        ;  msbs: dst=0 src0=1 src1=0 src2=0
	s_delay_alu instid0(VALU_DEP_3) | instskip(SKIP_1) | instid1(VALU_DEP_1)
	v_mad_u32 v6, v6 /*v262*/, v231, v6
	s_set_vgpr_msb 64                       ;  msbs: dst=1 src0=0 src1=0 src2=0
	v_cvt_f32_i32_e32 v3 /*v259*/, v6
	s_set_vgpr_msb 0                        ;  msbs: dst=0 src0=0 src1=0 src2=0
	v_perm_b32 v6, v21, v33, 0x6040503
	s_set_vgpr_msb 4                        ;  msbs: dst=0 src0=0 src1=1 src2=0
	s_delay_alu instid0(VALU_DEP_2) | instskip(SKIP_1) | instid1(VALU_DEP_1)
	v_pk_fma_f32 v[4:5], v[0:1], v[2:3] /*v[258:259]*/, v[4:5]
	s_set_vgpr_msb 0                        ;  msbs: dst=0 src0=0 src1=0 src2=0
	v_pk_fma_f32 v[106:107], v[28:29], v[4:5], v[106:107]
	v_perm_b32 v4, v20, v147, 0x6040501
	s_set_vgpr_msb 4                        ;  msbs: dst=0 src0=0 src1=1 src2=0
	v_or_b32_e32 v5, v234, v18 /*v274*/
	s_set_vgpr_msb 0                        ;  msbs: dst=0 src0=0 src1=0 src2=0
	s_delay_alu instid0(VALU_DEP_1) | instskip(SKIP_1) | instid1(VALU_DEP_1)
	v_dot4_i32_iu8 v4, v5, v4, 0 neg_lo:[1,1,0]
	v_perm_b32 v5, v146, v20, 0x6040503
	v_dot4_i32_iu8 v4, v6, v5, v4 neg_lo:[1,1,0]
	v_perm_b32 v5, v16, v153, 0x6040501
	v_perm_b32 v6, v34, v18, 0x6040501
	s_set_vgpr_msb 4                        ;  msbs: dst=0 src0=0 src1=1 src2=0
	s_delay_alu instid0(VALU_DEP_3) | instskip(SKIP_1) | instid1(VALU_DEP_2)
	v_dot4_i32_iu8 v4, v235, v19 /*v275*/, v4 neg_lo:[1,1,0]
	s_set_vgpr_msb 0                        ;  msbs: dst=0 src0=0 src1=0 src2=0
	v_dot4_i32_iu8 v5, v6, v5, 0 neg_lo:[1,1,0]
	v_perm_b32 v6, v152, v16, 0x6040503
	v_perm_b32 v16, v17, v34, 0x6040503
	v_dot4_i32_iu8 v4, v23, v35, v4 neg_lo:[1,1,0]
	s_delay_alu instid0(VALU_DEP_2)
	v_dot4_i32_iu8 v5, v16, v6, v5 neg_lo:[1,1,0]
	s_set_vgpr_msb 1                        ;  msbs: dst=0 src0=1 src1=0 src2=0
	v_dot4_i32_iu8 v6, v22 /*v278*/, v227, 0 neg_lo:[1,1,0]
	s_set_vgpr_msb 0                        ;  msbs: dst=0 src0=0 src1=0 src2=0
	v_perm_b32 v16, v13, v132, 0x6040503
	v_mul_lo_u32 v4, v4, v116
	s_set_vgpr_msb 4                        ;  msbs: dst=0 src0=0 src1=1 src2=0
	v_dot4_i32_iu8 v5, v236, v20 /*v276*/, v5 neg_lo:[1,1,0]
	s_set_vgpr_msb 0                        ;  msbs: dst=0 src0=0 src1=0 src2=0
	v_dot4_i32_iu8 v6, v12, v16, v6 neg_lo:[1,1,0]
	v_perm_b32 v12, v130, v13, 0x7060403
	v_perm_b32 v13, v14, v133, 0x7060403
	v_dot4_i32_iu8 v5, v19, v32, v5 neg_lo:[1,1,0]
	s_delay_alu instid0(VALU_DEP_2)
	v_dot4_i32_iu8 v6, v13, v12, v6 neg_lo:[1,1,0]
	s_set_vgpr_msb 1                        ;  msbs: dst=0 src0=1 src1=0 src2=0
	v_dot4_i32_iu8 v12, v26 /*v282*/, v179, 0 neg_lo:[1,1,0]
	s_set_vgpr_msb 0                        ;  msbs: dst=0 src0=0 src1=0 src2=0
	v_perm_b32 v13, v9, v128, 0x6040503
	v_perm_b32 v9, v126, v9, 0x7060403
	v_mad_u32 v4, v5, v161, v4
	v_dot4_i32_iu8 v6, v15, v131, v6 neg_lo:[1,1,0]
	s_delay_alu instid0(VALU_DEP_4) | instskip(NEXT) | instid1(VALU_DEP_1)
	v_dot4_i32_iu8 v8, v8, v13, v12 neg_lo:[1,1,0]
	v_dot4_i32_iu8 v8, v10, v9, v8 neg_lo:[1,1,0]
	;; [unrolled: 1-line block ×3, first 2 shown]
	s_set_vgpr_msb 1                        ;  msbs: dst=0 src0=1 src1=0 src2=0
	v_mul_lo_u32 v2, v17 /*v273*/, v163
	s_set_vgpr_msb 0                        ;  msbs: dst=0 src0=0 src1=0 src2=0
	v_mul_lo_u32 v3, v6, v125
	v_cvt_f32_i32_e32 v4, v4
	v_dot4_i32_iu8 v8, v11, v127, v8 neg_lo:[1,1,0]
	s_set_vgpr_msb 1                        ;  msbs: dst=0 src0=1 src1=0 src2=0
	s_delay_alu instid0(VALU_DEP_4) | instskip(SKIP_1) | instid1(VALU_DEP_2)
	v_mad_u32 v2, v16 /*v272*/, v125, v2
	s_set_vgpr_msb 0                        ;  msbs: dst=0 src0=0 src1=0 src2=0
	v_mad_u32 v6, v8, v163, v3
	s_delay_alu instid0(VALU_DEP_2) | instskip(NEXT) | instid1(VALU_DEP_2)
	v_cvt_f32_i32_e32 v3, v2
	v_cvt_f32_i32_e32 v2, v6
	v_mul_lo_u32 v6, v9, v161
	s_set_vgpr_msb 1                        ;  msbs: dst=0 src0=1 src1=0 src2=0
	s_delay_alu instid0(VALU_DEP_2) | instskip(SKIP_1) | instid1(VALU_DEP_2)
	v_pk_fma_f32 v[2:3], v[4:5] /*v[260:261]*/, v[2:3], 0 op_sel_hi:[1,1,0]
	s_set_vgpr_msb 0                        ;  msbs: dst=0 src0=0 src1=0 src2=0
	v_mad_u32 v5, v7, v116, v6
	s_delay_alu instid0(VALU_DEP_1) | instskip(NEXT) | instid1(VALU_DEP_1)
	v_cvt_f32_i32_e32 v5, v5
	v_pk_fma_f32 v[0:1], v[0:1], v[4:5], v[2:3]
	s_delay_alu instid0(VALU_DEP_1) | instskip(SKIP_1) | instid1(VALU_DEP_1)
	v_pk_fma_f32 v[112:113], v[30:31], v[0:1], v[112:113]
	v_or_b32_e32 v0, s5, v210
	v_lshlrev_b32_e32 v4, 2, v0
	s_set_vgpr_msb 64                       ;  msbs: dst=1 src0=0 src1=0 src2=0
	v_lshrrev_b32_e32 v2 /*v258*/, 1, v0
	s_set_vgpr_msb 0                        ;  msbs: dst=0 src0=0 src1=0 src2=0
	ds_load_b128 v[8:11], v4 offset:33280
	ds_load_b128 v[12:15], v4 offset:33296
	;; [unrolled: 1-line block ×4, first 2 shown]
	s_wait_dscnt 0x3
	s_set_vgpr_msb 64                       ;  msbs: dst=1 src0=0 src1=0 src2=0
	v_perm_b32 v6 /*v262*/, v9, v166, 0x6040503
	s_wait_dscnt 0x2
	s_set_vgpr_msb 0                        ;  msbs: dst=0 src0=0 src1=0 src2=0
	v_perm_b32 v21, v13, v12, 0x6040503
	s_wait_dscnt 0x1
	v_perm_b32 v20, v1, v150, 0x6040503
	s_wait_dscnt 0x0
	v_perm_b32 v17, v6, v6, 0xc0c0c01
	v_perm_b32 v16, v4, v171, 0x6040501
	;; [unrolled: 1-line block ×4, first 2 shown]
	s_set_vgpr_msb 64                       ;  msbs: dst=1 src0=0 src1=0 src2=0
	v_perm_b32 v7 /*v263*/, v167, v8, 0x6040503
	s_set_vgpr_msb 0                        ;  msbs: dst=0 src0=0 src1=0 src2=0
	v_or_b32_e32 v18, v253, v17
	s_delay_alu instid0(VALU_DEP_1) | instskip(SKIP_1) | instid1(VALU_DEP_1)
	v_dot4_i32_iu8 v16, v18, v16, 0 neg_lo:[1,1,0]
	v_perm_b32 v18, v170, v4, 0x6040503
	v_dot4_i32_iu8 v16, v19, v18, v16 neg_lo:[1,1,0]
	v_perm_b32 v18, v6, v5, 0x7060403
	v_perm_b32 v19, v150, v2, 0x6040501
	;; [unrolled: 1-line block ×3, first 2 shown]
	s_set_vgpr_msb 64                       ;  msbs: dst=1 src0=0 src1=0 src2=0
	s_delay_alu instid0(VALU_DEP_3) | instskip(SKIP_3) | instid1(VALU_DEP_2)
	v_dot4_i32_iu8 v3 /*v259*/, v254, v18, v16 neg_lo:[1,1,0]
	s_set_vgpr_msb 0                        ;  msbs: dst=0 src0=0 src1=0 src2=0
	v_perm_b32 v16, v0, v173, 0x6040501
	s_set_vgpr_msb 0x50                     ;  msbs: dst=1 src0=0 src1=0 src2=1
	v_dot4_i32_iu8 v29 /*v285*/, v7, v151, v3 /*v259*/ neg_lo:[1,1,0]
	s_set_vgpr_msb 0                        ;  msbs: dst=0 src0=0 src1=0 src2=0
	s_delay_alu instid0(VALU_DEP_2) | instskip(SKIP_1) | instid1(VALU_DEP_1)
	v_dot4_i32_iu8 v16, v19, v16, 0 neg_lo:[1,1,0]
	v_perm_b32 v19, v172, v0, 0x6040503
	v_dot4_i32_iu8 v16, v20, v19, v16 neg_lo:[1,1,0]
	v_perm_b32 v19, v2, v1, 0x7060403
	s_set_vgpr_msb 64                       ;  msbs: dst=1 src0=0 src1=0 src2=0
	s_delay_alu instid0(VALU_DEP_1) | instskip(SKIP_3) | instid1(VALU_DEP_2)
	v_dot4_i32_iu8 v4 /*v260*/, v255, v19, v16 neg_lo:[1,1,0]
	s_set_vgpr_msb 0                        ;  msbs: dst=0 src0=0 src1=0 src2=0
	v_perm_b32 v16, v12, v14, 0x6050401
	s_set_vgpr_msb 0x50                     ;  msbs: dst=1 src0=0 src1=0 src2=1
	v_dot4_i32_iu8 v28 /*v284*/, v3, v148, v4 /*v260*/ neg_lo:[1,1,0]
	s_set_vgpr_msb 0                        ;  msbs: dst=0 src0=0 src1=0 src2=0
	s_delay_alu instid0(VALU_DEP_2) | instskip(SKIP_1) | instid1(VALU_DEP_1)
	v_dot4_i32_iu8 v20, v16, v246, 0 neg_lo:[1,1,0]
	s_set_vgpr_msb 4                        ;  msbs: dst=0 src0=0 src1=1 src2=0
	v_dot4_i32_iu8 v20, v21, v0 /*v256*/, v20 neg_lo:[1,1,0]
	s_set_vgpr_msb 0                        ;  msbs: dst=0 src0=0 src1=0 src2=0
	s_delay_alu instid0(VALU_DEP_1) | instskip(SKIP_1) | instid1(VALU_DEP_1)
	v_dot4_i32_iu8 v20, v22, v249, v20 neg_lo:[1,1,0]
	s_set_vgpr_msb 64                       ;  msbs: dst=1 src0=0 src1=0 src2=0
	v_dot4_i32_iu8 v5 /*v261*/, v15, v169, v20 neg_lo:[1,1,0]
	s_set_vgpr_msb 0                        ;  msbs: dst=0 src0=0 src1=0 src2=0
	v_perm_b32 v20, v8, v10, 0x6050401
	s_set_vgpr_msb 4                        ;  msbs: dst=0 src0=0 src1=1 src2=0
	s_delay_alu instid0(VALU_DEP_1) | instskip(SKIP_1) | instid1(VALU_DEP_1)
	v_dot4_i32_iu8 v23, v20, v1 /*v257*/, 0 neg_lo:[1,1,0]
	s_set_vgpr_msb 5                        ;  msbs: dst=0 src0=1 src1=1 src2=0
	v_dot4_i32_iu8 v23, v7 /*v263*/, v6 /*v262*/, v23 neg_lo:[1,1,0]
	s_set_vgpr_msb 64                       ;  msbs: dst=1 src0=0 src1=0 src2=0
	v_perm_b32 v6 /*v262*/, v164, v9, 0x7060403
	v_perm_b32 v7 /*v263*/, v10, v167, 0x7060403
	s_set_vgpr_msb 5                        ;  msbs: dst=0 src0=1 src1=1 src2=0
	s_delay_alu instid0(VALU_DEP_1) | instskip(SKIP_2) | instid1(VALU_DEP_2)
	v_dot4_i32_iu8 v23, v7 /*v263*/, v6 /*v262*/, v23 neg_lo:[1,1,0]
	s_set_vgpr_msb 64                       ;  msbs: dst=1 src0=0 src1=0 src2=0
	v_perm_b32 v7 /*v263*/, v5, v120, 0x6040503
	v_dot4_i32_iu8 v6 /*v262*/, v11, v165, v23 neg_lo:[1,1,0]
	s_set_vgpr_msb 0                        ;  msbs: dst=0 src0=0 src1=0 src2=0
	v_perm_b32 v23, v4, v159, 0x6040501
	s_delay_alu instid0(VALU_DEP_1) | instskip(SKIP_2) | instid1(VALU_DEP_1)
	v_dot4_i32_iu8 v6, v6, v23, 0 neg_lo:[1,1,0]
	v_perm_b32 v23, v158, v4, 0x6040503
	s_set_vgpr_msb 1                        ;  msbs: dst=0 src0=1 src1=0 src2=0
	v_dot4_i32_iu8 v6, v7 /*v263*/, v23, v6 neg_lo:[1,1,0]
	s_set_vgpr_msb 0                        ;  msbs: dst=0 src0=0 src1=0 src2=0
	v_perm_b32 v23, v0, v160, 0x6040501
	s_set_vgpr_msb 64                       ;  msbs: dst=1 src0=0 src1=0 src2=0
	v_perm_b32 v7 /*v263*/, v162, v2, 0x6040501
	s_set_vgpr_msb 0                        ;  msbs: dst=0 src0=0 src1=0 src2=0
	v_dot4_i32_iu8 v6, v250, v18, v6 neg_lo:[1,1,0]
	s_set_vgpr_msb 1                        ;  msbs: dst=0 src0=1 src1=0 src2=0
	s_delay_alu instid0(VALU_DEP_2)
	v_dot4_i32_iu8 v23, v7 /*v263*/, v23, 0 neg_lo:[1,1,0]
	s_set_vgpr_msb 64                       ;  msbs: dst=1 src0=0 src1=0 src2=0
	v_perm_b32 v7 /*v263*/, v1, v0, 0x6040503
	s_set_vgpr_msb 0                        ;  msbs: dst=0 src0=0 src1=0 src2=0
	v_dot4_i32_iu8 v6, v7, v121, v6 neg_lo:[1,1,0]
	s_set_vgpr_msb 4                        ;  msbs: dst=0 src0=0 src1=1 src2=0
	s_delay_alu instid0(VALU_DEP_2) | instskip(SKIP_2) | instid1(VALU_DEP_2)
	v_dot4_i32_iu8 v23, v251, v7 /*v263*/, v23 neg_lo:[1,1,0]
	s_set_vgpr_msb 64                       ;  msbs: dst=1 src0=0 src1=0 src2=0
	v_perm_b32 v7 /*v263*/, v124, v14, 0x6050401
	v_dot4_i32_iu8 v8 /*v264*/, v252, v19, v23 neg_lo:[1,1,0]
	s_set_vgpr_msb 0                        ;  msbs: dst=0 src0=0 src1=0 src2=0
	v_perm_b32 v23, v12, v118, 0x6050401
	s_set_vgpr_msb 1                        ;  msbs: dst=0 src0=1 src1=0 src2=0
	s_delay_alu instid0(VALU_DEP_1) | instskip(SKIP_1) | instid1(VALU_DEP_1)
	v_dot4_i32_iu8 v23, v7 /*v263*/, v23, 0 neg_lo:[1,1,0]
	s_set_vgpr_msb 0                        ;  msbs: dst=0 src0=0 src1=0 src2=0
	v_dot4_i32_iu8 v21, v237, v21, v23 neg_lo:[1,1,0]
	v_perm_b32 v23, v123, v8, 0x6040503
	s_delay_alu instid0(VALU_DEP_2) | instskip(SKIP_2) | instid1(VALU_DEP_2)
	v_dot4_i32_iu8 v21, v238, v22, v21 neg_lo:[1,1,0]
	v_perm_b32 v22, v9, v122, 0x6040503
	s_set_vgpr_msb 64                       ;  msbs: dst=1 src0=0 src1=0 src2=0
	v_dot4_i32_iu8 v9 /*v265*/, v15, v119, v21 neg_lo:[1,1,0]
	s_set_vgpr_msb 0                        ;  msbs: dst=0 src0=0 src1=0 src2=0
	v_dot4_i32_iu8 v21, v20, v176, 0 neg_lo:[1,1,0]
	s_delay_alu instid0(VALU_DEP_1) | instskip(SKIP_3) | instid1(VALU_DEP_3)
	v_dot4_i32_iu8 v21, v23, v22, v21 neg_lo:[1,1,0]
	v_perm_b32 v22, v10, v9, 0x7060403
	v_perm_b32 v23, v5, v141, 0x6040503
	v_perm_b32 v5, v5, v33, 0x6040503
	v_dot4_i32_iu8 v21, v239, v22, v21 neg_lo:[1,1,0]
	v_or_b32_e32 v22, v243, v17
	v_or_b32_e32 v17, v234, v17
	s_set_vgpr_msb 64                       ;  msbs: dst=1 src0=0 src1=0 src2=0
	s_delay_alu instid0(VALU_DEP_3) | instskip(SKIP_2) | instid1(VALU_DEP_1)
	v_dot4_i32_iu8 v10 /*v266*/, v11, v117, v21 neg_lo:[1,1,0]
	s_set_vgpr_msb 0                        ;  msbs: dst=0 src0=0 src1=0 src2=0
	v_perm_b32 v21, v4, v155, 0x6040501
	v_dot4_i32_iu8 v21, v22, v21, 0 neg_lo:[1,1,0]
	v_perm_b32 v22, v154, v4, 0x6040503
	s_delay_alu instid0(VALU_DEP_1)
	v_dot4_i32_iu8 v21, v23, v22, v21 neg_lo:[1,1,0]
	v_perm_b32 v22, v144, v2, 0x6040501
	v_perm_b32 v23, v1, v144, 0x6040503
	;; [unrolled: 1-line block ×4, first 2 shown]
	s_set_vgpr_msb 64                       ;  msbs: dst=1 src0=0 src1=0 src2=0
	v_dot4_i32_iu8 v11 /*v267*/, v244, v18, v21 neg_lo:[1,1,0]
	s_set_vgpr_msb 0                        ;  msbs: dst=0 src0=0 src1=0 src2=0
	v_perm_b32 v21, v0, v157, 0x6040501
	s_delay_alu instid0(VALU_DEP_1) | instskip(SKIP_1) | instid1(VALU_DEP_1)
	v_dot4_i32_iu8 v21, v22, v21, 0 neg_lo:[1,1,0]
	v_perm_b32 v22, v156, v0, 0x6040503
	v_dot4_i32_iu8 v21, v23, v22, v21 neg_lo:[1,1,0]
	v_perm_b32 v22, v13, v138, 0x6040503
	v_perm_b32 v23, v139, v12, 0x6040503
	s_set_vgpr_msb 64                       ;  msbs: dst=1 src0=0 src1=0 src2=0
	s_delay_alu instid0(VALU_DEP_3) | instskip(SKIP_2) | instid1(VALU_DEP_1)
	v_dot4_i32_iu8 v12 /*v268*/, v245, v19, v21 neg_lo:[1,1,0]
	s_set_vgpr_msb 0                        ;  msbs: dst=0 src0=0 src1=0 src2=0
	v_dot4_i32_iu8 v21, v16, v228, 0 neg_lo:[1,1,0]
	v_dot4_i32_iu8 v21, v23, v22, v21 neg_lo:[1,1,0]
	v_perm_b32 v22, v136, v13, 0x7060403
	v_perm_b32 v23, v14, v139, 0x7060403
	s_delay_alu instid0(VALU_DEP_1) | instskip(SKIP_3) | instid1(VALU_DEP_3)
	v_dot4_i32_iu8 v21, v23, v22, v21 neg_lo:[1,1,0]
	v_perm_b32 v22, v9, v142, 0x6040503
	v_perm_b32 v23, v143, v8, 0x6040503
	s_set_vgpr_msb 64                       ;  msbs: dst=1 src0=0 src1=0 src2=0
	v_dot4_i32_iu8 v13 /*v269*/, v15, v137, v21 neg_lo:[1,1,0]
	s_set_vgpr_msb 0                        ;  msbs: dst=0 src0=0 src1=0 src2=0
	v_dot4_i32_iu8 v21, v20, v233, 0 neg_lo:[1,1,0]
	s_delay_alu instid0(VALU_DEP_1) | instskip(SKIP_2) | instid1(VALU_DEP_1)
	v_dot4_i32_iu8 v21, v23, v22, v21 neg_lo:[1,1,0]
	v_perm_b32 v22, v134, v9, 0x7060403
	v_perm_b32 v23, v10, v143, 0x7060403
	v_dot4_i32_iu8 v21, v23, v22, v21 neg_lo:[1,1,0]
	s_set_vgpr_msb 64                       ;  msbs: dst=1 src0=0 src1=0 src2=0
	s_delay_alu instid0(VALU_DEP_1) | instskip(SKIP_3) | instid1(VALU_DEP_2)
	v_dot4_i32_iu8 v14 /*v270*/, v11, v135, v21 neg_lo:[1,1,0]
	s_set_vgpr_msb 0                        ;  msbs: dst=0 src0=0 src1=0 src2=0
	v_perm_b32 v21, v4, v147, 0x6040501
	v_perm_b32 v4, v146, v4, 0x6040503
	v_dot4_i32_iu8 v17, v17, v21, 0 neg_lo:[1,1,0]
	s_delay_alu instid0(VALU_DEP_1) | instskip(SKIP_1) | instid1(VALU_DEP_1)
	v_dot4_i32_iu8 v4, v5, v4, v17 neg_lo:[1,1,0]
	s_set_vgpr_msb 64                       ;  msbs: dst=1 src0=0 src1=0 src2=0
	v_dot4_i32_iu8 v15 /*v271*/, v235, v18, v4 neg_lo:[1,1,0]
	s_set_vgpr_msb 0                        ;  msbs: dst=0 src0=0 src1=0 src2=0
	v_perm_b32 v4, v0, v153, 0x6040501
	v_perm_b32 v0, v152, v0, 0x6040503
	s_delay_alu instid0(VALU_DEP_2) | instskip(SKIP_1) | instid1(VALU_DEP_2)
	v_dot4_i32_iu8 v2, v2, v4, 0 neg_lo:[1,1,0]
	v_perm_b32 v4, v133, v12, 0x6040503
	v_dot4_i32_iu8 v0, v1, v0, v2 neg_lo:[1,1,0]
	v_perm_b32 v1, v13, v132, 0x6040503
	s_delay_alu instid0(VALU_DEP_2) | instskip(SKIP_1) | instid1(VALU_DEP_1)
	v_dot4_i32_iu8 v2, v236, v19, v0 neg_lo:[1,1,0]
	v_dot4_i32_iu8 v0, v16, v227, 0 neg_lo:[1,1,0]
	;; [unrolled: 1-line block ×3, first 2 shown]
	v_perm_b32 v1, v130, v13, 0x7060403
	v_perm_b32 v4, v14, v133, 0x7060403
	s_delay_alu instid0(VALU_DEP_1) | instskip(SKIP_3) | instid1(VALU_DEP_3)
	v_dot4_i32_iu8 v0, v4, v1, v0 neg_lo:[1,1,0]
	v_perm_b32 v1, v9, v128, 0x6040503
	v_perm_b32 v4, v129, v8, 0x6040503
	s_set_vgpr_msb 64                       ;  msbs: dst=1 src0=0 src1=0 src2=0
	v_dot4_i32_iu8 v16 /*v272*/, v15, v131, v0 neg_lo:[1,1,0]
	s_set_vgpr_msb 0                        ;  msbs: dst=0 src0=0 src1=0 src2=0
	v_dot4_i32_iu8 v0, v20, v179, 0 neg_lo:[1,1,0]
	s_delay_alu instid0(VALU_DEP_1) | instskip(SKIP_2) | instid1(VALU_DEP_1)
	v_dot4_i32_iu8 v0, v4, v1, v0 neg_lo:[1,1,0]
	v_perm_b32 v1, v126, v9, 0x7060403
	v_perm_b32 v4, v10, v129, 0x7060403
	v_dot4_i32_iu8 v0, v4, v1, v0 neg_lo:[1,1,0]
	s_set_vgpr_msb 64                       ;  msbs: dst=1 src0=0 src1=0 src2=0
	s_delay_alu instid0(VALU_DEP_1) | instskip(SKIP_2) | instid1(VALU_DEP_1)
	v_dot4_i32_iu8 v17 /*v273*/, v11, v127, v0 neg_lo:[1,1,0]
	s_set_vgpr_msb 0                        ;  msbs: dst=0 src0=0 src1=0 src2=0
	v_or_b32_e32 v0, s5, v211
	v_lshlrev_b32_e32 v1, 2, v0
	ds_load_b128 v[8:11], v1 offset:33280
	ds_load_b128 v[12:15], v1 offset:33296
	;; [unrolled: 1-line block ×4, first 2 shown]
	v_lshrrev_b32_e32 v4, 1, v0
	s_wait_dscnt 0x3
	s_set_vgpr_msb 64                       ;  msbs: dst=1 src0=0 src1=0 src2=0
	v_perm_b32 v26 /*v282*/, v8, v10, 0x6050401
	s_wait_dscnt 0x2
	v_perm_b32 v22 /*v278*/, v12, v14, 0x6050401
	s_wait_dscnt 0x1
	;; [unrolled: 2-line block ×3, first 2 shown]
	v_perm_b32 v18 /*v274*/, v22, v22, 0xc0c0c01
	s_set_vgpr_msb 0                        ;  msbs: dst=0 src0=0 src1=0 src2=0
	v_perm_b32 v0, v20, v171, 0x6040501
	v_perm_b32 v5, v21, v149, 0x6040503
	s_set_vgpr_msb 64                       ;  msbs: dst=1 src0=0 src1=0 src2=0
	v_perm_b32 v19 /*v275*/, v22, v21, 0x7060403
	v_perm_b32 v23 /*v279*/, v13, v12, 0x6040503
	s_set_vgpr_msb 4                        ;  msbs: dst=0 src0=0 src1=1 src2=0
	v_or_b32_e32 v1, v253, v18 /*v274*/
	s_set_vgpr_msb 64                       ;  msbs: dst=1 src0=0 src1=0 src2=0
	v_perm_b32 v24 /*v280*/, v14, v13, 0x7060403
	s_set_vgpr_msb 0                        ;  msbs: dst=0 src0=0 src1=0 src2=0
	s_delay_alu instid0(VALU_DEP_2) | instskip(SKIP_1) | instid1(VALU_DEP_1)
	v_dot4_i32_iu8 v0, v1, v0, 0 neg_lo:[1,1,0]
	v_perm_b32 v1, v170, v20, 0x6040503
	v_dot4_i32_iu8 v0, v5, v1, v0 neg_lo:[1,1,0]
	v_perm_b32 v1, v150, v18, 0x6040501
	v_perm_b32 v5, v17, v150, 0x6040503
	s_set_vgpr_msb 0x44                     ;  msbs: dst=1 src0=0 src1=1 src2=0
	s_delay_alu instid0(VALU_DEP_3) | instskip(SKIP_3) | instid1(VALU_DEP_2)
	v_dot4_i32_iu8 v7 /*v263*/, v254, v19 /*v275*/, v0 neg_lo:[1,1,0]
	s_set_vgpr_msb 0                        ;  msbs: dst=0 src0=0 src1=0 src2=0
	v_perm_b32 v0, v16, v173, 0x6040501
	s_set_vgpr_msb 0x50                     ;  msbs: dst=1 src0=0 src1=0 src2=1
	v_dot4_i32_iu8 v7 /*v263*/, v23, v151, v7 /*v263*/ neg_lo:[1,1,0]
	s_set_vgpr_msb 0                        ;  msbs: dst=0 src0=0 src1=0 src2=0
	s_delay_alu instid0(VALU_DEP_2) | instskip(SKIP_1) | instid1(VALU_DEP_1)
	v_dot4_i32_iu8 v0, v1, v0, 0 neg_lo:[1,1,0]
	v_perm_b32 v1, v172, v16, 0x6040503
	v_dot4_i32_iu8 v0, v5, v1, v0 neg_lo:[1,1,0]
	v_perm_b32 v1, v9, v166, 0x6040503
	v_perm_b32 v5, v167, v8, 0x6040503
	s_set_vgpr_msb 0x44                     ;  msbs: dst=1 src0=0 src1=1 src2=0
	s_delay_alu instid0(VALU_DEP_3) | instskip(SKIP_3) | instid1(VALU_DEP_2)
	v_dot4_i32_iu8 v21 /*v277*/, v255, v20 /*v276*/, v0 neg_lo:[1,1,0]
	s_set_vgpr_msb 1                        ;  msbs: dst=0 src0=1 src1=0 src2=0
	v_dot4_i32_iu8 v0, v22 /*v278*/, v246, 0 neg_lo:[1,1,0]
	s_set_vgpr_msb 0x50                     ;  msbs: dst=1 src0=0 src1=0 src2=1
	v_dot4_i32_iu8 v21 /*v277*/, v19, v148, v21 /*v277*/ neg_lo:[1,1,0]
	s_set_vgpr_msb 5                        ;  msbs: dst=0 src0=1 src1=1 src2=0
	s_delay_alu instid0(VALU_DEP_2) | instskip(SKIP_1) | instid1(VALU_DEP_1)
	v_dot4_i32_iu8 v0, v23 /*v279*/, v0 /*v256*/, v0 neg_lo:[1,1,0]
	s_set_vgpr_msb 1                        ;  msbs: dst=0 src0=1 src1=0 src2=0
	v_dot4_i32_iu8 v0, v24 /*v280*/, v249, v0 neg_lo:[1,1,0]
	s_set_vgpr_msb 64                       ;  msbs: dst=1 src0=0 src1=0 src2=0
	s_delay_alu instid0(VALU_DEP_1) | instskip(SKIP_3) | instid1(VALU_DEP_2)
	v_dot4_i32_iu8 v25 /*v281*/, v15, v169, v0 neg_lo:[1,1,0]
	s_set_vgpr_msb 5                        ;  msbs: dst=0 src0=1 src1=1 src2=0
	v_dot4_i32_iu8 v0, v26 /*v282*/, v1 /*v257*/, 0 neg_lo:[1,1,0]
	s_set_vgpr_msb 0x41                     ;  msbs: dst=1 src0=1 src1=0 src2=0
	v_mul_lo_u32 v3 /*v259*/, v25 /*v281*/, v229
	s_set_vgpr_msb 0                        ;  msbs: dst=0 src0=0 src1=0 src2=0
	s_delay_alu instid0(VALU_DEP_2) | instskip(SKIP_2) | instid1(VALU_DEP_1)
	v_dot4_i32_iu8 v0, v5, v1, v0 neg_lo:[1,1,0]
	v_perm_b32 v1, v164, v9, 0x7060403
	v_perm_b32 v5, v10, v167, 0x7060403
	v_dot4_i32_iu8 v0, v5, v1, v0 neg_lo:[1,1,0]
	s_set_vgpr_msb 64                       ;  msbs: dst=1 src0=0 src1=0 src2=0
	s_delay_alu instid0(VALU_DEP_1)
	v_dot4_i32_iu8 v27 /*v283*/, v11, v165, v0 neg_lo:[1,1,0]
	s_set_vgpr_msb 1                        ;  msbs: dst=0 src0=1 src1=0 src2=0
	ds_load_b64 v[0:1], v2 /*v258*/ offset:43584
	s_set_vgpr_msb 0                        ;  msbs: dst=0 src0=0 src1=0 src2=0
	ds_load_b64 v[4:5], v4 offset:43584
	s_set_vgpr_msb 0x51                     ;  msbs: dst=1 src0=1 src1=0 src2=1
	v_mul_lo_u32 v2 /*v258*/, v6 /*v262*/, v230
	v_mad_u32 v4 /*v260*/, v27 /*v283*/, v230, v3 /*v259*/
	s_delay_alu instid0(VALU_DEP_2)
	v_mad_u32 v2 /*v258*/, v5 /*v261*/, v229, v2 /*v258*/
	s_wait_dscnt 0x1
	s_set_vgpr_msb 64                       ;  msbs: dst=1 src0=0 src1=0 src2=0
	v_mov_b32_e32 v5 /*v261*/, v0
	s_set_vgpr_msb 1                        ;  msbs: dst=0 src0=1 src1=0 src2=0
	v_mul_lo_u32 v0, v28 /*v284*/, v247
	s_set_vgpr_msb 0x41                     ;  msbs: dst=1 src0=1 src1=0 src2=0
	s_delay_alu instid0(VALU_DEP_3)
	v_cvt_f32_i32_e32 v3 /*v259*/, v2 /*v258*/
	v_cvt_f32_i32_e32 v2 /*v258*/, v4 /*v260*/
	s_wait_dscnt 0x0
	s_set_vgpr_msb 64                       ;  msbs: dst=1 src0=0 src1=0 src2=0
	v_mov_b32_e32 v4 /*v260*/, v4
	s_set_vgpr_msb 1                        ;  msbs: dst=0 src0=1 src1=0 src2=0
	v_mul_lo_u32 v4, v7 /*v263*/, v248
	s_set_vgpr_msb 0x45                     ;  msbs: dst=1 src0=1 src1=1 src2=0
	s_delay_alu instid0(VALU_DEP_2) | instskip(SKIP_2) | instid1(VALU_DEP_3)
	v_pk_fma_f32 v[2:3] /*v[258:259]*/, v[4:5] /*v[260:261]*/, v[2:3] /*v[258:259]*/, 0 op_sel_hi:[1,1,0]
	s_set_vgpr_msb 1                        ;  msbs: dst=0 src0=1 src1=0 src2=0
	v_mad_u32 v0, v29 /*v285*/, v248, v0
	v_mad_u32 v4, v21 /*v277*/, v247, v4
	s_set_vgpr_msb 64                       ;  msbs: dst=1 src0=0 src1=0 src2=0
	s_delay_alu instid0(VALU_DEP_2) | instskip(SKIP_3) | instid1(VALU_DEP_3)
	v_cvt_f32_i32_e32 v7 /*v263*/, v0
	s_set_vgpr_msb 0                        ;  msbs: dst=0 src0=0 src1=0 src2=0
	v_mov_b32_e32 v0, v5
	s_set_vgpr_msb 64                       ;  msbs: dst=1 src0=0 src1=0 src2=0
	v_cvt_f32_i32_e32 v6 /*v262*/, v4
	s_set_vgpr_msb 20                       ;  msbs: dst=0 src0=0 src1=1 src2=1
	s_delay_alu instid0(VALU_DEP_1)
	v_pk_fma_f32 v[4:5], v[0:1], v[6:7] /*v[262:263]*/, v[2:3] /*v[258:259]*/
	s_set_vgpr_msb 64                       ;  msbs: dst=1 src0=0 src1=0 src2=0
	v_perm_b32 v2 /*v258*/, v124, v14, 0x6050401
	v_perm_b32 v3 /*v259*/, v9, v122, 0x6040503
	;; [unrolled: 1-line block ×3, first 2 shown]
	s_set_vgpr_msb 0                        ;  msbs: dst=0 src0=0 src1=0 src2=0
	v_pk_fma_f32 v[86:87], v[24:25], v[4:5], v[86:87]
	v_perm_b32 v4, v20, v159, 0x6040501
	v_perm_b32 v5, v120, v22, 0x6040501
	;; [unrolled: 1-line block ×3, first 2 shown]
	s_delay_alu instid0(VALU_DEP_2) | instskip(SKIP_1) | instid1(VALU_DEP_1)
	v_dot4_i32_iu8 v4, v5, v4, 0 neg_lo:[1,1,0]
	v_perm_b32 v5, v158, v20, 0x6040503
	v_dot4_i32_iu8 v4, v22, v5, v4 neg_lo:[1,1,0]
	v_perm_b32 v5, v16, v160, 0x6040501
	v_perm_b32 v22, v162, v18, 0x6040501
	s_set_vgpr_msb 4                        ;  msbs: dst=0 src0=0 src1=1 src2=0
	s_delay_alu instid0(VALU_DEP_3) | instskip(SKIP_1) | instid1(VALU_DEP_2)
	v_dot4_i32_iu8 v4, v250, v19 /*v275*/, v4 neg_lo:[1,1,0]
	s_set_vgpr_msb 0                        ;  msbs: dst=0 src0=0 src1=0 src2=0
	v_dot4_i32_iu8 v5, v22, v5, 0 neg_lo:[1,1,0]
	v_perm_b32 v22, v17, v16, 0x6040503
	s_delay_alu instid0(VALU_DEP_1) | instskip(SKIP_2) | instid1(VALU_DEP_2)
	v_dot4_i32_iu8 v5, v251, v22, v5 neg_lo:[1,1,0]
	v_perm_b32 v22, v12, v118, 0x6050401
	s_set_vgpr_msb 4                        ;  msbs: dst=0 src0=0 src1=1 src2=0
	v_dot4_i32_iu8 v5, v252, v20 /*v276*/, v5 neg_lo:[1,1,0]
	s_set_vgpr_msb 1                        ;  msbs: dst=0 src0=1 src1=0 src2=0
	s_delay_alu instid0(VALU_DEP_2) | instskip(SKIP_3) | instid1(VALU_DEP_2)
	v_dot4_i32_iu8 v22, v2 /*v258*/, v22, 0 neg_lo:[1,1,0]
	s_set_vgpr_msb 0x41                     ;  msbs: dst=1 src0=1 src1=0 src2=0
	v_dot4_i32_iu8 v2 /*v258*/, v26 /*v282*/, v176, 0 neg_lo:[1,1,0]
	s_set_vgpr_msb 4                        ;  msbs: dst=0 src0=0 src1=1 src2=0
	v_dot4_i32_iu8 v22, v237, v23 /*v279*/, v22 neg_lo:[1,1,0]
	s_set_vgpr_msb 0x55                     ;  msbs: dst=1 src0=1 src1=1 src2=1
	s_delay_alu instid0(VALU_DEP_2)
	v_dot4_i32_iu8 v2 /*v258*/, v6 /*v262*/, v3 /*v259*/, v2 /*v258*/ neg_lo:[1,1,0]
	s_set_vgpr_msb 64                       ;  msbs: dst=1 src0=0 src1=0 src2=0
	v_perm_b32 v3 /*v259*/, v10, v9, 0x7060403
	s_set_vgpr_msb 4                        ;  msbs: dst=0 src0=0 src1=1 src2=0
	v_dot4_i32_iu8 v22, v238, v24 /*v280*/, v22 neg_lo:[1,1,0]
	s_set_vgpr_msb 0x54                     ;  msbs: dst=1 src0=0 src1=1 src2=1
	s_delay_alu instid0(VALU_DEP_2)
	v_dot4_i32_iu8 v2 /*v258*/, v239, v3 /*v259*/, v2 /*v258*/ neg_lo:[1,1,0]
	s_set_vgpr_msb 64                       ;  msbs: dst=1 src0=0 src1=0 src2=0
	v_dot4_i32_iu8 v3 /*v259*/, v23, v121, v4 neg_lo:[1,1,0]
	s_set_vgpr_msb 0                        ;  msbs: dst=0 src0=0 src1=0 src2=0
	v_perm_b32 v4, v3, v3, 0x3020001
	v_dot4_i32_iu8 v22, v15, v119, v22 neg_lo:[1,1,0]
	s_set_vgpr_msb 0x50                     ;  msbs: dst=1 src0=0 src1=0 src2=1
	v_dot4_i32_iu8 v2 /*v258*/, v11, v117, v2 /*v258*/ neg_lo:[1,1,0]
	s_delay_alu instid0(VALU_DEP_3) | instskip(SKIP_3) | instid1(VALU_DEP_1)
	v_dot4_i32_iu8 v6 /*v262*/, v4, v242, v8 /*v264*/ neg_lo:[1,1,0]
	s_set_vgpr_msb 0                        ;  msbs: dst=0 src0=0 src1=0 src2=0
	v_perm_b32 v4, v19, v19, 0x3020001
	s_set_vgpr_msb 64                       ;  msbs: dst=1 src0=0 src1=0 src2=0
	v_dot4_i32_iu8 v7 /*v263*/, v4, v242, v5 neg_lo:[1,1,0]
	s_set_vgpr_msb 1                        ;  msbs: dst=0 src0=1 src1=0 src2=0
	v_mul_lo_u32 v4, v10 /*v266*/, v175
	s_set_vgpr_msb 0                        ;  msbs: dst=0 src0=0 src1=0 src2=0
	v_mul_lo_u32 v5, v22, v168
	s_set_vgpr_msb 1                        ;  msbs: dst=0 src0=1 src1=0 src2=0
	s_delay_alu instid0(VALU_DEP_2) | instskip(NEXT) | instid1(VALU_DEP_2)
	v_mad_u32 v4, v9 /*v265*/, v168, v4
	v_mad_u32 v22, v2 /*v258*/, v175, v5
	s_set_vgpr_msb 0x41                     ;  msbs: dst=1 src0=1 src1=0 src2=0
	v_mul_lo_u32 v2 /*v258*/, v3 /*v259*/, v241
	s_set_vgpr_msb 0                        ;  msbs: dst=0 src0=0 src1=0 src2=0
	s_delay_alu instid0(VALU_DEP_3) | instskip(NEXT) | instid1(VALU_DEP_3)
	v_cvt_f32_i32_e32 v5, v4
	v_cvt_f32_i32_e32 v4, v22
	s_set_vgpr_msb 1                        ;  msbs: dst=0 src0=1 src1=0 src2=0
	v_mul_lo_u32 v22, v6 /*v262*/, v240
	s_set_vgpr_msb 0x51                     ;  msbs: dst=1 src0=1 src1=0 src2=1
	s_delay_alu instid0(VALU_DEP_4)
	v_mad_u32 v2 /*v258*/, v7 /*v263*/, v240, v2 /*v258*/
	s_set_vgpr_msb 0x50                     ;  msbs: dst=1 src0=0 src1=0 src2=1
	v_dot4_i32_iu8 v6 /*v262*/, v7, v145, v11 /*v267*/ neg_lo:[1,1,0]
	s_set_vgpr_msb 16                       ;  msbs: dst=0 src0=0 src1=0 src2=1
	v_dot4_i32_iu8 v7, v7, v35, v15 /*v271*/ neg_lo:[1,1,0]
	s_set_vgpr_msb 1                        ;  msbs: dst=0 src0=1 src1=0 src2=0
	v_pk_fma_f32 v[4:5], v[4:5] /*v[260:261]*/, v[4:5], 0 op_sel_hi:[1,1,0]
	s_set_vgpr_msb 0                        ;  msbs: dst=0 src0=0 src1=0 src2=0
	v_mad_u32 v6, v6, v241, v22
	s_set_vgpr_msb 0x41                     ;  msbs: dst=1 src0=1 src1=0 src2=0
	v_cvt_f32_i32_e32 v2 /*v258*/, v2 /*v258*/
	s_set_vgpr_msb 0                        ;  msbs: dst=0 src0=0 src1=0 src2=0
	v_perm_b32 v22, v17, v144, 0x6040503
	s_set_vgpr_msb 64                       ;  msbs: dst=1 src0=0 src1=0 src2=0
	s_delay_alu instid0(VALU_DEP_3) | instskip(SKIP_3) | instid1(VALU_DEP_2)
	v_cvt_f32_i32_e32 v3 /*v259*/, v6
	s_set_vgpr_msb 0                        ;  msbs: dst=0 src0=0 src1=0 src2=0
	v_perm_b32 v6, v21, v141, 0x6040503
	s_set_vgpr_msb 4                        ;  msbs: dst=0 src0=0 src1=1 src2=0
	v_pk_fma_f32 v[4:5], v[0:1], v[2:3] /*v[258:259]*/, v[4:5]
	s_set_vgpr_msb 64                       ;  msbs: dst=1 src0=0 src1=0 src2=0
	v_perm_b32 v2 /*v258*/, v139, v12, 0x6040503
	v_perm_b32 v3 /*v259*/, v143, v8, 0x6040503
	s_set_vgpr_msb 0                        ;  msbs: dst=0 src0=0 src1=0 src2=0
	v_perm_b32 v12, v133, v12, 0x6040503
	v_perm_b32 v8, v129, v8, 0x6040503
	v_pk_fma_f32 v[92:93], v[26:27], v[4:5], v[92:93]
	v_perm_b32 v4, v20, v155, 0x6040501
	s_set_vgpr_msb 4                        ;  msbs: dst=0 src0=0 src1=1 src2=0
	v_or_b32_e32 v5, v243, v18 /*v274*/
	s_set_vgpr_msb 0                        ;  msbs: dst=0 src0=0 src1=0 src2=0
	s_delay_alu instid0(VALU_DEP_1) | instskip(SKIP_1) | instid1(VALU_DEP_1)
	v_dot4_i32_iu8 v4, v5, v4, 0 neg_lo:[1,1,0]
	v_perm_b32 v5, v154, v20, 0x6040503
	v_dot4_i32_iu8 v4, v6, v5, v4 neg_lo:[1,1,0]
	v_perm_b32 v5, v16, v157, 0x6040501
	v_perm_b32 v6, v144, v18, 0x6040501
	s_set_vgpr_msb 4                        ;  msbs: dst=0 src0=0 src1=1 src2=0
	s_delay_alu instid0(VALU_DEP_3) | instskip(SKIP_1) | instid1(VALU_DEP_2)
	v_dot4_i32_iu8 v4, v244, v19 /*v275*/, v4 neg_lo:[1,1,0]
	s_set_vgpr_msb 0                        ;  msbs: dst=0 src0=0 src1=0 src2=0
	v_dot4_i32_iu8 v5, v6, v5, 0 neg_lo:[1,1,0]
	v_perm_b32 v6, v156, v16, 0x6040503
	s_delay_alu instid0(VALU_DEP_1)
	v_dot4_i32_iu8 v5, v22, v6, v5 neg_lo:[1,1,0]
	s_set_vgpr_msb 1                        ;  msbs: dst=0 src0=1 src1=0 src2=0
	v_dot4_i32_iu8 v6, v22 /*v278*/, v228, 0 neg_lo:[1,1,0]
	s_set_vgpr_msb 0                        ;  msbs: dst=0 src0=0 src1=0 src2=0
	v_perm_b32 v22, v13, v138, 0x6040503
	s_set_vgpr_msb 4                        ;  msbs: dst=0 src0=0 src1=1 src2=0
	v_dot4_i32_iu8 v5, v245, v20 /*v276*/, v5 neg_lo:[1,1,0]
	s_set_vgpr_msb 1                        ;  msbs: dst=0 src0=1 src1=0 src2=0
	s_delay_alu instid0(VALU_DEP_2)
	v_dot4_i32_iu8 v6, v2 /*v258*/, v22, v6 neg_lo:[1,1,0]
	s_set_vgpr_msb 0                        ;  msbs: dst=0 src0=0 src1=0 src2=0
	v_perm_b32 v22, v136, v13, 0x7060403
	s_set_vgpr_msb 64                       ;  msbs: dst=1 src0=0 src1=0 src2=0
	v_perm_b32 v2 /*v258*/, v14, v139, 0x7060403
	v_dot4_i32_iu8 v7 /*v263*/, v19, v140, v5 neg_lo:[1,1,0]
	s_set_vgpr_msb 1                        ;  msbs: dst=0 src0=1 src1=0 src2=0
	s_delay_alu instid0(VALU_DEP_2)
	v_dot4_i32_iu8 v6, v2 /*v258*/, v22, v6 neg_lo:[1,1,0]
	v_dot4_i32_iu8 v22, v26 /*v282*/, v233, 0 neg_lo:[1,1,0]
	s_set_vgpr_msb 64                       ;  msbs: dst=1 src0=0 src1=0 src2=0
	v_perm_b32 v2 /*v258*/, v9, v142, 0x6040503
	s_set_vgpr_msb 0                        ;  msbs: dst=0 src0=0 src1=0 src2=0
	v_dot4_i32_iu8 v6, v15, v137, v6 neg_lo:[1,1,0]
	s_set_vgpr_msb 5                        ;  msbs: dst=0 src0=1 src1=1 src2=0
	s_delay_alu instid0(VALU_DEP_2)
	v_dot4_i32_iu8 v22, v3 /*v259*/, v2 /*v258*/, v22 neg_lo:[1,1,0]
	s_set_vgpr_msb 64                       ;  msbs: dst=1 src0=0 src1=0 src2=0
	v_perm_b32 v2 /*v258*/, v134, v9, 0x7060403
	v_perm_b32 v3 /*v259*/, v10, v143, 0x7060403
	s_set_vgpr_msb 0                        ;  msbs: dst=0 src0=0 src1=0 src2=0
	v_mul_lo_u32 v5, v6, v177
	v_perm_b32 v10, v10, v129, 0x7060403
	s_set_vgpr_msb 5                        ;  msbs: dst=0 src0=1 src1=1 src2=0
	v_dot4_i32_iu8 v22, v3 /*v259*/, v2 /*v258*/, v22 neg_lo:[1,1,0]
	s_set_vgpr_msb 64                       ;  msbs: dst=1 src0=0 src1=0 src2=0
	v_dot4_i32_iu8 v2 /*v258*/, v23, v145, v4 neg_lo:[1,1,0]
	s_set_vgpr_msb 1                        ;  msbs: dst=0 src0=1 src1=0 src2=0
	v_mul_lo_u32 v4, v14 /*v270*/, v178
	s_set_vgpr_msb 0x50                     ;  msbs: dst=1 src0=0 src1=0 src2=1
	v_dot4_i32_iu8 v3 /*v259*/, v3, v140, v12 /*v268*/ neg_lo:[1,1,0]
	s_set_vgpr_msb 0                        ;  msbs: dst=0 src0=0 src1=0 src2=0
	v_dot4_i32_iu8 v22, v11, v135, v22 neg_lo:[1,1,0]
	s_delay_alu instid0(VALU_DEP_1) | instskip(SKIP_3) | instid1(VALU_DEP_2)
	v_mad_u32 v6, v22, v178, v5
	s_set_vgpr_msb 1                        ;  msbs: dst=0 src0=1 src1=0 src2=0
	v_mul_lo_u32 v22, v2 /*v258*/, v231
	v_mad_u32 v4, v13 /*v269*/, v177, v4
	v_mad_u32 v22, v7 /*v263*/, v232, v22
	s_set_vgpr_msb 0                        ;  msbs: dst=0 src0=0 src1=0 src2=0
	s_delay_alu instid0(VALU_DEP_2) | instskip(SKIP_3) | instid1(VALU_DEP_2)
	v_cvt_f32_i32_e32 v5, v4
	v_cvt_f32_i32_e32 v4, v6
	s_set_vgpr_msb 1                        ;  msbs: dst=0 src0=1 src1=0 src2=0
	v_mul_lo_u32 v6, v3 /*v259*/, v232
	v_pk_fma_f32 v[4:5], v[4:5] /*v[260:261]*/, v[4:5], 0 op_sel_hi:[1,1,0]
	s_set_vgpr_msb 64                       ;  msbs: dst=1 src0=0 src1=0 src2=0
	v_cvt_f32_i32_e32 v2 /*v258*/, v22
	s_set_vgpr_msb 1                        ;  msbs: dst=0 src0=1 src1=0 src2=0
	s_delay_alu instid0(VALU_DEP_3) | instskip(SKIP_1) | instid1(VALU_DEP_1)
	v_mad_u32 v6, v6 /*v262*/, v231, v6
	s_set_vgpr_msb 64                       ;  msbs: dst=1 src0=0 src1=0 src2=0
	v_cvt_f32_i32_e32 v3 /*v259*/, v6
	s_set_vgpr_msb 0                        ;  msbs: dst=0 src0=0 src1=0 src2=0
	v_perm_b32 v6, v21, v33, 0x6040503
	s_set_vgpr_msb 4                        ;  msbs: dst=0 src0=0 src1=1 src2=0
	s_delay_alu instid0(VALU_DEP_2) | instskip(SKIP_1) | instid1(VALU_DEP_1)
	v_pk_fma_f32 v[4:5], v[0:1], v[2:3] /*v[258:259]*/, v[4:5]
	s_set_vgpr_msb 0                        ;  msbs: dst=0 src0=0 src1=0 src2=0
	v_pk_fma_f32 v[100:101], v[28:29], v[4:5], v[100:101]
	v_perm_b32 v4, v20, v147, 0x6040501
	s_set_vgpr_msb 4                        ;  msbs: dst=0 src0=0 src1=1 src2=0
	v_or_b32_e32 v5, v234, v18 /*v274*/
	s_set_vgpr_msb 0                        ;  msbs: dst=0 src0=0 src1=0 src2=0
	s_delay_alu instid0(VALU_DEP_1) | instskip(SKIP_1) | instid1(VALU_DEP_1)
	v_dot4_i32_iu8 v4, v5, v4, 0 neg_lo:[1,1,0]
	v_perm_b32 v5, v146, v20, 0x6040503
	v_dot4_i32_iu8 v4, v6, v5, v4 neg_lo:[1,1,0]
	v_perm_b32 v5, v16, v153, 0x6040501
	v_perm_b32 v6, v34, v18, 0x6040501
	s_set_vgpr_msb 4                        ;  msbs: dst=0 src0=0 src1=1 src2=0
	s_delay_alu instid0(VALU_DEP_3) | instskip(SKIP_1) | instid1(VALU_DEP_2)
	v_dot4_i32_iu8 v4, v235, v19 /*v275*/, v4 neg_lo:[1,1,0]
	s_set_vgpr_msb 0                        ;  msbs: dst=0 src0=0 src1=0 src2=0
	v_dot4_i32_iu8 v5, v6, v5, 0 neg_lo:[1,1,0]
	v_perm_b32 v6, v152, v16, 0x6040503
	v_perm_b32 v16, v17, v34, 0x6040503
	v_dot4_i32_iu8 v4, v23, v35, v4 neg_lo:[1,1,0]
	s_delay_alu instid0(VALU_DEP_2)
	v_dot4_i32_iu8 v5, v16, v6, v5 neg_lo:[1,1,0]
	s_set_vgpr_msb 1                        ;  msbs: dst=0 src0=1 src1=0 src2=0
	v_dot4_i32_iu8 v6, v22 /*v278*/, v227, 0 neg_lo:[1,1,0]
	s_set_vgpr_msb 0                        ;  msbs: dst=0 src0=0 src1=0 src2=0
	v_perm_b32 v16, v13, v132, 0x6040503
	v_mul_lo_u32 v4, v4, v116
	s_set_vgpr_msb 4                        ;  msbs: dst=0 src0=0 src1=1 src2=0
	v_dot4_i32_iu8 v5, v236, v20 /*v276*/, v5 neg_lo:[1,1,0]
	s_set_vgpr_msb 0                        ;  msbs: dst=0 src0=0 src1=0 src2=0
	v_dot4_i32_iu8 v6, v12, v16, v6 neg_lo:[1,1,0]
	v_perm_b32 v12, v130, v13, 0x7060403
	v_perm_b32 v13, v14, v133, 0x7060403
	v_dot4_i32_iu8 v5, v19, v32, v5 neg_lo:[1,1,0]
	s_delay_alu instid0(VALU_DEP_2)
	v_dot4_i32_iu8 v6, v13, v12, v6 neg_lo:[1,1,0]
	s_set_vgpr_msb 1                        ;  msbs: dst=0 src0=1 src1=0 src2=0
	v_dot4_i32_iu8 v12, v26 /*v282*/, v179, 0 neg_lo:[1,1,0]
	s_set_vgpr_msb 0                        ;  msbs: dst=0 src0=0 src1=0 src2=0
	v_perm_b32 v13, v9, v128, 0x6040503
	v_perm_b32 v9, v126, v9, 0x7060403
	v_mad_u32 v4, v5, v161, v4
	v_dot4_i32_iu8 v6, v15, v131, v6 neg_lo:[1,1,0]
	s_delay_alu instid0(VALU_DEP_4) | instskip(NEXT) | instid1(VALU_DEP_1)
	v_dot4_i32_iu8 v8, v8, v13, v12 neg_lo:[1,1,0]
	v_dot4_i32_iu8 v8, v10, v9, v8 neg_lo:[1,1,0]
	;; [unrolled: 1-line block ×3, first 2 shown]
	s_set_vgpr_msb 1                        ;  msbs: dst=0 src0=1 src1=0 src2=0
	v_mul_lo_u32 v2, v17 /*v273*/, v163
	s_set_vgpr_msb 0                        ;  msbs: dst=0 src0=0 src1=0 src2=0
	v_mul_lo_u32 v3, v6, v125
	v_cvt_f32_i32_e32 v4, v4
	v_dot4_i32_iu8 v8, v11, v127, v8 neg_lo:[1,1,0]
	s_set_vgpr_msb 1                        ;  msbs: dst=0 src0=1 src1=0 src2=0
	s_delay_alu instid0(VALU_DEP_4) | instskip(SKIP_1) | instid1(VALU_DEP_2)
	v_mad_u32 v2, v16 /*v272*/, v125, v2
	s_set_vgpr_msb 0                        ;  msbs: dst=0 src0=0 src1=0 src2=0
	v_mad_u32 v6, v8, v163, v3
	s_delay_alu instid0(VALU_DEP_2) | instskip(NEXT) | instid1(VALU_DEP_2)
	v_cvt_f32_i32_e32 v3, v2
	v_cvt_f32_i32_e32 v2, v6
	v_mul_lo_u32 v6, v9, v161
	s_set_vgpr_msb 1                        ;  msbs: dst=0 src0=1 src1=0 src2=0
	s_delay_alu instid0(VALU_DEP_2) | instskip(SKIP_1) | instid1(VALU_DEP_2)
	v_pk_fma_f32 v[2:3], v[4:5] /*v[260:261]*/, v[2:3], 0 op_sel_hi:[1,1,0]
	s_set_vgpr_msb 0                        ;  msbs: dst=0 src0=0 src1=0 src2=0
	v_mad_u32 v5, v7, v116, v6
	s_delay_alu instid0(VALU_DEP_1) | instskip(NEXT) | instid1(VALU_DEP_1)
	v_cvt_f32_i32_e32 v5, v5
	v_pk_fma_f32 v[0:1], v[0:1], v[4:5], v[2:3]
	s_delay_alu instid0(VALU_DEP_1) | instskip(SKIP_1) | instid1(VALU_DEP_1)
	v_pk_fma_f32 v[108:109], v[30:31], v[0:1], v[108:109]
	v_or_b32_e32 v0, s5, v212
	v_lshlrev_b32_e32 v4, 2, v0
	s_set_vgpr_msb 64                       ;  msbs: dst=1 src0=0 src1=0 src2=0
	v_lshrrev_b32_e32 v12 /*v268*/, 1, v0
	s_set_vgpr_msb 0                        ;  msbs: dst=0 src0=0 src1=0 src2=0
	ds_load_b128 v[8:11], v4 offset:33280
	ds_load_b128 v[12:15], v4 offset:33296
	ds_load_b128 v[0:3], v4 offset:33312
	ds_load_b128 v[4:7], v4 offset:33328
	s_wait_dscnt 0x3
	s_set_vgpr_msb 64                       ;  msbs: dst=1 src0=0 src1=0 src2=0
	v_perm_b32 v2 /*v258*/, v9, v166, 0x6040503
	s_wait_dscnt 0x2
	s_set_vgpr_msb 0                        ;  msbs: dst=0 src0=0 src1=0 src2=0
	v_perm_b32 v21, v13, v12, 0x6040503
	s_wait_dscnt 0x1
	v_perm_b32 v20, v1, v150, 0x6040503
	s_wait_dscnt 0x0
	v_perm_b32 v17, v6, v6, 0xc0c0c01
	v_perm_b32 v16, v4, v171, 0x6040501
	;; [unrolled: 1-line block ×4, first 2 shown]
	s_set_vgpr_msb 64                       ;  msbs: dst=1 src0=0 src1=0 src2=0
	v_perm_b32 v3 /*v259*/, v167, v8, 0x6040503
	s_set_vgpr_msb 0                        ;  msbs: dst=0 src0=0 src1=0 src2=0
	v_or_b32_e32 v18, v253, v17
	s_delay_alu instid0(VALU_DEP_1) | instskip(SKIP_1) | instid1(VALU_DEP_1)
	v_dot4_i32_iu8 v16, v18, v16, 0 neg_lo:[1,1,0]
	v_perm_b32 v18, v170, v4, 0x6040503
	v_dot4_i32_iu8 v16, v19, v18, v16 neg_lo:[1,1,0]
	v_perm_b32 v18, v6, v5, 0x7060403
	v_perm_b32 v19, v150, v2, 0x6040501
	;; [unrolled: 1-line block ×3, first 2 shown]
	s_set_vgpr_msb 64                       ;  msbs: dst=1 src0=0 src1=0 src2=0
	s_delay_alu instid0(VALU_DEP_3) | instskip(SKIP_2) | instid1(VALU_DEP_1)
	v_dot4_i32_iu8 v13 /*v269*/, v254, v18, v16 neg_lo:[1,1,0]
	s_set_vgpr_msb 0                        ;  msbs: dst=0 src0=0 src1=0 src2=0
	v_perm_b32 v16, v0, v173, 0x6040501
	v_dot4_i32_iu8 v16, v19, v16, 0 neg_lo:[1,1,0]
	v_perm_b32 v19, v172, v0, 0x6040503
	s_delay_alu instid0(VALU_DEP_1) | instskip(SKIP_2) | instid1(VALU_DEP_1)
	v_dot4_i32_iu8 v16, v20, v19, v16 neg_lo:[1,1,0]
	v_perm_b32 v19, v2, v1, 0x7060403
	s_set_vgpr_msb 64                       ;  msbs: dst=1 src0=0 src1=0 src2=0
	v_dot4_i32_iu8 v14 /*v270*/, v255, v19, v16 neg_lo:[1,1,0]
	s_set_vgpr_msb 0                        ;  msbs: dst=0 src0=0 src1=0 src2=0
	v_perm_b32 v16, v12, v14, 0x6050401
	s_delay_alu instid0(VALU_DEP_1) | instskip(SKIP_1) | instid1(VALU_DEP_1)
	v_dot4_i32_iu8 v20, v16, v246, 0 neg_lo:[1,1,0]
	s_set_vgpr_msb 4                        ;  msbs: dst=0 src0=0 src1=1 src2=0
	v_dot4_i32_iu8 v20, v21, v0 /*v256*/, v20 neg_lo:[1,1,0]
	s_set_vgpr_msb 0                        ;  msbs: dst=0 src0=0 src1=0 src2=0
	s_delay_alu instid0(VALU_DEP_1) | instskip(SKIP_1) | instid1(VALU_DEP_1)
	v_dot4_i32_iu8 v20, v22, v249, v20 neg_lo:[1,1,0]
	s_set_vgpr_msb 64                       ;  msbs: dst=1 src0=0 src1=0 src2=0
	v_dot4_i32_iu8 v15 /*v271*/, v15, v169, v20 neg_lo:[1,1,0]
	s_set_vgpr_msb 0                        ;  msbs: dst=0 src0=0 src1=0 src2=0
	v_perm_b32 v20, v8, v10, 0x6050401
	s_set_vgpr_msb 4                        ;  msbs: dst=0 src0=0 src1=1 src2=0
	s_delay_alu instid0(VALU_DEP_1) | instskip(SKIP_1) | instid1(VALU_DEP_1)
	v_dot4_i32_iu8 v23, v20, v1 /*v257*/, 0 neg_lo:[1,1,0]
	s_set_vgpr_msb 5                        ;  msbs: dst=0 src0=1 src1=1 src2=0
	v_dot4_i32_iu8 v23, v3 /*v259*/, v2 /*v258*/, v23 neg_lo:[1,1,0]
	s_set_vgpr_msb 64                       ;  msbs: dst=1 src0=0 src1=0 src2=0
	v_perm_b32 v2 /*v258*/, v164, v9, 0x7060403
	v_perm_b32 v3 /*v259*/, v10, v167, 0x7060403
	s_set_vgpr_msb 5                        ;  msbs: dst=0 src0=1 src1=1 src2=0
	s_delay_alu instid0(VALU_DEP_1) | instskip(SKIP_2) | instid1(VALU_DEP_2)
	v_dot4_i32_iu8 v23, v3 /*v259*/, v2 /*v258*/, v23 neg_lo:[1,1,0]
	s_set_vgpr_msb 64                       ;  msbs: dst=1 src0=0 src1=0 src2=0
	v_perm_b32 v2 /*v258*/, v5, v120, 0x6040503
	v_dot4_i32_iu8 v16 /*v272*/, v11, v165, v23 neg_lo:[1,1,0]
	s_set_vgpr_msb 0                        ;  msbs: dst=0 src0=0 src1=0 src2=0
	v_perm_b32 v23, v4, v159, 0x6040501
	s_delay_alu instid0(VALU_DEP_1) | instskip(SKIP_2) | instid1(VALU_DEP_1)
	v_dot4_i32_iu8 v6, v6, v23, 0 neg_lo:[1,1,0]
	v_perm_b32 v23, v158, v4, 0x6040503
	s_set_vgpr_msb 1                        ;  msbs: dst=0 src0=1 src1=0 src2=0
	v_dot4_i32_iu8 v6, v2 /*v258*/, v23, v6 neg_lo:[1,1,0]
	s_set_vgpr_msb 0                        ;  msbs: dst=0 src0=0 src1=0 src2=0
	v_perm_b32 v23, v162, v2, 0x6040501
	s_set_vgpr_msb 64                       ;  msbs: dst=1 src0=0 src1=0 src2=0
	s_delay_alu instid0(VALU_DEP_2) | instskip(SKIP_2) | instid1(VALU_DEP_1)
	v_dot4_i32_iu8 v8 /*v264*/, v250, v18, v6 neg_lo:[1,1,0]
	s_set_vgpr_msb 0                        ;  msbs: dst=0 src0=0 src1=0 src2=0
	v_perm_b32 v6, v0, v160, 0x6040501
	v_dot4_i32_iu8 v6, v23, v6, 0 neg_lo:[1,1,0]
	v_perm_b32 v23, v1, v0, 0x6040503
	s_delay_alu instid0(VALU_DEP_1) | instskip(SKIP_2) | instid1(VALU_DEP_2)
	v_dot4_i32_iu8 v6, v251, v23, v6 neg_lo:[1,1,0]
	v_perm_b32 v23, v124, v14, 0x6050401
	s_set_vgpr_msb 64                       ;  msbs: dst=1 src0=0 src1=0 src2=0
	v_dot4_i32_iu8 v10 /*v266*/, v252, v19, v6 neg_lo:[1,1,0]
	s_set_vgpr_msb 0                        ;  msbs: dst=0 src0=0 src1=0 src2=0
	v_perm_b32 v6, v12, v118, 0x6050401
	s_delay_alu instid0(VALU_DEP_1) | instskip(NEXT) | instid1(VALU_DEP_1)
	v_dot4_i32_iu8 v6, v23, v6, 0 neg_lo:[1,1,0]
	v_dot4_i32_iu8 v6, v237, v21, v6 neg_lo:[1,1,0]
	v_perm_b32 v21, v9, v122, 0x6040503
	s_delay_alu instid0(VALU_DEP_2) | instskip(SKIP_2) | instid1(VALU_DEP_2)
	v_dot4_i32_iu8 v6, v238, v22, v6 neg_lo:[1,1,0]
	v_perm_b32 v22, v123, v8, 0x6040503
	s_set_vgpr_msb 64                       ;  msbs: dst=1 src0=0 src1=0 src2=0
	v_dot4_i32_iu8 v9 /*v265*/, v15, v119, v6 neg_lo:[1,1,0]
	s_set_vgpr_msb 0                        ;  msbs: dst=0 src0=0 src1=0 src2=0
	v_dot4_i32_iu8 v6, v20, v176, 0 neg_lo:[1,1,0]
	s_delay_alu instid0(VALU_DEP_1) | instskip(SKIP_3) | instid1(VALU_DEP_3)
	v_dot4_i32_iu8 v6, v22, v21, v6 neg_lo:[1,1,0]
	v_perm_b32 v21, v10, v9, 0x7060403
	v_perm_b32 v22, v5, v141, 0x6040503
	;; [unrolled: 1-line block ×3, first 2 shown]
	v_dot4_i32_iu8 v6, v239, v21, v6 neg_lo:[1,1,0]
	v_or_b32_e32 v21, v243, v17
	v_or_b32_e32 v17, v234, v17
	s_set_vgpr_msb 64                       ;  msbs: dst=1 src0=0 src1=0 src2=0
	s_delay_alu instid0(VALU_DEP_3) | instskip(SKIP_2) | instid1(VALU_DEP_1)
	v_dot4_i32_iu8 v11 /*v267*/, v11, v117, v6 neg_lo:[1,1,0]
	s_set_vgpr_msb 0                        ;  msbs: dst=0 src0=0 src1=0 src2=0
	v_perm_b32 v6, v4, v155, 0x6040501
	v_dot4_i32_iu8 v6, v21, v6, 0 neg_lo:[1,1,0]
	v_perm_b32 v21, v154, v4, 0x6040503
	s_delay_alu instid0(VALU_DEP_1)
	v_dot4_i32_iu8 v6, v22, v21, v6 neg_lo:[1,1,0]
	v_perm_b32 v21, v144, v2, 0x6040501
	v_perm_b32 v22, v1, v144, 0x6040503
	;; [unrolled: 1-line block ×4, first 2 shown]
	s_set_vgpr_msb 64                       ;  msbs: dst=1 src0=0 src1=0 src2=0
	v_dot4_i32_iu8 v4 /*v260*/, v244, v18, v6 neg_lo:[1,1,0]
	s_set_vgpr_msb 0                        ;  msbs: dst=0 src0=0 src1=0 src2=0
	v_perm_b32 v6, v0, v157, 0x6040501
	s_delay_alu instid0(VALU_DEP_1) | instskip(SKIP_1) | instid1(VALU_DEP_1)
	v_dot4_i32_iu8 v6, v21, v6, 0 neg_lo:[1,1,0]
	v_perm_b32 v21, v156, v0, 0x6040503
	v_dot4_i32_iu8 v6, v22, v21, v6 neg_lo:[1,1,0]
	v_perm_b32 v21, v13, v138, 0x6040503
	v_perm_b32 v22, v139, v12, 0x6040503
	s_set_vgpr_msb 64                       ;  msbs: dst=1 src0=0 src1=0 src2=0
	s_delay_alu instid0(VALU_DEP_3) | instskip(SKIP_2) | instid1(VALU_DEP_1)
	v_dot4_i32_iu8 v5 /*v261*/, v245, v19, v6 neg_lo:[1,1,0]
	s_set_vgpr_msb 0                        ;  msbs: dst=0 src0=0 src1=0 src2=0
	v_dot4_i32_iu8 v6, v16, v228, 0 neg_lo:[1,1,0]
	v_dot4_i32_iu8 v6, v22, v21, v6 neg_lo:[1,1,0]
	v_perm_b32 v21, v136, v13, 0x7060403
	v_perm_b32 v22, v14, v139, 0x7060403
	s_delay_alu instid0(VALU_DEP_1) | instskip(SKIP_3) | instid1(VALU_DEP_3)
	v_dot4_i32_iu8 v6, v22, v21, v6 neg_lo:[1,1,0]
	v_perm_b32 v21, v9, v142, 0x6040503
	v_perm_b32 v22, v143, v8, 0x6040503
	s_set_vgpr_msb 64                       ;  msbs: dst=1 src0=0 src1=0 src2=0
	v_dot4_i32_iu8 v6 /*v262*/, v15, v137, v6 neg_lo:[1,1,0]
	s_set_vgpr_msb 0                        ;  msbs: dst=0 src0=0 src1=0 src2=0
	v_dot4_i32_iu8 v6, v20, v233, 0 neg_lo:[1,1,0]
	s_delay_alu instid0(VALU_DEP_1) | instskip(SKIP_2) | instid1(VALU_DEP_1)
	v_dot4_i32_iu8 v6, v22, v21, v6 neg_lo:[1,1,0]
	v_perm_b32 v21, v134, v9, 0x7060403
	v_perm_b32 v22, v10, v143, 0x7060403
	v_dot4_i32_iu8 v6, v22, v21, v6 neg_lo:[1,1,0]
	s_set_vgpr_msb 64                       ;  msbs: dst=1 src0=0 src1=0 src2=0
	s_delay_alu instid0(VALU_DEP_1) | instskip(SKIP_3) | instid1(VALU_DEP_2)
	v_dot4_i32_iu8 v7 /*v263*/, v11, v135, v6 neg_lo:[1,1,0]
	s_set_vgpr_msb 0                        ;  msbs: dst=0 src0=0 src1=0 src2=0
	v_perm_b32 v6, v4, v147, 0x6040501
	v_perm_b32 v4, v146, v4, 0x6040503
	v_dot4_i32_iu8 v6, v17, v6, 0 neg_lo:[1,1,0]
	s_delay_alu instid0(VALU_DEP_1) | instskip(NEXT) | instid1(VALU_DEP_1)
	v_dot4_i32_iu8 v4, v5, v4, v6 neg_lo:[1,1,0]
	v_dot4_i32_iu8 v6, v235, v18, v4 neg_lo:[1,1,0]
	v_perm_b32 v4, v0, v153, 0x6040501
	v_perm_b32 v0, v152, v0, 0x6040503
	s_delay_alu instid0(VALU_DEP_3) | instskip(NEXT) | instid1(VALU_DEP_3)
	v_dot4_i32_iu8 v6, v7, v35, v6 neg_lo:[1,1,0]
	v_dot4_i32_iu8 v2, v2, v4, 0 neg_lo:[1,1,0]
	v_perm_b32 v4, v133, v12, 0x6040503
	s_delay_alu instid0(VALU_DEP_2) | instskip(SKIP_1) | instid1(VALU_DEP_2)
	v_dot4_i32_iu8 v0, v1, v0, v2 neg_lo:[1,1,0]
	v_perm_b32 v1, v13, v132, 0x6040503
	v_dot4_i32_iu8 v2, v236, v19, v0 neg_lo:[1,1,0]
	v_dot4_i32_iu8 v0, v16, v227, 0 neg_lo:[1,1,0]
	s_delay_alu instid0(VALU_DEP_1) | instskip(SKIP_2) | instid1(VALU_DEP_1)
	v_dot4_i32_iu8 v0, v4, v1, v0 neg_lo:[1,1,0]
	v_perm_b32 v1, v130, v13, 0x7060403
	v_perm_b32 v4, v14, v133, 0x7060403
	v_dot4_i32_iu8 v0, v4, v1, v0 neg_lo:[1,1,0]
	v_perm_b32 v1, v9, v128, 0x6040503
	v_perm_b32 v4, v129, v8, 0x6040503
	s_set_vgpr_msb 64                       ;  msbs: dst=1 src0=0 src1=0 src2=0
	s_delay_alu instid0(VALU_DEP_3) | instskip(SKIP_2) | instid1(VALU_DEP_1)
	v_dot4_i32_iu8 v2 /*v258*/, v15, v131, v0 neg_lo:[1,1,0]
	s_set_vgpr_msb 0                        ;  msbs: dst=0 src0=0 src1=0 src2=0
	v_dot4_i32_iu8 v0, v20, v179, 0 neg_lo:[1,1,0]
	v_dot4_i32_iu8 v0, v4, v1, v0 neg_lo:[1,1,0]
	v_perm_b32 v1, v126, v9, 0x7060403
	v_perm_b32 v4, v10, v129, 0x7060403
	s_delay_alu instid0(VALU_DEP_1) | instskip(SKIP_1) | instid1(VALU_DEP_1)
	v_dot4_i32_iu8 v0, v4, v1, v0 neg_lo:[1,1,0]
	s_set_vgpr_msb 64                       ;  msbs: dst=1 src0=0 src1=0 src2=0
	v_dot4_i32_iu8 v3 /*v259*/, v11, v127, v0 neg_lo:[1,1,0]
	s_set_vgpr_msb 0                        ;  msbs: dst=0 src0=0 src1=0 src2=0
	v_or_b32_e32 v0, s5, v213
	s_delay_alu instid0(VALU_DEP_1)
	v_lshlrev_b32_e32 v1, 2, v0
	ds_load_b128 v[12:15], v1 offset:33280
	ds_load_b128 v[20:23], v1 offset:33296
	;; [unrolled: 1-line block ×4, first 2 shown]
	v_lshrrev_b32_e32 v4, 1, v0
	s_wait_dscnt 0x3
	v_perm_b32 v122, v13, v122, 0x6040503
	s_wait_dscnt 0x2
	v_perm_b32 v118, v20, v118, 0x6050401
	v_perm_b32 v124, v124, v22, 0x6050401
	s_wait_dscnt 0x0
	v_perm_b32 v0, v16, v171, 0x6040501
	v_perm_b32 v171, v18, v18, 0xc0c0c01
	;; [unrolled: 1-line block ×4, first 2 shown]
	v_dot4_i32_iu8 v118, v124, v118, 0 neg_lo:[1,1,0]
	v_perm_b32 v123, v123, v12, 0x6040503
	v_or_b32_e32 v1, v253, v171
	s_delay_alu instid0(VALU_DEP_1) | instskip(SKIP_4) | instid1(VALU_DEP_4)
	v_dot4_i32_iu8 v0, v1, v0, 0 neg_lo:[1,1,0]
	v_perm_b32 v1, v170, v16, 0x6040503
	v_perm_b32 v170, v18, v17, 0x7060403
	;; [unrolled: 1-line block ×4, first 2 shown]
	v_dot4_i32_iu8 v0, v5, v1, v0 neg_lo:[1,1,0]
	v_perm_b32 v1, v150, v10, 0x6040501
	v_perm_b32 v150, v10, v9, 0x7060403
	s_delay_alu instid0(VALU_DEP_3) | instskip(SKIP_4) | instid1(VALU_DEP_3)
	v_dot4_i32_iu8 v5, v254, v170, v0 neg_lo:[1,1,0]
	v_perm_b32 v0, v8, v173, 0x6040501
	v_perm_b32 v173, v21, v20, 0x6040503
	s_set_vgpr_msb 16                       ;  msbs: dst=0 src0=0 src1=0 src2=1
	v_dot4_i32_iu8 v254, v3, v148, v14 /*v270*/ neg_lo:[1,1,0]
	v_dot4_i32_iu8 v0, v1, v0, 0 neg_lo:[1,1,0]
	v_perm_b32 v1, v172, v8, 0x6040503
	v_perm_b32 v172, v20, v22, 0x6050401
	s_set_vgpr_msb 0                        ;  msbs: dst=0 src0=0 src1=0 src2=0
	v_dot4_i32_iu8 v118, v237, v173, v118 neg_lo:[1,1,0]
	s_delay_alu instid0(VALU_DEP_3) | instskip(SKIP_3) | instid1(VALU_DEP_4)
	v_dot4_i32_iu8 v0, v149, v1, v0 neg_lo:[1,1,0]
	v_perm_b32 v149, v12, v14, 0x6050401
	v_perm_b32 v1, v13, v166, 0x6040503
	;; [unrolled: 1-line block ×3, first 2 shown]
	v_dot4_i32_iu8 v253, v255, v150, v0 neg_lo:[1,1,0]
	v_dot4_i32_iu8 v0, v172, v246, 0 neg_lo:[1,1,0]
	v_perm_b32 v246, v22, v21, 0x7060403
	s_delay_alu instid0(VALU_DEP_3) | instskip(SKIP_1) | instid1(VALU_DEP_3)
	v_dot4_i32_iu8 v148, v11, v148, v253 neg_lo:[1,1,0]
	s_set_vgpr_msb 4                        ;  msbs: dst=0 src0=0 src1=1 src2=0
	v_dot4_i32_iu8 v0, v173, v0 /*v256*/, v0 neg_lo:[1,1,0]
	s_set_vgpr_msb 0                        ;  msbs: dst=0 src0=0 src1=0 src2=0
	v_dot4_i32_iu8 v118, v238, v246, v118 neg_lo:[1,1,0]
	s_delay_alu instid0(VALU_DEP_2)
	v_dot4_i32_iu8 v0, v246, v249, v0 neg_lo:[1,1,0]
	v_dot4_i32_iu8 v249, v19, v151, v5 neg_lo:[1,1,0]
	s_set_vgpr_msb 16                       ;  msbs: dst=0 src0=0 src1=0 src2=1
	v_dot4_i32_iu8 v151, v7, v151, v13 /*v269*/ neg_lo:[1,1,0]
	s_set_vgpr_msb 0                        ;  msbs: dst=0 src0=0 src1=0 src2=0
	v_dot4_i32_iu8 v118, v23, v119, v118 neg_lo:[1,1,0]
	v_dot4_i32_iu8 v119, v149, v176, 0 neg_lo:[1,1,0]
	;; [unrolled: 1-line block ×3, first 2 shown]
	s_set_vgpr_msb 4                        ;  msbs: dst=0 src0=0 src1=1 src2=0
	v_dot4_i32_iu8 v0, v149, v1 /*v257*/, 0 neg_lo:[1,1,0]
	s_set_vgpr_msb 0                        ;  msbs: dst=0 src0=0 src1=0 src2=0
	v_mul_lo_u32 v118, v118, v168
	v_dot4_i32_iu8 v119, v123, v122, v119 neg_lo:[1,1,0]
	v_mul_lo_u32 v5, v169, v229
	v_dot4_i32_iu8 v0, v166, v1, v0 neg_lo:[1,1,0]
	v_perm_b32 v1, v164, v13, 0x7060403
	v_perm_b32 v164, v14, v167, 0x7060403
	;; [unrolled: 1-line block ×3, first 2 shown]
	s_delay_alu instid0(VALU_DEP_2) | instskip(NEXT) | instid1(VALU_DEP_2)
	v_dot4_i32_iu8 v0, v164, v1, v0 neg_lo:[1,1,0]
	v_dot4_i32_iu8 v119, v239, v122, v119 neg_lo:[1,1,0]
	s_delay_alu instid0(VALU_DEP_2)
	v_dot4_i32_iu8 v166, v15, v165, v0 neg_lo:[1,1,0]
	s_set_vgpr_msb 1                        ;  msbs: dst=0 src0=1 src1=0 src2=0
	ds_load_b64 v[0:1], v12 /*v268*/ offset:43584
	s_set_vgpr_msb 0                        ;  msbs: dst=0 src0=0 src1=0 src2=0
	ds_load_b64 v[164:165], v4 offset:43584
	s_set_vgpr_msb 1                        ;  msbs: dst=0 src0=1 src1=0 src2=0
	v_mul_lo_u32 v4, v16 /*v272*/, v230
	s_set_vgpr_msb 0                        ;  msbs: dst=0 src0=0 src1=0 src2=0
	v_dot4_i32_iu8 v117, v15, v117, v119 neg_lo:[1,1,0]
	v_perm_b32 v119, v3, v3, 0x3020001
	v_mad_u32 v5, v166, v230, v5
	s_delay_alu instid0(VALU_DEP_3) | instskip(SKIP_1) | instid1(VALU_DEP_3)
	v_mad_u32 v117, v117, v175, v118
	s_set_vgpr_msb 16                       ;  msbs: dst=0 src0=0 src1=0 src2=1
	v_dot4_i32_iu8 v122, v119, v242, v10 /*v266*/ neg_lo:[1,1,0]
	v_perm_b32 v119, v11, v11, 0x3020001
	s_set_vgpr_msb 1                        ;  msbs: dst=0 src0=1 src1=0 src2=0
	v_mad_u32 v4, v15 /*v271*/, v229, v4
	s_set_vgpr_msb 0                        ;  msbs: dst=0 src0=0 src1=0 src2=0
	v_cvt_f32_i32_e32 v166, v5
	s_wait_dscnt 0x1
	v_mov_b32_e32 v5, v0
	v_mul_lo_u32 v0, v254, v247
	s_delay_alu instid0(VALU_DEP_4) | instskip(SKIP_3) | instid1(VALU_DEP_2)
	v_cvt_f32_i32_e32 v167, v4
	s_wait_dscnt 0x0
	v_mov_b32_e32 v4, v164
	v_mul_lo_u32 v164, v249, v248
	v_pk_fma_f32 v[166:167], v[4:5], v[166:167], 0 op_sel_hi:[1,1,0]
	v_mad_u32 v0, v151, v248, v0
	s_delay_alu instid0(VALU_DEP_3) | instskip(NEXT) | instid1(VALU_DEP_2)
	v_mad_u32 v148, v148, v247, v164
	v_cvt_f32_i32_e32 v249, v0
	v_mov_b32_e32 v0, v165
	s_delay_alu instid0(VALU_DEP_3) | instskip(SKIP_1) | instid1(VALU_DEP_2)
	v_cvt_f32_i32_e32 v248, v148
	v_perm_b32 v148, v16, v159, 0x6040501
	v_pk_fma_f32 v[164:165], v[0:1], v[248:249], v[166:167]
	s_delay_alu instid0(VALU_DEP_2) | instskip(SKIP_1) | instid1(VALU_DEP_3)
	v_dot4_i32_iu8 v18, v18, v148, 0 neg_lo:[1,1,0]
	v_perm_b32 v148, v158, v16, 0x6040503
	v_pk_fma_f32 v[78:79], v[24:25], v[164:165], v[78:79]
	s_delay_alu instid0(VALU_DEP_2) | instskip(SKIP_2) | instid1(VALU_DEP_3)
	v_dot4_i32_iu8 v18, v120, v148, v18 neg_lo:[1,1,0]
	v_perm_b32 v120, v8, v160, 0x6040501
	v_perm_b32 v148, v162, v10, 0x6040501
	v_dot4_i32_iu8 v18, v250, v170, v18 neg_lo:[1,1,0]
	s_delay_alu instid0(VALU_DEP_2) | instskip(SKIP_1) | instid1(VALU_DEP_3)
	v_dot4_i32_iu8 v120, v148, v120, 0 neg_lo:[1,1,0]
	v_perm_b32 v148, v9, v8, 0x6040503
	v_dot4_i32_iu8 v18, v19, v121, v18 neg_lo:[1,1,0]
	s_set_vgpr_msb 16                       ;  msbs: dst=0 src0=0 src1=0 src2=1
	v_dot4_i32_iu8 v121, v7, v121, v8 /*v264*/ neg_lo:[1,1,0]
	s_set_vgpr_msb 0                        ;  msbs: dst=0 src0=0 src1=0 src2=0
	v_dot4_i32_iu8 v120, v251, v148, v120 neg_lo:[1,1,0]
	v_mul_lo_u32 v18, v18, v241
	s_delay_alu instid0(VALU_DEP_2) | instskip(NEXT) | instid1(VALU_DEP_1)
	v_dot4_i32_iu8 v120, v252, v150, v120 neg_lo:[1,1,0]
	v_dot4_i32_iu8 v120, v119, v242, v120 neg_lo:[1,1,0]
	s_set_vgpr_msb 1                        ;  msbs: dst=0 src0=1 src1=0 src2=0
	v_mul_lo_u32 v119, v11 /*v267*/, v175
	s_set_vgpr_msb 0                        ;  msbs: dst=0 src0=0 src1=0 src2=0
	s_delay_alu instid0(VALU_DEP_2) | instskip(SKIP_1) | instid1(VALU_DEP_2)
	v_mad_u32 v18, v120, v240, v18
	s_set_vgpr_msb 1                        ;  msbs: dst=0 src0=1 src1=0 src2=0
	v_mad_u32 v118, v9 /*v265*/, v168, v119
	s_set_vgpr_msb 0                        ;  msbs: dst=0 src0=0 src1=0 src2=0
	s_delay_alu instid0(VALU_DEP_2) | instskip(SKIP_1) | instid1(VALU_DEP_3)
	v_cvt_f32_i32_e32 v120, v18
	v_perm_b32 v18, v16, v155, 0x6040501
	v_cvt_f32_i32_e32 v119, v118
	v_cvt_f32_i32_e32 v118, v117
	v_mul_lo_u32 v117, v122, v240
	s_set_vgpr_msb 1                        ;  msbs: dst=0 src0=1 src1=0 src2=0
	v_mul_lo_u32 v122, v7 /*v263*/, v178
	s_set_vgpr_msb 0                        ;  msbs: dst=0 src0=0 src1=0 src2=0
	v_pk_fma_f32 v[118:119], v[4:5], v[118:119], 0 op_sel_hi:[1,1,0]
	s_delay_alu instid0(VALU_DEP_3) | instskip(NEXT) | instid1(VALU_DEP_1)
	v_mad_u32 v117, v121, v241, v117
	v_cvt_f32_i32_e32 v121, v117
	v_or_b32_e32 v117, v243, v171
	s_delay_alu instid0(VALU_DEP_2) | instskip(NEXT) | instid1(VALU_DEP_2)
	v_pk_fma_f32 v[118:119], v[0:1], v[120:121], v[118:119]
	v_dot4_i32_iu8 v18, v117, v18, 0 neg_lo:[1,1,0]
	v_perm_b32 v117, v154, v16, 0x6040503
	v_perm_b32 v120, v139, v20, 0x6040503
	;; [unrolled: 1-line block ×3, first 2 shown]
	v_pk_fma_f32 v[88:89], v[26:27], v[118:119], v[88:89]
	v_perm_b32 v118, v17, v141, 0x6040503
	v_perm_b32 v119, v9, v144, 0x6040503
	;; [unrolled: 1-line block ×5, first 2 shown]
	v_dot4_i32_iu8 v18, v118, v117, v18 neg_lo:[1,1,0]
	v_perm_b32 v117, v8, v157, 0x6040501
	v_perm_b32 v118, v144, v10, 0x6040501
	;; [unrolled: 1-line block ×3, first 2 shown]
	s_delay_alu instid0(VALU_DEP_4) | instskip(NEXT) | instid1(VALU_DEP_3)
	v_dot4_i32_iu8 v18, v244, v170, v18 neg_lo:[1,1,0]
	v_dot4_i32_iu8 v117, v118, v117, 0 neg_lo:[1,1,0]
	v_perm_b32 v118, v156, v8, 0x6040503
	s_delay_alu instid0(VALU_DEP_3) | instskip(NEXT) | instid1(VALU_DEP_2)
	v_dot4_i32_iu8 v18, v19, v145, v18 neg_lo:[1,1,0]
	v_dot4_i32_iu8 v117, v119, v118, v117 neg_lo:[1,1,0]
	;; [unrolled: 1-line block ×3, first 2 shown]
	v_perm_b32 v119, v21, v138, 0x6040503
	s_delay_alu instid0(VALU_DEP_4) | instskip(NEXT) | instid1(VALU_DEP_4)
	v_mul_lo_u32 v18, v18, v231
	v_dot4_i32_iu8 v117, v245, v150, v117 neg_lo:[1,1,0]
	s_delay_alu instid0(VALU_DEP_3) | instskip(SKIP_2) | instid1(VALU_DEP_4)
	v_dot4_i32_iu8 v118, v120, v119, v118 neg_lo:[1,1,0]
	v_perm_b32 v119, v136, v21, 0x7060403
	v_perm_b32 v120, v22, v139, 0x7060403
	v_dot4_i32_iu8 v117, v11, v140, v117 neg_lo:[1,1,0]
	s_delay_alu instid0(VALU_DEP_2) | instskip(SKIP_2) | instid1(VALU_DEP_4)
	v_dot4_i32_iu8 v118, v120, v119, v118 neg_lo:[1,1,0]
	v_dot4_i32_iu8 v119, v149, v233, 0 neg_lo:[1,1,0]
	v_perm_b32 v120, v13, v142, 0x6040503
	v_mad_u32 v18, v117, v232, v18
	s_delay_alu instid0(VALU_DEP_4) | instskip(NEXT) | instid1(VALU_DEP_3)
	v_dot4_i32_iu8 v118, v23, v137, v118 neg_lo:[1,1,0]
	v_dot4_i32_iu8 v119, v121, v120, v119 neg_lo:[1,1,0]
	v_perm_b32 v120, v134, v13, 0x7060403
	v_perm_b32 v121, v14, v143, 0x7060403
	s_delay_alu instid0(VALU_DEP_4) | instskip(NEXT) | instid1(VALU_DEP_2)
	v_mul_lo_u32 v118, v118, v177
	v_dot4_i32_iu8 v119, v121, v120, v119 neg_lo:[1,1,0]
	s_set_vgpr_msb 16                       ;  msbs: dst=0 src0=0 src1=0 src2=1
	v_dot4_i32_iu8 v120, v3, v140, v5 /*v261*/ neg_lo:[1,1,0]
	v_dot4_i32_iu8 v121, v7, v145, v4 /*v260*/ neg_lo:[1,1,0]
	s_set_vgpr_msb 0                        ;  msbs: dst=0 src0=0 src1=0 src2=0
	v_dot4_i32_iu8 v119, v15, v135, v119 neg_lo:[1,1,0]
	s_delay_alu instid0(VALU_DEP_3) | instskip(NEXT) | instid1(VALU_DEP_2)
	v_mul_lo_u32 v120, v120, v232
	v_mad_u32 v118, v119, v178, v118
	s_set_vgpr_msb 1                        ;  msbs: dst=0 src0=1 src1=0 src2=0
	v_mad_u32 v119, v6 /*v262*/, v177, v122
	s_set_vgpr_msb 0                        ;  msbs: dst=0 src0=0 src1=0 src2=0
	s_delay_alu instid0(VALU_DEP_3)
	v_mad_u32 v117, v121, v231, v120
	v_cvt_f32_i32_e32 v120, v18
	v_perm_b32 v18, v16, v147, 0x6040501
	v_perm_b32 v16, v146, v16, 0x6040503
	v_cvt_f32_i32_e32 v118, v118
	v_cvt_f32_i32_e32 v119, v119
	s_delay_alu instid0(VALU_DEP_1) | instskip(SKIP_2) | instid1(VALU_DEP_2)
	v_pk_fma_f32 v[118:119], v[4:5], v[118:119], 0 op_sel_hi:[1,1,0]
	v_cvt_f32_i32_e32 v121, v117
	v_or_b32_e32 v117, v234, v171
	v_pk_fma_f32 v[118:119], v[0:1], v[120:121], v[118:119]
	s_delay_alu instid0(VALU_DEP_2) | instskip(NEXT) | instid1(VALU_DEP_2)
	v_dot4_i32_iu8 v18, v117, v18, 0 neg_lo:[1,1,0]
	v_pk_fma_f32 v[94:95], v[28:29], v[118:119], v[94:95]
	s_delay_alu instid0(VALU_DEP_2) | instskip(SKIP_2) | instid1(VALU_DEP_3)
	v_dot4_i32_iu8 v16, v17, v16, v18 neg_lo:[1,1,0]
	v_perm_b32 v17, v8, v153, 0x6040501
	v_perm_b32 v8, v152, v8, 0x6040503
	v_dot4_i32_iu8 v16, v235, v170, v16 neg_lo:[1,1,0]
	s_delay_alu instid0(VALU_DEP_3) | instskip(SKIP_1) | instid1(VALU_DEP_2)
	v_dot4_i32_iu8 v10, v10, v17, 0 neg_lo:[1,1,0]
	v_perm_b32 v17, v133, v20, 0x6040503
	v_dot4_i32_iu8 v8, v9, v8, v10 neg_lo:[1,1,0]
	v_dot4_i32_iu8 v9, v172, v227, 0 neg_lo:[1,1,0]
	v_perm_b32 v10, v21, v132, 0x6040503
	s_delay_alu instid0(VALU_DEP_3) | instskip(NEXT) | instid1(VALU_DEP_2)
	v_dot4_i32_iu8 v8, v236, v150, v8 neg_lo:[1,1,0]
	v_dot4_i32_iu8 v9, v17, v10, v9 neg_lo:[1,1,0]
	v_perm_b32 v10, v130, v21, 0x7060403
	v_perm_b32 v17, v22, v133, 0x7060403
	s_delay_alu instid0(VALU_DEP_4) | instskip(NEXT) | instid1(VALU_DEP_2)
	v_dot4_i32_iu8 v7, v11, v32, v8 neg_lo:[1,1,0]
	v_dot4_i32_iu8 v9, v17, v10, v9 neg_lo:[1,1,0]
	;; [unrolled: 1-line block ×3, first 2 shown]
	v_perm_b32 v17, v13, v128, 0x6040503
	s_delay_alu instid0(VALU_DEP_3) | instskip(NEXT) | instid1(VALU_DEP_2)
	v_dot4_i32_iu8 v9, v23, v131, v9 neg_lo:[1,1,0]
	v_dot4_i32_iu8 v10, v12, v17, v10 neg_lo:[1,1,0]
	v_perm_b32 v12, v126, v13, 0x7060403
	v_perm_b32 v13, v14, v129, 0x7060403
	s_delay_alu instid0(VALU_DEP_1)
	v_dot4_i32_iu8 v10, v13, v12, v10 neg_lo:[1,1,0]
	v_dot4_i32_iu8 v13, v3, v32, v2 neg_lo:[1,1,0]
	s_set_vgpr_msb 1                        ;  msbs: dst=0 src0=1 src1=0 src2=0
	v_mul_lo_u32 v2, v3 /*v259*/, v163
	s_set_vgpr_msb 0                        ;  msbs: dst=0 src0=0 src1=0 src2=0
	v_mul_lo_u32 v3, v9, v125
	v_dot4_i32_iu8 v12, v19, v35, v16 neg_lo:[1,1,0]
	v_dot4_i32_iu8 v10, v15, v127, v10 neg_lo:[1,1,0]
	s_set_vgpr_msb 1                        ;  msbs: dst=0 src0=1 src1=0 src2=0
	s_delay_alu instid0(VALU_DEP_4) | instskip(SKIP_1) | instid1(VALU_DEP_2)
	v_mad_u32 v2, v2 /*v258*/, v125, v2
	s_set_vgpr_msb 0                        ;  msbs: dst=0 src0=0 src1=0 src2=0
	v_mad_u32 v8, v10, v163, v3
	s_delay_alu instid0(VALU_DEP_2) | instskip(NEXT) | instid1(VALU_DEP_2)
	v_cvt_f32_i32_e32 v3, v2
	v_cvt_f32_i32_e32 v2, v8
	s_delay_alu instid0(VALU_DEP_1) | instskip(SKIP_2) | instid1(VALU_DEP_2)
	v_pk_fma_f32 v[2:3], v[4:5], v[2:3], 0 op_sel_hi:[1,1,0]
	v_mul_lo_u32 v4, v13, v161
	v_mul_lo_u32 v5, v12, v116
	v_mad_u32 v4, v6, v116, v4
	s_delay_alu instid0(VALU_DEP_2) | instskip(NEXT) | instid1(VALU_DEP_2)
	v_mad_u32 v7, v7, v161, v5
	v_cvt_f32_i32_e32 v5, v4
	s_delay_alu instid0(VALU_DEP_2) | instskip(NEXT) | instid1(VALU_DEP_1)
	v_cvt_f32_i32_e32 v4, v7
	v_pk_fma_f32 v[0:1], v[0:1], v[4:5], v[2:3]
	s_delay_alu instid0(VALU_DEP_1)
	v_pk_fma_f32 v[102:103], v[30:31], v[0:1], v[102:103]
	s_cbranch_vccnz .LBB156_6
; %bb.7:                                ;   in Loop: Header=BB156_5 Depth=1
	v_dual_add_nc_u32 v8, s7, v200 :: v_dual_add_nc_u32 v4, 4, v174
	s_barrier_signal -1
	s_barrier_wait -1
	s_delay_alu instid0(VALU_DEP_1)
	v_dual_add_nc_u32 v6, v8, v201 :: v_dual_add_nc_u32 v14, v8, v198
	v_dual_add_nc_u32 v0, v8, v193 :: v_dual_add_nc_u32 v2, v8, v194
	;; [unrolled: 1-line block ×3, first 2 shown]
	v_mad_nc_u64_u32 v[4:5], v4, 36, s[2:3]
	v_dual_add_nc_u32 v12, v8, v197 :: v_dual_add_nc_u32 v16, v8, v199
	v_mad_nc_i64_i32 v[6:7], v6, 36, v[44:45]
	v_mad_nc_i64_i32 v[0:1], v0, 36, v[44:45]
	v_mad_nc_i64_i32 v[2:3], v2, 36, v[44:45]
	v_mad_nc_i64_i32 v[8:9], v9, 36, v[44:45]
	v_mad_nc_i64_i32 v[10:11], v10, 36, v[44:45]
	v_mad_nc_i64_i32 v[12:13], v12, 36, v[44:45]
	v_mad_nc_i64_i32 v[14:15], v14, 36, v[44:45]
	v_mad_nc_i64_i32 v[16:17], v16, 36, v[44:45]
	s_clause 0x8
	global_load_b32 v18, v[4:5], off
	global_load_b32 v19, v[6:7], off offset:4
	global_load_b32 v20, v[0:1], off offset:4
	;; [unrolled: 1-line block ×8, first 2 shown]
	s_mov_b32 s4, 16
	s_wait_loadcnt 0x8
	s_wait_xcnt 0x6
	v_cvt_f32_f16_e32 v0, v18
	s_wait_loadcnt 0x7
	ds_store_b32 v181, v19
	s_wait_loadcnt 0x6
	ds_store_b32 v73, v20
	;; [unrolled: 2-line block ×8, first 2 shown]
	ds_store_b32 v192, v0
	s_wait_dscnt 0x0
	s_barrier_signal -1
	s_barrier_wait -1
	ds_load_b32 v116, v203
	ds_load_b32 v118, v204 offset:128
	ds_load_b32 v120, v205 offset:256
	;; [unrolled: 1-line block ×3, first 2 shown]
	s_wait_dscnt 0x2
	v_dual_mov_b32 v117, v116 :: v_dual_mov_b32 v119, v118
	s_wait_dscnt 0x0
	v_dual_mov_b32 v121, v120 :: v_dual_mov_b32 v123, v122
.LBB156_8:                              ;   Parent Loop BB156_5 Depth=1
                                        ; =>  This Inner Loop Header: Depth=2
	s_lshl_b32 s5, s4, 1
	s_lshl_b32 s12, s4, 3
	s_and_b32 s5, s5, 16
	s_lshr_b32 s7, s4, 1
	v_dual_add_nc_u32 v29, s12, v221 :: v_dual_bitop2_b32 v0, s5, v55 bitop3:0x54
	s_add_co_i32 s7, s7, 0xa200
	v_add_nc_u32_e32 v160, s12, v223
	v_add3_u32 v28, s7, v225, v217
	s_delay_alu instid0(VALU_DEP_3)
	v_dual_lshlrev_b32 v8, 2, v0 :: v_dual_lshrrev_b32 v18, 1, v0
	ds_load_b128 v[4:7], v8 offset:33280
	ds_load_b128 v[0:3], v8 offset:33296
	;; [unrolled: 1-line block ×4, first 2 shown]
	ds_load_2addr_b32 v[166:167], v29 offset0:6 offset1:7
	ds_load_2addr_b32 v[176:177], v29 offset0:4 offset1:5
	ds_load_2addr_b32 v[168:169], v29 offset0:2 offset1:3
	ds_load_2addr_b32 v[174:175], v29 offset1:1
	ds_load_2addr_b32 v[16:17], v29 offset0:13 offset1:14
	ds_load_2addr_b32 v[170:171], v29 offset0:11 offset1:12
	ds_load_2addr_b32 v[172:173], v29 offset0:8 offset1:15
	ds_load_2addr_b32 v[178:179], v29 offset0:9 offset1:10
	v_add3_u32 v127, s7, v226, v214
	s_set_vgpr_msb 64                       ;  msbs: dst=1 src0=0 src1=0 src2=0
	v_add3_u32 v12 /*v268*/, s7, v218, v215
	v_add3_u32 v13 /*v269*/, s7, v219, v216
	s_wait_dscnt 0x6
	s_set_vgpr_msb 0                        ;  msbs: dst=0 src0=0 src1=0 src2=0
	v_perm_b32 v255, v166, v177, 0x7060403
	v_bfe_i32 v235, v6, 8, 8
	v_perm_b32 v253, v5, v5, 0xc0c0001
	v_bfe_i32 v229, v14, 8, 8
	s_wait_dscnt 0x1
	v_perm_b32 v31, v172, v172, 0xc0c0001
	s_wait_dscnt 0x0
	v_bfe_i32 v29, v179, 8, 8
	v_perm_b32 v236, v12, v12, 0xc0c0001
	v_perm_b32 v238, v12, v12, 0xc0c0302
	;; [unrolled: 1-line block ×3, first 2 shown]
	v_bfe_i32 v230, v13, 16, 8
	v_mul_i32_i24_e32 v29, v29, v229
	v_bfe_i32 v30, v178, 16, 8
	v_perm_b32 v240, v14, v13, 0xc0c0403
	v_perm_b32 v241, v14, v14, 0xc0c0302
	s_set_vgpr_msb 64                       ;  msbs: dst=1 src0=0 src1=0 src2=0
	v_perm_b32 v5 /*v261*/, v5, v5, 0xc0c0302
	s_set_vgpr_msb 0                        ;  msbs: dst=0 src0=0 src1=0 src2=0
	v_dot4_i32_iu8 v29, v236, v31, v29 neg_lo:[1,1,0]
	v_perm_b32 v31, v172, v172, 0xc0c0302
	s_set_vgpr_msb 64                       ;  msbs: dst=1 src0=0 src1=0 src2=0
	v_perm_b32 v10 /*v266*/, v6, v6, 0xc030200
	s_set_vgpr_msb 0                        ;  msbs: dst=0 src0=0 src1=0 src2=0
	v_ashrrev_i32_e32 v27, 24, v0
	v_perm_b32 v142, v171, v10, 0x6040501
	v_perm_b32 v143, v8, v17, 0x6040501
	v_dot4_i32_iu8 v12, v238, v31, v29 neg_lo:[1,1,0]
	v_perm_b32 v29, v178, v178, 0xc0c0001
	v_perm_b32 v144, v16, v8, 0x6040503
	v_bfe_i32 v126, v10, 8, 8
	v_dot4_i32_iu8 v142, v143, v142, 0 neg_lo:[1,1,0]
	v_perm_b32 v143, v9, v171, 0x6040503
	v_dot4_i32_iu8 v12, v239, v29, v12 neg_lo:[1,1,0]
	v_perm_b32 v29, v179, v178, 0xc0c0403
	v_bfe_i32 v20, v8, 8, 8
	v_ashrrev_i32_e32 v146, 24, v10
	v_dot4_i32_iu8 v142, v144, v143, v142 neg_lo:[1,1,0]
	v_mad_i32_i24 v12, v30, v230, v12
	v_perm_b32 v30, v175, v175, 0xc0c0001
	v_bfe_i32 v147, v10, 16, 8
	v_bfe_i32 v148, v10, 0, 8
	v_perm_b32 v254, v17, v16, 0x7060403
	v_dot4_i32_iu8 v12, v240, v29, v12 neg_lo:[1,1,0]
	v_perm_b32 v29, v179, v179, 0xc0c0302
	v_perm_b32 v10, v10, v9, 0x7060403
	v_bfe_i32 v21, v8, 0, 8
	v_bfe_i32 v23, v11, 8, 8
	;; [unrolled: 1-line block ×3, first 2 shown]
	v_dot4_i32_iu8 v35, v241, v29, v12 neg_lo:[1,1,0]
	v_bfe_i32 v29, v168, 8, 8
	v_dot4_i32_iu8 v150, v10, v254, v142 neg_lo:[1,1,0]
	v_ashrrev_i32_e32 v141, 24, v8
	v_bfe_i32 v164, v8, 16, 8
	v_bfe_i32 v22, v9, 16, 8
	v_mul_i32_i24_e32 v29, v29, v235
	v_perm_b32 v12, v176, v166, 0x6050401
	v_perm_b32 v252, v0, v2, 0x6050401
	v_lshrrev_b16 v19, 8, v1
	v_bfe_i32 v26, v0, 0, 8
	v_dot4_i32_iu8 v29, v174, v4, v29 neg_lo:[1,1,0]
	v_perm_b32 v13, v13, v13, 0xc0c0302
	v_dot4_i32_iu8 v12, v12, v252, 0 neg_lo:[1,1,0]
	v_bfe_i32 v19, v19, 0, 8
	v_perm_b32 v14, v14, v14, 0xc030200
	v_dot4_i32_iu8 v29, v253, v30, v29 neg_lo:[1,1,0]
	v_perm_b32 v30, v175, v175, 0xc0c0302
	s_set_vgpr_msb 64                       ;  msbs: dst=1 src0=0 src1=0 src2=0
	v_perm_b32 v11 /*v267*/, v2, v1, 0x7060403
	s_set_vgpr_msb 0                        ;  msbs: dst=0 src0=0 src1=0 src2=0
	v_bfe_i32 v25, v0, 8, 8
	v_bfe_i32 v24, v2, 8, 8
	s_set_vgpr_msb 64                       ;  msbs: dst=1 src0=0 src1=0 src2=0
	v_perm_b32 v2 /*v258*/, v171, v17, 0x6040501
	s_set_vgpr_msb 1                        ;  msbs: dst=0 src0=1 src1=0 src2=0
	v_dot4_i32_iu8 v29, v5 /*v261*/, v30, v29 neg_lo:[1,1,0]
	s_set_vgpr_msb 0                        ;  msbs: dst=0 src0=0 src1=0 src2=0
	v_perm_b32 v30, v168, v168, 0xc030200
	s_set_vgpr_msb 64                       ;  msbs: dst=1 src0=0 src1=0 src2=0
	v_perm_b32 v3 /*v259*/, v16, v171, 0x6040503
	s_set_vgpr_msb 0                        ;  msbs: dst=0 src0=0 src1=0 src2=0
	v_dot4_i32_iu8 v35, v170, v15, v35 neg_lo:[1,1,0]
	v_dot4_i32_iu8 v150, v11, v173, v150 neg_lo:[1,1,0]
	s_set_vgpr_msb 64                       ;  msbs: dst=1 src0=0 src1=0 src2=0
	v_perm_b32 v20 /*v276*/, v8, v8, 0xc0c0001
	s_set_vgpr_msb 4                        ;  msbs: dst=0 src0=0 src1=1 src2=0
	v_dot4_i32_iu8 v124, v30, v10 /*v266*/, v29 neg_lo:[1,1,0]
	s_set_vgpr_msb 0                        ;  msbs: dst=0 src0=0 src1=0 src2=0
	v_add_nc_u32_e32 v29, s12, v222
	ds_load_2addr_b32 v[132:133], v29 offset0:6 offset1:7
	ds_load_2addr_b32 v[138:139], v29 offset0:4 offset1:5
	;; [unrolled: 1-line block ×3, first 2 shown]
	ds_load_2addr_b32 v[136:137], v29 offset1:1
	ds_load_u16 v129, v29 offset:48
	ds_load_b96 v[32:34], v29 offset:50
	ds_load_u16 v130, v29 offset:62
	v_ashrrev_i32_e32 v149, 24, v9
	s_wait_dscnt 0x2
	v_lshrrev_b16 v131, 8, v129
	s_wait_dscnt 0x1
	v_ashrrev_i32_e32 v143, 24, v32
	v_lshrrev_b16 v31, 8, v32
	v_bfe_i32 v142, v34, 8, 8
	v_bfe_i32 v151, v34, 0, 8
	;; [unrolled: 1-line block ×3, first 2 shown]
	v_ashrrev_i32_e32 v125, 24, v33
	v_bfe_i32 v144, v32, 16, 8
	v_bfe_i32 v31, v31, 0, 8
	v_bfe_i32 v145, v32, 0, 8
	v_mul_i32_i24_e32 v20, v131, v20
	v_bfe_i32 v131, v129, 0, 8
	v_bfe_i32 v152, v33, 16, 8
	;; [unrolled: 1-line block ×3, first 2 shown]
	v_mul_i32_i24_e32 v147, v151, v147
	v_mul_i32_i24_e32 v142, v142, v146
	;; [unrolled: 1-line block ×3, first 2 shown]
	v_bfe_i32 v131, v9, 8, 8
	v_ashrrev_i32_e32 v146, 24, v34
	v_mul_i32_i24_e32 v145, v145, v164
	v_mul_i32_i24_e32 v31, v31, v141
	v_bfe_i32 v141, v33, 0, 8
	v_mul_i32_i24_e32 v149, v153, v149
	v_mul_i32_i24_e32 v148, v152, v148
	;; [unrolled: 1-line block ×3, first 2 shown]
	v_mad_i32_i24 v140, v144, v140, v147
	v_mad_i32_i24 v131, v143, v131, v142
	ds_load_2addr_b32 v[142:143], v29 offset0:8 offset1:9
	v_mad_i32_i24 v21, v125, v126, v21
	v_mad_i32_i24 v22, v141, v22, v23
	v_lshrrev_b16 v30, 8, v139
	v_add3_u32 v31, v31, v148, v131
	v_add3_u32 v131, v145, v149, v140
	ds_load_2addr_b32 v[140:141], v29 offset0:10 offset1:11
	v_ashrrev_i32_e32 v23, 24, v138
	v_perm_b32 v29, v177, v0, 0x6040503
	v_bfe_i32 v30, v30, 0, 8
	v_add3_u32 v20, v131, v31, v20
	v_perm_b32 v31, v1, v176, 0x6040503
	v_bfe_i32 v125, v139, 0, 8
	v_ashrrev_i32_e32 v144, 24, v2
	v_mul_i32_i24_e32 v19, v30, v19
	v_add3_u32 v131, v20, v21, v22
	v_bfe_i32 v22, v138, 0, 8
	v_dot4_i32_iu8 v12, v31, v29, v12 neg_lo:[1,1,0]
	v_bfe_i32 v30, v3, 8, 8
	v_bfe_i32 v29, v139, 16, 8
	s_wait_dscnt 0x1
	v_perm_b32 v21, v142, v142, 0xc0c0001
	v_mul_i32_i24_e32 v22, v22, v26
	v_ashrrev_i32_e32 v26, 24, v1
	v_mul_i32_i24_e32 v23, v23, v27
	v_bfe_i32 v27, v1, 0, 8
	s_set_vgpr_msb 1                        ;  msbs: dst=0 src0=1 src1=0 src2=0
	v_dot4_i32_iu8 v151, v11 /*v267*/, v255, v12 neg_lo:[1,1,0]
	s_wait_dscnt 0x0
	s_set_vgpr_msb 0                        ;  msbs: dst=0 src0=0 src1=0 src2=0
	v_bfe_i32 v20, v140, 8, 8
	v_perm_b32 v146, v140, v140, 0xc030200
	v_bfe_i32 v12, v133, 8, 8
	v_mul_i32_i24_e32 v27, v125, v27
	v_bfe_i32 v125, v3, 0, 8
	v_mul_i32_i24_e32 v20, v20, v229
	v_ashrrev_i32_e32 v31, 24, v139
	v_bfe_i32 v145, v2, 16, 8
	v_bfe_i32 v147, v132, 16, 8
	v_mul_i32_i24_e32 v12, v12, v30
	v_dot4_i32_iu8 v20, v236, v21, v20 neg_lo:[1,1,0]
	v_perm_b32 v21, v142, v142, 0xc0c0302
	v_perm_b32 v2, v2, v0, 0xc0c0402
	v_mul_i32_i24_e32 v145, v147, v145
	v_mad_i32_i24 v12, v31, v26, v12
	v_ashrrev_i32_e32 v228, 24, v136
	v_dot4_i32_iu8 v20, v238, v21, v20 neg_lo:[1,1,0]
	v_perm_b32 v21, v143, v143, 0xc0c0001
	v_perm_b32 v249, v32, v129, 0x400010c
	v_bfe_i32 v163, v136, 8, 8
	v_perm_b32 v232, v139, v138, 0x6040503
	v_perm_b32 v233, v132, v139, 0x7060403
	v_dot4_i32_iu8 v20, v239, v21, v20 neg_lo:[1,1,0]
	v_perm_b32 v21, v143, v143, 0xc0c0302
	v_perm_b32 v250, v33, v32, 0x4020301
	v_perm_b32 v251, v34, v33, 0x5040201
	v_perm_b32 v231, v143, v142, 0x6040503
	v_lshrrev_b16 v128, 8, v137
	v_dot4_i32_iu8 v13, v13, v21, v20 neg_lo:[1,1,0]
	v_bfe_i32 v21, v138, 8, 8
	v_bfe_i32 v20, v132, 8, 8
	;; [unrolled: 1-line block ×3, first 2 shown]
	s_set_vgpr_msb 64                       ;  msbs: dst=1 src0=0 src1=0 src2=0
	v_bfe_i32 v26 /*v282*/, v135, 0, 8
	s_set_vgpr_msb 0                        ;  msbs: dst=0 src0=0 src1=0 src2=0
	v_dot4_i32_iu8 v14, v146, v14, v13 neg_lo:[1,1,0]
	v_bfe_i32 v13, v133, 0, 8
	v_mul_i32_i24_e32 v21, v21, v25
	v_bfe_i32 v25, v1, 16, 8
	v_ashrrev_i32_e32 v146, 24, v132
	s_set_vgpr_msb 64                       ;  msbs: dst=1 src0=0 src1=0 src2=0
	v_bfe_i32 v28 /*v284*/, v134, 16, 8
	s_set_vgpr_msb 0                        ;  msbs: dst=0 src0=0 src1=0 src2=0
	v_mul_i32_i24_e32 v13, v13, v125
	v_bfe_i32 v162, v134, 8, 8
	v_dot4_i32_iu8 v14, v141, v15, v14 neg_lo:[1,1,0]
	v_mul_i32_i24_e32 v144, v146, v144
	s_delay_alu instid0(VALU_DEP_4) | instskip(NEXT) | instid1(VALU_DEP_2)
	v_mad_i32_i24 v13, v29, v25, v13
	v_add3_u32 v12, v19, v144, v12
	v_perm_b32 v19, v132, v138, 0xc0c0402
	s_delay_alu instid0(VALU_DEP_3) | instskip(NEXT) | instid1(VALU_DEP_2)
	v_add3_u32 v13, v27, v145, v13
	v_dot4_i32_iu8 v2, v19, v2, v23 neg_lo:[1,1,0]
	s_delay_alu instid0(VALU_DEP_2) | instskip(SKIP_1) | instid1(VALU_DEP_1)
	v_add3_u32 v12, v13, v12, v22
	v_mad_i32_i24 v13, v20, v24, v21
	v_add3_u32 v2, v12, v13, v2
	v_perm_b32 v12, v136, v134, 0x6050401
	v_perm_b32 v13, v4, v6, 0x6050401
	s_delay_alu instid0(VALU_DEP_1) | instskip(SKIP_1) | instid1(VALU_DEP_1)
	v_dot4_i32_iu8 v237, v12, v13, 0 neg_lo:[1,1,0]
	v_or_b32_e32 v12, s5, v207
	v_dual_lshlrev_b32 v30, 2, v12 :: v_dual_lshrrev_b32 v31, 1, v12
	ds_load_b64 v[12:13], v18 offset:43584
	ds_load_b32 v18, v28
	s_wait_dscnt 0x0
	s_set_vgpr_msb 64                       ;  msbs: dst=1 src0=0 src1=0 src2=0
	v_bfe_i32 v0 /*v256*/, v18, 0, 8
	v_bfe_i32 v1 /*v257*/, v18, 8, 8
	s_set_vgpr_msb 0                        ;  msbs: dst=0 src0=0 src1=0 src2=0
	v_bfe_i32 v247, v18, 16, 8
	v_ashrrev_i32_e32 v248, 24, v18
	ds_load_2addr_b32 v[144:145], v160 offset0:6 offset1:7
	ds_load_2addr_b32 v[148:149], v160 offset0:4 offset1:5
	;; [unrolled: 1-line block ×3, first 2 shown]
	ds_load_b128 v[18:21], v30 offset:33280
	ds_load_b128 v[22:25], v30 offset:33296
	;; [unrolled: 1-line block ×3, first 2 shown]
	s_set_vgpr_msb 64                       ;  msbs: dst=1 src0=0 src1=0 src2=0
	ds_load_b128 v[6:9] /*v[262:265]*/, v30 offset:33328
	s_set_vgpr_msb 0                        ;  msbs: dst=0 src0=0 src1=0 src2=0
	ds_load_b64 v[30:31], v31 offset:43584
	ds_load_2addr_b32 v[154:155], v160 offset1:1
	ds_load_2addr_b32 v[158:159], v160 offset0:13 offset1:14
	ds_load_2addr_b32 v[156:157], v160 offset0:8 offset1:15
	s_wait_dscnt 0x7
	s_set_vgpr_msb 64                       ;  msbs: dst=1 src0=0 src1=0 src2=0
	v_dual_ashrrev_i32 v27 /*v283*/, 24, v134 :: v_dual_ashrrev_i32 v31 /*v287*/, 24, v20
	s_wait_dscnt 0x6
	s_set_vgpr_msb 0                        ;  msbs: dst=0 src0=0 src1=0 src2=0
	v_perm_b32 v153, v23, v176, 0x6040503
	s_wait_dscnt 0x5
	v_perm_b32 v152, v27, v172, 0x6040503
	s_wait_dscnt 0x4
	s_set_vgpr_msb 5                        ;  msbs: dst=0 src0=1 src1=1 src2=0
	v_perm_b32 v17, v6 /*v262*/, v8 /*v264*/, 0x6040501
	v_perm_b32 v171, v7 /*v263*/, v6 /*v262*/, 0x6040503
	s_set_vgpr_msb 0x45                     ;  msbs: dst=1 src0=1 src1=1 src2=0
	v_perm_b32 v15 /*v271*/, v8 /*v264*/, v7 /*v263*/, 0x7060403
	s_set_vgpr_msb 64                       ;  msbs: dst=1 src0=0 src1=0 src2=0
	v_perm_b32 v16 /*v272*/, v28, v27, 0x7060403
	s_set_vgpr_msb 0                        ;  msbs: dst=0 src0=0 src1=0 src2=0
	v_perm_b32 v246, v24, v23, 0x7060403
	s_set_vgpr_msb 4                        ;  msbs: dst=0 src0=0 src1=1 src2=0
	v_dot4_i32_iu8 v17, v17, v2 /*v258*/, 0 neg_lo:[1,1,0]
	s_set_vgpr_msb 0                        ;  msbs: dst=0 src0=0 src1=0 src2=0
	v_ashrrev_i32_e32 v245, 24, v18
	v_bfe_i32 v234, v18, 8, 8
	v_lshrrev_b16 v242, 8, v19
	v_bfe_i32 v244, v18, 0, 8
	s_set_vgpr_msb 4                        ;  msbs: dst=0 src0=0 src1=1 src2=0
	v_dot4_i32_iu8 v16, v171, v3 /*v259*/, v17 neg_lo:[1,1,0]
	s_set_vgpr_msb 0                        ;  msbs: dst=0 src0=0 src1=0 src2=0
	v_perm_b32 v17, v172, v28, 0x6040501
	v_mul_i32_i24_e32 v139, v234, v163
	v_mul_i32_i24_e32 v163, v228, v245
	v_perm_b32 v234, v137, v136, 0x6040503
	s_set_vgpr_msb 1                        ;  msbs: dst=0 src0=1 src1=0 src2=0
	v_dot4_i32_iu8 v16, v15 /*v271*/, v254, v16 neg_lo:[1,1,0]
	s_set_vgpr_msb 64                       ;  msbs: dst=1 src0=0 src1=0 src2=0
	v_perm_b32 v25 /*v281*/, v19, v174, 0x6040503
	v_bfe_i32 v29 /*v285*/, v21, 8, 8
	v_bfe_i32 v30 /*v286*/, v21, 0, 8
	s_set_vgpr_msb 0                        ;  msbs: dst=0 src0=0 src1=0 src2=0
	v_ashrrev_i32_e32 v245, 24, v19
	s_set_vgpr_msb 4                        ;  msbs: dst=0 src0=0 src1=1 src2=0
	v_dot4_i32_iu8 v125, v173, v9 /*v265*/, v16 neg_lo:[1,1,0]
	s_set_vgpr_msb 0                        ;  msbs: dst=0 src0=0 src1=0 src2=0
	v_perm_b32 v16, v26, v179, 0x6040501
	s_set_vgpr_msb 64                       ;  msbs: dst=1 src0=0 src1=0 src2=0
	v_bfe_i32 v32 /*v288*/, v20, 16, 8
	s_set_vgpr_msb 0                        ;  msbs: dst=0 src0=0 src1=0 src2=0
	v_bfe_i32 v243, v20, 8, 8
	v_ashrrev_i32_e32 v228, 24, v137
	v_dot4_i32_iu8 v16, v17, v16, 0 neg_lo:[1,1,0]
	v_perm_b32 v17, v178, v26, 0x6040503
	s_delay_alu instid0(VALU_DEP_1) | instskip(SKIP_3) | instid1(VALU_DEP_1)
	v_dot4_i32_iu8 v16, v152, v17, v16 neg_lo:[1,1,0]
	v_perm_b32 v17, v178, v178, 0xc0c0c03
	v_perm_b32 v152, v179, v179, 0x706000c
	s_set_vgpr_msb 64                       ;  msbs: dst=1 src0=0 src1=0 src2=0
	v_dual_add_nc_u32 v14 /*v270*/, s12, v224 :: v_dual_bitop2_b32 v4 /*v260*/, v152, v17 bitop3:0x54
	s_set_vgpr_msb 0                        ;  msbs: dst=0 src0=0 src1=0 src2=0
	v_perm_b32 v17, v176, v24, 0x6050401
	s_set_vgpr_msb 5                        ;  msbs: dst=0 src0=1 src1=1 src2=0
	s_delay_alu instid0(VALU_DEP_2) | instskip(SKIP_1) | instid1(VALU_DEP_1)
	v_dot4_i32_iu8 v16, v4 /*v260*/, v16 /*v272*/, v16 neg_lo:[1,1,0]
	s_set_vgpr_msb 0                        ;  msbs: dst=0 src0=0 src1=0 src2=0
	v_dot4_i32_iu8 v152, v29, v170, v16 neg_lo:[1,1,0]
	v_perm_b32 v16, v22, v166, 0x6050401
	s_delay_alu instid0(VALU_DEP_1) | instskip(SKIP_1) | instid1(VALU_DEP_1)
	v_dot4_i32_iu8 v16, v17, v16, 0 neg_lo:[1,1,0]
	v_perm_b32 v17, v177, v22, 0x6040503
	v_dot4_i32_iu8 v16, v153, v17, v16 neg_lo:[1,1,0]
	v_dot4_i32_iu8 v17, v7, v169, v124 neg_lo:[1,1,0]
	s_delay_alu instid0(VALU_DEP_2) | instskip(SKIP_1) | instid1(VALU_DEP_2)
	v_dot4_i32_iu8 v16, v246, v255, v16 neg_lo:[1,1,0]
	s_set_vgpr_msb 0x44                     ;  msbs: dst=1 src0=0 src1=1 src2=0
	v_mul_lo_u32 v18 /*v274*/, v17, v0 /*v256*/
	s_set_vgpr_msb 0                        ;  msbs: dst=0 src0=0 src1=0 src2=0
	v_perm_b32 v17, v174, v20, 0x6050401
	v_dot4_i32_iu8 v16, v25, v167, v16 neg_lo:[1,1,0]
	s_set_vgpr_msb 0x44                     ;  msbs: dst=1 src0=0 src1=1 src2=0
	s_delay_alu instid0(VALU_DEP_1) | instskip(SKIP_3) | instid1(VALU_DEP_1)
	v_mul_lo_u32 v17 /*v273*/, v16, v1 /*v257*/
	s_set_vgpr_msb 0                        ;  msbs: dst=0 src0=0 src1=0 src2=0
	v_perm_b32 v16, v18, v168, 0x6050401
	s_set_vgpr_msb 64                       ;  msbs: dst=1 src0=0 src1=0 src2=0
	v_dot4_i32_iu8 v19 /*v275*/, v17, v16, 0 neg_lo:[1,1,0]
	s_wait_dscnt 0x3
	s_set_vgpr_msb 0                        ;  msbs: dst=0 src0=0 src1=0 src2=0
	v_dual_mov_b32 v16, v30 :: v_dual_mov_b32 v17, v12
	v_mul_lo_u32 v12, v125, v248
	v_mul_lo_u32 v30, v35, v247
	s_delay_alu instid0(VALU_DEP_2)
	v_mad_u32 v12, v152, v247, v12
	ds_load_2addr_b32 v[152:153], v160 offset0:11 offset1:12
	v_mad_u32 v30, v150, v248, v30
	ds_load_2addr_b32 v[160:161], v160 offset0:9 offset1:10
	v_mul_i32_i24_e32 v150, v244, v165
	v_bfe_i32 v165, v137, 16, 8
	v_bfe_i32 v244, v19, 16, 8
	v_cvt_f32_i32_e32 v124, v12
	v_mov_b32_e32 v12, v31
	v_cvt_f32_i32_e32 v125, v30
	s_wait_dscnt 0x3
	v_bfe_i32 v30, v159, 8, 8
	s_delay_alu instid0(VALU_DEP_1) | instskip(SKIP_4) | instid1(VALU_DEP_2)
	v_mul_i32_i24_e32 v30, v30, v126
	s_wait_dscnt 0x1
	v_perm_b32 v35, v153, v153, 0xc0c0001
	v_bfe_i32 v31, v153, 16, 8
	s_set_vgpr_msb 1                        ;  msbs: dst=0 src0=1 src1=0 src2=0
	v_dot4_i32_iu8 v30, v20 /*v276*/, v35, v30 neg_lo:[1,1,0]
	s_set_vgpr_msb 0                        ;  msbs: dst=0 src0=0 src1=0 src2=0
	v_perm_b32 v35, v158, v8, 0x6040503
	s_delay_alu instid0(VALU_DEP_2) | instskip(SKIP_1) | instid1(VALU_DEP_1)
	v_mad_i32_i24 v30, v164, v31, v30
	v_perm_b32 v31, v9, v153, 0x6040503
	v_dot4_i32_iu8 v30, v35, v31, v30 neg_lo:[1,1,0]
	v_perm_b32 v31, v158, v158, 0xc0c0c03
	v_perm_b32 v35, v159, v159, 0x706000c
	s_delay_alu instid0(VALU_DEP_1)
	v_or_b32_e32 v227, v35, v31
	v_perm_b32 v35, v156, v156, 0xc0c0001
	s_wait_dscnt 0x0
	v_bfe_i32 v31, v160, 16, 8
	s_set_vgpr_msb 64                       ;  msbs: dst=1 src0=0 src1=0 src2=0
	v_dot4_i32_iu8 v21 /*v277*/, v10, v227, v30 neg_lo:[1,1,0]
	s_set_vgpr_msb 0                        ;  msbs: dst=0 src0=0 src1=0 src2=0
	v_bfe_i32 v30, v161, 8, 8
	s_delay_alu instid0(VALU_DEP_1) | instskip(NEXT) | instid1(VALU_DEP_1)
	v_mul_i32_i24_e32 v30, v30, v229
	v_dot4_i32_iu8 v30, v236, v35, v30 neg_lo:[1,1,0]
	v_perm_b32 v35, v156, v156, 0xc0c0302
	s_delay_alu instid0(VALU_DEP_1) | instskip(SKIP_1) | instid1(VALU_DEP_1)
	v_dot4_i32_iu8 v30, v238, v35, v30 neg_lo:[1,1,0]
	v_perm_b32 v35, v160, v160, 0xc0c0001
	v_dot4_i32_iu8 v30, v239, v35, v30 neg_lo:[1,1,0]
	v_perm_b32 v35, v1, v148, 0x6040503
	s_delay_alu instid0(VALU_DEP_2) | instskip(SKIP_1) | instid1(VALU_DEP_1)
	v_mad_i32_i24 v30, v31, v230, v30
	v_perm_b32 v31, v161, v160, 0xc0c0403
	v_dot4_i32_iu8 v30, v240, v31, v30 neg_lo:[1,1,0]
	v_perm_b32 v31, v161, v161, 0xc0c0302
	s_set_vgpr_msb 64                       ;  msbs: dst=1 src0=0 src1=0 src2=0
	s_delay_alu instid0(VALU_DEP_1) | instskip(SKIP_3) | instid1(VALU_DEP_2)
	v_dot4_i32_iu8 v22 /*v278*/, v241, v31, v30 neg_lo:[1,1,0]
	s_set_vgpr_msb 0                        ;  msbs: dst=0 src0=0 src1=0 src2=0
	v_perm_b32 v30, v148, v144, 0x6050401
	v_perm_b32 v31, v149, v0, 0x6040503
	v_dot4_i32_iu8 v30, v30, v252, 0 neg_lo:[1,1,0]
	s_delay_alu instid0(VALU_DEP_1) | instskip(SKIP_3) | instid1(VALU_DEP_2)
	v_dot4_i32_iu8 v30, v35, v31, v30 neg_lo:[1,1,0]
	v_perm_b32 v31, v144, v149, 0x7060403
	v_perm_b32 v35, v28, v143, 0x7060403
	s_set_vgpr_msb 0x41                     ;  msbs: dst=1 src0=1 src1=0 src2=0
	v_dot4_i32_iu8 v23 /*v279*/, v11 /*v267*/, v31, v30 neg_lo:[1,1,0]
	s_set_vgpr_msb 0                        ;  msbs: dst=0 src0=0 src1=0 src2=0
	v_bfe_i32 v30, v146, 8, 8
	v_perm_b32 v31, v155, v155, 0xc0c0001
	s_delay_alu instid0(VALU_DEP_2) | instskip(NEXT) | instid1(VALU_DEP_1)
	v_mul_i32_i24_e32 v30, v30, v235
	v_dot4_i32_iu8 v30, v154, v4, v30 neg_lo:[1,1,0]
	s_delay_alu instid0(VALU_DEP_1) | instskip(SKIP_2) | instid1(VALU_DEP_1)
	v_dot4_i32_iu8 v30, v253, v31, v30 neg_lo:[1,1,0]
	v_perm_b32 v31, v155, v155, 0xc0c0302
	s_set_vgpr_msb 1                        ;  msbs: dst=0 src0=1 src1=0 src2=0
	v_dot4_i32_iu8 v30, v5 /*v261*/, v31, v30 neg_lo:[1,1,0]
	s_set_vgpr_msb 0                        ;  msbs: dst=0 src0=0 src1=0 src2=0
	v_perm_b32 v31, v146, v146, 0xc030200
	s_set_vgpr_msb 0x44                     ;  msbs: dst=1 src0=0 src1=1 src2=0
	s_delay_alu instid0(VALU_DEP_1)
	v_dot4_i32_iu8 v24 /*v280*/, v31, v10 /*v266*/, v30 neg_lo:[1,1,0]
	s_set_vgpr_msb 5                        ;  msbs: dst=0 src0=1 src1=1 src2=0
	v_perm_b32 v31, v8 /*v264*/, v8 /*v264*/, 0xc0c0c01
	s_set_vgpr_msb 1                        ;  msbs: dst=0 src0=1 src1=0 src2=0
	v_perm_b32 v30, v6 /*v262*/, v33, 0x6040503
	s_set_vgpr_msb 0                        ;  msbs: dst=0 src0=0 src1=0 src2=0
	s_delay_alu instid0(VALU_DEP_2) | instskip(NEXT) | instid1(VALU_DEP_1)
	v_or_b32_e32 v31, v249, v31
	v_dot4_i32_iu8 v30, v31, v30, 0 neg_lo:[1,1,0]
	v_perm_b32 v31, v142, v28, 0x6040501
	s_delay_alu instid0(VALU_DEP_2) | instskip(SKIP_2) | instid1(VALU_DEP_2)
	v_dot4_i32_iu8 v30, v171, v250, v30 neg_lo:[1,1,0]
	v_perm_b32 v171, v23, v22, 0x6040503
	s_set_vgpr_msb 4                        ;  msbs: dst=0 src0=0 src1=1 src2=0
	v_dot4_i32_iu8 v32, v251, v15 /*v271*/, v30 neg_lo:[1,1,0]
	s_set_vgpr_msb 0                        ;  msbs: dst=0 src0=0 src1=0 src2=0
	v_perm_b32 v30, v26, v140, 0x6040501
	s_delay_alu instid0(VALU_DEP_1) | instskip(SKIP_1) | instid1(VALU_DEP_1)
	v_dot4_i32_iu8 v30, v31, v30, 0 neg_lo:[1,1,0]
	v_perm_b32 v31, v27, v26, 0x6040503
	v_dot4_i32_iu8 v30, v231, v31, v30 neg_lo:[1,1,0]
	v_perm_b32 v31, v140, v27, 0x7060403
	s_delay_alu instid0(VALU_DEP_1) | instskip(SKIP_2) | instid1(VALU_DEP_3)
	v_dot4_i32_iu8 v35, v35, v31, v30 neg_lo:[1,1,0]
	v_perm_b32 v30, v22, v132, 0x6050401
	v_perm_b32 v31, v138, v24, 0x6050401
	v_dot4_i32_iu8 v35, v29, v141, v35 neg_lo:[1,1,0]
	s_delay_alu instid0(VALU_DEP_2) | instskip(SKIP_1) | instid1(VALU_DEP_2)
	v_dot4_i32_iu8 v30, v31, v30, 0 neg_lo:[1,1,0]
	v_bfe_i32 v31, v137, 0, 8
	v_dot4_i32_iu8 v30, v232, v171, v30 neg_lo:[1,1,0]
	s_delay_alu instid0(VALU_DEP_1)
	v_dot4_i32_iu8 v129, v233, v246, v30 neg_lo:[1,1,0]
	v_bfe_i32 v30, v128, 0, 8
	v_perm_b32 v128, v5, v4, 0x6040503
	v_perm_b32 v246, v175, v18, 0x6040503
	;; [unrolled: 1-line block ×4, first 2 shown]
	s_delay_alu instid0(VALU_DEP_4)
	v_dot4_i32_iu8 v128, v234, v128, v237 neg_lo:[1,1,0]
	v_bfe_i32 v237, v242, 0, 8
	s_set_vgpr_msb 17                       ;  msbs: dst=0 src0=1 src1=0 src2=1
	v_dot4_i32_iu8 v246, v25 /*v281*/, v246, v19 /*v275*/ neg_lo:[1,1,0]
	s_set_vgpr_msb 0                        ;  msbs: dst=0 src0=0 src1=0 src2=0
	v_bfe_i32 v242, v19, 0, 8
	s_set_vgpr_msb 64                       ;  msbs: dst=1 src0=0 src1=0 src2=0
	v_bfe_i32 v25 /*v281*/, v135, 8, 8
	v_mul_i32_i24_e32 v19 /*v275*/, v237, v30
	s_set_vgpr_msb 0                        ;  msbs: dst=0 src0=0 src1=0 src2=0
	v_perm_b32 v237, v134, v137, 0x7060403
	v_perm_b32 v137, v20, v19, 0x7060403
	v_dot4_i32_iu8 v30, v3, v167, v151 neg_lo:[1,1,0]
	v_mul_i32_i24_e32 v242, v242, v31
	s_delay_alu instid0(VALU_DEP_4) | instskip(NEXT) | instid1(VALU_DEP_4)
	v_dot4_i32_iu8 v5, v237, v5, v128 neg_lo:[1,1,0]
	v_dot4_i32_iu8 v6, v137, v6, v246 neg_lo:[1,1,0]
	s_set_vgpr_msb 20                       ;  msbs: dst=0 src0=0 src1=1 src2=1
	v_mad_u32 v30, v30, v1 /*v257*/, v18 /*v274*/
	s_set_vgpr_msb 0                        ;  msbs: dst=0 src0=0 src1=0 src2=0
	v_perm_b32 v246, v130, v34, 0x5040203
	v_dot4_i32_iu8 v5, v7, v135, v5 neg_lo:[1,1,0]
	v_dot4_i32_iu8 v6, v21, v169, v6 neg_lo:[1,1,0]
	s_set_vgpr_msb 20                       ;  msbs: dst=0 src0=0 src1=1 src2=1
	s_delay_alu instid0(VALU_DEP_1) | instskip(SKIP_1) | instid1(VALU_DEP_2)
	v_mad_u32 v6, v6, v0 /*v256*/, v17 /*v273*/
	v_cvt_f32_i32_e32 v31, v30
	v_cvt_f32_i32_e32 v30, v6
	s_set_vgpr_msb 5                        ;  msbs: dst=0 src0=1 src1=1 src2=0
	v_mul_i32_i24_e32 v6, v32 /*v288*/, v28 /*v284*/
	s_set_vgpr_msb 0                        ;  msbs: dst=0 src0=0 src1=0 src2=0
	s_delay_alu instid0(VALU_DEP_2) | instskip(NEXT) | instid1(VALU_DEP_1)
	v_pk_fma_f32 v[30:31], v[16:17], v[30:31], 0 op_sel_hi:[1,1,0]
	v_pk_fma_f32 v[30:31], v[12:13], v[124:125], v[30:31]
	s_set_vgpr_msb 5                        ;  msbs: dst=0 src0=1 src1=1 src2=0
	v_mul_i32_i24_e32 v124, v29 /*v285*/, v25 /*v281*/
	s_set_vgpr_msb 0                        ;  msbs: dst=0 src0=0 src1=0 src2=0
	s_delay_alu instid0(VALU_DEP_2)
	v_pk_fma_f32 v[96:97], v[116:117], v[30:31], v[96:97]
	s_set_vgpr_msb 5                        ;  msbs: dst=0 src0=1 src1=1 src2=0
	v_mul_i32_i24_e32 v31, v30 /*v286*/, v26 /*v282*/
	v_mul_i32_i24_e32 v30, v31 /*v287*/, v27 /*v283*/
	s_set_vgpr_msb 0                        ;  msbs: dst=0 src0=0 src1=0 src2=0
	v_mad_i32_i24 v124, v245, v228, v124
	s_delay_alu instid0(VALU_DEP_3) | instskip(SKIP_1) | instid1(VALU_DEP_2)
	v_mad_i32_i24 v31, v244, v165, v31
	s_set_vgpr_msb 1                        ;  msbs: dst=0 src0=1 src1=0 src2=0
	v_add3_u32 v30, v19 /*v275*/, v30, v124
	s_set_vgpr_msb 0                        ;  msbs: dst=0 src0=0 src1=0 src2=0
	v_perm_b32 v124, v20, v136, 0xc0c0402
	v_add3_u32 v6, v242, v6, v31
	v_perm_b32 v31, v134, v18, 0xc0c0402
	s_delay_alu instid0(VALU_DEP_2) | instskip(SKIP_1) | instid1(VALU_DEP_3)
	v_add3_u32 v6, v6, v30, v150
	v_mad_i32_i24 v30, v243, v162, v139
	v_dot4_i32_iu8 v31, v124, v31, v163 neg_lo:[1,1,0]
	v_perm_b32 v124, v3, v3, 0xc0c0302
	s_delay_alu instid0(VALU_DEP_2)
	v_add3_u32 v6, v6, v30, v31
	ds_load_b32 v30, v127
	v_perm_b32 v31, v11, v11, 0xc030200
	s_wait_dscnt 0x0
	v_bfe_i32 v244, v30, 8, 8
	v_bfe_i32 v245, v30, 0, 8
	v_bfe_i32 v242, v30, 16, 8
	v_ashrrev_i32_e32 v243, 24, v30
	s_set_vgpr_msb 5                        ;  msbs: dst=0 src0=1 src1=1 src2=0
	v_perm_b32 v30, v9 /*v265*/, v9 /*v265*/, 0x3020001
	s_set_vgpr_msb 0                        ;  msbs: dst=0 src0=0 src1=0 src2=0
	v_mul_lo_u32 v5, v5, v245
	s_delay_alu instid0(VALU_DEP_2) | instskip(SKIP_1) | instid1(VALU_DEP_1)
	v_dot4_i32_iu8 v32, v246, v30, v32 neg_lo:[1,1,0]
	v_perm_b32 v30, v130, v34, 0xc050402
	v_dot4_i32_iu8 v34, v31, v30, v131 neg_lo:[1,1,0]
	v_perm_b32 v31, v133, v133, 0xc0c0302
	v_dot4_i32_iu8 v30, v25, v133, v129 neg_lo:[1,1,0]
	s_delay_alu instid0(VALU_DEP_2) | instskip(NEXT) | instid1(VALU_DEP_2)
	v_dot4_i32_iu8 v2, v124, v31, v2 neg_lo:[1,1,0]
	v_mul_lo_u32 v30, v30, v244
	v_perm_b32 v31, v135, v135, 0xc0c0302
	v_perm_b32 v124, v21, v21, 0xc0c0302
	s_delay_alu instid0(VALU_DEP_4) | instskip(SKIP_2) | instid1(VALU_DEP_4)
	v_mad_u32 v2, v2, v244, v5
	v_mul_lo_u32 v5, v14, v242
	v_perm_b32 v14, v19, v154, 0x6040503
	v_dot4_i32_iu8 v6, v124, v31, v6 neg_lo:[1,1,0]
	s_delay_alu instid0(VALU_DEP_1) | instskip(SKIP_3) | instid1(VALU_DEP_4)
	v_mad_u32 v6, v6, v245, v30
	v_cvt_f32_i32_e32 v31, v2
	v_mul_lo_u32 v2, v32, v243
	v_mad_u32 v5, v34, v243, v5
	v_cvt_f32_i32_e32 v30, v6
	s_delay_alu instid0(VALU_DEP_3) | instskip(NEXT) | instid1(VALU_DEP_2)
	v_mad_u32 v2, v35, v242, v2
	v_pk_fma_f32 v[30:31], v[16:17], v[30:31], 0 op_sel_hi:[1,1,0]
	s_delay_alu instid0(VALU_DEP_4) | instskip(NEXT) | instid1(VALU_DEP_3)
	v_cvt_f32_i32_e32 v35, v5
	v_cvt_f32_i32_e32 v34, v2
	s_delay_alu instid0(VALU_DEP_1)
	v_pk_fma_f32 v[30:31], v[12:13], v[34:35], v[30:31]
	s_set_vgpr_msb 1                        ;  msbs: dst=0 src0=1 src1=0 src2=0
	ds_load_2addr_b32 v[34:35], v14 /*v270*/ offset0:6 offset1:7
	ds_load_2addr_b32 v[150:151], v14 /*v270*/ offset0:4 offset1:5
	;; [unrolled: 1-line block ×3, first 2 shown]
	ds_load_2addr_b32 v[130:131], v14 /*v270*/ offset1:1
	ds_load_2addr_b32 v[162:163], v14 /*v270*/ offset0:13 offset1:14
	ds_load_2addr_b32 v[128:129], v14 /*v270*/ offset0:8 offset1:15
	s_set_vgpr_msb 0                        ;  msbs: dst=0 src0=0 src1=0 src2=0
	v_pk_fma_f32 v[104:105], v[118:119], v[30:31], v[104:105]
	s_set_vgpr_msb 16                       ;  msbs: dst=0 src0=0 src1=0 src2=1
	v_dot4_i32_iu8 v30, v11, v157, v21 /*v277*/ neg_lo:[1,1,0]
	s_wait_dscnt 0x4
	v_perm_b32 v0, v151, v0, 0x6040503
	v_perm_b32 v1, v1, v150, 0x6040503
	s_wait_dscnt 0x1
	v_bfe_i32 v2, v163, 8, 8
	s_delay_alu instid0(VALU_DEP_1)
	v_mul_i32_i24_e32 v2, v2, v126
	s_set_vgpr_msb 1                        ;  msbs: dst=0 src0=1 src1=0 src2=0
	ds_load_2addr_b32 v[126:127], v14 /*v270*/ offset0:11 offset1:12
	s_wait_dscnt 0x0
	s_set_vgpr_msb 0                        ;  msbs: dst=0 src0=0 src1=0 src2=0
	v_perm_b32 v6, v127, v127, 0xc0c0001
	v_bfe_i32 v5, v127, 16, 8
	s_set_vgpr_msb 1                        ;  msbs: dst=0 src0=1 src1=0 src2=0
	s_delay_alu instid0(VALU_DEP_2) | instskip(SKIP_3) | instid1(VALU_DEP_3)
	v_dot4_i32_iu8 v2, v20 /*v276*/, v6, v2 neg_lo:[1,1,0]
	s_set_vgpr_msb 0                        ;  msbs: dst=0 src0=0 src1=0 src2=0
	v_perm_b32 v6, v162, v8, 0x6040503
	v_perm_b32 v8, v128, v128, 0xc0c0001
	v_mad_i32_i24 v2, v164, v5, v2
	s_set_vgpr_msb 1                        ;  msbs: dst=0 src0=1 src1=0 src2=0
	ds_load_2addr_b32 v[164:165], v14 /*v270*/ offset0:9 offset1:10
	s_set_vgpr_msb 0                        ;  msbs: dst=0 src0=0 src1=0 src2=0
	v_perm_b32 v5, v9, v127, 0x6040503
	s_delay_alu instid0(VALU_DEP_1) | instskip(SKIP_2) | instid1(VALU_DEP_1)
	v_dot4_i32_iu8 v2, v6, v5, v2 neg_lo:[1,1,0]
	v_perm_b32 v5, v162, v162, 0xc0c0c03
	v_perm_b32 v6, v163, v163, 0x706000c
	v_or_b32_e32 v228, v6, v5
	s_delay_alu instid0(VALU_DEP_1)
	v_dot4_i32_iu8 v2, v10, v228, v2 neg_lo:[1,1,0]
	v_perm_b32 v10, v24, v149, 0x7060403
	s_wait_dscnt 0x0
	v_bfe_i32 v5, v165, 8, 8
	v_bfe_i32 v6, v164, 16, 8
	v_dot4_i32_iu8 v2, v11, v129, v2 neg_lo:[1,1,0]
	s_delay_alu instid0(VALU_DEP_3) | instskip(SKIP_1) | instid1(VALU_DEP_2)
	v_mul_i32_i24_e32 v5, v5, v229
	v_perm_b32 v229, v151, v150, 0x6040503
	v_dot4_i32_iu8 v5, v236, v8, v5 neg_lo:[1,1,0]
	v_perm_b32 v8, v128, v128, 0xc0c0302
	s_delay_alu instid0(VALU_DEP_1) | instskip(SKIP_1) | instid1(VALU_DEP_1)
	v_dot4_i32_iu8 v5, v238, v8, v5 neg_lo:[1,1,0]
	v_perm_b32 v8, v164, v164, 0xc0c0001
	v_dot4_i32_iu8 v5, v239, v8, v5 neg_lo:[1,1,0]
	s_delay_alu instid0(VALU_DEP_1) | instskip(SKIP_1) | instid1(VALU_DEP_1)
	v_mad_i32_i24 v5, v6, v230, v5
	v_perm_b32 v6, v165, v164, 0xc0c0403
	v_dot4_i32_iu8 v5, v240, v6, v5 neg_lo:[1,1,0]
	v_perm_b32 v6, v165, v165, 0xc0c0302
	s_delay_alu instid0(VALU_DEP_1) | instskip(SKIP_2) | instid1(VALU_DEP_3)
	v_dot4_i32_iu8 v6, v241, v6, v5 neg_lo:[1,1,0]
	v_perm_b32 v5, v150, v34, 0x6050401
	v_perm_b32 v241, v149, v148, 0x6040503
	v_dot4_i32_iu8 v6, v126, v15, v6 neg_lo:[1,1,0]
	s_delay_alu instid0(VALU_DEP_3) | instskip(SKIP_1) | instid1(VALU_DEP_2)
	v_dot4_i32_iu8 v5, v5, v252, 0 neg_lo:[1,1,0]
	v_perm_b32 v252, v131, v130, 0x6040503
	v_dot4_i32_iu8 v0, v1, v0, v5 neg_lo:[1,1,0]
	v_perm_b32 v1, v34, v151, 0x7060403
	v_perm_b32 v5, v27, v156, 0x6040503
	s_set_vgpr_msb 1                        ;  msbs: dst=0 src0=1 src1=0 src2=0
	s_delay_alu instid0(VALU_DEP_2) | instskip(SKIP_3) | instid1(VALU_DEP_2)
	v_dot4_i32_iu8 v8, v11 /*v267*/, v1, v0 neg_lo:[1,1,0]
	s_set_vgpr_msb 0                        ;  msbs: dst=0 src0=0 src1=0 src2=0
	v_bfe_i32 v0, v124, 8, 8
	v_perm_b32 v1, v131, v131, 0xc0c0001
	v_mul_i32_i24_e32 v0, v0, v235
	s_delay_alu instid0(VALU_DEP_1) | instskip(SKIP_3) | instid1(VALU_DEP_2)
	v_dot4_i32_iu8 v0, v130, v4, v0 neg_lo:[1,1,0]
	s_set_vgpr_msb 1                        ;  msbs: dst=0 src0=1 src1=0 src2=0
	v_perm_b32 v4, v7 /*v263*/, v153, 0x6040503
	s_set_vgpr_msb 0                        ;  msbs: dst=0 src0=0 src1=0 src2=0
	v_dot4_i32_iu8 v0, v253, v1, v0 neg_lo:[1,1,0]
	v_perm_b32 v1, v131, v131, 0xc0c0302
	v_perm_b32 v253, v155, v154, 0x6040503
	s_set_vgpr_msb 1                        ;  msbs: dst=0 src0=1 src1=0 src2=0
	s_delay_alu instid0(VALU_DEP_2)
	v_dot4_i32_iu8 v0, v5 /*v261*/, v1, v0 neg_lo:[1,1,0]
	s_set_vgpr_msb 0                        ;  msbs: dst=0 src0=0 src1=0 src2=0
	v_perm_b32 v1, v124, v124, 0xc030200
	s_set_vgpr_msb 64                       ;  msbs: dst=1 src0=0 src1=0 src2=0
	v_perm_b32 v5 /*v261*/, v175, v174, 0x6040503
	s_set_vgpr_msb 4                        ;  msbs: dst=0 src0=0 src1=1 src2=0
	s_delay_alu instid0(VALU_DEP_2)
	v_dot4_i32_iu8 v9, v1, v10 /*v266*/, v0 neg_lo:[1,1,0]
	s_set_vgpr_msb 1                        ;  msbs: dst=0 src0=1 src1=0 src2=0
	v_perm_b32 v0, v6 /*v262*/, v159, 0x6040501
	s_set_vgpr_msb 4                        ;  msbs: dst=0 src0=0 src1=1 src2=0
	v_perm_b32 v1, v153, v8 /*v264*/, 0x6040501
	s_set_vgpr_msb 0                        ;  msbs: dst=0 src0=0 src1=0 src2=0
	s_delay_alu instid0(VALU_DEP_1) | instskip(SKIP_3) | instid1(VALU_DEP_1)
	v_dot4_i32_iu8 v0, v1, v0, 0 neg_lo:[1,1,0]
	s_set_vgpr_msb 4                        ;  msbs: dst=0 src0=0 src1=1 src2=0
	v_perm_b32 v1, v158, v6 /*v262*/, 0x6040503
	s_set_vgpr_msb 0                        ;  msbs: dst=0 src0=0 src1=0 src2=0
	v_dot4_i32_iu8 v0, v4, v1, v0 neg_lo:[1,1,0]
	v_perm_b32 v1, v26, v161, 0x6040501
	v_perm_b32 v4, v156, v28, 0x6040501
	s_set_vgpr_msb 4                        ;  msbs: dst=0 src0=0 src1=1 src2=0
	s_delay_alu instid0(VALU_DEP_3) | instskip(SKIP_1) | instid1(VALU_DEP_2)
	v_dot4_i32_iu8 v0, v227, v15 /*v271*/, v0 neg_lo:[1,1,0]
	s_set_vgpr_msb 0                        ;  msbs: dst=0 src0=0 src1=0 src2=0
	v_dot4_i32_iu8 v1, v4, v1, 0 neg_lo:[1,1,0]
	v_perm_b32 v4, v160, v26, 0x6040503
	s_delay_alu instid0(VALU_DEP_1) | instskip(SKIP_2) | instid1(VALU_DEP_1)
	v_dot4_i32_iu8 v1, v5, v4, v1 neg_lo:[1,1,0]
	v_perm_b32 v4, v160, v160, 0xc0c0c03
	v_perm_b32 v5, v161, v161, 0x706000c
	v_or_b32_e32 v240, v5, v4
	v_perm_b32 v4, v22, v144, 0x6050401
	v_perm_b32 v5, v148, v24, 0x6050401
	s_set_vgpr_msb 4                        ;  msbs: dst=0 src0=0 src1=1 src2=0
	s_delay_alu instid0(VALU_DEP_3) | instskip(SKIP_1) | instid1(VALU_DEP_2)
	v_dot4_i32_iu8 v1, v240, v16 /*v272*/, v1 neg_lo:[1,1,0]
	s_set_vgpr_msb 0                        ;  msbs: dst=0 src0=0 src1=0 src2=0
	v_dot4_i32_iu8 v4, v5, v4, 0 neg_lo:[1,1,0]
	v_perm_b32 v5, v144, v23, 0x7060403
	s_delay_alu instid0(VALU_DEP_3) | instskip(SKIP_4) | instid1(VALU_DEP_1)
	v_dot4_i32_iu8 v31, v29, v152, v1 neg_lo:[1,1,0]
	s_set_vgpr_msb 16                       ;  msbs: dst=0 src0=0 src1=0 src2=1
	v_dot4_i32_iu8 v1, v7, v147, v24 /*v280*/ neg_lo:[1,1,0]
	s_set_vgpr_msb 0                        ;  msbs: dst=0 src0=0 src1=0 src2=0
	v_dot4_i32_iu8 v4, v241, v171, v4 neg_lo:[1,1,0]
	v_dot4_i32_iu8 v4, v10, v5, v4 neg_lo:[1,1,0]
	v_perm_b32 v5, v18, v146, 0x6050401
	v_perm_b32 v10, v154, v20, 0x6050401
	s_delay_alu instid0(VALU_DEP_1) | instskip(SKIP_1) | instid1(VALU_DEP_1)
	v_dot4_i32_iu8 v5, v10, v5, 0 neg_lo:[1,1,0]
	v_perm_b32 v10, v155, v18, 0x6040503
	v_dot4_i32_iu8 v5, v14, v10, v5 neg_lo:[1,1,0]
	v_perm_b32 v10, v146, v155, 0x7060403
	s_set_vgpr_msb 4                        ;  msbs: dst=0 src0=0 src1=1 src2=0
	v_dot4_i32_iu8 v14, v157, v9 /*v265*/, v0 neg_lo:[1,1,0]
	s_set_vgpr_msb 0                        ;  msbs: dst=0 src0=0 src1=0 src2=0
	v_dot4_i32_iu8 v0, v25, v145, v4 neg_lo:[1,1,0]
	v_dot4_i32_iu8 v5, v137, v10, v5 neg_lo:[1,1,0]
	s_set_vgpr_msb 1                        ;  msbs: dst=0 src0=1 src1=0 src2=0
	ds_load_b32 v10, v12 /*v268*/
	s_set_vgpr_msb 0                        ;  msbs: dst=0 src0=0 src1=0 src2=0
	v_dot4_i32_iu8 v4, v21, v147, v5 neg_lo:[1,1,0]
	s_set_vgpr_msb 16                       ;  msbs: dst=0 src0=0 src1=0 src2=1
	v_dot4_i32_iu8 v5, v3, v145, v23 /*v279*/ neg_lo:[1,1,0]
	s_set_vgpr_msb 0                        ;  msbs: dst=0 src0=0 src1=0 src2=0
	v_dot4_i32_iu8 v3, v3, v35, v8 neg_lo:[1,1,0]
	s_wait_dscnt 0x0
	v_bfe_i32 v238, v10, 0, 8
	v_bfe_i32 v239, v10, 8, 8
	v_ashrrev_i32_e32 v235, 24, v10
	v_bfe_i32 v236, v10, 16, 8
	s_set_vgpr_msb 16                       ;  msbs: dst=0 src0=0 src1=0 src2=1
	v_dot4_i32_iu8 v10, v152, v15, v22 /*v278*/ neg_lo:[1,1,0]
	v_mul_lo_u32 v1, v1, v238
	v_mul_lo_u32 v0, v0, v239
	s_set_vgpr_msb 0                        ;  msbs: dst=0 src0=0 src1=0 src2=0
	s_delay_alu instid0(VALU_DEP_2) | instskip(NEXT) | instid1(VALU_DEP_2)
	v_mad_u32 v1, v5, v239, v1
	v_mad_u32 v0, v4, v238, v0
	v_mul_lo_u32 v4, v10, v236
	v_mul_lo_u32 v5, v14, v235
	v_perm_b32 v14, v19, v130, 0x6040503
	v_cvt_f32_i32_e32 v1, v1
	v_cvt_f32_i32_e32 v0, v0
	v_mad_u32 v4, v30, v235, v4
	v_mad_u32 v10, v31, v236, v5
	s_delay_alu instid0(VALU_DEP_3) | instskip(NEXT) | instid1(VALU_DEP_3)
	v_pk_fma_f32 v[0:1], v[16:17], v[0:1], 0 op_sel_hi:[1,1,0]
	v_cvt_f32_i32_e32 v5, v4
	s_delay_alu instid0(VALU_DEP_3) | instskip(SKIP_1) | instid1(VALU_DEP_2)
	v_cvt_f32_i32_e32 v4, v10
	v_perm_b32 v10, v24, v151, 0x7060403
	v_pk_fma_f32 v[0:1], v[12:13], v[4:5], v[0:1]
	s_set_vgpr_msb 1                        ;  msbs: dst=0 src0=1 src1=0 src2=0
	v_perm_b32 v4, v7 /*v263*/, v127, 0x6040503
	s_set_vgpr_msb 0                        ;  msbs: dst=0 src0=0 src1=0 src2=0
	v_perm_b32 v5, v27, v128, 0x6040503
	v_pk_fma_f32 v[110:111], v[120:121], v[0:1], v[110:111]
	s_set_vgpr_msb 1                        ;  msbs: dst=0 src0=1 src1=0 src2=0
	v_perm_b32 v0, v6 /*v262*/, v163, 0x6040501
	s_set_vgpr_msb 4                        ;  msbs: dst=0 src0=0 src1=1 src2=0
	v_perm_b32 v1, v127, v8 /*v264*/, 0x6040501
	s_set_vgpr_msb 0                        ;  msbs: dst=0 src0=0 src1=0 src2=0
	s_delay_alu instid0(VALU_DEP_1) | instskip(SKIP_3) | instid1(VALU_DEP_1)
	v_dot4_i32_iu8 v0, v1, v0, 0 neg_lo:[1,1,0]
	s_set_vgpr_msb 4                        ;  msbs: dst=0 src0=0 src1=1 src2=0
	v_perm_b32 v1, v162, v6 /*v262*/, 0x6040503
	s_set_vgpr_msb 0                        ;  msbs: dst=0 src0=0 src1=0 src2=0
	v_dot4_i32_iu8 v0, v4, v1, v0 neg_lo:[1,1,0]
	v_perm_b32 v1, v26, v165, 0x6040501
	v_perm_b32 v4, v128, v28, 0x6040501
	s_set_vgpr_msb 4                        ;  msbs: dst=0 src0=0 src1=1 src2=0
	s_delay_alu instid0(VALU_DEP_3) | instskip(SKIP_1) | instid1(VALU_DEP_2)
	v_dot4_i32_iu8 v0, v228, v15 /*v271*/, v0 neg_lo:[1,1,0]
	s_set_vgpr_msb 0                        ;  msbs: dst=0 src0=0 src1=0 src2=0
	v_dot4_i32_iu8 v1, v4, v1, 0 neg_lo:[1,1,0]
	v_perm_b32 v4, v164, v26, 0x6040503
	s_delay_alu instid0(VALU_DEP_1) | instskip(SKIP_2) | instid1(VALU_DEP_1)
	v_dot4_i32_iu8 v1, v5, v4, v1 neg_lo:[1,1,0]
	v_perm_b32 v4, v164, v164, 0xc0c0c03
	v_perm_b32 v5, v165, v165, 0x706000c
	v_or_b32_e32 v230, v5, v4
	v_perm_b32 v4, v22, v34, 0x6050401
	v_perm_b32 v5, v150, v24, 0x6050401
	s_set_vgpr_msb 4                        ;  msbs: dst=0 src0=0 src1=1 src2=0
	s_delay_alu instid0(VALU_DEP_3) | instskip(SKIP_1) | instid1(VALU_DEP_2)
	v_dot4_i32_iu8 v1, v230, v16 /*v272*/, v1 neg_lo:[1,1,0]
	s_set_vgpr_msb 0                        ;  msbs: dst=0 src0=0 src1=0 src2=0
	v_dot4_i32_iu8 v4, v5, v4, 0 neg_lo:[1,1,0]
	v_perm_b32 v5, v34, v23, 0x7060403
	s_delay_alu instid0(VALU_DEP_3) | instskip(SKIP_1) | instid1(VALU_DEP_4)
	v_dot4_i32_iu8 v11, v29, v126, v1 neg_lo:[1,1,0]
	v_dot4_i32_iu8 v1, v7, v125, v9 neg_lo:[1,1,0]
	;; [unrolled: 1-line block ×3, first 2 shown]
	s_delay_alu instid0(VALU_DEP_1) | instskip(SKIP_2) | instid1(VALU_DEP_1)
	v_dot4_i32_iu8 v4, v10, v5, v4 neg_lo:[1,1,0]
	v_perm_b32 v5, v18, v124, 0x6050401
	v_perm_b32 v10, v130, v20, 0x6050401
	v_dot4_i32_iu8 v5, v10, v5, 0 neg_lo:[1,1,0]
	v_perm_b32 v10, v131, v18, 0x6040503
	s_delay_alu instid0(VALU_DEP_1) | instskip(SKIP_1) | instid1(VALU_DEP_1)
	v_dot4_i32_iu8 v5, v14, v10, v5 neg_lo:[1,1,0]
	v_perm_b32 v10, v124, v131, 0x7060403
	v_dot4_i32_iu8 v5, v137, v10, v5 neg_lo:[1,1,0]
	s_set_vgpr_msb 1                        ;  msbs: dst=0 src0=1 src1=0 src2=0
	ds_load_b32 v10, v13 /*v269*/
	s_wait_dscnt 0x0
	s_set_vgpr_msb 0                        ;  msbs: dst=0 src0=0 src1=0 src2=0
	v_bfe_i32 v139, v10, 0, 8
	v_bfe_i32 v171, v10, 8, 8
	v_ashrrev_i32_e32 v32, 24, v10
	v_bfe_i32 v137, v10, 16, 8
	s_set_vgpr_msb 4                        ;  msbs: dst=0 src0=0 src1=1 src2=0
	v_dot4_i32_iu8 v10, v129, v9 /*v265*/, v0 neg_lo:[1,1,0]
	s_set_vgpr_msb 0                        ;  msbs: dst=0 src0=0 src1=0 src2=0
	v_dot4_i32_iu8 v0, v25, v35, v4 neg_lo:[1,1,0]
	v_mul_lo_u32 v1, v1, v139
	v_dot4_i32_iu8 v4, v21, v125, v5 neg_lo:[1,1,0]
	s_delay_alu instid0(VALU_DEP_3) | instskip(NEXT) | instid1(VALU_DEP_3)
	v_mul_lo_u32 v0, v0, v171
	v_mad_u32 v1, v3, v171, v1
	v_mul_lo_u32 v3, v6, v137
	s_delay_alu instid0(VALU_DEP_3) | instskip(SKIP_1) | instid1(VALU_DEP_4)
	v_mad_u32 v0, v4, v139, v0
	v_mul_lo_u32 v4, v10, v32
	v_cvt_f32_i32_e32 v1, v1
	s_delay_alu instid0(VALU_DEP_4) | instskip(NEXT) | instid1(VALU_DEP_4)
	v_mad_u32 v2, v2, v32, v3
	v_cvt_f32_i32_e32 v0, v0
	s_delay_alu instid0(VALU_DEP_4) | instskip(NEXT) | instid1(VALU_DEP_2)
	v_mad_u32 v4, v11, v137, v4
	v_pk_fma_f32 v[0:1], v[16:17], v[0:1], 0 op_sel_hi:[1,1,0]
	s_delay_alu instid0(VALU_DEP_4) | instskip(NEXT) | instid1(VALU_DEP_3)
	v_cvt_f32_i32_e32 v3, v2
	v_cvt_f32_i32_e32 v2, v4
	s_delay_alu instid0(VALU_DEP_1) | instskip(NEXT) | instid1(VALU_DEP_1)
	v_pk_fma_f32 v[0:1], v[12:13], v[2:3], v[0:1]
	v_pk_fma_f32 v[114:115], v[122:123], v[0:1], v[114:115]
	v_or_b32_e32 v0, s5, v208
	s_delay_alu instid0(VALU_DEP_1)
	v_lshlrev_b32_e32 v12, 2, v0
	s_set_vgpr_msb 64                       ;  msbs: dst=1 src0=0 src1=0 src2=0
	v_lshrrev_b32_e32 v6 /*v262*/, 1, v0
	s_set_vgpr_msb 0                        ;  msbs: dst=0 src0=0 src1=0 src2=0
	ds_load_b128 v[4:7], v12 offset:33280
	ds_load_b128 v[0:3], v12 offset:33296
	;; [unrolled: 1-line block ×4, first 2 shown]
	s_wait_dscnt 0x3
	v_perm_b32 v22, v168, v5, 0x7060403
	s_wait_dscnt 0x2
	v_perm_b32 v21, v1, v176, 0x6040503
	;; [unrolled: 2-line block ×4, first 2 shown]
	v_perm_b32 v17, v13, v12, 0x6040503
	v_perm_b32 v18, v14, v13, 0x7060403
	v_perm_b32 v20, v9, v172, 0x6040503
	v_perm_b32 v23, v6, v175, 0x7060403
	s_set_vgpr_msb 4                        ;  msbs: dst=0 src0=0 src1=1 src2=0
	v_dot4_i32_iu8 v16, v16, v2 /*v258*/, 0 neg_lo:[1,1,0]
	s_delay_alu instid0(VALU_DEP_1) | instskip(SKIP_1) | instid1(VALU_DEP_1)
	v_dot4_i32_iu8 v16, v17, v3 /*v259*/, v16 neg_lo:[1,1,0]
	s_set_vgpr_msb 64                       ;  msbs: dst=1 src0=0 src1=0 src2=0
	v_dot4_i32_iu8 v7 /*v263*/, v18, v254, v16 neg_lo:[1,1,0]
	s_set_vgpr_msb 0                        ;  msbs: dst=0 src0=0 src1=0 src2=0
	v_perm_b32 v16, v8, v179, 0x6040501
	s_set_vgpr_msb 0x50                     ;  msbs: dst=1 src0=0 src1=0 src2=1
	s_delay_alu instid0(VALU_DEP_2) | instskip(SKIP_1) | instid1(VALU_DEP_2)
	v_dot4_i32_iu8 v7 /*v263*/, v15, v173, v7 /*v263*/ neg_lo:[1,1,0]
	s_set_vgpr_msb 0                        ;  msbs: dst=0 src0=0 src1=0 src2=0
	v_dot4_i32_iu8 v16, v19, v16, 0 neg_lo:[1,1,0]
	v_perm_b32 v19, v178, v8, 0x6040503
	s_delay_alu instid0(VALU_DEP_1) | instskip(SKIP_3) | instid1(VALU_DEP_2)
	v_dot4_i32_iu8 v16, v20, v19, v16 neg_lo:[1,1,0]
	v_perm_b32 v19, v10, v9, 0x7060403
	v_perm_b32 v20, v176, v2, 0x6050401
	s_set_vgpr_msb 0x41                     ;  msbs: dst=1 src0=1 src1=0 src2=0
	v_dot4_i32_iu8 v8 /*v264*/, v4 /*v260*/, v19, v16 neg_lo:[1,1,0]
	s_set_vgpr_msb 0                        ;  msbs: dst=0 src0=0 src1=0 src2=0
	v_perm_b32 v16, v0, v166, 0x6050401
	s_set_vgpr_msb 0x50                     ;  msbs: dst=1 src0=0 src1=0 src2=1
	s_delay_alu instid0(VALU_DEP_2) | instskip(SKIP_1) | instid1(VALU_DEP_2)
	v_dot4_i32_iu8 v8 /*v264*/, v170, v11, v8 /*v264*/ neg_lo:[1,1,0]
	s_set_vgpr_msb 0                        ;  msbs: dst=0 src0=0 src1=0 src2=0
	v_dot4_i32_iu8 v16, v20, v16, 0 neg_lo:[1,1,0]
	v_perm_b32 v20, v177, v0, 0x6040503
	s_delay_alu instid0(VALU_DEP_1) | instskip(SKIP_3) | instid1(VALU_DEP_2)
	v_dot4_i32_iu8 v16, v21, v20, v16 neg_lo:[1,1,0]
	v_perm_b32 v20, v2, v1, 0x7060403
	v_perm_b32 v21, v174, v6, 0x6050401
	s_set_vgpr_msb 64                       ;  msbs: dst=1 src0=0 src1=0 src2=0
	v_dot4_i32_iu8 v9 /*v265*/, v20, v255, v16 neg_lo:[1,1,0]
	s_set_vgpr_msb 0                        ;  msbs: dst=0 src0=0 src1=0 src2=0
	v_perm_b32 v16, v4, v168, 0x6050401
	s_delay_alu instid0(VALU_DEP_1) | instskip(SKIP_2) | instid1(VALU_DEP_1)
	v_dot4_i32_iu8 v16, v21, v16, 0 neg_lo:[1,1,0]
	v_perm_b32 v21, v5, v4, 0x6040503
	s_set_vgpr_msb 1                        ;  msbs: dst=0 src0=1 src1=0 src2=0
	v_dot4_i32_iu8 v16, v5 /*v261*/, v21, v16 neg_lo:[1,1,0]
	s_set_vgpr_msb 64                       ;  msbs: dst=1 src0=0 src1=0 src2=0
	s_delay_alu instid0(VALU_DEP_1) | instskip(SKIP_3) | instid1(VALU_DEP_2)
	v_dot4_i32_iu8 v10 /*v266*/, v23, v22, v16 neg_lo:[1,1,0]
	s_set_vgpr_msb 0                        ;  msbs: dst=0 src0=0 src1=0 src2=0
	v_perm_b32 v22, v14, v14, 0xc0c0c01
	v_perm_b32 v16, v12, v33, 0x6040503
	v_or_b32_e32 v22, v249, v22
	s_delay_alu instid0(VALU_DEP_1) | instskip(SKIP_1) | instid1(VALU_DEP_2)
	v_dot4_i32_iu8 v16, v22, v16, 0 neg_lo:[1,1,0]
	v_perm_b32 v22, v10, v143, 0x7060403
	v_dot4_i32_iu8 v16, v17, v250, v16 neg_lo:[1,1,0]
	v_perm_b32 v17, v142, v10, 0x6040501
	s_set_vgpr_msb 64                       ;  msbs: dst=1 src0=0 src1=0 src2=0
	s_delay_alu instid0(VALU_DEP_2) | instskip(SKIP_2) | instid1(VALU_DEP_1)
	v_dot4_i32_iu8 v11 /*v267*/, v251, v18, v16 neg_lo:[1,1,0]
	s_set_vgpr_msb 0                        ;  msbs: dst=0 src0=0 src1=0 src2=0
	v_perm_b32 v16, v8, v140, 0x6040501
	v_dot4_i32_iu8 v16, v17, v16, 0 neg_lo:[1,1,0]
	v_perm_b32 v17, v9, v8, 0x6040503
	s_delay_alu instid0(VALU_DEP_1) | instskip(SKIP_2) | instid1(VALU_DEP_1)
	v_dot4_i32_iu8 v16, v231, v17, v16 neg_lo:[1,1,0]
	v_perm_b32 v17, v140, v9, 0x7060403
	s_set_vgpr_msb 64                       ;  msbs: dst=1 src0=0 src1=0 src2=0
	v_dot4_i32_iu8 v12 /*v268*/, v22, v17, v16 neg_lo:[1,1,0]
	s_set_vgpr_msb 0                        ;  msbs: dst=0 src0=0 src1=0 src2=0
	v_perm_b32 v16, v0, v132, 0x6050401
	v_perm_b32 v17, v138, v2, 0x6050401
	;; [unrolled: 1-line block ×4, first 2 shown]
	s_delay_alu instid0(VALU_DEP_3) | instskip(SKIP_1) | instid1(VALU_DEP_1)
	v_dot4_i32_iu8 v16, v17, v16, 0 neg_lo:[1,1,0]
	v_perm_b32 v17, v1, v0, 0x6040503
	v_dot4_i32_iu8 v16, v232, v17, v16 neg_lo:[1,1,0]
	s_set_vgpr_msb 64                       ;  msbs: dst=1 src0=0 src1=0 src2=0
	s_delay_alu instid0(VALU_DEP_1) | instskip(SKIP_3) | instid1(VALU_DEP_1)
	v_dot4_i32_iu8 v13 /*v269*/, v233, v20, v16 neg_lo:[1,1,0]
	s_set_vgpr_msb 0                        ;  msbs: dst=0 src0=0 src1=0 src2=0
	v_perm_b32 v16, v4, v134, 0x6050401
	v_perm_b32 v20, v136, v6, 0x6050401
	v_dot4_i32_iu8 v16, v20, v16, 0 neg_lo:[1,1,0]
	v_perm_b32 v20, v6, v5, 0x7060403
	s_delay_alu instid0(VALU_DEP_2) | instskip(SKIP_1) | instid1(VALU_DEP_1)
	v_dot4_i32_iu8 v16, v234, v21, v16 neg_lo:[1,1,0]
	s_set_vgpr_msb 64                       ;  msbs: dst=1 src0=0 src1=0 src2=0
	v_dot4_i32_iu8 v14 /*v270*/, v237, v20, v16 neg_lo:[1,1,0]
	s_set_vgpr_msb 0                        ;  msbs: dst=0 src0=0 src1=0 src2=0
	v_perm_b32 v16, v12, v159, 0x6040501
	v_perm_b32 v20, v153, v14, 0x6040501
	;; [unrolled: 1-line block ×3, first 2 shown]
	s_delay_alu instid0(VALU_DEP_2) | instskip(SKIP_1) | instid1(VALU_DEP_1)
	v_dot4_i32_iu8 v16, v20, v16, 0 neg_lo:[1,1,0]
	v_perm_b32 v20, v158, v12, 0x6040503
	v_dot4_i32_iu8 v16, v22, v20, v16 neg_lo:[1,1,0]
	v_perm_b32 v20, v156, v10, 0x6040501
	v_perm_b32 v22, v9, v156, 0x6040503
	;; [unrolled: 1-line block ×4, first 2 shown]
	s_set_vgpr_msb 64                       ;  msbs: dst=1 src0=0 src1=0 src2=0
	v_dot4_i32_iu8 v15 /*v271*/, v227, v18, v16 neg_lo:[1,1,0]
	s_set_vgpr_msb 0                        ;  msbs: dst=0 src0=0 src1=0 src2=0
	v_perm_b32 v16, v8, v161, 0x6040501
	s_delay_alu instid0(VALU_DEP_1) | instskip(SKIP_1) | instid1(VALU_DEP_1)
	v_dot4_i32_iu8 v16, v20, v16, 0 neg_lo:[1,1,0]
	v_perm_b32 v20, v160, v8, 0x6040503
	v_dot4_i32_iu8 v16, v22, v20, v16 neg_lo:[1,1,0]
	v_perm_b32 v20, v148, v2, 0x6050401
	v_perm_b32 v22, v2, v149, 0x7060403
	s_set_vgpr_msb 64                       ;  msbs: dst=1 src0=0 src1=0 src2=0
	s_delay_alu instid0(VALU_DEP_3) | instskip(SKIP_3) | instid1(VALU_DEP_2)
	v_dot4_i32_iu8 v16 /*v272*/, v240, v19, v16 neg_lo:[1,1,0]
	s_set_vgpr_msb 0                        ;  msbs: dst=0 src0=0 src1=0 src2=0
	v_perm_b32 v16, v0, v144, 0x6050401
	v_perm_b32 v0, v0, v34, 0x6050401
	v_dot4_i32_iu8 v16, v20, v16, 0 neg_lo:[1,1,0]
	v_perm_b32 v20, v144, v1, 0x7060403
	v_perm_b32 v1, v34, v1, 0x7060403
	s_delay_alu instid0(VALU_DEP_3) | instskip(SKIP_1) | instid1(VALU_DEP_1)
	v_dot4_i32_iu8 v16, v241, v17, v16 neg_lo:[1,1,0]
	s_set_vgpr_msb 64                       ;  msbs: dst=1 src0=0 src1=0 src2=0
	v_dot4_i32_iu8 v17 /*v273*/, v22, v20, v16 neg_lo:[1,1,0]
	s_set_vgpr_msb 0                        ;  msbs: dst=0 src0=0 src1=0 src2=0
	v_perm_b32 v16, v4, v146, 0x6050401
	v_perm_b32 v20, v154, v6, 0x6050401
	;; [unrolled: 1-line block ×3, first 2 shown]
	s_delay_alu instid0(VALU_DEP_2) | instskip(SKIP_1) | instid1(VALU_DEP_2)
	v_dot4_i32_iu8 v16, v20, v16, 0 neg_lo:[1,1,0]
	v_perm_b32 v20, v146, v5, 0x7060403
	v_dot4_i32_iu8 v16, v253, v21, v16 neg_lo:[1,1,0]
	s_set_vgpr_msb 64                       ;  msbs: dst=1 src0=0 src1=0 src2=0
	s_delay_alu instid0(VALU_DEP_1) | instskip(SKIP_3) | instid1(VALU_DEP_2)
	v_dot4_i32_iu8 v18 /*v274*/, v22, v20, v16 neg_lo:[1,1,0]
	s_set_vgpr_msb 0                        ;  msbs: dst=0 src0=0 src1=0 src2=0
	v_perm_b32 v16, v12, v163, 0x6040501
	v_perm_b32 v12, v162, v12, 0x6040503
	v_dot4_i32_iu8 v14, v14, v16, 0 neg_lo:[1,1,0]
	s_delay_alu instid0(VALU_DEP_1) | instskip(NEXT) | instid1(VALU_DEP_1)
	v_dot4_i32_iu8 v12, v13, v12, v14 neg_lo:[1,1,0]
	v_dot4_i32_iu8 v14, v228, v18, v12 neg_lo:[1,1,0]
	v_perm_b32 v12, v8, v165, 0x6040501
	v_perm_b32 v8, v164, v8, 0x6040503
	s_delay_alu instid0(VALU_DEP_2) | instskip(NEXT) | instid1(VALU_DEP_1)
	v_dot4_i32_iu8 v10, v10, v12, 0 neg_lo:[1,1,0]
	v_dot4_i32_iu8 v8, v9, v8, v10 neg_lo:[1,1,0]
	s_delay_alu instid0(VALU_DEP_1) | instskip(SKIP_2) | instid1(VALU_DEP_3)
	v_dot4_i32_iu8 v10, v230, v19, v8 neg_lo:[1,1,0]
	v_perm_b32 v8, v150, v2, 0x6050401
	v_perm_b32 v2, v2, v151, 0x7060403
	v_dot4_i32_iu8 v10, v126, v11, v10 neg_lo:[1,1,0]
	s_delay_alu instid0(VALU_DEP_3) | instskip(NEXT) | instid1(VALU_DEP_1)
	v_dot4_i32_iu8 v0, v8, v0, 0 neg_lo:[1,1,0]
	v_dot4_i32_iu8 v0, v229, v17, v0 neg_lo:[1,1,0]
	s_delay_alu instid0(VALU_DEP_1) | instskip(SKIP_3) | instid1(VALU_DEP_4)
	v_dot4_i32_iu8 v2, v2, v1, v0 neg_lo:[1,1,0]
	v_perm_b32 v0, v4, v124, 0x6050401
	v_perm_b32 v1, v130, v6, 0x6050401
	;; [unrolled: 1-line block ×3, first 2 shown]
	v_dot4_i32_iu8 v2, v3, v35, v2 neg_lo:[1,1,0]
	s_delay_alu instid0(VALU_DEP_3) | instskip(SKIP_1) | instid1(VALU_DEP_2)
	v_dot4_i32_iu8 v0, v1, v0, 0 neg_lo:[1,1,0]
	v_perm_b32 v1, v124, v5, 0x7060403
	v_dot4_i32_iu8 v0, v252, v21, v0 neg_lo:[1,1,0]
	s_delay_alu instid0(VALU_DEP_1) | instskip(SKIP_1) | instid1(VALU_DEP_2)
	v_dot4_i32_iu8 v6, v4, v1, v0 neg_lo:[1,1,0]
	v_or_b32_e32 v0, s5, v209
	v_dot4_i32_iu8 v6, v7, v125, v6 neg_lo:[1,1,0]
	s_delay_alu instid0(VALU_DEP_2)
	v_dual_lshlrev_b32 v1, 2, v0 :: v_dual_lshrrev_b32 v4, 1, v0
	ds_load_b128 v[16:19], v1 offset:33280
	ds_load_b128 v[20:23], v1 offset:33296
	;; [unrolled: 1-line block ×4, first 2 shown]
	v_mul_lo_u32 v6, v6, v139
	s_delay_alu instid0(VALU_DEP_1)
	v_mad_u32 v2, v2, v171, v6
	v_mul_lo_u32 v6, v10, v137
	s_wait_dscnt 0x3
	s_set_vgpr_msb 64                       ;  msbs: dst=1 src0=0 src1=0 src2=0
	v_perm_b32 v23 /*v279*/, v17, v16, 0x6040503
	s_wait_dscnt 0x2
	v_perm_b32 v22 /*v278*/, v22, v21, 0x7060403
	s_wait_dscnt 0x1
	s_set_vgpr_msb 0                        ;  msbs: dst=0 src0=0 src1=0 src2=0
	v_perm_b32 v1, v172, v26, 0x6040501
	s_wait_dscnt 0x0
	v_perm_b32 v0, v28, v30, 0x6040501
	s_set_vgpr_msb 64                       ;  msbs: dst=1 src0=0 src1=0 src2=0
	v_perm_b32 v19 /*v275*/, v29, v28, 0x6040503
	v_perm_b32 v20 /*v276*/, v30, v29, 0x7060403
	s_set_vgpr_msb 0                        ;  msbs: dst=0 src0=0 src1=0 src2=0
	v_perm_b32 v5, v25, v172, 0x6040503
	s_set_vgpr_msb 64                       ;  msbs: dst=1 src0=0 src1=0 src2=0
	v_perm_b32 v21 /*v277*/, v26, v25, 0x7060403
	s_set_vgpr_msb 4                        ;  msbs: dst=0 src0=0 src1=1 src2=0
	v_dot4_i32_iu8 v0, v0, v2 /*v258*/, 0 neg_lo:[1,1,0]
	s_set_vgpr_msb 5                        ;  msbs: dst=0 src0=1 src1=1 src2=0
	s_delay_alu instid0(VALU_DEP_1) | instskip(SKIP_1) | instid1(VALU_DEP_1)
	v_dot4_i32_iu8 v0, v19 /*v275*/, v3 /*v259*/, v0 neg_lo:[1,1,0]
	s_set_vgpr_msb 1                        ;  msbs: dst=0 src0=1 src1=0 src2=0
	v_dot4_i32_iu8 v8, v20 /*v276*/, v254, v0 neg_lo:[1,1,0]
	s_set_vgpr_msb 0                        ;  msbs: dst=0 src0=0 src1=0 src2=0
	v_perm_b32 v0, v24, v179, 0x6040501
	s_delay_alu instid0(VALU_DEP_1) | instskip(SKIP_1) | instid1(VALU_DEP_1)
	v_dot4_i32_iu8 v0, v1, v0, 0 neg_lo:[1,1,0]
	v_perm_b32 v1, v178, v24, 0x6040503
	v_dot4_i32_iu8 v0, v5, v1, v0 neg_lo:[1,1,0]
	v_perm_b32 v1, v176, v22, 0x6050401
	v_perm_b32 v5, v21, v176, 0x6040503
	s_set_vgpr_msb 5                        ;  msbs: dst=0 src0=1 src1=1 src2=0
	s_delay_alu instid0(VALU_DEP_3) | instskip(SKIP_3) | instid1(VALU_DEP_2)
	v_dot4_i32_iu8 v9, v4 /*v260*/, v21 /*v277*/, v0 neg_lo:[1,1,0]
	s_set_vgpr_msb 0                        ;  msbs: dst=0 src0=0 src1=0 src2=0
	v_perm_b32 v0, v20, v166, 0x6050401
	s_set_vgpr_msb 64                       ;  msbs: dst=1 src0=0 src1=0 src2=0
	v_dot4_i32_iu8 v24 /*v280*/, v27, v170, v9 neg_lo:[1,1,0]
	s_set_vgpr_msb 16                       ;  msbs: dst=0 src0=0 src1=0 src2=1
	s_delay_alu instid0(VALU_DEP_2) | instskip(SKIP_3) | instid1(VALU_DEP_2)
	v_dot4_i32_iu8 v0, v1, v0, 0 neg_lo:[1,1,0]
	v_perm_b32 v1, v177, v20, 0x6040503
	v_dot4_i32_iu8 v9, v7, v169, v10 /*v266*/ neg_lo:[1,1,0]
	s_set_vgpr_msb 0                        ;  msbs: dst=0 src0=0 src1=0 src2=0
	v_dot4_i32_iu8 v0, v5, v1, v0 neg_lo:[1,1,0]
	v_perm_b32 v1, v174, v18, 0x6050401
	v_perm_b32 v5, v18, v175, 0x7060403
	s_set_vgpr_msb 4                        ;  msbs: dst=0 src0=0 src1=1 src2=0
	v_mul_lo_u32 v9, v9, v0 /*v256*/
	s_set_vgpr_msb 1                        ;  msbs: dst=0 src0=1 src1=0 src2=0
	v_dot4_i32_iu8 v12, v22 /*v278*/, v255, v0 neg_lo:[1,1,0]
	s_set_vgpr_msb 0                        ;  msbs: dst=0 src0=0 src1=0 src2=0
	v_perm_b32 v0, v16, v168, 0x6050401
	s_delay_alu instid0(VALU_DEP_1) | instskip(SKIP_2) | instid1(VALU_DEP_2)
	v_dot4_i32_iu8 v0, v1, v0, 0 neg_lo:[1,1,0]
	v_perm_b32 v1, v168, v17, 0x7060403
	s_set_vgpr_msb 5                        ;  msbs: dst=0 src0=1 src1=1 src2=0
	v_dot4_i32_iu8 v0, v5 /*v261*/, v23 /*v279*/, v0 neg_lo:[1,1,0]
	s_set_vgpr_msb 0                        ;  msbs: dst=0 src0=0 src1=0 src2=0
	s_delay_alu instid0(VALU_DEP_1)
	v_dot4_i32_iu8 v13, v5, v1, v0 neg_lo:[1,1,0]
	s_set_vgpr_msb 1                        ;  msbs: dst=0 src0=1 src1=0 src2=0
	ds_load_b64 v[0:1], v6 /*v262*/ offset:43584
	s_set_vgpr_msb 0                        ;  msbs: dst=0 src0=0 src1=0 src2=0
	ds_load_b64 v[4:5], v4 offset:43584
	s_set_vgpr_msb 64                       ;  msbs: dst=1 src0=0 src1=0 src2=0
	v_dot4_i32_iu8 v6 /*v262*/, v173, v31, v8 neg_lo:[1,1,0]
	s_set_vgpr_msb 0                        ;  msbs: dst=0 src0=0 src1=0 src2=0
	v_dot4_i32_iu8 v8, v23, v167, v12 neg_lo:[1,1,0]
	s_set_vgpr_msb 16                       ;  msbs: dst=0 src0=0 src1=0 src2=1
	v_dot4_i32_iu8 v12, v3, v167, v9 /*v265*/ neg_lo:[1,1,0]
	s_set_vgpr_msb 0                        ;  msbs: dst=0 src0=0 src1=0 src2=0
	v_dot4_i32_iu8 v13, v19, v169, v13 neg_lo:[1,1,0]
	s_set_vgpr_msb 4                        ;  msbs: dst=0 src0=0 src1=1 src2=0
	v_mul_lo_u32 v8, v8, v1 /*v257*/
	v_mad_u32 v9, v12, v1 /*v257*/, v9
	s_delay_alu instid0(VALU_DEP_2)
	v_mad_u32 v8, v13, v0 /*v256*/, v8
	s_wait_dscnt 0x0
	v_dual_mov_b32 v13, v0 :: v_dual_mov_b32 v12, v4
	s_set_vgpr_msb 1                        ;  msbs: dst=0 src0=1 src1=0 src2=0
	v_mul_lo_u32 v0, v8 /*v264*/, v247
	v_mul_lo_u32 v4, v6 /*v262*/, v248
	s_set_vgpr_msb 0                        ;  msbs: dst=0 src0=0 src1=0 src2=0
	v_cvt_f32_i32_e32 v9, v9
	s_set_vgpr_msb 0x50                     ;  msbs: dst=1 src0=0 src1=0 src2=1
	v_dot4_i32_iu8 v8 /*v264*/, v141, v11, v12 /*v268*/ neg_lo:[1,1,0]
	s_set_vgpr_msb 0                        ;  msbs: dst=0 src0=0 src1=0 src2=0
	v_cvt_f32_i32_e32 v8, v8
	s_set_vgpr_msb 1                        ;  msbs: dst=0 src0=1 src1=0 src2=0
	v_mad_u32 v0, v7 /*v263*/, v248, v0
	v_mad_u32 v4, v24 /*v280*/, v247, v4
	s_set_vgpr_msb 64                       ;  msbs: dst=1 src0=0 src1=0 src2=0
	s_delay_alu instid0(VALU_DEP_2) | instskip(NEXT) | instid1(VALU_DEP_2)
	v_cvt_f32_i32_e32 v7 /*v263*/, v0
	v_cvt_f32_i32_e32 v6 /*v262*/, v4
	s_set_vgpr_msb 0                        ;  msbs: dst=0 src0=0 src1=0 src2=0
	v_mov_b32_e32 v0, v5
	v_pk_fma_f32 v[8:9], v[12:13], v[8:9], 0 op_sel_hi:[1,1,0]
	s_set_vgpr_msb 4                        ;  msbs: dst=0 src0=0 src1=1 src2=0
	s_delay_alu instid0(VALU_DEP_1)
	v_pk_fma_f32 v[4:5], v[0:1], v[6:7] /*v[262:263]*/, v[8:9]
	s_set_vgpr_msb 0                        ;  msbs: dst=0 src0=0 src1=0 src2=0
	v_perm_b32 v8, v142, v26, 0x6040501
	v_perm_b32 v9, v26, v143, 0x7060403
	s_set_vgpr_msb 64                       ;  msbs: dst=1 src0=0 src1=0 src2=0
	v_perm_b32 v7 /*v263*/, v136, v18, 0x6050401
	v_perm_b32 v6 /*v262*/, v21, v20, 0x6040503
	s_set_vgpr_msb 0                        ;  msbs: dst=0 src0=0 src1=0 src2=0
	v_pk_fma_f32 v[90:91], v[116:117], v[4:5], v[90:91]
	v_perm_b32 v5, v30, v30, 0xc0c0c01
	v_perm_b32 v4, v28, v33, 0x6040503
	s_delay_alu instid0(VALU_DEP_2) | instskip(NEXT) | instid1(VALU_DEP_1)
	v_or_b32_e32 v5, v249, v5
	v_dot4_i32_iu8 v4, v5, v4, 0 neg_lo:[1,1,0]
	v_perm_b32 v5, v24, v140, 0x6040501
	s_set_vgpr_msb 1                        ;  msbs: dst=0 src0=1 src1=0 src2=0
	s_delay_alu instid0(VALU_DEP_2) | instskip(SKIP_1) | instid1(VALU_DEP_2)
	v_dot4_i32_iu8 v4, v19 /*v275*/, v250, v4 neg_lo:[1,1,0]
	s_set_vgpr_msb 0                        ;  msbs: dst=0 src0=0 src1=0 src2=0
	v_dot4_i32_iu8 v5, v8, v5, 0 neg_lo:[1,1,0]
	v_perm_b32 v8, v25, v24, 0x6040503
	s_set_vgpr_msb 4                        ;  msbs: dst=0 src0=0 src1=1 src2=0
	v_dot4_i32_iu8 v4, v251, v20 /*v276*/, v4 neg_lo:[1,1,0]
	s_set_vgpr_msb 0                        ;  msbs: dst=0 src0=0 src1=0 src2=0
	s_delay_alu instid0(VALU_DEP_2) | instskip(SKIP_1) | instid1(VALU_DEP_1)
	v_dot4_i32_iu8 v5, v231, v8, v5 neg_lo:[1,1,0]
	v_perm_b32 v8, v140, v25, 0x7060403
	v_dot4_i32_iu8 v5, v9, v8, v5 neg_lo:[1,1,0]
	v_perm_b32 v8, v20, v132, 0x6050401
	v_perm_b32 v9, v138, v22, 0x6050401
	s_set_vgpr_msb 64                       ;  msbs: dst=1 src0=0 src1=0 src2=0
	s_delay_alu instid0(VALU_DEP_3) | instskip(SKIP_4) | instid1(VALU_DEP_3)
	v_dot4_i32_iu8 v10 /*v266*/, v27, v141, v5 neg_lo:[1,1,0]
	s_set_vgpr_msb 16                       ;  msbs: dst=0 src0=0 src1=0 src2=1
	v_dot4_i32_iu8 v5, v7, v135, v14 /*v270*/ neg_lo:[1,1,0]
	v_dot4_i32_iu8 v8, v9, v8, 0 neg_lo:[1,1,0]
	v_perm_b32 v9, v16, v134, 0x6050401
	v_mul_lo_u32 v5, v5, v245
	s_set_vgpr_msb 4                        ;  msbs: dst=0 src0=0 src1=1 src2=0
	s_delay_alu instid0(VALU_DEP_3)
	v_dot4_i32_iu8 v8, v232, v6 /*v262*/, v8 neg_lo:[1,1,0]
	s_set_vgpr_msb 1                        ;  msbs: dst=0 src0=1 src1=0 src2=0
	v_dot4_i32_iu8 v9, v7 /*v263*/, v9, 0 neg_lo:[1,1,0]
	s_set_vgpr_msb 64                       ;  msbs: dst=1 src0=0 src1=0 src2=0
	v_perm_b32 v7 /*v263*/, v18, v17, 0x7060403
	s_set_vgpr_msb 4                        ;  msbs: dst=0 src0=0 src1=1 src2=0
	v_dot4_i32_iu8 v8, v233, v22 /*v278*/, v8 neg_lo:[1,1,0]
	v_dot4_i32_iu8 v9, v234, v23 /*v279*/, v9 neg_lo:[1,1,0]
	s_delay_alu instid0(VALU_DEP_1) | instskip(SKIP_3) | instid1(VALU_DEP_2)
	v_dot4_i32_iu8 v9, v237, v7 /*v263*/, v9 neg_lo:[1,1,0]
	s_set_vgpr_msb 64                       ;  msbs: dst=1 src0=0 src1=0 src2=0
	v_perm_b32 v7 /*v263*/, v31, v31, 0x3020001
	s_set_vgpr_msb 0                        ;  msbs: dst=0 src0=0 src1=0 src2=0
	v_dot4_i32_iu8 v9, v19, v135, v9 neg_lo:[1,1,0]
	s_set_vgpr_msb 0x44                     ;  msbs: dst=1 src0=0 src1=1 src2=0
	s_delay_alu instid0(VALU_DEP_2) | instskip(SKIP_3) | instid1(VALU_DEP_1)
	v_dot4_i32_iu8 v7 /*v263*/, v246, v7 /*v263*/, v4 neg_lo:[1,1,0]
	s_set_vgpr_msb 0                        ;  msbs: dst=0 src0=0 src1=0 src2=0
	v_perm_b32 v4, v15, v15, 0x3020001
	s_set_vgpr_msb 0x50                     ;  msbs: dst=1 src0=0 src1=0 src2=1
	v_dot4_i32_iu8 v9 /*v265*/, v4, v246, v11 /*v267*/ neg_lo:[1,1,0]
	s_set_vgpr_msb 0                        ;  msbs: dst=0 src0=0 src1=0 src2=0
	v_dot4_i32_iu8 v4, v23, v133, v8 neg_lo:[1,1,0]
	s_set_vgpr_msb 16                       ;  msbs: dst=0 src0=0 src1=0 src2=1
	v_dot4_i32_iu8 v8, v3, v133, v13 /*v269*/ neg_lo:[1,1,0]
	s_delay_alu instid0(VALU_DEP_2) | instskip(SKIP_1) | instid1(VALU_DEP_2)
	v_mul_lo_u32 v4, v4, v244
	s_set_vgpr_msb 0                        ;  msbs: dst=0 src0=0 src1=0 src2=0
	v_mad_u32 v5, v8, v244, v5
	s_set_vgpr_msb 1                        ;  msbs: dst=0 src0=1 src1=0 src2=0
	v_mul_lo_u32 v8, v8 /*v264*/, v242
	s_set_vgpr_msb 64                       ;  msbs: dst=1 src0=0 src1=0 src2=0
	v_perm_b32 v8 /*v264*/, v18, v155, 0x7060403
	s_set_vgpr_msb 0                        ;  msbs: dst=0 src0=0 src1=0 src2=0
	s_delay_alu instid0(VALU_DEP_4) | instskip(SKIP_2) | instid1(VALU_DEP_4)
	v_mad_u32 v4, v9, v245, v4
	s_set_vgpr_msb 1                        ;  msbs: dst=0 src0=1 src1=0 src2=0
	v_mul_lo_u32 v9, v7 /*v263*/, v243
	v_mad_u32 v8, v9 /*v265*/, v243, v8
	s_set_vgpr_msb 0                        ;  msbs: dst=0 src0=0 src1=0 src2=0
	v_cvt_f32_i32_e32 v5, v5
	s_set_vgpr_msb 0x50                     ;  msbs: dst=1 src0=0 src1=0 src2=1
	v_dot4_i32_iu8 v9 /*v265*/, v15, v157, v15 /*v271*/ neg_lo:[1,1,0]
	s_set_vgpr_msb 0                        ;  msbs: dst=0 src0=0 src1=0 src2=0
	v_cvt_f32_i32_e32 v4, v4
	s_set_vgpr_msb 0x41                     ;  msbs: dst=1 src0=1 src1=0 src2=0
	v_mad_u32 v7 /*v263*/, v10 /*v266*/, v242, v9
	s_set_vgpr_msb 0                        ;  msbs: dst=0 src0=0 src1=0 src2=0
	v_cvt_f32_i32_e32 v9, v8
	v_pk_fma_f32 v[4:5], v[12:13], v[4:5], 0 op_sel_hi:[1,1,0]
	s_set_vgpr_msb 1                        ;  msbs: dst=0 src0=1 src1=0 src2=0
	s_delay_alu instid0(VALU_DEP_3) | instskip(SKIP_3) | instid1(VALU_DEP_2)
	v_cvt_f32_i32_e32 v8, v7 /*v263*/
	s_set_vgpr_msb 64                       ;  msbs: dst=1 src0=0 src1=0 src2=0
	v_perm_b32 v7 /*v263*/, v22, v149, 0x7060403
	s_set_vgpr_msb 0                        ;  msbs: dst=0 src0=0 src1=0 src2=0
	v_pk_fma_f32 v[4:5], v[0:1], v[8:9], v[4:5]
	v_perm_b32 v8, v29, v153, 0x6040503
	v_perm_b32 v9, v25, v156, 0x6040503
	s_delay_alu instid0(VALU_DEP_3) | instskip(SKIP_2) | instid1(VALU_DEP_1)
	v_pk_fma_f32 v[98:99], v[118:119], v[4:5], v[98:99]
	v_perm_b32 v4, v28, v159, 0x6040501
	v_perm_b32 v5, v153, v30, 0x6040501
	v_dot4_i32_iu8 v4, v5, v4, 0 neg_lo:[1,1,0]
	v_perm_b32 v5, v158, v28, 0x6040503
	s_delay_alu instid0(VALU_DEP_1) | instskip(SKIP_3) | instid1(VALU_DEP_3)
	v_dot4_i32_iu8 v4, v8, v5, v4 neg_lo:[1,1,0]
	v_perm_b32 v5, v24, v161, 0x6040501
	v_perm_b32 v8, v156, v26, 0x6040501
	s_set_vgpr_msb 4                        ;  msbs: dst=0 src0=0 src1=1 src2=0
	v_dot4_i32_iu8 v4, v227, v20 /*v276*/, v4 neg_lo:[1,1,0]
	s_set_vgpr_msb 0                        ;  msbs: dst=0 src0=0 src1=0 src2=0
	s_delay_alu instid0(VALU_DEP_2) | instskip(SKIP_1) | instid1(VALU_DEP_1)
	v_dot4_i32_iu8 v5, v8, v5, 0 neg_lo:[1,1,0]
	v_perm_b32 v8, v160, v24, 0x6040503
	v_dot4_i32_iu8 v5, v9, v8, v5 neg_lo:[1,1,0]
	v_perm_b32 v8, v20, v144, 0x6050401
	v_perm_b32 v9, v148, v22, 0x6050401
	s_set_vgpr_msb 4                        ;  msbs: dst=0 src0=0 src1=1 src2=0
	s_delay_alu instid0(VALU_DEP_3) | instskip(SKIP_1) | instid1(VALU_DEP_2)
	v_dot4_i32_iu8 v5, v240, v21 /*v277*/, v5 neg_lo:[1,1,0]
	s_set_vgpr_msb 0                        ;  msbs: dst=0 src0=0 src1=0 src2=0
	v_dot4_i32_iu8 v8, v9, v8, 0 neg_lo:[1,1,0]
	v_perm_b32 v9, v144, v21, 0x7060403
	s_set_vgpr_msb 64                       ;  msbs: dst=1 src0=0 src1=0 src2=0
	v_dot4_i32_iu8 v10 /*v266*/, v27, v152, v5 neg_lo:[1,1,0]
	s_set_vgpr_msb 16                       ;  msbs: dst=0 src0=0 src1=0 src2=1
	v_dot4_i32_iu8 v5, v7, v147, v18 /*v274*/ neg_lo:[1,1,0]
	s_set_vgpr_msb 4                        ;  msbs: dst=0 src0=0 src1=1 src2=0
	v_dot4_i32_iu8 v8, v241, v6 /*v262*/, v8 neg_lo:[1,1,0]
	s_set_vgpr_msb 0                        ;  msbs: dst=0 src0=0 src1=0 src2=0
	s_delay_alu instid0(VALU_DEP_2) | instskip(SKIP_1) | instid1(VALU_DEP_2)
	v_mul_lo_u32 v5, v5, v238
	s_set_vgpr_msb 1                        ;  msbs: dst=0 src0=1 src1=0 src2=0
	v_dot4_i32_iu8 v8, v7 /*v263*/, v9, v8 neg_lo:[1,1,0]
	s_set_vgpr_msb 0                        ;  msbs: dst=0 src0=0 src1=0 src2=0
	v_perm_b32 v9, v16, v146, 0x6050401
	s_set_vgpr_msb 64                       ;  msbs: dst=1 src0=0 src1=0 src2=0
	v_perm_b32 v7 /*v263*/, v154, v18, 0x6050401
	s_set_vgpr_msb 1                        ;  msbs: dst=0 src0=1 src1=0 src2=0
	s_delay_alu instid0(VALU_DEP_1) | instskip(SKIP_3) | instid1(VALU_DEP_2)
	v_dot4_i32_iu8 v9, v7 /*v263*/, v9, 0 neg_lo:[1,1,0]
	s_set_vgpr_msb 64                       ;  msbs: dst=1 src0=0 src1=0 src2=0
	v_perm_b32 v7 /*v263*/, v146, v17, 0x7060403
	s_set_vgpr_msb 4                        ;  msbs: dst=0 src0=0 src1=1 src2=0
	v_dot4_i32_iu8 v9, v253, v23 /*v279*/, v9 neg_lo:[1,1,0]
	s_set_vgpr_msb 5                        ;  msbs: dst=0 src0=1 src1=1 src2=0
	s_delay_alu instid0(VALU_DEP_1)
	v_dot4_i32_iu8 v9, v8 /*v264*/, v7 /*v263*/, v9 neg_lo:[1,1,0]
	s_set_vgpr_msb 64                       ;  msbs: dst=1 src0=0 src1=0 src2=0
	v_dot4_i32_iu8 v7 /*v263*/, v157, v31, v4 neg_lo:[1,1,0]
	s_set_vgpr_msb 0                        ;  msbs: dst=0 src0=0 src1=0 src2=0
	v_dot4_i32_iu8 v4, v23, v145, v8 neg_lo:[1,1,0]
	s_set_vgpr_msb 0x50                     ;  msbs: dst=1 src0=0 src1=0 src2=1
	v_dot4_i32_iu8 v8 /*v264*/, v152, v11, v16 /*v272*/ neg_lo:[1,1,0]
	s_set_vgpr_msb 16                       ;  msbs: dst=0 src0=0 src1=0 src2=1
	v_dot4_i32_iu8 v8, v3, v145, v17 /*v273*/ neg_lo:[1,1,0]
	s_set_vgpr_msb 0                        ;  msbs: dst=0 src0=0 src1=0 src2=0
	v_dot4_i32_iu8 v9, v19, v147, v9 neg_lo:[1,1,0]
	v_dot4_i32_iu8 v11, v15, v129, v14 neg_lo:[1,1,0]
	v_mul_lo_u32 v4, v4, v239
	v_mad_u32 v5, v8, v239, v5
	s_set_vgpr_msb 1                        ;  msbs: dst=0 src0=1 src1=0 src2=0
	v_mul_lo_u32 v8, v8 /*v264*/, v236
	s_set_vgpr_msb 0                        ;  msbs: dst=0 src0=0 src1=0 src2=0
	s_delay_alu instid0(VALU_DEP_3) | instskip(SKIP_3) | instid1(VALU_DEP_4)
	v_mad_u32 v4, v9, v238, v4
	s_set_vgpr_msb 1                        ;  msbs: dst=0 src0=1 src1=0 src2=0
	v_mul_lo_u32 v9, v7 /*v263*/, v235
	s_set_vgpr_msb 0                        ;  msbs: dst=0 src0=0 src1=0 src2=0
	v_cvt_f32_i32_e32 v5, v5
	s_set_vgpr_msb 1                        ;  msbs: dst=0 src0=1 src1=0 src2=0
	s_delay_alu instid0(VALU_DEP_4) | instskip(SKIP_1) | instid1(VALU_DEP_4)
	v_mad_u32 v8, v9 /*v265*/, v235, v8
	s_set_vgpr_msb 0                        ;  msbs: dst=0 src0=0 src1=0 src2=0
	v_cvt_f32_i32_e32 v4, v4
	s_set_vgpr_msb 0x41                     ;  msbs: dst=1 src0=1 src1=0 src2=0
	s_delay_alu instid0(VALU_DEP_4) | instskip(SKIP_1) | instid1(VALU_DEP_3)
	v_mad_u32 v7 /*v263*/, v10 /*v266*/, v236, v9
	s_set_vgpr_msb 0                        ;  msbs: dst=0 src0=0 src1=0 src2=0
	v_cvt_f32_i32_e32 v9, v8
	v_pk_fma_f32 v[4:5], v[12:13], v[4:5], 0 op_sel_hi:[1,1,0]
	s_set_vgpr_msb 1                        ;  msbs: dst=0 src0=1 src1=0 src2=0
	s_delay_alu instid0(VALU_DEP_3) | instskip(SKIP_1) | instid1(VALU_DEP_1)
	v_cvt_f32_i32_e32 v8, v7 /*v263*/
	s_set_vgpr_msb 0                        ;  msbs: dst=0 src0=0 src1=0 src2=0
	v_pk_fma_f32 v[4:5], v[0:1], v[8:9], v[4:5]
	v_perm_b32 v8, v29, v127, 0x6040503
	v_perm_b32 v9, v25, v128, 0x6040503
	s_delay_alu instid0(VALU_DEP_3) | instskip(SKIP_2) | instid1(VALU_DEP_1)
	v_pk_fma_f32 v[106:107], v[120:121], v[4:5], v[106:107]
	v_perm_b32 v4, v28, v163, 0x6040501
	v_perm_b32 v5, v127, v30, 0x6040501
	v_dot4_i32_iu8 v4, v5, v4, 0 neg_lo:[1,1,0]
	v_perm_b32 v5, v162, v28, 0x6040503
	s_delay_alu instid0(VALU_DEP_1) | instskip(SKIP_3) | instid1(VALU_DEP_3)
	v_dot4_i32_iu8 v4, v8, v5, v4 neg_lo:[1,1,0]
	v_perm_b32 v5, v24, v165, 0x6040501
	v_perm_b32 v8, v128, v26, 0x6040501
	s_set_vgpr_msb 4                        ;  msbs: dst=0 src0=0 src1=1 src2=0
	v_dot4_i32_iu8 v4, v228, v20 /*v276*/, v4 neg_lo:[1,1,0]
	s_set_vgpr_msb 0                        ;  msbs: dst=0 src0=0 src1=0 src2=0
	s_delay_alu instid0(VALU_DEP_2) | instskip(SKIP_1) | instid1(VALU_DEP_3)
	v_dot4_i32_iu8 v5, v8, v5, 0 neg_lo:[1,1,0]
	v_perm_b32 v8, v164, v24, 0x6040503
	v_dot4_i32_iu8 v4, v129, v31, v4 neg_lo:[1,1,0]
	s_delay_alu instid0(VALU_DEP_2)
	v_dot4_i32_iu8 v5, v9, v8, v5 neg_lo:[1,1,0]
	v_perm_b32 v8, v20, v34, 0x6050401
	v_perm_b32 v9, v150, v22, 0x6050401
	;; [unrolled: 1-line block ×3, first 2 shown]
	v_mul_lo_u32 v4, v4, v32
	s_set_vgpr_msb 4                        ;  msbs: dst=0 src0=0 src1=1 src2=0
	v_dot4_i32_iu8 v5, v230, v21 /*v277*/, v5 neg_lo:[1,1,0]
	s_set_vgpr_msb 0                        ;  msbs: dst=0 src0=0 src1=0 src2=0
	v_dot4_i32_iu8 v8, v9, v8, 0 neg_lo:[1,1,0]
	v_perm_b32 v9, v34, v21, 0x7060403
	s_delay_alu instid0(VALU_DEP_3) | instskip(SKIP_1) | instid1(VALU_DEP_3)
	v_dot4_i32_iu8 v5, v27, v126, v5 neg_lo:[1,1,0]
	s_set_vgpr_msb 4                        ;  msbs: dst=0 src0=0 src1=1 src2=0
	v_dot4_i32_iu8 v8, v229, v6 /*v262*/, v8 neg_lo:[1,1,0]
	s_set_vgpr_msb 0                        ;  msbs: dst=0 src0=0 src1=0 src2=0
	s_delay_alu instid0(VALU_DEP_2) | instskip(SKIP_1) | instid1(VALU_DEP_3)
	v_mad_u32 v4, v5, v137, v4
	v_mad_u32 v5, v11, v32, v6
	v_dot4_i32_iu8 v8, v20, v9, v8 neg_lo:[1,1,0]
	v_perm_b32 v9, v16, v124, 0x6050401
	v_perm_b32 v16, v130, v18, 0x6050401
	s_delay_alu instid0(VALU_DEP_3) | instskip(NEXT) | instid1(VALU_DEP_2)
	v_dot4_i32_iu8 v8, v23, v35, v8 neg_lo:[1,1,0]
	v_dot4_i32_iu8 v9, v16, v9, 0 neg_lo:[1,1,0]
	v_perm_b32 v16, v124, v17, 0x7060403
	v_perm_b32 v17, v18, v131, 0x7060403
	s_delay_alu instid0(VALU_DEP_4)
	v_mul_lo_u32 v7, v8, v171
	v_cvt_f32_i32_e32 v5, v5
	s_set_vgpr_msb 4                        ;  msbs: dst=0 src0=0 src1=1 src2=0
	v_dot4_i32_iu8 v9, v252, v23 /*v279*/, v9 neg_lo:[1,1,0]
	v_cvt_f32_i32_e32 v4, v4
	s_set_vgpr_msb 0                        ;  msbs: dst=0 src0=0 src1=0 src2=0
	s_delay_alu instid0(VALU_DEP_2) | instskip(NEXT) | instid1(VALU_DEP_1)
	v_dot4_i32_iu8 v9, v17, v16, v9 neg_lo:[1,1,0]
	v_dot4_i32_iu8 v3, v19, v125, v9 neg_lo:[1,1,0]
	s_delay_alu instid0(VALU_DEP_1) | instskip(SKIP_1) | instid1(VALU_DEP_2)
	v_mad_u32 v7, v3, v139, v7
	v_cvt_f32_i32_e32 v3, v2
	v_cvt_f32_i32_e32 v2, v7
	s_delay_alu instid0(VALU_DEP_1) | instskip(NEXT) | instid1(VALU_DEP_1)
	v_pk_fma_f32 v[2:3], v[12:13], v[2:3], 0 op_sel_hi:[1,1,0]
	v_pk_fma_f32 v[0:1], v[0:1], v[4:5], v[2:3]
	s_delay_alu instid0(VALU_DEP_1) | instskip(SKIP_1) | instid1(VALU_DEP_1)
	v_pk_fma_f32 v[112:113], v[122:123], v[0:1], v[112:113]
	v_or_b32_e32 v0, s5, v210
	v_lshlrev_b32_e32 v12, 2, v0
	s_set_vgpr_msb 64                       ;  msbs: dst=1 src0=0 src1=0 src2=0
	v_lshrrev_b32_e32 v6 /*v262*/, 1, v0
	s_set_vgpr_msb 0                        ;  msbs: dst=0 src0=0 src1=0 src2=0
	ds_load_b128 v[4:7], v12 offset:33280
	ds_load_b128 v[0:3], v12 offset:33296
	;; [unrolled: 1-line block ×4, first 2 shown]
	s_wait_dscnt 0x3
	v_perm_b32 v22, v168, v5, 0x7060403
	s_wait_dscnt 0x2
	v_perm_b32 v21, v1, v176, 0x6040503
	;; [unrolled: 2-line block ×4, first 2 shown]
	v_perm_b32 v17, v13, v12, 0x6040503
	v_perm_b32 v18, v14, v13, 0x7060403
	;; [unrolled: 1-line block ×4, first 2 shown]
	s_set_vgpr_msb 4                        ;  msbs: dst=0 src0=0 src1=1 src2=0
	v_dot4_i32_iu8 v16, v16, v2 /*v258*/, 0 neg_lo:[1,1,0]
	s_delay_alu instid0(VALU_DEP_1) | instskip(SKIP_1) | instid1(VALU_DEP_1)
	v_dot4_i32_iu8 v16, v17, v3 /*v259*/, v16 neg_lo:[1,1,0]
	s_set_vgpr_msb 64                       ;  msbs: dst=1 src0=0 src1=0 src2=0
	v_dot4_i32_iu8 v7 /*v263*/, v18, v254, v16 neg_lo:[1,1,0]
	s_set_vgpr_msb 0                        ;  msbs: dst=0 src0=0 src1=0 src2=0
	v_perm_b32 v16, v8, v179, 0x6040501
	s_set_vgpr_msb 0x50                     ;  msbs: dst=1 src0=0 src1=0 src2=1
	s_delay_alu instid0(VALU_DEP_2) | instskip(SKIP_1) | instid1(VALU_DEP_2)
	v_dot4_i32_iu8 v7 /*v263*/, v15, v173, v7 /*v263*/ neg_lo:[1,1,0]
	s_set_vgpr_msb 0                        ;  msbs: dst=0 src0=0 src1=0 src2=0
	v_dot4_i32_iu8 v16, v19, v16, 0 neg_lo:[1,1,0]
	v_perm_b32 v19, v178, v8, 0x6040503
	s_delay_alu instid0(VALU_DEP_1) | instskip(SKIP_3) | instid1(VALU_DEP_2)
	v_dot4_i32_iu8 v16, v20, v19, v16 neg_lo:[1,1,0]
	v_perm_b32 v19, v10, v9, 0x7060403
	v_perm_b32 v20, v176, v2, 0x6050401
	s_set_vgpr_msb 0x41                     ;  msbs: dst=1 src0=1 src1=0 src2=0
	v_dot4_i32_iu8 v8 /*v264*/, v4 /*v260*/, v19, v16 neg_lo:[1,1,0]
	s_set_vgpr_msb 0                        ;  msbs: dst=0 src0=0 src1=0 src2=0
	v_perm_b32 v16, v0, v166, 0x6050401
	s_set_vgpr_msb 0x50                     ;  msbs: dst=1 src0=0 src1=0 src2=1
	s_delay_alu instid0(VALU_DEP_2) | instskip(SKIP_1) | instid1(VALU_DEP_2)
	v_dot4_i32_iu8 v8 /*v264*/, v170, v11, v8 /*v264*/ neg_lo:[1,1,0]
	s_set_vgpr_msb 0                        ;  msbs: dst=0 src0=0 src1=0 src2=0
	v_dot4_i32_iu8 v16, v20, v16, 0 neg_lo:[1,1,0]
	v_perm_b32 v20, v177, v0, 0x6040503
	s_delay_alu instid0(VALU_DEP_1) | instskip(SKIP_3) | instid1(VALU_DEP_2)
	v_dot4_i32_iu8 v16, v21, v20, v16 neg_lo:[1,1,0]
	v_perm_b32 v20, v2, v1, 0x7060403
	v_perm_b32 v21, v174, v6, 0x6050401
	s_set_vgpr_msb 64                       ;  msbs: dst=1 src0=0 src1=0 src2=0
	v_dot4_i32_iu8 v9 /*v265*/, v20, v255, v16 neg_lo:[1,1,0]
	s_set_vgpr_msb 0                        ;  msbs: dst=0 src0=0 src1=0 src2=0
	v_perm_b32 v16, v4, v168, 0x6050401
	s_delay_alu instid0(VALU_DEP_1) | instskip(SKIP_2) | instid1(VALU_DEP_1)
	v_dot4_i32_iu8 v16, v21, v16, 0 neg_lo:[1,1,0]
	v_perm_b32 v21, v5, v4, 0x6040503
	s_set_vgpr_msb 1                        ;  msbs: dst=0 src0=1 src1=0 src2=0
	v_dot4_i32_iu8 v16, v5 /*v261*/, v21, v16 neg_lo:[1,1,0]
	s_set_vgpr_msb 64                       ;  msbs: dst=1 src0=0 src1=0 src2=0
	s_delay_alu instid0(VALU_DEP_1) | instskip(SKIP_3) | instid1(VALU_DEP_2)
	v_dot4_i32_iu8 v10 /*v266*/, v23, v22, v16 neg_lo:[1,1,0]
	s_set_vgpr_msb 0                        ;  msbs: dst=0 src0=0 src1=0 src2=0
	v_perm_b32 v22, v14, v14, 0xc0c0c01
	v_perm_b32 v16, v12, v33, 0x6040503
	v_or_b32_e32 v22, v249, v22
	s_delay_alu instid0(VALU_DEP_1) | instskip(SKIP_1) | instid1(VALU_DEP_2)
	v_dot4_i32_iu8 v16, v22, v16, 0 neg_lo:[1,1,0]
	v_perm_b32 v22, v10, v143, 0x7060403
	v_dot4_i32_iu8 v16, v17, v250, v16 neg_lo:[1,1,0]
	v_perm_b32 v17, v142, v10, 0x6040501
	s_set_vgpr_msb 64                       ;  msbs: dst=1 src0=0 src1=0 src2=0
	s_delay_alu instid0(VALU_DEP_2) | instskip(SKIP_2) | instid1(VALU_DEP_1)
	v_dot4_i32_iu8 v11 /*v267*/, v251, v18, v16 neg_lo:[1,1,0]
	s_set_vgpr_msb 0                        ;  msbs: dst=0 src0=0 src1=0 src2=0
	v_perm_b32 v16, v8, v140, 0x6040501
	v_dot4_i32_iu8 v16, v17, v16, 0 neg_lo:[1,1,0]
	v_perm_b32 v17, v9, v8, 0x6040503
	s_delay_alu instid0(VALU_DEP_1) | instskip(SKIP_2) | instid1(VALU_DEP_1)
	v_dot4_i32_iu8 v16, v231, v17, v16 neg_lo:[1,1,0]
	v_perm_b32 v17, v140, v9, 0x7060403
	s_set_vgpr_msb 64                       ;  msbs: dst=1 src0=0 src1=0 src2=0
	v_dot4_i32_iu8 v12 /*v268*/, v22, v17, v16 neg_lo:[1,1,0]
	s_set_vgpr_msb 0                        ;  msbs: dst=0 src0=0 src1=0 src2=0
	v_perm_b32 v16, v0, v132, 0x6050401
	v_perm_b32 v17, v138, v2, 0x6050401
	;; [unrolled: 1-line block ×4, first 2 shown]
	s_delay_alu instid0(VALU_DEP_3) | instskip(SKIP_1) | instid1(VALU_DEP_1)
	v_dot4_i32_iu8 v16, v17, v16, 0 neg_lo:[1,1,0]
	v_perm_b32 v17, v1, v0, 0x6040503
	v_dot4_i32_iu8 v16, v232, v17, v16 neg_lo:[1,1,0]
	s_set_vgpr_msb 64                       ;  msbs: dst=1 src0=0 src1=0 src2=0
	s_delay_alu instid0(VALU_DEP_1) | instskip(SKIP_3) | instid1(VALU_DEP_1)
	v_dot4_i32_iu8 v13 /*v269*/, v233, v20, v16 neg_lo:[1,1,0]
	s_set_vgpr_msb 0                        ;  msbs: dst=0 src0=0 src1=0 src2=0
	v_perm_b32 v16, v4, v134, 0x6050401
	v_perm_b32 v20, v136, v6, 0x6050401
	v_dot4_i32_iu8 v16, v20, v16, 0 neg_lo:[1,1,0]
	v_perm_b32 v20, v6, v5, 0x7060403
	s_delay_alu instid0(VALU_DEP_2) | instskip(SKIP_1) | instid1(VALU_DEP_1)
	v_dot4_i32_iu8 v16, v234, v21, v16 neg_lo:[1,1,0]
	s_set_vgpr_msb 64                       ;  msbs: dst=1 src0=0 src1=0 src2=0
	v_dot4_i32_iu8 v14 /*v270*/, v237, v20, v16 neg_lo:[1,1,0]
	s_set_vgpr_msb 0                        ;  msbs: dst=0 src0=0 src1=0 src2=0
	v_perm_b32 v16, v12, v159, 0x6040501
	v_perm_b32 v20, v153, v14, 0x6040501
	v_perm_b32 v14, v127, v14, 0x6040501
	s_delay_alu instid0(VALU_DEP_2) | instskip(SKIP_1) | instid1(VALU_DEP_1)
	v_dot4_i32_iu8 v16, v20, v16, 0 neg_lo:[1,1,0]
	v_perm_b32 v20, v158, v12, 0x6040503
	v_dot4_i32_iu8 v16, v22, v20, v16 neg_lo:[1,1,0]
	v_perm_b32 v20, v156, v10, 0x6040501
	v_perm_b32 v22, v9, v156, 0x6040503
	;; [unrolled: 1-line block ×4, first 2 shown]
	s_set_vgpr_msb 64                       ;  msbs: dst=1 src0=0 src1=0 src2=0
	v_dot4_i32_iu8 v15 /*v271*/, v227, v18, v16 neg_lo:[1,1,0]
	s_set_vgpr_msb 0                        ;  msbs: dst=0 src0=0 src1=0 src2=0
	v_perm_b32 v16, v8, v161, 0x6040501
	s_delay_alu instid0(VALU_DEP_1) | instskip(SKIP_1) | instid1(VALU_DEP_1)
	v_dot4_i32_iu8 v16, v20, v16, 0 neg_lo:[1,1,0]
	v_perm_b32 v20, v160, v8, 0x6040503
	v_dot4_i32_iu8 v16, v22, v20, v16 neg_lo:[1,1,0]
	v_perm_b32 v20, v148, v2, 0x6050401
	v_perm_b32 v22, v2, v149, 0x7060403
	s_set_vgpr_msb 64                       ;  msbs: dst=1 src0=0 src1=0 src2=0
	s_delay_alu instid0(VALU_DEP_3) | instskip(SKIP_3) | instid1(VALU_DEP_2)
	v_dot4_i32_iu8 v16 /*v272*/, v240, v19, v16 neg_lo:[1,1,0]
	s_set_vgpr_msb 0                        ;  msbs: dst=0 src0=0 src1=0 src2=0
	v_perm_b32 v16, v0, v144, 0x6050401
	v_perm_b32 v0, v0, v34, 0x6050401
	v_dot4_i32_iu8 v16, v20, v16, 0 neg_lo:[1,1,0]
	v_perm_b32 v20, v144, v1, 0x7060403
	v_perm_b32 v1, v34, v1, 0x7060403
	s_delay_alu instid0(VALU_DEP_3) | instskip(SKIP_1) | instid1(VALU_DEP_1)
	v_dot4_i32_iu8 v16, v241, v17, v16 neg_lo:[1,1,0]
	s_set_vgpr_msb 64                       ;  msbs: dst=1 src0=0 src1=0 src2=0
	v_dot4_i32_iu8 v17 /*v273*/, v22, v20, v16 neg_lo:[1,1,0]
	s_set_vgpr_msb 0                        ;  msbs: dst=0 src0=0 src1=0 src2=0
	v_perm_b32 v16, v4, v146, 0x6050401
	v_perm_b32 v20, v154, v6, 0x6050401
	;; [unrolled: 1-line block ×3, first 2 shown]
	s_delay_alu instid0(VALU_DEP_2) | instskip(SKIP_1) | instid1(VALU_DEP_2)
	v_dot4_i32_iu8 v16, v20, v16, 0 neg_lo:[1,1,0]
	v_perm_b32 v20, v146, v5, 0x7060403
	v_dot4_i32_iu8 v16, v253, v21, v16 neg_lo:[1,1,0]
	s_set_vgpr_msb 64                       ;  msbs: dst=1 src0=0 src1=0 src2=0
	s_delay_alu instid0(VALU_DEP_1) | instskip(SKIP_3) | instid1(VALU_DEP_2)
	v_dot4_i32_iu8 v18 /*v274*/, v22, v20, v16 neg_lo:[1,1,0]
	s_set_vgpr_msb 0                        ;  msbs: dst=0 src0=0 src1=0 src2=0
	v_perm_b32 v16, v12, v163, 0x6040501
	v_perm_b32 v12, v162, v12, 0x6040503
	v_dot4_i32_iu8 v14, v14, v16, 0 neg_lo:[1,1,0]
	s_delay_alu instid0(VALU_DEP_1) | instskip(NEXT) | instid1(VALU_DEP_1)
	v_dot4_i32_iu8 v12, v13, v12, v14 neg_lo:[1,1,0]
	v_dot4_i32_iu8 v14, v228, v18, v12 neg_lo:[1,1,0]
	v_perm_b32 v12, v8, v165, 0x6040501
	v_perm_b32 v8, v164, v8, 0x6040503
	s_delay_alu instid0(VALU_DEP_2) | instskip(NEXT) | instid1(VALU_DEP_1)
	v_dot4_i32_iu8 v10, v10, v12, 0 neg_lo:[1,1,0]
	v_dot4_i32_iu8 v8, v9, v8, v10 neg_lo:[1,1,0]
	s_delay_alu instid0(VALU_DEP_1) | instskip(SKIP_2) | instid1(VALU_DEP_3)
	v_dot4_i32_iu8 v10, v230, v19, v8 neg_lo:[1,1,0]
	v_perm_b32 v8, v150, v2, 0x6050401
	v_perm_b32 v2, v2, v151, 0x7060403
	v_dot4_i32_iu8 v10, v126, v11, v10 neg_lo:[1,1,0]
	s_delay_alu instid0(VALU_DEP_3) | instskip(NEXT) | instid1(VALU_DEP_1)
	v_dot4_i32_iu8 v0, v8, v0, 0 neg_lo:[1,1,0]
	v_dot4_i32_iu8 v0, v229, v17, v0 neg_lo:[1,1,0]
	s_delay_alu instid0(VALU_DEP_1) | instskip(SKIP_3) | instid1(VALU_DEP_4)
	v_dot4_i32_iu8 v2, v2, v1, v0 neg_lo:[1,1,0]
	v_perm_b32 v0, v4, v124, 0x6050401
	v_perm_b32 v1, v130, v6, 0x6050401
	;; [unrolled: 1-line block ×3, first 2 shown]
	v_dot4_i32_iu8 v2, v3, v35, v2 neg_lo:[1,1,0]
	s_delay_alu instid0(VALU_DEP_3) | instskip(SKIP_1) | instid1(VALU_DEP_2)
	v_dot4_i32_iu8 v0, v1, v0, 0 neg_lo:[1,1,0]
	v_perm_b32 v1, v124, v5, 0x7060403
	v_dot4_i32_iu8 v0, v252, v21, v0 neg_lo:[1,1,0]
	s_delay_alu instid0(VALU_DEP_1) | instskip(SKIP_1) | instid1(VALU_DEP_2)
	v_dot4_i32_iu8 v6, v4, v1, v0 neg_lo:[1,1,0]
	v_or_b32_e32 v0, s5, v211
	v_dot4_i32_iu8 v6, v7, v125, v6 neg_lo:[1,1,0]
	s_delay_alu instid0(VALU_DEP_2)
	v_lshlrev_b32_e32 v1, 2, v0
	ds_load_b128 v[16:19], v1 offset:33280
	ds_load_b128 v[20:23], v1 offset:33296
	;; [unrolled: 1-line block ×4, first 2 shown]
	v_lshrrev_b32_e32 v4, 1, v0
	v_mul_lo_u32 v6, v6, v139
	s_delay_alu instid0(VALU_DEP_1)
	v_mad_u32 v2, v2, v171, v6
	v_mul_lo_u32 v6, v10, v137
	s_wait_dscnt 0x3
	s_set_vgpr_msb 64                       ;  msbs: dst=1 src0=0 src1=0 src2=0
	v_perm_b32 v23 /*v279*/, v17, v16, 0x6040503
	s_wait_dscnt 0x2
	v_perm_b32 v22 /*v278*/, v22, v21, 0x7060403
	s_wait_dscnt 0x1
	s_set_vgpr_msb 0                        ;  msbs: dst=0 src0=0 src1=0 src2=0
	v_perm_b32 v1, v172, v26, 0x6040501
	s_wait_dscnt 0x0
	v_perm_b32 v0, v28, v30, 0x6040501
	s_set_vgpr_msb 64                       ;  msbs: dst=1 src0=0 src1=0 src2=0
	v_perm_b32 v19 /*v275*/, v29, v28, 0x6040503
	v_perm_b32 v20 /*v276*/, v30, v29, 0x7060403
	s_set_vgpr_msb 0                        ;  msbs: dst=0 src0=0 src1=0 src2=0
	v_perm_b32 v5, v25, v172, 0x6040503
	s_set_vgpr_msb 64                       ;  msbs: dst=1 src0=0 src1=0 src2=0
	v_perm_b32 v21 /*v277*/, v26, v25, 0x7060403
	s_set_vgpr_msb 4                        ;  msbs: dst=0 src0=0 src1=1 src2=0
	v_dot4_i32_iu8 v0, v0, v2 /*v258*/, 0 neg_lo:[1,1,0]
	s_set_vgpr_msb 5                        ;  msbs: dst=0 src0=1 src1=1 src2=0
	s_delay_alu instid0(VALU_DEP_1) | instskip(SKIP_1) | instid1(VALU_DEP_1)
	v_dot4_i32_iu8 v0, v19 /*v275*/, v3 /*v259*/, v0 neg_lo:[1,1,0]
	s_set_vgpr_msb 1                        ;  msbs: dst=0 src0=1 src1=0 src2=0
	v_dot4_i32_iu8 v8, v20 /*v276*/, v254, v0 neg_lo:[1,1,0]
	s_set_vgpr_msb 0                        ;  msbs: dst=0 src0=0 src1=0 src2=0
	v_perm_b32 v0, v24, v179, 0x6040501
	s_delay_alu instid0(VALU_DEP_1) | instskip(SKIP_1) | instid1(VALU_DEP_1)
	v_dot4_i32_iu8 v0, v1, v0, 0 neg_lo:[1,1,0]
	v_perm_b32 v1, v178, v24, 0x6040503
	v_dot4_i32_iu8 v0, v5, v1, v0 neg_lo:[1,1,0]
	v_perm_b32 v1, v176, v22, 0x6050401
	v_perm_b32 v5, v21, v176, 0x6040503
	s_set_vgpr_msb 5                        ;  msbs: dst=0 src0=1 src1=1 src2=0
	s_delay_alu instid0(VALU_DEP_3) | instskip(SKIP_3) | instid1(VALU_DEP_2)
	v_dot4_i32_iu8 v9, v4 /*v260*/, v21 /*v277*/, v0 neg_lo:[1,1,0]
	s_set_vgpr_msb 0                        ;  msbs: dst=0 src0=0 src1=0 src2=0
	v_perm_b32 v0, v20, v166, 0x6050401
	s_set_vgpr_msb 64                       ;  msbs: dst=1 src0=0 src1=0 src2=0
	v_dot4_i32_iu8 v24 /*v280*/, v27, v170, v9 neg_lo:[1,1,0]
	s_set_vgpr_msb 16                       ;  msbs: dst=0 src0=0 src1=0 src2=1
	s_delay_alu instid0(VALU_DEP_2) | instskip(SKIP_3) | instid1(VALU_DEP_2)
	v_dot4_i32_iu8 v0, v1, v0, 0 neg_lo:[1,1,0]
	v_perm_b32 v1, v177, v20, 0x6040503
	v_dot4_i32_iu8 v9, v7, v169, v10 /*v266*/ neg_lo:[1,1,0]
	s_set_vgpr_msb 0                        ;  msbs: dst=0 src0=0 src1=0 src2=0
	v_dot4_i32_iu8 v0, v5, v1, v0 neg_lo:[1,1,0]
	v_perm_b32 v1, v174, v18, 0x6050401
	v_perm_b32 v5, v18, v175, 0x7060403
	s_set_vgpr_msb 4                        ;  msbs: dst=0 src0=0 src1=1 src2=0
	v_mul_lo_u32 v9, v9, v0 /*v256*/
	s_set_vgpr_msb 1                        ;  msbs: dst=0 src0=1 src1=0 src2=0
	v_dot4_i32_iu8 v12, v22 /*v278*/, v255, v0 neg_lo:[1,1,0]
	s_set_vgpr_msb 0                        ;  msbs: dst=0 src0=0 src1=0 src2=0
	v_perm_b32 v0, v16, v168, 0x6050401
	s_delay_alu instid0(VALU_DEP_1) | instskip(SKIP_2) | instid1(VALU_DEP_2)
	v_dot4_i32_iu8 v0, v1, v0, 0 neg_lo:[1,1,0]
	v_perm_b32 v1, v168, v17, 0x7060403
	s_set_vgpr_msb 5                        ;  msbs: dst=0 src0=1 src1=1 src2=0
	v_dot4_i32_iu8 v0, v5 /*v261*/, v23 /*v279*/, v0 neg_lo:[1,1,0]
	s_set_vgpr_msb 0                        ;  msbs: dst=0 src0=0 src1=0 src2=0
	s_delay_alu instid0(VALU_DEP_1)
	v_dot4_i32_iu8 v13, v5, v1, v0 neg_lo:[1,1,0]
	s_set_vgpr_msb 1                        ;  msbs: dst=0 src0=1 src1=0 src2=0
	ds_load_b64 v[0:1], v6 /*v262*/ offset:43584
	s_set_vgpr_msb 0                        ;  msbs: dst=0 src0=0 src1=0 src2=0
	ds_load_b64 v[4:5], v4 offset:43584
	s_set_vgpr_msb 64                       ;  msbs: dst=1 src0=0 src1=0 src2=0
	v_dot4_i32_iu8 v6 /*v262*/, v173, v31, v8 neg_lo:[1,1,0]
	s_set_vgpr_msb 0                        ;  msbs: dst=0 src0=0 src1=0 src2=0
	v_dot4_i32_iu8 v8, v23, v167, v12 neg_lo:[1,1,0]
	s_set_vgpr_msb 16                       ;  msbs: dst=0 src0=0 src1=0 src2=1
	v_dot4_i32_iu8 v12, v3, v167, v9 /*v265*/ neg_lo:[1,1,0]
	s_set_vgpr_msb 0                        ;  msbs: dst=0 src0=0 src1=0 src2=0
	v_dot4_i32_iu8 v13, v19, v169, v13 neg_lo:[1,1,0]
	s_set_vgpr_msb 4                        ;  msbs: dst=0 src0=0 src1=1 src2=0
	v_mul_lo_u32 v8, v8, v1 /*v257*/
	v_mad_u32 v9, v12, v1 /*v257*/, v9
	s_delay_alu instid0(VALU_DEP_2)
	v_mad_u32 v8, v13, v0 /*v256*/, v8
	s_wait_dscnt 0x0
	v_dual_mov_b32 v13, v0 :: v_dual_mov_b32 v12, v4
	s_set_vgpr_msb 1                        ;  msbs: dst=0 src0=1 src1=0 src2=0
	v_mul_lo_u32 v0, v8 /*v264*/, v247
	v_mul_lo_u32 v4, v6 /*v262*/, v248
	s_set_vgpr_msb 0                        ;  msbs: dst=0 src0=0 src1=0 src2=0
	v_cvt_f32_i32_e32 v9, v9
	s_set_vgpr_msb 0x50                     ;  msbs: dst=1 src0=0 src1=0 src2=1
	v_dot4_i32_iu8 v8 /*v264*/, v141, v11, v12 /*v268*/ neg_lo:[1,1,0]
	s_set_vgpr_msb 0                        ;  msbs: dst=0 src0=0 src1=0 src2=0
	v_cvt_f32_i32_e32 v8, v8
	s_set_vgpr_msb 1                        ;  msbs: dst=0 src0=1 src1=0 src2=0
	v_mad_u32 v0, v7 /*v263*/, v248, v0
	v_mad_u32 v4, v24 /*v280*/, v247, v4
	s_set_vgpr_msb 0                        ;  msbs: dst=0 src0=0 src1=0 src2=0
	v_pk_fma_f32 v[8:9], v[12:13], v[8:9], 0 op_sel_hi:[1,1,0]
	s_set_vgpr_msb 64                       ;  msbs: dst=1 src0=0 src1=0 src2=0
	s_delay_alu instid0(VALU_DEP_3) | instskip(NEXT) | instid1(VALU_DEP_3)
	v_cvt_f32_i32_e32 v7 /*v263*/, v0
	v_cvt_f32_i32_e32 v6 /*v262*/, v4
	s_set_vgpr_msb 4                        ;  msbs: dst=0 src0=0 src1=1 src2=0
	v_mov_b32_e32 v0, v5
	s_delay_alu instid0(VALU_DEP_1)
	v_pk_fma_f32 v[4:5], v[0:1], v[6:7] /*v[262:263]*/, v[8:9]
	s_set_vgpr_msb 0                        ;  msbs: dst=0 src0=0 src1=0 src2=0
	v_perm_b32 v8, v142, v26, 0x6040501
	v_perm_b32 v9, v26, v143, 0x7060403
	s_set_vgpr_msb 64                       ;  msbs: dst=1 src0=0 src1=0 src2=0
	v_perm_b32 v7 /*v263*/, v136, v18, 0x6050401
	v_perm_b32 v6 /*v262*/, v21, v20, 0x6040503
	s_set_vgpr_msb 0                        ;  msbs: dst=0 src0=0 src1=0 src2=0
	v_pk_fma_f32 v[86:87], v[116:117], v[4:5], v[86:87]
	v_perm_b32 v5, v30, v30, 0xc0c0c01
	v_perm_b32 v4, v28, v33, 0x6040503
	s_delay_alu instid0(VALU_DEP_2) | instskip(NEXT) | instid1(VALU_DEP_1)
	v_or_b32_e32 v5, v249, v5
	v_dot4_i32_iu8 v4, v5, v4, 0 neg_lo:[1,1,0]
	v_perm_b32 v5, v24, v140, 0x6040501
	s_set_vgpr_msb 1                        ;  msbs: dst=0 src0=1 src1=0 src2=0
	s_delay_alu instid0(VALU_DEP_2) | instskip(SKIP_1) | instid1(VALU_DEP_2)
	v_dot4_i32_iu8 v4, v19 /*v275*/, v250, v4 neg_lo:[1,1,0]
	s_set_vgpr_msb 0                        ;  msbs: dst=0 src0=0 src1=0 src2=0
	v_dot4_i32_iu8 v5, v8, v5, 0 neg_lo:[1,1,0]
	v_perm_b32 v8, v25, v24, 0x6040503
	s_set_vgpr_msb 4                        ;  msbs: dst=0 src0=0 src1=1 src2=0
	v_dot4_i32_iu8 v4, v251, v20 /*v276*/, v4 neg_lo:[1,1,0]
	s_set_vgpr_msb 0                        ;  msbs: dst=0 src0=0 src1=0 src2=0
	s_delay_alu instid0(VALU_DEP_2) | instskip(SKIP_1) | instid1(VALU_DEP_1)
	v_dot4_i32_iu8 v5, v231, v8, v5 neg_lo:[1,1,0]
	v_perm_b32 v8, v140, v25, 0x7060403
	v_dot4_i32_iu8 v5, v9, v8, v5 neg_lo:[1,1,0]
	v_perm_b32 v8, v20, v132, 0x6050401
	v_perm_b32 v9, v138, v22, 0x6050401
	s_set_vgpr_msb 64                       ;  msbs: dst=1 src0=0 src1=0 src2=0
	s_delay_alu instid0(VALU_DEP_3) | instskip(SKIP_4) | instid1(VALU_DEP_3)
	v_dot4_i32_iu8 v10 /*v266*/, v27, v141, v5 neg_lo:[1,1,0]
	s_set_vgpr_msb 16                       ;  msbs: dst=0 src0=0 src1=0 src2=1
	v_dot4_i32_iu8 v5, v7, v135, v14 /*v270*/ neg_lo:[1,1,0]
	v_dot4_i32_iu8 v8, v9, v8, 0 neg_lo:[1,1,0]
	v_perm_b32 v9, v16, v134, 0x6050401
	v_mul_lo_u32 v5, v5, v245
	s_set_vgpr_msb 4                        ;  msbs: dst=0 src0=0 src1=1 src2=0
	s_delay_alu instid0(VALU_DEP_3)
	v_dot4_i32_iu8 v8, v232, v6 /*v262*/, v8 neg_lo:[1,1,0]
	s_set_vgpr_msb 1                        ;  msbs: dst=0 src0=1 src1=0 src2=0
	v_dot4_i32_iu8 v9, v7 /*v263*/, v9, 0 neg_lo:[1,1,0]
	s_set_vgpr_msb 64                       ;  msbs: dst=1 src0=0 src1=0 src2=0
	v_perm_b32 v7 /*v263*/, v18, v17, 0x7060403
	s_set_vgpr_msb 4                        ;  msbs: dst=0 src0=0 src1=1 src2=0
	v_dot4_i32_iu8 v8, v233, v22 /*v278*/, v8 neg_lo:[1,1,0]
	v_dot4_i32_iu8 v9, v234, v23 /*v279*/, v9 neg_lo:[1,1,0]
	s_delay_alu instid0(VALU_DEP_1) | instskip(SKIP_3) | instid1(VALU_DEP_2)
	v_dot4_i32_iu8 v9, v237, v7 /*v263*/, v9 neg_lo:[1,1,0]
	s_set_vgpr_msb 64                       ;  msbs: dst=1 src0=0 src1=0 src2=0
	v_perm_b32 v7 /*v263*/, v31, v31, 0x3020001
	s_set_vgpr_msb 0                        ;  msbs: dst=0 src0=0 src1=0 src2=0
	v_dot4_i32_iu8 v9, v19, v135, v9 neg_lo:[1,1,0]
	s_set_vgpr_msb 0x44                     ;  msbs: dst=1 src0=0 src1=1 src2=0
	s_delay_alu instid0(VALU_DEP_2) | instskip(SKIP_3) | instid1(VALU_DEP_1)
	v_dot4_i32_iu8 v7 /*v263*/, v246, v7 /*v263*/, v4 neg_lo:[1,1,0]
	s_set_vgpr_msb 0                        ;  msbs: dst=0 src0=0 src1=0 src2=0
	v_perm_b32 v4, v15, v15, 0x3020001
	s_set_vgpr_msb 0x50                     ;  msbs: dst=1 src0=0 src1=0 src2=1
	v_dot4_i32_iu8 v9 /*v265*/, v4, v246, v11 /*v267*/ neg_lo:[1,1,0]
	s_set_vgpr_msb 0                        ;  msbs: dst=0 src0=0 src1=0 src2=0
	v_dot4_i32_iu8 v4, v23, v133, v8 neg_lo:[1,1,0]
	s_set_vgpr_msb 16                       ;  msbs: dst=0 src0=0 src1=0 src2=1
	v_dot4_i32_iu8 v8, v3, v133, v13 /*v269*/ neg_lo:[1,1,0]
	s_delay_alu instid0(VALU_DEP_2) | instskip(SKIP_1) | instid1(VALU_DEP_2)
	v_mul_lo_u32 v4, v4, v244
	s_set_vgpr_msb 0                        ;  msbs: dst=0 src0=0 src1=0 src2=0
	v_mad_u32 v5, v8, v244, v5
	s_set_vgpr_msb 1                        ;  msbs: dst=0 src0=1 src1=0 src2=0
	v_mul_lo_u32 v8, v8 /*v264*/, v242
	s_set_vgpr_msb 64                       ;  msbs: dst=1 src0=0 src1=0 src2=0
	v_perm_b32 v8 /*v264*/, v18, v155, 0x7060403
	s_set_vgpr_msb 0                        ;  msbs: dst=0 src0=0 src1=0 src2=0
	s_delay_alu instid0(VALU_DEP_4) | instskip(SKIP_2) | instid1(VALU_DEP_4)
	v_mad_u32 v4, v9, v245, v4
	s_set_vgpr_msb 1                        ;  msbs: dst=0 src0=1 src1=0 src2=0
	v_mul_lo_u32 v9, v7 /*v263*/, v243
	v_mad_u32 v8, v9 /*v265*/, v243, v8
	s_set_vgpr_msb 0                        ;  msbs: dst=0 src0=0 src1=0 src2=0
	v_cvt_f32_i32_e32 v5, v5
	s_set_vgpr_msb 0x50                     ;  msbs: dst=1 src0=0 src1=0 src2=1
	v_dot4_i32_iu8 v9 /*v265*/, v15, v157, v15 /*v271*/ neg_lo:[1,1,0]
	s_set_vgpr_msb 0                        ;  msbs: dst=0 src0=0 src1=0 src2=0
	v_cvt_f32_i32_e32 v4, v4
	s_set_vgpr_msb 0x41                     ;  msbs: dst=1 src0=1 src1=0 src2=0
	v_mad_u32 v7 /*v263*/, v10 /*v266*/, v242, v9
	s_set_vgpr_msb 0                        ;  msbs: dst=0 src0=0 src1=0 src2=0
	v_cvt_f32_i32_e32 v9, v8
	v_pk_fma_f32 v[4:5], v[12:13], v[4:5], 0 op_sel_hi:[1,1,0]
	s_set_vgpr_msb 1                        ;  msbs: dst=0 src0=1 src1=0 src2=0
	s_delay_alu instid0(VALU_DEP_3) | instskip(SKIP_3) | instid1(VALU_DEP_2)
	v_cvt_f32_i32_e32 v8, v7 /*v263*/
	s_set_vgpr_msb 64                       ;  msbs: dst=1 src0=0 src1=0 src2=0
	v_perm_b32 v7 /*v263*/, v22, v149, 0x7060403
	s_set_vgpr_msb 0                        ;  msbs: dst=0 src0=0 src1=0 src2=0
	v_pk_fma_f32 v[4:5], v[0:1], v[8:9], v[4:5]
	v_perm_b32 v8, v29, v153, 0x6040503
	v_perm_b32 v9, v25, v156, 0x6040503
	s_delay_alu instid0(VALU_DEP_3) | instskip(SKIP_2) | instid1(VALU_DEP_1)
	v_pk_fma_f32 v[92:93], v[118:119], v[4:5], v[92:93]
	v_perm_b32 v4, v28, v159, 0x6040501
	v_perm_b32 v5, v153, v30, 0x6040501
	v_dot4_i32_iu8 v4, v5, v4, 0 neg_lo:[1,1,0]
	v_perm_b32 v5, v158, v28, 0x6040503
	s_delay_alu instid0(VALU_DEP_1) | instskip(SKIP_3) | instid1(VALU_DEP_3)
	v_dot4_i32_iu8 v4, v8, v5, v4 neg_lo:[1,1,0]
	v_perm_b32 v5, v24, v161, 0x6040501
	v_perm_b32 v8, v156, v26, 0x6040501
	s_set_vgpr_msb 4                        ;  msbs: dst=0 src0=0 src1=1 src2=0
	v_dot4_i32_iu8 v4, v227, v20 /*v276*/, v4 neg_lo:[1,1,0]
	s_set_vgpr_msb 0                        ;  msbs: dst=0 src0=0 src1=0 src2=0
	s_delay_alu instid0(VALU_DEP_2) | instskip(SKIP_1) | instid1(VALU_DEP_1)
	v_dot4_i32_iu8 v5, v8, v5, 0 neg_lo:[1,1,0]
	v_perm_b32 v8, v160, v24, 0x6040503
	v_dot4_i32_iu8 v5, v9, v8, v5 neg_lo:[1,1,0]
	v_perm_b32 v8, v20, v144, 0x6050401
	v_perm_b32 v9, v148, v22, 0x6050401
	s_set_vgpr_msb 4                        ;  msbs: dst=0 src0=0 src1=1 src2=0
	s_delay_alu instid0(VALU_DEP_3) | instskip(SKIP_1) | instid1(VALU_DEP_2)
	v_dot4_i32_iu8 v5, v240, v21 /*v277*/, v5 neg_lo:[1,1,0]
	s_set_vgpr_msb 0                        ;  msbs: dst=0 src0=0 src1=0 src2=0
	v_dot4_i32_iu8 v8, v9, v8, 0 neg_lo:[1,1,0]
	v_perm_b32 v9, v144, v21, 0x7060403
	s_set_vgpr_msb 64                       ;  msbs: dst=1 src0=0 src1=0 src2=0
	v_dot4_i32_iu8 v10 /*v266*/, v27, v152, v5 neg_lo:[1,1,0]
	s_set_vgpr_msb 16                       ;  msbs: dst=0 src0=0 src1=0 src2=1
	v_dot4_i32_iu8 v5, v7, v147, v18 /*v274*/ neg_lo:[1,1,0]
	s_set_vgpr_msb 4                        ;  msbs: dst=0 src0=0 src1=1 src2=0
	v_dot4_i32_iu8 v8, v241, v6 /*v262*/, v8 neg_lo:[1,1,0]
	s_set_vgpr_msb 0                        ;  msbs: dst=0 src0=0 src1=0 src2=0
	s_delay_alu instid0(VALU_DEP_2) | instskip(SKIP_1) | instid1(VALU_DEP_2)
	v_mul_lo_u32 v5, v5, v238
	s_set_vgpr_msb 1                        ;  msbs: dst=0 src0=1 src1=0 src2=0
	v_dot4_i32_iu8 v8, v7 /*v263*/, v9, v8 neg_lo:[1,1,0]
	s_set_vgpr_msb 0                        ;  msbs: dst=0 src0=0 src1=0 src2=0
	v_perm_b32 v9, v16, v146, 0x6050401
	s_set_vgpr_msb 64                       ;  msbs: dst=1 src0=0 src1=0 src2=0
	v_perm_b32 v7 /*v263*/, v154, v18, 0x6050401
	s_set_vgpr_msb 1                        ;  msbs: dst=0 src0=1 src1=0 src2=0
	s_delay_alu instid0(VALU_DEP_1) | instskip(SKIP_3) | instid1(VALU_DEP_2)
	v_dot4_i32_iu8 v9, v7 /*v263*/, v9, 0 neg_lo:[1,1,0]
	s_set_vgpr_msb 64                       ;  msbs: dst=1 src0=0 src1=0 src2=0
	v_perm_b32 v7 /*v263*/, v146, v17, 0x7060403
	s_set_vgpr_msb 4                        ;  msbs: dst=0 src0=0 src1=1 src2=0
	v_dot4_i32_iu8 v9, v253, v23 /*v279*/, v9 neg_lo:[1,1,0]
	s_set_vgpr_msb 5                        ;  msbs: dst=0 src0=1 src1=1 src2=0
	s_delay_alu instid0(VALU_DEP_1)
	v_dot4_i32_iu8 v9, v8 /*v264*/, v7 /*v263*/, v9 neg_lo:[1,1,0]
	s_set_vgpr_msb 64                       ;  msbs: dst=1 src0=0 src1=0 src2=0
	v_dot4_i32_iu8 v7 /*v263*/, v157, v31, v4 neg_lo:[1,1,0]
	s_set_vgpr_msb 0                        ;  msbs: dst=0 src0=0 src1=0 src2=0
	v_dot4_i32_iu8 v4, v23, v145, v8 neg_lo:[1,1,0]
	s_set_vgpr_msb 0x50                     ;  msbs: dst=1 src0=0 src1=0 src2=1
	v_dot4_i32_iu8 v8 /*v264*/, v152, v11, v16 /*v272*/ neg_lo:[1,1,0]
	s_set_vgpr_msb 16                       ;  msbs: dst=0 src0=0 src1=0 src2=1
	v_dot4_i32_iu8 v8, v3, v145, v17 /*v273*/ neg_lo:[1,1,0]
	s_set_vgpr_msb 0                        ;  msbs: dst=0 src0=0 src1=0 src2=0
	v_dot4_i32_iu8 v9, v19, v147, v9 neg_lo:[1,1,0]
	v_dot4_i32_iu8 v11, v15, v129, v14 neg_lo:[1,1,0]
	v_mul_lo_u32 v4, v4, v239
	v_mad_u32 v5, v8, v239, v5
	s_set_vgpr_msb 1                        ;  msbs: dst=0 src0=1 src1=0 src2=0
	v_mul_lo_u32 v8, v8 /*v264*/, v236
	s_set_vgpr_msb 0                        ;  msbs: dst=0 src0=0 src1=0 src2=0
	s_delay_alu instid0(VALU_DEP_3) | instskip(SKIP_3) | instid1(VALU_DEP_4)
	v_mad_u32 v4, v9, v238, v4
	s_set_vgpr_msb 1                        ;  msbs: dst=0 src0=1 src1=0 src2=0
	v_mul_lo_u32 v9, v7 /*v263*/, v235
	s_set_vgpr_msb 0                        ;  msbs: dst=0 src0=0 src1=0 src2=0
	v_cvt_f32_i32_e32 v5, v5
	s_set_vgpr_msb 1                        ;  msbs: dst=0 src0=1 src1=0 src2=0
	s_delay_alu instid0(VALU_DEP_4) | instskip(SKIP_1) | instid1(VALU_DEP_4)
	v_mad_u32 v8, v9 /*v265*/, v235, v8
	s_set_vgpr_msb 0                        ;  msbs: dst=0 src0=0 src1=0 src2=0
	v_cvt_f32_i32_e32 v4, v4
	s_set_vgpr_msb 0x41                     ;  msbs: dst=1 src0=1 src1=0 src2=0
	s_delay_alu instid0(VALU_DEP_4) | instskip(SKIP_1) | instid1(VALU_DEP_3)
	v_mad_u32 v7 /*v263*/, v10 /*v266*/, v236, v9
	s_set_vgpr_msb 0                        ;  msbs: dst=0 src0=0 src1=0 src2=0
	v_cvt_f32_i32_e32 v9, v8
	v_pk_fma_f32 v[4:5], v[12:13], v[4:5], 0 op_sel_hi:[1,1,0]
	s_set_vgpr_msb 1                        ;  msbs: dst=0 src0=1 src1=0 src2=0
	s_delay_alu instid0(VALU_DEP_3) | instskip(SKIP_1) | instid1(VALU_DEP_1)
	v_cvt_f32_i32_e32 v8, v7 /*v263*/
	s_set_vgpr_msb 0                        ;  msbs: dst=0 src0=0 src1=0 src2=0
	v_pk_fma_f32 v[4:5], v[0:1], v[8:9], v[4:5]
	v_perm_b32 v8, v29, v127, 0x6040503
	v_perm_b32 v9, v25, v128, 0x6040503
	s_delay_alu instid0(VALU_DEP_3) | instskip(SKIP_2) | instid1(VALU_DEP_1)
	v_pk_fma_f32 v[100:101], v[120:121], v[4:5], v[100:101]
	v_perm_b32 v4, v28, v163, 0x6040501
	v_perm_b32 v5, v127, v30, 0x6040501
	v_dot4_i32_iu8 v4, v5, v4, 0 neg_lo:[1,1,0]
	v_perm_b32 v5, v162, v28, 0x6040503
	s_delay_alu instid0(VALU_DEP_1) | instskip(SKIP_3) | instid1(VALU_DEP_3)
	v_dot4_i32_iu8 v4, v8, v5, v4 neg_lo:[1,1,0]
	v_perm_b32 v5, v24, v165, 0x6040501
	v_perm_b32 v8, v128, v26, 0x6040501
	s_set_vgpr_msb 4                        ;  msbs: dst=0 src0=0 src1=1 src2=0
	v_dot4_i32_iu8 v4, v228, v20 /*v276*/, v4 neg_lo:[1,1,0]
	s_set_vgpr_msb 0                        ;  msbs: dst=0 src0=0 src1=0 src2=0
	s_delay_alu instid0(VALU_DEP_2) | instskip(SKIP_1) | instid1(VALU_DEP_3)
	v_dot4_i32_iu8 v5, v8, v5, 0 neg_lo:[1,1,0]
	v_perm_b32 v8, v164, v24, 0x6040503
	v_dot4_i32_iu8 v4, v129, v31, v4 neg_lo:[1,1,0]
	s_delay_alu instid0(VALU_DEP_2)
	v_dot4_i32_iu8 v5, v9, v8, v5 neg_lo:[1,1,0]
	v_perm_b32 v8, v20, v34, 0x6050401
	v_perm_b32 v9, v150, v22, 0x6050401
	v_perm_b32 v20, v22, v151, 0x7060403
	v_mul_lo_u32 v4, v4, v32
	s_set_vgpr_msb 4                        ;  msbs: dst=0 src0=0 src1=1 src2=0
	v_dot4_i32_iu8 v5, v230, v21 /*v277*/, v5 neg_lo:[1,1,0]
	s_set_vgpr_msb 0                        ;  msbs: dst=0 src0=0 src1=0 src2=0
	v_dot4_i32_iu8 v8, v9, v8, 0 neg_lo:[1,1,0]
	v_perm_b32 v9, v34, v21, 0x7060403
	s_delay_alu instid0(VALU_DEP_3) | instskip(SKIP_1) | instid1(VALU_DEP_3)
	v_dot4_i32_iu8 v5, v27, v126, v5 neg_lo:[1,1,0]
	s_set_vgpr_msb 4                        ;  msbs: dst=0 src0=0 src1=1 src2=0
	v_dot4_i32_iu8 v8, v229, v6 /*v262*/, v8 neg_lo:[1,1,0]
	s_set_vgpr_msb 0                        ;  msbs: dst=0 src0=0 src1=0 src2=0
	s_delay_alu instid0(VALU_DEP_2) | instskip(SKIP_1) | instid1(VALU_DEP_3)
	v_mad_u32 v4, v5, v137, v4
	v_mad_u32 v5, v11, v32, v6
	v_dot4_i32_iu8 v8, v20, v9, v8 neg_lo:[1,1,0]
	v_perm_b32 v9, v16, v124, 0x6050401
	v_perm_b32 v16, v130, v18, 0x6050401
	s_delay_alu instid0(VALU_DEP_3) | instskip(NEXT) | instid1(VALU_DEP_2)
	v_dot4_i32_iu8 v8, v23, v35, v8 neg_lo:[1,1,0]
	v_dot4_i32_iu8 v9, v16, v9, 0 neg_lo:[1,1,0]
	v_perm_b32 v16, v124, v17, 0x7060403
	v_perm_b32 v17, v18, v131, 0x7060403
	s_delay_alu instid0(VALU_DEP_4)
	v_mul_lo_u32 v7, v8, v171
	v_cvt_f32_i32_e32 v5, v5
	s_set_vgpr_msb 4                        ;  msbs: dst=0 src0=0 src1=1 src2=0
	v_dot4_i32_iu8 v9, v252, v23 /*v279*/, v9 neg_lo:[1,1,0]
	v_cvt_f32_i32_e32 v4, v4
	s_set_vgpr_msb 0                        ;  msbs: dst=0 src0=0 src1=0 src2=0
	s_delay_alu instid0(VALU_DEP_2) | instskip(NEXT) | instid1(VALU_DEP_1)
	v_dot4_i32_iu8 v9, v17, v16, v9 neg_lo:[1,1,0]
	v_dot4_i32_iu8 v3, v19, v125, v9 neg_lo:[1,1,0]
	s_delay_alu instid0(VALU_DEP_1) | instskip(SKIP_1) | instid1(VALU_DEP_2)
	v_mad_u32 v7, v3, v139, v7
	v_cvt_f32_i32_e32 v3, v2
	v_cvt_f32_i32_e32 v2, v7
	s_delay_alu instid0(VALU_DEP_1) | instskip(NEXT) | instid1(VALU_DEP_1)
	v_pk_fma_f32 v[2:3], v[12:13], v[2:3], 0 op_sel_hi:[1,1,0]
	v_pk_fma_f32 v[0:1], v[0:1], v[4:5], v[2:3]
	s_delay_alu instid0(VALU_DEP_1) | instskip(SKIP_1) | instid1(VALU_DEP_1)
	v_pk_fma_f32 v[108:109], v[122:123], v[0:1], v[108:109]
	v_or_b32_e32 v0, s5, v212
	v_lshlrev_b32_e32 v12, 2, v0
	s_set_vgpr_msb 64                       ;  msbs: dst=1 src0=0 src1=0 src2=0
	v_lshrrev_b32_e32 v15 /*v271*/, 1, v0
	s_set_vgpr_msb 0                        ;  msbs: dst=0 src0=0 src1=0 src2=0
	ds_load_b128 v[4:7], v12 offset:33280
	ds_load_b128 v[0:3], v12 offset:33296
	ds_load_b128 v[8:11], v12 offset:33312
	ds_load_b128 v[12:15], v12 offset:33328
	s_wait_dscnt 0x3
	v_perm_b32 v22, v168, v5, 0x7060403
	s_wait_dscnt 0x2
	v_perm_b32 v21, v1, v176, 0x6040503
	;; [unrolled: 2-line block ×4, first 2 shown]
	v_perm_b32 v17, v13, v12, 0x6040503
	v_perm_b32 v18, v14, v13, 0x7060403
	;; [unrolled: 1-line block ×4, first 2 shown]
	s_set_vgpr_msb 4                        ;  msbs: dst=0 src0=0 src1=1 src2=0
	v_dot4_i32_iu8 v16, v16, v2 /*v258*/, 0 neg_lo:[1,1,0]
	s_delay_alu instid0(VALU_DEP_1) | instskip(SKIP_1) | instid1(VALU_DEP_1)
	v_dot4_i32_iu8 v16, v17, v3 /*v259*/, v16 neg_lo:[1,1,0]
	s_set_vgpr_msb 64                       ;  msbs: dst=1 src0=0 src1=0 src2=0
	v_dot4_i32_iu8 v16 /*v272*/, v18, v254, v16 neg_lo:[1,1,0]
	s_set_vgpr_msb 0                        ;  msbs: dst=0 src0=0 src1=0 src2=0
	v_perm_b32 v16, v8, v179, 0x6040501
	s_delay_alu instid0(VALU_DEP_1) | instskip(SKIP_1) | instid1(VALU_DEP_1)
	v_dot4_i32_iu8 v16, v19, v16, 0 neg_lo:[1,1,0]
	v_perm_b32 v19, v178, v8, 0x6040503
	v_dot4_i32_iu8 v16, v20, v19, v16 neg_lo:[1,1,0]
	v_perm_b32 v19, v10, v9, 0x7060403
	v_perm_b32 v20, v176, v2, 0x6050401
	s_set_vgpr_msb 0x41                     ;  msbs: dst=1 src0=1 src1=0 src2=0
	s_delay_alu instid0(VALU_DEP_2) | instskip(SKIP_2) | instid1(VALU_DEP_1)
	v_dot4_i32_iu8 v17 /*v273*/, v4 /*v260*/, v19, v16 neg_lo:[1,1,0]
	s_set_vgpr_msb 0                        ;  msbs: dst=0 src0=0 src1=0 src2=0
	v_perm_b32 v16, v0, v166, 0x6050401
	v_dot4_i32_iu8 v16, v20, v16, 0 neg_lo:[1,1,0]
	v_perm_b32 v20, v177, v0, 0x6040503
	s_delay_alu instid0(VALU_DEP_1) | instskip(SKIP_3) | instid1(VALU_DEP_2)
	v_dot4_i32_iu8 v16, v21, v20, v16 neg_lo:[1,1,0]
	v_perm_b32 v20, v2, v1, 0x7060403
	v_perm_b32 v21, v174, v6, 0x6050401
	s_set_vgpr_msb 64                       ;  msbs: dst=1 src0=0 src1=0 src2=0
	v_dot4_i32_iu8 v18 /*v274*/, v20, v255, v16 neg_lo:[1,1,0]
	s_set_vgpr_msb 0                        ;  msbs: dst=0 src0=0 src1=0 src2=0
	v_perm_b32 v16, v4, v168, 0x6050401
	s_delay_alu instid0(VALU_DEP_1) | instskip(SKIP_2) | instid1(VALU_DEP_1)
	v_dot4_i32_iu8 v16, v21, v16, 0 neg_lo:[1,1,0]
	v_perm_b32 v21, v5, v4, 0x6040503
	s_set_vgpr_msb 1                        ;  msbs: dst=0 src0=1 src1=0 src2=0
	v_dot4_i32_iu8 v16, v5 /*v261*/, v21, v16 neg_lo:[1,1,0]
	s_set_vgpr_msb 64                       ;  msbs: dst=1 src0=0 src1=0 src2=0
	s_delay_alu instid0(VALU_DEP_1) | instskip(SKIP_3) | instid1(VALU_DEP_2)
	v_dot4_i32_iu8 v19 /*v275*/, v23, v22, v16 neg_lo:[1,1,0]
	s_set_vgpr_msb 0                        ;  msbs: dst=0 src0=0 src1=0 src2=0
	v_perm_b32 v22, v14, v14, 0xc0c0c01
	v_perm_b32 v16, v12, v33, 0x6040503
	v_or_b32_e32 v22, v249, v22
	s_delay_alu instid0(VALU_DEP_1) | instskip(SKIP_1) | instid1(VALU_DEP_2)
	v_dot4_i32_iu8 v16, v22, v16, 0 neg_lo:[1,1,0]
	v_perm_b32 v22, v10, v143, 0x7060403
	v_dot4_i32_iu8 v16, v17, v250, v16 neg_lo:[1,1,0]
	v_perm_b32 v17, v142, v10, 0x6040501
	s_set_vgpr_msb 64                       ;  msbs: dst=1 src0=0 src1=0 src2=0
	s_delay_alu instid0(VALU_DEP_2) | instskip(SKIP_2) | instid1(VALU_DEP_1)
	v_dot4_i32_iu8 v10 /*v266*/, v251, v18, v16 neg_lo:[1,1,0]
	s_set_vgpr_msb 0                        ;  msbs: dst=0 src0=0 src1=0 src2=0
	v_perm_b32 v16, v8, v140, 0x6040501
	v_dot4_i32_iu8 v16, v17, v16, 0 neg_lo:[1,1,0]
	v_perm_b32 v17, v9, v8, 0x6040503
	s_delay_alu instid0(VALU_DEP_1) | instskip(SKIP_2) | instid1(VALU_DEP_1)
	v_dot4_i32_iu8 v16, v231, v17, v16 neg_lo:[1,1,0]
	v_perm_b32 v17, v140, v9, 0x7060403
	s_set_vgpr_msb 64                       ;  msbs: dst=1 src0=0 src1=0 src2=0
	v_dot4_i32_iu8 v12 /*v268*/, v22, v17, v16 neg_lo:[1,1,0]
	s_set_vgpr_msb 0                        ;  msbs: dst=0 src0=0 src1=0 src2=0
	v_perm_b32 v16, v0, v132, 0x6050401
	v_perm_b32 v17, v138, v2, 0x6050401
	;; [unrolled: 1-line block ×4, first 2 shown]
	s_delay_alu instid0(VALU_DEP_3) | instskip(SKIP_1) | instid1(VALU_DEP_1)
	v_dot4_i32_iu8 v16, v17, v16, 0 neg_lo:[1,1,0]
	v_perm_b32 v17, v1, v0, 0x6040503
	v_dot4_i32_iu8 v16, v232, v17, v16 neg_lo:[1,1,0]
	s_set_vgpr_msb 64                       ;  msbs: dst=1 src0=0 src1=0 src2=0
	s_delay_alu instid0(VALU_DEP_1) | instskip(SKIP_3) | instid1(VALU_DEP_1)
	v_dot4_i32_iu8 v11 /*v267*/, v233, v20, v16 neg_lo:[1,1,0]
	s_set_vgpr_msb 0                        ;  msbs: dst=0 src0=0 src1=0 src2=0
	v_perm_b32 v16, v4, v134, 0x6050401
	v_perm_b32 v20, v136, v6, 0x6050401
	v_dot4_i32_iu8 v16, v20, v16, 0 neg_lo:[1,1,0]
	v_perm_b32 v20, v6, v5, 0x7060403
	s_delay_alu instid0(VALU_DEP_2) | instskip(SKIP_1) | instid1(VALU_DEP_1)
	v_dot4_i32_iu8 v16, v234, v21, v16 neg_lo:[1,1,0]
	s_set_vgpr_msb 64                       ;  msbs: dst=1 src0=0 src1=0 src2=0
	v_dot4_i32_iu8 v13 /*v269*/, v237, v20, v16 neg_lo:[1,1,0]
	s_set_vgpr_msb 0                        ;  msbs: dst=0 src0=0 src1=0 src2=0
	v_perm_b32 v16, v12, v159, 0x6040501
	v_perm_b32 v20, v153, v14, 0x6040501
	;; [unrolled: 1-line block ×3, first 2 shown]
	s_delay_alu instid0(VALU_DEP_2) | instskip(SKIP_1) | instid1(VALU_DEP_1)
	v_dot4_i32_iu8 v16, v20, v16, 0 neg_lo:[1,1,0]
	v_perm_b32 v20, v158, v12, 0x6040503
	v_dot4_i32_iu8 v16, v22, v20, v16 neg_lo:[1,1,0]
	v_perm_b32 v20, v156, v10, 0x6040501
	v_perm_b32 v22, v9, v156, 0x6040503
	v_perm_b32 v10, v128, v10, 0x6040501
	v_perm_b32 v9, v9, v128, 0x6040503
	s_set_vgpr_msb 64                       ;  msbs: dst=1 src0=0 src1=0 src2=0
	v_dot4_i32_iu8 v6 /*v262*/, v227, v18, v16 neg_lo:[1,1,0]
	s_set_vgpr_msb 0                        ;  msbs: dst=0 src0=0 src1=0 src2=0
	v_perm_b32 v16, v8, v161, 0x6040501
	s_delay_alu instid0(VALU_DEP_1) | instskip(SKIP_1) | instid1(VALU_DEP_1)
	v_dot4_i32_iu8 v16, v20, v16, 0 neg_lo:[1,1,0]
	v_perm_b32 v20, v160, v8, 0x6040503
	v_dot4_i32_iu8 v16, v22, v20, v16 neg_lo:[1,1,0]
	v_perm_b32 v20, v148, v2, 0x6050401
	v_perm_b32 v22, v2, v149, 0x7060403
	s_set_vgpr_msb 64                       ;  msbs: dst=1 src0=0 src1=0 src2=0
	s_delay_alu instid0(VALU_DEP_3) | instskip(SKIP_3) | instid1(VALU_DEP_2)
	v_dot4_i32_iu8 v7 /*v263*/, v240, v19, v16 neg_lo:[1,1,0]
	s_set_vgpr_msb 0                        ;  msbs: dst=0 src0=0 src1=0 src2=0
	v_perm_b32 v16, v0, v144, 0x6050401
	v_perm_b32 v0, v0, v34, 0x6050401
	v_dot4_i32_iu8 v16, v20, v16, 0 neg_lo:[1,1,0]
	v_perm_b32 v20, v144, v1, 0x7060403
	v_perm_b32 v1, v34, v1, 0x7060403
	s_delay_alu instid0(VALU_DEP_3) | instskip(SKIP_1) | instid1(VALU_DEP_1)
	v_dot4_i32_iu8 v16, v241, v17, v16 neg_lo:[1,1,0]
	s_set_vgpr_msb 64                       ;  msbs: dst=1 src0=0 src1=0 src2=0
	v_dot4_i32_iu8 v8 /*v264*/, v22, v20, v16 neg_lo:[1,1,0]
	s_set_vgpr_msb 0                        ;  msbs: dst=0 src0=0 src1=0 src2=0
	v_perm_b32 v16, v4, v146, 0x6050401
	v_perm_b32 v20, v154, v6, 0x6050401
	;; [unrolled: 1-line block ×3, first 2 shown]
	s_delay_alu instid0(VALU_DEP_2) | instskip(SKIP_1) | instid1(VALU_DEP_2)
	v_dot4_i32_iu8 v16, v20, v16, 0 neg_lo:[1,1,0]
	v_perm_b32 v20, v146, v5, 0x7060403
	v_dot4_i32_iu8 v16, v253, v21, v16 neg_lo:[1,1,0]
	s_set_vgpr_msb 64                       ;  msbs: dst=1 src0=0 src1=0 src2=0
	s_delay_alu instid0(VALU_DEP_1) | instskip(SKIP_3) | instid1(VALU_DEP_2)
	v_dot4_i32_iu8 v9 /*v265*/, v22, v20, v16 neg_lo:[1,1,0]
	s_set_vgpr_msb 0                        ;  msbs: dst=0 src0=0 src1=0 src2=0
	v_perm_b32 v16, v12, v163, 0x6040501
	v_perm_b32 v12, v162, v12, 0x6040503
	v_dot4_i32_iu8 v14, v14, v16, 0 neg_lo:[1,1,0]
	s_delay_alu instid0(VALU_DEP_1) | instskip(NEXT) | instid1(VALU_DEP_1)
	v_dot4_i32_iu8 v12, v13, v12, v14 neg_lo:[1,1,0]
	v_dot4_i32_iu8 v14, v228, v18, v12 neg_lo:[1,1,0]
	v_perm_b32 v12, v8, v165, 0x6040501
	v_perm_b32 v8, v164, v8, 0x6040503
	s_delay_alu instid0(VALU_DEP_2) | instskip(NEXT) | instid1(VALU_DEP_1)
	v_dot4_i32_iu8 v10, v10, v12, 0 neg_lo:[1,1,0]
	v_dot4_i32_iu8 v8, v9, v8, v10 neg_lo:[1,1,0]
	s_delay_alu instid0(VALU_DEP_1) | instskip(SKIP_2) | instid1(VALU_DEP_3)
	v_dot4_i32_iu8 v10, v230, v19, v8 neg_lo:[1,1,0]
	v_perm_b32 v8, v150, v2, 0x6050401
	v_perm_b32 v2, v2, v151, 0x7060403
	v_dot4_i32_iu8 v10, v126, v11, v10 neg_lo:[1,1,0]
	s_delay_alu instid0(VALU_DEP_3) | instskip(NEXT) | instid1(VALU_DEP_1)
	v_dot4_i32_iu8 v0, v8, v0, 0 neg_lo:[1,1,0]
	v_dot4_i32_iu8 v0, v229, v17, v0 neg_lo:[1,1,0]
	s_delay_alu instid0(VALU_DEP_1) | instskip(SKIP_3) | instid1(VALU_DEP_4)
	v_dot4_i32_iu8 v2, v2, v1, v0 neg_lo:[1,1,0]
	v_perm_b32 v0, v4, v124, 0x6050401
	v_perm_b32 v1, v130, v6, 0x6050401
	;; [unrolled: 1-line block ×3, first 2 shown]
	v_dot4_i32_iu8 v2, v3, v35, v2 neg_lo:[1,1,0]
	s_delay_alu instid0(VALU_DEP_3) | instskip(SKIP_1) | instid1(VALU_DEP_2)
	v_dot4_i32_iu8 v0, v1, v0, 0 neg_lo:[1,1,0]
	v_perm_b32 v1, v124, v5, 0x7060403
	v_dot4_i32_iu8 v0, v252, v21, v0 neg_lo:[1,1,0]
	s_delay_alu instid0(VALU_DEP_1)
	v_dot4_i32_iu8 v6, v4, v1, v0 neg_lo:[1,1,0]
	v_or_b32_e32 v0, s5, v213
	s_add_co_i32 s5, s4, 8
	s_cmp_lt_u32 s4, 24
	s_mov_b32 s4, s5
	v_dot4_i32_iu8 v6, v7, v125, v6 neg_lo:[1,1,0]
	v_lshlrev_b32_e32 v1, 2, v0
	ds_load_b128 v[16:19], v1 offset:33280
	ds_load_b128 v[20:23], v1 offset:33296
	;; [unrolled: 1-line block ×4, first 2 shown]
	v_lshrrev_b32_e32 v4, 1, v0
	v_mul_lo_u32 v6, v6, v139
	s_delay_alu instid0(VALU_DEP_1)
	v_mad_u32 v2, v2, v171, v6
	s_wait_dscnt 0x1
	v_perm_b32 v1, v172, v26, 0x6040501
	s_wait_dscnt 0x0
	v_perm_b32 v0, v28, v30, 0x6040501
	s_set_vgpr_msb 64                       ;  msbs: dst=1 src0=0 src1=0 src2=0
	v_perm_b32 v14 /*v270*/, v29, v28, 0x6040503
	s_set_vgpr_msb 0                        ;  msbs: dst=0 src0=0 src1=0 src2=0
	v_perm_b32 v8, v25, v172, 0x6040503
	v_perm_b32 v172, v26, v25, 0x7060403
	s_set_vgpr_msb 4                        ;  msbs: dst=0 src0=0 src1=1 src2=0
	v_dot4_i32_iu8 v0, v0, v2 /*v258*/, 0 neg_lo:[1,1,0]
	s_set_vgpr_msb 64                       ;  msbs: dst=1 src0=0 src1=0 src2=0
	v_perm_b32 v2 /*v258*/, v30, v29, 0x7060403
	s_set_vgpr_msb 5                        ;  msbs: dst=0 src0=1 src1=1 src2=0
	s_delay_alu instid0(VALU_DEP_2) | instskip(SKIP_1) | instid1(VALU_DEP_1)
	v_dot4_i32_iu8 v0, v14 /*v270*/, v3 /*v259*/, v0 neg_lo:[1,1,0]
	s_set_vgpr_msb 1                        ;  msbs: dst=0 src0=1 src1=0 src2=0
	v_dot4_i32_iu8 v5, v2 /*v258*/, v254, v0 neg_lo:[1,1,0]
	s_set_vgpr_msb 0                        ;  msbs: dst=0 src0=0 src1=0 src2=0
	v_perm_b32 v0, v24, v179, 0x6040501
	s_delay_alu instid0(VALU_DEP_1) | instskip(SKIP_1) | instid1(VALU_DEP_1)
	v_dot4_i32_iu8 v0, v1, v0, 0 neg_lo:[1,1,0]
	v_perm_b32 v1, v178, v24, 0x6040503
	v_dot4_i32_iu8 v0, v8, v1, v0 neg_lo:[1,1,0]
	v_perm_b32 v1, v176, v22, 0x6050401
	v_perm_b32 v8, v21, v176, 0x6040503
	v_perm_b32 v176, v22, v21, 0x7060403
	s_set_vgpr_msb 1                        ;  msbs: dst=0 src0=1 src1=0 src2=0
	v_dot4_i32_iu8 v12, v4 /*v260*/, v172, v0 neg_lo:[1,1,0]
	s_set_vgpr_msb 0                        ;  msbs: dst=0 src0=0 src1=0 src2=0
	v_perm_b32 v0, v20, v166, 0x6050401
	v_perm_b32 v166, v17, v16, 0x6040503
	s_delay_alu instid0(VALU_DEP_2) | instskip(SKIP_1) | instid1(VALU_DEP_1)
	v_dot4_i32_iu8 v0, v1, v0, 0 neg_lo:[1,1,0]
	v_perm_b32 v1, v177, v20, 0x6040503
	v_dot4_i32_iu8 v0, v8, v1, v0 neg_lo:[1,1,0]
	v_perm_b32 v1, v174, v18, 0x6050401
	v_perm_b32 v8, v18, v175, 0x7060403
	s_set_vgpr_msb 16                       ;  msbs: dst=0 src0=0 src1=0 src2=1
	v_dot4_i32_iu8 v174, v170, v11, v17 /*v273*/ neg_lo:[1,1,0]
	s_set_vgpr_msb 0                        ;  msbs: dst=0 src0=0 src1=0 src2=0
	v_dot4_i32_iu8 v170, v27, v170, v12 neg_lo:[1,1,0]
	v_dot4_i32_iu8 v13, v176, v255, v0 neg_lo:[1,1,0]
	v_perm_b32 v0, v16, v168, 0x6050401
	s_set_vgpr_msb 16                       ;  msbs: dst=0 src0=0 src1=0 src2=1
	v_dot4_i32_iu8 v12, v3, v167, v18 /*v274*/ neg_lo:[1,1,0]
	s_delay_alu instid0(VALU_DEP_2)
	v_dot4_i32_iu8 v0, v1, v0, 0 neg_lo:[1,1,0]
	v_perm_b32 v1, v168, v17, 0x7060403
	s_set_vgpr_msb 0                        ;  msbs: dst=0 src0=0 src1=0 src2=0
	v_dot4_i32_iu8 v168, v173, v31, v5 neg_lo:[1,1,0]
	s_set_vgpr_msb 16                       ;  msbs: dst=0 src0=0 src1=0 src2=1
	v_dot4_i32_iu8 v5, v7, v169, v19 /*v275*/ neg_lo:[1,1,0]
	v_dot4_i32_iu8 v173, v15, v173, v16 /*v272*/ neg_lo:[1,1,0]
	s_set_vgpr_msb 1                        ;  msbs: dst=0 src0=1 src1=0 src2=0
	v_dot4_i32_iu8 v0, v5 /*v261*/, v166, v0 neg_lo:[1,1,0]
	s_set_vgpr_msb 4                        ;  msbs: dst=0 src0=0 src1=1 src2=0
	v_mul_lo_u32 v5, v5, v0 /*v256*/
	s_set_vgpr_msb 0                        ;  msbs: dst=0 src0=0 src1=0 src2=0
	s_delay_alu instid0(VALU_DEP_2)
	v_dot4_i32_iu8 v175, v8, v1, v0 neg_lo:[1,1,0]
	s_set_vgpr_msb 1                        ;  msbs: dst=0 src0=1 src1=0 src2=0
	ds_load_b64 v[0:1], v15 /*v271*/ offset:43584
	s_set_vgpr_msb 0                        ;  msbs: dst=0 src0=0 src1=0 src2=0
	ds_load_b64 v[8:9], v4 offset:43584
	v_dot4_i32_iu8 v4, v23, v167, v13 neg_lo:[1,1,0]
	v_dot4_i32_iu8 v13, v19, v169, v175 neg_lo:[1,1,0]
	s_set_vgpr_msb 4                        ;  msbs: dst=0 src0=0 src1=1 src2=0
	s_delay_alu instid0(VALU_DEP_2) | instskip(SKIP_1) | instid1(VALU_DEP_2)
	v_mul_lo_u32 v4, v4, v1 /*v257*/
	v_mad_u32 v5, v12, v1 /*v257*/, v5
	v_mad_u32 v4, v13, v0 /*v256*/, v4
	s_delay_alu instid0(VALU_DEP_2) | instskip(SKIP_4) | instid1(VALU_DEP_4)
	v_cvt_f32_i32_e32 v13, v5
	s_wait_dscnt 0x1
	v_mov_b32_e32 v5, v0
	s_set_vgpr_msb 0                        ;  msbs: dst=0 src0=0 src1=0 src2=0
	v_mul_lo_u32 v0, v174, v247
	v_cvt_f32_i32_e32 v12, v4
	s_wait_dscnt 0x0
	v_mov_b32_e32 v4, v8
	v_mul_lo_u32 v8, v168, v248
	s_delay_alu instid0(VALU_DEP_4) | instskip(NEXT) | instid1(VALU_DEP_3)
	v_mad_u32 v0, v173, v248, v0
	v_pk_fma_f32 v[12:13], v[4:5], v[12:13], 0 op_sel_hi:[1,1,0]
	s_delay_alu instid0(VALU_DEP_3) | instskip(NEXT) | instid1(VALU_DEP_3)
	v_mad_u32 v8, v170, v247, v8
	v_cvt_f32_i32_e32 v169, v0
	v_mov_b32_e32 v0, v9
	s_delay_alu instid0(VALU_DEP_3) | instskip(NEXT) | instid1(VALU_DEP_1)
	v_cvt_f32_i32_e32 v168, v8
	v_pk_fma_f32 v[8:9], v[0:1], v[168:169], v[12:13]
	v_perm_b32 v12, v142, v26, 0x6040501
	v_perm_b32 v13, v26, v143, 0x7060403
	s_delay_alu instid0(VALU_DEP_3) | instskip(SKIP_3) | instid1(VALU_DEP_3)
	v_pk_fma_f32 v[78:79], v[116:117], v[8:9], v[78:79]
	v_perm_b32 v9, v30, v30, 0xc0c0c01
	v_perm_b32 v8, v28, v33, 0x6040503
	;; [unrolled: 1-line block ×3, first 2 shown]
	v_or_b32_e32 v9, v249, v9
	s_delay_alu instid0(VALU_DEP_1) | instskip(SKIP_2) | instid1(VALU_DEP_2)
	v_dot4_i32_iu8 v8, v9, v8, 0 neg_lo:[1,1,0]
	v_perm_b32 v9, v24, v140, 0x6040501
	s_set_vgpr_msb 1                        ;  msbs: dst=0 src0=1 src1=0 src2=0
	v_dot4_i32_iu8 v8, v14 /*v270*/, v250, v8 neg_lo:[1,1,0]
	s_set_vgpr_msb 0                        ;  msbs: dst=0 src0=0 src1=0 src2=0
	s_delay_alu instid0(VALU_DEP_2) | instskip(SKIP_4) | instid1(VALU_DEP_2)
	v_dot4_i32_iu8 v9, v12, v9, 0 neg_lo:[1,1,0]
	v_perm_b32 v12, v25, v24, 0x6040503
	s_set_vgpr_msb 4                        ;  msbs: dst=0 src0=0 src1=1 src2=0
	v_dot4_i32_iu8 v8, v251, v2 /*v258*/, v8 neg_lo:[1,1,0]
	s_set_vgpr_msb 0                        ;  msbs: dst=0 src0=0 src1=0 src2=0
	v_dot4_i32_iu8 v9, v231, v12, v9 neg_lo:[1,1,0]
	v_perm_b32 v12, v140, v25, 0x7060403
	s_delay_alu instid0(VALU_DEP_1) | instskip(SKIP_3) | instid1(VALU_DEP_4)
	v_dot4_i32_iu8 v9, v13, v12, v9 neg_lo:[1,1,0]
	v_perm_b32 v12, v20, v132, 0x6050401
	v_perm_b32 v13, v138, v22, 0x6050401
	v_perm_b32 v132, v136, v18, 0x6050401
	v_dot4_i32_iu8 v138, v27, v141, v9 neg_lo:[1,1,0]
	s_set_vgpr_msb 16                       ;  msbs: dst=0 src0=0 src1=0 src2=1
	v_dot4_i32_iu8 v9, v7, v135, v13 /*v269*/ neg_lo:[1,1,0]
	v_dot4_i32_iu8 v12, v13, v12, 0 neg_lo:[1,1,0]
	v_perm_b32 v13, v16, v134, 0x6050401
	v_dot4_i32_iu8 v134, v141, v11, v12 /*v268*/ neg_lo:[1,1,0]
	s_delay_alu instid0(VALU_DEP_4) | instskip(SKIP_4) | instid1(VALU_DEP_3)
	v_mul_lo_u32 v9, v9, v245
	s_set_vgpr_msb 0                        ;  msbs: dst=0 src0=0 src1=0 src2=0
	v_dot4_i32_iu8 v12, v232, v33, v12 neg_lo:[1,1,0]
	v_dot4_i32_iu8 v13, v132, v13, 0 neg_lo:[1,1,0]
	v_perm_b32 v132, v18, v17, 0x7060403
	v_dot4_i32_iu8 v12, v233, v176, v12 neg_lo:[1,1,0]
	s_delay_alu instid0(VALU_DEP_3) | instskip(NEXT) | instid1(VALU_DEP_1)
	v_dot4_i32_iu8 v13, v234, v166, v13 neg_lo:[1,1,0]
	v_dot4_i32_iu8 v13, v237, v132, v13 neg_lo:[1,1,0]
	v_perm_b32 v132, v31, v31, 0x3020001
	s_delay_alu instid0(VALU_DEP_2) | instskip(NEXT) | instid1(VALU_DEP_2)
	v_dot4_i32_iu8 v13, v19, v135, v13 neg_lo:[1,1,0]
	v_dot4_i32_iu8 v132, v246, v132, v8 neg_lo:[1,1,0]
	v_perm_b32 v8, v15, v15, 0x3020001
	s_set_vgpr_msb 16                       ;  msbs: dst=0 src0=0 src1=0 src2=1
	s_delay_alu instid0(VALU_DEP_1)
	v_dot4_i32_iu8 v136, v8, v246, v10 /*v266*/ neg_lo:[1,1,0]
	s_set_vgpr_msb 0                        ;  msbs: dst=0 src0=0 src1=0 src2=0
	v_dot4_i32_iu8 v8, v23, v133, v12 neg_lo:[1,1,0]
	s_set_vgpr_msb 16                       ;  msbs: dst=0 src0=0 src1=0 src2=1
	v_dot4_i32_iu8 v12, v3, v133, v11 /*v267*/ neg_lo:[1,1,0]
	v_perm_b32 v133, v18, v155, 0x7060403
	s_delay_alu instid0(VALU_DEP_3) | instskip(SKIP_1) | instid1(VALU_DEP_3)
	v_mul_lo_u32 v8, v8, v244
	s_set_vgpr_msb 0                        ;  msbs: dst=0 src0=0 src1=0 src2=0
	v_mad_u32 v9, v12, v244, v9
	v_mul_lo_u32 v12, v134, v242
	s_set_vgpr_msb 16                       ;  msbs: dst=0 src0=0 src1=0 src2=1
	v_dot4_i32_iu8 v134, v15, v157, v6 /*v262*/ neg_lo:[1,1,0]
	s_set_vgpr_msb 0                        ;  msbs: dst=0 src0=0 src1=0 src2=0
	s_delay_alu instid0(VALU_DEP_4) | instskip(SKIP_1) | instid1(VALU_DEP_4)
	v_mad_u32 v8, v13, v245, v8
	v_mul_lo_u32 v13, v132, v243
	v_mad_u32 v12, v136, v243, v12
	v_cvt_f32_i32_e32 v9, v9
	s_delay_alu instid0(VALU_DEP_4) | instskip(NEXT) | instid1(VALU_DEP_4)
	v_cvt_f32_i32_e32 v8, v8
	v_mad_u32 v132, v138, v242, v13
	s_delay_alu instid0(VALU_DEP_4) | instskip(NEXT) | instid1(VALU_DEP_3)
	v_cvt_f32_i32_e32 v13, v12
	v_pk_fma_f32 v[8:9], v[4:5], v[8:9], 0 op_sel_hi:[1,1,0]
	s_delay_alu instid0(VALU_DEP_3) | instskip(SKIP_1) | instid1(VALU_DEP_2)
	v_cvt_f32_i32_e32 v12, v132
	v_perm_b32 v132, v22, v149, 0x7060403
	v_pk_fma_f32 v[8:9], v[0:1], v[12:13], v[8:9]
	v_perm_b32 v12, v29, v153, 0x6040503
	v_perm_b32 v13, v25, v156, 0x6040503
	s_delay_alu instid0(VALU_DEP_3) | instskip(SKIP_2) | instid1(VALU_DEP_1)
	v_pk_fma_f32 v[88:89], v[118:119], v[8:9], v[88:89]
	v_perm_b32 v8, v28, v159, 0x6040501
	v_perm_b32 v9, v153, v30, 0x6040501
	v_dot4_i32_iu8 v8, v9, v8, 0 neg_lo:[1,1,0]
	v_perm_b32 v9, v158, v28, 0x6040503
	s_delay_alu instid0(VALU_DEP_1) | instskip(SKIP_3) | instid1(VALU_DEP_3)
	v_dot4_i32_iu8 v8, v12, v9, v8 neg_lo:[1,1,0]
	v_perm_b32 v9, v24, v161, 0x6040501
	v_perm_b32 v12, v156, v26, 0x6040501
	s_set_vgpr_msb 4                        ;  msbs: dst=0 src0=0 src1=1 src2=0
	v_dot4_i32_iu8 v8, v227, v2 /*v258*/, v8 neg_lo:[1,1,0]
	s_set_vgpr_msb 0                        ;  msbs: dst=0 src0=0 src1=0 src2=0
	s_delay_alu instid0(VALU_DEP_2) | instskip(SKIP_1) | instid1(VALU_DEP_1)
	v_dot4_i32_iu8 v9, v12, v9, 0 neg_lo:[1,1,0]
	v_perm_b32 v12, v160, v24, 0x6040503
	v_dot4_i32_iu8 v9, v13, v12, v9 neg_lo:[1,1,0]
	v_perm_b32 v12, v20, v144, 0x6050401
	v_perm_b32 v13, v148, v22, 0x6050401
	s_delay_alu instid0(VALU_DEP_3) | instskip(NEXT) | instid1(VALU_DEP_2)
	v_dot4_i32_iu8 v9, v240, v172, v9 neg_lo:[1,1,0]
	v_dot4_i32_iu8 v12, v13, v12, 0 neg_lo:[1,1,0]
	v_perm_b32 v13, v144, v21, 0x7060403
	s_delay_alu instid0(VALU_DEP_3) | instskip(SKIP_4) | instid1(VALU_DEP_2)
	v_dot4_i32_iu8 v135, v27, v152, v9 neg_lo:[1,1,0]
	s_set_vgpr_msb 16                       ;  msbs: dst=0 src0=0 src1=0 src2=1
	v_dot4_i32_iu8 v9, v7, v147, v9 /*v265*/ neg_lo:[1,1,0]
	s_set_vgpr_msb 0                        ;  msbs: dst=0 src0=0 src1=0 src2=0
	v_dot4_i32_iu8 v12, v241, v33, v12 neg_lo:[1,1,0]
	v_mul_lo_u32 v9, v9, v238
	s_delay_alu instid0(VALU_DEP_2) | instskip(SKIP_2) | instid1(VALU_DEP_1)
	v_dot4_i32_iu8 v12, v132, v13, v12 neg_lo:[1,1,0]
	v_perm_b32 v13, v16, v146, 0x6050401
	v_perm_b32 v132, v154, v18, 0x6050401
	v_dot4_i32_iu8 v13, v132, v13, 0 neg_lo:[1,1,0]
	v_perm_b32 v132, v146, v17, 0x7060403
	s_delay_alu instid0(VALU_DEP_2) | instskip(NEXT) | instid1(VALU_DEP_1)
	v_dot4_i32_iu8 v13, v253, v166, v13 neg_lo:[1,1,0]
	v_dot4_i32_iu8 v13, v133, v132, v13 neg_lo:[1,1,0]
	;; [unrolled: 1-line block ×4, first 2 shown]
	s_set_vgpr_msb 16                       ;  msbs: dst=0 src0=0 src1=0 src2=1
	v_dot4_i32_iu8 v133, v152, v11, v7 /*v263*/ neg_lo:[1,1,0]
	v_dot4_i32_iu8 v12, v3, v145, v8 /*v264*/ neg_lo:[1,1,0]
	s_set_vgpr_msb 0                        ;  msbs: dst=0 src0=0 src1=0 src2=0
	v_dot4_i32_iu8 v13, v19, v147, v13 neg_lo:[1,1,0]
	v_dot4_i32_iu8 v11, v15, v129, v14 neg_lo:[1,1,0]
	v_mul_lo_u32 v8, v8, v239
	v_mad_u32 v9, v12, v239, v9
	v_mul_lo_u32 v12, v133, v236
	s_delay_alu instid0(VALU_DEP_3) | instskip(SKIP_1) | instid1(VALU_DEP_4)
	v_mad_u32 v8, v13, v238, v8
	v_mul_lo_u32 v13, v132, v235
	v_cvt_f32_i32_e32 v9, v9
	s_delay_alu instid0(VALU_DEP_4) | instskip(NEXT) | instid1(VALU_DEP_4)
	v_mad_u32 v12, v134, v235, v12
	v_cvt_f32_i32_e32 v8, v8
	s_delay_alu instid0(VALU_DEP_4) | instskip(NEXT) | instid1(VALU_DEP_3)
	v_mad_u32 v132, v135, v236, v13
	v_cvt_f32_i32_e32 v13, v12
	s_delay_alu instid0(VALU_DEP_3) | instskip(NEXT) | instid1(VALU_DEP_3)
	v_pk_fma_f32 v[8:9], v[4:5], v[8:9], 0 op_sel_hi:[1,1,0]
	v_cvt_f32_i32_e32 v12, v132
	s_delay_alu instid0(VALU_DEP_1) | instskip(SKIP_2) | instid1(VALU_DEP_3)
	v_pk_fma_f32 v[8:9], v[0:1], v[12:13], v[8:9]
	v_perm_b32 v12, v29, v127, 0x6040503
	v_perm_b32 v13, v25, v128, 0x6040503
	v_pk_fma_f32 v[94:95], v[120:121], v[8:9], v[94:95]
	v_perm_b32 v8, v28, v163, 0x6040501
	v_perm_b32 v9, v127, v30, 0x6040501
	s_delay_alu instid0(VALU_DEP_1) | instskip(SKIP_1) | instid1(VALU_DEP_1)
	v_dot4_i32_iu8 v8, v9, v8, 0 neg_lo:[1,1,0]
	v_perm_b32 v9, v162, v28, 0x6040503
	v_dot4_i32_iu8 v8, v12, v9, v8 neg_lo:[1,1,0]
	v_perm_b32 v9, v24, v165, 0x6040501
	v_perm_b32 v12, v128, v26, 0x6040501
	s_set_vgpr_msb 4                        ;  msbs: dst=0 src0=0 src1=1 src2=0
	s_delay_alu instid0(VALU_DEP_3) | instskip(SKIP_1) | instid1(VALU_DEP_2)
	v_dot4_i32_iu8 v8, v228, v2 /*v258*/, v8 neg_lo:[1,1,0]
	s_set_vgpr_msb 0                        ;  msbs: dst=0 src0=0 src1=0 src2=0
	v_dot4_i32_iu8 v9, v12, v9, 0 neg_lo:[1,1,0]
	v_perm_b32 v12, v164, v24, 0x6040503
	s_delay_alu instid0(VALU_DEP_3) | instskip(NEXT) | instid1(VALU_DEP_2)
	v_dot4_i32_iu8 v8, v129, v31, v8 neg_lo:[1,1,0]
	v_dot4_i32_iu8 v9, v13, v12, v9 neg_lo:[1,1,0]
	v_perm_b32 v12, v20, v34, 0x6050401
	v_perm_b32 v13, v150, v22, 0x6050401
	;; [unrolled: 1-line block ×3, first 2 shown]
	s_delay_alu instid0(VALU_DEP_4) | instskip(NEXT) | instid1(VALU_DEP_3)
	v_dot4_i32_iu8 v9, v230, v172, v9 neg_lo:[1,1,0]
	v_dot4_i32_iu8 v12, v13, v12, 0 neg_lo:[1,1,0]
	v_perm_b32 v13, v34, v21, 0x7060403
	s_delay_alu instid0(VALU_DEP_3) | instskip(NEXT) | instid1(VALU_DEP_3)
	v_dot4_i32_iu8 v9, v27, v126, v9 neg_lo:[1,1,0]
	v_dot4_i32_iu8 v12, v229, v33, v12 neg_lo:[1,1,0]
	s_delay_alu instid0(VALU_DEP_1) | instskip(SKIP_2) | instid1(VALU_DEP_3)
	v_dot4_i32_iu8 v12, v20, v13, v12 neg_lo:[1,1,0]
	v_perm_b32 v13, v16, v124, 0x6050401
	v_perm_b32 v16, v130, v18, 0x6050401
	v_dot4_i32_iu8 v12, v23, v35, v12 neg_lo:[1,1,0]
	s_delay_alu instid0(VALU_DEP_2) | instskip(SKIP_2) | instid1(VALU_DEP_4)
	v_dot4_i32_iu8 v13, v16, v13, 0 neg_lo:[1,1,0]
	v_perm_b32 v16, v124, v17, 0x7060403
	v_perm_b32 v17, v18, v131, 0x7060403
	v_mul_lo_u32 v7, v12, v171
	s_delay_alu instid0(VALU_DEP_4) | instskip(NEXT) | instid1(VALU_DEP_1)
	v_dot4_i32_iu8 v13, v252, v166, v13 neg_lo:[1,1,0]
	v_dot4_i32_iu8 v13, v17, v16, v13 neg_lo:[1,1,0]
	s_delay_alu instid0(VALU_DEP_1) | instskip(NEXT) | instid1(VALU_DEP_1)
	v_dot4_i32_iu8 v3, v19, v125, v13 neg_lo:[1,1,0]
	v_mad_u32 v7, v3, v139, v7
	v_cvt_f32_i32_e32 v3, v2
	s_delay_alu instid0(VALU_DEP_2) | instskip(NEXT) | instid1(VALU_DEP_1)
	v_cvt_f32_i32_e32 v2, v7
	v_pk_fma_f32 v[2:3], v[4:5], v[2:3], 0 op_sel_hi:[1,1,0]
	v_mul_lo_u32 v4, v10, v137
	v_mul_lo_u32 v5, v8, v32
	s_delay_alu instid0(VALU_DEP_2) | instskip(NEXT) | instid1(VALU_DEP_2)
	v_mad_u32 v4, v11, v32, v4
	v_mad_u32 v6, v9, v137, v5
	s_delay_alu instid0(VALU_DEP_2) | instskip(NEXT) | instid1(VALU_DEP_2)
	v_cvt_f32_i32_e32 v5, v4
	v_cvt_f32_i32_e32 v4, v6
	s_delay_alu instid0(VALU_DEP_1) | instskip(NEXT) | instid1(VALU_DEP_1)
	v_pk_fma_f32 v[0:1], v[0:1], v[4:5], v[2:3]
	v_pk_fma_f32 v[102:103], v[122:123], v[0:1], v[102:103]
	s_cbranch_scc1 .LBB156_8
; %bb.9:                                ;   in Loop: Header=BB156_5 Depth=1
	s_add_co_i32 s10, s10, 1
	s_delay_alu instid0(SALU_CYCLE_1)
	s_cmp_eq_u32 s10, s17
	s_barrier_signal -1
	s_barrier_wait -1
	s_cbranch_scc0 .LBB156_5
; %bb.10:
	v_cvt_pk_f16_f32 v20, v96, v97
	v_cvt_pk_f16_f32 v19, v104, v105
	v_cvt_pk_f16_f32 v18, v110, v111
	v_cvt_pk_f16_f32 v17, v114, v115
	v_cvt_pk_f16_f32 v16, v90, v91
	v_cvt_pk_f16_f32 v15, v98, v99
	v_cvt_pk_f16_f32 v14, v106, v107
	v_cvt_pk_f16_f32 v13, v112, v113
	v_cvt_pk_f16_f32 v12, v86, v87
	v_cvt_pk_f16_f32 v11, v92, v93
	v_cvt_pk_f16_f32 v8, v100, v101
	v_cvt_pk_f16_f32 v6, v108, v109
	v_cvt_pk_f16_f32 v5, v78, v79
	v_cvt_pk_f16_f32 v3, v88, v89
	v_cvt_pk_f16_f32 v2, v94, v95
	v_cvt_pk_f16_f32 v1, v102, v103
	v_dual_mov_b32 v4, v43 :: v_dual_mov_b32 v7, v47
.LBB156_11:
	s_wait_xcnt 0x0
	s_mov_b32 s0, exec_lo
	v_cmpx_gt_u32_e64 s6, v49
	s_cbranch_execz .LBB156_62
; %bb.12:
	v_mul_lo_u32 v21, v49, s14
	v_add_nc_u32_e32 v0, s16, v7
	s_delay_alu instid0(VALU_DEP_1)
	v_cmp_gt_u32_e32 vcc_lo, s14, v0
	s_and_saveexec_b32 s0, vcc_lo
	s_cbranch_execz .LBB156_14
; %bb.13:
	s_delay_alu instid0(VALU_DEP_3)
	v_add_nc_u32_e32 v7, v0, v21
	s_wait_kmcnt 0x0
	global_store_d16_hi_b16 v7, v20, s[8:9] scale_offset
.LBB156_14:
	s_wait_xcnt 0x0
	s_or_b32 exec_lo, exec_lo, s0
	v_add_nc_u32_e32 v7, 32, v0
	s_delay_alu instid0(VALU_DEP_1)
	v_cmp_gt_u32_e64 s0, s14, v7
	s_and_saveexec_b32 s1, s0
	s_cbranch_execz .LBB156_16
; %bb.15:
	v_add_nc_u32_e32 v9, v7, v21
	s_wait_kmcnt 0x0
	global_store_d16_hi_b16 v9, v19, s[8:9] scale_offset
.LBB156_16:
	s_wait_xcnt 0x0
	s_or_b32 exec_lo, exec_lo, s1
	v_add_nc_u32_e32 v9, 64, v0
	s_delay_alu instid0(VALU_DEP_1)
	v_cmp_gt_u32_e64 s1, s14, v9
	s_and_saveexec_b32 s2, s1
	s_cbranch_execz .LBB156_18
; %bb.17:
	v_add_nc_u32_e32 v10, v9, v21
	s_wait_kmcnt 0x0
	global_store_d16_hi_b16 v10, v18, s[8:9] scale_offset
.LBB156_18:
	;; [unrolled: 12-line block ×3, first 2 shown]
	s_wait_xcnt 0x0
	s_or_b32 exec_lo, exec_lo, s3
	v_add3_u32 v21, v4, s15, 8
	s_delay_alu instid0(VALU_DEP_1)
	v_cmp_gt_u32_e64 s3, s6, v21
	s_and_b32 exec_lo, exec_lo, s3
	s_cbranch_execz .LBB156_62
; %bb.21:
	v_mul_lo_u32 v21, v21, s14
	s_and_saveexec_b32 s3, vcc_lo
	s_cbranch_execnz .LBB156_63
; %bb.22:
	s_or_b32 exec_lo, exec_lo, s3
	s_and_saveexec_b32 s3, s0
	s_cbranch_execnz .LBB156_64
.LBB156_23:
	s_or_b32 exec_lo, exec_lo, s3
	s_and_saveexec_b32 s3, s1
	s_cbranch_execnz .LBB156_65
.LBB156_24:
	s_or_b32 exec_lo, exec_lo, s3
	s_and_saveexec_b32 s3, s2
	s_cbranch_execz .LBB156_26
.LBB156_25:
	v_add_nc_u32_e32 v18, v21, v10
	s_wait_kmcnt 0x0
	global_store_b16 v18, v17, s[8:9] scale_offset
.LBB156_26:
	s_wait_xcnt 0x0
	s_or_b32 exec_lo, exec_lo, s3
	v_add3_u32 v17, v4, s15, 16
	s_delay_alu instid0(VALU_DEP_1)
	v_cmp_gt_u32_e64 s3, s6, v17
	s_and_b32 exec_lo, exec_lo, s3
	s_cbranch_execz .LBB156_62
; %bb.27:
	v_mul_lo_u32 v17, v17, s14
	s_and_saveexec_b32 s3, vcc_lo
	s_cbranch_execnz .LBB156_66
; %bb.28:
	s_or_b32 exec_lo, exec_lo, s3
	s_and_saveexec_b32 s3, s0
	s_cbranch_execnz .LBB156_67
.LBB156_29:
	s_or_b32 exec_lo, exec_lo, s3
	s_and_saveexec_b32 s3, s1
	s_cbranch_execnz .LBB156_68
.LBB156_30:
	s_or_b32 exec_lo, exec_lo, s3
	s_and_saveexec_b32 s3, s2
	s_cbranch_execz .LBB156_32
.LBB156_31:
	v_add_nc_u32_e32 v17, v17, v10
	s_wait_kmcnt 0x0
	global_store_d16_hi_b16 v17, v13, s[8:9] scale_offset
.LBB156_32:
	s_wait_xcnt 0x0
	s_or_b32 exec_lo, exec_lo, s3
	v_add3_u32 v17, v4, s15, 24
	s_delay_alu instid0(VALU_DEP_1)
	v_cmp_gt_u32_e64 s3, s6, v17
	s_and_b32 exec_lo, exec_lo, s3
	s_cbranch_execz .LBB156_62
; %bb.33:
	v_mul_lo_u32 v17, v17, s14
	s_and_saveexec_b32 s3, vcc_lo
	s_cbranch_execnz .LBB156_69
; %bb.34:
	s_or_b32 exec_lo, exec_lo, s3
	s_and_saveexec_b32 s3, s0
	s_cbranch_execnz .LBB156_70
.LBB156_35:
	s_or_b32 exec_lo, exec_lo, s3
	s_and_saveexec_b32 s3, s1
	s_cbranch_execnz .LBB156_71
.LBB156_36:
	s_or_b32 exec_lo, exec_lo, s3
	s_and_saveexec_b32 s3, s2
	s_cbranch_execz .LBB156_38
.LBB156_37:
	v_add_nc_u32_e32 v14, v17, v10
	s_wait_kmcnt 0x0
	global_store_b16 v14, v13, s[8:9] scale_offset
.LBB156_38:
	s_wait_xcnt 0x0
	s_or_b32 exec_lo, exec_lo, s3
	v_add3_u32 v13, v4, s15, 32
	s_delay_alu instid0(VALU_DEP_1)
	v_cmp_gt_u32_e64 s3, s6, v13
	s_and_b32 exec_lo, exec_lo, s3
	s_cbranch_execz .LBB156_62
; %bb.39:
	v_mul_lo_u32 v13, v13, s14
	s_and_saveexec_b32 s3, vcc_lo
	s_cbranch_execnz .LBB156_72
; %bb.40:
	s_or_b32 exec_lo, exec_lo, s3
	s_and_saveexec_b32 s3, s0
	s_cbranch_execnz .LBB156_73
.LBB156_41:
	s_or_b32 exec_lo, exec_lo, s3
	s_and_saveexec_b32 s3, s1
	s_cbranch_execnz .LBB156_74
.LBB156_42:
	s_or_b32 exec_lo, exec_lo, s3
	s_and_saveexec_b32 s3, s2
	s_cbranch_execz .LBB156_44
.LBB156_43:
	v_add_nc_u32_e32 v13, v13, v10
	s_wait_kmcnt 0x0
	global_store_d16_hi_b16 v13, v6, s[8:9] scale_offset
.LBB156_44:
	s_wait_xcnt 0x0
	s_or_b32 exec_lo, exec_lo, s3
	v_add3_u32 v13, v4, s15, 40
	s_delay_alu instid0(VALU_DEP_1)
	v_cmp_gt_u32_e64 s3, s6, v13
	s_and_b32 exec_lo, exec_lo, s3
	s_cbranch_execz .LBB156_62
; %bb.45:
	v_mul_lo_u32 v13, v13, s14
	s_and_saveexec_b32 s3, vcc_lo
	s_cbranch_execnz .LBB156_75
; %bb.46:
	s_or_b32 exec_lo, exec_lo, s3
	s_and_saveexec_b32 s3, s0
	s_cbranch_execnz .LBB156_76
.LBB156_47:
	s_or_b32 exec_lo, exec_lo, s3
	s_and_saveexec_b32 s3, s1
	s_cbranch_execnz .LBB156_77
.LBB156_48:
	s_or_b32 exec_lo, exec_lo, s3
	s_and_saveexec_b32 s3, s2
	s_cbranch_execz .LBB156_50
.LBB156_49:
	v_add_nc_u32_e32 v8, v13, v10
	s_wait_kmcnt 0x0
	global_store_b16 v8, v6, s[8:9] scale_offset
.LBB156_50:
	s_wait_xcnt 0x0
	s_or_b32 exec_lo, exec_lo, s3
	v_add3_u32 v6, v4, s15, 48
	s_delay_alu instid0(VALU_DEP_1)
	v_cmp_gt_u32_e64 s3, s6, v6
	s_and_b32 exec_lo, exec_lo, s3
	s_cbranch_execz .LBB156_62
; %bb.51:
	v_mul_lo_u32 v6, v6, s14
	s_and_saveexec_b32 s3, vcc_lo
	s_cbranch_execnz .LBB156_78
; %bb.52:
	s_or_b32 exec_lo, exec_lo, s3
	s_and_saveexec_b32 s3, s0
	s_cbranch_execnz .LBB156_79
.LBB156_53:
	s_or_b32 exec_lo, exec_lo, s3
	s_and_saveexec_b32 s3, s1
	s_cbranch_execnz .LBB156_80
.LBB156_54:
	s_or_b32 exec_lo, exec_lo, s3
	s_and_saveexec_b32 s3, s2
	s_cbranch_execz .LBB156_56
.LBB156_55:
	v_add_nc_u32_e32 v6, v6, v10
	s_wait_kmcnt 0x0
	global_store_d16_hi_b16 v6, v1, s[8:9] scale_offset
.LBB156_56:
	s_wait_xcnt 0x0
	s_or_b32 exec_lo, exec_lo, s3
	v_add3_u32 v4, v4, s15, 56
	s_delay_alu instid0(VALU_DEP_1)
	v_cmp_gt_u32_e64 s3, s6, v4
	s_and_b32 exec_lo, exec_lo, s3
	s_cbranch_execz .LBB156_62
; %bb.57:
	v_mul_lo_u32 v4, v4, s14
	s_and_saveexec_b32 s3, vcc_lo
	s_cbranch_execnz .LBB156_81
; %bb.58:
	s_or_b32 exec_lo, exec_lo, s3
	s_and_saveexec_b32 s3, s0
	s_cbranch_execnz .LBB156_82
.LBB156_59:
	s_or_b32 exec_lo, exec_lo, s3
	s_and_saveexec_b32 s0, s1
	s_cbranch_execnz .LBB156_83
.LBB156_60:
	s_or_b32 exec_lo, exec_lo, s0
	s_delay_alu instid0(SALU_CYCLE_1)
	s_and_b32 exec_lo, exec_lo, s2
	s_cbranch_execz .LBB156_62
.LBB156_61:
	v_add_nc_u32_e32 v0, v4, v10
	s_wait_kmcnt 0x0
	global_store_b16 v0, v1, s[8:9] scale_offset
.LBB156_62:
	s_sendmsg sendmsg(MSG_DEALLOC_VGPRS)
	s_endpgm
.LBB156_63:
	s_delay_alu instid0(VALU_DEP_1)
	v_add_nc_u32_e32 v22, v21, v0
	s_wait_kmcnt 0x0
	global_store_b16 v22, v20, s[8:9] scale_offset
	s_wait_xcnt 0x0
	s_or_b32 exec_lo, exec_lo, s3
	s_and_saveexec_b32 s3, s0
	s_cbranch_execz .LBB156_23
.LBB156_64:
	s_delay_alu instid0(VALU_DEP_1)
	v_add_nc_u32_e32 v20, v21, v7
	s_wait_kmcnt 0x0
	global_store_b16 v20, v19, s[8:9] scale_offset
	s_wait_xcnt 0x0
	s_or_b32 exec_lo, exec_lo, s3
	s_and_saveexec_b32 s3, s1
	s_cbranch_execz .LBB156_24
.LBB156_65:
	s_delay_alu instid0(VALU_DEP_1)
	v_add_nc_u32_e32 v19, v21, v9
	s_wait_kmcnt 0x0
	global_store_b16 v19, v18, s[8:9] scale_offset
	s_wait_xcnt 0x0
	s_or_b32 exec_lo, exec_lo, s3
	s_and_saveexec_b32 s3, s2
	s_cbranch_execnz .LBB156_25
	s_branch .LBB156_26
.LBB156_66:
	s_delay_alu instid0(VALU_DEP_1)
	v_add_nc_u32_e32 v18, v17, v0
	s_wait_kmcnt 0x0
	global_store_d16_hi_b16 v18, v16, s[8:9] scale_offset
	s_wait_xcnt 0x0
	s_or_b32 exec_lo, exec_lo, s3
	s_and_saveexec_b32 s3, s0
	s_cbranch_execz .LBB156_29
.LBB156_67:
	s_delay_alu instid0(VALU_DEP_1)
	v_add_nc_u32_e32 v18, v17, v7
	s_wait_kmcnt 0x0
	global_store_d16_hi_b16 v18, v15, s[8:9] scale_offset
	s_wait_xcnt 0x0
	s_or_b32 exec_lo, exec_lo, s3
	s_and_saveexec_b32 s3, s1
	s_cbranch_execz .LBB156_30
.LBB156_68:
	s_delay_alu instid0(VALU_DEP_1)
	v_add_nc_u32_e32 v18, v17, v9
	s_wait_kmcnt 0x0
	global_store_d16_hi_b16 v18, v14, s[8:9] scale_offset
	s_wait_xcnt 0x0
	s_or_b32 exec_lo, exec_lo, s3
	s_and_saveexec_b32 s3, s2
	s_cbranch_execnz .LBB156_31
	s_branch .LBB156_32
.LBB156_69:
	s_delay_alu instid0(VALU_DEP_1)
	v_add_nc_u32_e32 v18, v17, v0
	s_wait_kmcnt 0x0
	global_store_b16 v18, v16, s[8:9] scale_offset
	s_wait_xcnt 0x0
	s_or_b32 exec_lo, exec_lo, s3
	s_and_saveexec_b32 s3, s0
	s_cbranch_execz .LBB156_35
.LBB156_70:
	s_delay_alu instid0(VALU_DEP_1)
	v_add_nc_u32_e32 v16, v17, v7
	s_wait_kmcnt 0x0
	global_store_b16 v16, v15, s[8:9] scale_offset
	s_wait_xcnt 0x0
	s_or_b32 exec_lo, exec_lo, s3
	s_and_saveexec_b32 s3, s1
	s_cbranch_execz .LBB156_36
.LBB156_71:
	s_delay_alu instid0(VALU_DEP_1)
	v_add_nc_u32_e32 v15, v17, v9
	s_wait_kmcnt 0x0
	global_store_b16 v15, v14, s[8:9] scale_offset
	s_wait_xcnt 0x0
	s_or_b32 exec_lo, exec_lo, s3
	s_and_saveexec_b32 s3, s2
	s_cbranch_execnz .LBB156_37
	s_branch .LBB156_38
.LBB156_72:
	s_delay_alu instid0(VALU_DEP_1)
	v_add_nc_u32_e32 v14, v13, v0
	s_wait_kmcnt 0x0
	global_store_d16_hi_b16 v14, v12, s[8:9] scale_offset
	s_wait_xcnt 0x0
	s_or_b32 exec_lo, exec_lo, s3
	s_and_saveexec_b32 s3, s0
	s_cbranch_execz .LBB156_41
.LBB156_73:
	s_delay_alu instid0(VALU_DEP_1)
	v_add_nc_u32_e32 v14, v13, v7
	s_wait_kmcnt 0x0
	global_store_d16_hi_b16 v14, v11, s[8:9] scale_offset
	s_wait_xcnt 0x0
	s_or_b32 exec_lo, exec_lo, s3
	s_and_saveexec_b32 s3, s1
	s_cbranch_execz .LBB156_42
.LBB156_74:
	s_delay_alu instid0(VALU_DEP_1)
	v_add_nc_u32_e32 v14, v13, v9
	s_wait_kmcnt 0x0
	global_store_d16_hi_b16 v14, v8, s[8:9] scale_offset
	s_wait_xcnt 0x0
	s_or_b32 exec_lo, exec_lo, s3
	s_and_saveexec_b32 s3, s2
	s_cbranch_execnz .LBB156_43
	s_branch .LBB156_44
.LBB156_75:
	s_delay_alu instid0(VALU_DEP_1)
	v_add_nc_u32_e32 v14, v13, v0
	s_wait_kmcnt 0x0
	global_store_b16 v14, v12, s[8:9] scale_offset
	s_wait_xcnt 0x0
	s_or_b32 exec_lo, exec_lo, s3
	s_and_saveexec_b32 s3, s0
	s_cbranch_execz .LBB156_47
.LBB156_76:
	s_delay_alu instid0(VALU_DEP_1)
	v_add_nc_u32_e32 v12, v13, v7
	s_wait_kmcnt 0x0
	global_store_b16 v12, v11, s[8:9] scale_offset
	s_wait_xcnt 0x0
	s_or_b32 exec_lo, exec_lo, s3
	s_and_saveexec_b32 s3, s1
	s_cbranch_execz .LBB156_48
.LBB156_77:
	s_delay_alu instid0(VALU_DEP_1)
	v_add_nc_u32_e32 v11, v13, v9
	s_wait_kmcnt 0x0
	global_store_b16 v11, v8, s[8:9] scale_offset
	s_wait_xcnt 0x0
	s_or_b32 exec_lo, exec_lo, s3
	s_and_saveexec_b32 s3, s2
	s_cbranch_execnz .LBB156_49
	s_branch .LBB156_50
.LBB156_78:
	s_delay_alu instid0(VALU_DEP_1)
	v_add_nc_u32_e32 v8, v6, v0
	s_wait_kmcnt 0x0
	global_store_d16_hi_b16 v8, v5, s[8:9] scale_offset
	s_wait_xcnt 0x0
	s_or_b32 exec_lo, exec_lo, s3
	s_and_saveexec_b32 s3, s0
	s_cbranch_execz .LBB156_53
.LBB156_79:
	s_delay_alu instid0(VALU_DEP_1)
	v_add_nc_u32_e32 v8, v6, v7
	s_wait_kmcnt 0x0
	global_store_d16_hi_b16 v8, v3, s[8:9] scale_offset
	s_wait_xcnt 0x0
	s_or_b32 exec_lo, exec_lo, s3
	s_and_saveexec_b32 s3, s1
	s_cbranch_execz .LBB156_54
.LBB156_80:
	s_delay_alu instid0(VALU_DEP_1)
	v_add_nc_u32_e32 v8, v6, v9
	s_wait_kmcnt 0x0
	global_store_d16_hi_b16 v8, v2, s[8:9] scale_offset
	s_wait_xcnt 0x0
	s_or_b32 exec_lo, exec_lo, s3
	s_and_saveexec_b32 s3, s2
	s_cbranch_execnz .LBB156_55
	s_branch .LBB156_56
.LBB156_81:
	s_delay_alu instid0(VALU_DEP_1)
	v_add_nc_u32_e32 v0, v4, v0
	s_wait_kmcnt 0x0
	global_store_b16 v0, v5, s[8:9] scale_offset
	s_wait_xcnt 0x0
	s_or_b32 exec_lo, exec_lo, s3
	s_and_saveexec_b32 s3, s0
	s_cbranch_execz .LBB156_59
.LBB156_82:
	s_delay_alu instid0(VALU_DEP_1)
	v_add_nc_u32_e32 v0, v4, v7
	s_wait_kmcnt 0x0
	global_store_b16 v0, v3, s[8:9] scale_offset
	s_wait_xcnt 0x0
	s_or_b32 exec_lo, exec_lo, s3
	s_and_saveexec_b32 s0, s1
	s_cbranch_execz .LBB156_60
.LBB156_83:
	s_delay_alu instid0(VALU_DEP_1) | instskip(SKIP_4) | instid1(SALU_CYCLE_1)
	v_add_nc_u32_e32 v0, v4, v9
	s_wait_kmcnt 0x0
	global_store_b16 v0, v2, s[8:9] scale_offset
	s_wait_xcnt 0x0
	s_or_b32 exec_lo, exec_lo, s0
	s_and_b32 exec_lo, exec_lo, s2
	s_cbranch_execnz .LBB156_61
	s_branch .LBB156_62
	.section	.rodata,"a",@progbits
	.p2align	6, 0x0
	.amdhsa_kernel _ZL12mul_mat_q6_KIN3c104HalfELb1EEvPKvS3_PT_iiiii
		.amdhsa_group_segment_fixed_size 45136
		.amdhsa_private_segment_fixed_size 0
		.amdhsa_kernarg_size 44
		.amdhsa_user_sgpr_count 2
		.amdhsa_user_sgpr_dispatch_ptr 0
		.amdhsa_user_sgpr_queue_ptr 0
		.amdhsa_user_sgpr_kernarg_segment_ptr 1
		.amdhsa_user_sgpr_dispatch_id 0
		.amdhsa_user_sgpr_kernarg_preload_length 0
		.amdhsa_user_sgpr_kernarg_preload_offset 0
		.amdhsa_user_sgpr_private_segment_size 0
		.amdhsa_wavefront_size32 1
		.amdhsa_uses_dynamic_stack 0
		.amdhsa_enable_private_segment 0
		.amdhsa_system_sgpr_workgroup_id_x 1
		.amdhsa_system_sgpr_workgroup_id_y 1
		.amdhsa_system_sgpr_workgroup_id_z 0
		.amdhsa_system_sgpr_workgroup_info 0
		.amdhsa_system_vgpr_workitem_id 1
		.amdhsa_next_free_vgpr 318
		.amdhsa_next_free_sgpr 18
		.amdhsa_named_barrier_count 0
		.amdhsa_reserve_vcc 1
		.amdhsa_float_round_mode_32 0
		.amdhsa_float_round_mode_16_64 0
		.amdhsa_float_denorm_mode_32 3
		.amdhsa_float_denorm_mode_16_64 3
		.amdhsa_fp16_overflow 0
		.amdhsa_memory_ordered 1
		.amdhsa_forward_progress 1
		.amdhsa_inst_pref_size 255
		.amdhsa_round_robin_scheduling 0
		.amdhsa_exception_fp_ieee_invalid_op 0
		.amdhsa_exception_fp_denorm_src 0
		.amdhsa_exception_fp_ieee_div_zero 0
		.amdhsa_exception_fp_ieee_overflow 0
		.amdhsa_exception_fp_ieee_underflow 0
		.amdhsa_exception_fp_ieee_inexact 0
		.amdhsa_exception_int_div_zero 0
	.end_amdhsa_kernel
	.section	.text._ZL12mul_mat_q6_KIN3c104HalfELb1EEvPKvS3_PT_iiiii,"axG",@progbits,_ZL12mul_mat_q6_KIN3c104HalfELb1EEvPKvS3_PT_iiiii,comdat
.Lfunc_end156:
	.size	_ZL12mul_mat_q6_KIN3c104HalfELb1EEvPKvS3_PT_iiiii, .Lfunc_end156-_ZL12mul_mat_q6_KIN3c104HalfELb1EEvPKvS3_PT_iiiii
                                        ; -- End function
	.set _ZL12mul_mat_q6_KIN3c104HalfELb1EEvPKvS3_PT_iiiii.num_vgpr, 318
	.set _ZL12mul_mat_q6_KIN3c104HalfELb1EEvPKvS3_PT_iiiii.num_agpr, 0
	.set _ZL12mul_mat_q6_KIN3c104HalfELb1EEvPKvS3_PT_iiiii.numbered_sgpr, 18
	.set _ZL12mul_mat_q6_KIN3c104HalfELb1EEvPKvS3_PT_iiiii.num_named_barrier, 0
	.set _ZL12mul_mat_q6_KIN3c104HalfELb1EEvPKvS3_PT_iiiii.private_seg_size, 0
	.set _ZL12mul_mat_q6_KIN3c104HalfELb1EEvPKvS3_PT_iiiii.uses_vcc, 1
	.set _ZL12mul_mat_q6_KIN3c104HalfELb1EEvPKvS3_PT_iiiii.uses_flat_scratch, 0
	.set _ZL12mul_mat_q6_KIN3c104HalfELb1EEvPKvS3_PT_iiiii.has_dyn_sized_stack, 0
	.set _ZL12mul_mat_q6_KIN3c104HalfELb1EEvPKvS3_PT_iiiii.has_recursion, 0
	.set _ZL12mul_mat_q6_KIN3c104HalfELb1EEvPKvS3_PT_iiiii.has_indirect_call, 0
	.section	.AMDGPU.csdata,"",@progbits
; Kernel info:
; codeLenInByte = 47252
; TotalNumSgprs: 20
; NumVgprs: 318
; ScratchSize: 0
; MemoryBound: 0
; FloatMode: 240
; IeeeMode: 1
; LDSByteSize: 45136 bytes/workgroup (compile time only)
; SGPRBlocks: 0
; VGPRBlocks: 19
; NumSGPRsForWavesPerEU: 20
; NumVGPRsForWavesPerEU: 318
; NamedBarCnt: 0
; Occupancy: 3
; WaveLimiterHint : 0
; COMPUTE_PGM_RSRC2:SCRATCH_EN: 0
; COMPUTE_PGM_RSRC2:USER_SGPR: 2
; COMPUTE_PGM_RSRC2:TRAP_HANDLER: 0
; COMPUTE_PGM_RSRC2:TGID_X_EN: 1
; COMPUTE_PGM_RSRC2:TGID_Y_EN: 1
; COMPUTE_PGM_RSRC2:TGID_Z_EN: 0
; COMPUTE_PGM_RSRC2:TIDIG_COMP_CNT: 1
	.section	.text._ZL12mul_mat_q4_0IN3c108BFloat16ELb0EEvPKvS3_PT_iiiii,"axG",@progbits,_ZL12mul_mat_q4_0IN3c108BFloat16ELb0EEvPKvS3_PT_iiiii,comdat
	.globl	_ZL12mul_mat_q4_0IN3c108BFloat16ELb0EEvPKvS3_PT_iiiii ; -- Begin function _ZL12mul_mat_q4_0IN3c108BFloat16ELb0EEvPKvS3_PT_iiiii
	.p2align	8
	.type	_ZL12mul_mat_q4_0IN3c108BFloat16ELb0EEvPKvS3_PT_iiiii,@function
_ZL12mul_mat_q4_0IN3c108BFloat16ELb0EEvPKvS3_PT_iiiii: ; @_ZL12mul_mat_q4_0IN3c108BFloat16ELb0EEvPKvS3_PT_iiiii
; %bb.0:
	s_clause 0x1
	s_load_b32 s10, s[0:1], 0x18
	s_load_b96 s[4:6], s[0:1], 0x20
	s_bfe_u32 s2, ttmp6, 0x4000c
	s_bfe_u32 s7, ttmp6, 0x40010
	s_add_co_i32 s2, s2, 1
	s_and_b32 s3, ttmp6, 15
	s_mul_i32 s2, ttmp9, s2
	s_add_co_i32 s7, s7, 1
	s_add_co_i32 s3, s3, s2
	s_mul_i32 s2, ttmp7, s7
	s_bfe_u32 s7, ttmp6, 0x40004
	s_getreg_b32 s8, hwreg(HW_REG_IB_STS2, 6, 4)
	s_add_co_i32 s7, s7, s2
	s_cmp_eq_u32 s8, 0
	v_bfe_u32 v21, v0, 10, 10
	s_cselect_b32 s7, ttmp7, s7
	v_and_b32_e32 v27, 0x3ff, v0
	s_cselect_b32 s2, ttmp9, s3
	s_lshl_b32 s7, s7, 6
	s_mov_b32 s3, 0
	s_wait_kmcnt 0x0
	s_cmp_gt_i32 s10, 31
	s_cbranch_scc1 .LBB157_4
; %bb.1:
	v_bfe_u32 v20, v0, 10, 10
	v_and_b32_e32 v24, 0x3ff, v0
	s_delay_alu instid0(VALU_DEP_2)
	v_add_nc_u32_e32 v39, s7, v20
	s_load_b64 s[8:9], s[0:1], 0x10
	s_and_not1_b32 vcc_lo, exec_lo, s3
	s_lshl_b32 s13, s2, 7
	s_cbranch_vccz .LBB157_5
; %bb.2:
	v_mov_b64_e32 v[0:1], 0
	v_mov_b64_e32 v[8:9], 0
	;; [unrolled: 1-line block ×16, first 2 shown]
	s_wait_xcnt 0x0
	s_mov_b32 s0, exec_lo
	v_cmpx_gt_u32_e64 s4, v39
	s_cbranch_execnz .LBB157_15
.LBB157_3:
	s_sendmsg sendmsg(MSG_DEALLOC_VGPRS)
	s_endpgm
.LBB157_4:
                                        ; implicit-def: $vgpr20
                                        ; implicit-def: $vgpr24
                                        ; implicit-def: $vgpr39
	s_load_b64 s[8:9], s[0:1], 0x10
	s_lshl_b32 s13, s2, 7
.LBB157_5:
	v_dual_add_nc_u32 v39, s7, v21 :: v_dual_mov_b32 v25, 0
	s_add_co_i32 s12, s4, -1
	s_ashr_i32 s11, s10, 31
	v_cvt_f64_i32_e32 v[2:3], s12
	s_delay_alu instid0(VALU_DEP_2) | instskip(SKIP_2) | instid1(VALU_DEP_3)
	v_dual_add_nc_u32 v1, 8, v39 :: v_dual_add_nc_u32 v8, 16, v39
	v_dual_add_nc_u32 v10, 24, v39 :: v_dual_add_nc_u32 v12, 32, v39
	v_cvt_f64_u32_e32 v[4:5], v39
	v_cvt_f64_u32_e32 v[6:7], v1
	s_delay_alu instid0(VALU_DEP_4)
	v_cvt_f64_u32_e32 v[8:9], v8
	s_ashr_i32 s14, s5, 31
	v_cvt_f64_u32_e32 v[12:13], v12
	s_lshr_b32 s11, s11, 27
	s_lshr_b32 s14, s14, 27
	s_add_co_i32 s10, s10, s11
	s_add_co_i32 s11, s5, s14
	s_ashr_i32 s5, s10, 5
	v_dual_add_nc_u32 v1, 40, v39 :: v_dual_add_nc_u32 v16, 48, v39
	v_mul_lo_u32 v38, s5, v21
	v_bfe_u32 v20, v0, 2, 8
	v_dual_lshlrev_b32 v30, 7, v21 :: v_dual_bitop2_b32 v28, 31, v0 bitop3:0x40
	s_delay_alu instid0(VALU_DEP_4) | instskip(SKIP_3) | instid1(VALU_DEP_2)
	v_cvt_f64_u32_e32 v[14:15], v1
	v_dual_lshlrev_b32 v1, 2, v27 :: v_dual_bitop2_b32 v26, 7, v0 bitop3:0x40
	s_lshl_b32 s15, s5, 3
	v_dual_add_nc_u32 v18, 56, v39 :: v_dual_bitop2_b32 v29, 3, v0 bitop3:0x40
	v_dual_lshlrev_b32 v32, 2, v26 :: v_dual_bitop2_b32 v24, 12, v1 bitop3:0x40
	v_mad_u32_u24 v43, 0x84, v21, v1
	v_dual_mov_b32 v23, v25 :: v_dual_bitop2_b32 v22, 28, v1 bitop3:0x40
	v_lshl_or_b32 v1, v28, 2, 0x4200
	v_lshl_add_u32 v28, v21, 3, v20
	v_add_nc_u32_e32 v40, s15, v38
	v_cvt_f64_u32_e32 v[16:17], v16
	v_bfe_u32 v41, v0, 3, 7
	v_dual_min_num_f64 v[4:5], v[4:5], v[2:3] :: v_dual_lshlrev_b32 v33, 2, v29
	v_min_num_f64_e32 v[6:7], v[6:7], v[2:3]
	v_min_num_f64_e32 v[8:9], v[8:9], v[2:3]
	v_dual_min_num_f64 v[12:13], v[12:13], v[2:3] :: v_dual_add_nc_u32 v42, s15, v40
	v_lshl_add_u32 v31, v21, 2, v41
	v_cvt_f64_u32_e32 v[10:11], v10
	v_cvt_f64_u32_e32 v[18:19], v18
	s_ashr_i32 s17, s11, 5
	v_add_nc_u32_e32 v34, 0x400, v30
	v_add_nc_u32_e32 v35, 0x800, v30
	v_and_b32_e32 v0, 0xfc, v0
	s_wait_xcnt 0x0
	s_load_b128 s[0:3], s[0:1], 0x0
	v_mul_lo_u32 v62, s5, v31
	s_and_b32 s14, s10, 0xffffffe0
	s_mul_i32 s10, s5, s13
	v_add_nc_u32_e32 v188, 0x4200, v30
	s_ashr_i32 s11, s10, 31
	v_mov_b64_e32 v[36:37], 0
	s_mul_u64 s[10:11], s[10:11], 18
	v_add_nc_u32_e32 v45, 0x420, v43
	v_add_nc_u32_e32 v47, 0x840, v43
	;; [unrolled: 1-line block ×11, first 2 shown]
	v_cvt_i32_f64_e32 v4, v[4:5]
	v_add_nc_u32_e32 v44, s15, v42
	v_cvt_i32_f64_e32 v5, v[6:7]
	v_cvt_i32_f64_e32 v6, v[8:9]
	;; [unrolled: 1-line block ×3, first 2 shown]
	v_add_nc_u32_e32 v13, 64, v31
	v_dual_min_num_f64 v[14:15], v[14:15], v[2:3] :: v_dual_add_nc_u32 v46, s15, v44
	v_and_b32_e32 v8, 0x7fc, v31
	s_wait_kmcnt 0x0
	v_add_nc_u64_e32 v[54:55], s[2:3], v[22:23]
	v_mov_b64_e32 v[22:23], 0
	v_add_nc_u32_e32 v69, 0x3180, v43
	v_add_nc_u32_e32 v48, s15, v46
	v_min_num_f64_e32 v[16:17], v[16:17], v[2:3]
	v_add3_u32 v8, v8, v32, 0x6200
	v_add_nc_u32_e32 v71, 0x35a0, v43
	v_add_nc_u32_e32 v73, 0x39c0, v43
	;; [unrolled: 1-line block ×4, first 2 shown]
	v_mul_u32_u24_e32 v194, 0x84, v27
	v_lshl_add_u32 v195, v21, 4, 0x7280
	v_mad_u32_u24 v196, 0x84, v27, 64
	s_add_nc_u64 s[0:1], s[0:1], s[10:11]
	s_mov_b32 s11, 0
	s_add_co_i32 s16, s5, 3
	s_mov_b32 s10, s11
	v_add_nc_u32_e32 v180, v1, v34
	v_mul_lo_u32 v79, s17, v4
	v_add_nc_u32_e32 v4, 0x1000, v30
	v_mul_lo_u32 v164, s17, v5
	v_mul_lo_u32 v165, s17, v6
	;; [unrolled: 1-line block ×3, first 2 shown]
	v_add_nc_u32_e32 v9, 32, v27
	v_cvt_i32_f64_e32 v12, v[14:15]
	v_add_nc_u32_e32 v6, 0x60, v27
	v_add_nc_u32_e32 v15, 0x60, v31
	;; [unrolled: 1-line block ×4, first 2 shown]
	s_delay_alu instid0(VALU_DEP_4)
	v_and_b32_e32 v6, 0x1fc, v6
	v_cvt_i32_f64_e32 v14, v[16:17]
	v_dual_min_num_f64 v[10:11], v[10:11], v[2:3] :: v_dual_bitop2_b32 v16, 63, v28 bitop3:0x40
	v_and_b32_e32 v28, 0xffc, v15
	v_mul_lo_u32 v168, s17, v12
	v_add_nc_u32_e32 v12, 0x1800, v30
	v_add_nc_u32_e32 v184, v1, v5
	v_mov_b64_e32 v[4:5], 0
	s_delay_alu instid0(VALU_DEP_3)
	v_add_nc_u32_e32 v185, v1, v12
	v_mul_lo_u32 v169, s17, v14
	v_lshlrev_b32_e32 v14, 5, v27
	v_dual_min_num_f64 v[2:3], v[18:19], v[2:3] :: v_dual_lshrrev_b32 v171, 3, v9
	v_or_b32_e32 v19, s7, v16
	v_cvt_i32_f64_e32 v7, v[10:11]
	v_dual_lshlrev_b32 v10, 5, v31 :: v_dual_add_nc_u32 v11, 32, v31
	v_lshl_or_b32 v16, v16, 4, v33
	v_add_nc_u32_e32 v0, v14, v0
	v_and_b32_e32 v18, 0xffc, v13
	v_lshlrev_b32_e32 v13, 5, v13
	v_and_b32_e32 v17, 0xffc, v11
	v_lshlrev_b32_e32 v11, 5, v11
	v_add_nc_u32_e32 v75, 0x7280, v16
	v_and_b32_e32 v16, 0x1fc, v9
	v_lshlrev_b32_e32 v15, 5, v15
	v_add3_u32 v17, v17, v32, 0x6200
	v_add3_u32 v18, v18, v32, 0x6200
	v_add_nc_u32_e32 v179, 0x6200, v0
	v_add_nc_u32_e32 v192, 0x6210, v0
	v_cvt_i32_f64_e32 v2, v[2:3]
	v_min_i32_e32 v3, s12, v19
	v_add3_u32 v19, v28, v32, 0x6200
	v_mul_lo_u32 v166, s17, v7
	v_add_nc_u32_e32 v7, 64, v27
	v_mov_b64_e32 v[32:33], 0
	v_mad_u32 v77, v3, s17, v29
	v_add_nc_u32_e32 v3, 0xc00, v30
	v_mov_b64_e32 v[28:29], 0
	v_and_b32_e32 v7, 0x1fc, v7
	s_mov_b32 s12, 0x41000000
	s_delay_alu instid0(VALU_DEP_3)
	v_add_nc_u32_e32 v182, v1, v3
	v_mul_lo_u32 v170, s17, v2
	v_add_nc_u32_e32 v2, v14, v6
	v_dual_add_nc_u32 v52, s15, v50 :: v_dual_add_nc_u32 v174, v17, v11
	v_dual_add_nc_u32 v172, v8, v10 :: v_dual_add_nc_u32 v6, v14, v7
	v_add_nc_u32_e32 v7, v14, v16
	s_delay_alu instid0(VALU_DEP_3)
	v_add_nc_u32_e32 v56, s15, v52
	v_add_nc_u32_e32 v14, 0x1c00, v30
	;; [unrolled: 1-line block ×4, first 2 shown]
	v_dual_add_nc_u32 v176, v18, v13 :: v_dual_add_nc_u32 v178, v19, v15
	v_dual_add_nc_u32 v58, s15, v56 :: v_dual_add_nc_u32 v181, v1, v35
	v_add_nc_u32_e32 v177, 0x6600, v7
	v_add_nc_u32_e32 v186, v1, v14
	;; [unrolled: 1-line block ×3, first 2 shown]
	s_delay_alu instid0(VALU_DEP_4)
	v_add_nc_u32_e32 v60, s15, v58
	v_add_nc_u32_e32 v190, 0x6a10, v6
	;; [unrolled: 1-line block ×3, first 2 shown]
	v_mov_b64_e32 v[14:15], 0
	v_mov_b64_e32 v[6:7], 0
	v_dual_add_nc_u32 v64, s15, v60 :: v_dual_add_nc_u32 v187, v1, v30
	v_mov_b64_e32 v[34:35], 0
	v_mov_b64_e32 v[12:13], 0
	;; [unrolled: 1-line block ×3, first 2 shown]
	s_delay_alu instid0(VALU_DEP_4)
	v_add_nc_u32_e32 v66, s15, v64
	v_mov_b64_e32 v[10:11], 0
	v_mov_b64_e32 v[2:3], 0
	;; [unrolled: 1-line block ×4, first 2 shown]
	v_add_nc_u32_e32 v68, s15, v66
	v_add_nc_u32_e32 v70, s14, v62
	v_mov_b64_e32 v[8:9], 0
	v_mov_b64_e32 v[0:1], 0
	s_delay_alu instid0(VALU_DEP_3) | instskip(NEXT) | instid1(VALU_DEP_1)
	v_dual_add_nc_u32 v72, s15, v68 :: v_dual_add_nc_u32 v74, s14, v70
	v_dual_add_nc_u32 v76, s15, v72 :: v_dual_add_nc_u32 v78, s14, v74
	s_branch .LBB157_7
.LBB157_6:                              ;   in Loop: Header=BB157_7 Depth=1
	s_add_co_i32 s10, s10, 8
	s_add_co_i32 s16, s16, -8
	s_cmp_ge_i32 s10, s5
	s_cbranch_scc1 .LBB157_14
.LBB157_7:                              ; =>This Loop Header: Depth=1
                                        ;     Child Loop BB157_9 Depth 2
                                        ;     Child Loop BB157_12 Depth 2
	s_mul_u64 s[14:15], s[10:11], 18
	s_cmp_gt_u32 s16, 3
	s_add_nc_u64 s[14:15], s[0:1], s[14:15]
	s_delay_alu instid0(SALU_CYCLE_1) | instskip(NEXT) | instid1(VALU_DEP_1)
	v_mad_nc_u64_u32 v[80:81], v20, 18, s[14:15]
	v_mad_nc_u64_u32 v[82:83], v38, 18, v[80:81]
	s_delay_alu instid0(VALU_DEP_1)
	v_add_nc_u64_e32 v[82:83], v[82:83], v[24:25]
	global_load_b32 v82, v[82:83], off offset:2
	s_wait_loadcnt 0x0
	ds_store_b32 v43, v82
	s_wait_xcnt 0x0
	v_mad_nc_u64_u32 v[82:83], v40, 18, v[80:81]
	s_delay_alu instid0(VALU_DEP_1)
	v_add_nc_u64_e32 v[82:83], v[82:83], v[24:25]
	global_load_b32 v82, v[82:83], off offset:2
	s_wait_loadcnt 0x0
	ds_store_b32 v45, v82
	s_wait_xcnt 0x0
	;; [unrolled: 7-line block ×14, first 2 shown]
	v_mad_nc_u64_u32 v[82:83], v72, 18, v[80:81]
	v_mad_nc_u64_u32 v[80:81], v76, 18, v[80:81]
	s_delay_alu instid0(VALU_DEP_2) | instskip(NEXT) | instid1(VALU_DEP_2)
	v_add_nc_u64_e32 v[82:83], v[82:83], v[24:25]
	v_add_nc_u64_e32 v[80:81], v[80:81], v[24:25]
	s_clause 0x1
	global_load_b32 v82, v[82:83], off offset:2
	global_load_b32 v80, v[80:81], off offset:2
	s_wait_loadcnt 0x1
	ds_store_b32 v73, v82
	s_wait_loadcnt 0x0
	ds_store_b32 v193, v80
	s_wait_xcnt 0x0
	v_mad_nc_u64_u32 v[80:81], v26, 18, s[14:15]
	s_delay_alu instid0(VALU_DEP_1)
	v_mad_nc_u64_u32 v[82:83], v62, 18, v[80:81]
	global_load_u16 v82, v[82:83], off
	s_wait_loadcnt 0x0
	s_wait_xcnt 0x0
	v_cvt_f32_f16_e32 v82, v82
	ds_store_b32 v172, v82
	v_mad_nc_u64_u32 v[82:83], v70, 18, v[80:81]
	global_load_u16 v82, v[82:83], off
	s_wait_loadcnt 0x0
	s_wait_xcnt 0x0
	v_cvt_f32_f16_e32 v82, v82
	ds_store_b32 v174, v82
	v_mad_nc_u64_u32 v[82:83], v74, 18, v[80:81]
	v_mad_nc_u64_u32 v[80:81], v78, 18, v[80:81]
	s_clause 0x1
	global_load_u16 v82, v[82:83], off
	global_load_u16 v80, v[80:81], off
	s_wait_loadcnt 0x1
	s_wait_xcnt 0x1
	v_cvt_f32_f16_e32 v82, v82
	s_wait_loadcnt 0x0
	s_wait_xcnt 0x0
	v_cvt_f32_f16_e32 v80, v80
	ds_store_b32 v176, v82
	ds_store_b32 v178, v80
	s_cbranch_scc0 .LBB157_6
; %bb.8:                                ;   in Loop: Header=BB157_7 Depth=1
	v_dual_add_nc_u32 v80, s10, v41 :: v_dual_mov_b32 v150, v188
	v_dual_mov_b32 v156, v194 :: v_dual_add_nc_u32 v81, s10, v77
	s_mov_b32 s14, -4
	s_delay_alu instid0(VALU_DEP_2) | instskip(SKIP_2) | instid1(VALU_DEP_3)
	v_dual_mov_b32 v151, v195 :: v_dual_add_nc_u32 v82, v80, v79
	v_dual_mov_b32 v152, v179 :: v_dual_mov_b32 v153, v177
	v_mov_b32_e32 v154, v175
	v_mad_nc_i64_i32 v[82:83], v82, 36, v[54:55]
	v_mov_b32_e32 v155, v173
	global_load_b32 v82, v[82:83], off offset:4
	s_wait_loadcnt 0x0
	ds_store_b32 v187, v82
	v_add_nc_u32_e32 v82, v80, v164
	s_delay_alu instid0(VALU_DEP_1) | instskip(SKIP_4) | instid1(VALU_DEP_1)
	v_mad_nc_i64_i32 v[82:83], v82, 36, v[54:55]
	global_load_b32 v82, v[82:83], off offset:4
	s_wait_loadcnt 0x0
	ds_store_b32 v180, v82
	v_add_nc_u32_e32 v82, v80, v165
	v_mad_nc_i64_i32 v[82:83], v82, 36, v[54:55]
	global_load_b32 v82, v[82:83], off offset:4
	s_wait_loadcnt 0x0
	ds_store_b32 v181, v82
	v_add_nc_u32_e32 v82, v80, v166
	s_delay_alu instid0(VALU_DEP_1) | instskip(SKIP_4) | instid1(VALU_DEP_1)
	v_mad_nc_i64_i32 v[82:83], v82, 36, v[54:55]
	global_load_b32 v82, v[82:83], off offset:4
	s_wait_loadcnt 0x0
	ds_store_b32 v182, v82
	v_add_nc_u32_e32 v82, v80, v167
	v_mad_nc_i64_i32 v[82:83], v82, 36, v[54:55]
	global_load_b32 v82, v[82:83], off offset:4
	s_wait_loadcnt 0x0
	ds_store_b32 v183, v82
	v_add_nc_u32_e32 v82, v80, v168
	s_delay_alu instid0(VALU_DEP_1) | instskip(SKIP_4) | instid1(VALU_DEP_1)
	v_mad_nc_i64_i32 v[82:83], v82, 36, v[54:55]
	global_load_b32 v82, v[82:83], off offset:4
	s_wait_loadcnt 0x0
	ds_store_b32 v184, v82
	v_dual_add_nc_u32 v82, v80, v169 :: v_dual_add_nc_u32 v80, v80, v170
	v_mad_nc_i64_i32 v[82:83], v82, 36, v[54:55]
	global_load_b32 v82, v[82:83], off offset:4
	s_wait_loadcnt 0x0
	ds_store_b32 v185, v82
	v_mad_nc_i64_i32 v[82:83], v80, 36, v[54:55]
	global_load_b32 v80, v[82:83], off offset:4
	s_wait_xcnt 0x0
	v_mad_nc_u64_u32 v[82:83], v81, 36, s[2:3]
	s_wait_loadcnt 0x0
	ds_store_b32 v186, v80
	global_load_b32 v80, v[82:83], off
	s_wait_loadcnt 0x0
	ds_store_b32 v75, v80
	s_wait_dscnt 0x0
	s_barrier_signal -1
	s_barrier_wait -1
.LBB157_9:                              ;   Parent Loop BB157_7 Depth=1
                                        ; =>  This Inner Loop Header: Depth=2
	v_add_nc_u32_e32 v88, 0x1080, v156
	ds_load_2addr_b32 v[84:85], v150 offset1:3
	ds_load_2addr_b32 v[82:83], v150 offset0:4 offset1:7
	v_add_nc_u32_e32 v89, 0x1088, v156
	v_add_nc_u32_e32 v92, 0x2100, v156
	ds_load_2addr_b32 v[100:101], v156 offset1:1
	ds_load_2addr_b32 v[86:87], v156 offset0:2 offset1:3
	ds_load_b32 v80, v155
	v_add_nc_u32_e32 v93, 0x2108, v156
	v_add_nc_u32_e32 v96, 0x3180, v156
	;; [unrolled: 1-line block ×6, first 2 shown]
	ds_load_2addr_b32 v[104:105], v88 offset1:1
	ds_load_2addr_b32 v[90:91], v89 offset1:1
	;; [unrolled: 1-line block ×4, first 2 shown]
	ds_load_2addr_b32 v[94:95], v120 offset0:4 offset1:7
	ds_load_2addr_b32 v[110:111], v96 offset1:1
	ds_load_2addr_b32 v[96:97], v97 offset1:1
	ds_load_2addr_b32 v[112:113], v98 offset1:1
	ds_load_2addr_b32 v[106:107], v99 offset1:1
	v_add_nc_u32_e32 v226, 0x800, v150
	v_add_nc_u32_e32 v251, 0x1800, v150
	s_set_vgpr_msb 64                       ;  msbs: dst=1 src0=0 src1=0 src2=0
	v_add_nc_u32_e32 v0 /*v256*/, 0x1c00, v150
	s_set_vgpr_msb 0                        ;  msbs: dst=0 src0=0 src1=0 src2=0
	v_add_nc_u32_e32 v156, 16, v156
	s_add_co_i32 s14, s14, 4
	v_add_nc_u32_e32 v155, 4, v155
	s_cmp_lt_u32 s14, 12
	s_wait_dscnt 0xd
	v_bfe_i32 v92, v84, 0, 8
	v_bfe_i32 v93, v84, 8, 8
	s_wait_dscnt 0xb
	v_and_b32_e32 v200, 15, v100
	v_bfe_i32 v98, v84, 16, 8
	s_wait_dscnt 0x6
	v_dual_ashrrev_i32 v99, 24, v84 :: v_dual_bitop2_b32 v202, 15, v102 bitop3:0x40
	v_bfe_u32 v201, v100, 8, 4
	v_bfe_u32 v161, v100, 16, 4
	;; [unrolled: 1-line block ×3, first 2 shown]
	s_wait_dscnt 0x3
	v_dual_lshrrev_b32 v217, 28, v111 :: v_dual_bitop2_b32 v204, 15, v104 bitop3:0x40
	v_lshrrev_b32_e32 v227, 28, v110
	v_mul_i32_i24_e32 v108, v200, v92
	v_bfe_u32 v224, v111, 24, 4
	v_dual_ashrrev_i32 v122, 24, v94 :: v_dual_bitop2_b32 v223, 15, v111 bitop3:0x40
	s_wait_dscnt 0x0
	v_dual_ashrrev_i32 v236, 24, v112 :: v_dual_ashrrev_i32 v228, 24, v106
	v_mul_i32_i24_e32 v109, v161, v98
	v_mul_i32_i24_e32 v116, v162, v99
	v_bfe_u32 v230, v110, 20, 4
	v_bfe_i32 v123, v94, 16, 8
	v_bfe_u32 v222, v111, 16, 4
	v_bfe_i32 v231, v112, 16, 8
	;; [unrolled: 2-line block ×3, first 2 shown]
	v_mad_i32_i24 v108, v201, v93, v108
	v_mul_i32_i24_e32 v117, v122, v227
	v_mul_i32_i24_e32 v118, v236, v224
	v_mul_i32_i24_e32 v119, v228, v217
	v_bfe_u32 v233, v110, 4, 4
	v_bfe_i32 v124, v94, 0, 8
	v_bfe_i32 v232, v112, 0, 8
	v_bfe_u32 v219, v111, 4, 4
	v_bfe_i32 v229, v106, 0, 8
	v_add3_u32 v108, v108, v109, v116
	v_mul_i32_i24_e32 v109, v123, v230
	v_mul_i32_i24_e32 v116, v231, v222
	v_add3_u32 v117, v117, v118, v119
	v_mul_i32_i24_e32 v118, v225, v214
	v_bfe_i32 v235, v82, 0, 8
	v_bfe_i32 v234, v82, 8, 8
	v_bfe_u32 v84, v100, 4, 4
	v_bfe_u32 v121, v100, 12, 4
	v_mul_i32_i24_e32 v119, v124, v233
	v_add3_u32 v109, v109, v116, v118
	v_mul_i32_i24_e32 v116, v232, v223
	v_mul_i32_i24_e32 v118, v229, v219
	;; [unrolled: 1-line block ×4, first 2 shown]
	v_bfe_u32 v205, v104, 8, 4
	v_bfe_u32 v163, v104, 16, 4
	v_dual_lshrrev_b32 v208, 28, v96 :: v_dual_bitop2_b32 v159, 15, v110 bitop3:0x40
	v_bfe_u32 v199, v104, 24, 4
	v_add3_u32 v116, v119, v116, v118
	v_mul_i32_i24_e32 v118, v204, v92
	v_bfe_u32 v203, v102, 8, 4
	v_bfe_u32 v197, v102, 16, 4
	;; [unrolled: 1-line block ×4, first 2 shown]
	v_mul_i32_i24_e32 v119, v163, v98
	v_add3_u32 v129, v108, v115, v114
	v_mul_i32_i24_e32 v108, v202, v92
	v_mul_i32_i24_e32 v114, v199, v99
	v_mad_i32_i24 v115, v205, v93, v118
	v_bfe_u32 v160, v110, 24, 4
	v_mul_i32_i24_e32 v92, v159, v92
	v_bfe_u32 v212, v96, 24, 4
	v_dual_ashrrev_i32 v221, 24, v113 :: v_dual_bitop2_b32 v211, 15, v96 bitop3:0x40
	v_add3_u32 v130, v115, v119, v114
	v_mul_i32_i24_e32 v114, v197, v98
	v_mad_i32_i24 v108, v203, v93, v108
	v_dual_ashrrev_i32 v215, 24, v107 :: v_dual_lshrrev_b32 v137, 28, v100
	v_mad_i32_i24 v92, v158, v93, v92
	v_mul_i32_i24_e32 v93, v157, v98
	v_mul_i32_i24_e32 v98, v160, v99
	v_bfe_i32 v218, v113, 0, 8
	v_bfe_u32 v209, v96, 4, 4
	v_bfe_i32 v216, v107, 0, 8
	v_bfe_u32 v210, v96, 16, 4
	v_add3_u32 v237, v92, v93, v98
	v_mul_i32_i24_e32 v92, v221, v212
	v_mul_i32_i24_e32 v93, v215, v208
	v_bfe_i32 v220, v113, 16, 8
	v_bfe_u32 v207, v96, 20, 4
	v_bfe_i32 v213, v107, 16, 8
	v_bfe_u32 v198, v102, 24, 4
	v_add3_u32 v126, v117, v92, v93
	v_mul_i32_i24_e32 v92, v218, v211
	v_mul_i32_i24_e32 v93, v216, v209
	v_bfe_u32 v136, v100, 20, 4
	v_mul_i32_i24_e32 v115, v198, v99
	v_bfe_u32 v139, v104, 12, 4
	v_bfe_u32 v141, v102, 12, 4
	v_add3_u32 v125, v116, v92, v93
	v_mul_i32_i24_e32 v92, v220, v210
	v_mul_i32_i24_e32 v93, v213, v207
	v_bfe_u32 v142, v102, 4, 4
	v_bfe_u32 v244, v102, 20, 4
	v_lshrrev_b32_e32 v102, 28, v102
	v_bfe_u32 v138, v104, 4, 4
	v_add3_u32 v127, v109, v92, v93
	ds_load_2addr_b32 v[92:93], v226 offset0:4 offset1:7
	v_bfe_u32 v242, v104, 20, 4
	v_lshrrev_b32_e32 v243, 28, v104
	v_add3_u32 v128, v108, v114, v115
	s_set_vgpr_msb 64                       ;  msbs: dst=1 src0=0 src1=0 src2=0
	v_bfe_i32 v22 /*v278*/, v82, 16, 8
	v_dual_ashrrev_i32 v23 /*v279*/, 24, v82 :: v_dual_lshrrev_b32 v31 /*v287*/, 4, v97
	s_set_vgpr_msb 4                        ;  msbs: dst=0 src0=0 src1=1 src2=0
	v_bfe_u32 v247, v97, 24, 4
	v_bfe_i32 v248, v95, 16, 8
	v_mul_i32_i24_e32 v82, v136, v22 /*v278*/
	v_bfe_i32 v252, v95, 0, 8
	s_set_vgpr_msb 1                        ;  msbs: dst=0 src0=1 src1=0 src2=0
	v_bfe_u32 v206, v31 /*v287*/, 16, 4
	s_set_vgpr_msb 0                        ;  msbs: dst=0 src0=0 src1=0 src2=0
	v_bfe_u32 v241, v97, 4, 4
	s_set_vgpr_msb 64                       ;  msbs: dst=1 src0=0 src1=0 src2=0
	v_bfe_u32 v34 /*v290*/, v101, 8, 4
	v_bfe_u32 v35 /*v291*/, v101, 24, 4
	;; [unrolled: 1-line block ×6, first 2 shown]
	s_set_vgpr_msb 0                        ;  msbs: dst=0 src0=0 src1=0 src2=0
	v_lshrrev_b32_e32 v110, 4, v110
	s_wait_dscnt 0x0
	v_bfe_i32 v240, v92, 8, 8
	v_bfe_i32 v239, v92, 0, 8
	;; [unrolled: 1-line block ×3, first 2 shown]
	v_ashrrev_i32_e32 v92, 24, v92
	v_lshrrev_b16 v110, 8, v110
	v_mul_i32_i24_e32 v98, v240, v121
	v_bfe_i32 v112, v112, 8, 8
	v_mul_i32_i24_e32 v99, v238, v136
	v_mul_i32_i24_e32 v100, v92, v137
	v_bfe_i32 v113, v113, 8, 8
	v_mad_i32_i24 v98, v239, v84, v98
	v_bfe_i32 v106, v106, 8, 8
	v_bfe_i32 v107, v107, 8, 8
	s_delay_alu instid0(VALU_DEP_3) | instskip(SKIP_3) | instid1(VALU_DEP_3)
	v_add3_u32 v131, v98, v99, v100
	v_mul_i32_i24_e32 v98, v240, v139
	v_mul_i32_i24_e32 v99, v238, v242
	;; [unrolled: 1-line block ×3, first 2 shown]
	v_mad_i32_i24 v98, v239, v138, v98
	s_delay_alu instid0(VALU_DEP_1)
	v_add3_u32 v132, v98, v99, v100
	v_mul_i32_i24_e32 v98, v240, v141
	v_mul_i32_i24_e32 v99, v238, v244
	;; [unrolled: 1-line block ×5, first 2 shown]
	v_mad_i32_i24 v98, v239, v142, v98
	s_delay_alu instid0(VALU_DEP_1)
	v_add3_u32 v133, v98, v99, v100
	v_add_nc_u32_e32 v100, 0xc00, v150
	ds_load_2addr_b32 v[98:99], v100 offset0:4 offset1:7
	s_wait_dscnt 0x0
	v_bfe_i32 v250, v98, 8, 8
	v_bfe_i32 v249, v98, 0, 8
	v_bfe_i32 v245, v98, 16, 8
	v_ashrrev_i32_e32 v246, 24, v98
	s_delay_alu instid0(VALU_DEP_4) | instskip(NEXT) | instid1(VALU_DEP_3)
	v_mul_i32_i24_e32 v104, v250, v121
	v_mul_i32_i24_e32 v98, v245, v136
	s_delay_alu instid0(VALU_DEP_3) | instskip(NEXT) | instid1(VALU_DEP_3)
	v_mul_i32_i24_e32 v108, v246, v137
	v_mad_i32_i24 v104, v249, v84, v104
	s_delay_alu instid0(VALU_DEP_1) | instskip(SKIP_3) | instid1(VALU_DEP_3)
	v_add3_u32 v134, v104, v98, v108
	v_mul_i32_i24_e32 v98, v250, v139
	v_mul_i32_i24_e32 v104, v245, v242
	;; [unrolled: 1-line block ×3, first 2 shown]
	v_mad_i32_i24 v98, v249, v138, v98
	s_delay_alu instid0(VALU_DEP_1)
	v_add3_u32 v135, v98, v104, v108
	v_mul_i32_i24_e32 v98, v250, v141
	v_mul_i32_i24_e32 v104, v245, v244
	;; [unrolled: 1-line block ×5, first 2 shown]
	v_mad_i32_i24 v98, v249, v142, v98
	s_delay_alu instid0(VALU_DEP_1)
	v_add3_u32 v140, v98, v104, v108
	v_add_nc_u32_e32 v98, 0x1000, v150
	ds_load_2addr_b32 v[108:109], v98 offset0:4 offset1:7
	s_wait_dscnt 0x0
	s_set_vgpr_msb 64                       ;  msbs: dst=1 src0=0 src1=0 src2=0
	v_bfe_i32 v3 /*v259*/, v108, 8, 8
	v_bfe_i32 v2 /*v258*/, v108, 0, 8
	s_set_vgpr_msb 0                        ;  msbs: dst=0 src0=0 src1=0 src2=0
	v_bfe_i32 v255, v108, 16, 8
	v_ashrrev_i32_e32 v108, 24, v108
	s_set_vgpr_msb 1                        ;  msbs: dst=0 src0=1 src1=0 src2=0
	v_mul_i32_i24_e32 v104, v3 /*v259*/, v121
	s_set_vgpr_msb 0                        ;  msbs: dst=0 src0=0 src1=0 src2=0
	v_mul_i32_i24_e32 v114, v255, v136
	v_mul_i32_i24_e32 v115, v108, v137
	s_set_vgpr_msb 1                        ;  msbs: dst=0 src0=1 src1=0 src2=0
	v_mad_i32_i24 v104, v2 /*v258*/, v84, v104
	s_set_vgpr_msb 0                        ;  msbs: dst=0 src0=0 src1=0 src2=0
	s_delay_alu instid0(VALU_DEP_1)
	v_add3_u32 v144, v104, v114, v115
	s_set_vgpr_msb 1                        ;  msbs: dst=0 src0=1 src1=0 src2=0
	v_mul_i32_i24_e32 v104, v3 /*v259*/, v139
	s_set_vgpr_msb 0                        ;  msbs: dst=0 src0=0 src1=0 src2=0
	v_mul_i32_i24_e32 v114, v255, v242
	v_mul_i32_i24_e32 v115, v108, v243
	s_set_vgpr_msb 1                        ;  msbs: dst=0 src0=1 src1=0 src2=0
	v_mad_i32_i24 v104, v2 /*v258*/, v138, v104
	s_set_vgpr_msb 0                        ;  msbs: dst=0 src0=0 src1=0 src2=0
	s_delay_alu instid0(VALU_DEP_1)
	v_add3_u32 v145, v104, v114, v115
	s_set_vgpr_msb 1                        ;  msbs: dst=0 src0=1 src1=0 src2=0
	v_mul_i32_i24_e32 v104, v3 /*v259*/, v141
	s_set_vgpr_msb 0                        ;  msbs: dst=0 src0=0 src1=0 src2=0
	v_mul_i32_i24_e32 v114, v255, v244
	v_mul_i32_i24_e32 v115, v108, v102
	;; [unrolled: 1-line block ×3, first 2 shown]
	s_set_vgpr_msb 1                        ;  msbs: dst=0 src0=1 src1=0 src2=0
	v_mad_i32_i24 v104, v2 /*v258*/, v142, v104
	s_set_vgpr_msb 0                        ;  msbs: dst=0 src0=0 src1=0 src2=0
	s_delay_alu instid0(VALU_DEP_1)
	v_add3_u32 v146, v104, v114, v115
	v_add_nc_u32_e32 v104, 0x1400, v150
	ds_load_2addr_b32 v[114:115], v104 offset0:4 offset1:7
	s_wait_dscnt 0x0
	s_set_vgpr_msb 64                       ;  msbs: dst=1 src0=0 src1=0 src2=0
	v_bfe_i32 v7 /*v263*/, v114, 8, 8
	v_bfe_i32 v6 /*v262*/, v114, 0, 8
	v_bfe_i32 v4 /*v260*/, v114, 16, 8
	v_ashrrev_i32_e32 v5 /*v261*/, 24, v114
	s_set_vgpr_msb 1                        ;  msbs: dst=0 src0=1 src1=0 src2=0
	v_mul_i32_i24_e32 v116, v7 /*v263*/, v121
	s_delay_alu instid0(VALU_DEP_3) | instskip(NEXT) | instid1(VALU_DEP_3)
	v_mul_i32_i24_e32 v114, v4 /*v260*/, v136
	v_mul_i32_i24_e32 v117, v5 /*v261*/, v137
	s_delay_alu instid0(VALU_DEP_3) | instskip(SKIP_1) | instid1(VALU_DEP_1)
	v_mad_i32_i24 v116, v6 /*v262*/, v84, v116
	s_set_vgpr_msb 0                        ;  msbs: dst=0 src0=0 src1=0 src2=0
	v_add3_u32 v147, v116, v114, v117
	s_set_vgpr_msb 1                        ;  msbs: dst=0 src0=1 src1=0 src2=0
	v_mul_i32_i24_e32 v114, v7 /*v263*/, v139
	v_mul_i32_i24_e32 v116, v4 /*v260*/, v242
	;; [unrolled: 1-line block ×3, first 2 shown]
	s_delay_alu instid0(VALU_DEP_3) | instskip(SKIP_1) | instid1(VALU_DEP_1)
	v_mad_i32_i24 v114, v6 /*v262*/, v138, v114
	s_set_vgpr_msb 0                        ;  msbs: dst=0 src0=0 src1=0 src2=0
	v_add3_u32 v148, v114, v116, v117
	s_set_vgpr_msb 1                        ;  msbs: dst=0 src0=1 src1=0 src2=0
	v_mul_i32_i24_e32 v114, v7 /*v263*/, v141
	v_mul_i32_i24_e32 v116, v4 /*v260*/, v244
	;; [unrolled: 1-line block ×3, first 2 shown]
	s_delay_alu instid0(VALU_DEP_3) | instskip(SKIP_1) | instid1(VALU_DEP_1)
	v_mad_i32_i24 v114, v6 /*v262*/, v142, v114
	s_set_vgpr_msb 0                        ;  msbs: dst=0 src0=0 src1=0 src2=0
	v_add3_u32 v149, v114, v116, v117
	ds_load_2addr_b32 v[116:117], v251 offset0:4 offset1:7
	s_wait_dscnt 0x0
	s_set_vgpr_msb 64                       ;  msbs: dst=1 src0=0 src1=0 src2=0
	v_bfe_i32 v8 /*v264*/, v116, 8, 8
	v_bfe_i32 v9 /*v265*/, v116, 0, 8
	;; [unrolled: 1-line block ×3, first 2 shown]
	v_ashrrev_i32_e32 v11 /*v267*/, 24, v116
	s_set_vgpr_msb 1                        ;  msbs: dst=0 src0=1 src1=0 src2=0
	v_mul_i32_i24_e32 v114, v8 /*v264*/, v121
	s_delay_alu instid0(VALU_DEP_3) | instskip(NEXT) | instid1(VALU_DEP_3)
	v_mul_i32_i24_e32 v116, v10 /*v266*/, v136
	v_mul_i32_i24_e32 v118, v11 /*v267*/, v137
	s_delay_alu instid0(VALU_DEP_3) | instskip(SKIP_1) | instid1(VALU_DEP_1)
	v_mad_i32_i24 v114, v9 /*v265*/, v84, v114
	s_set_vgpr_msb 64                       ;  msbs: dst=1 src0=0 src1=0 src2=0
	v_add3_u32 v12 /*v268*/, v114, v116, v118
	s_set_vgpr_msb 1                        ;  msbs: dst=0 src0=1 src1=0 src2=0
	v_mul_i32_i24_e32 v114, v8 /*v264*/, v139
	v_mul_i32_i24_e32 v116, v10 /*v266*/, v242
	v_mul_i32_i24_e32 v118, v11 /*v267*/, v243
	s_delay_alu instid0(VALU_DEP_3) | instskip(SKIP_1) | instid1(VALU_DEP_1)
	v_mad_i32_i24 v114, v9 /*v265*/, v138, v114
	s_set_vgpr_msb 64                       ;  msbs: dst=1 src0=0 src1=0 src2=0
	v_add3_u32 v13 /*v269*/, v114, v116, v118
	s_set_vgpr_msb 1                        ;  msbs: dst=0 src0=1 src1=0 src2=0
	v_mul_i32_i24_e32 v114, v8 /*v264*/, v141
	v_mul_i32_i24_e32 v116, v10 /*v266*/, v244
	;; [unrolled: 1-line block ×3, first 2 shown]
	s_delay_alu instid0(VALU_DEP_3) | instskip(SKIP_1) | instid1(VALU_DEP_1)
	v_mad_i32_i24 v114, v9 /*v265*/, v142, v114
	s_set_vgpr_msb 64                       ;  msbs: dst=1 src0=0 src1=0 src2=0
	v_add3_u32 v14 /*v270*/, v114, v116, v118
	s_set_vgpr_msb 1                        ;  msbs: dst=0 src0=1 src1=0 src2=0
	ds_load_2addr_b32 v[118:119], v0 /*v256*/ offset0:4 offset1:7
	s_wait_dscnt 0x0
	s_set_vgpr_msb 64                       ;  msbs: dst=1 src0=0 src1=0 src2=0
	v_bfe_i32 v15 /*v271*/, v118, 8, 8
	v_bfe_i32 v16 /*v272*/, v118, 0, 8
	;; [unrolled: 1-line block ×3, first 2 shown]
	v_ashrrev_i32_e32 v18 /*v274*/, 24, v118
	s_set_vgpr_msb 1                        ;  msbs: dst=0 src0=1 src1=0 src2=0
	v_mul_i32_i24_e32 v114, v15 /*v271*/, v121
	s_delay_alu instid0(VALU_DEP_3) | instskip(NEXT) | instid1(VALU_DEP_3)
	v_mul_i32_i24_e32 v116, v17 /*v273*/, v136
	v_mul_i32_i24_e32 v118, v18 /*v274*/, v137
	s_delay_alu instid0(VALU_DEP_3) | instskip(SKIP_1) | instid1(VALU_DEP_1)
	v_mad_i32_i24 v114, v16 /*v272*/, v84, v114
	s_set_vgpr_msb 64                       ;  msbs: dst=1 src0=0 src1=0 src2=0
	v_add3_u32 v19 /*v275*/, v114, v116, v118
	s_set_vgpr_msb 1                        ;  msbs: dst=0 src0=1 src1=0 src2=0
	v_mul_i32_i24_e32 v114, v15 /*v271*/, v139
	v_mul_i32_i24_e32 v116, v17 /*v273*/, v242
	;; [unrolled: 1-line block ×3, first 2 shown]
	s_delay_alu instid0(VALU_DEP_3) | instskip(SKIP_1) | instid1(VALU_DEP_1)
	v_mad_i32_i24 v114, v16 /*v272*/, v138, v114
	s_set_vgpr_msb 64                       ;  msbs: dst=1 src0=0 src1=0 src2=0
	v_add3_u32 v20 /*v276*/, v114, v116, v118
	s_set_vgpr_msb 1                        ;  msbs: dst=0 src0=1 src1=0 src2=0
	v_mul_i32_i24_e32 v114, v15 /*v271*/, v141
	v_mul_i32_i24_e32 v116, v17 /*v273*/, v244
	v_mul_i32_i24_e32 v118, v18 /*v274*/, v102
	s_delay_alu instid0(VALU_DEP_3) | instskip(SKIP_1) | instid1(VALU_DEP_1)
	v_mad_i32_i24 v114, v16 /*v272*/, v142, v114
	s_set_vgpr_msb 64                       ;  msbs: dst=1 src0=0 src1=0 src2=0
	v_add3_u32 v21 /*v277*/, v114, v116, v118
	s_set_vgpr_msb 4                        ;  msbs: dst=0 src0=0 src1=1 src2=0
	v_mul_i32_i24_e32 v114, v137, v23 /*v279*/
	s_set_vgpr_msb 0                        ;  msbs: dst=0 src0=0 src1=0 src2=0
	v_mul_i32_i24_e32 v116, v142, v235
	v_mul_i32_i24_e32 v118, v141, v234
	s_set_vgpr_msb 64                       ;  msbs: dst=1 src0=0 src1=0 src2=0
	v_add3_u32 v24 /*v280*/, v129, v82, v114
	s_set_vgpr_msb 0                        ;  msbs: dst=0 src0=0 src1=0 src2=0
	v_mul_i32_i24_e32 v82, v138, v235
	v_mul_i32_i24_e32 v114, v139, v234
	s_set_vgpr_msb 64                       ;  msbs: dst=1 src0=0 src1=0 src2=0
	v_add3_u32 v26 /*v282*/, v128, v118, v116
	s_set_vgpr_msb 0                        ;  msbs: dst=0 src0=0 src1=0 src2=0
	v_mul_i32_i24_e32 v116, v123, v136
	v_mul_i32_i24_e32 v118, v122, v137
	;; [unrolled: 1-line block ×3, first 2 shown]
	s_set_vgpr_msb 64                       ;  msbs: dst=1 src0=0 src1=0 src2=0
	v_add3_u32 v25 /*v281*/, v130, v114, v82
	s_set_vgpr_msb 0                        ;  msbs: dst=0 src0=0 src1=0 src2=0
	v_lshrrev_b16 v82, 8, v94
	v_add_nc_u32_e32 v130, 0x1c04, v150
	s_delay_alu instid0(VALU_DEP_2) | instskip(NEXT) | instid1(VALU_DEP_1)
	v_bfe_i32 v94, v82, 0, 8
	v_mul_i32_i24_e32 v82, v94, v121
	ds_load_2addr_b32 v[120:121], v120 offset1:3
	v_mul_i32_i24_e32 v114, v94, v141
	v_mad_i32_i24 v82, v124, v84, v82
	v_mul_i32_i24_e32 v84, v94, v139
	s_delay_alu instid0(VALU_DEP_3) | instskip(SKIP_1) | instid1(VALU_DEP_3)
	v_mad_i32_i24 v114, v124, v142, v114
	s_set_vgpr_msb 64                       ;  msbs: dst=1 src0=0 src1=0 src2=0
	v_add3_u32 v27 /*v283*/, v82, v116, v118
	s_set_vgpr_msb 0                        ;  msbs: dst=0 src0=0 src1=0 src2=0
	v_mad_i32_i24 v84, v124, v138, v84
	v_mul_i32_i24_e32 v82, v123, v242
	v_mul_i32_i24_e32 v116, v122, v243
	v_and_b32_e32 v118, 15, v97
	s_set_vgpr_msb 4                        ;  msbs: dst=0 src0=0 src1=1 src2=0
	v_mul_i32_i24_e32 v242, v242, v22 /*v278*/
	v_mul_i32_i24_e32 v243, v243, v23 /*v279*/
	s_set_vgpr_msb 0                        ;  msbs: dst=0 src0=0 src1=0 src2=0
	v_mul_i32_i24_e32 v108, v227, v108
	s_set_vgpr_msb 64                       ;  msbs: dst=1 src0=0 src1=0 src2=0
	v_add3_u32 v28 /*v284*/, v84, v82, v116
	s_set_vgpr_msb 0                        ;  msbs: dst=0 src0=0 src1=0 src2=0
	v_mul_i32_i24_e32 v82, v123, v244
	v_mul_i32_i24_e32 v84, v122, v102
	s_wait_dscnt 0x0
	s_set_vgpr_msb 64                       ;  msbs: dst=1 src0=0 src1=0 src2=0
	v_ashrrev_i32_e32 v1 /*v257*/, 24, v121
	s_set_vgpr_msb 0                        ;  msbs: dst=0 src0=0 src1=0 src2=0
	v_bfe_u32 v116, v97, 16, 4
	v_bfe_i32 v253, v121, 16, 8
	v_bfe_i32 v254, v121, 0, 8
	s_set_vgpr_msb 64                       ;  msbs: dst=1 src0=0 src1=0 src2=0
	v_add3_u32 v29 /*v285*/, v114, v82, v84
	s_set_vgpr_msb 0                        ;  msbs: dst=0 src0=0 src1=0 src2=0
	v_bfe_i32 v114, v120, 0, 8
	s_set_vgpr_msb 1                        ;  msbs: dst=0 src0=1 src1=0 src2=0
	v_mul_i32_i24_e32 v82, v1 /*v257*/, v247
	v_add_nc_u32_e32 v122, 0xc04, v150
	v_add_nc_u32_e32 v123, 0xc14, v150
	v_add3_u32 v242, v25 /*v281*/, v242, v243
	s_set_vgpr_msb 0                        ;  msbs: dst=0 src0=0 src1=0 src2=0
	v_mul_i32_i24_e32 v84, v159, v114
	s_set_vgpr_msb 4                        ;  msbs: dst=0 src0=0 src1=1 src2=0
	v_mul_i32_i24_e32 v243, v244, v22 /*v278*/
	v_mul_i32_i24_e32 v102, v102, v23 /*v279*/
	;; [unrolled: 1-line block ×3, first 2 shown]
	s_set_vgpr_msb 0x44                     ;  msbs: dst=1 src0=0 src1=1 src2=0
	v_mul_i32_i24_e32 v25 /*v281*/, v236, v40 /*v296*/
	s_set_vgpr_msb 64                       ;  msbs: dst=1 src0=0 src1=0 src2=0
	v_add3_u32 v30 /*v286*/, v126, v82, v84
	s_set_vgpr_msb 0                        ;  msbs: dst=0 src0=0 src1=0 src2=0
	v_mul_i32_i24_e32 v82, v253, v116
	v_mul_i32_i24_e32 v84, v248, v206
	v_add_nc_u32_e32 v126, 0x1404, v150
	s_set_vgpr_msb 1                        ;  msbs: dst=0 src0=1 src1=0 src2=0
	v_add3_u32 v102, v26 /*v282*/, v243, v102
	s_set_vgpr_msb 4                        ;  msbs: dst=0 src0=0 src1=1 src2=0
	v_mul_i32_i24_e32 v243, v112, v34 /*v290*/
	v_mul_i32_i24_e32 v236, v236, v43 /*v299*/
	s_set_vgpr_msb 64                       ;  msbs: dst=1 src0=0 src1=0 src2=0
	v_add3_u32 v32 /*v288*/, v127, v82, v84
	s_set_vgpr_msb 0                        ;  msbs: dst=0 src0=0 src1=0 src2=0
	v_mul_i32_i24_e32 v82, v254, v118
	v_mul_i32_i24_e32 v84, v252, v241
	v_add_nc_u32_e32 v127, 0x1414, v150
	s_set_vgpr_msb 1                        ;  msbs: dst=0 src0=1 src1=0 src2=0
	v_add3_u32 v243, v27 /*v283*/, v244, v243
	s_set_vgpr_msb 4                        ;  msbs: dst=0 src0=0 src1=1 src2=0
	v_mul_i32_i24_e32 v244, v112, v39 /*v295*/
	v_bfe_i32 v121, v121, 8, 8
	s_set_vgpr_msb 64                       ;  msbs: dst=1 src0=0 src1=0 src2=0
	v_add3_u32 v33 /*v289*/, v125, v82, v84
	s_set_vgpr_msb 0                        ;  msbs: dst=0 src0=0 src1=0 src2=0
	v_add_nc_u32_e32 v82, 0x804, v150
	v_add_nc_u32_e32 v84, 0x814, v150
	ds_load_2addr_b32 v[138:139], v82 offset1:1
	ds_load_2addr_b32 v[124:125], v84 offset1:1
	;; [unrolled: 1-line block ×4, first 2 shown]
	s_set_vgpr_msb 5                        ;  msbs: dst=0 src0=1 src1=1 src2=0
	v_add3_u32 v244, v28 /*v284*/, v25 /*v281*/, v244
	s_set_vgpr_msb 0x44                     ;  msbs: dst=1 src0=0 src1=1 src2=0
	v_mul_i32_i24_e32 v25 /*v281*/, v112, v42 /*v298*/
	s_set_vgpr_msb 64                       ;  msbs: dst=1 src0=0 src1=0 src2=0
	v_and_b32_e32 v65 /*v321*/, 15, v101
	v_bfe_u32 v28 /*v284*/, v105, 16, 4
	s_set_vgpr_msb 17                       ;  msbs: dst=0 src0=1 src1=0 src2=1
	v_add3_u32 v236, v29 /*v285*/, v236, v25 /*v281*/
	s_wait_dscnt 0x3
	s_set_vgpr_msb 64                       ;  msbs: dst=1 src0=0 src1=0 src2=0
	v_bfe_i32 v36 /*v292*/, v138, 8, 8
	s_wait_dscnt 0x1
	v_dual_ashrrev_i32 v37 /*v293*/, 24, v138 :: v_dual_ashrrev_i32 v46 /*v302*/, 24, v136
	v_bfe_i32 v45 /*v301*/, v136, 8, 8
	s_set_vgpr_msb 5                        ;  msbs: dst=0 src0=1 src1=1 src2=0
	v_mul_i32_i24_e32 v82, v36 /*v292*/, v34 /*v290*/
	s_delay_alu instid0(VALU_DEP_3) | instskip(SKIP_1) | instid1(VALU_DEP_1)
	v_mul_i32_i24_e32 v84, v37 /*v293*/, v35 /*v291*/
	s_set_vgpr_msb 64                       ;  msbs: dst=1 src0=0 src1=0 src2=0
	v_add3_u32 v38 /*v294*/, v131, v84, v82
	s_set_vgpr_msb 5                        ;  msbs: dst=0 src0=1 src1=1 src2=0
	v_mul_i32_i24_e32 v82, v36 /*v292*/, v39 /*v295*/
	v_mul_i32_i24_e32 v84, v37 /*v293*/, v40 /*v296*/
	s_set_vgpr_msb 0                        ;  msbs: dst=0 src0=0 src1=0 src2=0
	v_add_nc_u32_e32 v131, 0x1c14, v150
	s_set_vgpr_msb 64                       ;  msbs: dst=1 src0=0 src1=0 src2=0
	s_delay_alu instid0(VALU_DEP_2) | instskip(SKIP_4) | instid1(VALU_DEP_1)
	v_add3_u32 v41 /*v297*/, v132, v84, v82
	s_set_vgpr_msb 5                        ;  msbs: dst=0 src0=1 src1=1 src2=0
	v_mul_i32_i24_e32 v82, v36 /*v292*/, v42 /*v298*/
	v_mul_i32_i24_e32 v84, v37 /*v293*/, v43 /*v299*/
	s_set_vgpr_msb 64                       ;  msbs: dst=1 src0=0 src1=0 src2=0
	v_add3_u32 v44 /*v300*/, v133, v84, v82
	s_set_vgpr_msb 5                        ;  msbs: dst=0 src0=1 src1=1 src2=0
	v_mul_i32_i24_e32 v82, v45 /*v301*/, v34 /*v290*/
	v_mul_i32_i24_e32 v84, v46 /*v302*/, v35 /*v291*/
	s_set_vgpr_msb 64                       ;  msbs: dst=1 src0=0 src1=0 src2=0
	s_delay_alu instid0(VALU_DEP_1) | instskip(SKIP_4) | instid1(VALU_DEP_1)
	v_add3_u32 v47 /*v303*/, v134, v84, v82
	s_set_vgpr_msb 5                        ;  msbs: dst=0 src0=1 src1=1 src2=0
	v_mul_i32_i24_e32 v82, v45 /*v301*/, v39 /*v295*/
	v_mul_i32_i24_e32 v84, v46 /*v302*/, v40 /*v296*/
	s_set_vgpr_msb 64                       ;  msbs: dst=1 src0=0 src1=0 src2=0
	v_add3_u32 v48 /*v304*/, v135, v84, v82
	s_set_vgpr_msb 5                        ;  msbs: dst=0 src0=1 src1=1 src2=0
	v_mul_i32_i24_e32 v82, v45 /*v301*/, v42 /*v298*/
	v_mul_i32_i24_e32 v84, v46 /*v302*/, v43 /*v299*/
	s_set_vgpr_msb 64                       ;  msbs: dst=1 src0=0 src1=0 src2=0
	s_delay_alu instid0(VALU_DEP_1)
	v_add3_u32 v49 /*v305*/, v140, v84, v82
	s_set_vgpr_msb 0                        ;  msbs: dst=0 src0=0 src1=0 src2=0
	v_add_nc_u32_e32 v82, 0x1004, v150
	v_add_nc_u32_e32 v84, 0x1014, v150
	ds_load_2addr_b32 v[142:143], v82 offset1:1
	ds_load_2addr_b32 v[128:129], v84 offset1:1
	;; [unrolled: 1-line block ×4, first 2 shown]
	s_wait_dscnt 0x3
	s_set_vgpr_msb 64                       ;  msbs: dst=1 src0=0 src1=0 src2=0
	v_bfe_i32 v50 /*v306*/, v142, 8, 8
	s_wait_dscnt 0x1
	v_dual_ashrrev_i32 v51 /*v307*/, 24, v142 :: v_dual_ashrrev_i32 v56 /*v312*/, 24, v140
	v_bfe_i32 v55 /*v311*/, v140, 8, 8
	s_set_vgpr_msb 5                        ;  msbs: dst=0 src0=1 src1=1 src2=0
	v_mul_i32_i24_e32 v82, v50 /*v306*/, v34 /*v290*/
	s_delay_alu instid0(VALU_DEP_3) | instskip(SKIP_1) | instid1(VALU_DEP_1)
	v_mul_i32_i24_e32 v84, v51 /*v307*/, v35 /*v291*/
	s_set_vgpr_msb 64                       ;  msbs: dst=1 src0=0 src1=0 src2=0
	v_add3_u32 v52 /*v308*/, v144, v84, v82
	s_set_vgpr_msb 5                        ;  msbs: dst=0 src0=1 src1=1 src2=0
	v_mul_i32_i24_e32 v82, v50 /*v306*/, v39 /*v295*/
	v_mul_i32_i24_e32 v84, v51 /*v307*/, v40 /*v296*/
	s_set_vgpr_msb 64                       ;  msbs: dst=1 src0=0 src1=0 src2=0
	s_delay_alu instid0(VALU_DEP_1) | instskip(SKIP_4) | instid1(VALU_DEP_1)
	v_add3_u32 v53 /*v309*/, v145, v84, v82
	s_set_vgpr_msb 5                        ;  msbs: dst=0 src0=1 src1=1 src2=0
	v_mul_i32_i24_e32 v82, v50 /*v306*/, v42 /*v298*/
	v_mul_i32_i24_e32 v84, v51 /*v307*/, v43 /*v299*/
	s_set_vgpr_msb 64                       ;  msbs: dst=1 src0=0 src1=0 src2=0
	v_add3_u32 v54 /*v310*/, v146, v84, v82
	s_set_vgpr_msb 5                        ;  msbs: dst=0 src0=1 src1=1 src2=0
	v_mul_i32_i24_e32 v82, v55 /*v311*/, v34 /*v290*/
	v_mul_i32_i24_e32 v84, v56 /*v312*/, v35 /*v291*/
	s_set_vgpr_msb 64                       ;  msbs: dst=1 src0=0 src1=0 src2=0
	s_delay_alu instid0(VALU_DEP_1) | instskip(SKIP_4) | instid1(VALU_DEP_1)
	v_add3_u32 v57 /*v313*/, v147, v84, v82
	s_set_vgpr_msb 5                        ;  msbs: dst=0 src0=1 src1=1 src2=0
	v_mul_i32_i24_e32 v82, v55 /*v311*/, v39 /*v295*/
	v_mul_i32_i24_e32 v84, v56 /*v312*/, v40 /*v296*/
	s_set_vgpr_msb 64                       ;  msbs: dst=1 src0=0 src1=0 src2=0
	v_add3_u32 v58 /*v314*/, v148, v84, v82
	s_set_vgpr_msb 5                        ;  msbs: dst=0 src0=1 src1=1 src2=0
	v_mul_i32_i24_e32 v82, v55 /*v311*/, v42 /*v298*/
	v_mul_i32_i24_e32 v84, v56 /*v312*/, v43 /*v299*/
	s_set_vgpr_msb 64                       ;  msbs: dst=1 src0=0 src1=0 src2=0
	s_delay_alu instid0(VALU_DEP_1)
	v_add3_u32 v59 /*v315*/, v149, v84, v82
	s_set_vgpr_msb 0                        ;  msbs: dst=0 src0=0 src1=0 src2=0
	v_add_nc_u32_e32 v82, 0x1804, v150
	v_add_nc_u32_e32 v84, 0x1814, v150
	ds_load_2addr_b32 v[146:147], v82 offset1:1
	ds_load_2addr_b32 v[132:133], v84 offset1:1
	;; [unrolled: 1-line block ×4, first 2 shown]
	s_wait_dscnt 0x3
	s_set_vgpr_msb 64                       ;  msbs: dst=1 src0=0 src1=0 src2=0
	v_bfe_i32 v60 /*v316*/, v146, 8, 8
	s_wait_dscnt 0x1
	v_dual_ashrrev_i32 v61 /*v317*/, 24, v146 :: v_dual_ashrrev_i32 v63 /*v319*/, 24, v144
	v_bfe_i32 v62 /*v318*/, v144, 8, 8
	s_set_vgpr_msb 5                        ;  msbs: dst=0 src0=1 src1=1 src2=0
	v_mul_i32_i24_e32 v82, v60 /*v316*/, v34 /*v290*/
	s_delay_alu instid0(VALU_DEP_3) | instskip(SKIP_1) | instid1(VALU_DEP_1)
	v_mul_i32_i24_e32 v84, v61 /*v317*/, v35 /*v291*/
	s_set_vgpr_msb 0x41                     ;  msbs: dst=1 src0=1 src1=0 src2=0
	v_add3_u32 v12 /*v268*/, v12 /*v268*/, v84, v82
	s_set_vgpr_msb 5                        ;  msbs: dst=0 src0=1 src1=1 src2=0
	v_mul_i32_i24_e32 v82, v60 /*v316*/, v39 /*v295*/
	v_mul_i32_i24_e32 v84, v61 /*v317*/, v40 /*v296*/
	s_set_vgpr_msb 0x41                     ;  msbs: dst=1 src0=1 src1=0 src2=0
	s_delay_alu instid0(VALU_DEP_1) | instskip(SKIP_4) | instid1(VALU_DEP_1)
	v_add3_u32 v13 /*v269*/, v13 /*v269*/, v84, v82
	s_set_vgpr_msb 5                        ;  msbs: dst=0 src0=1 src1=1 src2=0
	v_mul_i32_i24_e32 v82, v60 /*v316*/, v42 /*v298*/
	v_mul_i32_i24_e32 v84, v61 /*v317*/, v43 /*v299*/
	s_set_vgpr_msb 0x41                     ;  msbs: dst=1 src0=1 src1=0 src2=0
	v_add3_u32 v14 /*v270*/, v14 /*v270*/, v84, v82
	s_set_vgpr_msb 5                        ;  msbs: dst=0 src0=1 src1=1 src2=0
	v_mul_i32_i24_e32 v82, v62 /*v318*/, v34 /*v290*/
	v_mul_i32_i24_e32 v84, v63 /*v319*/, v35 /*v291*/
	s_set_vgpr_msb 0x41                     ;  msbs: dst=1 src0=1 src1=0 src2=0
	s_delay_alu instid0(VALU_DEP_1) | instskip(SKIP_4) | instid1(VALU_DEP_1)
	v_add3_u32 v19 /*v275*/, v19 /*v275*/, v84, v82
	s_set_vgpr_msb 5                        ;  msbs: dst=0 src0=1 src1=1 src2=0
	v_mul_i32_i24_e32 v82, v62 /*v318*/, v39 /*v295*/
	v_mul_i32_i24_e32 v84, v63 /*v319*/, v40 /*v296*/
	s_set_vgpr_msb 0x41                     ;  msbs: dst=1 src0=1 src1=0 src2=0
	v_add3_u32 v20 /*v276*/, v20 /*v276*/, v84, v82
	s_set_vgpr_msb 5                        ;  msbs: dst=0 src0=1 src1=1 src2=0
	v_mul_i32_i24_e32 v82, v62 /*v318*/, v42 /*v298*/
	v_mul_i32_i24_e32 v84, v63 /*v319*/, v43 /*v299*/
	s_set_vgpr_msb 0x41                     ;  msbs: dst=1 src0=1 src1=0 src2=0
	s_delay_alu instid0(VALU_DEP_1)
	v_add3_u32 v21 /*v277*/, v21 /*v277*/, v84, v82
	s_set_vgpr_msb 0                        ;  msbs: dst=0 src0=0 src1=0 src2=0
	ds_load_2addr_b32 v[148:149], v150 offset0:1 offset1:2
	ds_load_2addr_b32 v[134:135], v150 offset0:5 offset1:6
	ds_load_b32 v82, v152
	ds_load_b32 v84, v153
	v_dual_add_nc_u32 v153, 4, v153 :: v_dual_bitop2_b32 v110, 15, v110 bitop3:0x40
	v_dual_add_nc_u32 v152, 4, v152 :: v_dual_add_nc_u32 v150, 32, v150
	s_delay_alu instid0(VALU_DEP_2) | instskip(NEXT) | instid1(VALU_DEP_1)
	v_and_b32_e32 v110, 0xffff, v110
	v_mul_i32_i24_e32 v234, v110, v234
	v_mul_i32_i24_e32 v240, v110, v240
	;; [unrolled: 1-line block ×3, first 2 shown]
	s_set_vgpr_msb 0x44                     ;  msbs: dst=1 src0=0 src1=1 src2=0
	v_mul_i32_i24_e32 v3 /*v259*/, v110, v3 /*v259*/
	v_mul_i32_i24_e32 v7 /*v263*/, v110, v7 /*v263*/
	s_set_vgpr_msb 0                        ;  msbs: dst=0 src0=0 src1=0 src2=0
	v_add3_u32 v234, v237, v234, v235
	v_and_b32_e32 v235, 0xf0f0f0f, v111
	v_lshrrev_b32_e32 v111, 4, v111
	s_wait_dscnt 0x3
	s_set_vgpr_msb 0x44                     ;  msbs: dst=1 src0=0 src1=1 src2=0
	v_bfe_i32 v64 /*v320*/, v148, 0, 8
	v_bfe_i32 v66 /*v322*/, v148, 8, 8
	v_mul_i32_i24_e32 v8 /*v264*/, v110, v8 /*v264*/
	s_set_vgpr_msb 0                        ;  msbs: dst=0 src0=0 src1=0 src2=0
	v_lshrrev_b16 v235, 8, v235
	v_lshrrev_b16 v111, 8, v111
	s_set_vgpr_msb 0x45                     ;  msbs: dst=1 src0=1 src1=1 src2=0
	v_mul_i32_i24_e32 v67 /*v323*/, v64 /*v320*/, v65 /*v321*/
	v_mul_i32_i24_e32 v68 /*v324*/, v66 /*v322*/, v34 /*v290*/
	s_set_vgpr_msb 0                        ;  msbs: dst=0 src0=0 src1=0 src2=0
	v_mad_i32_i24 v239, v233, v239, v240
	v_and_b32_e32 v235, 0xffff, v235
	v_and_b32_e32 v111, 15, v111
	v_mad_i32_i24 v240, v233, v249, v250
	s_set_vgpr_msb 20                       ;  msbs: dst=0 src0=0 src1=1 src2=1
	v_mad_i32_i24 v249, v233, v2 /*v258*/, v3 /*v259*/
	v_mad_i32_i24 v250, v233, v6 /*v262*/, v7 /*v263*/
	s_set_vgpr_msb 0                        ;  msbs: dst=0 src0=0 src1=0 src2=0
	v_mul_i32_i24_e32 v112, v112, v235
	s_set_vgpr_msb 0x54                     ;  msbs: dst=1 src0=0 src1=1 src2=1
	v_mad_i32_i24 v2 /*v258*/, v233, v9 /*v265*/, v8 /*v264*/
	s_set_vgpr_msb 0x55                     ;  msbs: dst=1 src0=1 src1=1 src2=1
	v_add3_u32 v24 /*v280*/, v24 /*v280*/, v68 /*v324*/, v67 /*v323*/
	s_set_vgpr_msb 0                        ;  msbs: dst=0 src0=0 src1=0 src2=0
	v_add3_u32 v92, v239, v238, v92
	v_bfe_i32 v238, v122, 0, 8
	v_mad_i32_i24 v94, v94, v110, v112
	v_and_b32_e32 v112, 0xf0f0f0f, v96
	v_lshrrev_b32_e32 v96, 4, v96
	v_and_b32_e32 v237, 0xffff, v111
	s_set_vgpr_msb 4                        ;  msbs: dst=0 src0=0 src1=1 src2=0
	v_mul_i32_i24_e32 v110, v110, v15 /*v271*/
	s_set_vgpr_msb 64                       ;  msbs: dst=1 src0=0 src1=0 src2=0
	v_lshrrev_b32_e32 v15 /*v271*/, 28, v105
	s_set_vgpr_msb 0                        ;  msbs: dst=0 src0=0 src1=0 src2=0
	v_lshrrev_b16 v112, 8, v112
	v_lshrrev_b16 v96, 8, v96
	s_set_vgpr_msb 64                       ;  msbs: dst=1 src0=0 src1=0 src2=0
	v_mul_i32_i24_e32 v25 /*v281*/, v106, v237
	s_set_vgpr_msb 4                        ;  msbs: dst=0 src0=0 src1=1 src2=0
	v_mad_i32_i24 v110, v233, v16 /*v272*/, v110
	s_set_vgpr_msb 0                        ;  msbs: dst=0 src0=0 src1=0 src2=0
	v_ashrrev_i32_e32 v233, 24, v148
	v_and_b32_e32 v112, 0xffff, v112
	v_bfe_i32 v148, v148, 16, 8
	v_dual_ashrrev_i32 v239, 24, v122 :: v_dual_bitop2_b32 v96, 15, v96 bitop3:0x40
	s_set_vgpr_msb 0x44                     ;  msbs: dst=1 src0=0 src1=1 src2=0
	v_mul_i32_i24_e32 v3 /*v259*/, v233, v35 /*v291*/
	s_set_vgpr_msb 0                        ;  msbs: dst=0 src0=0 src1=0 src2=0
	v_mul_i32_i24_e32 v111, v113, v112
	v_add3_u32 v240, v240, v245, v246
	v_ashrrev_i32_e32 v246, 24, v128
	v_bfe_i32 v245, v128, 0, 8
	v_add3_u32 v249, v249, v255, v108
	s_set_vgpr_msb 4                        ;  msbs: dst=0 src0=0 src1=1 src2=0
	v_add3_u32 v94, v94, v25 /*v281*/, v111
	v_bfe_u32 v111, v101, 16, 4
	s_set_vgpr_msb 64                       ;  msbs: dst=1 src0=0 src1=0 src2=0
	v_bfe_i32 v25 /*v281*/, v138, 0, 8
	s_set_vgpr_msb 0                        ;  msbs: dst=0 src0=0 src1=0 src2=0
	v_bfe_i32 v138, v138, 16, 8
	v_bfe_i32 v255, v126, 0, 8
	s_set_vgpr_msb 64                       ;  msbs: dst=1 src0=0 src1=0 src2=0
	v_mul_i32_i24_e32 v6 /*v262*/, v148, v111
	s_set_vgpr_msb 0x45                     ;  msbs: dst=1 src0=1 src1=1 src2=0
	v_mul_i32_i24_e32 v26 /*v282*/, v25 /*v281*/, v65 /*v321*/
	s_set_vgpr_msb 64                       ;  msbs: dst=1 src0=0 src1=0 src2=0
	v_mul_i32_i24_e32 v27 /*v283*/, v138, v111
	s_set_vgpr_msb 0x44                     ;  msbs: dst=1 src0=0 src1=1 src2=0
	v_mul_i32_i24_e32 v34 /*v290*/, v138, v28 /*v284*/
	s_set_vgpr_msb 0x55                     ;  msbs: dst=1 src0=1 src1=1 src2=1
	v_add3_u32 v3 /*v259*/, v24 /*v280*/, v6 /*v262*/, v3 /*v259*/
	v_mul_i32_i24_e32 v6 /*v262*/, v66 /*v322*/, v39 /*v295*/
	v_add3_u32 v26 /*v282*/, v38 /*v294*/, v26 /*v282*/, v27 /*v283*/
	s_set_vgpr_msb 64                       ;  msbs: dst=1 src0=0 src1=0 src2=0
	v_and_b32_e32 v27 /*v283*/, 15, v105
	v_bfe_u32 v38 /*v294*/, v103, 16, 4
	s_set_vgpr_msb 0x44                     ;  msbs: dst=1 src0=0 src1=1 src2=0
	v_mul_i32_i24_e32 v39 /*v295*/, v246, v15 /*v271*/
	s_set_vgpr_msb 0x45                     ;  msbs: dst=1 src0=1 src1=1 src2=0
	v_mul_i32_i24_e32 v29 /*v285*/, v25 /*v281*/, v27 /*v283*/
	s_set_vgpr_msb 0x44                     ;  msbs: dst=1 src0=0 src1=1 src2=0
	v_mul_i32_i24_e32 v67 /*v323*/, v138, v38 /*v294*/
	s_set_vgpr_msb 0x45                     ;  msbs: dst=1 src0=1 src1=1 src2=0
	v_mul_i32_i24_e32 v7 /*v263*/, v64 /*v320*/, v27 /*v283*/
	s_set_vgpr_msb 0                        ;  msbs: dst=0 src0=0 src1=0 src2=0
	v_mul_i32_i24_e32 v138, v138, v222
	s_set_vgpr_msb 0x55                     ;  msbs: dst=1 src0=1 src1=1 src2=1
	v_add3_u32 v29 /*v285*/, v41 /*v297*/, v29 /*v285*/, v34 /*v290*/
	s_set_vgpr_msb 64                       ;  msbs: dst=1 src0=0 src1=0 src2=0
	v_and_b32_e32 v34 /*v290*/, 15, v103
	s_set_vgpr_msb 20                       ;  msbs: dst=0 src0=0 src1=1 src2=1
	v_add3_u32 v242, v242, v6 /*v262*/, v7 /*v263*/
	s_set_vgpr_msb 0x55                     ;  msbs: dst=1 src0=1 src1=1 src2=1
	v_mul_i32_i24_e32 v6 /*v262*/, v66 /*v322*/, v42 /*v298*/
	v_mul_i32_i24_e32 v41 /*v297*/, v25 /*v281*/, v34 /*v290*/
	;; [unrolled: 1-line block ×3, first 2 shown]
	s_delay_alu instid0(VALU_DEP_2)
	v_add3_u32 v41 /*v297*/, v44 /*v300*/, v41 /*v297*/, v67 /*v323*/
	s_set_vgpr_msb 64                       ;  msbs: dst=1 src0=0 src1=0 src2=0
	v_bfe_i32 v44 /*v300*/, v136, 0, 8
	s_set_vgpr_msb 20                       ;  msbs: dst=0 src0=0 src1=1 src2=1
	v_bfe_i32 v136, v136, 16, 8
	v_add3_u32 v102, v102, v6 /*v262*/, v7 /*v263*/
	s_set_vgpr_msb 64                       ;  msbs: dst=1 src0=0 src1=0 src2=0
	v_ashrrev_i32_e32 v7 /*v263*/, 24, v124
	s_set_vgpr_msb 0x44                     ;  msbs: dst=1 src0=0 src1=1 src2=0
	v_mul_i32_i24_e32 v6 /*v262*/, v232, v65 /*v321*/
	s_set_vgpr_msb 0x45                     ;  msbs: dst=1 src0=1 src1=1 src2=0
	v_mul_i32_i24_e32 v67 /*v323*/, v44 /*v300*/, v65 /*v321*/
	s_set_vgpr_msb 64                       ;  msbs: dst=1 src0=0 src1=0 src2=0
	v_mul_i32_i24_e32 v68 /*v324*/, v136, v111
	s_set_vgpr_msb 0x55                     ;  msbs: dst=1 src0=1 src1=1 src2=1
	s_delay_alu instid0(VALU_DEP_1) | instskip(SKIP_4) | instid1(VALU_DEP_1)
	v_add3_u32 v47 /*v303*/, v47 /*v303*/, v67 /*v323*/, v68 /*v324*/
	v_mul_i32_i24_e32 v67 /*v323*/, v44 /*v300*/, v27 /*v283*/
	s_set_vgpr_msb 0x44                     ;  msbs: dst=1 src0=0 src1=1 src2=0
	v_mul_i32_i24_e32 v68 /*v324*/, v136, v28 /*v284*/
	s_set_vgpr_msb 0x55                     ;  msbs: dst=1 src0=1 src1=1 src2=1
	v_add3_u32 v48 /*v304*/, v48 /*v304*/, v67 /*v323*/, v68 /*v324*/
	v_mul_i32_i24_e32 v67 /*v323*/, v44 /*v300*/, v34 /*v290*/
	s_set_vgpr_msb 0x44                     ;  msbs: dst=1 src0=0 src1=1 src2=0
	v_mul_i32_i24_e32 v68 /*v324*/, v136, v38 /*v294*/
	s_set_vgpr_msb 0                        ;  msbs: dst=0 src0=0 src1=0 src2=0
	v_mul_i32_i24_e32 v136, v136, v222
	s_set_vgpr_msb 0x55                     ;  msbs: dst=1 src0=1 src1=1 src2=1
	s_delay_alu instid0(VALU_DEP_2)
	v_add3_u32 v49 /*v305*/, v49 /*v305*/, v67 /*v323*/, v68 /*v324*/
	s_set_vgpr_msb 64                       ;  msbs: dst=1 src0=0 src1=0 src2=0
	v_bfe_i32 v67 /*v323*/, v142, 0, 8
	s_set_vgpr_msb 0                        ;  msbs: dst=0 src0=0 src1=0 src2=0
	v_bfe_i32 v142, v142, 16, 8
	s_set_vgpr_msb 0x45                     ;  msbs: dst=1 src0=1 src1=1 src2=0
	s_delay_alu instid0(VALU_DEP_2) | instskip(SKIP_1) | instid1(VALU_DEP_2)
	v_mul_i32_i24_e32 v68 /*v324*/, v67 /*v323*/, v65 /*v321*/
	s_set_vgpr_msb 64                       ;  msbs: dst=1 src0=0 src1=0 src2=0
	v_mul_i32_i24_e32 v69 /*v325*/, v142, v111
	s_set_vgpr_msb 0x55                     ;  msbs: dst=1 src0=1 src1=1 src2=1
	s_delay_alu instid0(VALU_DEP_1) | instskip(SKIP_4) | instid1(VALU_DEP_1)
	v_add3_u32 v52 /*v308*/, v52 /*v308*/, v68 /*v324*/, v69 /*v325*/
	v_mul_i32_i24_e32 v68 /*v324*/, v67 /*v323*/, v27 /*v283*/
	s_set_vgpr_msb 0x44                     ;  msbs: dst=1 src0=0 src1=1 src2=0
	v_mul_i32_i24_e32 v69 /*v325*/, v142, v28 /*v284*/
	s_set_vgpr_msb 0x55                     ;  msbs: dst=1 src0=1 src1=1 src2=1
	v_add3_u32 v53 /*v309*/, v53 /*v309*/, v68 /*v324*/, v69 /*v325*/
	v_mul_i32_i24_e32 v68 /*v324*/, v67 /*v323*/, v34 /*v290*/
	s_set_vgpr_msb 0x44                     ;  msbs: dst=1 src0=0 src1=1 src2=0
	v_mul_i32_i24_e32 v69 /*v325*/, v142, v38 /*v294*/
	s_set_vgpr_msb 0                        ;  msbs: dst=0 src0=0 src1=0 src2=0
	v_mul_i32_i24_e32 v142, v142, v222
	s_set_vgpr_msb 0x55                     ;  msbs: dst=1 src0=1 src1=1 src2=1
	s_delay_alu instid0(VALU_DEP_2)
	v_add3_u32 v54 /*v310*/, v54 /*v310*/, v68 /*v324*/, v69 /*v325*/
	s_set_vgpr_msb 64                       ;  msbs: dst=1 src0=0 src1=0 src2=0
	v_bfe_i32 v68 /*v324*/, v140, 0, 8
	s_set_vgpr_msb 0                        ;  msbs: dst=0 src0=0 src1=0 src2=0
	v_bfe_i32 v140, v140, 16, 8
	s_set_vgpr_msb 0x45                     ;  msbs: dst=1 src0=1 src1=1 src2=0
	s_delay_alu instid0(VALU_DEP_2) | instskip(SKIP_1) | instid1(VALU_DEP_2)
	;; [unrolled: 25-line block ×4, first 2 shown]
	v_mul_i32_i24_e32 v71 /*v327*/, v70 /*v326*/, v65 /*v321*/
	s_set_vgpr_msb 64                       ;  msbs: dst=1 src0=0 src1=0 src2=0
	v_mul_i32_i24_e32 v72 /*v328*/, v144, v111
	s_set_vgpr_msb 0                        ;  msbs: dst=0 src0=0 src1=0 src2=0
	v_mul_i32_i24_e32 v111, v231, v111
	s_set_vgpr_msb 0x55                     ;  msbs: dst=1 src0=1 src1=1 src2=1
	s_delay_alu instid0(VALU_DEP_2) | instskip(SKIP_1) | instid1(VALU_DEP_2)
	v_add3_u32 v19 /*v275*/, v19 /*v275*/, v71 /*v327*/, v72 /*v328*/
	s_set_vgpr_msb 4                        ;  msbs: dst=0 src0=0 src1=1 src2=0
	v_add3_u32 v243, v243, v6 /*v262*/, v111
	v_mul_i32_i24_e32 v111, v232, v27 /*v283*/
	s_set_vgpr_msb 0x44                     ;  msbs: dst=1 src0=0 src1=1 src2=0
	v_mul_i32_i24_e32 v6 /*v262*/, v231, v28 /*v284*/
	s_set_vgpr_msb 4                        ;  msbs: dst=0 src0=0 src1=1 src2=0
	v_mul_i32_i24_e32 v231, v231, v38 /*v294*/
	s_set_vgpr_msb 0x45                     ;  msbs: dst=1 src0=1 src1=1 src2=0
	v_mul_i32_i24_e32 v71 /*v327*/, v70 /*v326*/, v27 /*v283*/
	s_set_vgpr_msb 0x44                     ;  msbs: dst=1 src0=0 src1=1 src2=0
	v_mul_i32_i24_e32 v72 /*v328*/, v144, v28 /*v284*/
	s_set_vgpr_msb 16                       ;  msbs: dst=0 src0=0 src1=0 src2=1
	v_add3_u32 v244, v244, v111, v6 /*v262*/
	s_set_vgpr_msb 4                        ;  msbs: dst=0 src0=0 src1=1 src2=0
	v_mul_i32_i24_e32 v111, v232, v34 /*v290*/
	v_mul_i32_i24_e32 v232, v227, v23 /*v279*/
	s_set_vgpr_msb 64                       ;  msbs: dst=1 src0=0 src1=0 src2=0
	v_bfe_i32 v6 /*v262*/, v124, 0, 8
	v_lshrrev_b32_e32 v23 /*v279*/, 28, v103
	s_set_vgpr_msb 0x55                     ;  msbs: dst=1 src0=1 src1=1 src2=1
	v_add3_u32 v20 /*v276*/, v20 /*v276*/, v71 /*v327*/, v72 /*v328*/
	s_set_vgpr_msb 0                        ;  msbs: dst=0 src0=0 src1=0 src2=0
	v_add3_u32 v231, v236, v111, v231
	s_set_vgpr_msb 4                        ;  msbs: dst=0 src0=0 src1=1 src2=0
	v_mul_i32_i24_e32 v111, v230, v22 /*v278*/
	s_set_vgpr_msb 0x45                     ;  msbs: dst=1 src0=1 src1=1 src2=0
	v_mul_i32_i24_e32 v22 /*v278*/, v7 /*v263*/, v15 /*v271*/
	v_mul_i32_i24_e32 v71 /*v327*/, v70 /*v326*/, v34 /*v290*/
	s_set_vgpr_msb 0x44                     ;  msbs: dst=1 src0=0 src1=1 src2=0
	v_mul_i32_i24_e32 v34 /*v290*/, v239, v23 /*v279*/
	v_mul_i32_i24_e32 v72 /*v328*/, v144, v38 /*v294*/
	s_set_vgpr_msb 0                        ;  msbs: dst=0 src0=0 src1=0 src2=0
	v_add3_u32 v232, v234, v111, v232
	v_and_b32_e32 v111, 0xf0f0f0f, v97
	v_and_b32_e32 v234, 0xffff, v96
	v_mul_i32_i24_e32 v144, v144, v222
	s_set_vgpr_msb 0x55                     ;  msbs: dst=1 src0=1 src1=1 src2=1
	v_add3_u32 v21 /*v277*/, v21 /*v277*/, v71 /*v327*/, v72 /*v328*/
	s_set_vgpr_msb 0                        ;  msbs: dst=0 src0=0 src1=0 src2=0
	v_lshrrev_b16 v111, 8, v111
	v_mul_i32_i24_e32 v236, v107, v234
	s_delay_alu instid0(VALU_DEP_2) | instskip(NEXT) | instid1(VALU_DEP_1)
	v_and_b32_e32 v111, 0xffff, v111
	v_mul_i32_i24_e32 v96, v121, v111
	s_delay_alu instid0(VALU_DEP_1) | instskip(SKIP_3) | instid1(VALU_DEP_2)
	v_add3_u32 v94, v94, v236, v96
	v_bfe_u32 v96, v101, 4, 4
	v_lshrrev_b32_e32 v236, 28, v101
	s_set_vgpr_msb 0x41                     ;  msbs: dst=1 src0=1 src1=0 src2=0
	v_mul_i32_i24_e32 v8 /*v264*/, v6 /*v262*/, v96
	s_delay_alu instid0(VALU_DEP_2)
	v_mul_i32_i24_e32 v9 /*v265*/, v7 /*v263*/, v236
	s_set_vgpr_msb 64                       ;  msbs: dst=1 src0=0 src1=0 src2=0
	v_mul_i32_i24_e32 v27 /*v283*/, v239, v236
	v_mul_i32_i24_e32 v35 /*v291*/, v246, v236
	s_set_vgpr_msb 0                        ;  msbs: dst=0 src0=0 src1=0 src2=0
	v_mul_i32_i24_e32 v108, v255, v96
	s_set_vgpr_msb 0x55                     ;  msbs: dst=1 src0=1 src1=1 src2=1
	v_add3_u32 v8 /*v264*/, v26 /*v282*/, v9 /*v265*/, v8 /*v264*/
	s_set_vgpr_msb 64                       ;  msbs: dst=1 src0=0 src1=0 src2=0
	v_bfe_u32 v9 /*v265*/, v105, 4, 4
	s_set_vgpr_msb 0x45                     ;  msbs: dst=1 src0=1 src1=1 src2=0
	v_mul_i32_i24_e32 v26 /*v282*/, v7 /*v263*/, v23 /*v279*/
	s_set_vgpr_msb 0x41                     ;  msbs: dst=1 src0=1 src1=0 src2=0
	v_mul_i32_i24_e32 v7 /*v263*/, v7 /*v263*/, v217
	s_set_vgpr_msb 0x55                     ;  msbs: dst=1 src0=1 src1=1 src2=1
	v_mul_i32_i24_e32 v16 /*v272*/, v6 /*v262*/, v9 /*v265*/
	s_delay_alu instid0(VALU_DEP_1)
	v_add3_u32 v16 /*v272*/, v29 /*v285*/, v22 /*v278*/, v16 /*v272*/
	s_set_vgpr_msb 0x44                     ;  msbs: dst=1 src0=0 src1=1 src2=0
	v_bfe_u32 v22 /*v278*/, v103, 4, 4
	v_mul_i32_i24_e32 v29 /*v285*/, v239, v15 /*v271*/
	s_set_vgpr_msb 0                        ;  msbs: dst=0 src0=0 src1=0 src2=0
	v_mul_i32_i24_e32 v239, v239, v217
	s_set_vgpr_msb 0x45                     ;  msbs: dst=1 src0=1 src1=1 src2=0
	v_mul_i32_i24_e32 v24 /*v280*/, v6 /*v262*/, v22 /*v278*/
	s_set_vgpr_msb 0x41                     ;  msbs: dst=1 src0=1 src1=0 src2=0
	v_mul_i32_i24_e32 v6 /*v262*/, v6 /*v262*/, v219
	s_set_vgpr_msb 0x55                     ;  msbs: dst=1 src0=1 src1=1 src2=1
	s_delay_alu instid0(VALU_DEP_2)
	v_add3_u32 v24 /*v280*/, v41 /*v297*/, v26 /*v282*/, v24 /*v280*/
	s_set_vgpr_msb 64                       ;  msbs: dst=1 src0=0 src1=0 src2=0
	v_mul_i32_i24_e32 v26 /*v282*/, v238, v96
	s_set_vgpr_msb 0x44                     ;  msbs: dst=1 src0=0 src1=1 src2=0
	v_mul_i32_i24_e32 v41 /*v297*/, v246, v23 /*v279*/
	s_set_vgpr_msb 0                        ;  msbs: dst=0 src0=0 src1=0 src2=0
	v_mul_i32_i24_e32 v246, v246, v217
	s_set_vgpr_msb 0x55                     ;  msbs: dst=1 src0=1 src1=1 src2=1
	v_add3_u32 v26 /*v282*/, v47 /*v303*/, v27 /*v283*/, v26 /*v282*/
	s_set_vgpr_msb 0x44                     ;  msbs: dst=1 src0=0 src1=1 src2=0
	v_mul_i32_i24_e32 v27 /*v283*/, v238, v9 /*v265*/
	s_set_vgpr_msb 0x55                     ;  msbs: dst=1 src0=1 src1=1 src2=1
	s_delay_alu instid0(VALU_DEP_1)
	v_add3_u32 v27 /*v283*/, v48 /*v304*/, v29 /*v285*/, v27 /*v283*/
	s_set_vgpr_msb 0x44                     ;  msbs: dst=1 src0=0 src1=1 src2=0
	v_mul_i32_i24_e32 v29 /*v285*/, v238, v22 /*v278*/
	s_set_vgpr_msb 0                        ;  msbs: dst=0 src0=0 src1=0 src2=0
	v_mul_i32_i24_e32 v238, v238, v219
	s_set_vgpr_msb 0x55                     ;  msbs: dst=1 src0=1 src1=1 src2=1
	s_delay_alu instid0(VALU_DEP_2) | instskip(SKIP_3) | instid1(VALU_DEP_1)
	v_add3_u32 v29 /*v285*/, v49 /*v305*/, v34 /*v290*/, v29 /*v285*/
	s_set_vgpr_msb 64                       ;  msbs: dst=1 src0=0 src1=0 src2=0
	v_mul_i32_i24_e32 v34 /*v290*/, v245, v96
	s_set_vgpr_msb 0x55                     ;  msbs: dst=1 src0=1 src1=1 src2=1
	v_add3_u32 v34 /*v290*/, v52 /*v308*/, v35 /*v291*/, v34 /*v290*/
	s_set_vgpr_msb 0x44                     ;  msbs: dst=1 src0=0 src1=1 src2=0
	v_mul_i32_i24_e32 v35 /*v291*/, v245, v9 /*v265*/
	s_set_vgpr_msb 0x55                     ;  msbs: dst=1 src0=1 src1=1 src2=1
	s_delay_alu instid0(VALU_DEP_1)
	v_add3_u32 v35 /*v291*/, v53 /*v309*/, v39 /*v295*/, v35 /*v291*/
	s_set_vgpr_msb 0x44                     ;  msbs: dst=1 src0=0 src1=1 src2=0
	v_mul_i32_i24_e32 v39 /*v295*/, v245, v22 /*v278*/
	s_set_vgpr_msb 0                        ;  msbs: dst=0 src0=0 src1=0 src2=0
	v_mul_i32_i24_e32 v245, v245, v219
	s_set_vgpr_msb 0x55                     ;  msbs: dst=1 src0=1 src1=1 src2=1
	s_delay_alu instid0(VALU_DEP_2) | instskip(SKIP_2) | instid1(VALU_DEP_1)
	v_add3_u32 v39 /*v295*/, v54 /*v310*/, v41 /*v297*/, v39 /*v295*/
	s_set_vgpr_msb 0x41                     ;  msbs: dst=1 src0=1 src1=0 src2=0
	v_ashrrev_i32_e32 v41 /*v297*/, 24, v126
	v_mul_i32_i24_e32 v42 /*v298*/, v41 /*v297*/, v236
	s_set_vgpr_msb 0x45                     ;  msbs: dst=1 src0=1 src1=1 src2=0
	v_mul_i32_i24_e32 v47 /*v303*/, v41 /*v297*/, v15 /*v271*/
	v_mul_i32_i24_e32 v48 /*v304*/, v41 /*v297*/, v23 /*v279*/
	s_delay_alu instid0(VALU_DEP_3) | instskip(SKIP_3) | instid1(VALU_DEP_1)
	v_add3_u32 v42 /*v298*/, v57 /*v313*/, v42 /*v298*/, v108
	s_set_vgpr_msb 4                        ;  msbs: dst=0 src0=0 src1=1 src2=0
	v_mul_i32_i24_e32 v108, v255, v9 /*v265*/
	s_set_vgpr_msb 0x45                     ;  msbs: dst=1 src0=1 src1=1 src2=0
	v_add3_u32 v47 /*v303*/, v58 /*v314*/, v47 /*v303*/, v108
	s_set_vgpr_msb 4                        ;  msbs: dst=0 src0=0 src1=1 src2=0
	v_mul_i32_i24_e32 v108, v255, v22 /*v278*/
	s_set_vgpr_msb 0                        ;  msbs: dst=0 src0=0 src1=0 src2=0
	v_mul_i32_i24_e32 v255, v255, v219
	s_set_vgpr_msb 0x45                     ;  msbs: dst=1 src0=1 src1=1 src2=0
	s_delay_alu instid0(VALU_DEP_2)
	v_add3_u32 v48 /*v304*/, v59 /*v315*/, v48 /*v304*/, v108
	s_set_vgpr_msb 4                        ;  msbs: dst=0 src0=0 src1=1 src2=0
	v_mul_i32_i24_e32 v108, v230, v4 /*v260*/
	s_set_vgpr_msb 0x44                     ;  msbs: dst=1 src0=0 src1=1 src2=0
	v_mul_i32_i24_e32 v4 /*v260*/, v227, v5 /*v261*/
	s_set_vgpr_msb 64                       ;  msbs: dst=1 src0=0 src1=0 src2=0
	v_ashrrev_i32_e32 v5 /*v261*/, 24, v132
	s_set_vgpr_msb 16                       ;  msbs: dst=0 src0=0 src1=0 src2=1
	s_delay_alu instid0(VALU_DEP_2)
	v_add3_u32 v250, v250, v108, v4 /*v260*/
	s_set_vgpr_msb 64                       ;  msbs: dst=1 src0=0 src1=0 src2=0
	v_bfe_i32 v4 /*v260*/, v132, 0, 8
	s_set_vgpr_msb 0x41                     ;  msbs: dst=1 src0=1 src1=0 src2=0
	v_mul_i32_i24_e32 v49 /*v305*/, v5 /*v261*/, v236
	s_set_vgpr_msb 1                        ;  msbs: dst=0 src0=1 src1=0 src2=0
	s_delay_alu instid0(VALU_DEP_2) | instskip(SKIP_1) | instid1(VALU_DEP_1)
	v_mul_i32_i24_e32 v108, v4 /*v260*/, v96
	s_set_vgpr_msb 0x45                     ;  msbs: dst=1 src0=1 src1=1 src2=0
	v_add3_u32 v12 /*v268*/, v12 /*v268*/, v49 /*v305*/, v108
	s_set_vgpr_msb 5                        ;  msbs: dst=0 src0=1 src1=1 src2=0
	v_mul_i32_i24_e32 v108, v4 /*v260*/, v9 /*v265*/
	s_set_vgpr_msb 0x45                     ;  msbs: dst=1 src0=1 src1=1 src2=0
	v_mul_i32_i24_e32 v49 /*v305*/, v5 /*v261*/, v15 /*v271*/
	s_delay_alu instid0(VALU_DEP_1)
	v_add3_u32 v13 /*v269*/, v13 /*v269*/, v49 /*v305*/, v108
	s_set_vgpr_msb 5                        ;  msbs: dst=0 src0=1 src1=1 src2=0
	v_mul_i32_i24_e32 v108, v4 /*v260*/, v22 /*v278*/
	s_set_vgpr_msb 0x45                     ;  msbs: dst=1 src0=1 src1=1 src2=0
	v_mul_i32_i24_e32 v49 /*v305*/, v5 /*v261*/, v23 /*v279*/
	s_set_vgpr_msb 0x41                     ;  msbs: dst=1 src0=1 src1=0 src2=0
	v_mul_i32_i24_e32 v4 /*v260*/, v4 /*v260*/, v219
	v_mul_i32_i24_e32 v5 /*v261*/, v5 /*v261*/, v217
	s_set_vgpr_msb 0x45                     ;  msbs: dst=1 src0=1 src1=1 src2=0
	v_add3_u32 v14 /*v270*/, v14 /*v270*/, v49 /*v305*/, v108
	s_set_vgpr_msb 4                        ;  msbs: dst=0 src0=0 src1=1 src2=0
	v_mul_i32_i24_e32 v108, v230, v10 /*v266*/
	s_set_vgpr_msb 0x44                     ;  msbs: dst=1 src0=0 src1=1 src2=0
	v_mul_i32_i24_e32 v10 /*v266*/, v227, v11 /*v267*/
	s_set_vgpr_msb 64                       ;  msbs: dst=1 src0=0 src1=0 src2=0
	v_ashrrev_i32_e32 v11 /*v267*/, 24, v130
	s_set_vgpr_msb 4                        ;  msbs: dst=0 src0=0 src1=1 src2=0
	v_mul_i32_i24_e32 v227, v227, v18 /*v274*/
	s_set_vgpr_msb 0x51                     ;  msbs: dst=1 src0=1 src1=0 src2=1
	v_add3_u32 v2 /*v258*/, v2 /*v258*/, v108, v10 /*v266*/
	s_set_vgpr_msb 64                       ;  msbs: dst=1 src0=0 src1=0 src2=0
	v_bfe_i32 v10 /*v266*/, v130, 0, 8
	s_set_vgpr_msb 0x41                     ;  msbs: dst=1 src0=1 src1=0 src2=0
	v_mul_i32_i24_e32 v49 /*v305*/, v11 /*v267*/, v236
	s_set_vgpr_msb 1                        ;  msbs: dst=0 src0=1 src1=0 src2=0
	s_delay_alu instid0(VALU_DEP_2) | instskip(SKIP_1) | instid1(VALU_DEP_1)
	v_mul_i32_i24_e32 v108, v10 /*v266*/, v96
	s_set_vgpr_msb 0x45                     ;  msbs: dst=1 src0=1 src1=1 src2=0
	v_add3_u32 v19 /*v275*/, v19 /*v275*/, v49 /*v305*/, v108
	s_set_vgpr_msb 5                        ;  msbs: dst=0 src0=1 src1=1 src2=0
	v_mul_i32_i24_e32 v108, v10 /*v266*/, v9 /*v265*/
	s_set_vgpr_msb 0x45                     ;  msbs: dst=1 src0=1 src1=1 src2=0
	v_mul_i32_i24_e32 v49 /*v305*/, v11 /*v267*/, v15 /*v271*/
	s_delay_alu instid0(VALU_DEP_1) | instskip(SKIP_4) | instid1(VALU_DEP_1)
	v_add3_u32 v20 /*v276*/, v20 /*v276*/, v49 /*v305*/, v108
	s_set_vgpr_msb 5                        ;  msbs: dst=0 src0=1 src1=1 src2=0
	v_mul_i32_i24_e32 v108, v10 /*v266*/, v22 /*v278*/
	s_set_vgpr_msb 0x45                     ;  msbs: dst=1 src0=1 src1=1 src2=0
	v_mul_i32_i24_e32 v49 /*v305*/, v11 /*v267*/, v23 /*v279*/
	v_add3_u32 v21 /*v277*/, v21 /*v277*/, v49 /*v305*/, v108
	s_set_vgpr_msb 4                        ;  msbs: dst=0 src0=0 src1=1 src2=0
	v_mul_i32_i24_e32 v108, v230, v17 /*v273*/
	s_wait_dscnt 0x2
	v_bfe_i32 v230, v134, 8, 8
	s_set_vgpr_msb 64                       ;  msbs: dst=1 src0=0 src1=0 src2=0
	v_bfe_u32 v17 /*v273*/, v101, 12, 4
	s_set_vgpr_msb 0                        ;  msbs: dst=0 src0=0 src1=0 src2=0
	v_bfe_u32 v101, v101, 20, 4
	v_add3_u32 v110, v110, v108, v227
	v_bfe_i32 v227, v134, 0, 8
	s_set_vgpr_msb 0x44                     ;  msbs: dst=1 src0=0 src1=1 src2=0
	v_mul_i32_i24_e32 v18 /*v274*/, v230, v17 /*v273*/
	s_set_vgpr_msb 0                        ;  msbs: dst=0 src0=0 src1=0 src2=0
	s_delay_alu instid0(VALU_DEP_2) | instskip(SKIP_2) | instid1(VALU_DEP_2)
	v_mul_i32_i24_e32 v108, v227, v96
	v_mul_i32_i24_e32 v96, v229, v96
	s_set_vgpr_msb 0x51                     ;  msbs: dst=1 src0=1 src1=0 src2=1
	v_add3_u32 v3 /*v259*/, v3 /*v259*/, v108, v18 /*v274*/
	s_set_vgpr_msb 4                        ;  msbs: dst=0 src0=0 src1=1 src2=0
	v_mul_i32_i24_e32 v108, v148, v28 /*v284*/
	s_set_vgpr_msb 0x44                     ;  msbs: dst=1 src0=0 src1=1 src2=0
	v_mul_i32_i24_e32 v18 /*v274*/, v233, v40 /*v296*/
	s_set_vgpr_msb 16                       ;  msbs: dst=0 src0=0 src1=0 src2=1
	s_delay_alu instid0(VALU_DEP_1)
	v_add3_u32 v242, v242, v108, v18 /*v274*/
	s_set_vgpr_msb 4                        ;  msbs: dst=0 src0=0 src1=1 src2=0
	v_mul_i32_i24_e32 v108, v148, v38 /*v294*/
	s_set_vgpr_msb 0x44                     ;  msbs: dst=1 src0=0 src1=1 src2=0
	v_mul_i32_i24_e32 v18 /*v274*/, v233, v43 /*v299*/
	s_set_vgpr_msb 16                       ;  msbs: dst=0 src0=0 src1=0 src2=1
	v_mul_i32_i24_e32 v148, v148, v222
	v_and_b32_e32 v222, 15, v86
	s_delay_alu instid0(VALU_DEP_3) | instskip(SKIP_2) | instid1(VALU_DEP_1)
	v_add3_u32 v102, v102, v108, v18 /*v274*/
	v_mul_i32_i24_e32 v108, v228, v236
	s_set_vgpr_msb 0                        ;  msbs: dst=0 src0=0 src1=0 src2=0
	v_add3_u32 v96, v243, v108, v96
	s_set_vgpr_msb 4                        ;  msbs: dst=0 src0=0 src1=1 src2=0
	v_mul_i32_i24_e32 v108, v229, v9 /*v265*/
	v_mul_i32_i24_e32 v243, v228, v15 /*v271*/
	;; [unrolled: 1-line block ×3, first 2 shown]
	s_set_vgpr_msb 0                        ;  msbs: dst=0 src0=0 src1=0 src2=0
	s_delay_alu instid0(VALU_DEP_2)
	v_add3_u32 v243, v244, v243, v108
	s_set_vgpr_msb 4                        ;  msbs: dst=0 src0=0 src1=1 src2=0
	v_mul_i32_i24_e32 v108, v229, v22 /*v278*/
	s_set_vgpr_msb 1                        ;  msbs: dst=0 src0=1 src1=0 src2=0
	v_mul_i32_i24_e32 v229, v66 /*v322*/, v235
	s_set_vgpr_msb 0                        ;  msbs: dst=0 src0=0 src1=0 src2=0
	s_delay_alu instid0(VALU_DEP_2) | instskip(SKIP_4) | instid1(VALU_DEP_2)
	v_add3_u32 v228, v231, v228, v108
	s_set_vgpr_msb 1                        ;  msbs: dst=0 src0=1 src1=0 src2=0
	v_mul_i32_i24_e32 v108, v64 /*v320*/, v223
	s_set_vgpr_msb 0                        ;  msbs: dst=0 src0=0 src1=0 src2=0
	v_bfe_i32 v231, v95, 8, 8
	v_add3_u32 v229, v232, v229, v108
	s_set_vgpr_msb 4                        ;  msbs: dst=0 src0=0 src1=1 src2=0
	v_and_b32_e32 v108, 0xf0f0f, v31 /*v287*/
	s_set_vgpr_msb 16                       ;  msbs: dst=0 src0=0 src1=0 src2=1
	s_delay_alu instid0(VALU_DEP_1) | instskip(NEXT) | instid1(VALU_DEP_1)
	v_lshrrev_b16 v108, 8, v108
	v_and_b32_e32 v108, 0xffff, v108
	s_delay_alu instid0(VALU_DEP_1) | instskip(NEXT) | instid1(VALU_DEP_1)
	v_mul_i32_i24_e32 v232, v231, v108
	v_add3_u32 v94, v94, v232, v30 /*v286*/
	v_bfe_i32 v232, v124, 8, 8
	v_bfe_i32 v124, v124, 16, 8
	s_set_vgpr_msb 5                        ;  msbs: dst=0 src0=1 src1=1 src2=0
	s_delay_alu instid0(VALU_DEP_3)
	v_add3_u32 v94, v33 /*v289*/, v32 /*v288*/, v94
	s_set_vgpr_msb 4                        ;  msbs: dst=0 src0=0 src1=1 src2=0
	v_mul_i32_i24_e32 v244, v232, v17 /*v273*/
	s_set_vgpr_msb 64                       ;  msbs: dst=1 src0=0 src1=0 src2=0
	v_mul_i32_i24_e32 v18 /*v274*/, v124, v101
	v_ashrrev_i32_e32 v32 /*v288*/, 24, v141
	s_set_vgpr_msb 17                       ;  msbs: dst=0 src0=1 src1=0 src2=1
	s_delay_alu instid0(VALU_DEP_2)
	v_add3_u32 v244, v8 /*v264*/, v244, v18 /*v274*/
	s_set_vgpr_msb 64                       ;  msbs: dst=1 src0=0 src1=0 src2=0
	v_bfe_u32 v8 /*v264*/, v105, 12, 4
	s_set_vgpr_msb 0                        ;  msbs: dst=0 src0=0 src1=0 src2=0
	v_bfe_u32 v105, v105, 20, 4
	s_set_vgpr_msb 0x44                     ;  msbs: dst=1 src0=0 src1=1 src2=0
	s_delay_alu instid0(VALU_DEP_2) | instskip(SKIP_1) | instid1(VALU_DEP_2)
	v_mul_i32_i24_e32 v18 /*v274*/, v232, v8 /*v264*/
	s_set_vgpr_msb 64                       ;  msbs: dst=1 src0=0 src1=0 src2=0
	v_mul_i32_i24_e32 v28 /*v284*/, v124, v105
	s_set_vgpr_msb 0x55                     ;  msbs: dst=1 src0=1 src1=1 src2=1
	s_delay_alu instid0(VALU_DEP_1)
	v_add3_u32 v16 /*v272*/, v16 /*v272*/, v18 /*v274*/, v28 /*v284*/
	s_set_vgpr_msb 64                       ;  msbs: dst=1 src0=0 src1=0 src2=0
	v_bfe_u32 v18 /*v274*/, v103, 12, 4
	s_set_vgpr_msb 0                        ;  msbs: dst=0 src0=0 src1=0 src2=0
	v_bfe_u32 v103, v103, 20, 4
	s_set_vgpr_msb 0x44                     ;  msbs: dst=1 src0=0 src1=1 src2=0
	s_delay_alu instid0(VALU_DEP_2) | instskip(SKIP_1) | instid1(VALU_DEP_2)
	v_mul_i32_i24_e32 v28 /*v284*/, v232, v18 /*v274*/
	s_set_vgpr_msb 64                       ;  msbs: dst=1 src0=0 src1=0 src2=0
	v_mul_i32_i24_e32 v30 /*v286*/, v124, v103
	s_set_vgpr_msb 0                        ;  msbs: dst=0 src0=0 src1=0 src2=0
	v_mul_i32_i24_e32 v124, v124, v214
	v_mul_i32_i24_e32 v232, v232, v237
	s_set_vgpr_msb 0x55                     ;  msbs: dst=1 src0=1 src1=1 src2=1
	v_add3_u32 v24 /*v280*/, v24 /*v280*/, v28 /*v284*/, v30 /*v286*/
	s_set_vgpr_msb 0x41                     ;  msbs: dst=1 src0=1 src1=0 src2=0
	v_mul_i32_i24_e32 v28 /*v284*/, v37 /*v293*/, v224
	v_mul_i32_i24_e32 v30 /*v286*/, v36 /*v292*/, v235
	;; [unrolled: 1-line block ×3, first 2 shown]
	s_set_vgpr_msb 20                       ;  msbs: dst=0 src0=0 src1=1 src2=1
	s_delay_alu instid0(VALU_DEP_2)
	v_add3_u32 v92, v92, v28 /*v284*/, v30 /*v286*/
	s_set_vgpr_msb 64                       ;  msbs: dst=1 src0=0 src1=0 src2=0
	v_bfe_i32 v28 /*v284*/, v122, 8, 8
	s_set_vgpr_msb 0                        ;  msbs: dst=0 src0=0 src1=0 src2=0
	v_bfe_i32 v122, v122, 16, 8
	s_set_vgpr_msb 0x45                     ;  msbs: dst=1 src0=1 src1=1 src2=0
	s_delay_alu instid0(VALU_DEP_2) | instskip(SKIP_1) | instid1(VALU_DEP_2)
	v_mul_i32_i24_e32 v30 /*v286*/, v28 /*v284*/, v17 /*v273*/
	s_set_vgpr_msb 64                       ;  msbs: dst=1 src0=0 src1=0 src2=0
	v_mul_i32_i24_e32 v31 /*v287*/, v122, v101
	s_set_vgpr_msb 0x55                     ;  msbs: dst=1 src0=1 src1=1 src2=1
	s_delay_alu instid0(VALU_DEP_1) | instskip(SKIP_4) | instid1(VALU_DEP_1)
	v_add3_u32 v26 /*v282*/, v26 /*v282*/, v30 /*v286*/, v31 /*v287*/
	v_mul_i32_i24_e32 v30 /*v286*/, v28 /*v284*/, v8 /*v264*/
	s_set_vgpr_msb 64                       ;  msbs: dst=1 src0=0 src1=0 src2=0
	v_mul_i32_i24_e32 v31 /*v287*/, v122, v105
	s_set_vgpr_msb 0x55                     ;  msbs: dst=1 src0=1 src1=1 src2=1
	v_add3_u32 v27 /*v283*/, v27 /*v283*/, v30 /*v286*/, v31 /*v287*/
	v_mul_i32_i24_e32 v30 /*v286*/, v28 /*v284*/, v18 /*v274*/
	s_set_vgpr_msb 64                       ;  msbs: dst=1 src0=0 src1=0 src2=0
	v_mul_i32_i24_e32 v31 /*v287*/, v122, v103
	s_set_vgpr_msb 0                        ;  msbs: dst=0 src0=0 src1=0 src2=0
	v_mul_i32_i24_e32 v122, v122, v214
	s_set_vgpr_msb 0x55                     ;  msbs: dst=1 src0=1 src1=1 src2=1
	s_delay_alu instid0(VALU_DEP_2) | instskip(SKIP_4) | instid1(VALU_DEP_1)
	v_add3_u32 v29 /*v285*/, v29 /*v285*/, v30 /*v286*/, v31 /*v287*/
	s_set_vgpr_msb 0x41                     ;  msbs: dst=1 src0=1 src1=0 src2=0
	v_mul_i32_i24_e32 v30 /*v286*/, v46 /*v302*/, v224
	v_mul_i32_i24_e32 v31 /*v287*/, v45 /*v301*/, v235
	s_set_vgpr_msb 20                       ;  msbs: dst=0 src0=0 src1=1 src2=1
	v_add3_u32 v240, v240, v30 /*v286*/, v31 /*v287*/
	s_set_vgpr_msb 64                       ;  msbs: dst=1 src0=0 src1=0 src2=0
	v_bfe_i32 v30 /*v286*/, v128, 8, 8
	s_set_vgpr_msb 0                        ;  msbs: dst=0 src0=0 src1=0 src2=0
	v_bfe_i32 v128, v128, 16, 8
	s_set_vgpr_msb 0x45                     ;  msbs: dst=1 src0=1 src1=1 src2=0
	s_delay_alu instid0(VALU_DEP_2) | instskip(SKIP_1) | instid1(VALU_DEP_2)
	v_mul_i32_i24_e32 v31 /*v287*/, v30 /*v286*/, v17 /*v273*/
	s_set_vgpr_msb 64                       ;  msbs: dst=1 src0=0 src1=0 src2=0
	v_mul_i32_i24_e32 v36 /*v292*/, v128, v101
	s_set_vgpr_msb 0x55                     ;  msbs: dst=1 src0=1 src1=1 src2=1
	s_delay_alu instid0(VALU_DEP_1) | instskip(SKIP_4) | instid1(VALU_DEP_1)
	v_add3_u32 v31 /*v287*/, v34 /*v290*/, v31 /*v287*/, v36 /*v292*/
	v_mul_i32_i24_e32 v34 /*v290*/, v30 /*v286*/, v8 /*v264*/
	s_set_vgpr_msb 64                       ;  msbs: dst=1 src0=0 src1=0 src2=0
	v_mul_i32_i24_e32 v36 /*v292*/, v128, v105
	s_set_vgpr_msb 0x55                     ;  msbs: dst=1 src0=1 src1=1 src2=1
	v_add3_u32 v34 /*v290*/, v35 /*v291*/, v34 /*v290*/, v36 /*v292*/
	v_mul_i32_i24_e32 v35 /*v291*/, v30 /*v286*/, v18 /*v274*/
	s_set_vgpr_msb 64                       ;  msbs: dst=1 src0=0 src1=0 src2=0
	v_mul_i32_i24_e32 v36 /*v292*/, v128, v103
	s_set_vgpr_msb 0                        ;  msbs: dst=0 src0=0 src1=0 src2=0
	v_mul_i32_i24_e32 v128, v128, v214
	s_set_vgpr_msb 0x55                     ;  msbs: dst=1 src0=1 src1=1 src2=1
	s_delay_alu instid0(VALU_DEP_2) | instskip(SKIP_3) | instid1(VALU_DEP_1)
	v_add3_u32 v35 /*v291*/, v39 /*v295*/, v35 /*v291*/, v36 /*v292*/
	s_set_vgpr_msb 0x41                     ;  msbs: dst=1 src0=1 src1=0 src2=0
	v_mul_i32_i24_e32 v36 /*v292*/, v51 /*v307*/, v224
	s_set_vgpr_msb 20                       ;  msbs: dst=0 src0=0 src1=1 src2=1
	v_add3_u32 v249, v249, v36 /*v292*/, v37 /*v293*/
	s_set_vgpr_msb 64                       ;  msbs: dst=1 src0=0 src1=0 src2=0
	v_bfe_i32 v36 /*v292*/, v126, 8, 8
	s_set_vgpr_msb 0                        ;  msbs: dst=0 src0=0 src1=0 src2=0
	v_bfe_i32 v126, v126, 16, 8
	s_set_vgpr_msb 0x45                     ;  msbs: dst=1 src0=1 src1=1 src2=0
	s_delay_alu instid0(VALU_DEP_2) | instskip(SKIP_1) | instid1(VALU_DEP_2)
	v_mul_i32_i24_e32 v37 /*v293*/, v36 /*v292*/, v17 /*v273*/
	s_set_vgpr_msb 64                       ;  msbs: dst=1 src0=0 src1=0 src2=0
	v_mul_i32_i24_e32 v38 /*v294*/, v126, v101
	v_mul_i32_i24_e32 v39 /*v295*/, v126, v105
	;; [unrolled: 1-line block ×3, first 2 shown]
	s_set_vgpr_msb 0                        ;  msbs: dst=0 src0=0 src1=0 src2=0
	v_mul_i32_i24_e32 v126, v126, v214
	s_set_vgpr_msb 0x55                     ;  msbs: dst=1 src0=1 src1=1 src2=1
	v_add3_u32 v37 /*v293*/, v42 /*v298*/, v37 /*v293*/, v38 /*v294*/
	v_mul_i32_i24_e32 v38 /*v294*/, v36 /*v292*/, v8 /*v264*/
	s_set_vgpr_msb 0x41                     ;  msbs: dst=1 src0=1 src1=0 src2=0
	v_mul_i32_i24_e32 v42 /*v298*/, v55 /*v311*/, v235
	s_set_vgpr_msb 0x55                     ;  msbs: dst=1 src0=1 src1=1 src2=1
	s_delay_alu instid0(VALU_DEP_2) | instskip(SKIP_1) | instid1(VALU_DEP_1)
	v_add3_u32 v38 /*v294*/, v47 /*v303*/, v38 /*v294*/, v39 /*v295*/
	v_mul_i32_i24_e32 v39 /*v295*/, v36 /*v292*/, v18 /*v274*/
	v_add3_u32 v39 /*v295*/, v48 /*v304*/, v39 /*v295*/, v40 /*v296*/
	s_set_vgpr_msb 0x41                     ;  msbs: dst=1 src0=1 src1=0 src2=0
	v_mul_i32_i24_e32 v40 /*v296*/, v56 /*v312*/, v224
	s_set_vgpr_msb 20                       ;  msbs: dst=0 src0=0 src1=1 src2=1
	s_delay_alu instid0(VALU_DEP_1)
	v_add3_u32 v250, v250, v40 /*v296*/, v42 /*v298*/
	s_set_vgpr_msb 64                       ;  msbs: dst=1 src0=0 src1=0 src2=0
	v_bfe_i32 v40 /*v296*/, v132, 8, 8
	s_set_vgpr_msb 0                        ;  msbs: dst=0 src0=0 src1=0 src2=0
	v_bfe_i32 v132, v132, 16, 8
	s_set_vgpr_msb 0x45                     ;  msbs: dst=1 src0=1 src1=1 src2=0
	s_delay_alu instid0(VALU_DEP_2) | instskip(SKIP_1) | instid1(VALU_DEP_2)
	v_mul_i32_i24_e32 v42 /*v298*/, v40 /*v296*/, v17 /*v273*/
	s_set_vgpr_msb 64                       ;  msbs: dst=1 src0=0 src1=0 src2=0
	v_mul_i32_i24_e32 v43 /*v299*/, v132, v101
	s_set_vgpr_msb 0x55                     ;  msbs: dst=1 src0=1 src1=1 src2=1
	s_delay_alu instid0(VALU_DEP_1) | instskip(SKIP_4) | instid1(VALU_DEP_1)
	v_add3_u32 v12 /*v268*/, v12 /*v268*/, v42 /*v298*/, v43 /*v299*/
	v_mul_i32_i24_e32 v42 /*v298*/, v40 /*v296*/, v8 /*v264*/
	s_set_vgpr_msb 64                       ;  msbs: dst=1 src0=0 src1=0 src2=0
	v_mul_i32_i24_e32 v43 /*v299*/, v132, v105
	s_set_vgpr_msb 0x55                     ;  msbs: dst=1 src0=1 src1=1 src2=1
	v_add3_u32 v13 /*v269*/, v13 /*v269*/, v42 /*v298*/, v43 /*v299*/
	v_mul_i32_i24_e32 v42 /*v298*/, v40 /*v296*/, v18 /*v274*/
	s_set_vgpr_msb 64                       ;  msbs: dst=1 src0=0 src1=0 src2=0
	v_mul_i32_i24_e32 v43 /*v299*/, v132, v103
	s_set_vgpr_msb 0                        ;  msbs: dst=0 src0=0 src1=0 src2=0
	v_mul_i32_i24_e32 v132, v132, v214
	s_set_vgpr_msb 0x55                     ;  msbs: dst=1 src0=1 src1=1 src2=1
	s_delay_alu instid0(VALU_DEP_2)
	v_add3_u32 v14 /*v270*/, v14 /*v270*/, v42 /*v298*/, v43 /*v299*/
	s_set_vgpr_msb 0x41                     ;  msbs: dst=1 src0=1 src1=0 src2=0
	v_mul_i32_i24_e32 v42 /*v298*/, v61 /*v317*/, v224
	v_mul_i32_i24_e32 v43 /*v299*/, v60 /*v316*/, v235
	s_set_vgpr_msb 1                        ;  msbs: dst=0 src0=1 src1=0 src2=0
	v_mul_i32_i24_e32 v235, v62 /*v318*/, v235
	s_set_vgpr_msb 0x55                     ;  msbs: dst=1 src0=1 src1=1 src2=1
	s_delay_alu instid0(VALU_DEP_2)
	v_add3_u32 v2 /*v258*/, v2 /*v258*/, v42 /*v298*/, v43 /*v299*/
	s_set_vgpr_msb 64                       ;  msbs: dst=1 src0=0 src1=0 src2=0
	v_bfe_i32 v42 /*v298*/, v130, 8, 8
	s_set_vgpr_msb 0                        ;  msbs: dst=0 src0=0 src1=0 src2=0
	v_bfe_i32 v130, v130, 16, 8
	s_set_vgpr_msb 0x45                     ;  msbs: dst=1 src0=1 src1=1 src2=0
	s_delay_alu instid0(VALU_DEP_2) | instskip(SKIP_1) | instid1(VALU_DEP_2)
	v_mul_i32_i24_e32 v43 /*v299*/, v42 /*v298*/, v17 /*v273*/
	s_set_vgpr_msb 64                       ;  msbs: dst=1 src0=0 src1=0 src2=0
	v_mul_i32_i24_e32 v45 /*v301*/, v130, v101
	s_set_vgpr_msb 0x55                     ;  msbs: dst=1 src0=1 src1=1 src2=1
	s_delay_alu instid0(VALU_DEP_1) | instskip(SKIP_4) | instid1(VALU_DEP_1)
	v_add3_u32 v19 /*v275*/, v19 /*v275*/, v43 /*v299*/, v45 /*v301*/
	v_mul_i32_i24_e32 v43 /*v299*/, v42 /*v298*/, v8 /*v264*/
	s_set_vgpr_msb 64                       ;  msbs: dst=1 src0=0 src1=0 src2=0
	v_mul_i32_i24_e32 v45 /*v301*/, v130, v105
	s_set_vgpr_msb 0x55                     ;  msbs: dst=1 src0=1 src1=1 src2=1
	v_add3_u32 v20 /*v276*/, v20 /*v276*/, v43 /*v299*/, v45 /*v301*/
	v_mul_i32_i24_e32 v43 /*v299*/, v42 /*v298*/, v18 /*v274*/
	s_set_vgpr_msb 64                       ;  msbs: dst=1 src0=0 src1=0 src2=0
	v_mul_i32_i24_e32 v45 /*v301*/, v130, v103
	s_set_vgpr_msb 0                        ;  msbs: dst=0 src0=0 src1=0 src2=0
	v_mul_i32_i24_e32 v130, v130, v214
	s_set_vgpr_msb 0x55                     ;  msbs: dst=1 src0=1 src1=1 src2=1
	s_delay_alu instid0(VALU_DEP_2)
	v_add3_u32 v21 /*v277*/, v21 /*v277*/, v43 /*v299*/, v45 /*v301*/
	s_set_vgpr_msb 0x41                     ;  msbs: dst=1 src0=1 src1=0 src2=0
	v_mul_i32_i24_e32 v43 /*v299*/, v63 /*v319*/, v224
	s_set_vgpr_msb 0                        ;  msbs: dst=0 src0=0 src1=0 src2=0
	v_mul_i32_i24_e32 v224, v233, v224
	s_set_vgpr_msb 4                        ;  msbs: dst=0 src0=0 src1=1 src2=0
	s_delay_alu instid0(VALU_DEP_2)
	v_add3_u32 v110, v110, v43 /*v299*/, v235
	s_set_vgpr_msb 0                        ;  msbs: dst=0 src0=0 src1=0 src2=0
	v_ashrrev_i32_e32 v235, 24, v134
	v_bfe_i32 v134, v134, 16, 8
	v_add3_u32 v148, v229, v148, v224
	v_ashrrev_i32_e32 v229, 24, v139
	v_bfe_u32 v224, v86, 8, 4
	v_mul_i32_i24_e32 v236, v235, v236
	s_set_vgpr_msb 64                       ;  msbs: dst=1 src0=0 src1=0 src2=0
	v_mul_i32_i24_e32 v43 /*v299*/, v134, v101
	s_set_vgpr_msb 0                        ;  msbs: dst=0 src0=0 src1=0 src2=0
	v_mul_i32_i24_e32 v101, v225, v101
	s_set_vgpr_msb 5                        ;  msbs: dst=0 src0=1 src1=1 src2=0
	s_delay_alu instid0(VALU_DEP_2) | instskip(SKIP_4) | instid1(VALU_DEP_1)
	v_add3_u32 v236, v3 /*v259*/, v43 /*v299*/, v236
	s_set_vgpr_msb 0x44                     ;  msbs: dst=1 src0=0 src1=1 src2=0
	v_mul_i32_i24_e32 v3 /*v259*/, v227, v9 /*v265*/
	v_mul_i32_i24_e32 v9 /*v265*/, v230, v8 /*v264*/
	s_set_vgpr_msb 20                       ;  msbs: dst=0 src0=0 src1=1 src2=1
	v_add3_u32 v242, v242, v3 /*v259*/, v9 /*v265*/
	s_set_vgpr_msb 0x44                     ;  msbs: dst=1 src0=0 src1=1 src2=0
	v_mul_i32_i24_e32 v3 /*v259*/, v227, v22 /*v278*/
	v_mul_i32_i24_e32 v9 /*v265*/, v230, v18 /*v274*/
	s_set_vgpr_msb 20                       ;  msbs: dst=0 src0=0 src1=1 src2=1
	s_delay_alu instid0(VALU_DEP_1) | instskip(SKIP_4) | instid1(VALU_DEP_2)
	v_add3_u32 v102, v102, v3 /*v259*/, v9 /*v265*/
	s_set_vgpr_msb 0x44                     ;  msbs: dst=1 src0=0 src1=1 src2=0
	v_mul_i32_i24_e32 v3 /*v259*/, v106, v17 /*v273*/
	v_bfe_u32 v9 /*v265*/, v88, 24, 4
	s_set_vgpr_msb 4                        ;  msbs: dst=0 src0=0 src1=1 src2=0
	v_add3_u32 v96, v96, v3 /*v259*/, v101
	v_mul_i32_i24_e32 v101, v106, v8 /*v264*/
	s_set_vgpr_msb 64                       ;  msbs: dst=1 src0=0 src1=0 src2=0
	v_mul_i32_i24_e32 v3 /*v259*/, v225, v105
	s_set_vgpr_msb 4                        ;  msbs: dst=0 src0=0 src1=1 src2=0
	v_mul_i32_i24_e32 v106, v106, v18 /*v274*/
	s_set_vgpr_msb 0                        ;  msbs: dst=0 src0=0 src1=0 src2=0
	v_mul_i32_i24_e32 v225, v225, v103
	s_set_vgpr_msb 0x44                     ;  msbs: dst=1 src0=0 src1=1 src2=0
	v_mul_i32_i24_e32 v17 /*v273*/, v229, v9 /*v265*/
	s_set_vgpr_msb 64                       ;  msbs: dst=1 src0=0 src1=0 src2=0
	v_ashrrev_i32_e32 v18 /*v274*/, 24, v137
	s_set_vgpr_msb 16                       ;  msbs: dst=0 src0=0 src1=0 src2=1
	v_add3_u32 v101, v243, v101, v3 /*v259*/
	s_set_vgpr_msb 0                        ;  msbs: dst=0 src0=0 src1=0 src2=0
	v_add3_u32 v106, v228, v106, v225
	v_bfe_u32 v225, v86, 24, 4
	v_bfe_i32 v228, v139, 8, 8
	s_delay_alu instid0(VALU_DEP_2) | instskip(NEXT) | instid1(VALU_DEP_2)
	v_mul_i32_i24_e32 v243, v229, v225
	v_mul_i32_i24_e32 v233, v228, v224
	s_set_vgpr_msb 0x41                     ;  msbs: dst=1 src0=1 src1=0 src2=0
	v_mul_i32_i24_e32 v22 /*v278*/, v18 /*v274*/, v225
	v_mul_i32_i24_e32 v33 /*v289*/, v32 /*v288*/, v225
	s_set_vgpr_msb 0                        ;  msbs: dst=0 src0=0 src1=0 src2=0
	v_add3_u32 v233, v244, v243, v233
	v_bfe_u32 v243, v90, 8, 4
	v_bfe_u32 v244, v90, 24, 4
	s_set_vgpr_msb 64                       ;  msbs: dst=1 src0=0 src1=0 src2=0
	s_delay_alu instid0(VALU_DEP_2) | instskip(NEXT) | instid1(VALU_DEP_2)
	v_mul_i32_i24_e32 v3 /*v259*/, v228, v243
	v_mul_i32_i24_e32 v8 /*v264*/, v229, v244
	s_set_vgpr_msb 0x55                     ;  msbs: dst=1 src0=1 src1=1 src2=1
	s_delay_alu instid0(VALU_DEP_1) | instskip(SKIP_2) | instid1(VALU_DEP_1)
	v_add3_u32 v3 /*v259*/, v16 /*v272*/, v8 /*v264*/, v3 /*v259*/
	s_set_vgpr_msb 0x44                     ;  msbs: dst=1 src0=0 src1=1 src2=0
	v_bfe_u32 v8 /*v264*/, v88, 8, 4
	v_mul_i32_i24_e32 v16 /*v272*/, v228, v8 /*v264*/
	s_set_vgpr_msb 0x55                     ;  msbs: dst=1 src0=1 src1=1 src2=1
	s_delay_alu instid0(VALU_DEP_1)
	v_add3_u32 v16 /*v272*/, v24 /*v280*/, v17 /*v273*/, v16 /*v272*/
	s_set_vgpr_msb 0x41                     ;  msbs: dst=1 src0=1 src1=0 src2=0
	v_mul_i32_i24_e32 v17 /*v273*/, v25 /*v281*/, v223
	v_mul_i32_i24_e32 v24 /*v280*/, v18 /*v274*/, v244
	s_set_vgpr_msb 0x45                     ;  msbs: dst=1 src0=1 src1=1 src2=0
	v_mul_i32_i24_e32 v25 /*v281*/, v18 /*v274*/, v9 /*v265*/
	s_set_vgpr_msb 4                        ;  msbs: dst=0 src0=0 src1=1 src2=0
	v_add3_u32 v138, v92, v17 /*v273*/, v138
	s_set_vgpr_msb 64                       ;  msbs: dst=1 src0=0 src1=0 src2=0
	v_bfe_i32 v17 /*v273*/, v137, 8, 8
	s_set_vgpr_msb 20                       ;  msbs: dst=0 src0=0 src1=1 src2=1
	s_delay_alu instid0(VALU_DEP_2) | instskip(SKIP_1) | instid1(VALU_DEP_2)
	v_add3_u32 v138, v138, v7 /*v263*/, v6 /*v262*/
	s_set_vgpr_msb 1                        ;  msbs: dst=0 src0=1 src1=0 src2=0
	v_mul_i32_i24_e32 v92, v17 /*v273*/, v224
	s_set_vgpr_msb 64                       ;  msbs: dst=1 src0=0 src1=0 src2=0
	v_bfe_i32 v6 /*v262*/, v137, 0, 8
	s_set_vgpr_msb 0                        ;  msbs: dst=0 src0=0 src1=0 src2=0
	v_bfe_i32 v137, v137, 16, 8
	v_add3_u32 v124, v138, v232, v124
	s_set_vgpr_msb 0x45                     ;  msbs: dst=1 src0=1 src1=1 src2=0
	v_add3_u32 v22 /*v278*/, v26 /*v282*/, v22 /*v278*/, v92
	s_set_vgpr_msb 1                        ;  msbs: dst=0 src0=1 src1=0 src2=0
	v_mul_i32_i24_e32 v92, v17 /*v273*/, v243
	s_set_vgpr_msb 64                       ;  msbs: dst=1 src0=0 src1=0 src2=0
	v_ashrrev_i32_e32 v26 /*v282*/, 24, v143
	s_set_vgpr_msb 0                        ;  msbs: dst=0 src0=0 src1=0 src2=0
	v_bfe_i32 v138, v123, 0, 8
	v_ashrrev_i32_e32 v232, 24, v123
	s_set_vgpr_msb 0x45                     ;  msbs: dst=1 src0=1 src1=1 src2=0
	v_add3_u32 v24 /*v280*/, v27 /*v283*/, v24 /*v280*/, v92
	s_set_vgpr_msb 5                        ;  msbs: dst=0 src0=1 src1=1 src2=0
	v_mul_i32_i24_e32 v92, v17 /*v273*/, v8 /*v264*/
	s_set_vgpr_msb 0x41                     ;  msbs: dst=1 src0=1 src1=0 src2=0
	v_mul_i32_i24_e32 v27 /*v283*/, v26 /*v282*/, v225
	s_set_vgpr_msb 0x45                     ;  msbs: dst=1 src0=1 src1=1 src2=0
	s_delay_alu instid0(VALU_DEP_2)
	v_add3_u32 v25 /*v281*/, v29 /*v285*/, v25 /*v281*/, v92
	s_set_vgpr_msb 1                        ;  msbs: dst=0 src0=1 src1=0 src2=0
	v_mul_i32_i24_e32 v92, v44 /*v300*/, v223
	s_set_vgpr_msb 0x41                     ;  msbs: dst=1 src0=1 src1=0 src2=0
	v_mul_i32_i24_e32 v29 /*v285*/, v26 /*v282*/, v244
	s_set_vgpr_msb 0                        ;  msbs: dst=0 src0=0 src1=0 src2=0
	s_delay_alu instid0(VALU_DEP_2) | instskip(SKIP_1) | instid1(VALU_DEP_2)
	v_add3_u32 v136, v240, v92, v136
	v_bfe_i32 v240, v143, 8, 8
	v_add3_u32 v136, v136, v239, v238
	s_delay_alu instid0(VALU_DEP_2) | instskip(SKIP_3) | instid1(VALU_DEP_3)
	v_mul_i32_i24_e32 v92, v240, v224
	v_bfe_i32 v238, v143, 0, 8
	v_bfe_i32 v143, v143, 16, 8
	s_set_vgpr_msb 0x45                     ;  msbs: dst=1 src0=1 src1=1 src2=0
	v_add3_u32 v27 /*v283*/, v31 /*v287*/, v27 /*v283*/, v92
	s_set_vgpr_msb 0                        ;  msbs: dst=0 src0=0 src1=0 src2=0
	v_mul_i32_i24_e32 v92, v240, v243
	s_set_vgpr_msb 0x45                     ;  msbs: dst=1 src0=1 src1=1 src2=0
	v_mul_i32_i24_e32 v31 /*v287*/, v26 /*v282*/, v9 /*v265*/
	s_delay_alu instid0(VALU_DEP_2)
	v_add3_u32 v29 /*v285*/, v34 /*v290*/, v29 /*v285*/, v92
	s_set_vgpr_msb 4                        ;  msbs: dst=0 src0=0 src1=1 src2=0
	v_mul_i32_i24_e32 v92, v240, v8 /*v264*/
	s_set_vgpr_msb 0x41                     ;  msbs: dst=1 src0=1 src1=0 src2=0
	v_mul_i32_i24_e32 v34 /*v290*/, v32 /*v288*/, v244
	s_set_vgpr_msb 0                        ;  msbs: dst=0 src0=0 src1=0 src2=0
	v_mul_i32_i24_e32 v240, v240, v112
	s_set_vgpr_msb 0x45                     ;  msbs: dst=1 src0=1 src1=1 src2=0
	v_add3_u32 v31 /*v287*/, v35 /*v291*/, v31 /*v287*/, v92
	s_set_vgpr_msb 1                        ;  msbs: dst=0 src0=1 src1=0 src2=0
	v_mul_i32_i24_e32 v92, v67 /*v323*/, v223
	s_set_vgpr_msb 0x45                     ;  msbs: dst=1 src0=1 src1=1 src2=0
	v_mul_i32_i24_e32 v35 /*v291*/, v32 /*v288*/, v9 /*v265*/
	s_set_vgpr_msb 0                        ;  msbs: dst=0 src0=0 src1=0 src2=0
	s_delay_alu instid0(VALU_DEP_2) | instskip(SKIP_1) | instid1(VALU_DEP_2)
	v_add3_u32 v142, v249, v92, v142
	v_bfe_i32 v249, v141, 8, 8
	v_add3_u32 v142, v142, v246, v245
	s_delay_alu instid0(VALU_DEP_2) | instskip(SKIP_3) | instid1(VALU_DEP_3)
	v_mul_i32_i24_e32 v92, v249, v224
	v_bfe_i32 v245, v141, 0, 8
	v_bfe_i32 v141, v141, 16, 8
	s_set_vgpr_msb 0x45                     ;  msbs: dst=1 src0=1 src1=1 src2=0
	v_add3_u32 v33 /*v289*/, v37 /*v293*/, v33 /*v289*/, v92
	s_set_vgpr_msb 0                        ;  msbs: dst=0 src0=0 src1=0 src2=0
	v_mul_i32_i24_e32 v92, v249, v243
	s_set_vgpr_msb 64                       ;  msbs: dst=1 src0=0 src1=0 src2=0
	v_ashrrev_i32_e32 v37 /*v293*/, 24, v147
	s_set_vgpr_msb 0x45                     ;  msbs: dst=1 src0=1 src1=1 src2=0
	s_delay_alu instid0(VALU_DEP_2)
	v_add3_u32 v34 /*v290*/, v38 /*v294*/, v34 /*v290*/, v92
	s_set_vgpr_msb 4                        ;  msbs: dst=0 src0=0 src1=1 src2=0
	v_mul_i32_i24_e32 v92, v249, v8 /*v264*/
	s_set_vgpr_msb 0x41                     ;  msbs: dst=1 src0=1 src1=0 src2=0
	v_mul_i32_i24_e32 v38 /*v294*/, v37 /*v293*/, v225
	s_set_vgpr_msb 0                        ;  msbs: dst=0 src0=0 src1=0 src2=0
	v_mul_i32_i24_e32 v249, v249, v112
	s_set_vgpr_msb 0x45                     ;  msbs: dst=1 src0=1 src1=1 src2=0
	v_add3_u32 v35 /*v291*/, v39 /*v295*/, v35 /*v291*/, v92
	s_set_vgpr_msb 1                        ;  msbs: dst=0 src0=1 src1=0 src2=0
	v_mul_i32_i24_e32 v92, v68 /*v324*/, v223
	s_set_vgpr_msb 0                        ;  msbs: dst=0 src0=0 src1=0 src2=0
	s_delay_alu instid0(VALU_DEP_1) | instskip(SKIP_1) | instid1(VALU_DEP_1)
	v_add3_u32 v140, v250, v92, v140
	v_bfe_i32 v250, v147, 8, 8
	v_mul_i32_i24_e32 v92, v250, v224
	s_set_vgpr_msb 0x45                     ;  msbs: dst=1 src0=1 src1=1 src2=0
	s_delay_alu instid0(VALU_DEP_1)
	v_add3_u32 v12 /*v268*/, v12 /*v268*/, v38 /*v294*/, v92
	s_set_vgpr_msb 0                        ;  msbs: dst=0 src0=0 src1=0 src2=0
	v_mul_i32_i24_e32 v92, v250, v243
	s_set_vgpr_msb 0x41                     ;  msbs: dst=1 src0=1 src1=0 src2=0
	v_mul_i32_i24_e32 v38 /*v294*/, v37 /*v293*/, v244
	s_set_vgpr_msb 0x45                     ;  msbs: dst=1 src0=1 src1=1 src2=0
	s_delay_alu instid0(VALU_DEP_1)
	v_add3_u32 v13 /*v269*/, v13 /*v269*/, v38 /*v294*/, v92
	s_set_vgpr_msb 4                        ;  msbs: dst=0 src0=0 src1=1 src2=0
	v_mul_i32_i24_e32 v92, v250, v8 /*v264*/
	s_set_vgpr_msb 0x45                     ;  msbs: dst=1 src0=1 src1=1 src2=0
	v_mul_i32_i24_e32 v38 /*v294*/, v37 /*v293*/, v9 /*v265*/
	s_set_vgpr_msb 0                        ;  msbs: dst=0 src0=0 src1=0 src2=0
	v_mul_i32_i24_e32 v250, v250, v112
	s_set_vgpr_msb 0x45                     ;  msbs: dst=1 src0=1 src1=1 src2=0
	s_delay_alu instid0(VALU_DEP_2)
	v_add3_u32 v14 /*v270*/, v14 /*v270*/, v38 /*v294*/, v92
	s_set_vgpr_msb 1                        ;  msbs: dst=0 src0=1 src1=0 src2=0
	v_mul_i32_i24_e32 v92, v69 /*v325*/, v223
	s_set_vgpr_msb 64                       ;  msbs: dst=1 src0=0 src1=0 src2=0
	v_ashrrev_i32_e32 v38 /*v294*/, 24, v145
	s_set_vgpr_msb 1                        ;  msbs: dst=0 src0=1 src1=0 src2=0
	s_delay_alu instid0(VALU_DEP_2)
	v_add3_u32 v146, v2 /*v258*/, v92, v146
	s_set_vgpr_msb 64                       ;  msbs: dst=1 src0=0 src1=0 src2=0
	v_bfe_i32 v2 /*v258*/, v145, 8, 8
	s_set_vgpr_msb 0x41                     ;  msbs: dst=1 src0=1 src1=0 src2=0
	v_mul_i32_i24_e32 v39 /*v295*/, v38 /*v294*/, v225
	s_set_vgpr_msb 20                       ;  msbs: dst=0 src0=0 src1=1 src2=1
	v_add3_u32 v146, v146, v5 /*v261*/, v4 /*v260*/
	s_set_vgpr_msb 1                        ;  msbs: dst=0 src0=1 src1=0 src2=0
	v_mul_i32_i24_e32 v92, v2 /*v258*/, v224
	s_set_vgpr_msb 64                       ;  msbs: dst=1 src0=0 src1=0 src2=0
	v_bfe_i32 v4 /*v260*/, v145, 0, 8
	s_set_vgpr_msb 0                        ;  msbs: dst=0 src0=0 src1=0 src2=0
	v_bfe_i32 v145, v145, 16, 8
	s_set_vgpr_msb 0x45                     ;  msbs: dst=1 src0=1 src1=1 src2=0
	v_add3_u32 v19 /*v275*/, v19 /*v275*/, v39 /*v295*/, v92
	s_set_vgpr_msb 1                        ;  msbs: dst=0 src0=1 src1=0 src2=0
	v_mul_i32_i24_e32 v92, v2 /*v258*/, v243
	s_set_vgpr_msb 0x41                     ;  msbs: dst=1 src0=1 src1=0 src2=0
	v_mul_i32_i24_e32 v39 /*v295*/, v38 /*v294*/, v244
	s_set_vgpr_msb 0x45                     ;  msbs: dst=1 src0=1 src1=1 src2=0
	s_delay_alu instid0(VALU_DEP_1) | instskip(SKIP_4) | instid1(VALU_DEP_1)
	v_add3_u32 v20 /*v276*/, v20 /*v276*/, v39 /*v295*/, v92
	s_set_vgpr_msb 5                        ;  msbs: dst=0 src0=1 src1=1 src2=0
	v_mul_i32_i24_e32 v92, v2 /*v258*/, v8 /*v264*/
	s_set_vgpr_msb 0x45                     ;  msbs: dst=1 src0=1 src1=1 src2=0
	v_mul_i32_i24_e32 v39 /*v295*/, v38 /*v294*/, v9 /*v265*/
	v_add3_u32 v21 /*v277*/, v21 /*v277*/, v39 /*v295*/, v92
	s_set_vgpr_msb 1                        ;  msbs: dst=0 src0=1 src1=0 src2=0
	v_mul_i32_i24_e32 v92, v70 /*v326*/, v223
	s_set_vgpr_msb 0                        ;  msbs: dst=0 src0=0 src1=0 src2=0
	v_bfe_i32 v223, v149, 8, 8
	s_delay_alu instid0(VALU_DEP_2) | instskip(SKIP_2) | instid1(VALU_DEP_3)
	v_add3_u32 v110, v110, v92, v144
	v_bfe_i32 v144, v149, 0, 8
	s_set_vgpr_msb 64                       ;  msbs: dst=1 src0=0 src1=0 src2=0
	v_mul_i32_i24_e32 v39 /*v295*/, v223, v224
	s_set_vgpr_msb 0                        ;  msbs: dst=0 src0=0 src1=0 src2=0
	s_delay_alu instid0(VALU_DEP_2) | instskip(SKIP_1) | instid1(VALU_DEP_1)
	v_mul_i32_i24_e32 v92, v144, v222
	s_set_vgpr_msb 4                        ;  msbs: dst=0 src0=0 src1=1 src2=0
	v_add3_u32 v236, v236, v39 /*v295*/, v92
	s_set_vgpr_msb 0                        ;  msbs: dst=0 src0=0 src1=0 src2=0
	v_mul_i32_i24_e32 v92, v134, v105
	s_set_vgpr_msb 4                        ;  msbs: dst=0 src0=0 src1=1 src2=0
	v_mul_i32_i24_e32 v105, v235, v15 /*v271*/
	s_set_vgpr_msb 0                        ;  msbs: dst=0 src0=0 src1=0 src2=0
	s_delay_alu instid0(VALU_DEP_1)
	v_add3_u32 v105, v242, v92, v105
	v_mul_i32_i24_e32 v92, v134, v103
	s_set_vgpr_msb 4                        ;  msbs: dst=0 src0=0 src1=1 src2=0
	v_mul_i32_i24_e32 v103, v235, v23 /*v279*/
	v_bfe_u32 v242, v88, 16, 4
	s_set_vgpr_msb 0                        ;  msbs: dst=0 src0=0 src1=0 src2=0
	s_delay_alu instid0(VALU_DEP_2) | instskip(SKIP_2) | instid1(VALU_DEP_1)
	v_add3_u32 v102, v102, v92, v103
	v_mul_i32_i24_e32 v92, v113, v224
	v_mul_i32_i24_e32 v103, v221, v225
	v_add3_u32 v96, v96, v103, v92
	v_mul_i32_i24_e32 v92, v113, v243
	v_mul_i32_i24_e32 v103, v221, v244
	s_delay_alu instid0(VALU_DEP_1)
	v_add3_u32 v101, v101, v103, v92
	s_set_vgpr_msb 4                        ;  msbs: dst=0 src0=0 src1=1 src2=0
	v_mul_i32_i24_e32 v92, v113, v8 /*v264*/
	v_mul_i32_i24_e32 v103, v221, v9 /*v265*/
	s_set_vgpr_msb 0                        ;  msbs: dst=0 src0=0 src1=0 src2=0
	v_ashrrev_i32_e32 v113, 24, v95
	s_set_vgpr_msb 0x41                     ;  msbs: dst=1 src0=1 src1=0 src2=0
	v_mul_i32_i24_e32 v7 /*v263*/, v6 /*v262*/, v222
	s_set_vgpr_msb 0                        ;  msbs: dst=0 src0=0 src1=0 src2=0
	v_mul_i32_i24_e32 v239, v238, v222
	v_mul_i32_i24_e32 v246, v245, v222
	v_add3_u32 v103, v106, v103, v92
	v_mul_i32_i24_e32 v92, v227, v219
	v_mul_i32_i24_e32 v106, v230, v237
	v_bfe_u32 v227, v90, 16, 4
	s_set_vgpr_msb 1                        ;  msbs: dst=0 src0=1 src1=0 src2=0
	v_mul_i32_i24_e32 v219, v10 /*v266*/, v219
	s_set_vgpr_msb 0x41                     ;  msbs: dst=1 src0=1 src1=0 src2=0
	v_mul_i32_i24_e32 v10 /*v266*/, v11 /*v267*/, v217
	v_mul_i32_i24_e32 v5 /*v261*/, v4 /*v260*/, v222
	s_set_vgpr_msb 0                        ;  msbs: dst=0 src0=0 src1=0 src2=0
	v_add3_u32 v106, v148, v92, v106
	v_lshrrev_b32_e32 v92, 28, v97
	v_bfe_i32 v148, v120, 8, 8
	s_set_vgpr_msb 64                       ;  msbs: dst=1 src0=0 src1=0 src2=0
	v_mul_i32_i24_e32 v23 /*v279*/, v143, v227
	s_set_vgpr_msb 4                        ;  msbs: dst=0 src0=0 src1=1 src2=0
	v_add3_u32 v219, v110, v10 /*v266*/, v219
	s_set_vgpr_msb 64                       ;  msbs: dst=1 src0=0 src1=0 src2=0
	v_ashrrev_i32_e32 v10 /*v266*/, 24, v149
	s_set_vgpr_msb 0                        ;  msbs: dst=0 src0=0 src1=0 src2=0
	v_mul_i32_i24_e32 v97, v113, v92
	v_mul_i32_i24_e32 v95, v148, v158
	v_bfe_i32 v149, v149, 16, 8
	s_set_vgpr_msb 1                        ;  msbs: dst=0 src0=1 src1=0 src2=0
	v_mul_i32_i24_e32 v110, v10 /*v266*/, v225
	s_set_vgpr_msb 0                        ;  msbs: dst=0 src0=0 src1=0 src2=0
	v_add3_u32 v94, v94, v97, v95
	v_bfe_i32 v97, v139, 0, 8
	v_bfe_i32 v139, v139, 16, 8
	v_bfe_u32 v95, v86, 16, 4
	s_delay_alu instid0(VALU_DEP_3) | instskip(SKIP_1) | instid1(VALU_DEP_3)
	v_mul_i32_i24_e32 v221, v97, v222
	s_set_vgpr_msb 64                       ;  msbs: dst=1 src0=0 src1=0 src2=0
	v_mul_i32_i24_e32 v15 /*v271*/, v139, v242
	s_set_vgpr_msb 0                        ;  msbs: dst=0 src0=0 src1=0 src2=0
	v_mul_i32_i24_e32 v224, v139, v95
	v_mul_i32_i24_e32 v225, v149, v95
	s_delay_alu instid0(VALU_DEP_2) | instskip(SKIP_2) | instid1(VALU_DEP_4)
	v_add3_u32 v221, v233, v221, v224
	v_and_b32_e32 v224, 15, v90
	v_mul_i32_i24_e32 v233, v139, v227
	v_add3_u32 v225, v236, v225, v110
	v_mul_i32_i24_e32 v110, v223, v243
	s_delay_alu instid0(VALU_DEP_4) | instskip(SKIP_2) | instid1(VALU_DEP_2)
	v_mul_i32_i24_e32 v230, v97, v224
	v_mul_i32_i24_e32 v236, v144, v224
	s_set_vgpr_msb 1                        ;  msbs: dst=0 src0=1 src1=0 src2=0
	v_add3_u32 v230, v3 /*v259*/, v230, v233
	v_and_b32_e32 v233, 15, v88
	s_set_vgpr_msb 0                        ;  msbs: dst=0 src0=0 src1=0 src2=0
	v_add3_u32 v105, v105, v110, v236
	s_set_vgpr_msb 4                        ;  msbs: dst=0 src0=0 src1=1 src2=0
	v_mul_i32_i24_e32 v110, v223, v8 /*v264*/
	s_set_vgpr_msb 64                       ;  msbs: dst=1 src0=0 src1=0 src2=0
	v_mul_i32_i24_e32 v3 /*v259*/, v97, v233
	s_set_vgpr_msb 0                        ;  msbs: dst=0 src0=0 src1=0 src2=0
	v_mul_i32_i24_e32 v236, v144, v233
	s_set_vgpr_msb 0x55                     ;  msbs: dst=1 src0=1 src1=1 src2=1
	s_delay_alu instid0(VALU_DEP_2)
	v_add3_u32 v3 /*v259*/, v16 /*v272*/, v3 /*v259*/, v15 /*v271*/
	s_set_vgpr_msb 64                       ;  msbs: dst=1 src0=0 src1=0 src2=0
	v_mul_i32_i24_e32 v15 /*v271*/, v137, v95
	v_mul_i32_i24_e32 v16 /*v272*/, v137, v227
	s_set_vgpr_msb 0                        ;  msbs: dst=0 src0=0 src1=0 src2=0
	v_add3_u32 v102, v102, v110, v236
	v_mul_i32_i24_e32 v110, v218, v222
	s_set_vgpr_msb 0x55                     ;  msbs: dst=1 src0=1 src1=1 src2=1
	v_add3_u32 v7 /*v263*/, v22 /*v278*/, v7 /*v263*/, v15 /*v271*/
	s_set_vgpr_msb 0x41                     ;  msbs: dst=1 src0=1 src1=0 src2=0
	v_mul_i32_i24_e32 v15 /*v271*/, v6 /*v262*/, v224
	s_set_vgpr_msb 64                       ;  msbs: dst=1 src0=0 src1=0 src2=0
	v_mul_i32_i24_e32 v22 /*v278*/, v137, v242
	s_set_vgpr_msb 0x55                     ;  msbs: dst=1 src0=1 src1=1 src2=1
	s_delay_alu instid0(VALU_DEP_2)
	v_add3_u32 v15 /*v271*/, v24 /*v280*/, v15 /*v271*/, v16 /*v272*/
	s_set_vgpr_msb 0x41                     ;  msbs: dst=1 src0=1 src1=0 src2=0
	v_mul_i32_i24_e32 v16 /*v272*/, v6 /*v262*/, v233
	s_set_vgpr_msb 64                       ;  msbs: dst=1 src0=0 src1=0 src2=0
	v_mul_i32_i24_e32 v24 /*v280*/, v143, v242
	s_set_vgpr_msb 0x55                     ;  msbs: dst=1 src0=1 src1=1 src2=1
	s_delay_alu instid0(VALU_DEP_2) | instskip(SKIP_4) | instid1(VALU_DEP_2)
	v_add3_u32 v16 /*v272*/, v25 /*v281*/, v16 /*v272*/, v22 /*v278*/
	s_set_vgpr_msb 64                       ;  msbs: dst=1 src0=0 src1=0 src2=0
	v_mul_i32_i24_e32 v22 /*v278*/, v143, v95
	v_mul_i32_i24_e32 v25 /*v281*/, v141, v227
	s_set_vgpr_msb 17                       ;  msbs: dst=0 src0=1 src1=0 src2=1
	v_add3_u32 v239, v27 /*v283*/, v239, v22 /*v278*/
	s_set_vgpr_msb 64                       ;  msbs: dst=1 src0=0 src1=0 src2=0
	v_mul_i32_i24_e32 v22 /*v278*/, v238, v224
	v_mul_i32_i24_e32 v27 /*v283*/, v141, v242
	s_set_vgpr_msb 0x55                     ;  msbs: dst=1 src0=1 src1=1 src2=1
	s_delay_alu instid0(VALU_DEP_2) | instskip(SKIP_3) | instid1(VALU_DEP_1)
	v_add3_u32 v22 /*v278*/, v29 /*v285*/, v22 /*v278*/, v23 /*v279*/
	s_set_vgpr_msb 64                       ;  msbs: dst=1 src0=0 src1=0 src2=0
	v_mul_i32_i24_e32 v23 /*v279*/, v238, v233
	s_set_vgpr_msb 0x55                     ;  msbs: dst=1 src0=1 src1=1 src2=1
	v_add3_u32 v23 /*v279*/, v31 /*v287*/, v23 /*v279*/, v24 /*v280*/
	s_set_vgpr_msb 64                       ;  msbs: dst=1 src0=0 src1=0 src2=0
	v_mul_i32_i24_e32 v24 /*v280*/, v141, v95
	s_set_vgpr_msb 17                       ;  msbs: dst=0 src0=1 src1=0 src2=1
	s_delay_alu instid0(VALU_DEP_1) | instskip(SKIP_3) | instid1(VALU_DEP_1)
	v_add3_u32 v246, v33 /*v289*/, v246, v24 /*v280*/
	s_set_vgpr_msb 64                       ;  msbs: dst=1 src0=0 src1=0 src2=0
	v_mul_i32_i24_e32 v24 /*v280*/, v245, v224
	s_set_vgpr_msb 0x55                     ;  msbs: dst=1 src0=1 src1=1 src2=1
	v_add3_u32 v24 /*v280*/, v34 /*v290*/, v24 /*v280*/, v25 /*v281*/
	s_set_vgpr_msb 64                       ;  msbs: dst=1 src0=0 src1=0 src2=0
	v_mul_i32_i24_e32 v25 /*v281*/, v245, v233
	s_set_vgpr_msb 0x55                     ;  msbs: dst=1 src0=1 src1=1 src2=1
	s_delay_alu instid0(VALU_DEP_1) | instskip(SKIP_3) | instid1(VALU_DEP_1)
	v_add3_u32 v25 /*v281*/, v35 /*v291*/, v25 /*v281*/, v27 /*v283*/
	s_set_vgpr_msb 0x41                     ;  msbs: dst=1 src0=1 src1=0 src2=0
	v_mul_i32_i24_e32 v27 /*v283*/, v41 /*v297*/, v217
	s_set_vgpr_msb 4                        ;  msbs: dst=0 src0=0 src1=1 src2=0
	v_add3_u32 v140, v140, v27 /*v283*/, v255
	v_bfe_i32 v255, v147, 0, 8
	v_bfe_i32 v147, v147, 16, 8
	s_set_vgpr_msb 64                       ;  msbs: dst=1 src0=0 src1=0 src2=0
	s_delay_alu instid0(VALU_DEP_2) | instskip(NEXT) | instid1(VALU_DEP_2)
	v_mul_i32_i24_e32 v27 /*v283*/, v255, v222
	v_mul_i32_i24_e32 v29 /*v285*/, v147, v95
	s_set_vgpr_msb 0x55                     ;  msbs: dst=1 src0=1 src1=1 src2=1
	s_delay_alu instid0(VALU_DEP_1) | instskip(SKIP_4) | instid1(VALU_DEP_1)
	v_add3_u32 v12 /*v268*/, v12 /*v268*/, v27 /*v283*/, v29 /*v285*/
	s_set_vgpr_msb 64                       ;  msbs: dst=1 src0=0 src1=0 src2=0
	v_mul_i32_i24_e32 v27 /*v283*/, v255, v224
	v_mul_i32_i24_e32 v29 /*v285*/, v147, v227
	s_set_vgpr_msb 0x55                     ;  msbs: dst=1 src0=1 src1=1 src2=1
	v_add3_u32 v13 /*v269*/, v13 /*v269*/, v27 /*v283*/, v29 /*v285*/
	s_set_vgpr_msb 64                       ;  msbs: dst=1 src0=0 src1=0 src2=0
	v_mul_i32_i24_e32 v27 /*v283*/, v255, v233
	v_mul_i32_i24_e32 v29 /*v285*/, v147, v242
	s_set_vgpr_msb 0x55                     ;  msbs: dst=1 src0=1 src1=1 src2=1
	s_delay_alu instid0(VALU_DEP_1)
	v_add3_u32 v14 /*v270*/, v14 /*v270*/, v27 /*v283*/, v29 /*v285*/
	s_set_vgpr_msb 64                       ;  msbs: dst=1 src0=0 src1=0 src2=0
	v_mul_i32_i24_e32 v27 /*v283*/, v145, v95
	s_set_vgpr_msb 0                        ;  msbs: dst=0 src0=0 src1=0 src2=0
	v_mul_i32_i24_e32 v95, v220, v95
	s_set_vgpr_msb 0x55                     ;  msbs: dst=1 src0=1 src1=1 src2=1
	s_delay_alu instid0(VALU_DEP_2) | instskip(SKIP_1) | instid1(VALU_DEP_2)
	v_add3_u32 v5 /*v261*/, v19 /*v275*/, v5 /*v261*/, v27 /*v283*/
	s_set_vgpr_msb 0                        ;  msbs: dst=0 src0=0 src1=0 src2=0
	v_add3_u32 v95, v96, v110, v95
	v_mul_i32_i24_e32 v96, v218, v224
	v_mul_i32_i24_e32 v110, v220, v227
	s_set_vgpr_msb 0x41                     ;  msbs: dst=1 src0=1 src1=0 src2=0
	v_mul_i32_i24_e32 v19 /*v275*/, v4 /*v260*/, v224
	s_set_vgpr_msb 64                       ;  msbs: dst=1 src0=0 src1=0 src2=0
	v_mul_i32_i24_e32 v27 /*v283*/, v145, v227
	s_set_vgpr_msb 0                        ;  msbs: dst=0 src0=0 src1=0 src2=0
	v_mul_i32_i24_e32 v227, v149, v227
	v_add3_u32 v96, v101, v96, v110
	v_mul_i32_i24_e32 v101, v218, v233
	v_mul_i32_i24_e32 v110, v220, v242
	v_ashrrev_i32_e32 v218, 24, v125
	s_set_vgpr_msb 0x55                     ;  msbs: dst=1 src0=1 src1=1 src2=1
	v_add3_u32 v19 /*v275*/, v20 /*v276*/, v19 /*v275*/, v27 /*v283*/
	s_set_vgpr_msb 64                       ;  msbs: dst=1 src0=0 src1=0 src2=0
	v_mul_i32_i24_e32 v27 /*v283*/, v145, v242
	s_set_vgpr_msb 0                        ;  msbs: dst=0 src0=0 src1=0 src2=0
	v_mul_i32_i24_e32 v242, v149, v242
	v_add3_u32 v101, v103, v101, v110
	v_mul_i32_i24_e32 v103, v235, v217
	v_mul_i32_i24_e32 v110, v134, v214
	v_bfe_i32 v134, v120, 16, 8
	v_ashrrev_i32_e32 v217, 24, v120
	v_bfe_i32 v120, v125, 0, 8
	s_set_vgpr_msb 1                        ;  msbs: dst=0 src0=1 src1=0 src2=0
	v_mul_i32_i24_e32 v214, v42 /*v298*/, v237
	s_set_vgpr_msb 0                        ;  msbs: dst=0 src0=0 src1=0 src2=0
	v_add3_u32 v103, v106, v110, v103
	v_mul_i32_i24_e32 v106, v134, v157
	v_mul_i32_i24_e32 v110, v217, v160
	;; [unrolled: 1-line block ×3, first 2 shown]
	v_add3_u32 v130, v219, v214, v130
	v_bfe_u32 v219, v86, 12, 4
	v_bfe_i32 v214, v135, 8, 8
	v_add3_u32 v110, v94, v106, v110
	v_bfe_u32 v94, v86, 4, 4
	v_lshrrev_b32_e32 v106, 28, v86
	s_set_vgpr_msb 0x41                     ;  msbs: dst=1 src0=1 src1=0 src2=0
	v_mul_i32_i24_e32 v20 /*v276*/, v4 /*v260*/, v233
	s_set_vgpr_msb 0                        ;  msbs: dst=0 src0=0 src1=0 src2=0
	v_bfe_u32 v86, v86, 20, 4
	v_mul_i32_i24_e32 v220, v120, v94
	v_mul_i32_i24_e32 v222, v218, v106
	;; [unrolled: 1-line block ×3, first 2 shown]
	s_set_vgpr_msb 0x55                     ;  msbs: dst=1 src0=1 src1=1 src2=1
	v_add3_u32 v20 /*v276*/, v21 /*v277*/, v20 /*v276*/, v27 /*v283*/
	s_set_vgpr_msb 0                        ;  msbs: dst=0 src0=0 src1=0 src2=0
	v_add3_u32 v220, v221, v222, v220
	v_bfe_u32 v221, v90, 4, 4
	v_lshrrev_b32_e32 v222, 28, v90
	s_delay_alu instid0(VALU_DEP_2) | instskip(NEXT) | instid1(VALU_DEP_2)
	v_mul_i32_i24_e32 v224, v120, v221
	v_mul_i32_i24_e32 v233, v218, v222
	s_delay_alu instid0(VALU_DEP_1) | instskip(SKIP_2) | instid1(VALU_DEP_2)
	v_add3_u32 v224, v230, v233, v224
	v_bfe_u32 v230, v88, 4, 4
	v_lshrrev_b32_e32 v233, 28, v88
	v_mul_i32_i24_e32 v235, v120, v230
	s_delay_alu instid0(VALU_DEP_2) | instskip(SKIP_3) | instid1(VALU_DEP_3)
	v_mul_i32_i24_e32 v236, v218, v233
	v_mul_i32_i24_e32 v120, v120, v209
	;; [unrolled: 1-line block ×3, first 2 shown]
	s_set_vgpr_msb 1                        ;  msbs: dst=0 src0=1 src1=0 src2=0
	v_add3_u32 v235, v3 /*v259*/, v236, v235
	s_set_vgpr_msb 0                        ;  msbs: dst=0 src0=0 src1=0 src2=0
	v_mul_i32_i24_e32 v236, v138, v94
	s_set_vgpr_msb 64                       ;  msbs: dst=1 src0=0 src1=0 src2=0
	v_mul_i32_i24_e32 v3 /*v259*/, v232, v222
	s_set_vgpr_msb 1                        ;  msbs: dst=0 src0=1 src1=0 src2=0
	s_delay_alu instid0(VALU_DEP_2)
	v_add3_u32 v236, v7 /*v263*/, v243, v236
	s_set_vgpr_msb 0                        ;  msbs: dst=0 src0=0 src1=0 src2=0
	v_mul_i32_i24_e32 v243, v138, v221
	s_set_vgpr_msb 64                       ;  msbs: dst=1 src0=0 src1=0 src2=0
	v_mul_i32_i24_e32 v7 /*v263*/, v232, v233
	s_set_vgpr_msb 5                        ;  msbs: dst=0 src0=1 src1=1 src2=0
	s_delay_alu instid0(VALU_DEP_2)
	v_add3_u32 v243, v15 /*v271*/, v3 /*v259*/, v243
	s_set_vgpr_msb 64                       ;  msbs: dst=1 src0=0 src1=0 src2=0
	v_mul_i32_i24_e32 v3 /*v259*/, v138, v230
	s_set_vgpr_msb 0                        ;  msbs: dst=0 src0=0 src1=0 src2=0
	v_mul_i32_i24_e32 v138, v138, v209
	s_set_vgpr_msb 0x55                     ;  msbs: dst=1 src0=1 src1=1 src2=1
	s_delay_alu instid0(VALU_DEP_2) | instskip(SKIP_3) | instid1(VALU_DEP_1)
	v_add3_u32 v3 /*v259*/, v16 /*v272*/, v7 /*v263*/, v3 /*v259*/
	s_set_vgpr_msb 0x41                     ;  msbs: dst=1 src0=1 src1=0 src2=0
	v_mul_i32_i24_e32 v7 /*v263*/, v28 /*v284*/, v237
	s_set_vgpr_msb 4                        ;  msbs: dst=0 src0=0 src1=1 src2=0
	v_add3_u32 v122, v136, v7 /*v263*/, v122
	v_bfe_i32 v136, v129, 0, 8
	s_set_vgpr_msb 64                       ;  msbs: dst=1 src0=0 src1=0 src2=0
	v_ashrrev_i32_e32 v7 /*v263*/, 24, v129
	s_delay_alu instid0(VALU_DEP_2) | instskip(SKIP_1) | instid1(VALU_DEP_2)
	v_mul_i32_i24_e32 v8 /*v264*/, v136, v94
	s_set_vgpr_msb 0x41                     ;  msbs: dst=1 src0=1 src1=0 src2=0
	v_mul_i32_i24_e32 v11 /*v267*/, v7 /*v263*/, v106
	v_mul_i32_i24_e32 v15 /*v271*/, v7 /*v263*/, v233
	s_set_vgpr_msb 20                       ;  msbs: dst=0 src0=0 src1=1 src2=1
	s_delay_alu instid0(VALU_DEP_2)
	v_add3_u32 v239, v239, v11 /*v267*/, v8 /*v264*/
	s_set_vgpr_msb 64                       ;  msbs: dst=1 src0=0 src1=0 src2=0
	v_mul_i32_i24_e32 v8 /*v264*/, v136, v221
	s_set_vgpr_msb 0x41                     ;  msbs: dst=1 src0=1 src1=0 src2=0
	v_mul_i32_i24_e32 v11 /*v267*/, v7 /*v263*/, v222
	s_set_vgpr_msb 0x55                     ;  msbs: dst=1 src0=1 src1=1 src2=1
	s_delay_alu instid0(VALU_DEP_1)
	v_add3_u32 v8 /*v264*/, v22 /*v278*/, v11 /*v267*/, v8 /*v264*/
	s_set_vgpr_msb 64                       ;  msbs: dst=1 src0=0 src1=0 src2=0
	v_mul_i32_i24_e32 v11 /*v267*/, v136, v230
	s_set_vgpr_msb 0                        ;  msbs: dst=0 src0=0 src1=0 src2=0
	v_mul_i32_i24_e32 v136, v136, v209
	s_set_vgpr_msb 0x55                     ;  msbs: dst=1 src0=1 src1=1 src2=1
	s_delay_alu instid0(VALU_DEP_2) | instskip(SKIP_3) | instid1(VALU_DEP_1)
	v_add3_u32 v11 /*v267*/, v23 /*v279*/, v15 /*v271*/, v11 /*v267*/
	s_set_vgpr_msb 0x41                     ;  msbs: dst=1 src0=1 src1=0 src2=0
	v_mul_i32_i24_e32 v15 /*v271*/, v30 /*v286*/, v237
	s_set_vgpr_msb 4                        ;  msbs: dst=0 src0=0 src1=1 src2=0
	v_add3_u32 v128, v142, v15 /*v271*/, v128
	v_bfe_i32 v142, v127, 0, 8
	s_set_vgpr_msb 64                       ;  msbs: dst=1 src0=0 src1=0 src2=0
	v_ashrrev_i32_e32 v15 /*v271*/, 24, v127
	s_set_vgpr_msb 1                        ;  msbs: dst=0 src0=1 src1=0 src2=0
	v_mul_i32_i24_e32 v244, v10 /*v266*/, v244
	s_set_vgpr_msb 64                       ;  msbs: dst=1 src0=0 src1=0 src2=0
	v_mul_i32_i24_e32 v16 /*v272*/, v142, v94
	s_set_vgpr_msb 0x41                     ;  msbs: dst=1 src0=1 src1=0 src2=0
	v_mul_i32_i24_e32 v21 /*v277*/, v15 /*v271*/, v106
	v_mul_i32_i24_e32 v22 /*v278*/, v15 /*v271*/, v233
	s_set_vgpr_msb 0                        ;  msbs: dst=0 src0=0 src1=0 src2=0
	v_add3_u32 v105, v105, v227, v244
	s_set_vgpr_msb 5                        ;  msbs: dst=0 src0=1 src1=1 src2=0
	v_mul_i32_i24_e32 v227, v10 /*v266*/, v9 /*v265*/
	s_set_vgpr_msb 20                       ;  msbs: dst=0 src0=0 src1=1 src2=1
	v_add3_u32 v246, v246, v21 /*v277*/, v16 /*v272*/
	s_set_vgpr_msb 64                       ;  msbs: dst=1 src0=0 src1=0 src2=0
	v_mul_i32_i24_e32 v16 /*v272*/, v142, v221
	s_set_vgpr_msb 0x41                     ;  msbs: dst=1 src0=1 src1=0 src2=0
	v_mul_i32_i24_e32 v21 /*v277*/, v15 /*v271*/, v222
	s_set_vgpr_msb 0                        ;  msbs: dst=0 src0=0 src1=0 src2=0
	v_add3_u32 v102, v102, v242, v227
	v_mul_i32_i24_e32 v227, v215, v106
	s_set_vgpr_msb 0x55                     ;  msbs: dst=1 src0=1 src1=1 src2=1
	v_add3_u32 v16 /*v272*/, v24 /*v280*/, v21 /*v277*/, v16 /*v272*/
	s_set_vgpr_msb 64                       ;  msbs: dst=1 src0=0 src1=0 src2=0
	v_mul_i32_i24_e32 v21 /*v277*/, v142, v230
	s_set_vgpr_msb 0                        ;  msbs: dst=0 src0=0 src1=0 src2=0
	v_mul_i32_i24_e32 v142, v142, v209
	s_set_vgpr_msb 0x55                     ;  msbs: dst=1 src0=1 src1=1 src2=1
	s_delay_alu instid0(VALU_DEP_2) | instskip(SKIP_3) | instid1(VALU_DEP_1)
	v_add3_u32 v21 /*v277*/, v25 /*v281*/, v22 /*v278*/, v21 /*v277*/
	s_set_vgpr_msb 0x41                     ;  msbs: dst=1 src0=1 src1=0 src2=0
	v_mul_i32_i24_e32 v22 /*v278*/, v36 /*v292*/, v237
	s_set_vgpr_msb 4                        ;  msbs: dst=0 src0=0 src1=1 src2=0
	v_add3_u32 v126, v140, v22 /*v278*/, v126
	v_bfe_i32 v140, v133, 0, 8
	s_set_vgpr_msb 64                       ;  msbs: dst=1 src0=0 src1=0 src2=0
	v_ashrrev_i32_e32 v22 /*v278*/, 24, v133
	s_delay_alu instid0(VALU_DEP_2) | instskip(SKIP_1) | instid1(VALU_DEP_2)
	v_mul_i32_i24_e32 v23 /*v279*/, v140, v94
	s_set_vgpr_msb 0x41                     ;  msbs: dst=1 src0=1 src1=0 src2=0
	v_mul_i32_i24_e32 v24 /*v280*/, v22 /*v278*/, v106
	s_set_vgpr_msb 0x55                     ;  msbs: dst=1 src0=1 src1=1 src2=1
	s_delay_alu instid0(VALU_DEP_1)
	v_add3_u32 v12 /*v268*/, v12 /*v268*/, v24 /*v280*/, v23 /*v279*/
	s_set_vgpr_msb 64                       ;  msbs: dst=1 src0=0 src1=0 src2=0
	v_mul_i32_i24_e32 v23 /*v279*/, v140, v221
	s_set_vgpr_msb 0x41                     ;  msbs: dst=1 src0=1 src1=0 src2=0
	v_mul_i32_i24_e32 v24 /*v280*/, v22 /*v278*/, v222
	s_set_vgpr_msb 0x55                     ;  msbs: dst=1 src0=1 src1=1 src2=1
	s_delay_alu instid0(VALU_DEP_1)
	v_add3_u32 v13 /*v269*/, v13 /*v269*/, v24 /*v280*/, v23 /*v279*/
	s_set_vgpr_msb 64                       ;  msbs: dst=1 src0=0 src1=0 src2=0
	v_mul_i32_i24_e32 v23 /*v279*/, v140, v230
	s_set_vgpr_msb 0x41                     ;  msbs: dst=1 src0=1 src1=0 src2=0
	v_mul_i32_i24_e32 v24 /*v280*/, v22 /*v278*/, v233
	s_set_vgpr_msb 0                        ;  msbs: dst=0 src0=0 src1=0 src2=0
	v_mul_i32_i24_e32 v140, v140, v209
	s_set_vgpr_msb 0x55                     ;  msbs: dst=1 src0=1 src1=1 src2=1
	s_delay_alu instid0(VALU_DEP_2) | instskip(SKIP_4) | instid1(VALU_DEP_2)
	v_add3_u32 v14 /*v270*/, v14 /*v270*/, v24 /*v280*/, v23 /*v279*/
	s_set_vgpr_msb 0x41                     ;  msbs: dst=1 src0=1 src1=0 src2=0
	v_mul_i32_i24_e32 v23 /*v279*/, v40 /*v296*/, v237
	s_set_vgpr_msb 4                        ;  msbs: dst=0 src0=0 src1=1 src2=0
	v_bfe_i32 v237, v135, 0, 8
	v_add3_u32 v132, v146, v23 /*v279*/, v132
	v_bfe_i32 v146, v131, 0, 8
	s_set_vgpr_msb 64                       ;  msbs: dst=1 src0=0 src1=0 src2=0
	v_ashrrev_i32_e32 v23 /*v279*/, 24, v131
	s_delay_alu instid0(VALU_DEP_2) | instskip(SKIP_1) | instid1(VALU_DEP_2)
	v_mul_i32_i24_e32 v24 /*v280*/, v146, v94
	s_set_vgpr_msb 0x41                     ;  msbs: dst=1 src0=1 src1=0 src2=0
	v_mul_i32_i24_e32 v25 /*v281*/, v23 /*v279*/, v106
	s_set_vgpr_msb 0x55                     ;  msbs: dst=1 src0=1 src1=1 src2=1
	s_delay_alu instid0(VALU_DEP_1)
	v_add3_u32 v5 /*v261*/, v5 /*v261*/, v25 /*v281*/, v24 /*v280*/
	s_set_vgpr_msb 64                       ;  msbs: dst=1 src0=0 src1=0 src2=0
	v_mul_i32_i24_e32 v24 /*v280*/, v146, v221
	s_set_vgpr_msb 0x41                     ;  msbs: dst=1 src0=1 src1=0 src2=0
	v_mul_i32_i24_e32 v25 /*v281*/, v23 /*v279*/, v222
	s_set_vgpr_msb 0x55                     ;  msbs: dst=1 src0=1 src1=1 src2=1
	s_delay_alu instid0(VALU_DEP_1)
	v_add3_u32 v19 /*v275*/, v19 /*v275*/, v25 /*v281*/, v24 /*v280*/
	s_set_vgpr_msb 64                       ;  msbs: dst=1 src0=0 src1=0 src2=0
	v_mul_i32_i24_e32 v24 /*v280*/, v146, v230
	s_set_vgpr_msb 0x41                     ;  msbs: dst=1 src0=1 src1=0 src2=0
	v_mul_i32_i24_e32 v25 /*v281*/, v23 /*v279*/, v233
	s_set_vgpr_msb 0                        ;  msbs: dst=0 src0=0 src1=0 src2=0
	v_mul_i32_i24_e32 v146, v146, v209
	s_set_vgpr_msb 0x55                     ;  msbs: dst=1 src0=1 src1=1 src2=1
	s_delay_alu instid0(VALU_DEP_2)
	v_add3_u32 v20 /*v276*/, v20 /*v276*/, v25 /*v281*/, v24 /*v280*/
	s_set_vgpr_msb 64                       ;  msbs: dst=1 src0=0 src1=0 src2=0
	v_mul_i32_i24_e32 v25 /*v281*/, v237, v94
	s_set_vgpr_msb 0                        ;  msbs: dst=0 src0=0 src1=0 src2=0
	v_mul_i32_i24_e32 v94, v216, v94
	s_set_vgpr_msb 64                       ;  msbs: dst=1 src0=0 src1=0 src2=0
	v_mul_i32_i24_e32 v24 /*v280*/, v214, v219
	s_set_vgpr_msb 0                        ;  msbs: dst=0 src0=0 src1=0 src2=0
	s_delay_alu instid0(VALU_DEP_2)
	v_add3_u32 v94, v95, v227, v94
	v_mul_i32_i24_e32 v95, v216, v221
	v_mul_i32_i24_e32 v227, v215, v222
	;; [unrolled: 1-line block ×3, first 2 shown]
	s_set_vgpr_msb 20                       ;  msbs: dst=0 src0=0 src1=1 src2=1
	v_add3_u32 v225, v225, v25 /*v281*/, v24 /*v280*/
	s_set_vgpr_msb 0                        ;  msbs: dst=0 src0=0 src1=0 src2=0
	v_add3_u32 v95, v96, v227, v95
	v_mul_i32_i24_e32 v96, v216, v230
	v_mul_i32_i24_e32 v227, v228, v112
	s_delay_alu instid0(VALU_DEP_2) | instskip(SKIP_2) | instid1(VALU_DEP_1)
	v_add3_u32 v96, v101, v215, v96
	v_mul_i32_i24_e32 v101, v144, v211
	v_mul_i32_i24_e32 v144, v223, v112
	v_add3_u32 v101, v103, v144, v101
	v_bfe_i32 v144, v125, 8, 8
	v_bfe_i32 v125, v125, 16, 8
	s_delay_alu instid0(VALU_DEP_2) | instskip(NEXT) | instid1(VALU_DEP_2)
	v_mul_i32_i24_e32 v103, v144, v219
	v_mul_i32_i24_e32 v215, v125, v86
	s_delay_alu instid0(VALU_DEP_1) | instskip(SKIP_2) | instid1(VALU_DEP_2)
	v_add3_u32 v103, v220, v103, v215
	v_bfe_u32 v215, v90, 12, 4
	v_bfe_u32 v90, v90, 20, 4
	v_mul_i32_i24_e32 v216, v144, v215
	s_delay_alu instid0(VALU_DEP_2) | instskip(NEXT) | instid1(VALU_DEP_1)
	v_mul_i32_i24_e32 v220, v125, v90
	v_add3_u32 v216, v224, v216, v220
	v_bfe_u32 v220, v88, 12, 4
	v_bfe_u32 v88, v88, 20, 4
	s_delay_alu instid0(VALU_DEP_2) | instskip(NEXT) | instid1(VALU_DEP_2)
	v_mul_i32_i24_e32 v223, v144, v220
	v_mul_i32_i24_e32 v224, v125, v88
	;; [unrolled: 1-line block ×4, first 2 shown]
	s_delay_alu instid0(VALU_DEP_3) | instskip(SKIP_1) | instid1(VALU_DEP_1)
	v_add3_u32 v223, v235, v223, v224
	v_mul_i32_i24_e32 v224, v229, v212
	v_add3_u32 v124, v124, v224, v227
	v_bfe_i32 v224, v123, 8, 8
	v_bfe_i32 v123, v123, 16, 8
	s_delay_alu instid0(VALU_DEP_2) | instskip(NEXT) | instid1(VALU_DEP_2)
	v_mul_i32_i24_e32 v227, v224, v219
	v_mul_i32_i24_e32 v228, v123, v86
	;; [unrolled: 1-line block ×5, first 2 shown]
	s_delay_alu instid0(VALU_DEP_4)
	v_add3_u32 v227, v236, v227, v228
	v_mul_i32_i24_e32 v228, v224, v215
	s_set_vgpr_msb 1                        ;  msbs: dst=0 src0=1 src1=0 src2=0
	v_mul_i32_i24_e32 v236, v17 /*v273*/, v112
	v_mul_i32_i24_e32 v112, v2 /*v258*/, v112
	s_set_vgpr_msb 0x41                     ;  msbs: dst=1 src0=1 src1=0 src2=0
	v_mul_i32_i24_e32 v2 /*v258*/, v38 /*v294*/, v212
	s_set_vgpr_msb 0                        ;  msbs: dst=0 src0=0 src1=0 src2=0
	v_add3_u32 v228, v243, v228, v229
	v_mul_i32_i24_e32 v229, v224, v220
	v_mul_i32_i24_e32 v224, v224, v234
	s_set_vgpr_msb 4                        ;  msbs: dst=0 src0=0 src1=1 src2=0
	v_add3_u32 v112, v130, v2 /*v258*/, v112
	s_set_vgpr_msb 0                        ;  msbs: dst=0 src0=0 src1=0 src2=0
	v_ashrrev_i32_e32 v130, 24, v135
	v_bfe_i32 v135, v135, 16, 8
	s_set_vgpr_msb 1                        ;  msbs: dst=0 src0=1 src1=0 src2=0
	v_add3_u32 v229, v3 /*v259*/, v229, v235
	v_mul_i32_i24_e32 v235, v18 /*v274*/, v212
	s_set_vgpr_msb 0                        ;  msbs: dst=0 src0=0 src1=0 src2=0
	v_mul_i32_i24_e32 v106, v130, v106
	s_set_vgpr_msb 64                       ;  msbs: dst=1 src0=0 src1=0 src2=0
	v_mul_i32_i24_e32 v2 /*v258*/, v135, v86
	s_set_vgpr_msb 0                        ;  msbs: dst=0 src0=0 src1=0 src2=0
	v_add3_u32 v122, v122, v235, v236
	v_bfe_i32 v235, v129, 8, 8
	v_bfe_i32 v129, v129, 16, 8
	s_set_vgpr_msb 4                        ;  msbs: dst=0 src0=0 src1=1 src2=0
	v_add3_u32 v225, v225, v2 /*v258*/, v106
	s_set_vgpr_msb 0                        ;  msbs: dst=0 src0=0 src1=0 src2=0
	v_mul_i32_i24_e32 v106, v237, v221
	v_mul_i32_i24_e32 v221, v214, v215
	;; [unrolled: 1-line block ×5, first 2 shown]
	s_delay_alu instid0(VALU_DEP_4) | instskip(SKIP_1) | instid1(VALU_DEP_4)
	v_add3_u32 v221, v105, v106, v221
	v_mul_i32_i24_e32 v105, v237, v230
	v_add3_u32 v236, v239, v236, v242
	v_mul_i32_i24_e32 v239, v235, v215
	v_mul_i32_i24_e32 v242, v129, v90
	;; [unrolled: 1-line block ×4, first 2 shown]
	s_set_vgpr_msb 1                        ;  msbs: dst=0 src0=1 src1=0 src2=0
	s_delay_alu instid0(VALU_DEP_3)
	v_add3_u32 v239, v8 /*v264*/, v239, v242
	s_set_vgpr_msb 0                        ;  msbs: dst=0 src0=0 src1=0 src2=0
	v_mul_i32_i24_e32 v242, v235, v220
	v_add3_u32 v230, v102, v105, v106
	v_mul_i32_i24_e32 v102, v107, v219
	ds_load_2addr_b32 v[104:105], v104 offset1:3
	s_set_vgpr_msb 1                        ;  msbs: dst=0 src0=1 src1=0 src2=0
	v_add3_u32 v242, v11 /*v267*/, v242, v243
	v_mul_i32_i24_e32 v243, v26 /*v282*/, v212
	s_set_vgpr_msb 0                        ;  msbs: dst=0 src0=0 src1=0 src2=0
	s_delay_alu instid0(VALU_DEP_1) | instskip(SKIP_2) | instid1(VALU_DEP_2)
	v_add3_u32 v128, v128, v243, v240
	v_bfe_i32 v240, v127, 8, 8
	v_bfe_i32 v127, v127, 16, 8
	v_mul_i32_i24_e32 v243, v240, v219
	s_delay_alu instid0(VALU_DEP_2) | instskip(SKIP_3) | instid1(VALU_DEP_2)
	v_mul_i32_i24_e32 v244, v127, v86
	s_set_vgpr_msb 64                       ;  msbs: dst=1 src0=0 src1=0 src2=0
	v_mul_i32_i24_e32 v3 /*v259*/, v127, v88
	s_set_vgpr_msb 0                        ;  msbs: dst=0 src0=0 src1=0 src2=0
	v_add3_u32 v243, v246, v243, v244
	v_mul_i32_i24_e32 v244, v240, v215
	v_mul_i32_i24_e32 v246, v127, v90
	s_set_vgpr_msb 1                        ;  msbs: dst=0 src0=1 src1=0 src2=0
	s_delay_alu instid0(VALU_DEP_1)
	v_add3_u32 v244, v16 /*v272*/, v244, v246
	s_set_vgpr_msb 0                        ;  msbs: dst=0 src0=0 src1=0 src2=0
	v_mul_i32_i24_e32 v246, v240, v220
	s_set_vgpr_msb 64                       ;  msbs: dst=1 src0=0 src1=0 src2=0
	v_bfe_u32 v16 /*v272*/, v89, 24, 4
	s_set_vgpr_msb 17                       ;  msbs: dst=0 src0=1 src1=0 src2=1
	s_delay_alu instid0(VALU_DEP_2) | instskip(SKIP_3) | instid1(VALU_DEP_1)
	v_add3_u32 v246, v21 /*v277*/, v246, v3 /*v259*/
	s_set_vgpr_msb 0x41                     ;  msbs: dst=1 src0=1 src1=0 src2=0
	v_mul_i32_i24_e32 v3 /*v259*/, v32 /*v288*/, v212
	s_set_vgpr_msb 4                        ;  msbs: dst=0 src0=0 src1=1 src2=0
	v_add3_u32 v126, v126, v3 /*v259*/, v249
	v_bfe_i32 v249, v133, 8, 8
	v_bfe_i32 v133, v133, 16, 8
	s_set_vgpr_msb 64                       ;  msbs: dst=1 src0=0 src1=0 src2=0
	s_delay_alu instid0(VALU_DEP_2) | instskip(NEXT) | instid1(VALU_DEP_2)
	v_mul_i32_i24_e32 v3 /*v259*/, v249, v219
	v_mul_i32_i24_e32 v8 /*v264*/, v133, v86
	;; [unrolled: 1-line block ×4, first 2 shown]
	s_set_vgpr_msb 0x55                     ;  msbs: dst=1 src0=1 src1=1 src2=1
	s_delay_alu instid0(VALU_DEP_3) | instskip(SKIP_3) | instid1(VALU_DEP_1)
	v_add3_u32 v3 /*v259*/, v12 /*v268*/, v3 /*v259*/, v8 /*v264*/
	s_set_vgpr_msb 64                       ;  msbs: dst=1 src0=0 src1=0 src2=0
	v_mul_i32_i24_e32 v8 /*v264*/, v249, v215
	s_set_vgpr_msb 0x55                     ;  msbs: dst=1 src0=1 src1=1 src2=1
	v_add3_u32 v8 /*v264*/, v13 /*v269*/, v8 /*v264*/, v9 /*v265*/
	s_set_vgpr_msb 64                       ;  msbs: dst=1 src0=0 src1=0 src2=0
	v_mul_i32_i24_e32 v9 /*v265*/, v249, v220
	s_set_vgpr_msb 0x55                     ;  msbs: dst=1 src0=1 src1=1 src2=1
	s_delay_alu instid0(VALU_DEP_1)
	v_add3_u32 v9 /*v265*/, v14 /*v270*/, v9 /*v265*/, v11 /*v267*/
	s_set_vgpr_msb 0x41                     ;  msbs: dst=1 src0=1 src1=0 src2=0
	v_mul_i32_i24_e32 v11 /*v267*/, v37 /*v293*/, v212
	s_set_vgpr_msb 64                       ;  msbs: dst=1 src0=0 src1=0 src2=0
	v_bfe_u32 v14 /*v270*/, v89, 8, 4
	s_set_vgpr_msb 4                        ;  msbs: dst=0 src0=0 src1=1 src2=0
	s_delay_alu instid0(VALU_DEP_2) | instskip(SKIP_3) | instid1(VALU_DEP_2)
	v_add3_u32 v132, v132, v11 /*v267*/, v250
	v_bfe_i32 v250, v131, 8, 8
	v_bfe_i32 v131, v131, 16, 8
	s_set_vgpr_msb 64                       ;  msbs: dst=1 src0=0 src1=0 src2=0
	v_mul_i32_i24_e32 v11 /*v267*/, v250, v219
	s_delay_alu instid0(VALU_DEP_2)
	v_mul_i32_i24_e32 v12 /*v268*/, v131, v86
	s_set_vgpr_msb 0                        ;  msbs: dst=0 src0=0 src1=0 src2=0
	v_mul_i32_i24_e32 v86, v213, v86
	v_bfe_u32 v219, v87, 24, 4
	s_set_vgpr_msb 64                       ;  msbs: dst=1 src0=0 src1=0 src2=0
	v_mul_i32_i24_e32 v13 /*v269*/, v131, v88
	s_set_vgpr_msb 0x55                     ;  msbs: dst=1 src0=1 src1=1 src2=1
	v_add3_u32 v5 /*v261*/, v5 /*v261*/, v11 /*v267*/, v12 /*v268*/
	s_set_vgpr_msb 0                        ;  msbs: dst=0 src0=0 src1=0 src2=0
	v_add3_u32 v86, v94, v102, v86
	v_mul_i32_i24_e32 v94, v107, v215
	v_mul_i32_i24_e32 v102, v213, v90
	s_set_vgpr_msb 64                       ;  msbs: dst=1 src0=0 src1=0 src2=0
	v_mul_i32_i24_e32 v11 /*v267*/, v250, v215
	v_mul_i32_i24_e32 v12 /*v268*/, v131, v90
	s_set_vgpr_msb 0                        ;  msbs: dst=0 src0=0 src1=0 src2=0
	v_mul_i32_i24_e32 v90, v135, v90
	v_add3_u32 v215, v95, v94, v102
	v_mul_i32_i24_e32 v94, v107, v220
	v_mul_i32_i24_e32 v95, v213, v88
	s_set_vgpr_msb 0x55                     ;  msbs: dst=1 src0=1 src1=1 src2=1
	v_add3_u32 v11 /*v267*/, v19 /*v275*/, v11 /*v267*/, v12 /*v268*/
	s_set_vgpr_msb 64                       ;  msbs: dst=1 src0=0 src1=0 src2=0
	v_mul_i32_i24_e32 v12 /*v268*/, v250, v220
	s_set_vgpr_msb 0                        ;  msbs: dst=0 src0=0 src1=0 src2=0
	v_mul_i32_i24_e32 v88, v135, v88
	v_mul_i32_i24_e32 v135, v135, v207
	v_add3_u32 v213, v96, v94, v95
	s_set_vgpr_msb 1                        ;  msbs: dst=0 src0=1 src1=0 src2=0
	v_mul_i32_i24_e32 v94, v10 /*v266*/, v212
	s_set_vgpr_msb 0                        ;  msbs: dst=0 src0=0 src1=0 src2=0
	v_mul_i32_i24_e32 v95, v149, v210
	v_bfe_u32 v212, v87, 8, 4
	s_set_vgpr_msb 0x55                     ;  msbs: dst=1 src0=1 src1=1 src2=1
	v_add3_u32 v12 /*v268*/, v20 /*v276*/, v12 /*v268*/, v13 /*v269*/
	s_set_vgpr_msb 64                       ;  msbs: dst=1 src0=0 src1=0 src2=0
	v_bfe_u32 v10 /*v266*/, v91, 8, 4
	v_bfe_u32 v13 /*v269*/, v91, 24, 4
	s_set_vgpr_msb 0                        ;  msbs: dst=0 src0=0 src1=0 src2=0
	v_add3_u32 v149, v101, v95, v94
	ds_load_2addr_b32 v[94:95], v226 offset1:3
	s_wait_dscnt 0x0
	v_bfe_i32 v220, v95, 8, 8
	v_ashrrev_i32_e32 v226, 24, v95
	s_delay_alu instid0(VALU_DEP_2) | instskip(NEXT) | instid1(VALU_DEP_2)
	v_mul_i32_i24_e32 v96, v220, v212
	v_mul_i32_i24_e32 v101, v226, v219
	s_set_vgpr_msb 64                       ;  msbs: dst=1 src0=0 src1=0 src2=0
	s_delay_alu instid0(VALU_DEP_1)
	v_add3_u32 v2 /*v258*/, v103, v101, v96
	s_set_vgpr_msb 4                        ;  msbs: dst=0 src0=0 src1=1 src2=0
	ds_load_2addr_b32 v[102:103], v100 offset1:3
	v_mul_i32_i24_e32 v96, v220, v10 /*v266*/
	v_mul_i32_i24_e32 v101, v226, v13 /*v269*/
	s_set_vgpr_msb 0                        ;  msbs: dst=0 src0=0 src1=0 src2=0
	s_delay_alu instid0(VALU_DEP_1) | instskip(SKIP_4) | instid1(VALU_DEP_1)
	v_add3_u32 v216, v216, v101, v96
	s_set_vgpr_msb 4                        ;  msbs: dst=0 src0=0 src1=1 src2=0
	v_mul_i32_i24_e32 v96, v220, v14 /*v270*/
	v_mul_i32_i24_e32 v101, v226, v16 /*v272*/
	s_set_vgpr_msb 0                        ;  msbs: dst=0 src0=0 src1=0 src2=0
	v_add3_u32 v223, v223, v101, v96
	v_mul_i32_i24_e32 v96, v97, v211
	v_mul_i32_i24_e32 v97, v139, v210
	s_wait_dscnt 0x0
	v_bfe_i32 v139, v103, 8, 8
	s_set_vgpr_msb 64                       ;  msbs: dst=1 src0=0 src1=0 src2=0
	v_ashrrev_i32_e32 v17 /*v273*/, 24, v103
	s_set_vgpr_msb 0                        ;  msbs: dst=0 src0=0 src1=0 src2=0
	v_add3_u32 v124, v124, v96, v97
	v_mul_i32_i24_e32 v96, v139, v212
	s_set_vgpr_msb 1                        ;  msbs: dst=0 src0=1 src1=0 src2=0
	v_mul_i32_i24_e32 v97, v17 /*v273*/, v219
	s_set_vgpr_msb 0                        ;  msbs: dst=0 src0=0 src1=0 src2=0
	v_add3_u32 v120, v124, v218, v120
	v_bfe_i32 v218, v103, 0, 8
	v_bfe_i32 v103, v103, 16, 8
	v_add3_u32 v227, v227, v97, v96
	s_set_vgpr_msb 4                        ;  msbs: dst=0 src0=0 src1=1 src2=0
	v_mul_i32_i24_e32 v96, v139, v10 /*v266*/
	s_set_vgpr_msb 5                        ;  msbs: dst=0 src0=1 src1=1 src2=0
	v_mul_i32_i24_e32 v97, v17 /*v273*/, v13 /*v269*/
	s_set_vgpr_msb 0                        ;  msbs: dst=0 src0=0 src1=0 src2=0
	v_add3_u32 v120, v120, v144, v125
	v_bfe_i32 v125, v99, 0, 8
	s_delay_alu instid0(VALU_DEP_3)
	v_add3_u32 v228, v228, v97, v96
	s_set_vgpr_msb 4                        ;  msbs: dst=0 src0=0 src1=1 src2=0
	v_mul_i32_i24_e32 v96, v139, v14 /*v270*/
	s_set_vgpr_msb 5                        ;  msbs: dst=0 src0=1 src1=1 src2=0
	v_mul_i32_i24_e32 v97, v17 /*v273*/, v16 /*v272*/
	s_set_vgpr_msb 0                        ;  msbs: dst=0 src0=0 src1=0 src2=0
	s_delay_alu instid0(VALU_DEP_1) | instskip(SKIP_4) | instid1(VALU_DEP_1)
	v_add3_u32 v229, v229, v97, v96
	s_set_vgpr_msb 1                        ;  msbs: dst=0 src0=1 src1=0 src2=0
	v_mul_i32_i24_e32 v96, v6 /*v262*/, v211
	s_set_vgpr_msb 0                        ;  msbs: dst=0 src0=0 src1=0 src2=0
	v_mul_i32_i24_e32 v97, v137, v210
	v_add3_u32 v122, v122, v96, v97
	ds_load_2addr_b32 v[96:97], v98 offset1:3
	s_wait_dscnt 0x0
	v_bfe_i32 v98, v97, 8, 8
	v_ashrrev_i32_e32 v137, 24, v97
	s_delay_alu instid0(VALU_DEP_2) | instskip(NEXT) | instid1(VALU_DEP_2)
	v_mul_i32_i24_e32 v100, v98, v212
	v_mul_i32_i24_e32 v101, v137, v219
	s_delay_alu instid0(VALU_DEP_1) | instskip(SKIP_4) | instid1(VALU_DEP_1)
	v_add3_u32 v236, v236, v101, v100
	s_set_vgpr_msb 4                        ;  msbs: dst=0 src0=0 src1=1 src2=0
	v_mul_i32_i24_e32 v100, v98, v10 /*v266*/
	v_mul_i32_i24_e32 v101, v137, v13 /*v269*/
	s_set_vgpr_msb 0                        ;  msbs: dst=0 src0=0 src1=0 src2=0
	v_add3_u32 v239, v239, v101, v100
	s_set_vgpr_msb 4                        ;  msbs: dst=0 src0=0 src1=1 src2=0
	v_mul_i32_i24_e32 v100, v98, v14 /*v270*/
	v_mul_i32_i24_e32 v101, v137, v16 /*v272*/
	s_set_vgpr_msb 0                        ;  msbs: dst=0 src0=0 src1=0 src2=0
	v_mul_i32_i24_e32 v98, v98, v111
	s_delay_alu instid0(VALU_DEP_2)
	v_add3_u32 v242, v242, v101, v100
	v_mul_i32_i24_e32 v100, v238, v211
	v_mul_i32_i24_e32 v101, v143, v210
	v_bfe_i32 v143, v105, 8, 8
	v_ashrrev_i32_e32 v238, 24, v105
	v_mul_i32_i24_e32 v222, v130, v222
	s_delay_alu instid0(VALU_DEP_4) | instskip(NEXT) | instid1(VALU_DEP_4)
	v_add3_u32 v128, v128, v100, v101
	v_mul_i32_i24_e32 v100, v143, v212
	s_delay_alu instid0(VALU_DEP_4) | instskip(NEXT) | instid1(VALU_DEP_4)
	v_mul_i32_i24_e32 v101, v238, v219
	v_add3_u32 v90, v221, v90, v222
	v_mul_i32_i24_e32 v221, v130, v233
	v_bfe_u32 v222, v91, 16, 4
	v_mul_i32_i24_e32 v130, v130, v208
	v_add3_u32 v243, v243, v101, v100
	s_set_vgpr_msb 4                        ;  msbs: dst=0 src0=0 src1=1 src2=0
	v_mul_i32_i24_e32 v100, v143, v10 /*v266*/
	v_mul_i32_i24_e32 v101, v238, v13 /*v269*/
	s_set_vgpr_msb 0                        ;  msbs: dst=0 src0=0 src1=0 src2=0
	v_add3_u32 v88, v230, v88, v221
	s_set_vgpr_msb 1                        ;  msbs: dst=0 src0=1 src1=0 src2=0
	v_mul_i32_i24_e32 v221, v1 /*v257*/, v219
	s_set_vgpr_msb 0                        ;  msbs: dst=0 src0=0 src1=0 src2=0
	v_add3_u32 v244, v244, v101, v100
	s_set_vgpr_msb 4                        ;  msbs: dst=0 src0=0 src1=1 src2=0
	v_mul_i32_i24_e32 v100, v143, v14 /*v270*/
	v_mul_i32_i24_e32 v101, v238, v16 /*v272*/
	s_set_vgpr_msb 0                        ;  msbs: dst=0 src0=0 src1=0 src2=0
	s_delay_alu instid0(VALU_DEP_1) | instskip(SKIP_2) | instid1(VALU_DEP_1)
	v_add3_u32 v246, v246, v101, v100
	v_mul_i32_i24_e32 v100, v245, v211
	v_mul_i32_i24_e32 v101, v141, v210
	v_add3_u32 v126, v126, v100, v101
	ds_load_2addr_b32 v[100:101], v251 offset1:3
	s_wait_dscnt 0x0
	v_bfe_i32 v141, v101, 8, 8
	v_ashrrev_i32_e32 v245, 24, v101
	s_delay_alu instid0(VALU_DEP_2) | instskip(NEXT) | instid1(VALU_DEP_2)
	v_mul_i32_i24_e32 v106, v141, v212
	v_mul_i32_i24_e32 v107, v245, v219
	s_set_vgpr_msb 1                        ;  msbs: dst=0 src0=1 src1=0 src2=0
	s_delay_alu instid0(VALU_DEP_1) | instskip(SKIP_4) | instid1(VALU_DEP_1)
	v_add3_u32 v251, v3 /*v259*/, v107, v106
	s_set_vgpr_msb 4                        ;  msbs: dst=0 src0=0 src1=1 src2=0
	v_mul_i32_i24_e32 v106, v141, v10 /*v266*/
	v_mul_i32_i24_e32 v107, v245, v13 /*v269*/
	s_set_vgpr_msb 0x41                     ;  msbs: dst=1 src0=1 src1=0 src2=0
	v_add3_u32 v3 /*v259*/, v8 /*v264*/, v107, v106
	s_set_vgpr_msb 4                        ;  msbs: dst=0 src0=0 src1=1 src2=0
	v_mul_i32_i24_e32 v106, v141, v14 /*v270*/
	v_mul_i32_i24_e32 v107, v245, v16 /*v272*/
	s_set_vgpr_msb 0x41                     ;  msbs: dst=1 src0=1 src1=0 src2=0
	s_delay_alu instid0(VALU_DEP_1)
	v_add3_u32 v6 /*v262*/, v9 /*v265*/, v107, v106
	s_set_vgpr_msb 0                        ;  msbs: dst=0 src0=0 src1=0 src2=0
	v_mul_i32_i24_e32 v106, v255, v211
	v_mul_i32_i24_e32 v107, v147, v210
	s_set_vgpr_msb 1                        ;  msbs: dst=0 src0=1 src1=0 src2=0
	v_mul_i32_i24_e32 v211, v4 /*v260*/, v211
	v_and_b32_e32 v210, 15, v87
	s_set_vgpr_msb 0                        ;  msbs: dst=0 src0=0 src1=0 src2=0
	v_add3_u32 v132, v132, v106, v107
	s_set_vgpr_msb 1                        ;  msbs: dst=0 src0=1 src1=0 src2=0
	ds_load_2addr_b32 v[106:107], v0 /*v256*/ offset1:3
	s_set_vgpr_msb 0                        ;  msbs: dst=0 src0=0 src1=0 src2=0
	v_add3_u32 v112, v112, v211, v145
	v_bfe_i32 v211, v85, 8, 8
	v_bfe_i32 v145, v85, 0, 8
	s_wait_dscnt 0x0
	v_bfe_i32 v147, v107, 8, 8
	v_ashrrev_i32_e32 v255, 24, v107
	s_set_vgpr_msb 64                       ;  msbs: dst=1 src0=0 src1=0 src2=0
	s_delay_alu instid0(VALU_DEP_2) | instskip(NEXT) | instid1(VALU_DEP_2)
	v_mul_i32_i24_e32 v0 /*v256*/, v147, v212
	v_mul_i32_i24_e32 v8 /*v264*/, v255, v219
	s_set_vgpr_msb 0x44                     ;  msbs: dst=1 src0=0 src1=1 src2=0
	v_mul_i32_i24_e32 v9 /*v265*/, v255, v16 /*v272*/
	s_set_vgpr_msb 0x55                     ;  msbs: dst=1 src0=1 src1=1 src2=1
	s_delay_alu instid0(VALU_DEP_2) | instskip(SKIP_4) | instid1(VALU_DEP_1)
	v_add3_u32 v0 /*v256*/, v5 /*v261*/, v8 /*v264*/, v0 /*v256*/
	s_set_vgpr_msb 0x44                     ;  msbs: dst=1 src0=0 src1=1 src2=0
	v_mul_i32_i24_e32 v5 /*v261*/, v147, v10 /*v266*/
	v_mul_i32_i24_e32 v8 /*v264*/, v255, v13 /*v269*/
	s_set_vgpr_msb 0x55                     ;  msbs: dst=1 src0=1 src1=1 src2=1
	v_add3_u32 v5 /*v261*/, v11 /*v267*/, v8 /*v264*/, v5 /*v261*/
	s_set_vgpr_msb 0x44                     ;  msbs: dst=1 src0=0 src1=1 src2=0
	v_mul_i32_i24_e32 v8 /*v264*/, v147, v14 /*v270*/
	s_set_vgpr_msb 0x55                     ;  msbs: dst=1 src0=1 src1=1 src2=1
	s_delay_alu instid0(VALU_DEP_1) | instskip(SKIP_4) | instid1(VALU_DEP_1)
	v_add3_u32 v8 /*v264*/, v12 /*v268*/, v9 /*v265*/, v8 /*v264*/
	s_set_vgpr_msb 64                       ;  msbs: dst=1 src0=0 src1=0 src2=0
	v_mul_i32_i24_e32 v9 /*v265*/, v211, v212
	s_set_vgpr_msb 0                        ;  msbs: dst=0 src0=0 src1=0 src2=0
	v_mul_i32_i24_e32 v212, v121, v212
	v_add3_u32 v86, v86, v221, v212
	s_set_vgpr_msb 4                        ;  msbs: dst=0 src0=0 src1=1 src2=0
	v_mul_i32_i24_e32 v212, v121, v10 /*v266*/
	s_set_vgpr_msb 5                        ;  msbs: dst=0 src0=1 src1=1 src2=0
	v_mul_i32_i24_e32 v221, v1 /*v257*/, v13 /*v269*/
	s_set_vgpr_msb 4                        ;  msbs: dst=0 src0=0 src1=1 src2=0
	v_mul_i32_i24_e32 v121, v121, v14 /*v270*/
	s_set_vgpr_msb 0                        ;  msbs: dst=0 src0=0 src1=0 src2=0
	s_delay_alu instid0(VALU_DEP_2) | instskip(SKIP_3) | instid1(VALU_DEP_1)
	v_add3_u32 v212, v215, v221, v212
	s_set_vgpr_msb 5                        ;  msbs: dst=0 src0=1 src1=1 src2=0
	v_mul_i32_i24_e32 v215, v1 /*v257*/, v16 /*v272*/
	s_set_vgpr_msb 0                        ;  msbs: dst=0 src0=0 src1=0 src2=0
	v_add3_u32 v121, v213, v215, v121
	v_mul_i32_i24_e32 v213, v237, v209
	s_set_vgpr_msb 1                        ;  msbs: dst=0 src0=1 src1=0 src2=0
	v_mul_i32_i24_e32 v209, v23 /*v279*/, v208
	s_set_vgpr_msb 0                        ;  msbs: dst=0 src0=0 src1=0 src2=0
	s_delay_alu instid0(VALU_DEP_2)
	v_add3_u32 v149, v149, v213, v214
	v_bfe_u32 v213, v87, 16, 4
	v_bfe_i32 v214, v95, 0, 8
	v_bfe_i32 v95, v95, 16, 8
	v_add3_u32 v112, v112, v209, v146
	v_ashrrev_i32_e32 v146, 24, v85
	v_mul_i32_i24_e32 v124, v218, v210
	v_mul_i32_i24_e32 v215, v214, v210
	;; [unrolled: 1-line block ×4, first 2 shown]
	v_bfe_i32 v85, v85, 16, 8
	s_set_vgpr_msb 64                       ;  msbs: dst=1 src0=0 src1=0 src2=0
	v_mul_i32_i24_e32 v4 /*v260*/, v145, v210
	s_set_vgpr_msb 0                        ;  msbs: dst=0 src0=0 src1=0 src2=0
	v_mul_i32_i24_e32 v209, v146, v219
	s_set_vgpr_msb 1                        ;  msbs: dst=0 src0=1 src1=0 src2=0
	v_add3_u32 v215, v2 /*v258*/, v215, v221
	v_and_b32_e32 v221, 15, v91
	s_set_vgpr_msb 0                        ;  msbs: dst=0 src0=0 src1=0 src2=0
	v_mul_i32_i24_e32 v219, v85, v213
	s_set_vgpr_msb 20                       ;  msbs: dst=0 src0=0 src1=1 src2=1
	v_add3_u32 v225, v225, v9 /*v265*/, v4 /*v260*/
	s_set_vgpr_msb 0                        ;  msbs: dst=0 src0=0 src1=0 src2=0
	v_add3_u32 v130, v149, v135, v130
	v_bfe_u32 v135, v87, 4, 4
	v_mul_i32_i24_e32 v230, v214, v221
	v_lshrrev_b32_e32 v149, 28, v87
	v_add3_u32 v209, v225, v219, v209
	s_set_vgpr_msb 4                        ;  msbs: dst=0 src0=0 src1=1 src2=0
	v_mul_i32_i24_e32 v219, v211, v10 /*v266*/
	s_set_vgpr_msb 0                        ;  msbs: dst=0 src0=0 src1=0 src2=0
	v_mul_i32_i24_e32 v144, v125, v135
	v_add3_u32 v216, v216, v230, v233
	v_and_b32_e32 v230, 15, v89
	v_bfe_u32 v233, v89, 16, 4
	s_delay_alu instid0(VALU_DEP_2) | instskip(SKIP_1) | instid1(VALU_DEP_2)
	v_mul_i32_i24_e32 v237, v214, v230
	s_set_vgpr_msb 64                       ;  msbs: dst=1 src0=0 src1=0 src2=0
	v_mul_i32_i24_e32 v1 /*v257*/, v95, v233
	s_set_vgpr_msb 16                       ;  msbs: dst=0 src0=0 src1=0 src2=1
	v_mul_i32_i24_e32 v95, v95, v116
	s_delay_alu instid0(VALU_DEP_2) | instskip(SKIP_2) | instid1(VALU_DEP_1)
	v_add3_u32 v223, v223, v237, v1 /*v257*/
	v_mul_i32_i24_e32 v237, v103, v213
	s_set_vgpr_msb 0                        ;  msbs: dst=0 src0=0 src1=0 src2=0
	v_add3_u32 v124, v227, v124, v237
	v_mul_i32_i24_e32 v227, v218, v221
	v_mul_i32_i24_e32 v237, v103, v222
	s_delay_alu instid0(VALU_DEP_1) | instskip(SKIP_2) | instid1(VALU_DEP_1)
	v_add3_u32 v227, v228, v227, v237
	v_mul_i32_i24_e32 v228, v218, v230
	v_mul_i32_i24_e32 v237, v103, v233
	v_add3_u32 v228, v229, v228, v237
	v_mul_i32_i24_e32 v229, v232, v208
	v_bfe_i32 v232, v97, 16, 8
	s_delay_alu instid0(VALU_DEP_2) | instskip(SKIP_1) | instid1(VALU_DEP_3)
	v_add3_u32 v122, v122, v229, v138
	v_bfe_i32 v229, v97, 0, 8
	v_mul_i32_i24_e32 v138, v232, v213
	v_mul_i32_i24_e32 v237, v232, v233
	s_delay_alu instid0(VALU_DEP_4) | instskip(NEXT) | instid1(VALU_DEP_4)
	v_add3_u32 v122, v122, v224, v123
	v_mul_i32_i24_e32 v97, v229, v210
	v_ashrrev_i32_e32 v224, 24, v109
	v_bfe_i32 v123, v109, 0, 8
	s_delay_alu instid0(VALU_DEP_3) | instskip(SKIP_2) | instid1(VALU_DEP_1)
	v_add3_u32 v97, v236, v97, v138
	v_mul_i32_i24_e32 v138, v229, v221
	v_mul_i32_i24_e32 v236, v232, v222
	v_add3_u32 v138, v239, v138, v236
	v_mul_i32_i24_e32 v236, v229, v230
	s_delay_alu instid0(VALU_DEP_1) | instskip(SKIP_3) | instid1(VALU_DEP_1)
	v_add3_u32 v236, v242, v236, v237
	s_set_vgpr_msb 1                        ;  msbs: dst=0 src0=1 src1=0 src2=0
	v_mul_i32_i24_e32 v237, v7 /*v263*/, v208
	s_set_vgpr_msb 0                        ;  msbs: dst=0 src0=0 src1=0 src2=0
	v_add3_u32 v128, v128, v237, v136
	v_bfe_i32 v237, v105, 0, 8
	v_bfe_i32 v105, v105, 16, 8
	s_delay_alu instid0(VALU_DEP_2) | instskip(NEXT) | instid1(VALU_DEP_2)
	v_mul_i32_i24_e32 v136, v237, v210
	v_mul_i32_i24_e32 v239, v105, v213
	;; [unrolled: 1-line block ×3, first 2 shown]
	s_delay_alu instid0(VALU_DEP_2) | instskip(SKIP_2) | instid1(VALU_DEP_2)
	v_add3_u32 v136, v243, v136, v239
	v_mul_i32_i24_e32 v239, v237, v221
	v_mul_i32_i24_e32 v243, v105, v233
	v_add3_u32 v239, v244, v239, v242
	v_mul_i32_i24_e32 v242, v237, v230
	s_delay_alu instid0(VALU_DEP_1) | instskip(SKIP_3) | instid1(VALU_DEP_1)
	v_add3_u32 v242, v246, v242, v243
	s_set_vgpr_msb 1                        ;  msbs: dst=0 src0=1 src1=0 src2=0
	v_mul_i32_i24_e32 v243, v15 /*v271*/, v208
	s_set_vgpr_msb 0                        ;  msbs: dst=0 src0=0 src1=0 src2=0
	v_add3_u32 v126, v126, v243, v142
	v_bfe_i32 v243, v101, 0, 8
	v_bfe_i32 v101, v101, 16, 8
	s_delay_alu instid0(VALU_DEP_2) | instskip(NEXT) | instid1(VALU_DEP_2)
	v_mul_i32_i24_e32 v142, v243, v210
	v_mul_i32_i24_e32 v244, v101, v213
	;; [unrolled: 1-line block ×3, first 2 shown]
	s_delay_alu instid0(VALU_DEP_2) | instskip(SKIP_3) | instid1(VALU_DEP_2)
	v_add3_u32 v142, v251, v142, v244
	v_mul_i32_i24_e32 v244, v243, v221
	v_mul_i32_i24_e32 v251, v101, v233
	s_set_vgpr_msb 1                        ;  msbs: dst=0 src0=1 src1=0 src2=0
	v_add3_u32 v244, v3 /*v259*/, v244, v246
	s_set_vgpr_msb 0                        ;  msbs: dst=0 src0=0 src1=0 src2=0
	v_mul_i32_i24_e32 v246, v243, v230
	s_set_vgpr_msb 1                        ;  msbs: dst=0 src0=1 src1=0 src2=0
	s_delay_alu instid0(VALU_DEP_1) | instskip(SKIP_2) | instid1(VALU_DEP_1)
	v_add3_u32 v246, v6 /*v262*/, v246, v251
	v_mul_i32_i24_e32 v251, v22 /*v278*/, v208
	s_set_vgpr_msb 0                        ;  msbs: dst=0 src0=0 src1=0 src2=0
	v_add3_u32 v132, v132, v251, v140
	v_bfe_i32 v251, v107, 0, 8
	v_bfe_i32 v107, v107, 16, 8
	s_delay_alu instid0(VALU_DEP_2) | instskip(SKIP_1) | instid1(VALU_DEP_2)
	v_mul_i32_i24_e32 v140, v251, v210
	s_set_vgpr_msb 64                       ;  msbs: dst=1 src0=0 src1=0 src2=0
	v_mul_i32_i24_e32 v1 /*v257*/, v107, v213
	s_set_vgpr_msb 0                        ;  msbs: dst=0 src0=0 src1=0 src2=0
	v_mul_i32_i24_e32 v210, v254, v210
	v_mul_i32_i24_e32 v213, v253, v213
	s_set_vgpr_msb 64                       ;  msbs: dst=1 src0=0 src1=0 src2=0
	v_mul_i32_i24_e32 v2 /*v258*/, v107, v233
	s_set_vgpr_msb 17                       ;  msbs: dst=0 src0=1 src1=0 src2=1
	v_add3_u32 v140, v0 /*v256*/, v140, v1 /*v257*/
	s_set_vgpr_msb 64                       ;  msbs: dst=1 src0=0 src1=0 src2=0
	v_mul_i32_i24_e32 v1 /*v257*/, v107, v222
	s_set_vgpr_msb 0                        ;  msbs: dst=0 src0=0 src1=0 src2=0
	v_add3_u32 v86, v86, v210, v213
	v_mul_i32_i24_e32 v210, v254, v221
	v_mul_i32_i24_e32 v213, v253, v222
	s_delay_alu instid0(VALU_DEP_1) | instskip(SKIP_2) | instid1(VALU_DEP_1)
	v_add3_u32 v210, v212, v210, v213
	v_mul_i32_i24_e32 v212, v254, v230
	v_mul_i32_i24_e32 v213, v253, v233
	v_add3_u32 v121, v121, v212, v213
	v_ashrrev_i32_e32 v213, 24, v93
	v_mul_i32_i24_e32 v225, v145, v221
	v_bfe_i32 v212, v93, 0, 8
	s_set_vgpr_msb 64                       ;  msbs: dst=1 src0=0 src1=0 src2=0
	v_mul_i32_i24_e32 v0 /*v256*/, v251, v221
	s_set_vgpr_msb 0                        ;  msbs: dst=0 src0=0 src1=0 src2=0
	v_add3_u32 v90, v90, v219, v225
	s_set_vgpr_msb 4                        ;  msbs: dst=0 src0=0 src1=1 src2=0
	v_mul_i32_i24_e32 v219, v211, v14 /*v270*/
	s_set_vgpr_msb 0                        ;  msbs: dst=0 src0=0 src1=0 src2=0
	v_mul_i32_i24_e32 v225, v145, v230
	v_mul_i32_i24_e32 v208, v212, v135
	s_set_vgpr_msb 0x55                     ;  msbs: dst=1 src0=1 src1=1 src2=1
	v_add3_u32 v0 /*v256*/, v5 /*v261*/, v0 /*v256*/, v1 /*v257*/
	s_set_vgpr_msb 64                       ;  msbs: dst=1 src0=0 src1=0 src2=0
	v_mul_i32_i24_e32 v1 /*v257*/, v251, v230
	s_set_vgpr_msb 0                        ;  msbs: dst=0 src0=0 src1=0 src2=0
	v_add3_u32 v88, v88, v219, v225
	v_mul_i32_i24_e32 v219, v213, v149
	s_set_vgpr_msb 0x55                     ;  msbs: dst=1 src0=1 src1=1 src2=1
	v_add3_u32 v1 /*v257*/, v8 /*v264*/, v1 /*v257*/, v2 /*v258*/
	s_set_vgpr_msb 64                       ;  msbs: dst=1 src0=0 src1=0 src2=0
	v_bfe_u32 v2 /*v258*/, v89, 20, 4
	s_set_vgpr_msb 0                        ;  msbs: dst=0 src0=0 src1=0 src2=0
	v_add3_u32 v208, v215, v219, v208
	v_bfe_u32 v215, v91, 4, 4
	v_lshrrev_b32_e32 v219, 28, v91
	s_delay_alu instid0(VALU_DEP_2) | instskip(NEXT) | instid1(VALU_DEP_2)
	v_mul_i32_i24_e32 v221, v212, v215
	v_mul_i32_i24_e32 v225, v213, v219
	s_delay_alu instid0(VALU_DEP_1) | instskip(SKIP_2) | instid1(VALU_DEP_2)
	v_add3_u32 v216, v216, v225, v221
	v_bfe_u32 v221, v89, 4, 4
	v_lshrrev_b32_e32 v225, 28, v89
	v_mul_i32_i24_e32 v230, v212, v221
	s_delay_alu instid0(VALU_DEP_2) | instskip(NEXT) | instid1(VALU_DEP_1)
	v_mul_i32_i24_e32 v253, v213, v225
	v_add3_u32 v223, v223, v253, v230
	v_ashrrev_i32_e32 v230, 24, v99
	s_delay_alu instid0(VALU_DEP_1) | instskip(NEXT) | instid1(VALU_DEP_1)
	v_mul_i32_i24_e32 v253, v230, v149
	v_add3_u32 v124, v124, v253, v144
	v_mul_i32_i24_e32 v144, v125, v215
	v_mul_i32_i24_e32 v253, v230, v219
	s_delay_alu instid0(VALU_DEP_1) | instskip(SKIP_2) | instid1(VALU_DEP_1)
	v_add3_u32 v144, v227, v253, v144
	v_mul_i32_i24_e32 v227, v125, v221
	v_mul_i32_i24_e32 v253, v230, v225
	v_add3_u32 v227, v228, v253, v227
	v_mul_i32_i24_e32 v228, v123, v135
	v_mul_i32_i24_e32 v253, v224, v149
	s_delay_alu instid0(VALU_DEP_1) | instskip(SKIP_2) | instid1(VALU_DEP_1)
	v_add3_u32 v228, v97, v253, v228
	v_mul_i32_i24_e32 v97, v123, v215
	v_mul_i32_i24_e32 v253, v224, v219
	v_add3_u32 v138, v138, v253, v97
	v_mul_i32_i24_e32 v97, v123, v221
	v_mul_i32_i24_e32 v253, v224, v225
	s_delay_alu instid0(VALU_DEP_1) | instskip(SKIP_3) | instid1(VALU_DEP_2)
	v_add3_u32 v236, v236, v253, v97
	v_mul_i32_i24_e32 v97, v129, v207
	v_mul_i32_i24_e32 v129, v235, v234
	v_ashrrev_i32_e32 v235, 24, v115
	v_add3_u32 v128, v128, v129, v97
	v_bfe_i32 v129, v115, 0, 8
	s_delay_alu instid0(VALU_DEP_3) | instskip(NEXT) | instid1(VALU_DEP_2)
	v_mul_i32_i24_e32 v253, v235, v149
	v_mul_i32_i24_e32 v97, v129, v135
	s_delay_alu instid0(VALU_DEP_1) | instskip(SKIP_2) | instid1(VALU_DEP_1)
	v_add3_u32 v136, v136, v253, v97
	v_mul_i32_i24_e32 v97, v129, v215
	v_mul_i32_i24_e32 v253, v235, v219
	v_add3_u32 v239, v239, v253, v97
	v_mul_i32_i24_e32 v97, v129, v221
	v_mul_i32_i24_e32 v253, v235, v225
	s_delay_alu instid0(VALU_DEP_1) | instskip(SKIP_3) | instid1(VALU_DEP_2)
	v_add3_u32 v242, v242, v253, v97
	v_mul_i32_i24_e32 v97, v127, v207
	v_mul_i32_i24_e32 v127, v240, v234
	v_ashrrev_i32_e32 v240, 24, v117
	v_add3_u32 v126, v126, v127, v97
	v_bfe_i32 v127, v117, 0, 8
	s_delay_alu instid0(VALU_DEP_3) | instskip(NEXT) | instid1(VALU_DEP_2)
	v_mul_i32_i24_e32 v253, v240, v149
	v_mul_i32_i24_e32 v97, v127, v135
	s_delay_alu instid0(VALU_DEP_1) | instskip(SKIP_2) | instid1(VALU_DEP_1)
	v_add3_u32 v142, v142, v253, v97
	v_mul_i32_i24_e32 v97, v127, v215
	v_mul_i32_i24_e32 v253, v240, v219
	v_add3_u32 v244, v244, v253, v97
	v_mul_i32_i24_e32 v97, v127, v221
	v_mul_i32_i24_e32 v253, v240, v225
	s_delay_alu instid0(VALU_DEP_1) | instskip(SKIP_3) | instid1(VALU_DEP_2)
	v_add3_u32 v246, v246, v253, v97
	v_mul_i32_i24_e32 v97, v133, v207
	v_mul_i32_i24_e32 v133, v249, v234
	v_ashrrev_i32_e32 v249, 24, v119
	v_add3_u32 v132, v132, v133, v97
	v_bfe_i32 v133, v119, 0, 8
	s_delay_alu instid0(VALU_DEP_3) | instskip(SKIP_1) | instid1(VALU_DEP_3)
	v_mul_i32_i24_e32 v253, v249, v149
	v_mul_i32_i24_e32 v254, v249, v225
	;; [unrolled: 1-line block ×3, first 2 shown]
	s_delay_alu instid0(VALU_DEP_1) | instskip(SKIP_3) | instid1(VALU_DEP_1)
	v_add3_u32 v140, v140, v253, v97
	v_mul_i32_i24_e32 v97, v133, v215
	v_mul_i32_i24_e32 v253, v249, v219
	s_set_vgpr_msb 1                        ;  msbs: dst=0 src0=1 src1=0 src2=0
	v_add3_u32 v253, v0 /*v256*/, v253, v97
	s_set_vgpr_msb 0                        ;  msbs: dst=0 src0=0 src1=0 src2=0
	v_mul_i32_i24_e32 v97, v133, v221
	s_set_vgpr_msb 64                       ;  msbs: dst=1 src0=0 src1=0 src2=0
	v_bfe_u32 v0 /*v256*/, v91, 20, 4
	s_set_vgpr_msb 1                        ;  msbs: dst=0 src0=1 src1=0 src2=0
	s_delay_alu instid0(VALU_DEP_2)
	v_add3_u32 v254, v1 /*v257*/, v254, v97
	s_set_vgpr_msb 0                        ;  msbs: dst=0 src0=0 src1=0 src2=0
	v_mul_i32_i24_e32 v97, v131, v207
	v_mul_i32_i24_e32 v131, v250, v234
	v_bfe_i32 v234, v83, 8, 8
	s_set_vgpr_msb 64                       ;  msbs: dst=1 src0=0 src1=0 src2=0
	v_bfe_u32 v1 /*v257*/, v89, 12, 4
	s_set_vgpr_msb 0                        ;  msbs: dst=0 src0=0 src1=0 src2=0
	v_bfe_i32 v207, v115, 8, 8
	v_add3_u32 v112, v112, v131, v97
	s_set_vgpr_msb 4                        ;  msbs: dst=0 src0=0 src1=1 src2=0
	v_mul_i32_i24_e32 v97, v146, v13 /*v269*/
	s_set_vgpr_msb 0                        ;  msbs: dst=0 src0=0 src1=0 src2=0
	v_mul_i32_i24_e32 v131, v85, v222
	s_delay_alu instid0(VALU_DEP_1)
	v_add3_u32 v131, v90, v131, v97
	s_set_vgpr_msb 4                        ;  msbs: dst=0 src0=0 src1=1 src2=0
	v_mul_i32_i24_e32 v90, v146, v16 /*v272*/
	s_set_vgpr_msb 0                        ;  msbs: dst=0 src0=0 src1=0 src2=0
	v_mul_i32_i24_e32 v97, v85, v233
	v_mul_i32_i24_e32 v85, v85, v116
	s_delay_alu instid0(VALU_DEP_2) | instskip(SKIP_3) | instid1(VALU_DEP_2)
	v_add3_u32 v222, v88, v97, v90
	v_mul_i32_i24_e32 v88, v252, v135
	v_mul_i32_i24_e32 v90, v113, v149
	v_bfe_i32 v97, v109, 16, 8
	v_add3_u32 v90, v86, v90, v88
	v_mul_i32_i24_e32 v86, v252, v215
	v_mul_i32_i24_e32 v88, v113, v219
	s_delay_alu instid0(VALU_DEP_1) | instskip(SKIP_4) | instid1(VALU_DEP_3)
	v_add3_u32 v233, v210, v88, v86
	v_mul_i32_i24_e32 v86, v252, v221
	v_mul_i32_i24_e32 v88, v113, v225
	v_bfe_u32 v252, v91, 12, 4
	v_bfe_i32 v210, v119, 16, 8
	v_add3_u32 v113, v121, v88, v86
	v_bfe_i32 v121, v83, 0, 8
	s_delay_alu instid0(VALU_DEP_1) | instskip(SKIP_1) | instid1(VALU_DEP_1)
	v_mul_i32_i24_e32 v86, v121, v135
	v_bfe_u32 v135, v87, 12, 4
	v_mul_i32_i24_e32 v88, v234, v135
	s_delay_alu instid0(VALU_DEP_1)
	v_add3_u32 v250, v209, v86, v88
	v_mul_i32_i24_e32 v86, v145, v118
	v_mul_i32_i24_e32 v88, v211, v111
	v_bfe_u32 v145, v87, 20, 4
	v_bfe_i32 v87, v93, 16, 8
	v_bfe_i32 v209, v117, 16, 8
	s_delay_alu instid0(VALU_DEP_4) | instskip(SKIP_1) | instid1(VALU_DEP_4)
	v_add3_u32 v130, v130, v88, v86
	v_bfe_i32 v86, v93, 8, 8
	v_mul_i32_i24_e32 v93, v87, v145
	s_set_vgpr_msb 4                        ;  msbs: dst=0 src0=0 src1=1 src2=0
	v_mul_i32_i24_e32 v91, v87, v0 /*v256*/
	v_mul_i32_i24_e32 v89, v87, v2 /*v258*/
	s_set_vgpr_msb 0                        ;  msbs: dst=0 src0=0 src1=0 src2=0
	v_mul_i32_i24_e32 v87, v87, v206
	v_mul_i32_i24_e32 v88, v86, v135
	s_delay_alu instid0(VALU_DEP_1) | instskip(SKIP_2) | instid1(VALU_DEP_2)
	v_add3_u32 v211, v208, v88, v93
	v_mul_i32_i24_e32 v88, v86, v252
	v_bfe_i32 v208, v115, 16, 8
	v_add3_u32 v216, v216, v88, v91
	s_set_vgpr_msb 4                        ;  msbs: dst=0 src0=0 src1=1 src2=0
	v_mul_i32_i24_e32 v88, v86, v1 /*v257*/
	s_set_vgpr_msb 0                        ;  msbs: dst=0 src0=0 src1=0 src2=0
	v_mul_i32_i24_e32 v115, v208, v145
	v_mul_i32_i24_e32 v86, v86, v108
	s_delay_alu instid0(VALU_DEP_3) | instskip(SKIP_2) | instid1(VALU_DEP_1)
	v_add3_u32 v223, v223, v88, v89
	v_mul_i32_i24_e32 v88, v226, v247
	v_mul_i32_i24_e32 v89, v220, v111
	v_add3_u32 v220, v120, v88, v89
	v_bfe_i32 v88, v99, 8, 8
	v_bfe_i32 v89, v99, 16, 8
	s_set_vgpr_msb 4                        ;  msbs: dst=0 src0=0 src1=1 src2=0
	v_mul_i32_i24_e32 v120, v97, v0 /*v256*/
	s_set_vgpr_msb 0                        ;  msbs: dst=0 src0=0 src1=0 src2=0
	v_mul_i32_i24_e32 v91, v88, v135
	v_mul_i32_i24_e32 v93, v89, v145
	s_delay_alu instid0(VALU_DEP_1)
	v_add3_u32 v99, v124, v91, v93
	v_mul_i32_i24_e32 v91, v88, v252
	s_set_vgpr_msb 4                        ;  msbs: dst=0 src0=0 src1=1 src2=0
	v_mul_i32_i24_e32 v93, v89, v0 /*v256*/
	v_mul_i32_i24_e32 v124, v209, v0 /*v256*/
	s_set_vgpr_msb 0                        ;  msbs: dst=0 src0=0 src1=0 src2=0
	s_delay_alu instid0(VALU_DEP_2) | instskip(SKIP_4) | instid1(VALU_DEP_1)
	v_add3_u32 v144, v144, v91, v93
	s_set_vgpr_msb 4                        ;  msbs: dst=0 src0=0 src1=1 src2=0
	v_mul_i32_i24_e32 v91, v88, v1 /*v257*/
	v_mul_i32_i24_e32 v93, v89, v2 /*v258*/
	s_set_vgpr_msb 0                        ;  msbs: dst=0 src0=0 src1=0 src2=0
	v_add3_u32 v226, v227, v91, v93
	s_set_vgpr_msb 1                        ;  msbs: dst=0 src0=1 src1=0 src2=0
	v_mul_i32_i24_e32 v91, v17 /*v273*/, v247
	s_set_vgpr_msb 0                        ;  msbs: dst=0 src0=0 src1=0 src2=0
	v_mul_i32_i24_e32 v93, v139, v111
	v_bfe_i32 v139, v104, 8, 8
	s_delay_alu instid0(VALU_DEP_2) | instskip(SKIP_2) | instid1(VALU_DEP_2)
	v_add3_u32 v122, v122, v91, v93
	v_bfe_i32 v93, v109, 8, 8
	v_mul_i32_i24_e32 v109, v97, v145
	v_mul_i32_i24_e32 v91, v93, v135
	s_delay_alu instid0(VALU_DEP_1) | instskip(SKIP_1) | instid1(VALU_DEP_1)
	v_add3_u32 v109, v228, v91, v109
	v_mul_i32_i24_e32 v91, v93, v252
	v_add3_u32 v227, v138, v91, v120
	s_set_vgpr_msb 4                        ;  msbs: dst=0 src0=0 src1=1 src2=0
	v_mul_i32_i24_e32 v91, v93, v1 /*v257*/
	v_mul_i32_i24_e32 v120, v97, v2 /*v258*/
	v_bfe_i32 v138, v94, 0, 8
	s_set_vgpr_msb 0                        ;  msbs: dst=0 src0=0 src1=0 src2=0
	s_delay_alu instid0(VALU_DEP_2)
	v_add3_u32 v228, v236, v91, v120
	v_mul_i32_i24_e32 v91, v137, v247
	s_set_vgpr_msb 4                        ;  msbs: dst=0 src0=0 src1=1 src2=0
	v_mul_i32_i24_e32 v120, v208, v0 /*v256*/
	v_bfe_i32 v137, v94, 8, 8
	s_set_vgpr_msb 0                        ;  msbs: dst=0 src0=0 src1=0 src2=0
	v_add3_u32 v98, v128, v91, v98
	v_mul_i32_i24_e32 v91, v207, v135
	s_delay_alu instid0(VALU_DEP_1) | instskip(SKIP_4) | instid1(VALU_DEP_2)
	v_add3_u32 v115, v136, v91, v115
	v_mul_i32_i24_e32 v91, v207, v252
	s_set_vgpr_msb 4                        ;  msbs: dst=0 src0=0 src1=1 src2=0
	v_mul_i32_i24_e32 v136, v210, v0 /*v256*/
	s_set_vgpr_msb 0                        ;  msbs: dst=0 src0=0 src1=0 src2=0
	v_add3_u32 v128, v239, v91, v120
	s_set_vgpr_msb 4                        ;  msbs: dst=0 src0=0 src1=1 src2=0
	v_mul_i32_i24_e32 v91, v207, v1 /*v257*/
	v_mul_i32_i24_e32 v120, v208, v2 /*v258*/
	s_set_vgpr_msb 0                        ;  msbs: dst=0 src0=0 src1=0 src2=0
	s_delay_alu instid0(VALU_DEP_1) | instskip(SKIP_3) | instid1(VALU_DEP_2)
	v_add3_u32 v236, v242, v91, v120
	v_mul_i32_i24_e32 v91, v238, v247
	v_mul_i32_i24_e32 v120, v143, v111
	v_bfe_i32 v143, v106, 8, 8
	v_add3_u32 v126, v126, v91, v120
	v_bfe_i32 v120, v117, 8, 8
	v_mul_i32_i24_e32 v117, v209, v145
	s_delay_alu instid0(VALU_DEP_2) | instskip(NEXT) | instid1(VALU_DEP_1)
	v_mul_i32_i24_e32 v91, v120, v135
	v_add3_u32 v117, v142, v91, v117
	v_mul_i32_i24_e32 v91, v120, v252
	v_bfe_i32 v142, v96, 0, 8
	s_delay_alu instid0(VALU_DEP_2)
	v_add3_u32 v238, v244, v91, v124
	s_set_vgpr_msb 4                        ;  msbs: dst=0 src0=0 src1=1 src2=0
	v_mul_i32_i24_e32 v91, v120, v1 /*v257*/
	v_mul_i32_i24_e32 v124, v209, v2 /*v258*/
	s_set_vgpr_msb 0                        ;  msbs: dst=0 src0=0 src1=0 src2=0
	v_mul_i32_i24_e32 v120, v120, v108
	s_delay_alu instid0(VALU_DEP_2) | instskip(SKIP_3) | instid1(VALU_DEP_2)
	v_add3_u32 v239, v246, v91, v124
	v_mul_i32_i24_e32 v91, v245, v247
	v_mul_i32_i24_e32 v124, v141, v111
	v_bfe_i32 v141, v96, 8, 8
	v_add3_u32 v132, v132, v91, v124
	v_bfe_i32 v124, v119, 8, 8
	v_mul_i32_i24_e32 v119, v210, v145
	s_delay_alu instid0(VALU_DEP_2) | instskip(NEXT) | instid1(VALU_DEP_1)
	v_mul_i32_i24_e32 v91, v124, v135
	v_add3_u32 v119, v140, v91, v119
	v_mul_i32_i24_e32 v91, v124, v252
	v_bfe_i32 v140, v104, 0, 8
	s_delay_alu instid0(VALU_DEP_2)
	v_add3_u32 v242, v253, v91, v136
	s_set_vgpr_msb 4                        ;  msbs: dst=0 src0=0 src1=1 src2=0
	v_mul_i32_i24_e32 v91, v124, v1 /*v257*/
	v_mul_i32_i24_e32 v136, v210, v2 /*v258*/
	s_set_vgpr_msb 0                        ;  msbs: dst=0 src0=0 src1=0 src2=0
	v_mul_i32_i24_e32 v124, v124, v108
	s_delay_alu instid0(VALU_DEP_2) | instskip(SKIP_4) | instid1(VALU_DEP_3)
	v_add3_u32 v244, v254, v91, v136
	v_mul_i32_i24_e32 v91, v147, v111
	v_mul_i32_i24_e32 v111, v255, v247
	;; [unrolled: 1-line block ×3, first 2 shown]
	v_bfe_i32 v147, v100, 0, 8
	v_add3_u32 v111, v112, v111, v91
	v_mul_i32_i24_e32 v91, v231, v135
	v_mul_i32_i24_e32 v112, v248, v145
	s_delay_alu instid0(VALU_DEP_1) | instskip(SKIP_4) | instid1(VALU_DEP_1)
	v_add3_u32 v112, v90, v91, v112
	v_mul_i32_i24_e32 v90, v231, v252
	s_set_vgpr_msb 4                        ;  msbs: dst=0 src0=0 src1=1 src2=0
	v_mul_i32_i24_e32 v91, v248, v0 /*v256*/
	s_set_vgpr_msb 0                        ;  msbs: dst=0 src0=0 src1=0 src2=0
	v_add3_u32 v233, v233, v90, v91
	s_set_vgpr_msb 4                        ;  msbs: dst=0 src0=0 src1=1 src2=0
	v_mul_i32_i24_e32 v90, v231, v1 /*v257*/
	v_mul_i32_i24_e32 v91, v248, v2 /*v258*/
	s_set_vgpr_msb 0                        ;  msbs: dst=0 src0=0 src1=0 src2=0
	s_delay_alu instid0(VALU_DEP_1) | instskip(SKIP_2) | instid1(VALU_DEP_2)
	v_add3_u32 v113, v113, v90, v91
	v_bfe_i32 v90, v83, 16, 8
	v_ashrrev_i32_e32 v91, 24, v83
	v_mul_i32_i24_e32 v83, v90, v145
	s_delay_alu instid0(VALU_DEP_2) | instskip(NEXT) | instid1(VALU_DEP_1)
	v_mul_i32_i24_e32 v135, v91, v149
	v_add3_u32 v83, v250, v83, v135
	v_mul_i32_i24_e32 v135, v121, v215
	s_delay_alu instid0(VALU_DEP_1) | instskip(SKIP_4) | instid1(VALU_DEP_1)
	v_add3_u32 v131, v131, v135, v136
	v_mul_i32_i24_e32 v135, v121, v221
	s_set_vgpr_msb 4                        ;  msbs: dst=0 src0=0 src1=1 src2=0
	v_mul_i32_i24_e32 v136, v234, v1 /*v257*/
	s_set_vgpr_msb 0                        ;  msbs: dst=0 src0=0 src1=0 src2=0
	v_add3_u32 v145, v222, v135, v136
	v_mul_i32_i24_e32 v135, v146, v247
	v_bfe_i32 v136, v102, 0, 8
	v_bfe_i32 v146, v100, 8, 8
	s_delay_alu instid0(VALU_DEP_3) | instskip(SKIP_2) | instid1(VALU_DEP_2)
	v_add3_u32 v130, v130, v85, v135
	v_mul_i32_i24_e32 v85, v214, v118
	v_bfe_i32 v135, v102, 8, 8
	v_add3_u32 v149, v220, v85, v95
	v_mul_i32_i24_e32 v85, v136, v200
	s_delay_alu instid0(VALU_DEP_3) | instskip(NEXT) | instid1(VALU_DEP_1)
	v_mul_i32_i24_e32 v95, v135, v201
	v_add3_u32 v214, v99, v85, v95
	v_mul_i32_i24_e32 v85, v138, v200
	v_mul_i32_i24_e32 v95, v137, v201
	;; [unrolled: 1-line block ×3, first 2 shown]
	s_delay_alu instid0(VALU_DEP_2) | instskip(SKIP_2) | instid1(VALU_DEP_1)
	v_add3_u32 v211, v211, v85, v95
	v_mul_i32_i24_e32 v85, v136, v204
	v_mul_i32_i24_e32 v95, v135, v205
	v_add3_u32 v215, v144, v85, v95
	v_mul_i32_i24_e32 v85, v138, v204
	v_mul_i32_i24_e32 v95, v137, v205
	v_bfe_i32 v144, v106, 0, 8
	s_delay_alu instid0(VALU_DEP_2) | instskip(SKIP_2) | instid1(VALU_DEP_1)
	v_add3_u32 v216, v216, v85, v95
	v_mul_i32_i24_e32 v85, v136, v202
	v_mul_i32_i24_e32 v95, v135, v203
	v_add3_u32 v220, v226, v85, v95
	v_mul_i32_i24_e32 v85, v138, v202
	v_mul_i32_i24_e32 v95, v137, v203
	s_delay_alu instid0(VALU_DEP_1) | instskip(SKIP_2) | instid1(VALU_DEP_1)
	v_add3_u32 v221, v223, v85, v95
	v_mul_i32_i24_e32 v85, v218, v118
	v_mul_i32_i24_e32 v95, v103, v116
	v_add3_u32 v103, v122, v85, v95
	v_mul_i32_i24_e32 v85, v229, v118
	v_mul_i32_i24_e32 v95, v232, v116
	s_delay_alu instid0(VALU_DEP_1) | instskip(SKIP_3) | instid1(VALU_DEP_2)
	v_add3_u32 v122, v98, v85, v95
	v_mul_i32_i24_e32 v85, v140, v200
	v_mul_i32_i24_e32 v95, v139, v201
	;; [unrolled: 1-line block ×3, first 2 shown]
	v_add3_u32 v115, v115, v85, v95
	v_mul_i32_i24_e32 v85, v142, v200
	v_mul_i32_i24_e32 v95, v141, v201
	s_delay_alu instid0(VALU_DEP_1) | instskip(SKIP_2) | instid1(VALU_DEP_1)
	v_add3_u32 v218, v109, v85, v95
	v_mul_i32_i24_e32 v85, v140, v204
	v_mul_i32_i24_e32 v95, v139, v205
	v_add3_u32 v128, v128, v85, v95
	v_mul_i32_i24_e32 v85, v142, v204
	v_mul_i32_i24_e32 v95, v141, v205
	s_delay_alu instid0(VALU_DEP_1) | instskip(SKIP_2) | instid1(VALU_DEP_1)
	v_add3_u32 v222, v227, v85, v95
	v_mul_i32_i24_e32 v85, v140, v202
	v_mul_i32_i24_e32 v95, v139, v203
	;; [unrolled: 7-line block ×3, first 2 shown]
	v_add3_u32 v126, v126, v85, v95
	v_mul_i32_i24_e32 v85, v243, v118
	v_mul_i32_i24_e32 v95, v101, v116
	;; [unrolled: 1-line block ×3, first 2 shown]
	s_delay_alu instid0(VALU_DEP_2) | instskip(SKIP_2) | instid1(VALU_DEP_1)
	v_add3_u32 v132, v132, v85, v95
	v_mul_i32_i24_e32 v85, v144, v200
	v_mul_i32_i24_e32 v95, v143, v201
	v_add3_u32 v227, v119, v85, v95
	v_mul_i32_i24_e32 v85, v147, v200
	v_mul_i32_i24_e32 v95, v146, v201
	s_delay_alu instid0(VALU_DEP_1) | instskip(SKIP_2) | instid1(VALU_DEP_1)
	v_add3_u32 v119, v117, v85, v95
	v_mul_i32_i24_e32 v85, v144, v204
	v_mul_i32_i24_e32 v95, v143, v205
	v_add3_u32 v228, v242, v85, v95
	v_mul_i32_i24_e32 v85, v147, v204
	v_mul_i32_i24_e32 v95, v146, v205
	s_delay_alu instid0(VALU_DEP_1) | instskip(SKIP_3) | instid1(VALU_DEP_2)
	v_add3_u32 v229, v238, v85, v95
	v_mul_i32_i24_e32 v85, v144, v202
	v_mul_i32_i24_e32 v95, v143, v203
	;; [unrolled: 1-line block ×3, first 2 shown]
	v_add3_u32 v231, v244, v85, v95
	v_mul_i32_i24_e32 v85, v147, v202
	v_mul_i32_i24_e32 v95, v146, v203
	v_bfe_i32 v202, v102, 16, 8
	s_delay_alu instid0(VALU_DEP_2) | instskip(SKIP_2) | instid1(VALU_DEP_1)
	v_add3_u32 v232, v239, v85, v95
	v_mul_i32_i24_e32 v85, v251, v118
	v_mul_i32_i24_e32 v95, v107, v116
	v_add3_u32 v236, v111, v85, v95
	v_mul_i32_i24_e32 v85, v148, v201
	v_mul_i32_i24_e32 v95, v114, v200
	v_bfe_i32 v200, v94, 16, 8
	v_ashrrev_i32_e32 v94, 24, v94
	v_ashrrev_i32_e32 v201, 24, v102
	s_delay_alu instid0(VALU_DEP_4)
	v_add3_u32 v237, v112, v95, v85
	v_mul_i32_i24_e32 v85, v148, v205
	v_mul_i32_i24_e32 v95, v114, v204
	;; [unrolled: 1-line block ×4, first 2 shown]
	v_bfe_i32 v204, v96, 16, 8
	v_ashrrev_i32_e32 v205, 24, v104
	v_add3_u32 v233, v233, v95, v85
	s_set_vgpr_msb 4                        ;  msbs: dst=0 src0=0 src1=1 src2=0
	v_mul_i32_i24_e32 v85, v90, v0 /*v256*/
	s_set_vgpr_msb 0                        ;  msbs: dst=0 src0=0 src1=0 src2=0
	v_mul_i32_i24_e32 v95, v91, v219
	s_delay_alu instid0(VALU_DEP_1) | instskip(SKIP_3) | instid1(VALU_DEP_3)
	v_add3_u32 v85, v131, v85, v95
	v_mul_i32_i24_e32 v95, v148, v203
	v_ashrrev_i32_e32 v203, 24, v96
	v_mul_i32_i24_e32 v96, v204, v161
	v_add3_u32 v131, v113, v98, v95
	s_set_vgpr_msb 4                        ;  msbs: dst=0 src0=0 src1=1 src2=0
	v_mul_i32_i24_e32 v95, v90, v2 /*v258*/
	s_set_vgpr_msb 0                        ;  msbs: dst=0 src0=0 src1=0 src2=0
	v_mul_i32_i24_e32 v98, v91, v225
	v_mul_i32_i24_e32 v91, v91, v92
	;; [unrolled: 1-line block ×3, first 2 shown]
	s_delay_alu instid0(VALU_DEP_3) | instskip(SKIP_1) | instid1(VALU_DEP_1)
	v_add3_u32 v95, v145, v95, v98
	v_mul_i32_i24_e32 v98, v121, v241
	v_add3_u32 v99, v130, v98, v99
	v_mul_i32_i24_e32 v98, v212, v241
	s_delay_alu instid0(VALU_DEP_1)
	v_add3_u32 v98, v149, v101, v98
	v_mul_i32_i24_e32 v101, v200, v161
	ds_load_2addr_b32 v[148:149], v151 offset1:32
	v_ashrrev_i32_e32 v213, 24, v100
	v_add3_u32 v105, v211, v101, v105
	v_mul_i32_i24_e32 v101, v202, v161
	v_bfe_i32 v211, v104, 16, 8
	s_delay_alu instid0(VALU_DEP_2) | instskip(SKIP_4) | instid1(VALU_DEP_3)
	v_add3_u32 v107, v214, v101, v102
	v_mul_i32_i24_e32 v101, v200, v163
	v_mul_i32_i24_e32 v102, v199, v94
	v_bfe_i32 v214, v100, 16, 8
	v_mul_i32_i24_e32 v100, v162, v213
	v_add3_u32 v109, v216, v101, v102
	v_mul_i32_i24_e32 v101, v202, v163
	v_mul_i32_i24_e32 v102, v199, v201
	v_bfe_i32 v216, v106, 16, 8
	s_delay_alu instid0(VALU_DEP_2) | instskip(SKIP_3) | instid1(VALU_DEP_2)
	v_add3_u32 v111, v215, v101, v102
	v_mul_i32_i24_e32 v101, v200, v197
	v_mul_i32_i24_e32 v102, v198, v94
	v_ashrrev_i32_e32 v215, 24, v106
	v_add3_u32 v112, v221, v101, v102
	v_mul_i32_i24_e32 v101, v202, v197
	v_mul_i32_i24_e32 v102, v198, v201
	s_delay_alu instid0(VALU_DEP_3) | instskip(NEXT) | instid1(VALU_DEP_2)
	v_cvt_f32_i32_e32 v112, v112
	v_add3_u32 v113, v220, v101, v102
	v_mul_i32_i24_e32 v101, v125, v241
	v_mul_i32_i24_e32 v102, v230, v92
	s_delay_alu instid0(VALU_DEP_3) | instskip(NEXT) | instid1(VALU_DEP_2)
	v_cvt_f32_i32_e32 v113, v113
	v_add3_u32 v102, v103, v102, v101
	v_mul_i32_i24_e32 v101, v123, v241
	v_mul_i32_i24_e32 v103, v224, v92
	s_delay_alu instid0(VALU_DEP_1) | instskip(SKIP_1) | instid1(VALU_DEP_1)
	v_add3_u32 v101, v122, v103, v101
	v_mul_i32_i24_e32 v103, v162, v203
	v_add3_u32 v114, v218, v96, v103
	v_mul_i32_i24_e32 v96, v211, v161
	v_mul_i32_i24_e32 v103, v162, v205
	s_delay_alu instid0(VALU_DEP_1) | instskip(SKIP_2) | instid1(VALU_DEP_1)
	v_add3_u32 v104, v115, v96, v103
	v_mul_i32_i24_e32 v96, v204, v163
	v_mul_i32_i24_e32 v103, v199, v203
	v_add3_u32 v115, v222, v96, v103
	v_mul_i32_i24_e32 v96, v211, v163
	v_mul_i32_i24_e32 v103, v199, v205
	s_delay_alu instid0(VALU_DEP_1) | instskip(SKIP_2) | instid1(VALU_DEP_1)
	v_add3_u32 v116, v128, v96, v103
	v_mul_i32_i24_e32 v96, v204, v197
	;; [unrolled: 7-line block ×3, first 2 shown]
	v_mul_i32_i24_e32 v103, v235, v92
	v_add3_u32 v212, v126, v103, v96
	v_mul_i32_i24_e32 v96, v127, v241
	v_mul_i32_i24_e32 v103, v240, v92
	s_delay_alu instid0(VALU_DEP_1) | instskip(SKIP_4) | instid1(VALU_DEP_4)
	v_add3_u32 v130, v132, v103, v96
	v_mul_i32_i24_e32 v96, v214, v161
	v_add3_u32 v132, v98, v86, v87
	v_mul_i32_i24_e32 v86, v89, v206
	v_mul_i32_i24_e32 v87, v88, v108
	v_add3_u32 v119, v119, v96, v100
	v_mul_i32_i24_e32 v96, v216, v161
	v_mul_i32_i24_e32 v100, v162, v215
	s_delay_alu instid0(VALU_DEP_1) | instskip(SKIP_2) | instid1(VALU_DEP_1)
	v_add3_u32 v106, v227, v96, v100
	v_mul_i32_i24_e32 v96, v214, v163
	v_mul_i32_i24_e32 v100, v199, v213
	v_add3_u32 v121, v229, v96, v100
	v_mul_i32_i24_e32 v96, v216, v163
	v_mul_i32_i24_e32 v100, v199, v215
	s_delay_alu instid0(VALU_DEP_1) | instskip(SKIP_2) | instid1(VALU_DEP_1)
	v_add3_u32 v122, v228, v96, v100
	v_mul_i32_i24_e32 v96, v214, v197
	v_mul_i32_i24_e32 v100, v198, v213
	v_add3_u32 v123, v232, v96, v100
	v_mul_i32_i24_e32 v96, v216, v197
	v_mul_i32_i24_e32 v100, v198, v215
	s_delay_alu instid0(VALU_DEP_1)
	v_add3_u32 v125, v231, v96, v100
	v_mul_i32_i24_e32 v96, v133, v241
	v_mul_i32_i24_e32 v100, v249, v92
	v_add3_u32 v133, v102, v87, v86
	v_mul_i32_i24_e32 v86, v97, v206
	v_mul_i32_i24_e32 v87, v93, v108
	s_delay_alu instid0(VALU_DEP_4) | instskip(SKIP_2) | instid1(VALU_DEP_1)
	v_add3_u32 v129, v236, v100, v96
	v_mul_i32_i24_e32 v96, v134, v161
	v_mul_i32_i24_e32 v100, v217, v162
	v_add3_u32 v126, v237, v96, v100
	v_mul_i32_i24_e32 v96, v134, v163
	v_mul_i32_i24_e32 v100, v217, v199
	ds_load_2addr_b32 v[162:163], v151 offset0:64 offset1:96
	s_wait_dscnt 0x1
	v_lshrrev_b32_e32 v102, 16, v148
	v_mul_i32_i24_e32 v199, v135, v158
	v_mul_i32_i24_e32 v135, v216, v157
	v_add3_u32 v127, v233, v96, v100
	v_mul_i32_i24_e32 v96, v134, v197
	v_mul_i32_i24_e32 v100, v217, v198
	v_add3_u32 v134, v101, v87, v86
	v_mul_i32_i24_e32 v198, v137, v158
	v_mul_i32_i24_e32 v197, v139, v158
	v_mul_i32_i24_e32 v139, v202, v157
	v_add3_u32 v128, v131, v96, v100
	v_add3_u32 v131, v99, v90, v91
	ds_load_2addr_b32 v[98:99], v151 offset0:128 offset1:160
	ds_load_2addr_b32 v[96:97], v151 offset0:192 offset1:224
	v_cvt_f32_f16_e64 v91, v149
	v_cvt_f32_f16_e64 v90, v148
	v_lshrrev_b32_e32 v100, 16, v149
	v_mul_i32_i24_e32 v137, v211, v157
	v_cvt_f32_i32_e32 v202, v131
	s_wait_dscnt 0x2
	v_dual_lshrrev_b32 v101, 16, v163 :: v_dual_lshrrev_b32 v103, 16, v162
	v_cvt_f32_f16_e64 v87, v163
	v_cvt_f32_f16_e64 v86, v162
	v_mul_i32_i24_e32 v163, v141, v158
	v_mul_i32_i24_e32 v162, v143, v158
	;; [unrolled: 1-line block ×5, first 2 shown]
	v_add_nc_u32_e32 v151, 4, v151
	s_wait_dscnt 0x1
	v_dual_lshrrev_b32 v145, 16, v99 :: v_dual_lshrrev_b32 v148, 16, v98
	s_wait_dscnt 0x0
	v_dual_lshrrev_b32 v149, 16, v97 :: v_dual_lshrrev_b32 v161, 16, v96
	v_cvt_f32_f16_e32 v89, v99
	v_cvt_f32_f16_e32 v88, v98
	;; [unrolled: 1-line block ×8, first 2 shown]
	v_cvt_f32_f16_e64 v101, v145
	v_cvt_f32_f16_e64 v100, v148
	;; [unrolled: 1-line block ×4, first 2 shown]
	v_mul_i32_i24_e32 v149, v138, v159
	v_mul_i32_i24_e32 v161, v136, v159
	;; [unrolled: 1-line block ×16, first 2 shown]
	v_pk_mul_f32 v[98:99], v[98:99], s[12:13] op_sel_hi:[1,0]
	v_pk_mul_f32 v[100:101], v[100:101], s[12:13] op_sel_hi:[1,0]
	;; [unrolled: 1-line block ×3, first 2 shown]
	v_add3_u32 v160, v212, v160, v94
	ds_load_b32 v94, v154
	v_add3_u32 v130, v130, v120, v201
	v_cvt_f32_i32_e32 v108, v83
	v_add3_u32 v83, v129, v124, v200
	v_cvt_f32_i32_e32 v201, v107
	v_cvt_f32_i32_e32 v200, v105
	;; [unrolled: 1-line block ×20, first 2 shown]
	v_pk_fma_f32 v[122:123], v[86:87], v[200:201], v[98:99] neg_lo:[0,0,1] neg_hi:[0,0,1]
	v_pk_fma_f32 v[124:125], v[86:87], v[204:205], v[98:99] neg_lo:[0,0,1] neg_hi:[0,0,1]
	v_pk_fma_f32 v[112:113], v[86:87], v[112:113], v[98:99] neg_lo:[0,0,1] neg_hi:[0,0,1]
	v_add3_u32 v85, v133, v161, v199
	v_add3_u32 v95, v132, v149, v198
	v_pk_fma_f32 v[104:105], v[88:89], v[104:105], v[100:101] neg_lo:[0,0,1] neg_hi:[0,0,1]
	v_add3_u32 v128, v160, v148, v197
	v_add3_u32 v129, v134, v145, v163
	v_pk_fma_f32 v[106:107], v[92:93], v[106:107], v[102:103] neg_lo:[0,0,1] neg_hi:[0,0,1]
	v_add3_u32 v83, v83, v144, v162
	v_add3_u32 v130, v130, v140, v159
	v_pk_mul_f32 v[96:97], v[96:97], s[12:13] op_sel_hi:[1,0]
	v_cvt_f32_i32_e32 v109, v126
	v_cvt_f32_i32_e32 v111, v127
	v_pk_fma_f32 v[28:29], v[82:83], v[122:123], v[28:29] op_sel_hi:[0,1,1]
	v_pk_fma_f32 v[22:23], v[84:85], v[124:125], v[22:23] op_sel_hi:[0,1,1]
	s_wait_dscnt 0x0
	v_pk_fma_f32 v[18:19], v[94:95], v[112:113], v[18:19] op_sel_hi:[0,1,1]
	v_add3_u32 v95, v95, v143, v157
	v_add3_u32 v85, v85, v139, v158
	v_pk_fma_f32 v[14:15], v[82:83], v[104:105], v[14:15] op_sel_hi:[0,1,1]
	v_add3_u32 v104, v129, v138, v146
	v_add3_u32 v105, v128, v137, v147
	;; [unrolled: 3-line block ×3, first 2 shown]
	v_pk_fma_f32 v[126:127], v[88:89], v[206:207], v[100:101] neg_lo:[0,0,1] neg_hi:[0,0,1]
	v_pk_fma_f32 v[116:117], v[92:93], v[116:117], v[102:103] neg_lo:[0,0,1] neg_hi:[0,0,1]
	;; [unrolled: 1-line block ×6, first 2 shown]
	v_cvt_f32_i32_e32 v97, v85
	v_cvt_f32_i32_e32 v96, v95
	;; [unrolled: 1-line block ×6, first 2 shown]
	v_pk_fma_f32 v[114:115], v[88:89], v[114:115], v[100:101] neg_lo:[0,0,1] neg_hi:[0,0,1]
	v_pk_fma_f32 v[118:119], v[92:93], v[118:119], v[102:103] neg_lo:[0,0,1] neg_hi:[0,0,1]
	v_pk_fma_f32 v[12:13], v[84:85], v[126:127], v[12:13] op_sel_hi:[0,1,1]
	v_pk_fma_f32 v[4:5], v[84:85], v[116:117], v[4:5] op_sel_hi:[0,1,1]
	v_pk_fma_f32 v[36:37], v[82:83], v[108:109], v[36:37] op_sel_hi:[0,1,1]
	v_pk_fma_f32 v[34:35], v[84:85], v[110:111], v[34:35] op_sel_hi:[0,1,1]
	v_pk_fma_f32 v[82:83], v[86:87], v[96:97], v[98:99] neg_lo:[0,0,1] neg_hi:[0,0,1]
	v_pk_fma_f32 v[84:85], v[88:89], v[104:105], v[100:101] neg_lo:[0,0,1] neg_hi:[0,0,1]
	v_pk_fma_f32 v[86:87], v[92:93], v[106:107], v[102:103] neg_lo:[0,0,1] neg_hi:[0,0,1]
	v_add_nc_u32_e32 v154, 4, v154
	v_pk_fma_f32 v[10:11], v[94:95], v[114:115], v[10:11] op_sel_hi:[0,1,1]
	v_pk_fma_f32 v[2:3], v[94:95], v[118:119], v[2:3] op_sel_hi:[0,1,1]
	;; [unrolled: 1-line block ×7, first 2 shown]
	s_cbranch_scc1 .LBB157_9
; %bb.10:                               ;   in Loop: Header=BB157_7 Depth=1
	s_and_b32 s14, s16, -4
	s_delay_alu instid0(SALU_CYCLE_1)
	s_cmp_eq_u32 s14, 4
	s_barrier_signal -1
	s_barrier_wait -1
	s_cbranch_scc1 .LBB157_6
; %bb.11:                               ;   in Loop: Header=BB157_7 Depth=1
	v_dual_add_nc_u32 v80, s10, v171 :: v_dual_add_nc_u32 v96, 4, v81
	v_dual_mov_b32 v197, v195 :: v_dual_mov_b32 v198, v188
	v_dual_mov_b32 v199, v192 :: v_dual_mov_b32 v200, v191
	s_delay_alu instid0(VALU_DEP_3) | instskip(SKIP_3) | instid1(VALU_DEP_4)
	v_dual_add_nc_u32 v86, v80, v165 :: v_dual_add_nc_u32 v81, v80, v170
	v_dual_add_nc_u32 v82, v80, v79 :: v_dual_add_nc_u32 v84, v80, v164
	;; [unrolled: 1-line block ×4, first 2 shown]
	v_mad_nc_i64_i32 v[80:81], v81, 36, v[54:55]
	s_delay_alu instid0(VALU_DEP_4)
	v_mad_nc_i64_i32 v[82:83], v82, 36, v[54:55]
	v_mad_nc_i64_i32 v[84:85], v84, 36, v[54:55]
	;; [unrolled: 1-line block ×7, first 2 shown]
	v_mad_nc_u64_u32 v[96:97], v96, 36, s[2:3]
	s_clause 0x8
	global_load_b32 v98, v[80:81], off offset:4
	global_load_b32 v99, v[82:83], off offset:4
	;; [unrolled: 1-line block ×8, first 2 shown]
	global_load_b32 v106, v[96:97], off
	v_dual_mov_b32 v201, v190 :: v_dual_mov_b32 v202, v189
	v_mov_b32_e32 v203, v196
	s_mov_b32 s14, 12
	s_wait_loadcnt 0x8
	ds_store_b32 v186, v98
	s_wait_loadcnt 0x7
	ds_store_b32 v187, v99
	;; [unrolled: 2-line block ×9, first 2 shown]
	s_wait_dscnt 0x0
	s_barrier_signal -1
	s_barrier_wait -1
.LBB157_12:                             ;   Parent Loop BB157_7 Depth=1
                                        ; =>  This Inner Loop Header: Depth=2
	ds_load_2addr_b32 v[84:85], v198 offset1:3
	ds_load_2addr_b32 v[82:83], v198 offset0:4 offset1:7
	ds_load_2addr_b32 v[80:81], v197 offset1:32
	ds_load_2addr_b32 v[88:89], v198 offset0:1 offset1:2
	ds_load_2addr_b32 v[86:87], v198 offset0:5 offset1:6
	ds_load_2addr_b32 v[90:91], v203 offset1:1
	ds_load_2addr_b32 v[92:93], v203 offset0:2 offset1:3
	v_add_nc_u32_e32 v96, 0x1080, v203
	v_add_nc_u32_e32 v97, 0x1088, v203
	;; [unrolled: 1-line block ×23, first 2 shown]
	ds_load_2addr_b32 v[94:95], v197 offset0:64 offset1:96
	ds_load_2addr_b32 v[150:151], v197 offset0:128 offset1:160
	v_add_nc_u32_e32 v204, 0x1814, v198
	ds_load_2addr_b32 v[224:225], v197 offset0:192 offset1:224
	v_add_nc_u32_e32 v205, 0x1c04, v198
	v_add_nc_u32_e32 v206, 0x1c14, v198
	;; [unrolled: 1-line block ×3, first 2 shown]
	ds_load_2addr_b32 v[162:163], v96 offset1:1
	ds_load_2addr_b32 v[148:149], v97 offset1:1
	;; [unrolled: 1-line block ×4, first 2 shown]
	ds_load_2addr_b32 v[152:153], v102 offset0:4 offset1:7
	ds_load_2addr_b32 v[242:243], v100 offset1:1
	ds_load_2addr_b32 v[144:145], v101 offset1:1
	;; [unrolled: 1-line block ×6, first 2 shown]
	ds_load_2addr_b32 v[136:137], v107 offset0:4 offset1:7
	ds_load_2addr_b32 v[142:143], v105 offset1:1
	ds_load_2addr_b32 v[140:141], v106 offset1:1
	;; [unrolled: 1-line block ×5, first 2 shown]
	ds_load_2addr_b32 v[132:133], v110 offset0:4 offset1:7
	ds_load_2addr_b32 v[108:109], v113 offset1:3
	ds_load_2addr_b32 v[120:121], v113 offset0:4 offset1:7
	ds_load_2addr_b32 v[128:129], v111 offset1:1
	ds_load_2addr_b32 v[124:125], v112 offset1:1
	;; [unrolled: 1-line block ×5, first 2 shown]
	ds_load_2addr_b32 v[112:113], v116 offset0:4 offset1:7
	ds_load_2addr_b32 v[96:97], v118 offset1:3
	ds_load_2addr_b32 v[104:105], v118 offset0:4 offset1:7
	ds_load_2addr_b32 v[118:119], v117 offset1:1
	ds_load_2addr_b32 v[106:107], v204 offset1:1
	ds_load_2addr_b32 v[116:117], v205 offset1:1
	ds_load_2addr_b32 v[102:103], v206 offset1:1
	ds_load_2addr_b32 v[98:99], v207 offset1:3
	ds_load_2addr_b32 v[100:101], v207 offset0:4 offset1:7
	s_wait_dscnt 0x2b
	v_bfe_i32 v245, v84, 0, 8
	s_wait_dscnt 0x26
	s_set_vgpr_msb 64                       ;  msbs: dst=1 src0=0 src1=0 src2=0
	v_dual_ashrrev_i32 v0 /*v256*/, 24, v88 :: v_dual_bitop2_b32 v36 /*v292*/, 15, v90 bitop3:0x40
	s_set_vgpr_msb 0                        ;  msbs: dst=0 src0=0 src1=0 src2=0
	v_bfe_i32 v246, v84, 8, 8
	v_bfe_i32 v247, v84, 16, 8
	v_dual_ashrrev_i32 v248, 24, v84 :: v_dual_ashrrev_i32 v252, 24, v82
	s_set_vgpr_msb 64                       ;  msbs: dst=1 src0=0 src1=0 src2=0
	v_bfe_u32 v40 /*v296*/, v90, 8, 4
	v_bfe_u32 v44 /*v300*/, v90, 24, 4
	;; [unrolled: 1-line block ×3, first 2 shown]
	s_set_vgpr_msb 0x41                     ;  msbs: dst=1 src0=1 src1=0 src2=0
	v_mul_i32_i24_e32 v16 /*v272*/, v36 /*v292*/, v245
	s_set_vgpr_msb 0                        ;  msbs: dst=0 src0=0 src1=0 src2=0
	v_bfe_i32 v249, v82, 0, 8
	v_bfe_i32 v250, v82, 8, 8
	v_dual_ashrrev_i32 v237, 24, v86 :: v_dual_ashrrev_i32 v221, 24, v89
	v_bfe_i32 v227, v89, 0, 8
	v_bfe_i32 v226, v89, 8, 8
	;; [unrolled: 1-line block ×3, first 2 shown]
	v_bfe_u32 v89, v90, 4, 4
	s_set_vgpr_msb 64                       ;  msbs: dst=1 src0=0 src1=0 src2=0
	v_bfe_u32 v3 /*v259*/, v90, 12, 4
	s_wait_dscnt 0x21
	v_dual_lshrrev_b32 v39 /*v295*/, 28, v162 :: v_dual_bitop2_b32 v50 /*v306*/, 15, v162 bitop3:0x40
	s_wait_dscnt 0x1f
	v_dual_lshrrev_b32 v58 /*v314*/, 28, v156 :: v_dual_bitop2_b32 v51 /*v307*/, 15, v156 bitop3:0x40
	s_wait_dscnt 0x1c
	v_bfe_u32 v65 /*v321*/, v243, 24, 4
	v_and_b32_e32 v66 /*v322*/, 0xf0f0f0f, v243
	v_dual_lshrrev_b32 v67 /*v323*/, 4, v243 :: v_dual_lshrrev_b32 v68 /*v324*/, 28, v243
	s_set_vgpr_msb 0x41                     ;  msbs: dst=1 src0=1 src1=0 src2=0
	v_mul_i32_i24_e32 v70 /*v326*/, v41 /*v297*/, v247
	v_mul_i32_i24_e32 v71 /*v327*/, v44 /*v300*/, v248
	s_set_vgpr_msb 64                       ;  msbs: dst=1 src0=0 src1=0 src2=0
	v_bfe_u32 v73 /*v329*/, v242, 4, 4
	v_dual_ashrrev_i32 v74 /*v330*/, 24, v152 :: v_dual_bitop2_b32 v81 /*v337*/, 15, v243 bitop3:0x40
	v_bfe_i32 v77 /*v333*/, v152, 0, 8
	v_bfe_u32 v80 /*v336*/, v243, 16, 4
	s_wait_dscnt 0x1a
	v_bfe_i32 v86 /*v342*/, v160, 0, 8
	s_set_vgpr_msb 0                        ;  msbs: dst=0 src0=0 src1=0 src2=0
	v_bfe_u32 v239, v243, 20, 4
	v_bfe_u32 v243, v243, 4, 4
	s_wait_dscnt 0x19
	s_set_vgpr_msb 64                       ;  msbs: dst=1 src0=0 src1=0 src2=0
	v_bfe_i32 v90 /*v346*/, v158, 0, 8
	s_set_vgpr_msb 0x51                     ;  msbs: dst=1 src0=1 src1=0 src2=1
	v_mad_i32_i24 v16 /*v272*/, v40 /*v296*/, v246, v16 /*v272*/
	s_set_vgpr_msb 64                       ;  msbs: dst=1 src0=0 src1=0 src2=0
	v_mul_i32_i24_e32 v17 /*v273*/, v89, v249
	s_set_vgpr_msb 0x41                     ;  msbs: dst=1 src0=1 src1=0 src2=0
	v_mul_i32_i24_e32 v18 /*v274*/, v3 /*v259*/, v250
	s_set_vgpr_msb 64                       ;  msbs: dst=1 src0=0 src1=0 src2=0
	v_bfe_u32 v57 /*v313*/, v156, 12, 4
	v_dual_lshrrev_b32 v64 /*v320*/, 28, v242 :: v_dual_bitop2_b32 v93 /*v349*/, 15, v242 bitop3:0x40
	s_set_vgpr_msb 0                        ;  msbs: dst=0 src0=0 src1=0 src2=0
	v_lshrrev_b32_e32 v235, 28, v144
	s_set_vgpr_msb 64                       ;  msbs: dst=1 src0=0 src1=0 src2=0
	v_lshrrev_b16 v69 /*v325*/, 8, v152
	v_bfe_u32 v56 /*v312*/, v162, 8, 4
	v_bfe_u32 v112 /*v368*/, v162, 24, 4
	v_bfe_u32 v83 /*v339*/, v162, 16, 4
	v_bfe_u32 v107 /*v363*/, v156, 8, 4
	v_bfe_u32 v114 /*v370*/, v156, 24, 4
	v_bfe_u32 v94 /*v350*/, v156, 16, 4
	v_bfe_i32 v79 /*v335*/, v152, 16, 8
	s_set_vgpr_msb 0                        ;  msbs: dst=0 src0=0 src1=0 src2=0
	v_and_b32_e32 v152, 15, v144
	s_set_vgpr_msb 64                       ;  msbs: dst=1 src0=0 src1=0 src2=0
	v_bfe_i32 v95 /*v351*/, v161, 0, 8
	s_set_vgpr_msb 0                        ;  msbs: dst=0 src0=0 src1=0 src2=0
	v_bfe_u32 v236, v144, 4, 4
	v_bfe_i32 v238, v159, 0, 8
	s_wait_dscnt 0x0
	s_set_vgpr_msb 64                       ;  msbs: dst=1 src0=0 src1=0 src2=0
	v_dual_ashrrev_i32 v120 /*v376*/, 24, v100 :: v_dual_bitop2_b32 v78 /*v334*/, 15, v145 bitop3:0x40
	v_bfe_i32 v96 /*v352*/, v136, 8, 8
	v_bfe_i32 v117 /*v373*/, v100, 0, 8
	;; [unrolled: 1-line block ×4, first 2 shown]
	s_set_vgpr_msb 1                        ;  msbs: dst=0 src0=1 src1=0 src2=0
	v_mul_i32_i24_e32 v100, v50 /*v306*/, v245
	s_set_vgpr_msb 0x41                     ;  msbs: dst=1 src0=1 src1=0 src2=0
	v_mul_i32_i24_e32 v121 /*v377*/, v51 /*v307*/, v245
	s_set_vgpr_msb 0x45                     ;  msbs: dst=1 src0=1 src1=1 src2=0
	v_mul_i32_i24_e32 v126 /*v382*/, v77 /*v333*/, v73 /*v329*/
	v_mul_i32_i24_e32 v127 /*v383*/, v86 /*v342*/, v81 /*v337*/
	s_set_vgpr_msb 0x41                     ;  msbs: dst=1 src0=1 src1=0 src2=0
	v_mul_i32_i24_e32 v130 /*v386*/, v90 /*v346*/, v243
	s_set_vgpr_msb 0x55                     ;  msbs: dst=1 src0=1 src1=1 src2=1
	v_add3_u32 v16 /*v272*/, v16 /*v272*/, v70 /*v326*/, v71 /*v327*/
	s_set_vgpr_msb 0                        ;  msbs: dst=0 src0=0 src1=0 src2=0
	v_bfe_i32 v253, v88, 0, 8
	v_bfe_i32 v254, v88, 8, 8
	;; [unrolled: 1-line block ×3, first 2 shown]
	v_bfe_u32 v88, v90, 20, 4
	s_set_vgpr_msb 64                       ;  msbs: dst=1 src0=0 src1=0 src2=0
	v_dual_lshrrev_b32 v4 /*v260*/, 28, v90 :: v_dual_bitop2_b32 v6 /*v262*/, 15, v91 bitop3:0x40
	v_bfe_u32 v38 /*v294*/, v162, 12, 4
	v_bfe_u32 v54 /*v310*/, v156, 20, 4
	;; [unrolled: 1-line block ×3, first 2 shown]
	v_dual_lshrrev_b32 v63 /*v319*/, 4, v242 :: v_dual_bitop2_b32 v59 /*v315*/, 15, v157 bitop3:0x40
	v_bfe_u32 v72 /*v328*/, v242, 20, 4
	v_dual_ashrrev_i32 v82 /*v338*/, 24, v160 :: v_dual_ashrrev_i32 v87 /*v343*/, 24, v158
	s_set_vgpr_msb 0                        ;  msbs: dst=0 src0=0 src1=0 src2=0
	v_ashrrev_i32_e32 v156, 24, v155
	s_set_vgpr_msb 64                       ;  msbs: dst=1 src0=0 src1=0 src2=0
	v_bfe_u32 v110 /*v366*/, v242, 8, 4
	v_bfe_u32 v133 /*v389*/, v242, 24, 4
	v_bfe_u32 v109 /*v365*/, v242, 16, 4
	s_set_vgpr_msb 0                        ;  msbs: dst=0 src0=0 src1=0 src2=0
	v_bfe_i32 v242, v136, 0, 8
	s_set_vgpr_msb 64                       ;  msbs: dst=1 src0=0 src1=0 src2=0
	v_bfe_i32 v97 /*v353*/, v136, 16, 8
	s_set_vgpr_msb 0                        ;  msbs: dst=0 src0=0 src1=0 src2=0
	v_ashrrev_i32_e32 v136, 24, v136
	s_set_vgpr_msb 64                       ;  msbs: dst=1 src0=0 src1=0 src2=0
	v_bfe_i32 v101 /*v357*/, v132, 8, 8
	v_bfe_i32 v104 /*v360*/, v120, 8, 8
	s_set_vgpr_msb 1                        ;  msbs: dst=0 src0=1 src1=0 src2=0
	v_mul_i32_i24_e32 v245, v93 /*v349*/, v245
	s_set_vgpr_msb 0x41                     ;  msbs: dst=1 src0=1 src1=0 src2=0
	v_mul_i32_i24_e32 v122 /*v378*/, v83 /*v339*/, v247
	v_mul_i32_i24_e32 v123 /*v379*/, v112 /*v368*/, v248
	;; [unrolled: 1-line block ×5, first 2 shown]
	s_set_vgpr_msb 64                       ;  msbs: dst=1 src0=0 src1=0 src2=0
	v_mul_i32_i24_e32 v137 /*v393*/, v238, v236
	s_set_vgpr_msb 0x55                     ;  msbs: dst=1 src0=1 src1=1 src2=1
	v_mul_i32_i24_e32 v138 /*v394*/, v96 /*v352*/, v3 /*v259*/
	v_add3_u32 v126 /*v382*/, v126 /*v382*/, v127 /*v383*/, v130 /*v386*/
	v_add3_u32 v16 /*v272*/, v16 /*v272*/, v18 /*v274*/, v17 /*v273*/
	v_mul_i32_i24_e32 v18 /*v274*/, v96 /*v352*/, v57 /*v313*/
	s_set_vgpr_msb 1                        ;  msbs: dst=0 src0=1 src1=0 src2=0
	v_mad_i32_i24 v100, v56 /*v312*/, v246, v100
	s_set_vgpr_msb 0x51                     ;  msbs: dst=1 src0=1 src1=0 src2=1
	v_mad_i32_i24 v121 /*v377*/, v107 /*v363*/, v246, v121 /*v377*/
	s_set_vgpr_msb 64                       ;  msbs: dst=1 src0=0 src1=0 src2=0
	v_bfe_u32 v34 /*v290*/, v162, 20, 4
	v_bfe_u32 v37 /*v293*/, v162, 4, 4
	s_set_vgpr_msb 0                        ;  msbs: dst=0 src0=0 src1=0 src2=0
	v_bfe_u32 v228, v144, 24, 4
	s_set_vgpr_msb 64                       ;  msbs: dst=1 src0=0 src1=0 src2=0
	v_bfe_i32 v84 /*v340*/, v160, 16, 8
	v_dual_ashrrev_i32 v91 /*v347*/, 24, v161 :: v_dual_ashrrev_i32 v99 /*v355*/, 24, v142
	v_bfe_i32 v100 /*v356*/, v132, 0, 8
	v_bfe_i32 v102 /*v358*/, v132, 16, 8
	s_set_vgpr_msb 0                        ;  msbs: dst=0 src0=0 src1=0 src2=0
	v_ashrrev_i32_e32 v132, 24, v132
	s_set_vgpr_msb 64                       ;  msbs: dst=1 src0=0 src1=0 src2=0
	v_bfe_i32 v103 /*v359*/, v120, 0, 8
	v_bfe_i32 v105 /*v361*/, v120, 16, 8
	s_set_vgpr_msb 0                        ;  msbs: dst=0 src0=0 src1=0 src2=0
	v_ashrrev_i32_e32 v120, 24, v120
	s_set_vgpr_msb 0x45                     ;  msbs: dst=1 src0=1 src1=1 src2=0
	v_mul_i32_i24_e32 v129 /*v385*/, v82 /*v338*/, v65 /*v321*/
	s_set_vgpr_msb 1                        ;  msbs: dst=0 src0=1 src1=0 src2=0
	v_mul_i32_i24_e32 v247, v109 /*v365*/, v247
	v_mul_i32_i24_e32 v248, v133 /*v389*/, v248
	s_set_vgpr_msb 0x41                     ;  msbs: dst=1 src0=1 src1=0 src2=0
	v_mul_i32_i24_e32 v70 /*v326*/, v97 /*v353*/, v88
	s_set_vgpr_msb 0x44                     ;  msbs: dst=1 src0=0 src1=1 src2=0
	v_mul_i32_i24_e32 v71 /*v327*/, v136, v4 /*v260*/
	s_set_vgpr_msb 0x45                     ;  msbs: dst=1 src0=1 src1=1 src2=0
	v_mul_i32_i24_e32 v127 /*v383*/, v96 /*v352*/, v38 /*v294*/
	s_set_vgpr_msb 20                       ;  msbs: dst=0 src0=0 src1=1 src2=1
	v_add3_u32 v100, v100, v122 /*v378*/, v123 /*v379*/
	s_set_vgpr_msb 0x45                     ;  msbs: dst=1 src0=1 src1=1 src2=0
	v_mul_i32_i24_e32 v122 /*v378*/, v97 /*v353*/, v54 /*v310*/
	s_set_vgpr_msb 0x44                     ;  msbs: dst=1 src0=0 src1=1 src2=0
	v_mul_i32_i24_e32 v123 /*v379*/, v136, v58 /*v314*/
	s_set_vgpr_msb 0x55                     ;  msbs: dst=1 src0=1 src1=1 src2=1
	v_add3_u32 v121 /*v377*/, v121 /*v377*/, v124 /*v380*/, v125 /*v381*/
	v_mul_i32_i24_e32 v124 /*v380*/, v101 /*v357*/, v3 /*v259*/
	s_set_vgpr_msb 1                        ;  msbs: dst=0 src0=1 src1=0 src2=0
	v_mad_i32_i24 v245, v110 /*v366*/, v246, v245
	s_set_vgpr_msb 0x55                     ;  msbs: dst=1 src0=1 src1=1 src2=1
	v_add3_u32 v126 /*v382*/, v126 /*v382*/, v134 /*v390*/, v137 /*v393*/
	v_mul_i32_i24_e32 v134 /*v390*/, v104 /*v360*/, v3 /*v259*/
	s_set_vgpr_msb 0x50                     ;  msbs: dst=1 src0=0 src1=0 src2=1
	v_mad_i32_i24 v138 /*v394*/, v242, v89, v138 /*v394*/
	s_set_vgpr_msb 0x54                     ;  msbs: dst=1 src0=0 src1=1 src2=1
	v_mad_i32_i24 v18 /*v274*/, v242, v55 /*v311*/, v18 /*v274*/
	s_set_vgpr_msb 0                        ;  msbs: dst=0 src0=0 src1=0 src2=0
	v_bfe_i32 v251, v82, 16, 8
	v_cvt_f32_f16_e64 v82, v150
	s_set_vgpr_msb 64                       ;  msbs: dst=1 src0=0 src1=0 src2=0
	v_dual_lshrrev_b32 v15 /*v271*/, 16, v150 :: v_dual_bitop2_b32 v48 /*v304*/, 15, v163 bitop3:0x40
	v_bfe_i32 v88 /*v344*/, v158, 16, 8
	s_set_vgpr_msb 0                        ;  msbs: dst=0 src0=0 src1=0 src2=0
	v_bfe_u32 v150, v144, 16, 4
	s_set_vgpr_msb 64                       ;  msbs: dst=1 src0=0 src1=0 src2=0
	v_bfe_i32 v92 /*v348*/, v161, 16, 8
	v_bfe_i32 v108 /*v364*/, v112, 8, 8
	s_set_vgpr_msb 0x45                     ;  msbs: dst=1 src0=1 src1=1 src2=0
	v_mul_i32_i24_e32 v128 /*v384*/, v84 /*v340*/, v80 /*v336*/
	v_mul_i32_i24_e32 v132 /*v388*/, v87 /*v343*/, v68 /*v324*/
	s_set_vgpr_msb 0x41                     ;  msbs: dst=1 src0=1 src1=0 src2=0
	v_mul_i32_i24_e32 v136 /*v392*/, v91 /*v347*/, v228
	s_set_vgpr_msb 0x45                     ;  msbs: dst=1 src0=1 src1=1 src2=0
	v_mul_i32_i24_e32 v130 /*v386*/, v97 /*v353*/, v34 /*v290*/
	s_set_vgpr_msb 0x44                     ;  msbs: dst=1 src0=0 src1=1 src2=0
	v_mul_i32_i24_e32 v17 /*v273*/, v136, v39 /*v295*/
	s_set_vgpr_msb 0x41                     ;  msbs: dst=1 src0=1 src1=0 src2=0
	v_mul_i32_i24_e32 v125 /*v381*/, v102 /*v358*/, v88
	s_set_vgpr_msb 4                        ;  msbs: dst=0 src0=0 src1=1 src2=0
	v_mul_i32_i24_e32 v246, v132, v4 /*v260*/
	s_set_vgpr_msb 0                        ;  msbs: dst=0 src0=0 src1=0 src2=0
	v_add3_u32 v245, v245, v247, v248
	s_set_vgpr_msb 5                        ;  msbs: dst=0 src0=1 src1=1 src2=0
	v_mul_i32_i24_e32 v247, v101 /*v357*/, v38 /*v294*/
	s_set_vgpr_msb 0x55                     ;  msbs: dst=1 src0=1 src1=1 src2=1
	v_mad_i32_i24 v129 /*v385*/, v74 /*v330*/, v64 /*v320*/, v129 /*v385*/
	s_set_vgpr_msb 0x41                     ;  msbs: dst=1 src0=1 src1=0 src2=0
	v_mul_i32_i24_e32 v137 /*v393*/, v105 /*v361*/, v88
	s_set_vgpr_msb 0x55                     ;  msbs: dst=1 src0=1 src1=1 src2=1
	v_add3_u32 v70 /*v326*/, v138 /*v394*/, v70 /*v326*/, v71 /*v327*/
	s_set_vgpr_msb 0x44                     ;  msbs: dst=1 src0=0 src1=1 src2=0
	v_mul_i32_i24_e32 v71 /*v327*/, v120, v4 /*v260*/
	s_set_vgpr_msb 0x45                     ;  msbs: dst=1 src0=1 src1=1 src2=0
	v_mul_i32_i24_e32 v138 /*v394*/, v104 /*v360*/, v38 /*v294*/
	s_set_vgpr_msb 0x54                     ;  msbs: dst=1 src0=0 src1=1 src2=1
	v_mad_i32_i24 v127 /*v383*/, v242, v37 /*v293*/, v127 /*v383*/
	s_set_vgpr_msb 0x55                     ;  msbs: dst=1 src0=1 src1=1 src2=1
	v_add3_u32 v18 /*v274*/, v18 /*v274*/, v122 /*v378*/, v123 /*v379*/
	v_mul_i32_i24_e32 v122 /*v378*/, v104 /*v360*/, v57 /*v313*/
	s_set_vgpr_msb 0x51                     ;  msbs: dst=1 src0=1 src1=0 src2=1
	v_mad_i32_i24 v124 /*v380*/, v100 /*v356*/, v89, v124 /*v380*/
	v_mad_i32_i24 v134 /*v390*/, v103 /*v359*/, v89, v134 /*v390*/
	s_set_vgpr_msb 64                       ;  msbs: dst=1 src0=0 src1=0 src2=0
	v_bfe_i32 v106 /*v362*/, v112, 0, 8
	v_bfe_i32 v111 /*v367*/, v112, 16, 8
	s_set_vgpr_msb 0                        ;  msbs: dst=0 src0=0 src1=0 src2=0
	v_ashrrev_i32_e32 v112, 24, v112
	s_set_vgpr_msb 64                       ;  msbs: dst=1 src0=0 src1=0 src2=0
	v_bfe_i32 v115 /*v371*/, v104, 8, 8
	s_set_vgpr_msb 0x41                     ;  msbs: dst=1 src0=1 src1=0 src2=0
	v_mul_i32_i24_e32 v131 /*v387*/, v88 /*v344*/, v239
	v_mul_i32_i24_e32 v135 /*v391*/, v92 /*v348*/, v150
	s_set_vgpr_msb 5                        ;  msbs: dst=0 src0=1 src1=1 src2=0
	v_mul_i32_i24_e32 v248, v102 /*v358*/, v34 /*v290*/
	s_set_vgpr_msb 0x55                     ;  msbs: dst=1 src0=1 src1=1 src2=1
	v_add3_u32 v129 /*v385*/, v129 /*v385*/, v132 /*v388*/, v136 /*v392*/
	s_set_vgpr_msb 0x44                     ;  msbs: dst=1 src0=0 src1=1 src2=0
	v_mul_i32_i24_e32 v132 /*v388*/, v132, v39 /*v295*/
	s_set_vgpr_msb 0x55                     ;  msbs: dst=1 src0=1 src1=1 src2=1
	v_mul_i32_i24_e32 v136 /*v392*/, v101 /*v357*/, v57 /*v313*/
	v_mad_i32_i24 v128 /*v384*/, v79 /*v335*/, v72 /*v328*/, v128 /*v384*/
	v_add3_u32 v17 /*v273*/, v127 /*v383*/, v130 /*v386*/, v17 /*v273*/
	v_mul_i32_i24_e32 v127 /*v383*/, v105 /*v361*/, v34 /*v290*/
	s_set_vgpr_msb 0x44                     ;  msbs: dst=1 src0=0 src1=1 src2=0
	v_mul_i32_i24_e32 v130 /*v386*/, v120, v39 /*v295*/
	s_set_vgpr_msb 0x45                     ;  msbs: dst=1 src0=1 src1=1 src2=0
	v_mul_i32_i24_e32 v123 /*v379*/, v105 /*v361*/, v54 /*v310*/
	s_set_vgpr_msb 5                        ;  msbs: dst=0 src0=1 src1=1 src2=0
	v_add3_u32 v246, v124 /*v380*/, v125 /*v381*/, v246
	s_set_vgpr_msb 0x44                     ;  msbs: dst=1 src0=0 src1=1 src2=0
	v_mul_i32_i24_e32 v124 /*v380*/, v120, v58 /*v314*/
	s_set_vgpr_msb 0x45                     ;  msbs: dst=1 src0=1 src1=1 src2=0
	v_mul_i32_i24_e32 v125 /*v381*/, v108 /*v364*/, v3 /*v259*/
	s_set_vgpr_msb 5                        ;  msbs: dst=0 src0=1 src1=1 src2=0
	v_mad_i32_i24 v247, v100 /*v356*/, v37 /*v293*/, v247
	s_set_vgpr_msb 0x55                     ;  msbs: dst=1 src0=1 src1=1 src2=1
	v_add3_u32 v71 /*v327*/, v134 /*v390*/, v137 /*v393*/, v71 /*v327*/
	v_mul_i32_i24_e32 v137 /*v393*/, v108 /*v364*/, v57 /*v313*/
	v_mad_i32_i24 v138 /*v394*/, v103 /*v359*/, v37 /*v293*/, v138 /*v394*/
	v_mad_i32_i24 v122 /*v378*/, v103 /*v359*/, v55 /*v311*/, v122 /*v378*/
	s_set_vgpr_msb 64                       ;  msbs: dst=1 src0=0 src1=0 src2=0
	v_bfe_i32 v113 /*v369*/, v104, 0, 8
	v_bfe_i32 v116 /*v372*/, v104, 16, 8
	s_set_vgpr_msb 0                        ;  msbs: dst=0 src0=0 src1=0 src2=0
	v_ashrrev_i32_e32 v104, 24, v104
	s_set_vgpr_msb 0x55                     ;  msbs: dst=1 src0=1 src1=1 src2=1
	v_add3_u32 v128 /*v384*/, v128 /*v384*/, v131 /*v387*/, v135 /*v391*/
	v_mul_i32_i24_e32 v131 /*v387*/, v102 /*v358*/, v54 /*v310*/
	s_set_vgpr_msb 0x44                     ;  msbs: dst=1 src0=0 src1=1 src2=0
	v_mul_i32_i24_e32 v135 /*v391*/, v132, v58 /*v314*/
	s_set_vgpr_msb 16                       ;  msbs: dst=0 src0=0 src1=0 src2=1
	v_add3_u32 v247, v247, v248, v132 /*v388*/
	s_set_vgpr_msb 1                        ;  msbs: dst=0 src0=1 src1=0 src2=0
	v_mul_i32_i24_e32 v248, v111 /*v367*/, v88
	s_set_vgpr_msb 0x44                     ;  msbs: dst=1 src0=0 src1=1 src2=0
	v_mul_i32_i24_e32 v132 /*v388*/, v112, v4 /*v260*/
	s_set_vgpr_msb 0x55                     ;  msbs: dst=1 src0=1 src1=1 src2=1
	v_mad_i32_i24 v136 /*v392*/, v100 /*v356*/, v55 /*v311*/, v136 /*v392*/
	v_add3_u32 v127 /*v383*/, v138 /*v394*/, v127 /*v383*/, v130 /*v386*/
	v_mul_i32_i24_e32 v130 /*v386*/, v111 /*v367*/, v54 /*v310*/
	s_set_vgpr_msb 0x44                     ;  msbs: dst=1 src0=0 src1=1 src2=0
	v_mul_i32_i24_e32 v138 /*v394*/, v112, v58 /*v314*/
	s_set_vgpr_msb 0x55                     ;  msbs: dst=1 src0=1 src1=1 src2=1
	v_add3_u32 v122 /*v378*/, v122 /*v378*/, v123 /*v379*/, v124 /*v380*/
	v_mul_i32_i24_e32 v123 /*v379*/, v115 /*v371*/, v3 /*v259*/
	s_set_vgpr_msb 0x51                     ;  msbs: dst=1 src0=1 src1=0 src2=1
	v_mad_i32_i24 v125 /*v381*/, v106 /*v362*/, v89, v125 /*v381*/
	s_set_vgpr_msb 0x55                     ;  msbs: dst=1 src0=1 src1=1 src2=1
	v_mad_i32_i24 v137 /*v393*/, v106 /*v362*/, v55 /*v311*/, v137 /*v393*/
	v_add3_u32 v131 /*v387*/, v136 /*v392*/, v131 /*v387*/, v135 /*v391*/
	v_mul_i32_i24_e32 v135 /*v391*/, v108 /*v364*/, v38 /*v294*/
	s_set_vgpr_msb 0x41                     ;  msbs: dst=1 src0=1 src1=0 src2=0
	v_mul_i32_i24_e32 v124 /*v380*/, v116 /*v372*/, v88
	s_set_vgpr_msb 17                       ;  msbs: dst=0 src0=1 src1=0 src2=1
	v_add3_u32 v248, v125 /*v381*/, v248, v132 /*v388*/
	s_set_vgpr_msb 0x44                     ;  msbs: dst=1 src0=0 src1=1 src2=0
	v_mul_i32_i24_e32 v125 /*v381*/, v104, v4 /*v260*/
	s_set_vgpr_msb 0x55                     ;  msbs: dst=1 src0=1 src1=1 src2=1
	v_add3_u32 v130 /*v386*/, v137 /*v393*/, v130 /*v386*/, v138 /*v394*/
	v_mul_i32_i24_e32 v137 /*v393*/, v115 /*v371*/, v57 /*v313*/
	s_set_vgpr_msb 0x51                     ;  msbs: dst=1 src0=1 src1=0 src2=1
	v_mad_i32_i24 v123 /*v379*/, v113 /*v369*/, v89, v123 /*v379*/
	s_set_vgpr_msb 64                       ;  msbs: dst=1 src0=0 src1=0 src2=0
	v_mul_i32_i24_e32 v19 /*v275*/, v88, v251
	s_set_vgpr_msb 0x41                     ;  msbs: dst=1 src0=1 src1=0 src2=0
	v_mul_i32_i24_e32 v20 /*v276*/, v4 /*v260*/, v252
	s_set_vgpr_msb 0x45                     ;  msbs: dst=1 src0=1 src1=1 src2=0
	v_mul_i32_i24_e32 v136 /*v392*/, v111 /*v367*/, v34 /*v290*/
	s_set_vgpr_msb 0x44                     ;  msbs: dst=1 src0=0 src1=1 src2=0
	v_mul_i32_i24_e32 v134 /*v390*/, v112, v39 /*v295*/
	s_set_vgpr_msb 0x55                     ;  msbs: dst=1 src0=1 src1=1 src2=1
	v_mul_i32_i24_e32 v132 /*v388*/, v115 /*v371*/, v38 /*v294*/
	v_mad_i32_i24 v135 /*v391*/, v106 /*v362*/, v37 /*v293*/, v135 /*v391*/
	v_mul_i32_i24_e32 v138 /*v394*/, v116 /*v372*/, v54 /*v310*/
	v_add3_u32 v123 /*v379*/, v123 /*v379*/, v124 /*v380*/, v125 /*v381*/
	s_set_vgpr_msb 0x44                     ;  msbs: dst=1 src0=0 src1=1 src2=0
	v_mul_i32_i24_e32 v124 /*v380*/, v104, v58 /*v314*/
	s_set_vgpr_msb 0x55                     ;  msbs: dst=1 src0=1 src1=1 src2=1
	v_mad_i32_i24 v137 /*v393*/, v113 /*v369*/, v55 /*v311*/, v137 /*v393*/
	v_bfe_i32 v69 /*v325*/, v69 /*v325*/, 0, 8
	v_add3_u32 v134 /*v390*/, v135 /*v391*/, v136 /*v392*/, v134 /*v390*/
	v_mul_i32_i24_e32 v135 /*v391*/, v116 /*v372*/, v34 /*v290*/
	s_set_vgpr_msb 0x44                     ;  msbs: dst=1 src0=0 src1=1 src2=0
	v_mul_i32_i24_e32 v136 /*v392*/, v104, v39 /*v295*/
	s_set_vgpr_msb 0x55                     ;  msbs: dst=1 src0=1 src1=1 src2=1
	v_mul_i32_i24_e32 v125 /*v381*/, v118 /*v374*/, v3 /*v259*/
	v_mad_i32_i24 v132 /*v388*/, v113 /*v369*/, v37 /*v293*/, v132 /*v388*/
	v_add3_u32 v124 /*v380*/, v137 /*v393*/, v138 /*v394*/, v124 /*v380*/
	v_mul_i32_i24_e32 v137 /*v393*/, v118 /*v374*/, v38 /*v294*/
	v_add3_u32 v16 /*v272*/, v16 /*v272*/, v19 /*v275*/, v20 /*v276*/
	s_set_vgpr_msb 0x41                     ;  msbs: dst=1 src0=1 src1=0 src2=0
	v_mul_i32_i24_e32 v20 /*v276*/, v38 /*v294*/, v250
	s_set_vgpr_msb 0x55                     ;  msbs: dst=1 src0=1 src1=1 src2=1
	v_mul_i32_i24_e32 v3 /*v259*/, v69 /*v325*/, v3 /*v259*/
	v_mul_i32_i24_e32 v38 /*v294*/, v69 /*v325*/, v38 /*v294*/
	v_add3_u32 v132 /*v388*/, v132 /*v388*/, v135 /*v391*/, v136 /*v392*/
	s_set_vgpr_msb 0x41                     ;  msbs: dst=1 src0=1 src1=0 src2=0
	v_mul_i32_i24_e32 v135 /*v391*/, v119 /*v375*/, v88
	s_set_vgpr_msb 0x45                     ;  msbs: dst=1 src0=1 src1=1 src2=0
	v_mul_i32_i24_e32 v136 /*v392*/, v120 /*v376*/, v4 /*v260*/
	s_set_vgpr_msb 0x51                     ;  msbs: dst=1 src0=1 src1=0 src2=1
	v_mad_i32_i24 v125 /*v381*/, v117 /*v373*/, v89, v125 /*v381*/
	s_set_vgpr_msb 0x55                     ;  msbs: dst=1 src0=1 src1=1 src2=1
	v_mad_i32_i24 v137 /*v393*/, v117 /*v373*/, v37 /*v293*/, v137 /*v393*/
	s_set_vgpr_msb 0x41                     ;  msbs: dst=1 src0=1 src1=0 src2=0
	v_mul_i32_i24_e32 v19 /*v275*/, v37 /*v293*/, v249
	s_set_vgpr_msb 17                       ;  msbs: dst=0 src0=1 src1=0 src2=1
	v_mad_i32_i24 v89, v77 /*v333*/, v89, v3 /*v259*/
	s_set_vgpr_msb 0x55                     ;  msbs: dst=1 src0=1 src1=1 src2=1
	v_mad_i32_i24 v37 /*v293*/, v77 /*v333*/, v37 /*v293*/, v38 /*v294*/
	v_mul_i32_i24_e32 v38 /*v294*/, v69 /*v325*/, v57 /*v313*/
	s_set_vgpr_msb 1                        ;  msbs: dst=0 src0=1 src1=0 src2=0
	v_mul_i32_i24_e32 v88, v79 /*v335*/, v88
	s_set_vgpr_msb 0x45                     ;  msbs: dst=1 src0=1 src1=1 src2=0
	v_mul_i32_i24_e32 v4 /*v260*/, v74 /*v330*/, v4 /*v260*/
	s_set_vgpr_msb 64                       ;  msbs: dst=1 src0=0 src1=0 src2=0
	v_bfe_i32 v85 /*v341*/, v160, 8, 8
	v_bfe_i32 v89 /*v345*/, v158, 8, 8
	v_bfe_u32 v24 /*v280*/, v144, 20, 4
	s_set_vgpr_msb 0                        ;  msbs: dst=0 src0=0 src1=0 src2=0
	v_bfe_i32 v160, v159, 16, 8
	s_set_vgpr_msb 64                       ;  msbs: dst=1 src0=0 src1=0 src2=0
	v_bfe_u32 v76 /*v332*/, v145, 16, 4
	s_set_vgpr_msb 0                        ;  msbs: dst=0 src0=0 src1=0 src2=0
	v_bfe_i32 v158, v155, 16, 8
	s_set_vgpr_msb 0x55                     ;  msbs: dst=1 src0=1 src1=1 src2=1
	v_mad_i32_i24 v38 /*v294*/, v77 /*v333*/, v55 /*v311*/, v38 /*v294*/
	s_set_vgpr_msb 16                       ;  msbs: dst=0 src0=0 src1=0 src2=1
	v_add3_u32 v88, v89, v88, v4 /*v260*/
	s_set_vgpr_msb 5                        ;  msbs: dst=0 src0=1 src1=1 src2=0
	v_mul_i32_i24_e32 v89, v79 /*v335*/, v34 /*v290*/
	s_set_vgpr_msb 0x45                     ;  msbs: dst=1 src0=1 src1=1 src2=0
	v_mul_i32_i24_e32 v4 /*v260*/, v74 /*v330*/, v39 /*v295*/
	v_mul_i32_i24_e32 v79 /*v335*/, v79 /*v335*/, v54 /*v310*/
	;; [unrolled: 1-line block ×3, first 2 shown]
	s_set_vgpr_msb 0                        ;  msbs: dst=0 src0=0 src1=0 src2=0
	v_dual_lshrrev_b32 v231, 16, v224 :: v_dual_ashrrev_i32 v162, 24, v159
	s_set_vgpr_msb 64                       ;  msbs: dst=1 src0=0 src1=0 src2=0
	v_bfe_u32 v75 /*v331*/, v145, 24, 4
	v_bfe_u32 v7 /*v263*/, v91, 8, 4
	s_set_vgpr_msb 0x55                     ;  msbs: dst=1 src0=1 src1=1 src2=1
	v_add3_u32 v38 /*v294*/, v38 /*v294*/, v79 /*v335*/, v74 /*v330*/
	s_set_vgpr_msb 0x44                     ;  msbs: dst=1 src0=0 src1=1 src2=0
	v_mul_i32_i24_e32 v74 /*v330*/, v160, v24 /*v280*/
	v_mul_i32_i24_e32 v79 /*v335*/, v158, v76 /*v332*/
	v_bfe_u32 v9 /*v265*/, v91, 24, 4
	v_bfe_i32 v98 /*v354*/, v142, 8, 8
	v_bfe_u32 v49 /*v305*/, v163, 8, 4
	v_bfe_u32 v53 /*v309*/, v163, 24, 4
	s_set_vgpr_msb 0x55                     ;  msbs: dst=1 src0=1 src1=1 src2=1
	v_add3_u32 v74 /*v330*/, v128 /*v384*/, v74 /*v330*/, v79 /*v335*/
	s_set_vgpr_msb 64                       ;  msbs: dst=1 src0=0 src1=0 src2=0
	v_mul_i32_i24_e32 v79 /*v335*/, v162, v235
	s_set_vgpr_msb 0x44                     ;  msbs: dst=1 src0=0 src1=1 src2=0
	v_mul_i32_i24_e32 v128 /*v384*/, v156, v75 /*v331*/
	s_set_vgpr_msb 0x55                     ;  msbs: dst=1 src0=1 src1=1 src2=1
	v_mul_i32_i24_e32 v138 /*v394*/, v119 /*v375*/, v34 /*v290*/
	v_add3_u32 v125 /*v381*/, v125 /*v381*/, v135 /*v391*/, v136 /*v392*/
	v_mul_i32_i24_e32 v135 /*v391*/, v120 /*v376*/, v39 /*v295*/
	v_mul_i32_i24_e32 v136 /*v392*/, v118 /*v374*/, v57 /*v313*/
	v_add3_u32 v79 /*v335*/, v129 /*v385*/, v79 /*v335*/, v128 /*v384*/
	v_mul_i32_i24_e32 v128 /*v384*/, v98 /*v354*/, v7 /*v263*/
	v_mul_i32_i24_e32 v129 /*v385*/, v99 /*v355*/, v9 /*v265*/
	s_set_vgpr_msb 64                       ;  msbs: dst=1 src0=0 src1=0 src2=0
	v_bfe_u32 v60 /*v316*/, v157, 8, 4
	v_bfe_u32 v62 /*v318*/, v157, 24, 4
	s_set_vgpr_msb 0x55                     ;  msbs: dst=1 src0=1 src1=1 src2=1
	v_add3_u32 v135 /*v391*/, v137 /*v393*/, v138 /*v394*/, v135 /*v391*/
	v_mul_i32_i24_e32 v137 /*v393*/, v119 /*v375*/, v54 /*v310*/
	v_mul_i32_i24_e32 v138 /*v394*/, v120 /*v376*/, v58 /*v314*/
	v_mad_i32_i24 v136 /*v392*/, v117 /*v373*/, v55 /*v311*/, v136 /*v392*/
	v_add3_u32 v70 /*v326*/, v70 /*v326*/, v129 /*v385*/, v128 /*v384*/
	v_mul_i32_i24_e32 v128 /*v384*/, v98 /*v354*/, v49 /*v305*/
	v_mul_i32_i24_e32 v129 /*v385*/, v99 /*v355*/, v53 /*v309*/
	s_set_vgpr_msb 64                       ;  msbs: dst=1 src0=0 src1=0 src2=0
	v_ashrrev_i32_e32 v139 /*v395*/, 24, v138
	s_set_vgpr_msb 0x55                     ;  msbs: dst=1 src0=1 src1=1 src2=1
	v_add3_u32 v136 /*v392*/, v136 /*v392*/, v137 /*v393*/, v138 /*v394*/
	s_set_vgpr_msb 64                       ;  msbs: dst=1 src0=0 src1=0 src2=0
	v_bfe_i32 v138 /*v394*/, v138, 8, 8
	s_set_vgpr_msb 20                       ;  msbs: dst=0 src0=0 src1=1 src2=1
	v_add3_u32 v100, v100, v20 /*v276*/, v19 /*v275*/
	s_set_vgpr_msb 0x55                     ;  msbs: dst=1 src0=1 src1=1 src2=1
	v_add3_u32 v17 /*v273*/, v17 /*v273*/, v129 /*v385*/, v128 /*v384*/
	v_mul_i32_i24_e32 v128 /*v384*/, v98 /*v354*/, v60 /*v316*/
	v_mul_i32_i24_e32 v129 /*v385*/, v99 /*v355*/, v62 /*v318*/
	s_set_vgpr_msb 64                       ;  msbs: dst=1 src0=0 src1=0 src2=0
	v_ashrrev_i32_e32 v20 /*v276*/, 24, v128
	v_bfe_i32 v19 /*v275*/, v128, 8, 8
	v_bfe_i32 v3 /*v259*/, v122, 8, 8
	v_ashrrev_i32_e32 v77 /*v333*/, 24, v122
	s_set_vgpr_msb 0x55                     ;  msbs: dst=1 src0=1 src1=1 src2=1
	v_add3_u32 v18 /*v274*/, v18 /*v274*/, v129 /*v385*/, v128 /*v384*/
	v_mul_i32_i24_e32 v128 /*v384*/, v138 /*v394*/, v7 /*v263*/
	v_mul_i32_i24_e32 v129 /*v385*/, v139 /*v395*/, v9 /*v265*/
	s_set_vgpr_msb 17                       ;  msbs: dst=0 src0=1 src1=0 src2=1
	v_add3_u32 v89, v37 /*v293*/, v89, v4 /*v260*/
	s_set_vgpr_msb 0x41                     ;  msbs: dst=1 src0=1 src1=0 src2=0
	v_ashrrev_i32_e32 v37 /*v293*/, 24, v116
	v_mul_i32_i24_e32 v55 /*v311*/, v55 /*v311*/, v249
	v_mul_i32_i24_e32 v57 /*v313*/, v57 /*v313*/, v250
	s_set_vgpr_msb 20                       ;  msbs: dst=0 src0=0 src1=1 src2=1
	v_add3_u32 v246, v246, v129 /*v385*/, v128 /*v384*/
	s_set_vgpr_msb 0x45                     ;  msbs: dst=1 src0=1 src1=1 src2=0
	v_mul_i32_i24_e32 v128 /*v384*/, v138 /*v394*/, v49 /*v305*/
	v_mul_i32_i24_e32 v129 /*v385*/, v139 /*v395*/, v53 /*v309*/
	s_set_vgpr_msb 0x44                     ;  msbs: dst=1 src0=0 src1=1 src2=0
	v_mul_i32_i24_e32 v21 /*v277*/, v253, v6 /*v262*/
	s_set_vgpr_msb 0x55                     ;  msbs: dst=1 src0=1 src1=1 src2=1
	v_add3_u32 v55 /*v311*/, v121 /*v377*/, v57 /*v313*/, v55 /*v311*/
	s_set_vgpr_msb 64                       ;  msbs: dst=1 src0=0 src1=0 src2=0
	v_bfe_i32 v57 /*v313*/, v118, 8, 8
	v_ashrrev_i32_e32 v121 /*v377*/, 24, v118
	s_set_vgpr_msb 20                       ;  msbs: dst=0 src0=0 src1=1 src2=1
	v_add3_u32 v247, v247, v129 /*v385*/, v128 /*v384*/
	s_set_vgpr_msb 0x45                     ;  msbs: dst=1 src0=1 src1=1 src2=0
	v_mul_i32_i24_e32 v128 /*v384*/, v138 /*v394*/, v60 /*v316*/
	v_mul_i32_i24_e32 v129 /*v385*/, v139 /*v395*/, v62 /*v318*/
	s_set_vgpr_msb 0x44                     ;  msbs: dst=1 src0=0 src1=1 src2=0
	v_mul_i32_i24_e32 v22 /*v278*/, v254, v7 /*v263*/
	v_bfe_i32 v4 /*v260*/, v116, 8, 8
	s_set_vgpr_msb 1                        ;  msbs: dst=0 src0=1 src1=0 src2=0
	v_mul_i32_i24_e32 v249, v73 /*v329*/, v249
	s_set_vgpr_msb 64                       ;  msbs: dst=1 src0=0 src1=0 src2=0
	v_bfe_u32 v8 /*v264*/, v91, 16, 4
	s_set_vgpr_msb 0x55                     ;  msbs: dst=1 src0=1 src1=1 src2=1
	v_add3_u32 v128 /*v384*/, v131 /*v387*/, v129 /*v385*/, v128 /*v384*/
	v_mul_i32_i24_e32 v129 /*v385*/, v19 /*v275*/, v7 /*v263*/
	v_mul_i32_i24_e32 v131 /*v387*/, v20 /*v276*/, v9 /*v265*/
	v_add3_u32 v16 /*v272*/, v16 /*v272*/, v22 /*v278*/, v21 /*v277*/
	s_set_vgpr_msb 0x41                     ;  msbs: dst=1 src0=1 src1=0 src2=0
	v_mul_i32_i24_e32 v22 /*v278*/, v34 /*v290*/, v251
	v_mul_i32_i24_e32 v34 /*v290*/, v39 /*v295*/, v252
	;; [unrolled: 1-line block ×3, first 2 shown]
	s_set_vgpr_msb 0x55                     ;  msbs: dst=1 src0=1 src1=1 src2=1
	v_add3_u32 v71 /*v327*/, v71 /*v327*/, v131 /*v387*/, v129 /*v385*/
	v_mul_i32_i24_e32 v129 /*v385*/, v19 /*v275*/, v49 /*v305*/
	v_mul_i32_i24_e32 v131 /*v387*/, v20 /*v276*/, v53 /*v309*/
	s_set_vgpr_msb 0x54                     ;  msbs: dst=1 src0=0 src1=1 src2=1
	v_add3_u32 v22 /*v278*/, v100, v22 /*v278*/, v34 /*v290*/
	s_set_vgpr_msb 1                        ;  msbs: dst=0 src0=1 src1=0 src2=0
	v_mul_i32_i24_e32 v100, v54 /*v310*/, v251
	s_set_vgpr_msb 64                       ;  msbs: dst=1 src0=0 src1=0 src2=0
	v_bfe_u32 v52 /*v308*/, v163, 16, 4
	v_bfe_u32 v61 /*v317*/, v157, 16, 4
	s_set_vgpr_msb 0x55                     ;  msbs: dst=1 src0=1 src1=1 src2=1
	v_add3_u32 v127 /*v383*/, v127 /*v383*/, v131 /*v387*/, v129 /*v385*/
	v_mul_i32_i24_e32 v129 /*v385*/, v19 /*v275*/, v60 /*v316*/
	v_mul_i32_i24_e32 v131 /*v387*/, v20 /*v276*/, v62 /*v318*/
	s_set_vgpr_msb 0x51                     ;  msbs: dst=1 src0=1 src1=0 src2=1
	v_add3_u32 v39 /*v295*/, v55 /*v311*/, v100, v39 /*v295*/
	s_set_vgpr_msb 5                        ;  msbs: dst=0 src0=1 src1=1 src2=0
	v_mul_i32_i24_e32 v100, v85 /*v341*/, v7 /*v263*/
	s_set_vgpr_msb 64                       ;  msbs: dst=1 src0=0 src1=0 src2=0
	v_bfe_i32 v21 /*v277*/, v138, 0, 8
	s_set_vgpr_msb 0                        ;  msbs: dst=0 src0=0 src1=0 src2=0
	v_bfe_i32 v138, v138, 16, 8
	s_set_vgpr_msb 0x55                     ;  msbs: dst=1 src0=1 src1=1 src2=1
	v_add3_u32 v122 /*v378*/, v122 /*v378*/, v131 /*v387*/, v129 /*v385*/
	v_mul_i32_i24_e32 v129 /*v385*/, v3 /*v259*/, v7 /*v263*/
	v_mul_i32_i24_e32 v131 /*v387*/, v77 /*v333*/, v9 /*v265*/
	s_set_vgpr_msb 64                       ;  msbs: dst=1 src0=0 src1=0 src2=0
	v_bfe_i32 v34 /*v290*/, v128, 0, 8
	s_set_vgpr_msb 0                        ;  msbs: dst=0 src0=0 src1=0 src2=0
	v_bfe_i32 v128, v128, 16, 8
	s_set_vgpr_msb 64                       ;  msbs: dst=1 src0=0 src1=0 src2=0
	v_bfe_i32 v54 /*v310*/, v122, 0, 8
	s_set_vgpr_msb 20                       ;  msbs: dst=0 src0=0 src1=1 src2=1
	v_bfe_i32 v122, v122, 16, 8
	v_add3_u32 v248, v248, v131 /*v387*/, v129 /*v385*/
	s_set_vgpr_msb 0x45                     ;  msbs: dst=1 src0=1 src1=1 src2=0
	v_mul_i32_i24_e32 v129 /*v385*/, v3 /*v259*/, v49 /*v305*/
	v_mul_i32_i24_e32 v131 /*v387*/, v77 /*v333*/, v53 /*v309*/
	;; [unrolled: 1-line block ×3, first 2 shown]
	s_set_vgpr_msb 0x44                     ;  msbs: dst=1 src0=0 src1=1 src2=0
	v_mul_i32_i24_e32 v23 /*v279*/, v255, v8 /*v264*/
	v_bfe_u32 v46 /*v302*/, v163, 20, 4
	s_set_vgpr_msb 0                        ;  msbs: dst=0 src0=0 src1=0 src2=0
	v_bfe_i32 v161, v161, 8, 8
	s_set_vgpr_msb 0x55                     ;  msbs: dst=1 src0=1 src1=1 src2=1
	v_add3_u32 v129 /*v385*/, v134 /*v390*/, v131 /*v387*/, v129 /*v385*/
	v_mul_i32_i24_e32 v131 /*v387*/, v3 /*v259*/, v60 /*v316*/
	v_mul_i32_i24_e32 v134 /*v390*/, v77 /*v333*/, v62 /*v318*/
	v_add3_u32 v16 /*v272*/, v16 /*v272*/, v23 /*v279*/, v25 /*v281*/
	s_set_vgpr_msb 0x44                     ;  msbs: dst=1 src0=0 src1=1 src2=0
	v_mul_i32_i24_e32 v25 /*v281*/, v254, v60 /*v316*/
	v_mul_i32_i24_e32 v23 /*v279*/, v254, v49 /*v305*/
	s_set_vgpr_msb 0                        ;  msbs: dst=0 src0=0 src1=0 src2=0
	v_bfe_i32 v159, v159, 8, 8
	s_set_vgpr_msb 0x55                     ;  msbs: dst=1 src0=1 src1=1 src2=1
	v_add3_u32 v130 /*v386*/, v130 /*v386*/, v134 /*v390*/, v131 /*v387*/
	v_mul_i32_i24_e32 v131 /*v387*/, v57 /*v313*/, v7 /*v263*/
	v_mul_i32_i24_e32 v134 /*v390*/, v121 /*v377*/, v9 /*v265*/
	s_set_vgpr_msb 1                        ;  msbs: dst=0 src0=1 src1=0 src2=0
	v_mul_i32_i24_e32 v251, v72 /*v328*/, v251
	v_mul_i32_i24_e32 v252, v64 /*v320*/, v252
	s_set_vgpr_msb 64                       ;  msbs: dst=1 src0=0 src1=0 src2=0
	v_bfe_u32 v5 /*v261*/, v91, 20, 4
	v_bfe_u32 v10 /*v266*/, v91, 4, 4
	s_set_vgpr_msb 0x55                     ;  msbs: dst=1 src0=1 src1=1 src2=1
	v_add3_u32 v123 /*v379*/, v123 /*v379*/, v134 /*v390*/, v131 /*v387*/
	v_mul_i32_i24_e32 v131 /*v387*/, v57 /*v313*/, v49 /*v305*/
	v_mul_i32_i24_e32 v134 /*v390*/, v121 /*v377*/, v53 /*v309*/
	s_set_vgpr_msb 64                       ;  msbs: dst=1 src0=0 src1=0 src2=0
	v_bfe_u32 v11 /*v267*/, v91, 12, 4
	s_set_vgpr_msb 1                        ;  msbs: dst=0 src0=1 src1=0 src2=0
	v_dual_lshrrev_b32 v91, 28, v91 :: v_dual_lshrrev_b32 v230, 28, v92
	v_mul_i32_i24_e32 v136, v64 /*v320*/, v136
	s_set_vgpr_msb 0x55                     ;  msbs: dst=1 src0=1 src1=1 src2=1
	v_add3_u32 v131 /*v387*/, v132 /*v388*/, v134 /*v390*/, v131 /*v387*/
	v_mul_i32_i24_e32 v132 /*v388*/, v57 /*v313*/, v60 /*v316*/
	v_mul_i32_i24_e32 v134 /*v390*/, v121 /*v377*/, v62 /*v318*/
	s_set_vgpr_msb 64                       ;  msbs: dst=1 src0=0 src1=0 src2=0
	v_bfe_i32 v1 /*v257*/, v86, 0, 8
	v_bfe_i32 v2 /*v258*/, v86, 8, 8
	s_set_vgpr_msb 0x45                     ;  msbs: dst=1 src0=1 src1=1 src2=0
	v_mul_i32_i24_e32 v116 /*v372*/, v72 /*v328*/, v116 /*v372*/
	s_set_vgpr_msb 1                        ;  msbs: dst=0 src0=1 src1=0 src2=0
	v_mul_i32_i24_e32 v104, v64 /*v320*/, v104
	s_set_vgpr_msb 0x55                     ;  msbs: dst=1 src0=1 src1=1 src2=1
	v_add3_u32 v124 /*v380*/, v124 /*v380*/, v134 /*v390*/, v132 /*v388*/
	v_mul_i32_i24_e32 v132 /*v388*/, v4 /*v260*/, v7 /*v263*/
	v_mul_i32_i24_e32 v7 /*v263*/, v82 /*v338*/, v9 /*v265*/
	;; [unrolled: 1-line block ×3, first 2 shown]
	s_set_vgpr_msb 64                       ;  msbs: dst=1 src0=0 src1=0 src2=0
	v_bfe_i32 v9 /*v265*/, v118, 0, 8
	s_set_vgpr_msb 0                        ;  msbs: dst=0 src0=0 src1=0 src2=0
	v_bfe_i32 v118, v118, 16, 8
	s_set_vgpr_msb 0x45                     ;  msbs: dst=1 src0=1 src1=1 src2=0
	v_mul_i32_i24_e32 v26 /*v282*/, v1 /*v257*/, v10 /*v266*/
	s_set_vgpr_msb 4                        ;  msbs: dst=0 src0=0 src1=1 src2=0
	v_add3_u32 v88, v88, v7 /*v263*/, v100
	s_set_vgpr_msb 5                        ;  msbs: dst=0 src0=1 src1=1 src2=0
	v_mul_i32_i24_e32 v100, v85 /*v341*/, v49 /*v305*/
	s_set_vgpr_msb 0x55                     ;  msbs: dst=1 src0=1 src1=1 src2=1
	v_mul_i32_i24_e32 v7 /*v263*/, v82 /*v338*/, v53 /*v309*/
	v_add3_u32 v125 /*v381*/, v125 /*v381*/, v134 /*v390*/, v132 /*v388*/
	v_mul_i32_i24_e32 v132 /*v388*/, v4 /*v260*/, v49 /*v305*/
	v_mul_i32_i24_e32 v134 /*v390*/, v37 /*v293*/, v53 /*v309*/
	s_set_vgpr_msb 64                       ;  msbs: dst=1 src0=0 src1=0 src2=0
	v_and_b32_e32 v49 /*v305*/, 15, v146
	s_set_vgpr_msb 4                        ;  msbs: dst=0 src0=0 src1=1 src2=0
	v_add3_u32 v89, v89, v7 /*v263*/, v100
	s_set_vgpr_msb 5                        ;  msbs: dst=0 src0=1 src1=1 src2=0
	v_mul_i32_i24_e32 v100, v85 /*v341*/, v60 /*v316*/
	s_set_vgpr_msb 0x55                     ;  msbs: dst=1 src0=1 src1=1 src2=1
	v_mul_i32_i24_e32 v7 /*v263*/, v82 /*v338*/, v62 /*v318*/
	v_add3_u32 v132 /*v388*/, v135 /*v391*/, v134 /*v390*/, v132 /*v388*/
	v_mul_i32_i24_e32 v134 /*v390*/, v4 /*v260*/, v60 /*v316*/
	v_mul_i32_i24_e32 v135 /*v391*/, v37 /*v293*/, v62 /*v318*/
	s_set_vgpr_msb 0x44                     ;  msbs: dst=1 src0=0 src1=1 src2=0
	v_mul_i32_i24_e32 v82 /*v338*/, v122, v61 /*v317*/
	s_set_vgpr_msb 0x45                     ;  msbs: dst=1 src0=1 src1=1 src2=0
	v_add3_u32 v7 /*v263*/, v38 /*v294*/, v7 /*v263*/, v100
	s_set_vgpr_msb 4                        ;  msbs: dst=0 src0=0 src1=1 src2=0
	v_lshrrev_b16 v100, 8, v63 /*v319*/
	s_set_vgpr_msb 0x55                     ;  msbs: dst=1 src0=1 src1=1 src2=1
	v_lshrrev_b16 v38 /*v294*/, 8, v66 /*v322*/
	v_add3_u32 v134 /*v390*/, v136 /*v392*/, v135 /*v391*/, v134 /*v390*/
	s_set_vgpr_msb 64                       ;  msbs: dst=1 src0=0 src1=0 src2=0
	v_bfe_i32 v136 /*v392*/, v142, 0, 8
	s_set_vgpr_msb 0                        ;  msbs: dst=0 src0=0 src1=0 src2=0
	v_bfe_i32 v142, v142, 16, 8
	v_and_b32_e32 v100, 15, v100
	s_set_vgpr_msb 0x44                     ;  msbs: dst=1 src0=0 src1=1 src2=0
	v_and_b32_e32 v38 /*v294*/, 0xffff, v38 /*v294*/
	v_bfe_i32 v135 /*v391*/, v155, 0, 8
	s_set_vgpr_msb 64                       ;  msbs: dst=1 src0=0 src1=0 src2=0
	v_and_b32_e32 v60 /*v316*/, 0xf0f0f0f, v144
	s_set_vgpr_msb 0x44                     ;  msbs: dst=1 src0=0 src1=1 src2=0
	v_mul_i32_i24_e32 v66 /*v322*/, v142, v8 /*v264*/
	s_set_vgpr_msb 0                        ;  msbs: dst=0 src0=0 src1=0 src2=0
	v_and_b32_e32 v100, 0xffff, v100
	s_set_vgpr_msb 0x45                     ;  msbs: dst=1 src0=1 src1=1 src2=0
	v_mul_i32_i24_e32 v55 /*v311*/, v85 /*v341*/, v38 /*v294*/
	s_set_vgpr_msb 0x44                     ;  msbs: dst=1 src0=0 src1=1 src2=0
	v_mul_i32_i24_e32 v85 /*v341*/, v118, v8 /*v264*/
	s_set_vgpr_msb 0                        ;  msbs: dst=0 src0=0 src1=0 src2=0
	v_lshrrev_b32_e32 v144, 4, v144
	s_set_vgpr_msb 0x44                     ;  msbs: dst=1 src0=0 src1=1 src2=0
	v_lshrrev_b16 v60 /*v316*/, 8, v60 /*v316*/
	s_set_vgpr_msb 0                        ;  msbs: dst=0 src0=0 src1=0 src2=0
	v_mul_i32_i24_e32 v250, v100, v250
	s_set_vgpr_msb 0x41                     ;  msbs: dst=1 src0=1 src1=0 src2=0
	v_mul_i32_i24_e32 v58 /*v314*/, v69 /*v325*/, v100
	s_set_vgpr_msb 0x44                     ;  msbs: dst=1 src0=0 src1=1 src2=0
	v_mul_i32_i24_e32 v69 /*v325*/, v128, v8 /*v264*/
	s_set_vgpr_msb 0                        ;  msbs: dst=0 src0=0 src1=0 src2=0
	v_lshrrev_b16 v144, 8, v144
	s_set_vgpr_msb 0x44                     ;  msbs: dst=1 src0=0 src1=1 src2=0
	v_and_b32_e32 v60 /*v316*/, 0xffff, v60 /*v316*/
	s_set_vgpr_msb 0                        ;  msbs: dst=0 src0=0 src1=0 src2=0
	v_add3_u32 v245, v245, v250, v249
	s_set_vgpr_msb 4                        ;  msbs: dst=0 src0=0 src1=1 src2=0
	v_lshrrev_b16 v250, 8, v67 /*v323*/
	s_set_vgpr_msb 0x44                     ;  msbs: dst=1 src0=0 src1=1 src2=0
	v_mul_i32_i24_e32 v67 /*v323*/, v142, v52 /*v308*/
	s_set_vgpr_msb 0                        ;  msbs: dst=0 src0=0 src1=0 src2=0
	v_bfe_i32 v249, v116, 0, 8
	v_bfe_i32 v116, v116, 16, 8
	v_and_b32_e32 v144, 15, v144
	v_and_b32_e32 v250, 15, v250
	s_set_vgpr_msb 1                        ;  msbs: dst=0 src0=1 src1=0 src2=0
	v_mul_i32_i24_e32 v132, v64 /*v320*/, v132
	s_set_vgpr_msb 0x45                     ;  msbs: dst=1 src0=1 src1=1 src2=0
	v_mul_i32_i24_e32 v27 /*v283*/, v2 /*v258*/, v11 /*v267*/
	s_set_vgpr_msb 64                       ;  msbs: dst=1 src0=0 src1=0 src2=0
	v_mul_i32_i24_e32 v29 /*v285*/, v237, v91
	v_and_b32_e32 v137 /*v393*/, 0xffff, v144
	s_set_vgpr_msb 0                        ;  msbs: dst=0 src0=0 src1=0 src2=0
	v_and_b32_e32 v250, 0xffff, v250
	v_add3_u32 v144, v245, v251, v252
	s_set_vgpr_msb 4                        ;  msbs: dst=0 src0=0 src1=1 src2=0
	v_mul_i32_i24_e32 v245, v161, v60 /*v316*/
	s_set_vgpr_msb 0x55                     ;  msbs: dst=1 src0=1 src1=1 src2=1
	v_add3_u32 v16 /*v272*/, v16 /*v272*/, v26 /*v282*/, v27 /*v283*/
	s_set_vgpr_msb 4                        ;  msbs: dst=0 src0=0 src1=1 src2=0
	v_mul_i32_i24_e32 v251, v159, v137 /*v393*/
	s_set_vgpr_msb 0x41                     ;  msbs: dst=1 src0=1 src1=0 src2=0
	v_mul_i32_i24_e32 v63 /*v319*/, v89 /*v345*/, v250
	v_and_b32_e32 v27 /*v283*/, 15, v147
	s_set_vgpr_msb 0                        ;  msbs: dst=0 src0=0 src1=0 src2=0
	v_dual_ashrrev_i32 v208, 24, v83 :: v_dual_bitop2_b32 v240, 15, v92 bitop3:0x40
	s_set_vgpr_msb 64                       ;  msbs: dst=1 src0=0 src1=0 src2=0
	v_bfe_u32 v12 /*v268*/, v92, 8, 4
	s_set_vgpr_msb 0x55                     ;  msbs: dst=1 src0=1 src1=1 src2=1
	v_add3_u32 v55 /*v311*/, v58 /*v314*/, v55 /*v311*/, v63 /*v319*/
	v_mul_i32_i24_e32 v63 /*v319*/, v136 /*v392*/, v6 /*v262*/
	v_mul_i32_i24_e32 v58 /*v314*/, v135 /*v391*/, v78 /*v334*/
	s_set_vgpr_msb 64                       ;  msbs: dst=1 src0=0 src1=0 src2=0
	v_bfe_u32 v13 /*v269*/, v92, 24, 4
	s_set_vgpr_msb 0                        ;  msbs: dst=0 src0=0 src1=0 src2=0
	v_bfe_u32 v241, v92, 16, 4
	s_set_vgpr_msb 1                        ;  msbs: dst=0 src0=1 src1=0 src2=0
	v_add3_u32 v245, v55 /*v311*/, v245, v251
	s_set_vgpr_msb 0x55                     ;  msbs: dst=1 src0=1 src1=1 src2=1
	v_add3_u32 v63 /*v319*/, v70 /*v326*/, v63 /*v319*/, v66 /*v322*/
	v_mul_i32_i24_e32 v66 /*v322*/, v136 /*v392*/, v48 /*v304*/
	s_set_vgpr_msb 0x44                     ;  msbs: dst=1 src0=0 src1=1 src2=0
	v_mul_i32_i24_e32 v70 /*v326*/, v128, v52 /*v308*/
	s_set_vgpr_msb 0x55                     ;  msbs: dst=1 src0=1 src1=1 src2=1
	v_add3_u32 v58 /*v314*/, v126 /*v382*/, v58 /*v314*/, v74 /*v330*/
	s_set_vgpr_msb 0x44                     ;  msbs: dst=1 src0=0 src1=1 src2=0
	v_mul_i32_i24_e32 v74 /*v330*/, v122, v8 /*v264*/
	v_mul_i32_i24_e32 v126 /*v382*/, v116, v61 /*v317*/
	s_set_vgpr_msb 0x55                     ;  msbs: dst=1 src0=1 src1=1 src2=1
	v_add3_u32 v17 /*v273*/, v17 /*v273*/, v66 /*v322*/, v67 /*v323*/
	v_mul_i32_i24_e32 v66 /*v322*/, v136 /*v392*/, v59 /*v315*/
	s_set_vgpr_msb 0x44                     ;  msbs: dst=1 src0=0 src1=1 src2=0
	v_mul_i32_i24_e32 v67 /*v323*/, v142, v61 /*v317*/
	s_set_vgpr_msb 0                        ;  msbs: dst=0 src0=0 src1=0 src2=0
	v_bfe_u32 v229, v92, 4, 4
	v_bfe_u32 v223, v92, 12, 4
	;; [unrolled: 1-line block ×3, first 2 shown]
	v_dual_lshrrev_b32 v92, 16, v80 :: v_dual_bitop2_b32 v204, 15, v93 bitop3:0x40
	s_set_vgpr_msb 0x55                     ;  msbs: dst=1 src0=1 src1=1 src2=1
	v_add3_u32 v18 /*v274*/, v18 /*v274*/, v66 /*v322*/, v67 /*v323*/
	v_mul_i32_i24_e32 v66 /*v322*/, v21 /*v277*/, v6 /*v262*/
	s_set_vgpr_msb 0x44                     ;  msbs: dst=1 src0=0 src1=1 src2=0
	v_mul_i32_i24_e32 v67 /*v323*/, v138, v8 /*v264*/
	s_set_vgpr_msb 0                        ;  msbs: dst=0 src0=0 src1=0 src2=0
	v_lshrrev_b32_e32 v90, 16, v81
	s_set_vgpr_msb 0x45                     ;  msbs: dst=1 src0=1 src1=1 src2=0
	v_mul_i32_i24_e32 v53 /*v309*/, v0 /*v256*/, v53 /*v309*/
	s_set_vgpr_msb 20                       ;  msbs: dst=0 src0=0 src1=1 src2=1
	v_bfe_u32 v206, v93, 8, 4
	v_bfe_u32 v213, v93, 16, 4
	v_add3_u32 v246, v246, v66 /*v322*/, v67 /*v323*/
	s_set_vgpr_msb 0x45                     ;  msbs: dst=1 src0=1 src1=1 src2=0
	v_mul_i32_i24_e32 v66 /*v322*/, v21 /*v277*/, v48 /*v304*/
	s_set_vgpr_msb 0x44                     ;  msbs: dst=1 src0=0 src1=1 src2=0
	v_mul_i32_i24_e32 v67 /*v323*/, v138, v52 /*v308*/
	s_set_vgpr_msb 0                        ;  msbs: dst=0 src0=0 src1=0 src2=0
	v_bfe_u32 v207, v93, 24, 4
	s_set_vgpr_msb 64                       ;  msbs: dst=1 src0=0 src1=0 src2=0
	v_bfe_u32 v42 /*v298*/, v93, 4, 4
	v_bfe_u32 v43 /*v299*/, v93, 12, 4
	v_dual_lshrrev_b32 v45 /*v301*/, 28, v93 :: v_dual_lshrrev_b32 v14 /*v270*/, 16, v151
	s_set_vgpr_msb 20                       ;  msbs: dst=0 src0=0 src1=1 src2=1
	v_add3_u32 v247, v247, v66 /*v322*/, v67 /*v323*/
	s_set_vgpr_msb 0x45                     ;  msbs: dst=1 src0=1 src1=1 src2=0
	v_mul_i32_i24_e32 v66 /*v322*/, v21 /*v277*/, v59 /*v315*/
	s_set_vgpr_msb 0x44                     ;  msbs: dst=1 src0=0 src1=1 src2=0
	v_mul_i32_i24_e32 v67 /*v323*/, v138, v61 /*v317*/
	v_bfe_u32 v47 /*v303*/, v93, 20, 4
	s_set_vgpr_msb 0                        ;  msbs: dst=0 src0=0 src1=0 src2=0
	v_lshrrev_b32_e32 v93, 16, v95
	v_bfe_i32 v155, v155, 8, 8
	s_set_vgpr_msb 0x55                     ;  msbs: dst=1 src0=1 src1=1 src2=1
	v_mul_i32_i24_e32 v20 /*v276*/, v20 /*v276*/, v65 /*v321*/
	v_add3_u32 v66 /*v322*/, v128 /*v384*/, v66 /*v322*/, v67 /*v323*/
	v_mul_i32_i24_e32 v67 /*v323*/, v34 /*v290*/, v6 /*v262*/
	s_set_vgpr_msb 64                       ;  msbs: dst=1 src0=0 src1=0 src2=0
	v_bfe_u32 v128 /*v384*/, v163, 12, 4
	s_set_vgpr_msb 0x55                     ;  msbs: dst=1 src0=1 src1=1 src2=1
	v_mul_i32_i24_e32 v19 /*v275*/, v19 /*v275*/, v38 /*v294*/
	v_mul_i32_i24_e32 v3 /*v259*/, v3 /*v259*/, v38 /*v294*/
	;; [unrolled: 1-line block ×3, first 2 shown]
	v_add3_u32 v67 /*v323*/, v71 /*v327*/, v67 /*v323*/, v69 /*v325*/
	v_mul_i32_i24_e32 v69 /*v325*/, v34 /*v290*/, v48 /*v304*/
	s_set_vgpr_msb 0x44                     ;  msbs: dst=1 src0=0 src1=1 src2=0
	v_mul_i32_i24_e32 v71 /*v327*/, v128, v61 /*v317*/
	s_set_vgpr_msb 0                        ;  msbs: dst=0 src0=0 src1=0 src2=0
	v_bfe_i32 v234, v86, 16, 8
	s_set_vgpr_msb 0x45                     ;  msbs: dst=1 src0=1 src1=1 src2=0
	v_mul_i32_i24_e32 v62 /*v318*/, v0 /*v256*/, v62 /*v318*/
	s_set_vgpr_msb 64                       ;  msbs: dst=1 src0=0 src1=0 src2=0
	v_bfe_u32 v148 /*v404*/, v145, 4, 4
	s_set_vgpr_msb 0x55                     ;  msbs: dst=1 src0=1 src1=1 src2=1
	v_add3_u32 v69 /*v325*/, v127 /*v383*/, v69 /*v325*/, v70 /*v326*/
	v_mul_i32_i24_e32 v70 /*v326*/, v34 /*v290*/, v59 /*v315*/
	s_set_vgpr_msb 64                       ;  msbs: dst=1 src0=0 src1=0 src2=0
	v_bfe_u32 v127 /*v383*/, v163, 4, 4
	v_bfe_u32 v149 /*v405*/, v145, 12, 4
	v_lshrrev_b32_e32 v150 /*v406*/, 28, v145
	v_bfe_u32 v151 /*v407*/, v145, 20, 4
	s_set_vgpr_msb 0x55                     ;  msbs: dst=1 src0=1 src1=1 src2=1
	v_add3_u32 v70 /*v326*/, v122 /*v378*/, v70 /*v326*/, v71 /*v327*/
	v_mul_i32_i24_e32 v71 /*v327*/, v54 /*v310*/, v6 /*v262*/
	s_set_vgpr_msb 0x44                     ;  msbs: dst=1 src0=0 src1=1 src2=0
	v_mul_i32_i24_e32 v122 /*v378*/, v118, v52 /*v308*/
	v_mul_i32_i24_e32 v28 /*v284*/, v234, v5 /*v261*/
	s_set_vgpr_msb 0x45                     ;  msbs: dst=1 src0=1 src1=1 src2=0
	v_mul_i32_i24_e32 v0 /*v256*/, v0 /*v256*/, v65 /*v321*/
	s_set_vgpr_msb 64                       ;  msbs: dst=1 src0=0 src1=0 src2=0
	v_bfe_u32 v26 /*v282*/, v147, 8, 4
	s_set_vgpr_msb 20                       ;  msbs: dst=0 src0=0 src1=1 src2=1
	v_add3_u32 v248, v248, v71 /*v327*/, v74 /*v330*/
	s_set_vgpr_msb 0x45                     ;  msbs: dst=1 src0=1 src1=1 src2=0
	v_mul_i32_i24_e32 v71 /*v327*/, v54 /*v310*/, v48 /*v304*/
	s_set_vgpr_msb 0x44                     ;  msbs: dst=1 src0=0 src1=1 src2=0
	v_mul_i32_i24_e32 v74 /*v330*/, v122, v52 /*v308*/
	s_set_vgpr_msb 4                        ;  msbs: dst=0 src0=0 src1=1 src2=0
	v_mul_i32_i24_e32 v142, v142, v80 /*v336*/
	v_mul_i32_i24_e32 v138, v138, v80 /*v336*/
	;; [unrolled: 1-line block ×4, first 2 shown]
	s_set_vgpr_msb 0x55                     ;  msbs: dst=1 src0=1 src1=1 src2=1
	v_add3_u32 v71 /*v327*/, v129 /*v385*/, v71 /*v327*/, v74 /*v330*/
	v_mul_i32_i24_e32 v74 /*v330*/, v54 /*v310*/, v59 /*v315*/
	s_set_vgpr_msb 64                       ;  msbs: dst=1 src0=0 src1=0 src2=0
	v_lshrrev_b32_e32 v129 /*v385*/, 28, v163
	s_set_vgpr_msb 4                        ;  msbs: dst=0 src0=0 src1=1 src2=0
	v_mul_i32_i24_e32 v163, v100, v96 /*v352*/
	s_set_vgpr_msb 0x44                     ;  msbs: dst=1 src0=0 src1=1 src2=0
	v_mul_i32_i24_e32 v96 /*v352*/, v100, v104 /*v360*/
	v_mul_i32_i24_e32 v104 /*v360*/, v100, v115 /*v371*/
	s_set_vgpr_msb 0x55                     ;  msbs: dst=1 src0=1 src1=1 src2=1
	v_add3_u32 v74 /*v330*/, v130 /*v386*/, v74 /*v330*/, v82 /*v338*/
	v_mul_i32_i24_e32 v82 /*v338*/, v9 /*v265*/, v6 /*v262*/
	s_set_vgpr_msb 1                        ;  msbs: dst=0 src0=1 src1=0 src2=0
	v_mad_i32_i24 v242, v73 /*v329*/, v242, v163
	s_set_vgpr_msb 4                        ;  msbs: dst=0 src0=0 src1=1 src2=0
	v_mul_i32_i24_e32 v163, v253, v48 /*v304*/
	s_set_vgpr_msb 0x55                     ;  msbs: dst=1 src0=1 src1=1 src2=1
	v_mad_i32_i24 v96 /*v352*/, v73 /*v329*/, v103 /*v359*/, v96 /*v352*/
	v_mad_i32_i24 v104 /*v360*/, v73 /*v329*/, v113 /*v369*/, v104 /*v360*/
	v_add3_u32 v82 /*v338*/, v123 /*v379*/, v82 /*v338*/, v85 /*v341*/
	v_mul_i32_i24_e32 v85 /*v341*/, v9 /*v265*/, v48 /*v304*/
	s_set_vgpr_msb 0x44                     ;  msbs: dst=1 src0=0 src1=1 src2=0
	v_mul_i32_i24_e32 v123 /*v379*/, v118, v61 /*v317*/
	s_set_vgpr_msb 0x45                     ;  msbs: dst=1 src0=1 src1=1 src2=0
	v_add3_u32 v22 /*v278*/, v22 /*v278*/, v23 /*v279*/, v163
	s_set_vgpr_msb 0x44                     ;  msbs: dst=1 src0=0 src1=1 src2=0
	v_mul_i32_i24_e32 v23 /*v279*/, v253, v59 /*v315*/
	s_set_vgpr_msb 5                        ;  msbs: dst=0 src0=1 src1=1 src2=0
	v_add3_u32 v104, v104 /*v360*/, v116 /*v372*/, v104
	s_set_vgpr_msb 0x55                     ;  msbs: dst=1 src0=1 src1=1 src2=1
	v_add3_u32 v122 /*v378*/, v131 /*v387*/, v85 /*v341*/, v122 /*v378*/
	v_mul_i32_i24_e32 v85 /*v341*/, v9 /*v265*/, v59 /*v315*/
	s_set_vgpr_msb 0                        ;  msbs: dst=0 src0=0 src1=0 src2=0
	v_bfe_u32 v163, v149, 16, 4
	s_set_vgpr_msb 0x55                     ;  msbs: dst=1 src0=1 src1=1 src2=1
	v_add3_u32 v23 /*v279*/, v39 /*v295*/, v25 /*v281*/, v23 /*v279*/
	v_mul_i32_i24_e32 v39 /*v295*/, v84 /*v340*/, v52 /*v308*/
	s_set_vgpr_msb 64                       ;  msbs: dst=1 src0=0 src1=0 src2=0
	v_bfe_u32 v25 /*v281*/, v149, 24, 4
	s_set_vgpr_msb 0x55                     ;  msbs: dst=1 src0=1 src1=1 src2=1
	v_add3_u32 v123 /*v379*/, v124 /*v380*/, v85 /*v341*/, v123 /*v379*/
	s_set_vgpr_msb 0x44                     ;  msbs: dst=1 src0=0 src1=1 src2=0
	v_mul_i32_i24_e32 v85 /*v341*/, v249, v6 /*v262*/
	v_mul_i32_i24_e32 v124 /*v380*/, v116, v8 /*v264*/
	s_set_vgpr_msb 0x45                     ;  msbs: dst=1 src0=1 src1=1 src2=0
	v_mul_i32_i24_e32 v8 /*v264*/, v84 /*v340*/, v8 /*v264*/
	v_mul_i32_i24_e32 v84 /*v340*/, v84 /*v340*/, v61 /*v317*/
	;; [unrolled: 1-line block ×3, first 2 shown]
	s_set_vgpr_msb 0x44                     ;  msbs: dst=1 src0=0 src1=1 src2=0
	v_mul_i32_i24_e32 v61 /*v317*/, v255, v61 /*v317*/
	s_set_vgpr_msb 0x55                     ;  msbs: dst=1 src0=1 src1=1 src2=1
	v_add3_u32 v124 /*v380*/, v125 /*v381*/, v85 /*v341*/, v124 /*v380*/
	s_set_vgpr_msb 0x44                     ;  msbs: dst=1 src0=0 src1=1 src2=0
	v_mul_i32_i24_e32 v85 /*v341*/, v249, v48 /*v304*/
	v_mul_i32_i24_e32 v125 /*v381*/, v116, v52 /*v308*/
	s_set_vgpr_msb 20                       ;  msbs: dst=0 src0=0 src1=1 src2=1
	v_add3_u32 v88, v88, v6 /*v262*/, v8 /*v264*/
	s_set_vgpr_msb 0x45                     ;  msbs: dst=1 src0=1 src1=1 src2=0
	v_mul_i32_i24_e32 v8 /*v264*/, v86 /*v342*/, v48 /*v304*/
	s_set_vgpr_msb 0x44                     ;  msbs: dst=1 src0=0 src1=1 src2=0
	v_bfe_u32 v6 /*v262*/, v157, 20, 4
	v_mul_i32_i24_e32 v52 /*v308*/, v255, v52 /*v308*/
	s_set_vgpr_msb 0x55                     ;  msbs: dst=1 src0=1 src1=1 src2=1
	v_add3_u32 v125 /*v381*/, v132 /*v388*/, v85 /*v341*/, v125 /*v381*/
	s_set_vgpr_msb 0x44                     ;  msbs: dst=1 src0=0 src1=1 src2=0
	v_mul_i32_i24_e32 v85 /*v341*/, v249, v59 /*v315*/
	s_set_vgpr_msb 0x45                     ;  msbs: dst=1 src0=1 src1=1 src2=0
	v_mul_i32_i24_e32 v59 /*v315*/, v86 /*v342*/, v59 /*v315*/
	s_set_vgpr_msb 20                       ;  msbs: dst=0 src0=0 src1=1 src2=1
	v_add3_u32 v89, v89, v8 /*v264*/, v39 /*v295*/
	s_set_vgpr_msb 64                       ;  msbs: dst=1 src0=0 src1=0 src2=0
	v_bfe_u32 v8 /*v264*/, v157, 4, 4
	v_bfe_u32 v39 /*v295*/, v157, 12, 4
	s_set_vgpr_msb 0                        ;  msbs: dst=0 src0=0 src1=0 src2=0
	v_lshrrev_b32_e32 v157, 28, v157
	s_set_vgpr_msb 0x55                     ;  msbs: dst=1 src0=1 src1=1 src2=1
	v_add3_u32 v7 /*v263*/, v7 /*v263*/, v59 /*v315*/, v84 /*v340*/
	s_set_vgpr_msb 64                       ;  msbs: dst=1 src0=0 src1=0 src2=0
	v_bfe_i32 v59 /*v315*/, v140, 0, 8
	v_ashrrev_i32_e32 v84 /*v340*/, 24, v140
	s_set_vgpr_msb 0x55                     ;  msbs: dst=1 src0=1 src1=1 src2=1
	v_add3_u32 v126 /*v382*/, v134 /*v390*/, v85 /*v341*/, v126 /*v382*/
	s_set_vgpr_msb 0x44                     ;  msbs: dst=1 src0=0 src1=1 src2=0
	v_mul_i32_i24_e32 v85 /*v341*/, v100, v101 /*v357*/
	s_set_vgpr_msb 0x45                     ;  msbs: dst=1 src0=1 src1=1 src2=0
	v_mul_i32_i24_e32 v86 /*v342*/, v72 /*v328*/, v102 /*v358*/
	s_set_vgpr_msb 5                        ;  msbs: dst=0 src0=1 src1=1 src2=0
	v_mul_i32_i24_e32 v251, v59 /*v315*/, v10 /*v266*/
	s_set_vgpr_msb 1                        ;  msbs: dst=0 src0=1 src1=0 src2=0
	v_mul_i32_i24_e32 v252, v84 /*v340*/, v91
	s_set_vgpr_msb 0x55                     ;  msbs: dst=1 src0=1 src1=1 src2=1
	v_mul_i32_i24_e32 v55 /*v311*/, v84 /*v340*/, v129 /*v385*/
	v_mad_i32_i24 v100 /*v356*/, v73 /*v329*/, v100 /*v356*/, v85 /*v341*/
	s_set_vgpr_msb 0x44                     ;  msbs: dst=1 src0=0 src1=1 src2=0
	v_mul_i32_i24_e32 v101 /*v357*/, v100, v108 /*v364*/
	s_set_vgpr_msb 4                        ;  msbs: dst=0 src0=0 src1=1 src2=0
	v_mul_i32_i24_e32 v100, v100, v118 /*v374*/
	s_set_vgpr_msb 1                        ;  msbs: dst=0 src0=1 src1=0 src2=0
	v_add3_u32 v251, v63 /*v319*/, v252, v251
	s_set_vgpr_msb 5                        ;  msbs: dst=0 src0=1 src1=1 src2=0
	v_mul_i32_i24_e32 v252, v59 /*v315*/, v127 /*v383*/
	s_set_vgpr_msb 0x45                     ;  msbs: dst=1 src0=1 src1=1 src2=0
	v_mul_i32_i24_e32 v63 /*v319*/, v72 /*v328*/, v97 /*v353*/
	s_set_vgpr_msb 5                        ;  msbs: dst=0 src0=1 src1=1 src2=0
	v_add3_u32 v132, v100 /*v356*/, v86 /*v342*/, v132
	s_set_vgpr_msb 0x55                     ;  msbs: dst=1 src0=1 src1=1 src2=1
	v_mad_i32_i24 v101 /*v357*/, v73 /*v329*/, v106 /*v362*/, v101 /*v357*/
	s_set_vgpr_msb 0x45                     ;  msbs: dst=1 src0=1 src1=1 src2=0
	v_mad_i32_i24 v73 /*v329*/, v73 /*v329*/, v117 /*v373*/, v100
	s_set_vgpr_msb 5                        ;  msbs: dst=0 src0=1 src1=1 src2=0
	v_add3_u32 v252, v17 /*v273*/, v55 /*v311*/, v252
	s_set_vgpr_msb 0x45                     ;  msbs: dst=1 src0=1 src1=1 src2=0
	v_mul_i32_i24_e32 v17 /*v273*/, v59 /*v315*/, v8 /*v264*/
	s_set_vgpr_msb 0x41                     ;  msbs: dst=1 src0=1 src1=0 src2=0
	v_mul_i32_i24_e32 v55 /*v311*/, v84 /*v340*/, v157
	s_set_vgpr_msb 4                        ;  msbs: dst=0 src0=0 src1=1 src2=0
	v_add3_u32 v136, v242, v63 /*v319*/, v136
	s_set_vgpr_msb 0                        ;  msbs: dst=0 src0=0 src1=0 src2=0
	v_and_b32_e32 v100, 15, v149
	s_set_vgpr_msb 0x45                     ;  msbs: dst=1 src0=1 src1=1 src2=0
	v_mul_i32_i24_e32 v100 /*v356*/, v72 /*v328*/, v105 /*v361*/
	s_set_vgpr_msb 1                        ;  msbs: dst=0 src0=1 src1=0 src2=0
	v_mul_i32_i24_e32 v120, v64 /*v320*/, v120
	s_set_vgpr_msb 0x55                     ;  msbs: dst=1 src0=1 src1=1 src2=1
	v_add3_u32 v17 /*v273*/, v18 /*v274*/, v55 /*v311*/, v17 /*v273*/
	s_set_vgpr_msb 64                       ;  msbs: dst=1 src0=0 src1=0 src2=0
	v_bfe_i32 v18 /*v274*/, v134, 0, 8
	v_ashrrev_i32_e32 v55 /*v311*/, 24, v134
	s_set_vgpr_msb 0x45                     ;  msbs: dst=1 src0=1 src1=1 src2=0
	v_mul_i32_i24_e32 v102 /*v358*/, v72 /*v328*/, v111 /*v367*/
	s_set_vgpr_msb 5                        ;  msbs: dst=0 src0=1 src1=1 src2=0
	v_add3_u32 v120, v96 /*v352*/, v100 /*v356*/, v120
	s_set_vgpr_msb 1                        ;  msbs: dst=0 src0=1 src1=0 src2=0
	v_mul_i32_i24_e32 v112, v64 /*v320*/, v112
	s_set_vgpr_msb 5                        ;  msbs: dst=0 src0=1 src1=1 src2=0
	v_mul_i32_i24_e32 v242, v18 /*v274*/, v10 /*v266*/
	s_set_vgpr_msb 0x41                     ;  msbs: dst=1 src0=1 src1=0 src2=0
	v_mul_i32_i24_e32 v63 /*v319*/, v55 /*v311*/, v91
	v_ashrrev_i32_e32 v111 /*v367*/, 24, v102
	s_set_vgpr_msb 0x55                     ;  msbs: dst=1 src0=1 src1=1 src2=1
	v_add3_u32 v22 /*v278*/, v22 /*v278*/, v52 /*v308*/, v53 /*v309*/
	s_set_vgpr_msb 5                        ;  msbs: dst=0 src0=1 src1=1 src2=0
	v_add3_u32 v112, v101 /*v357*/, v102 /*v358*/, v112
	s_set_vgpr_msb 64                       ;  msbs: dst=1 src0=0 src1=0 src2=0
	v_and_b32_e32 v53 /*v309*/, 0xf0f0f0f, v145
	s_set_vgpr_msb 4                        ;  msbs: dst=0 src0=0 src1=1 src2=0
	v_add3_u32 v242, v246, v63 /*v319*/, v242
	s_set_vgpr_msb 5                        ;  msbs: dst=0 src0=1 src1=1 src2=0
	v_mul_i32_i24_e32 v246, v18 /*v274*/, v127 /*v383*/
	s_set_vgpr_msb 0x45                     ;  msbs: dst=1 src0=1 src1=1 src2=0
	v_mul_i32_i24_e32 v63 /*v319*/, v55 /*v311*/, v129 /*v385*/
	s_set_vgpr_msb 0x41                     ;  msbs: dst=1 src0=1 src1=0 src2=0
	v_mul_i32_i24_e32 v116 /*v372*/, v111 /*v367*/, v91
	s_set_vgpr_msb 20                       ;  msbs: dst=0 src0=0 src1=1 src2=1
	v_add3_u32 v120, v120, v20 /*v276*/, v19 /*v275*/
	s_set_vgpr_msb 0x45                     ;  msbs: dst=1 src0=1 src1=1 src2=0
	v_mul_i32_i24_e32 v72 /*v328*/, v72 /*v328*/, v119 /*v375*/
	v_mul_i32_i24_e32 v64 /*v320*/, v64 /*v320*/, v120 /*v376*/
	s_set_vgpr_msb 4                        ;  msbs: dst=0 src0=0 src1=1 src2=0
	v_add3_u32 v246, v247, v63 /*v319*/, v246
	s_set_vgpr_msb 5                        ;  msbs: dst=0 src0=1 src1=1 src2=0
	v_mul_i32_i24_e32 v247, v18 /*v274*/, v8 /*v264*/
	s_set_vgpr_msb 0x41                     ;  msbs: dst=1 src0=1 src1=0 src2=0
	v_mul_i32_i24_e32 v63 /*v319*/, v55 /*v311*/, v157
	s_set_vgpr_msb 5                        ;  msbs: dst=0 src0=1 src1=1 src2=0
	v_mul_i32_i24_e32 v145, v2 /*v258*/, v128 /*v384*/
	s_set_vgpr_msb 0x55                     ;  msbs: dst=1 src0=1 src1=1 src2=1
	v_add3_u32 v64 /*v320*/, v73 /*v329*/, v72 /*v328*/, v64 /*v320*/
	s_set_vgpr_msb 64                       ;  msbs: dst=1 src0=0 src1=0 src2=0
	v_lshrrev_b32_e32 v72 /*v328*/, 28, v146
	s_set_vgpr_msb 0x55                     ;  msbs: dst=1 src0=1 src1=1 src2=1
	v_add3_u32 v23 /*v279*/, v23 /*v279*/, v61 /*v317*/, v62 /*v318*/
	s_set_vgpr_msb 5                        ;  msbs: dst=0 src0=1 src1=1 src2=0
	v_add3_u32 v247, v66 /*v322*/, v63 /*v319*/, v247
	s_set_vgpr_msb 64                       ;  msbs: dst=1 src0=0 src1=0 src2=0
	v_bfe_i32 v63 /*v319*/, v124, 0, 8
	v_ashrrev_i32_e32 v66 /*v322*/, 24, v124
	s_set_vgpr_msb 4                        ;  msbs: dst=0 src0=0 src1=1 src2=0
	v_mul_i32_i24_e32 v255, v255, v80 /*v336*/
	s_set_vgpr_msb 64                       ;  msbs: dst=1 src0=0 src1=0 src2=0
	v_bfe_u32 v117 /*v373*/, v149, 8, 4
	v_bfe_u32 v85 /*v341*/, v149, 4, 4
	s_set_vgpr_msb 0x45                     ;  msbs: dst=1 src0=1 src1=1 src2=0
	v_mul_i32_i24_e32 v86 /*v342*/, v63 /*v319*/, v10 /*v266*/
	s_set_vgpr_msb 0x41                     ;  msbs: dst=1 src0=1 src1=0 src2=0
	v_mul_i32_i24_e32 v97 /*v353*/, v66 /*v322*/, v91
	s_set_vgpr_msb 64                       ;  msbs: dst=1 src0=0 src1=0 src2=0
	v_bfe_u32 v52 /*v308*/, v147, 16, 4
	v_bfe_u32 v131 /*v387*/, v149, 20, 4
	;; [unrolled: 1-line block ×4, first 2 shown]
	s_set_vgpr_msb 0x55                     ;  msbs: dst=1 src0=1 src1=1 src2=1
	v_add3_u32 v67 /*v323*/, v67 /*v323*/, v97 /*v353*/, v86 /*v342*/
	v_mul_i32_i24_e32 v86 /*v342*/, v63 /*v319*/, v127 /*v383*/
	v_mul_i32_i24_e32 v97 /*v353*/, v66 /*v322*/, v129 /*v385*/
	s_set_vgpr_msb 64                       ;  msbs: dst=1 src0=0 src1=0 src2=0
	v_bfe_u32 v130 /*v386*/, v148, 8, 4
	v_bfe_u32 v115 /*v371*/, v148, 24, 4
	;; [unrolled: 1-line block ×3, first 2 shown]
	s_set_vgpr_msb 4                        ;  msbs: dst=0 src0=0 src1=1 src2=0
	v_mul_i32_i24_e32 v118, v118, v80 /*v336*/
	s_set_vgpr_msb 0x55                     ;  msbs: dst=1 src0=1 src1=1 src2=1
	v_add3_u32 v69 /*v325*/, v69 /*v325*/, v97 /*v353*/, v86 /*v342*/
	v_mul_i32_i24_e32 v86 /*v342*/, v63 /*v319*/, v8 /*v264*/
	s_set_vgpr_msb 0x41                     ;  msbs: dst=1 src0=1 src1=0 src2=0
	v_mul_i32_i24_e32 v97 /*v353*/, v66 /*v322*/, v157
	s_set_vgpr_msb 4                        ;  msbs: dst=0 src0=0 src1=1 src2=0
	v_mul_i32_i24_e32 v116, v116, v80 /*v336*/
	s_set_vgpr_msb 64                       ;  msbs: dst=1 src0=0 src1=0 src2=0
	v_mul_i32_i24_e32 v30 /*v286*/, v227, v240
	s_set_vgpr_msb 0x44                     ;  msbs: dst=1 src0=0 src1=1 src2=0
	v_mul_i32_i24_e32 v31 /*v287*/, v226, v12 /*v268*/
	v_bfe_i32 v80 /*v336*/, v135, 0, 8
	s_set_vgpr_msb 0x55                     ;  msbs: dst=1 src0=1 src1=1 src2=1
	v_add3_u32 v70 /*v326*/, v70 /*v326*/, v97 /*v353*/, v86 /*v342*/
	s_set_vgpr_msb 64                       ;  msbs: dst=1 src0=0 src1=0 src2=0
	v_bfe_i32 v86 /*v342*/, v114, 0, 8
	v_ashrrev_i32_e32 v97 /*v353*/, 24, v114
	v_bfe_i32 v152 /*v408*/, v127, 8, 8
	s_set_vgpr_msb 0                        ;  msbs: dst=0 src0=0 src1=0 src2=0
	v_bfe_i32 v215, v87, 0, 8
	v_bfe_i32 v205, v87, 8, 8
	s_set_vgpr_msb 0x45                     ;  msbs: dst=1 src0=1 src1=1 src2=0
	v_mul_i32_i24_e32 v96 /*v352*/, v86 /*v342*/, v10 /*v266*/
	s_set_vgpr_msb 0x41                     ;  msbs: dst=1 src0=1 src1=0 src2=0
	v_mul_i32_i24_e32 v100 /*v356*/, v97 /*v353*/, v91
	s_set_vgpr_msb 0                        ;  msbs: dst=0 src0=0 src1=0 src2=0
	v_bfe_i32 v216, v87, 16, 8
	v_dual_ashrrev_i32 v217, 24, v87 :: v_dual_ashrrev_i32 v220, 24, v85
	v_cvt_f32_f16_e32 v87, v81
	s_set_vgpr_msb 20                       ;  msbs: dst=0 src0=0 src1=1 src2=1
	v_add3_u32 v248, v248, v100 /*v356*/, v96 /*v352*/
	s_set_vgpr_msb 0x45                     ;  msbs: dst=1 src0=1 src1=1 src2=0
	v_mul_i32_i24_e32 v96 /*v352*/, v86 /*v342*/, v127 /*v383*/
	v_mul_i32_i24_e32 v100 /*v356*/, v97 /*v353*/, v129 /*v385*/
	s_set_vgpr_msb 0                        ;  msbs: dst=0 src0=0 src1=0 src2=0
	v_cvt_f32_f16_e32 v81, v95
	v_lshrrev_b32_e32 v95, 16, v94
	v_cvt_f32_f16_e32 v86, v80
	v_cvt_f32_f16_e32 v80, v94
	s_set_vgpr_msb 0x55                     ;  msbs: dst=1 src0=1 src1=1 src2=1
	v_add3_u32 v71 /*v327*/, v71 /*v327*/, v100 /*v356*/, v96 /*v352*/
	v_mul_i32_i24_e32 v96 /*v352*/, v86 /*v342*/, v8 /*v264*/
	s_set_vgpr_msb 0x41                     ;  msbs: dst=1 src0=1 src1=0 src2=0
	v_mul_i32_i24_e32 v100 /*v356*/, v97 /*v353*/, v157
	s_set_vgpr_msb 0                        ;  msbs: dst=0 src0=0 src1=0 src2=0
	v_lshrrev_b32_e32 v94, 16, v225
	s_set_vgpr_msb 64                       ;  msbs: dst=1 src0=0 src1=0 src2=0
	v_bfe_i32 v140 /*v396*/, v125, 16, 8
	v_dual_lshrrev_b32 v113 /*v369*/, 28, v148 :: v_dual_bitop2_b32 v108 /*v364*/, 15, v148 bitop3:0x40
	s_set_vgpr_msb 0x55                     ;  msbs: dst=1 src0=1 src1=1 src2=1
	v_add3_u32 v74 /*v330*/, v74 /*v330*/, v100 /*v356*/, v96 /*v352*/
	s_set_vgpr_msb 64                       ;  msbs: dst=1 src0=0 src1=0 src2=0
	v_bfe_i32 v96 /*v352*/, v106, 0, 8
	v_ashrrev_i32_e32 v100 /*v356*/, 24, v106
	v_bfe_u32 v118 /*v374*/, v148, 16, 4
	s_set_vgpr_msb 0x44                     ;  msbs: dst=1 src0=0 src1=1 src2=0
	v_mul_i32_i24_e32 v32 /*v288*/, v221, v13 /*v269*/
	v_bfe_i32 v153 /*v409*/, v109, 8, 8
	s_set_vgpr_msb 0x45                     ;  msbs: dst=1 src0=1 src1=1 src2=0
	v_mul_i32_i24_e32 v101 /*v357*/, v96 /*v352*/, v10 /*v266*/
	s_set_vgpr_msb 0x41                     ;  msbs: dst=1 src0=1 src1=0 src2=0
	v_mul_i32_i24_e32 v102 /*v358*/, v100 /*v356*/, v91
	v_mul_i32_i24_e32 v105 /*v361*/, v100 /*v356*/, v157
	s_set_vgpr_msb 1                        ;  msbs: dst=0 src0=1 src1=0 src2=0
	v_mul_i32_i24_e32 v91, v87 /*v343*/, v91
	s_set_vgpr_msb 64                       ;  msbs: dst=1 src0=0 src1=0 src2=0
	v_mul_i32_i24_e32 v33 /*v289*/, v214, v241
	v_bfe_i32 v143 /*v399*/, v108, 0, 8
	s_set_vgpr_msb 0x55                     ;  msbs: dst=1 src0=1 src1=1 src2=1
	v_add3_u32 v82 /*v338*/, v82 /*v338*/, v102 /*v358*/, v101 /*v357*/
	v_mul_i32_i24_e32 v101 /*v357*/, v96 /*v352*/, v127 /*v383*/
	v_mul_i32_i24_e32 v102 /*v358*/, v100 /*v356*/, v129 /*v385*/
	s_set_vgpr_msb 64                       ;  msbs: dst=1 src0=0 src1=0 src2=0
	v_bfe_i32 v145 /*v401*/, v110, 8, 8
	v_bfe_i32 v146 /*v402*/, v110, 16, 8
	v_dual_ashrrev_i32 v155 /*v411*/, 24, v110 :: v_dual_ashrrev_i32 v156 /*v412*/, 24, v108
	s_set_vgpr_msb 0x55                     ;  msbs: dst=1 src0=1 src1=1 src2=1
	v_add3_u32 v101 /*v357*/, v122 /*v378*/, v102 /*v358*/, v101 /*v357*/
	v_mul_i32_i24_e32 v102 /*v358*/, v96 /*v352*/, v8 /*v264*/
	v_mul_i32_i24_e32 v122 /*v378*/, v111 /*v367*/, v129 /*v385*/
	s_set_vgpr_msb 64                       ;  msbs: dst=1 src0=0 src1=0 src2=0
	v_bfe_i32 v147 /*v403*/, v108, 16, 8
	v_bfe_i32 v154 /*v410*/, v111, 8, 8
	v_bfe_i32 v158 /*v414*/, v107, 8, 8
	s_set_vgpr_msb 0x55                     ;  msbs: dst=1 src0=1 src1=1 src2=1
	v_add3_u32 v102 /*v358*/, v123 /*v379*/, v105 /*v361*/, v102 /*v358*/
	s_set_vgpr_msb 64                       ;  msbs: dst=1 src0=0 src1=0 src2=0
	v_bfe_i32 v105 /*v361*/, v102, 0, 8
	s_set_vgpr_msb 0x41                     ;  msbs: dst=1 src0=1 src1=0 src2=0
	v_mul_i32_i24_e32 v123 /*v379*/, v111 /*v367*/, v157
	s_set_vgpr_msb 64                       ;  msbs: dst=1 src0=0 src1=0 src2=0
	v_bfe_i32 v159 /*v415*/, v107, 16, 8
	v_bfe_i32 v61 /*v317*/, v154, 0, 8
	;; [unrolled: 1-line block ×3, first 2 shown]
	s_set_vgpr_msb 0x45                     ;  msbs: dst=1 src0=1 src1=1 src2=0
	v_mul_i32_i24_e32 v104 /*v360*/, v105 /*v361*/, v10 /*v266*/
	v_mul_i32_i24_e32 v10 /*v266*/, v90 /*v346*/, v10 /*v266*/
	s_set_vgpr_msb 64                       ;  msbs: dst=1 src0=0 src1=0 src2=0
	v_bfe_i32 v160 /*v416*/, v97, 0, 8
	v_bfe_i32 v161 /*v417*/, v97, 8, 8
	;; [unrolled: 1-line block ×3, first 2 shown]
	s_set_vgpr_msb 0x55                     ;  msbs: dst=1 src0=1 src1=1 src2=1
	v_add3_u32 v104 /*v360*/, v124 /*v380*/, v116 /*v372*/, v104 /*v360*/
	s_set_vgpr_msb 16                       ;  msbs: dst=0 src0=0 src1=0 src2=1
	v_add3_u32 v91, v88, v91, v10 /*v266*/
	s_set_vgpr_msb 5                        ;  msbs: dst=0 src0=1 src1=1 src2=0
	v_mul_i32_i24_e32 v88, v90 /*v346*/, v127 /*v383*/
	s_set_vgpr_msb 0x45                     ;  msbs: dst=1 src0=1 src1=1 src2=0
	v_mul_i32_i24_e32 v10 /*v266*/, v87 /*v343*/, v129 /*v385*/
	v_mul_i32_i24_e32 v116 /*v372*/, v105 /*v361*/, v127 /*v383*/
	s_set_vgpr_msb 64                       ;  msbs: dst=1 src0=0 src1=0 src2=0
	v_bfe_u32 v124 /*v380*/, v146, 16, 4
	v_dual_ashrrev_i32 v165 /*v421*/, 24, v97 :: v_dual_ashrrev_i32 v171 /*v427*/, 24, v99
	s_set_vgpr_msb 0x44                     ;  msbs: dst=1 src0=0 src1=1 src2=0
	v_add3_u32 v10 /*v266*/, v89, v10 /*v266*/, v88
	s_set_vgpr_msb 5                        ;  msbs: dst=0 src0=1 src1=1 src2=0
	v_mul_i32_i24_e32 v88, v90 /*v346*/, v8 /*v264*/
	s_set_vgpr_msb 1                        ;  msbs: dst=0 src0=1 src1=0 src2=0
	v_mul_i32_i24_e32 v89, v87 /*v343*/, v157
	s_set_vgpr_msb 0x55                     ;  msbs: dst=1 src0=1 src1=1 src2=1
	v_add3_u32 v116 /*v372*/, v125 /*v381*/, v122 /*v378*/, v116 /*v372*/
	v_mul_i32_i24_e32 v122 /*v378*/, v105 /*v361*/, v8 /*v264*/
	s_set_vgpr_msb 64                       ;  msbs: dst=1 src0=0 src1=0 src2=0
	v_bfe_i32 v125 /*v381*/, v153, 0, 8
	v_bfe_i32 v87 /*v343*/, v153, 8, 8
	s_set_vgpr_msb 0x41                     ;  msbs: dst=1 src0=1 src1=0 src2=0
	v_add3_u32 v7 /*v263*/, v7 /*v263*/, v89, v88
	s_set_vgpr_msb 4                        ;  msbs: dst=0 src0=0 src1=1 src2=0
	v_cvt_f32_f16_e32 v89, v90
	v_cvt_f32_f16_e32 v88, v92
	v_mul_i32_i24_e32 v90, v253, v81 /*v337*/
	v_mul_i32_i24_e32 v92, v254, v38 /*v294*/
	s_set_vgpr_msb 0x55                     ;  msbs: dst=1 src0=1 src1=1 src2=1
	v_add3_u32 v122 /*v378*/, v126 /*v382*/, v123 /*v379*/, v122 /*v378*/
	s_set_vgpr_msb 64                       ;  msbs: dst=1 src0=0 src1=0 src2=0
	v_bfe_i32 v126 /*v382*/, v140, 8, 8
	s_set_vgpr_msb 0                        ;  msbs: dst=0 src0=0 src1=0 src2=0
	v_bfe_i32 v140, v140, 16, 8
	s_set_vgpr_msb 5                        ;  msbs: dst=0 src0=1 src1=1 src2=0
	v_mul_i32_i24_e32 v253, v99 /*v355*/, v65 /*v321*/
	s_set_vgpr_msb 0                        ;  msbs: dst=0 src0=0 src1=0 src2=0
	v_add3_u32 v90, v144, v92, v90
	s_set_vgpr_msb 5                        ;  msbs: dst=0 src0=1 src1=1 src2=0
	v_lshrrev_b16 v92, 8, v53 /*v309*/
	v_mul_i32_i24_e32 v144, v126 /*v382*/, v11 /*v267*/
	v_mul_i32_i24_e32 v254, v98 /*v354*/, v38 /*v294*/
	s_set_vgpr_msb 64                       ;  msbs: dst=1 src0=0 src1=0 src2=0
	v_bfe_i32 v90 /*v346*/, v153, 16, 8
	s_set_vgpr_msb 0                        ;  msbs: dst=0 src0=0 src1=0 src2=0
	v_ashrrev_i32_e32 v153, 24, v153
	s_set_vgpr_msb 64                       ;  msbs: dst=1 src0=0 src1=0 src2=0
	v_and_b32_e32 v141 /*v397*/, 0xffff, v92
	s_set_vgpr_msb 16                       ;  msbs: dst=0 src0=0 src1=0 src2=1
	v_add3_u32 v255, v90, v255, v0 /*v256*/
	s_set_vgpr_msb 0                        ;  msbs: dst=0 src0=0 src1=0 src2=0
	v_add3_u32 v136, v136, v253, v254
	s_set_vgpr_msb 64                       ;  msbs: dst=1 src0=0 src1=0 src2=0
	v_bfe_u32 v123 /*v379*/, v146, 24, 4
	s_set_vgpr_msb 4                        ;  msbs: dst=0 src0=0 src1=1 src2=0
	v_mul_i32_i24_e32 v90, v153, v150 /*v406*/
	v_mul_i32_i24_e32 v92, v155, v141 /*v397*/
	s_set_vgpr_msb 64                       ;  msbs: dst=1 src0=0 src1=0 src2=0
	v_ashrrev_i32_e32 v99 /*v355*/, 24, v127
	v_bfe_i32 v0 /*v256*/, v137, 0, 8
	v_bfe_i32 v98 /*v354*/, v139, 16, 8
	s_set_vgpr_msb 16                       ;  msbs: dst=0 src0=0 src1=0 src2=1
	v_mul_i32_i24_e32 v97, v234, v239
	v_add3_u32 v92, v245, v92, v79 /*v335*/
	s_set_vgpr_msb 4                        ;  msbs: dst=0 src0=0 src1=1 src2=0
	v_mul_i32_i24_e32 v245, v140, v5 /*v261*/
	s_set_vgpr_msb 64                       ;  msbs: dst=1 src0=0 src1=0 src2=0
	v_bfe_i32 v162 /*v418*/, v105, 16, 8
	v_ashrrev_i32_e32 v163 /*v419*/, 24, v105
	v_bfe_u32 v103 /*v359*/, v148, 4, 4
	s_set_vgpr_msb 1                        ;  msbs: dst=0 src0=1 src1=0 src2=0
	v_add3_u32 v92, v58 /*v314*/, v92, v90
	s_set_vgpr_msb 0                        ;  msbs: dst=0 src0=0 src1=0 src2=0
	v_add3_u32 v144, v251, v144, v245
	s_set_vgpr_msb 5                        ;  msbs: dst=0 src0=1 src1=1 src2=0
	v_mul_i32_i24_e32 v245, v126 /*v382*/, v128 /*v384*/
	s_set_vgpr_msb 4                        ;  msbs: dst=0 src0=0 src1=1 src2=0
	v_mul_i32_i24_e32 v251, v140, v46 /*v302*/
	s_set_vgpr_msb 64                       ;  msbs: dst=1 src0=0 src1=0 src2=0
	v_bfe_u32 v119 /*v375*/, v146, 4, 4
	v_bfe_i32 v157 /*v413*/, v96, 0, 8
	v_bfe_i32 v177 /*v433*/, v96, 8, 8
	;; [unrolled: 1-line block ×3, first 2 shown]
	s_set_vgpr_msb 0                        ;  msbs: dst=0 src0=0 src1=0 src2=0
	v_add3_u32 v245, v252, v245, v251
	s_set_vgpr_msb 5                        ;  msbs: dst=0 src0=1 src1=1 src2=0
	v_mul_i32_i24_e32 v251, v126 /*v382*/, v39 /*v295*/
	s_set_vgpr_msb 4                        ;  msbs: dst=0 src0=0 src1=1 src2=0
	v_mul_i32_i24_e32 v252, v140, v6 /*v262*/
	s_set_vgpr_msb 64                       ;  msbs: dst=1 src0=0 src1=0 src2=0
	v_bfe_i32 v166 /*v422*/, v98, 0, 8
	v_bfe_i32 v172 /*v428*/, v101, 0, 8
	;; [unrolled: 1-line block ×4, first 2 shown]
	s_set_vgpr_msb 1                        ;  msbs: dst=0 src0=1 src1=0 src2=0
	v_add3_u32 v251, v17 /*v273*/, v251, v252
	s_set_vgpr_msb 0                        ;  msbs: dst=0 src0=0 src1=0 src2=0
	v_bfe_i32 v252, v134, 8, 8
	v_bfe_i32 v134, v134, 16, 8
	s_set_vgpr_msb 0x45                     ;  msbs: dst=1 src0=1 src1=1 src2=0
	v_mul_i32_i24_e32 v17 /*v273*/, v138 /*v394*/, v38 /*v294*/
	s_set_vgpr_msb 64                       ;  msbs: dst=1 src0=0 src1=0 src2=0
	v_dual_lshrrev_b32 v138 /*v394*/, 28, v147 :: v_dual_ashrrev_i32 v175 /*v431*/, 24, v101
	v_ashrrev_i32_e32 v179 /*v435*/, 24, v98
	s_set_vgpr_msb 4                        ;  msbs: dst=0 src0=0 src1=1 src2=0
	v_mul_i32_i24_e32 v253, v252, v11 /*v267*/
	v_mul_i32_i24_e32 v254, v134, v5 /*v261*/
	s_set_vgpr_msb 64                       ;  msbs: dst=1 src0=0 src1=0 src2=0
	v_bfe_i32 v176 /*v432*/, v98, 8, 8
	v_bfe_i32 v178 /*v434*/, v98, 16, 8
	s_set_vgpr_msb 0                        ;  msbs: dst=0 src0=0 src1=0 src2=0
	v_cvt_f32_f16_e64 v84, v224
	v_mul_i32_i24_e32 v232, v205, v223
	v_add3_u32 v242, v242, v253, v254
	s_set_vgpr_msb 4                        ;  msbs: dst=0 src0=0 src1=1 src2=0
	v_mul_i32_i24_e32 v253, v252, v128 /*v384*/
	v_mul_i32_i24_e32 v254, v134, v46 /*v302*/
	s_set_vgpr_msb 0                        ;  msbs: dst=0 src0=0 src1=0 src2=0
	v_mul_i32_i24_e32 v233, v215, v229
	v_mul_i32_i24_e32 v224, v217, v230
	s_set_vgpr_msb 64                       ;  msbs: dst=1 src0=0 src1=0 src2=0
	v_bfe_i32 v73 /*v329*/, v154, 16, 8
	s_set_vgpr_msb 0                        ;  msbs: dst=0 src0=0 src1=0 src2=0
	v_ashrrev_i32_e32 v154, 24, v154
	v_add3_u32 v246, v246, v253, v254
	s_set_vgpr_msb 4                        ;  msbs: dst=0 src0=0 src1=1 src2=0
	v_mul_i32_i24_e32 v253, v252, v39 /*v295*/
	v_mul_i32_i24_e32 v254, v134, v6 /*v262*/
	s_set_vgpr_msb 64                       ;  msbs: dst=1 src0=0 src1=0 src2=0
	v_bfe_u32 v106 /*v362*/, v148, 12, 4
	s_set_vgpr_msb 0                        ;  msbs: dst=0 src0=0 src1=0 src2=0
	v_bfe_u32 v148, v148, 20, 4
	s_set_vgpr_msb 64                       ;  msbs: dst=1 src0=0 src1=0 src2=0
	v_bfe_u32 v120 /*v376*/, v146, 12, 4
	s_set_vgpr_msb 0                        ;  msbs: dst=0 src0=0 src1=0 src2=0
	v_bfe_u32 v146, v146, 20, 4
	v_add3_u32 v247, v247, v253, v254
	v_bfe_i32 v253, v124, 8, 8
	v_bfe_i32 v124, v124, 16, 8
	s_set_vgpr_msb 5                        ;  msbs: dst=0 src0=1 src1=1 src2=0
	v_mul_i32_i24_e32 v254, v139 /*v395*/, v65 /*v321*/
	s_set_vgpr_msb 64                       ;  msbs: dst=1 src0=0 src1=0 src2=0
	v_bfe_u32 v139 /*v395*/, v147, 20, 4
	v_bfe_i32 v167 /*v423*/, v103, 8, 8
	s_set_vgpr_msb 0                        ;  msbs: dst=0 src0=0 src1=0 src2=0
	v_bfe_i32 v218, v85, 0, 8
	s_set_vgpr_msb 0x44                     ;  msbs: dst=1 src0=0 src1=1 src2=0
	v_mul_i32_i24_e32 v53 /*v309*/, v124, v46 /*v302*/
	s_set_vgpr_msb 16                       ;  msbs: dst=0 src0=0 src1=0 src2=1
	v_add3_u32 v132, v132, v254, v17 /*v273*/
	s_set_vgpr_msb 4                        ;  msbs: dst=0 src0=0 src1=1 src2=0
	v_mul_i32_i24_e32 v254, v253, v11 /*v267*/
	s_set_vgpr_msb 0x44                     ;  msbs: dst=1 src0=0 src1=1 src2=0
	v_mul_i32_i24_e32 v17 /*v273*/, v124, v5 /*v261*/
	v_bfe_i32 v35 /*v291*/, v85, 8, 8
	s_set_vgpr_msb 0                        ;  msbs: dst=0 src0=0 src1=0 src2=0
	v_bfe_i32 v219, v85, 16, 8
	v_cvt_f32_f16_e64 v85, v225
	v_mul_i32_i24_e32 v225, v216, v222
	s_set_vgpr_msb 17                       ;  msbs: dst=0 src0=1 src1=0 src2=1
	v_add3_u32 v254, v67 /*v323*/, v254, v17 /*v273*/
	s_set_vgpr_msb 0x44                     ;  msbs: dst=1 src0=0 src1=1 src2=0
	v_mul_i32_i24_e32 v17 /*v273*/, v253, v128 /*v384*/
	v_mul_i32_i24_e32 v67 /*v323*/, v124, v6 /*v262*/
	s_set_vgpr_msb 0                        ;  msbs: dst=0 src0=0 src1=0 src2=0
	v_mul_i32_i24_e32 v244, v219, v213
	v_bfe_i32 v212, v83, 0, 8
	s_set_vgpr_msb 64                       ;  msbs: dst=1 src0=0 src1=0 src2=0
	v_bfe_i32 v169 /*v425*/, v99, 8, 8
	s_set_vgpr_msb 0x55                     ;  msbs: dst=1 src0=1 src1=1 src2=1
	v_add3_u32 v17 /*v273*/, v69 /*v325*/, v17 /*v273*/, v53 /*v309*/
	s_set_vgpr_msb 0x44                     ;  msbs: dst=1 src0=0 src1=1 src2=0
	v_mul_i32_i24_e32 v53 /*v309*/, v253, v39 /*v295*/
	s_set_vgpr_msb 1                        ;  msbs: dst=0 src0=1 src1=0 src2=0
	v_mul_i32_i24_e32 v209, v35 /*v291*/, v206
	s_set_vgpr_msb 64                       ;  msbs: dst=1 src0=0 src1=0 src2=0
	v_bfe_i32 v168 /*v424*/, v99, 0, 8
	v_bfe_i32 v170 /*v426*/, v99, 16, 8
	s_set_vgpr_msb 0                        ;  msbs: dst=0 src0=0 src1=0 src2=0
	v_bfe_i32 v211, v83, 8, 8
	s_set_vgpr_msb 0x55                     ;  msbs: dst=1 src0=1 src1=1 src2=1
	v_add3_u32 v53 /*v309*/, v70 /*v326*/, v53 /*v309*/, v67 /*v323*/
	s_set_vgpr_msb 64                       ;  msbs: dst=1 src0=0 src1=0 src2=0
	v_bfe_i32 v67 /*v323*/, v114, 8, 8
	s_set_vgpr_msb 0                        ;  msbs: dst=0 src0=0 src1=0 src2=0
	v_bfe_i32 v114, v114, 16, 8
	s_set_vgpr_msb 0x45                     ;  msbs: dst=1 src0=1 src1=1 src2=0
	v_mul_i32_i24_e32 v70 /*v326*/, v77 /*v333*/, v65 /*v321*/
	s_set_vgpr_msb 64                       ;  msbs: dst=1 src0=0 src1=0 src2=0
	v_bfe_i32 v77 /*v333*/, v102, 16, 8
	s_set_vgpr_msb 0                        ;  msbs: dst=0 src0=0 src1=0 src2=0
	v_bfe_i32 v210, v83, 16, 8
	s_set_vgpr_msb 0x45                     ;  msbs: dst=1 src0=1 src1=1 src2=0
	v_mul_i32_i24_e32 v19 /*v275*/, v67 /*v323*/, v11 /*v267*/
	s_set_vgpr_msb 0x44                     ;  msbs: dst=1 src0=0 src1=1 src2=0
	v_mul_i32_i24_e32 v20 /*v276*/, v114, v5 /*v261*/
	v_mul_i32_i24_e32 v69 /*v325*/, v114, v6 /*v262*/
	s_set_vgpr_msb 20                       ;  msbs: dst=0 src0=0 src1=1 src2=1
	v_add3_u32 v112, v112, v70 /*v326*/, v3 /*v259*/
	s_set_vgpr_msb 0x45                     ;  msbs: dst=1 src0=1 src1=1 src2=0
	v_mul_i32_i24_e32 v79 /*v335*/, v77 /*v333*/, v46 /*v302*/
	s_set_vgpr_msb 1                        ;  msbs: dst=0 src0=1 src1=0 src2=0
	v_mul_i32_i24_e32 v98, v77 /*v333*/, v239
	s_set_vgpr_msb 20                       ;  msbs: dst=0 src0=0 src1=1 src2=1
	v_add3_u32 v248, v248, v19 /*v275*/, v20 /*v276*/
	s_set_vgpr_msb 0x45                     ;  msbs: dst=1 src0=1 src1=1 src2=0
	v_mul_i32_i24_e32 v19 /*v275*/, v67 /*v323*/, v128 /*v384*/
	s_set_vgpr_msb 0x44                     ;  msbs: dst=1 src0=0 src1=1 src2=0
	v_mul_i32_i24_e32 v20 /*v276*/, v114, v46 /*v302*/
	s_set_vgpr_msb 0                        ;  msbs: dst=0 src0=0 src1=0 src2=0
	v_cvt_f32_f16_e64 v83, v151
	v_mul_i32_i24_e32 v151, v218, v204
	s_set_vgpr_msb 4                        ;  msbs: dst=0 src0=0 src1=1 src2=0
	v_mul_i32_i24_e32 v99, v208, v45 /*v301*/
	v_pk_mul_f32 v[88:89], v[88:89], s[12:13] op_sel_hi:[1,0]
	s_set_vgpr_msb 0x55                     ;  msbs: dst=1 src0=1 src1=1 src2=1
	v_add3_u32 v19 /*v275*/, v71 /*v327*/, v19 /*v275*/, v20 /*v276*/
	v_mul_i32_i24_e32 v20 /*v276*/, v67 /*v323*/, v39 /*v295*/
	s_set_vgpr_msb 0                        ;  msbs: dst=0 src0=0 src1=0 src2=0
	v_add_nc_u32_e32 v197, 4, v197
	s_set_vgpr_msb 64                       ;  msbs: dst=1 src0=0 src1=0 src2=0
	v_ashrrev_i32_e32 v144 /*v400*/, 24, v111
	s_add_co_i32 s14, s14, 4
	s_set_vgpr_msb 0                        ;  msbs: dst=0 src0=0 src1=0 src2=0
	v_ashrrev_i32_e32 v96, 24, v96
	s_set_vgpr_msb 0x55                     ;  msbs: dst=1 src0=1 src1=1 src2=1
	v_add3_u32 v20 /*v276*/, v74 /*v330*/, v20 /*v276*/, v69 /*v325*/
	s_set_vgpr_msb 64                       ;  msbs: dst=1 src0=0 src1=0 src2=0
	v_bfe_i32 v69 /*v325*/, v106, 8, 8
	s_set_vgpr_msb 0                        ;  msbs: dst=0 src0=0 src1=0 src2=0
	v_bfe_i32 v106, v106, 16, 8
	s_cmp_lt_u32 s14, 28
	v_add_nc_u32_e32 v198, 32, v198
	s_set_vgpr_msb 0x45                     ;  msbs: dst=1 src0=1 src1=1 src2=0
	v_mul_i32_i24_e32 v3 /*v259*/, v69 /*v325*/, v11 /*v267*/
	s_set_vgpr_msb 0x44                     ;  msbs: dst=1 src0=0 src1=1 src2=0
	v_mul_i32_i24_e32 v70 /*v326*/, v106, v5 /*v261*/
	v_mul_i32_i24_e32 v71 /*v327*/, v106, v46 /*v302*/
	;; [unrolled: 1-line block ×3, first 2 shown]
	s_set_vgpr_msb 0x55                     ;  msbs: dst=1 src0=1 src1=1 src2=1
	s_delay_alu instid0(VALU_DEP_3) | instskip(SKIP_2) | instid1(VALU_DEP_2)
	v_add3_u32 v3 /*v259*/, v82 /*v338*/, v3 /*v259*/, v70 /*v326*/
	v_mul_i32_i24_e32 v70 /*v326*/, v69 /*v325*/, v128 /*v384*/
	v_mul_i32_i24_e32 v82 /*v338*/, v77 /*v333*/, v6 /*v262*/
	v_add3_u32 v70 /*v326*/, v101 /*v357*/, v70 /*v326*/, v71 /*v327*/
	v_mul_i32_i24_e32 v71 /*v327*/, v69 /*v325*/, v39 /*v295*/
	s_set_vgpr_msb 64                       ;  msbs: dst=1 src0=0 src1=0 src2=0
	v_ashrrev_i32_e32 v101 /*v357*/, 24, v135
	s_set_vgpr_msb 0x55                     ;  msbs: dst=1 src0=1 src1=1 src2=1
	s_delay_alu instid0(VALU_DEP_2)
	v_add3_u32 v71 /*v327*/, v102 /*v358*/, v71 /*v327*/, v74 /*v330*/
	s_set_vgpr_msb 64                       ;  msbs: dst=1 src0=0 src1=0 src2=0
	v_bfe_i32 v74 /*v330*/, v102, 8, 8
	s_set_vgpr_msb 5                        ;  msbs: dst=0 src0=1 src1=1 src2=0
	v_mul_i32_i24_e32 v102, v121 /*v377*/, v65 /*v321*/
	s_set_vgpr_msb 64                       ;  msbs: dst=1 src0=0 src1=0 src2=0
	v_bfe_u32 v121 /*v377*/, v149, 12, 4
	v_bfe_i32 v102 /*v358*/, v131, 0, 8
	s_set_vgpr_msb 1                        ;  msbs: dst=0 src0=1 src1=0 src2=0
	v_mul_i32_i24_e32 v101, v74 /*v330*/, v250
	s_set_vgpr_msb 16                       ;  msbs: dst=0 src0=0 src1=0 src2=1
	v_add3_u32 v104, v104, v102, v57 /*v313*/
	s_set_vgpr_msb 5                        ;  msbs: dst=0 src0=1 src1=1 src2=0
	v_mul_i32_i24_e32 v102, v74 /*v330*/, v11 /*v267*/
	s_set_vgpr_msb 0x45                     ;  msbs: dst=1 src0=1 src1=1 src2=0
	v_mul_i32_i24_e32 v57 /*v313*/, v77 /*v333*/, v5 /*v261*/
	v_mul_i32_i24_e32 v5 /*v261*/, v88 /*v344*/, v5 /*v261*/
	s_set_vgpr_msb 0x51                     ;  msbs: dst=1 src0=1 src1=0 src2=1
	s_delay_alu instid0(VALU_DEP_2) | instskip(SKIP_4) | instid1(VALU_DEP_2)
	v_add3_u32 v57 /*v313*/, v104 /*v360*/, v102, v57 /*v313*/
	s_set_vgpr_msb 5                        ;  msbs: dst=0 src0=1 src1=1 src2=0
	v_mul_i32_i24_e32 v102, v74 /*v330*/, v128 /*v384*/
	s_set_vgpr_msb 0x51                     ;  msbs: dst=1 src0=1 src1=0 src2=1
	v_ashrrev_i32_e32 v104 /*v360*/, 24, v133
	v_add3_u32 v79 /*v335*/, v116 /*v372*/, v102, v79 /*v335*/
	s_set_vgpr_msb 5                        ;  msbs: dst=0 src0=1 src1=1 src2=0
	v_mul_i32_i24_e32 v102, v74 /*v330*/, v39 /*v295*/
	s_set_vgpr_msb 64                       ;  msbs: dst=1 src0=0 src1=0 src2=0
	v_bfe_i32 v116 /*v372*/, v130, 8, 8
	s_set_vgpr_msb 0x51                     ;  msbs: dst=1 src0=1 src1=0 src2=1
	s_delay_alu instid0(VALU_DEP_2)
	v_add3_u32 v82 /*v338*/, v122 /*v378*/, v102, v82 /*v338*/
	s_set_vgpr_msb 5                        ;  msbs: dst=0 src0=1 src1=1 src2=0
	v_mul_i32_i24_e32 v102, v4 /*v260*/, v38 /*v294*/
	s_set_vgpr_msb 0x45                     ;  msbs: dst=1 src0=1 src1=1 src2=0
	v_mul_i32_i24_e32 v4 /*v260*/, v37 /*v293*/, v65 /*v321*/
	s_set_vgpr_msb 64                       ;  msbs: dst=1 src0=0 src1=0 src2=0
	v_lshrrev_b32_e32 v122 /*v378*/, 28, v149
	s_set_vgpr_msb 0                        ;  msbs: dst=0 src0=0 src1=0 src2=0
	v_bfe_u32 v149, v147, 24, 4
	s_set_vgpr_msb 21                       ;  msbs: dst=0 src0=1 src1=1 src2=1
	v_add3_u32 v147, v16 /*v272*/, v28 /*v284*/, v29 /*v285*/
	s_set_vgpr_msb 64                       ;  msbs: dst=1 src0=0 src1=0 src2=0
	v_bfe_i32 v16 /*v272*/, v143, 0, 8
	s_set_vgpr_msb 0x45                     ;  msbs: dst=1 src0=1 src1=1 src2=0
	v_add3_u32 v4 /*v260*/, v64 /*v320*/, v4 /*v260*/, v102
	s_set_vgpr_msb 5                        ;  msbs: dst=0 src0=1 src1=1 src2=0
	v_mul_i32_i24_e32 v102, v1 /*v257*/, v127 /*v383*/
	s_set_vgpr_msb 64                       ;  msbs: dst=1 src0=0 src1=0 src2=0
	v_dual_ashrrev_i32 v37 /*v293*/, 24, v141 :: v_dual_ashrrev_i32 v64 /*v320*/, 24, v139
	v_ashrrev_i32_e32 v65 /*v321*/, 24, v129
	v_bfe_i32 v29 /*v285*/, v141, 8, 8
	s_set_vgpr_msb 1                        ;  msbs: dst=0 src0=1 src1=0 src2=0
	v_add3_u32 v145, v22 /*v278*/, v102, v145
	s_set_vgpr_msb 5                        ;  msbs: dst=0 src0=1 src1=1 src2=0
	v_mul_i32_i24_e32 v102, v1 /*v257*/, v8 /*v264*/
	s_set_vgpr_msb 0x45                     ;  msbs: dst=1 src0=1 src1=1 src2=0
	v_mul_i32_i24_e32 v8 /*v264*/, v2 /*v258*/, v39 /*v295*/
	s_set_vgpr_msb 64                       ;  msbs: dst=1 src0=0 src1=0 src2=0
	v_bfe_i32 v22 /*v278*/, v143, 8, 8
	v_bfe_i32 v38 /*v294*/, v126, 0, 8
	;; [unrolled: 1-line block ×3, first 2 shown]
	v_mul_i32_i24_e32 v28 /*v284*/, v220, v207
	s_set_vgpr_msb 0x51                     ;  msbs: dst=1 src0=1 src1=0 src2=1
	v_add3_u32 v8 /*v264*/, v23 /*v279*/, v102, v8 /*v264*/
	s_set_vgpr_msb 64                       ;  msbs: dst=1 src0=0 src1=0 src2=0
	v_bfe_i32 v23 /*v279*/, v143, 16, 8
	s_set_vgpr_msb 0                        ;  msbs: dst=0 src0=0 src1=0 src2=0
	v_ashrrev_i32_e32 v143, 24, v143
	s_set_vgpr_msb 5                        ;  msbs: dst=0 src0=1 src1=1 src2=0
	v_mul_i32_i24_e32 v90, v22 /*v278*/, v12 /*v268*/
	v_mul_i32_i24_e32 v102, v89 /*v345*/, v11 /*v267*/
	s_set_vgpr_msb 0x45                     ;  msbs: dst=1 src0=1 src1=1 src2=0
	v_mul_i32_i24_e32 v11 /*v267*/, v88 /*v344*/, v46 /*v302*/
	s_set_vgpr_msb 0x44                     ;  msbs: dst=1 src0=0 src1=1 src2=0
	v_mul_i32_i24_e32 v58 /*v314*/, v143, v13 /*v269*/
	s_set_vgpr_msb 16                       ;  msbs: dst=0 src0=0 src1=0 src2=1
	v_add3_u32 v91, v91, v102, v5 /*v261*/
	s_set_vgpr_msb 5                        ;  msbs: dst=0 src0=1 src1=1 src2=0
	v_mul_i32_i24_e32 v102, v89 /*v345*/, v128 /*v384*/
	s_set_vgpr_msb 64                       ;  msbs: dst=1 src0=0 src1=0 src2=0
	v_bfe_i32 v5 /*v261*/, v141, 0, 8
	s_set_vgpr_msb 4                        ;  msbs: dst=0 src0=0 src1=1 src2=0
	v_add3_u32 v144, v144, v58 /*v314*/, v90
	s_set_vgpr_msb 5                        ;  msbs: dst=0 src0=1 src1=1 src2=0
	v_mul_i32_i24_e32 v90, v22 /*v278*/, v130 /*v386*/
	s_set_vgpr_msb 0x44                     ;  msbs: dst=1 src0=0 src1=1 src2=0
	v_mul_i32_i24_e32 v58 /*v314*/, v143, v115 /*v371*/
	s_set_vgpr_msb 0x51                     ;  msbs: dst=1 src0=1 src1=0 src2=1
	v_add3_u32 v10 /*v266*/, v10 /*v266*/, v102, v11 /*v267*/
	s_set_vgpr_msb 64                       ;  msbs: dst=1 src0=0 src1=0 src2=0
	v_bfe_i32 v11 /*v267*/, v141, 16, 8
	s_set_vgpr_msb 5                        ;  msbs: dst=0 src0=1 src1=1 src2=0
	v_mul_i32_i24_e32 v141, v89 /*v345*/, v39 /*v295*/
	s_set_vgpr_msb 0x45                     ;  msbs: dst=1 src0=1 src1=1 src2=0
	v_mul_i32_i24_e32 v39 /*v295*/, v88 /*v344*/, v6 /*v262*/
	s_set_vgpr_msb 4                        ;  msbs: dst=0 src0=0 src1=1 src2=0
	v_add3_u32 v245, v245, v58 /*v314*/, v90
	s_set_vgpr_msb 5                        ;  msbs: dst=0 src0=1 src1=1 src2=0
	v_mul_i32_i24_e32 v90, v22 /*v278*/, v48 /*v304*/
	s_set_vgpr_msb 0x44                     ;  msbs: dst=1 src0=0 src1=1 src2=0
	v_mul_i32_i24_e32 v58 /*v314*/, v143, v123 /*v379*/
	s_set_vgpr_msb 64                       ;  msbs: dst=1 src0=0 src1=0 src2=0
	v_ashrrev_i32_e32 v88 /*v344*/, 24, v137
	s_set_vgpr_msb 17                       ;  msbs: dst=0 src0=1 src1=0 src2=1
	v_add3_u32 v141, v7 /*v263*/, v141, v39 /*v295*/
	s_set_vgpr_msb 64                       ;  msbs: dst=1 src0=0 src1=0 src2=0
	v_bfe_i32 v7 /*v263*/, v127, 0, 8
	v_bfe_i32 v39 /*v295*/, v127, 16, 8
	s_set_vgpr_msb 4                        ;  msbs: dst=0 src0=0 src1=1 src2=0
	v_add3_u32 v251, v251, v58 /*v314*/, v90
	s_set_vgpr_msb 64                       ;  msbs: dst=1 src0=0 src1=0 src2=0
	v_bfe_i32 v58 /*v314*/, v139, 8, 8
	s_set_vgpr_msb 5                        ;  msbs: dst=0 src0=1 src1=1 src2=0
	v_mul_i32_i24_e32 v90, v136 /*v392*/, v81 /*v337*/
	s_set_vgpr_msb 20                       ;  msbs: dst=0 src0=0 src1=1 src2=1
	v_add3_u32 v127, v147, v31 /*v287*/, v30 /*v286*/
	s_set_vgpr_msb 64                       ;  msbs: dst=1 src0=0 src1=0 src2=0
	v_bfe_i32 v136 /*v392*/, v131, 8, 8
	v_bfe_i32 v30 /*v286*/, v131, 16, 8
	v_ashrrev_i32_e32 v31 /*v287*/, 24, v131
	s_set_vgpr_msb 0                        ;  msbs: dst=0 src0=0 src1=0 src2=0
	v_add3_u32 v136, v136, v90, v142
	s_set_vgpr_msb 5                        ;  msbs: dst=0 src0=1 src1=1 src2=0
	v_mul_i32_i24_e32 v90, v58 /*v314*/, v12 /*v268*/
	v_mul_i32_i24_e32 v142, v64 /*v320*/, v13 /*v269*/
	s_set_vgpr_msb 0                        ;  msbs: dst=0 src0=0 src1=0 src2=0
	v_mul_i32_i24_e32 v131, v237, v157
	s_set_vgpr_msb 64                       ;  msbs: dst=1 src0=0 src1=0 src2=0
	v_ashrrev_i32_e32 v128 /*v384*/, 24, v126
	s_set_vgpr_msb 0                        ;  msbs: dst=0 src0=0 src1=0 src2=0
	v_bfe_i32 v147, v129, 0, 8
	v_bfe_i32 v157, v129, 16, 8
	v_add3_u32 v142, v242, v142, v90
	s_set_vgpr_msb 5                        ;  msbs: dst=0 src0=1 src1=1 src2=0
	v_mul_i32_i24_e32 v90, v58 /*v314*/, v130 /*v386*/
	v_mul_i32_i24_e32 v242, v64 /*v320*/, v115 /*v371*/
	s_set_vgpr_msb 64                       ;  msbs: dst=1 src0=0 src1=0 src2=0
	v_bfe_i32 v89 /*v345*/, v139, 0, 8
	s_set_vgpr_msb 4                        ;  msbs: dst=0 src0=0 src1=1 src2=0
	v_mul_i32_i24_e32 v102, v212, v42 /*v298*/
	s_set_vgpr_msb 0                        ;  msbs: dst=0 src0=0 src1=0 src2=0
	v_add3_u32 v242, v246, v242, v90
	s_set_vgpr_msb 5                        ;  msbs: dst=0 src0=1 src1=1 src2=0
	v_mul_i32_i24_e32 v90, v58 /*v314*/, v48 /*v304*/
	v_mul_i32_i24_e32 v246, v64 /*v320*/, v123 /*v379*/
	s_set_vgpr_msb 0                        ;  msbs: dst=0 src0=0 src1=0 src2=0
	s_delay_alu instid0(VALU_DEP_1)
	v_add3_u32 v246, v247, v246, v90
	v_bfe_i32 v247, v129, 8, 8
	s_set_vgpr_msb 5                        ;  msbs: dst=0 src0=1 src1=1 src2=0
	v_mul_i32_i24_e32 v90, v21 /*v277*/, v81 /*v337*/
	s_set_vgpr_msb 64                       ;  msbs: dst=1 src0=0 src1=0 src2=0
	v_bfe_i32 v21 /*v277*/, v123, 8, 8
	s_set_vgpr_msb 0                        ;  msbs: dst=0 src0=0 src1=0 src2=0
	s_delay_alu instid0(VALU_DEP_2)
	v_add3_u32 v132, v132, v90, v138
	s_set_vgpr_msb 4                        ;  msbs: dst=0 src0=0 src1=1 src2=0
	v_mul_i32_i24_e32 v90, v247, v12 /*v268*/
	s_set_vgpr_msb 5                        ;  msbs: dst=0 src0=1 src1=1 src2=0
	v_mul_i32_i24_e32 v138, v65 /*v321*/, v13 /*v269*/
	s_set_vgpr_msb 0                        ;  msbs: dst=0 src0=0 src1=0 src2=0
	s_delay_alu instid0(VALU_DEP_1)
	v_add3_u32 v138, v254, v138, v90
	s_set_vgpr_msb 4                        ;  msbs: dst=0 src0=0 src1=1 src2=0
	v_mul_i32_i24_e32 v90, v247, v130 /*v386*/
	s_set_vgpr_msb 5                        ;  msbs: dst=0 src0=1 src1=1 src2=0
	v_mul_i32_i24_e32 v254, v65 /*v321*/, v115 /*v371*/
	s_set_vgpr_msb 1                        ;  msbs: dst=0 src0=1 src1=0 src2=0
	s_delay_alu instid0(VALU_DEP_1) | instskip(SKIP_4) | instid1(VALU_DEP_1)
	v_add3_u32 v254, v17 /*v273*/, v254, v90
	s_set_vgpr_msb 4                        ;  msbs: dst=0 src0=0 src1=1 src2=0
	v_mul_i32_i24_e32 v90, v247, v48 /*v304*/
	s_set_vgpr_msb 0x45                     ;  msbs: dst=1 src0=1 src1=1 src2=0
	v_mul_i32_i24_e32 v17 /*v273*/, v65 /*v321*/, v123 /*v379*/
	v_add3_u32 v17 /*v273*/, v53 /*v309*/, v17 /*v273*/, v90
	s_set_vgpr_msb 64                       ;  msbs: dst=1 src0=0 src1=0 src2=0
	v_ashrrev_i32_e32 v53 /*v309*/, 24, v123
	s_set_vgpr_msb 5                        ;  msbs: dst=0 src0=1 src1=1 src2=0
	v_mul_i32_i24_e32 v90, v34 /*v290*/, v81 /*v337*/
	s_set_vgpr_msb 64                       ;  msbs: dst=1 src0=0 src1=0 src2=0
	v_ashrrev_i32_e32 v34 /*v290*/, 24, v119
	s_set_vgpr_msb 0                        ;  msbs: dst=0 src0=0 src1=0 src2=0
	s_delay_alu instid0(VALU_DEP_2) | instskip(SKIP_4) | instid1(VALU_DEP_1)
	v_add3_u32 v120, v120, v90, v128
	s_set_vgpr_msb 5                        ;  msbs: dst=0 src0=1 src1=1 src2=0
	v_mul_i32_i24_e32 v90, v21 /*v277*/, v12 /*v268*/
	v_mul_i32_i24_e32 v128, v53 /*v309*/, v13 /*v269*/
	s_set_vgpr_msb 0                        ;  msbs: dst=0 src0=0 src1=0 src2=0
	v_add3_u32 v128, v248, v128, v90
	s_set_vgpr_msb 5                        ;  msbs: dst=0 src0=1 src1=1 src2=0
	v_mul_i32_i24_e32 v90, v21 /*v277*/, v130 /*v386*/
	v_mul_i32_i24_e32 v248, v53 /*v309*/, v115 /*v371*/
	s_set_vgpr_msb 1                        ;  msbs: dst=0 src0=1 src1=0 src2=0
	s_delay_alu instid0(VALU_DEP_1) | instskip(SKIP_4) | instid1(VALU_DEP_1)
	v_add3_u32 v248, v19 /*v275*/, v248, v90
	s_set_vgpr_msb 5                        ;  msbs: dst=0 src0=1 src1=1 src2=0
	v_mul_i32_i24_e32 v90, v21 /*v277*/, v48 /*v304*/
	s_set_vgpr_msb 0x45                     ;  msbs: dst=1 src0=1 src1=1 src2=0
	v_mul_i32_i24_e32 v19 /*v275*/, v53 /*v309*/, v123 /*v379*/
	v_add3_u32 v19 /*v275*/, v20 /*v276*/, v19 /*v275*/, v90
	s_set_vgpr_msb 64                       ;  msbs: dst=1 src0=0 src1=0 src2=0
	v_bfe_i32 v20 /*v276*/, v119, 8, 8
	s_set_vgpr_msb 5                        ;  msbs: dst=0 src0=1 src1=1 src2=0
	v_mul_i32_i24_e32 v90, v54 /*v310*/, v81 /*v337*/
	s_set_vgpr_msb 0x45                     ;  msbs: dst=1 src0=1 src1=1 src2=0
	v_mul_i32_i24_e32 v54 /*v310*/, v34 /*v290*/, v123 /*v379*/
	s_set_vgpr_msb 0                        ;  msbs: dst=0 src0=0 src1=0 src2=0
	s_delay_alu instid0(VALU_DEP_2) | instskip(SKIP_4) | instid1(VALU_DEP_1)
	v_add3_u32 v112, v112, v90, v122
	s_set_vgpr_msb 5                        ;  msbs: dst=0 src0=1 src1=1 src2=0
	v_mul_i32_i24_e32 v90, v20 /*v276*/, v12 /*v268*/
	v_mul_i32_i24_e32 v122, v34 /*v290*/, v13 /*v269*/
	s_set_vgpr_msb 1                        ;  msbs: dst=0 src0=1 src1=0 src2=0
	v_add3_u32 v122, v3 /*v259*/, v122, v90
	s_set_vgpr_msb 5                        ;  msbs: dst=0 src0=1 src1=1 src2=0
	v_mul_i32_i24_e32 v90, v20 /*v276*/, v130 /*v386*/
	s_set_vgpr_msb 0x45                     ;  msbs: dst=1 src0=1 src1=1 src2=0
	v_mul_i32_i24_e32 v3 /*v259*/, v34 /*v290*/, v115 /*v371*/
	s_delay_alu instid0(VALU_DEP_1)
	v_add3_u32 v3 /*v259*/, v70 /*v326*/, v3 /*v259*/, v90
	s_set_vgpr_msb 5                        ;  msbs: dst=0 src0=1 src1=1 src2=0
	v_mul_i32_i24_e32 v90, v20 /*v276*/, v48 /*v304*/
	s_set_vgpr_msb 64                       ;  msbs: dst=1 src0=0 src1=0 src2=0
	v_bfe_i32 v70 /*v326*/, v117, 8, 8
	s_set_vgpr_msb 0x45                     ;  msbs: dst=1 src0=1 src1=1 src2=0
	s_delay_alu instid0(VALU_DEP_2)
	v_add3_u32 v54 /*v310*/, v71 /*v327*/, v54 /*v310*/, v90
	s_set_vgpr_msb 64                       ;  msbs: dst=1 src0=0 src1=0 src2=0
	v_ashrrev_i32_e32 v71 /*v327*/, 24, v117
	s_set_vgpr_msb 5                        ;  msbs: dst=0 src0=1 src1=1 src2=0
	v_mul_i32_i24_e32 v90, v9 /*v265*/, v81 /*v337*/
	s_set_vgpr_msb 0x45                     ;  msbs: dst=1 src0=1 src1=1 src2=0
	s_delay_alu instid0(VALU_DEP_2) | instskip(SKIP_1) | instid1(VALU_DEP_2)
	v_mul_i32_i24_e32 v9 /*v265*/, v71 /*v327*/, v115 /*v371*/
	s_set_vgpr_msb 0                        ;  msbs: dst=0 src0=0 src1=0 src2=0
	v_add3_u32 v104, v104, v90, v118
	s_set_vgpr_msb 5                        ;  msbs: dst=0 src0=1 src1=1 src2=0
	v_mul_i32_i24_e32 v90, v70 /*v326*/, v12 /*v268*/
	v_mul_i32_i24_e32 v118, v71 /*v327*/, v13 /*v269*/
	s_set_vgpr_msb 1                        ;  msbs: dst=0 src0=1 src1=0 src2=0
	s_delay_alu instid0(VALU_DEP_1) | instskip(SKIP_4) | instid1(VALU_DEP_2)
	v_add3_u32 v118, v57 /*v313*/, v118, v90
	s_set_vgpr_msb 5                        ;  msbs: dst=0 src0=1 src1=1 src2=0
	v_mul_i32_i24_e32 v90, v70 /*v326*/, v130 /*v386*/
	s_set_vgpr_msb 0x45                     ;  msbs: dst=1 src0=1 src1=1 src2=0
	v_mul_i32_i24_e32 v57 /*v313*/, v71 /*v327*/, v123 /*v379*/
	v_add3_u32 v9 /*v265*/, v79 /*v335*/, v9 /*v265*/, v90
	s_set_vgpr_msb 5                        ;  msbs: dst=0 src0=1 src1=1 src2=0
	v_mul_i32_i24_e32 v90, v70 /*v326*/, v48 /*v304*/
	s_set_vgpr_msb 64                       ;  msbs: dst=1 src0=0 src1=0 src2=0
	v_bfe_i32 v79 /*v335*/, v137, 8, 8
	s_set_vgpr_msb 0x45                     ;  msbs: dst=1 src0=1 src1=1 src2=0
	s_delay_alu instid0(VALU_DEP_2)
	v_add3_u32 v57 /*v313*/, v82 /*v338*/, v57 /*v313*/, v90
	s_set_vgpr_msb 4                        ;  msbs: dst=0 src0=0 src1=1 src2=0
	v_mul_i32_i24_e32 v90, v249, v81 /*v337*/
	s_set_vgpr_msb 64                       ;  msbs: dst=1 src0=0 src1=0 src2=0
	v_bfe_i32 v81 /*v337*/, v135, 16, 8
	v_bfe_i32 v82 /*v338*/, v137, 16, 8
	s_set_vgpr_msb 0                        ;  msbs: dst=0 src0=0 src1=0 src2=0
	v_bfe_i32 v249, v130, 0, 8
	s_set_vgpr_msb 1                        ;  msbs: dst=0 src0=1 src1=0 src2=0
	v_add3_u32 v116, v4 /*v260*/, v90, v116
	s_set_vgpr_msb 64                       ;  msbs: dst=1 src0=0 src1=0 src2=0
	v_bfe_i32 v4 /*v260*/, v135, 8, 8
	s_set_vgpr_msb 4                        ;  msbs: dst=0 src0=0 src1=1 src2=0
	v_mul_i32_i24_e32 v90, v234, v46 /*v302*/
	v_mul_i32_i24_e32 v135, v237, v129 /*v385*/
	s_set_vgpr_msb 64                       ;  msbs: dst=1 src0=0 src1=0 src2=0
	v_bfe_i32 v46 /*v302*/, v133, 0, 8
	v_bfe_i32 v129 /*v385*/, v125, 0, 8
	s_set_vgpr_msb 0                        ;  msbs: dst=0 src0=0 src1=0 src2=0
	v_add3_u32 v135, v145, v90, v135
	s_set_vgpr_msb 4                        ;  msbs: dst=0 src0=0 src1=1 src2=0
	v_mul_i32_i24_e32 v90, v234, v6 /*v262*/
	s_set_vgpr_msb 64                       ;  msbs: dst=1 src0=0 src1=0 src2=0
	v_bfe_i32 v6 /*v262*/, v133, 8, 8
	s_set_vgpr_msb 4                        ;  msbs: dst=0 src0=0 src1=1 src2=0
	v_mul_i32_i24_e32 v234, v215, v119 /*v375*/
	s_set_vgpr_msb 1                        ;  msbs: dst=0 src0=1 src1=0 src2=0
	v_add3_u32 v131, v8 /*v264*/, v90, v131
	s_set_vgpr_msb 64                       ;  msbs: dst=1 src0=0 src1=0 src2=0
	v_bfe_i32 v8 /*v264*/, v133, 16, 8
	s_set_vgpr_msb 4                        ;  msbs: dst=0 src0=0 src1=1 src2=0
	v_mul_i32_i24_e32 v90, v161, v12 /*v268*/
	s_set_vgpr_msb 5                        ;  msbs: dst=0 src0=1 src1=1 src2=0
	v_mul_i32_i24_e32 v133, v91 /*v347*/, v13 /*v269*/
	s_set_vgpr_msb 64                       ;  msbs: dst=1 src0=0 src1=0 src2=0
	v_bfe_i32 v12 /*v268*/, v130, 16, 8
	v_ashrrev_i32_e32 v13 /*v269*/, 24, v130
	s_set_vgpr_msb 0                        ;  msbs: dst=0 src0=0 src1=0 src2=0
	v_add3_u32 v133, v91, v133, v90
	s_set_vgpr_msb 4                        ;  msbs: dst=0 src0=0 src1=1 src2=0
	v_mul_i32_i24_e32 v90, v161, v130 /*v386*/
	s_set_vgpr_msb 5                        ;  msbs: dst=0 src0=1 src1=1 src2=0
	v_mul_i32_i24_e32 v91, v91 /*v347*/, v115 /*v371*/
	s_set_vgpr_msb 1                        ;  msbs: dst=0 src0=1 src1=0 src2=0
	s_delay_alu instid0(VALU_DEP_1)
	v_add3_u32 v137, v10 /*v266*/, v91, v90
	s_set_vgpr_msb 4                        ;  msbs: dst=0 src0=0 src1=1 src2=0
	v_cvt_f32_f16_e32 v91, v93
	v_cvt_f32_f16_e32 v90, v95
	v_mul_i32_i24_e32 v93, v161, v48 /*v304*/
	s_set_vgpr_msb 5                        ;  msbs: dst=0 src0=1 src1=1 src2=0
	v_mul_i32_i24_e32 v95, v91 /*v347*/, v123 /*v379*/
	s_set_vgpr_msb 64                       ;  msbs: dst=1 src0=0 src1=0 src2=0
	v_bfe_i32 v91 /*v347*/, v125, 8, 8
	s_set_vgpr_msb 1                        ;  msbs: dst=0 src0=1 src1=0 src2=0
	v_ashrrev_i32_e32 v161, 24, v125
	v_mul_i32_i24_e32 v125, v2 /*v258*/, v250
	s_set_vgpr_msb 64                       ;  msbs: dst=1 src0=0 src1=0 src2=0
	v_bfe_i32 v10 /*v266*/, v126, 8, 8
	s_set_vgpr_msb 0                        ;  msbs: dst=0 src0=0 src1=0 src2=0
	v_add3_u32 v95, v141, v95, v93
	s_set_vgpr_msb 1                        ;  msbs: dst=0 src0=1 src1=0 src2=0
	v_mul_i32_i24_e32 v93, v1 /*v257*/, v243
	s_set_vgpr_msb 5                        ;  msbs: dst=0 src0=1 src1=1 src2=0
	v_mul_i32_i24_e32 v126, v90 /*v346*/, v151 /*v407*/
	s_set_vgpr_msb 64                       ;  msbs: dst=1 src0=0 src1=0 src2=0
	v_bfe_i32 v2 /*v258*/, v123, 16, 8
	v_bfe_i32 v1 /*v257*/, v121, 16, 8
	s_set_vgpr_msb 0                        ;  msbs: dst=0 src0=0 src1=0 src2=0
	v_pk_mul_f32 v[90:91], v[90:91], s[12:13] op_sel_hi:[1,0]
	v_add3_u32 v125, v255, v93, v125
	s_set_vgpr_msb 5                        ;  msbs: dst=0 src0=1 src1=1 src2=0
	v_mul_i32_i24_e32 v93, v87 /*v343*/, v149 /*v405*/
	s_set_vgpr_msb 0                        ;  msbs: dst=0 src0=0 src1=0 src2=0
	v_bfe_i32 v255, v121, 0, 8
	s_set_vgpr_msb 5                        ;  msbs: dst=0 src0=1 src1=1 src2=0
	s_delay_alu instid0(VALU_DEP_2) | instskip(SKIP_1) | instid1(VALU_DEP_1)
	v_mad_i32_i24 v93, v125 /*v381*/, v148 /*v404*/, v93
	s_set_vgpr_msb 0                        ;  msbs: dst=0 src0=0 src1=0 src2=0
	v_add3_u32 v126, v92, v93, v126
	s_set_vgpr_msb 1                        ;  msbs: dst=0 src0=1 src1=0 src2=0
	v_mul_i32_i24_e32 v92, v16 /*v272*/, v240
	v_mul_i32_i24_e32 v93, v23 /*v279*/, v241
	s_set_vgpr_msb 0                        ;  msbs: dst=0 src0=0 src1=0 src2=0
	s_delay_alu instid0(VALU_DEP_1) | instskip(SKIP_4) | instid1(VALU_DEP_1)
	v_add3_u32 v129, v144, v92, v93
	s_set_vgpr_msb 5                        ;  msbs: dst=0 src0=1 src1=1 src2=0
	v_mul_i32_i24_e32 v92, v16 /*v272*/, v108 /*v364*/
	v_mul_i32_i24_e32 v93, v23 /*v279*/, v118 /*v374*/
	s_set_vgpr_msb 0                        ;  msbs: dst=0 src0=0 src1=0 src2=0
	v_add3_u32 v130, v245, v92, v93
	s_set_vgpr_msb 5                        ;  msbs: dst=0 src0=1 src1=1 src2=0
	v_mul_i32_i24_e32 v92, v16 /*v272*/, v49 /*v305*/
	v_mul_i32_i24_e32 v93, v23 /*v279*/, v124 /*v380*/
	s_set_vgpr_msb 0                        ;  msbs: dst=0 src0=0 src1=0 src2=0
	v_bfe_i32 v245, v109, 0, 8
	s_delay_alu instid0(VALU_DEP_2)
	v_add3_u32 v139, v251, v92, v93
	s_set_vgpr_msb 1                        ;  msbs: dst=0 src0=1 src1=0 src2=0
	v_mul_i32_i24_e32 v92, v59 /*v315*/, v243
	s_set_vgpr_msb 5                        ;  msbs: dst=0 src0=1 src1=1 src2=0
	v_mul_i32_i24_e32 v93, v84 /*v340*/, v68 /*v324*/
	s_set_vgpr_msb 0                        ;  msbs: dst=0 src0=0 src1=0 src2=0
	v_bfe_i32 v251, v109, 16, 8
	s_set_vgpr_msb 64                       ;  msbs: dst=1 src0=0 src1=0 src2=0
	v_bfe_i32 v59 /*v315*/, v117, 16, 8
	v_bfe_i32 v84 /*v340*/, v115, 8, 8
	s_set_vgpr_msb 0                        ;  msbs: dst=0 src0=0 src1=0 src2=0
	v_add3_u32 v136, v136, v93, v92
	s_set_vgpr_msb 1                        ;  msbs: dst=0 src0=1 src1=0 src2=0
	v_mul_i32_i24_e32 v92, v89 /*v345*/, v240
	v_mul_i32_i24_e32 v93, v98 /*v354*/, v241
	s_set_vgpr_msb 0                        ;  msbs: dst=0 src0=0 src1=0 src2=0
	s_delay_alu instid0(VALU_DEP_1) | instskip(SKIP_4) | instid1(VALU_DEP_1)
	v_add3_u32 v141, v142, v92, v93
	s_set_vgpr_msb 5                        ;  msbs: dst=0 src0=1 src1=1 src2=0
	v_mul_i32_i24_e32 v92, v89 /*v345*/, v108 /*v364*/
	v_mul_i32_i24_e32 v93, v98 /*v354*/, v118 /*v374*/
	s_set_vgpr_msb 0                        ;  msbs: dst=0 src0=0 src1=0 src2=0
	v_add3_u32 v142, v242, v92, v93
	s_set_vgpr_msb 5                        ;  msbs: dst=0 src0=1 src1=1 src2=0
	v_mul_i32_i24_e32 v92, v89 /*v345*/, v49 /*v305*/
	v_mul_i32_i24_e32 v93, v98 /*v354*/, v124 /*v380*/
	s_set_vgpr_msb 0                        ;  msbs: dst=0 src0=0 src1=0 src2=0
	s_delay_alu instid0(VALU_DEP_1)
	v_add3_u32 v144, v246, v92, v93
	s_set_vgpr_msb 1                        ;  msbs: dst=0 src0=1 src1=0 src2=0
	v_mul_i32_i24_e32 v92, v18 /*v274*/, v243
	s_set_vgpr_msb 5                        ;  msbs: dst=0 src0=1 src1=1 src2=0
	v_mul_i32_i24_e32 v93, v55 /*v311*/, v68 /*v324*/
	s_set_vgpr_msb 0                        ;  msbs: dst=0 src0=0 src1=0 src2=0
	v_bfe_i32 v246, v123, 0, 8
	s_set_vgpr_msb 64                       ;  msbs: dst=1 src0=0 src1=0 src2=0
	v_ashrrev_i32_e32 v55 /*v311*/, 24, v109
	v_bfe_i32 v18 /*v274*/, v119, 16, 8
	s_set_vgpr_msb 0                        ;  msbs: dst=0 src0=0 src1=0 src2=0
	v_add3_u32 v132, v132, v93, v92
	v_mul_i32_i24_e32 v92, v147, v240
	v_mul_i32_i24_e32 v93, v157, v241
	s_delay_alu instid0(VALU_DEP_1) | instskip(SKIP_4) | instid1(VALU_DEP_1)
	v_add3_u32 v138, v138, v92, v93
	s_set_vgpr_msb 4                        ;  msbs: dst=0 src0=0 src1=1 src2=0
	v_mul_i32_i24_e32 v92, v147, v108 /*v364*/
	v_mul_i32_i24_e32 v93, v157, v118 /*v374*/
	s_set_vgpr_msb 0                        ;  msbs: dst=0 src0=0 src1=0 src2=0
	v_add3_u32 v145, v254, v92, v93
	s_set_vgpr_msb 4                        ;  msbs: dst=0 src0=0 src1=1 src2=0
	v_mul_i32_i24_e32 v92, v147, v49 /*v305*/
	v_mul_i32_i24_e32 v93, v157, v124 /*v380*/
	v_bfe_i32 v254, v121, 8, 8
	s_set_vgpr_msb 0                        ;  msbs: dst=0 src0=0 src1=0 src2=0
	v_mul_i32_i24_e32 v147, v147, v152
	s_set_vgpr_msb 1                        ;  msbs: dst=0 src0=1 src1=0 src2=0
	v_add3_u32 v242, v17 /*v273*/, v92, v93
	v_mul_i32_i24_e32 v92, v63 /*v319*/, v243
	s_set_vgpr_msb 5                        ;  msbs: dst=0 src0=1 src1=1 src2=0
	v_mul_i32_i24_e32 v93, v66 /*v322*/, v68 /*v324*/
	s_set_vgpr_msb 64                       ;  msbs: dst=1 src0=0 src1=0 src2=0
	v_ashrrev_i32_e32 v17 /*v273*/, 24, v121
	v_bfe_i32 v63 /*v319*/, v115, 16, 8
	v_bfe_i32 v66 /*v322*/, v110, 0, 8
	s_set_vgpr_msb 4                        ;  msbs: dst=0 src0=0 src1=1 src2=0
	v_mul_i32_i24_e32 v110, v226, v48 /*v304*/
	s_set_vgpr_msb 0                        ;  msbs: dst=0 src0=0 src1=0 src2=0
	v_add3_u32 v109, v120, v93, v92
	v_mul_i32_i24_e32 v92, v246, v240
	s_set_vgpr_msb 1                        ;  msbs: dst=0 src0=1 src1=0 src2=0
	v_mul_i32_i24_e32 v93, v2 /*v258*/, v241
	s_set_vgpr_msb 0                        ;  msbs: dst=0 src0=0 src1=0 src2=0
	s_delay_alu instid0(VALU_DEP_1)
	v_add3_u32 v120, v128, v92, v93
	s_set_vgpr_msb 4                        ;  msbs: dst=0 src0=0 src1=1 src2=0
	v_mul_i32_i24_e32 v92, v246, v108 /*v364*/
	s_set_vgpr_msb 5                        ;  msbs: dst=0 src0=1 src1=1 src2=0
	v_mul_i32_i24_e32 v93, v2 /*v258*/, v118 /*v374*/
	s_set_vgpr_msb 0                        ;  msbs: dst=0 src0=0 src1=0 src2=0
	s_delay_alu instid0(VALU_DEP_1)
	v_add3_u32 v121, v248, v92, v93
	s_set_vgpr_msb 4                        ;  msbs: dst=0 src0=0 src1=1 src2=0
	v_mul_i32_i24_e32 v92, v246, v49 /*v305*/
	s_set_vgpr_msb 5                        ;  msbs: dst=0 src0=1 src1=1 src2=0
	v_mul_i32_i24_e32 v93, v2 /*v258*/, v124 /*v380*/
	s_set_vgpr_msb 0                        ;  msbs: dst=0 src0=0 src1=0 src2=0
	v_bfe_i32 v248, v119, 0, 8
	s_set_vgpr_msb 1                        ;  msbs: dst=0 src0=1 src1=0 src2=0
	s_delay_alu instid0(VALU_DEP_2)
	v_add3_u32 v123, v19 /*v275*/, v92, v93
	v_mul_i32_i24_e32 v92, v86 /*v342*/, v243
	s_set_vgpr_msb 5                        ;  msbs: dst=0 src0=1 src1=1 src2=0
	v_mul_i32_i24_e32 v93, v97 /*v353*/, v68 /*v324*/
	s_set_vgpr_msb 64                       ;  msbs: dst=1 src0=0 src1=0 src2=0
	v_bfe_i32 v19 /*v275*/, v115, 0, 8
	v_bfe_i32 v86 /*v342*/, v111, 0, 8
	;; [unrolled: 1-line block ×3, first 2 shown]
	s_set_vgpr_msb 0                        ;  msbs: dst=0 src0=0 src1=0 src2=0
	v_add3_u32 v112, v112, v93, v92
	v_mul_i32_i24_e32 v92, v248, v240
	s_set_vgpr_msb 1                        ;  msbs: dst=0 src0=1 src1=0 src2=0
	v_mul_i32_i24_e32 v93, v18 /*v274*/, v241
	s_set_vgpr_msb 0                        ;  msbs: dst=0 src0=0 src1=0 src2=0
	s_delay_alu instid0(VALU_DEP_1)
	v_add3_u32 v119, v122, v92, v93
	s_set_vgpr_msb 4                        ;  msbs: dst=0 src0=0 src1=1 src2=0
	v_mul_i32_i24_e32 v92, v248, v108 /*v364*/
	s_set_vgpr_msb 5                        ;  msbs: dst=0 src0=1 src1=1 src2=0
	v_mul_i32_i24_e32 v93, v18 /*v274*/, v118 /*v374*/
	s_set_vgpr_msb 1                        ;  msbs: dst=0 src0=1 src1=0 src2=0
	s_delay_alu instid0(VALU_DEP_1)
	v_add3_u32 v122, v3 /*v259*/, v92, v93
	s_set_vgpr_msb 4                        ;  msbs: dst=0 src0=0 src1=1 src2=0
	v_mul_i32_i24_e32 v92, v248, v49 /*v305*/
	s_set_vgpr_msb 5                        ;  msbs: dst=0 src0=1 src1=1 src2=0
	v_mul_i32_i24_e32 v93, v18 /*v274*/, v124 /*v380*/
	s_set_vgpr_msb 64                       ;  msbs: dst=1 src0=0 src1=0 src2=0
	v_ashrrev_i32_e32 v3 /*v259*/, 24, v115
	s_set_vgpr_msb 1                        ;  msbs: dst=0 src0=1 src1=0 src2=0
	s_delay_alu instid0(VALU_DEP_2)
	v_add3_u32 v128, v54 /*v310*/, v92, v93
	s_set_vgpr_msb 64                       ;  msbs: dst=1 src0=0 src1=0 src2=0
	v_bfe_i32 v54 /*v310*/, v117, 0, 8
	s_set_vgpr_msb 1                        ;  msbs: dst=0 src0=1 src1=0 src2=0
	v_mul_i32_i24_e32 v92, v96 /*v352*/, v243
	s_set_vgpr_msb 5                        ;  msbs: dst=0 src0=1 src1=1 src2=0
	v_mul_i32_i24_e32 v93, v100 /*v356*/, v68 /*v324*/
	s_set_vgpr_msb 64                       ;  msbs: dst=1 src0=0 src1=0 src2=0
	v_bfe_i32 v96 /*v352*/, v111, 16, 8
	s_set_vgpr_msb 20                       ;  msbs: dst=0 src0=0 src1=1 src2=1
	v_add3_u32 v111, v127, v33 /*v289*/, v32 /*v288*/
	s_set_vgpr_msb 1                        ;  msbs: dst=0 src0=1 src1=0 src2=0
	v_mul_i32_i24_e32 v127, v92 /*v348*/, v241
	s_set_vgpr_msb 64                       ;  msbs: dst=1 src0=0 src1=0 src2=0
	v_bfe_i32 v100 /*v356*/, v113, 8, 8
	s_set_vgpr_msb 0                        ;  msbs: dst=0 src0=0 src1=0 src2=0
	v_add3_u32 v104, v104, v93, v92
	s_set_vgpr_msb 1                        ;  msbs: dst=0 src0=1 src1=0 src2=0
	v_mul_i32_i24_e32 v92, v54 /*v310*/, v240
	v_mul_i32_i24_e32 v93, v59 /*v315*/, v241
	s_set_vgpr_msb 0                        ;  msbs: dst=0 src0=0 src1=0 src2=0
	s_delay_alu instid0(VALU_DEP_1) | instskip(SKIP_4) | instid1(VALU_DEP_1)
	v_add3_u32 v115, v118, v92, v93
	s_set_vgpr_msb 5                        ;  msbs: dst=0 src0=1 src1=1 src2=0
	v_mul_i32_i24_e32 v92, v54 /*v310*/, v108 /*v364*/
	v_mul_i32_i24_e32 v93, v59 /*v315*/, v118 /*v374*/
	s_set_vgpr_msb 1                        ;  msbs: dst=0 src0=1 src1=0 src2=0
	v_add3_u32 v117, v9 /*v265*/, v92, v93
	s_set_vgpr_msb 5                        ;  msbs: dst=0 src0=1 src1=1 src2=0
	v_mul_i32_i24_e32 v92, v54 /*v310*/, v49 /*v305*/
	v_mul_i32_i24_e32 v93, v59 /*v315*/, v124 /*v380*/
	s_set_vgpr_msb 64                       ;  msbs: dst=1 src0=0 src1=0 src2=0
	v_bfe_i32 v9 /*v265*/, v103, 0, 8
	s_set_vgpr_msb 1                        ;  msbs: dst=0 src0=1 src1=0 src2=0
	s_delay_alu instid0(VALU_DEP_2)
	v_add3_u32 v118, v57 /*v313*/, v92, v93
	v_mul_i32_i24_e32 v92, v105 /*v361*/, v243
	s_set_vgpr_msb 5                        ;  msbs: dst=0 src0=1 src1=1 src2=0
	v_mul_i32_i24_e32 v93, v111 /*v367*/, v68 /*v324*/
	s_set_vgpr_msb 64                       ;  msbs: dst=1 src0=0 src1=0 src2=0
	v_ashrrev_i32_e32 v111 /*v367*/, 24, v113
	s_set_vgpr_msb 0                        ;  msbs: dst=0 src0=0 src1=0 src2=0
	v_bfe_i32 v243, v107, 0, 8
	s_set_vgpr_msb 64                       ;  msbs: dst=1 src0=0 src1=0 src2=0
	v_bfe_i32 v105 /*v361*/, v113, 16, 8
	s_set_vgpr_msb 0                        ;  msbs: dst=0 src0=0 src1=0 src2=0
	v_add3_u32 v116, v116, v93, v92
	s_set_vgpr_msb 4                        ;  msbs: dst=0 src0=0 src1=1 src2=0
	v_mul_i32_i24_e32 v93, v226, v130 /*v386*/
	s_set_vgpr_msb 64                       ;  msbs: dst=1 src0=0 src1=0 src2=0
	v_bfe_i32 v130 /*v386*/, v108, 8, 8
	s_set_vgpr_msb 4                        ;  msbs: dst=0 src0=0 src1=1 src2=0
	v_mul_i32_i24_e32 v108, v227, v49 /*v305*/
	v_mul_i32_i24_e32 v92, v227, v108 /*v364*/
	s_set_vgpr_msb 0                        ;  msbs: dst=0 src0=0 src1=0 src2=0
	v_add3_u32 v98, v116, v101, v98
	s_set_vgpr_msb 4                        ;  msbs: dst=0 src0=0 src1=1 src2=0
	v_mul_i32_i24_e32 v101, v221, v123 /*v379*/
	s_set_vgpr_msb 1                        ;  msbs: dst=0 src0=1 src1=0 src2=0
	v_mul_i32_i24_e32 v116, v140 /*v396*/, v146
	s_set_vgpr_msb 0                        ;  msbs: dst=0 src0=0 src1=0 src2=0
	v_add3_u32 v108, v131, v110, v108
	s_set_vgpr_msb 1                        ;  msbs: dst=0 src0=1 src1=0 src2=0
	v_mul_i32_i24_e32 v110, v95 /*v351*/, v240
	v_ashrrev_i32_e32 v240, 24, v107
	s_set_vgpr_msb 5                        ;  msbs: dst=0 src0=1 src1=1 src2=0
	v_mul_i32_i24_e32 v107, v95 /*v351*/, v108 /*v364*/
	v_mul_i32_i24_e32 v131, v92 /*v348*/, v124 /*v380*/
	s_set_vgpr_msb 0                        ;  msbs: dst=0 src0=0 src1=0 src2=0
	v_add3_u32 v113, v135, v93, v92
	v_add3_u32 v110, v133, v110, v127
	s_set_vgpr_msb 5                        ;  msbs: dst=0 src0=1 src1=1 src2=0
	v_mul_i32_i24_e32 v127, v92 /*v348*/, v118 /*v374*/
	s_set_vgpr_msb 64                       ;  msbs: dst=1 src0=0 src1=0 src2=0
	v_bfe_i32 v92 /*v348*/, v105, 8, 8
	s_set_vgpr_msb 1                        ;  msbs: dst=0 src0=1 src1=0 src2=0
	v_cvt_f32_f16_e64 v93, v14 /*v270*/
	s_set_vgpr_msb 64                       ;  msbs: dst=1 src0=0 src1=0 src2=0
	v_ashrrev_i32_e32 v14 /*v270*/, 24, v103
	s_set_vgpr_msb 1                        ;  msbs: dst=0 src0=1 src1=0 src2=0
	v_cvt_f32_f16_e64 v92, v15 /*v271*/
	s_set_vgpr_msb 0                        ;  msbs: dst=0 src0=0 src1=0 src2=0
	v_add3_u32 v127, v137, v107, v127
	s_set_vgpr_msb 5                        ;  msbs: dst=0 src0=1 src1=1 src2=0
	v_mul_i32_i24_e32 v107, v95 /*v351*/, v49 /*v305*/
	s_set_vgpr_msb 64                       ;  msbs: dst=1 src0=0 src1=0 src2=0
	v_bfe_i32 v95 /*v351*/, v105, 0, 8
	s_set_vgpr_msb 0x45                     ;  msbs: dst=1 src0=1 src1=1 src2=0
	v_mul_i32_i24_e32 v15 /*v271*/, v35 /*v291*/, v26 /*v282*/
	s_set_vgpr_msb 0                        ;  msbs: dst=0 src0=0 src1=0 src2=0
	v_pk_mul_f32 v[92:93], v[92:93], s[12:13] op_sel_hi:[1,0]
	v_add3_u32 v131, v95, v107, v131
	s_set_vgpr_msb 4                        ;  msbs: dst=0 src0=0 src1=1 src2=0
	v_mul_i32_i24_e32 v95, v237, v68 /*v324*/
	v_mul_i32_i24_e32 v107, v214, v124 /*v380*/
	;; [unrolled: 1-line block ×3, first 2 shown]
	s_set_vgpr_msb 0                        ;  msbs: dst=0 src0=0 src1=0 src2=0
	s_delay_alu instid0(VALU_DEP_3) | instskip(SKIP_4) | instid1(VALU_DEP_1)
	v_add3_u32 v105, v125, v97, v95
	s_set_vgpr_msb 5                        ;  msbs: dst=0 src0=1 src1=1 src2=0
	v_mul_i32_i24_e32 v95, v61 /*v317*/, v93 /*v349*/
	v_mul_i32_i24_e32 v97, v62 /*v318*/, v110 /*v366*/
	s_set_vgpr_msb 0                        ;  msbs: dst=0 src0=0 src1=0 src2=0
	v_add3_u32 v125, v126, v95, v97
	s_set_vgpr_msb 1                        ;  msbs: dst=0 src0=1 src1=0 src2=0
	v_mul_i32_i24_e32 v95, v5 /*v261*/, v229
	v_mul_i32_i24_e32 v97, v37 /*v293*/, v230
	s_set_vgpr_msb 0                        ;  msbs: dst=0 src0=0 src1=0 src2=0
	s_delay_alu instid0(VALU_DEP_1) | instskip(SKIP_4) | instid1(VALU_DEP_1)
	v_add3_u32 v126, v129, v97, v95
	s_set_vgpr_msb 5                        ;  msbs: dst=0 src0=1 src1=1 src2=0
	v_mul_i32_i24_e32 v95, v5 /*v261*/, v103 /*v359*/
	v_mul_i32_i24_e32 v97, v37 /*v293*/, v113 /*v369*/
	s_set_vgpr_msb 0                        ;  msbs: dst=0 src0=0 src1=0 src2=0
	v_add3_u32 v129, v130, v97, v95
	s_set_vgpr_msb 5                        ;  msbs: dst=0 src0=1 src1=1 src2=0
	v_mul_i32_i24_e32 v95, v5 /*v261*/, v119 /*v375*/
	v_mul_i32_i24_e32 v97, v37 /*v293*/, v72 /*v328*/
	s_set_vgpr_msb 0x41                     ;  msbs: dst=1 src0=1 src1=0 src2=0
	v_mul_i32_i24_e32 v5 /*v261*/, v5 /*v261*/, v236
	s_set_vgpr_msb 0                        ;  msbs: dst=0 src0=0 src1=0 src2=0
	s_delay_alu instid0(VALU_DEP_2)
	v_add3_u32 v130, v139, v97, v95
	v_mul_i32_i24_e32 v95, v140, v239
	s_set_vgpr_msb 1                        ;  msbs: dst=0 src0=1 src1=0 src2=0
	v_mul_i32_i24_e32 v97, v126 /*v382*/, v250
	s_set_vgpr_msb 64                       ;  msbs: dst=1 src0=0 src1=0 src2=0
	v_bfe_i32 v126 /*v382*/, v103, 16, 8
	s_set_vgpr_msb 4                        ;  msbs: dst=0 src0=0 src1=1 src2=0
	v_mul_i32_i24_e32 v103, v211, v43 /*v299*/
	s_set_vgpr_msb 0                        ;  msbs: dst=0 src0=0 src1=0 src2=0
	v_add3_u32 v133, v136, v97, v95
	s_set_vgpr_msb 1                        ;  msbs: dst=0 src0=1 src1=0 src2=0
	v_mul_i32_i24_e32 v95, v80 /*v336*/, v229
	v_mul_i32_i24_e32 v97, v101 /*v357*/, v230
	s_set_vgpr_msb 0                        ;  msbs: dst=0 src0=0 src1=0 src2=0
	s_delay_alu instid0(VALU_DEP_1)
	v_add3_u32 v135, v141, v97, v95
	s_set_vgpr_msb 5                        ;  msbs: dst=0 src0=1 src1=1 src2=0
	v_mul_i32_i24_e32 v95, v80 /*v336*/, v103 /*v359*/
	v_mul_i32_i24_e32 v97, v101 /*v357*/, v113 /*v369*/
	s_set_vgpr_msb 4                        ;  msbs: dst=0 src0=0 src1=1 src2=0
	v_mul_i32_i24_e32 v141, v205, v106 /*v362*/
	s_set_vgpr_msb 0                        ;  msbs: dst=0 src0=0 src1=0 src2=0
	s_delay_alu instid0(VALU_DEP_2)
	v_add3_u32 v136, v142, v97, v95
	s_set_vgpr_msb 5                        ;  msbs: dst=0 src0=1 src1=1 src2=0
	v_mul_i32_i24_e32 v95, v80 /*v336*/, v119 /*v375*/
	v_mul_i32_i24_e32 v97, v101 /*v357*/, v72 /*v328*/
	s_set_vgpr_msb 4                        ;  msbs: dst=0 src0=0 src1=1 src2=0
	v_mul_i32_i24_e32 v142, v215, v103 /*v359*/
	s_set_vgpr_msb 0                        ;  msbs: dst=0 src0=0 src1=0 src2=0
	s_delay_alu instid0(VALU_DEP_2)
	v_add3_u32 v137, v144, v97, v95
	v_mul_i32_i24_e32 v95, v134, v239
	v_mul_i32_i24_e32 v97, v252, v250
	v_add3_u32 v144, v111, v233, v232
	s_set_vgpr_msb 4                        ;  msbs: dst=0 src0=0 src1=1 src2=0
	v_mul_i32_i24_e32 v111, v226, v60 /*v316*/
	s_set_vgpr_msb 0                        ;  msbs: dst=0 src0=0 src1=0 src2=0
	v_mul_i32_i24_e32 v232, v216, v148
	s_set_vgpr_msb 4                        ;  msbs: dst=0 src0=0 src1=1 src2=0
	v_mul_i32_i24_e32 v233, v205, v120 /*v376*/
	s_set_vgpr_msb 0                        ;  msbs: dst=0 src0=0 src1=0 src2=0
	v_add3_u32 v132, v132, v97, v95
	s_set_vgpr_msb 1                        ;  msbs: dst=0 src0=1 src1=0 src2=0
	v_mul_i32_i24_e32 v95, v129 /*v385*/, v229
	s_set_vgpr_msb 0                        ;  msbs: dst=0 src0=0 src1=0 src2=0
	v_mul_i32_i24_e32 v97, v161, v230
	v_add3_u32 v224, v144, v225, v224
	s_set_vgpr_msb 4                        ;  msbs: dst=0 src0=0 src1=1 src2=0
	v_mul_i32_i24_e32 v144, v153, v122 /*v378*/
	s_set_vgpr_msb 5                        ;  msbs: dst=0 src0=1 src1=1 src2=0
	v_mul_i32_i24_e32 v252, v35 /*v291*/, v117 /*v373*/
	s_set_vgpr_msb 0                        ;  msbs: dst=0 src0=0 src1=0 src2=0
	v_add3_u32 v134, v138, v97, v95
	s_set_vgpr_msb 5                        ;  msbs: dst=0 src0=1 src1=1 src2=0
	v_mul_i32_i24_e32 v95, v129 /*v385*/, v103 /*v359*/
	s_set_vgpr_msb 4                        ;  msbs: dst=0 src0=0 src1=1 src2=0
	v_mul_i32_i24_e32 v97, v161, v113 /*v369*/
	s_set_vgpr_msb 0                        ;  msbs: dst=0 src0=0 src1=0 src2=0
	s_delay_alu instid0(VALU_DEP_1)
	v_add3_u32 v138, v145, v97, v95
	s_set_vgpr_msb 5                        ;  msbs: dst=0 src0=1 src1=1 src2=0
	v_mul_i32_i24_e32 v95, v129 /*v385*/, v119 /*v375*/
	s_set_vgpr_msb 4                        ;  msbs: dst=0 src0=0 src1=1 src2=0
	v_mul_i32_i24_e32 v97, v161, v72 /*v328*/
	s_set_vgpr_msb 0                        ;  msbs: dst=0 src0=0 src1=0 src2=0
	v_mul_i32_i24_e32 v161, v161, v235
	s_delay_alu instid0(VALU_DEP_2)
	v_add3_u32 v139, v242, v97, v95
	v_mul_i32_i24_e32 v95, v124, v239
	v_mul_i32_i24_e32 v97, v253, v250
	s_set_vgpr_msb 4                        ;  msbs: dst=0 src0=0 src1=1 src2=0
	v_mul_i32_i24_e32 v253, v218, v27 /*v283*/
	s_set_vgpr_msb 0                        ;  msbs: dst=0 src0=0 src1=0 src2=0
	s_delay_alu instid0(VALU_DEP_2) | instskip(SKIP_4) | instid1(VALU_DEP_1)
	v_add3_u32 v109, v109, v97, v95
	s_set_vgpr_msb 1                        ;  msbs: dst=0 src0=1 src1=0 src2=0
	v_mul_i32_i24_e32 v95, v19 /*v275*/, v229
	v_mul_i32_i24_e32 v97, v3 /*v259*/, v230
	s_set_vgpr_msb 0                        ;  msbs: dst=0 src0=0 src1=0 src2=0
	v_add3_u32 v120, v120, v97, v95
	s_set_vgpr_msb 5                        ;  msbs: dst=0 src0=1 src1=1 src2=0
	v_mul_i32_i24_e32 v95, v19 /*v275*/, v103 /*v359*/
	v_mul_i32_i24_e32 v97, v3 /*v259*/, v113 /*v369*/
	s_set_vgpr_msb 0                        ;  msbs: dst=0 src0=0 src1=0 src2=0
	s_delay_alu instid0(VALU_DEP_1) | instskip(SKIP_4) | instid1(VALU_DEP_1)
	v_add3_u32 v121, v121, v97, v95
	s_set_vgpr_msb 5                        ;  msbs: dst=0 src0=1 src1=1 src2=0
	v_mul_i32_i24_e32 v95, v19 /*v275*/, v119 /*v375*/
	v_mul_i32_i24_e32 v97, v3 /*v259*/, v72 /*v328*/
	s_set_vgpr_msb 0                        ;  msbs: dst=0 src0=0 src1=0 src2=0
	v_add3_u32 v123, v123, v97, v95
	v_mul_i32_i24_e32 v95, v114, v239
	s_set_vgpr_msb 1                        ;  msbs: dst=0 src0=1 src1=0 src2=0
	v_mul_i32_i24_e32 v97, v67 /*v323*/, v250
	s_set_vgpr_msb 0                        ;  msbs: dst=0 src0=0 src1=0 src2=0
	s_delay_alu instid0(VALU_DEP_1) | instskip(SKIP_2) | instid1(VALU_DEP_1)
	v_add3_u32 v112, v112, v97, v95
	v_mul_i32_i24_e32 v95, v243, v229
	v_mul_i32_i24_e32 v97, v240, v230
	v_add3_u32 v114, v119, v97, v95
	s_set_vgpr_msb 4                        ;  msbs: dst=0 src0=0 src1=1 src2=0
	v_mul_i32_i24_e32 v95, v243, v103 /*v359*/
	v_mul_i32_i24_e32 v97, v240, v113 /*v369*/
	s_set_vgpr_msb 0                        ;  msbs: dst=0 src0=0 src1=0 src2=0
	s_delay_alu instid0(VALU_DEP_1)
	v_add3_u32 v119, v122, v97, v95
	s_set_vgpr_msb 4                        ;  msbs: dst=0 src0=0 src1=1 src2=0
	v_mul_i32_i24_e32 v95, v243, v119 /*v375*/
	v_mul_i32_i24_e32 v97, v240, v72 /*v328*/
	s_set_vgpr_msb 5                        ;  msbs: dst=0 src0=1 src1=1 src2=0
	v_mul_i32_i24_e32 v122, v84 /*v340*/, v106 /*v362*/
	s_set_vgpr_msb 0                        ;  msbs: dst=0 src0=0 src1=0 src2=0
	s_delay_alu instid0(VALU_DEP_2)
	v_add3_u32 v124, v128, v97, v95
	v_mul_i32_i24_e32 v95, v106, v239
	s_set_vgpr_msb 1                        ;  msbs: dst=0 src0=1 src1=0 src2=0
	v_mul_i32_i24_e32 v97, v69 /*v325*/, v250
	s_set_vgpr_msb 4                        ;  msbs: dst=0 src0=0 src1=1 src2=0
	v_mul_i32_i24_e32 v106, v214, v118 /*v374*/
	s_set_vgpr_msb 0                        ;  msbs: dst=0 src0=0 src1=0 src2=0
	v_mul_i32_i24_e32 v250, v218, v100
	v_add3_u32 v128, v104, v97, v95
	s_set_vgpr_msb 4                        ;  msbs: dst=0 src0=0 src1=1 src2=0
	v_mul_i32_i24_e32 v104, v221, v115 /*v371*/
	s_set_vgpr_msb 1                        ;  msbs: dst=0 src0=1 src1=0 src2=0
	v_mul_i32_i24_e32 v95, v9 /*v265*/, v229
	v_mul_i32_i24_e32 v97, v14 /*v270*/, v230
	s_set_vgpr_msb 0                        ;  msbs: dst=0 src0=0 src1=0 src2=0
	v_add3_u32 v145, v113, v106, v104
	v_mul_i32_i24_e32 v104, v238, v229
	v_mul_i32_i24_e32 v106, v162, v230
	v_add3_u32 v229, v108, v107, v101
	s_set_vgpr_msb 4                        ;  msbs: dst=0 src0=0 src1=1 src2=0
	v_mul_i32_i24_e32 v101, v238, v103 /*v359*/
	s_set_vgpr_msb 0                        ;  msbs: dst=0 src0=0 src1=0 src2=0
	v_add3_u32 v115, v115, v97, v95
	s_set_vgpr_msb 5                        ;  msbs: dst=0 src0=1 src1=1 src2=0
	v_mul_i32_i24_e32 v95, v9 /*v265*/, v103 /*v359*/
	s_set_vgpr_msb 0                        ;  msbs: dst=0 src0=0 src1=0 src2=0
	v_add3_u32 v230, v110, v106, v104
	s_set_vgpr_msb 4                        ;  msbs: dst=0 src0=0 src1=1 src2=0
	v_mul_i32_i24_e32 v104, v162, v113 /*v369*/
	v_mul_i32_i24_e32 v106, v238, v119 /*v375*/
	;; [unrolled: 1-line block ×3, first 2 shown]
	s_set_vgpr_msb 5                        ;  msbs: dst=0 src0=1 src1=1 src2=0
	v_mul_i32_i24_e32 v97, v14 /*v270*/, v113 /*v369*/
	s_set_vgpr_msb 0                        ;  msbs: dst=0 src0=0 src1=0 src2=0
	v_add3_u32 v225, v145, v142, v141
	v_add3_u32 v238, v127, v104, v101
	v_mul_i32_i24_e32 v101, v227, v152
	s_set_vgpr_msb 5                        ;  msbs: dst=0 src0=1 src1=1 src2=0
	v_mul_i32_i24_e32 v104, v73 /*v329*/, v109 /*v365*/
	s_set_vgpr_msb 0                        ;  msbs: dst=0 src0=0 src1=0 src2=0
	v_add3_u32 v227, v131, v110, v106
	s_set_vgpr_msb 4                        ;  msbs: dst=0 src0=0 src1=1 src2=0
	v_mul_i32_i24_e32 v106, v154, v133 /*v389*/
	s_set_vgpr_msb 1                        ;  msbs: dst=0 src0=1 src1=0 src2=0
	v_mul_i32_i24_e32 v110, v29 /*v285*/, v223
	s_set_vgpr_msb 0                        ;  msbs: dst=0 src0=0 src1=0 src2=0
	v_add3_u32 v226, v105, v111, v101
	s_set_vgpr_msb 1                        ;  msbs: dst=0 src0=1 src1=0 src2=0
	v_mul_i32_i24_e32 v101, v11 /*v267*/, v222
	s_set_vgpr_msb 5                        ;  msbs: dst=0 src0=1 src1=1 src2=0
	v_mul_i32_i24_e32 v105, v29 /*v285*/, v106 /*v362*/
	s_set_vgpr_msb 0                        ;  msbs: dst=0 src0=0 src1=0 src2=0
	v_add3_u32 v131, v125, v104, v106
	s_set_vgpr_msb 1                        ;  msbs: dst=0 src0=1 src1=0 src2=0
	v_mul_i32_i24_e32 v104, v11 /*v267*/, v148
	v_mul_i32_i24_e32 v106, v11 /*v267*/, v146
	s_set_vgpr_msb 0                        ;  msbs: dst=0 src0=0 src1=0 src2=0
	v_add3_u32 v239, v126, v110, v101
	s_set_vgpr_msb 5                        ;  msbs: dst=0 src0=1 src1=1 src2=0
	v_mul_i32_i24_e32 v101, v29 /*v285*/, v120 /*v376*/
	v_mul_i32_i24_e32 v110, v22 /*v278*/, v60 /*v316*/
	s_set_vgpr_msb 0                        ;  msbs: dst=0 src0=0 src1=0 src2=0
	v_add3_u32 v241, v129, v105, v104
	v_mul_i32_i24_e32 v104, v143, v228
	s_set_vgpr_msb 1                        ;  msbs: dst=0 src0=1 src1=0 src2=0
	v_mul_i32_i24_e32 v105, v4 /*v260*/, v223
	s_set_vgpr_msb 0                        ;  msbs: dst=0 src0=0 src1=0 src2=0
	v_add3_u32 v242, v130, v101, v106
	s_set_vgpr_msb 1                        ;  msbs: dst=0 src0=1 src1=0 src2=0
	v_mul_i32_i24_e32 v101, v81 /*v337*/, v222
	s_set_vgpr_msb 5                        ;  msbs: dst=0 src0=1 src1=1 src2=0
	v_mul_i32_i24_e32 v106, v4 /*v260*/, v106 /*v362*/
	s_set_vgpr_msb 64                       ;  msbs: dst=1 src0=0 src1=0 src2=0
	v_add3_u32 v22 /*v278*/, v133, v104, v110
	s_set_vgpr_msb 1                        ;  msbs: dst=0 src0=1 src1=0 src2=0
	v_mul_i32_i24_e32 v104, v81 /*v337*/, v148
	s_set_vgpr_msb 5                        ;  msbs: dst=0 src0=1 src1=1 src2=0
	v_mul_i32_i24_e32 v110, v91 /*v347*/, v106 /*v362*/
	s_set_vgpr_msb 64                       ;  msbs: dst=1 src0=0 src1=0 src2=0
	v_add3_u32 v32 /*v288*/, v135, v105, v101
	s_set_vgpr_msb 5                        ;  msbs: dst=0 src0=1 src1=1 src2=0
	v_mul_i32_i24_e32 v101, v4 /*v260*/, v120 /*v376*/
	s_set_vgpr_msb 1                        ;  msbs: dst=0 src0=1 src1=0 src2=0
	v_mul_i32_i24_e32 v105, v81 /*v337*/, v146
	s_set_vgpr_msb 64                       ;  msbs: dst=1 src0=0 src1=0 src2=0
	v_add3_u32 v33 /*v289*/, v136, v106, v104
	s_set_vgpr_msb 1                        ;  msbs: dst=0 src0=1 src1=0 src2=0
	v_mul_i32_i24_e32 v104, v64 /*v320*/, v228
	v_mul_i32_i24_e32 v106, v91 /*v347*/, v223
	s_set_vgpr_msb 0                        ;  msbs: dst=0 src0=0 src1=0 src2=0
	v_add3_u32 v140, v117, v97, v95
	s_set_vgpr_msb 64                       ;  msbs: dst=1 src0=0 src1=0 src2=0
	v_add3_u32 v48 /*v304*/, v137, v101, v105
	s_set_vgpr_msb 1                        ;  msbs: dst=0 src0=1 src1=0 src2=0
	v_mul_i32_i24_e32 v101, v140 /*v396*/, v222
	s_set_vgpr_msb 5                        ;  msbs: dst=0 src0=1 src1=1 src2=0
	v_mul_i32_i24_e32 v105, v58 /*v314*/, v60 /*v316*/
	v_mul_i32_i24_e32 v95, v9 /*v265*/, v119 /*v375*/
	v_mul_i32_i24_e32 v97, v14 /*v270*/, v72 /*v328*/
	s_set_vgpr_msb 4                        ;  msbs: dst=0 src0=0 src1=1 src2=0
	v_mul_i32_i24_e32 v141, v159, v106 /*v362*/
	s_set_vgpr_msb 64                       ;  msbs: dst=1 src0=0 src1=0 src2=0
	v_add3_u32 v57 /*v313*/, v134, v106, v101
	v_add3_u32 v49 /*v305*/, v132, v104, v105
	s_set_vgpr_msb 1                        ;  msbs: dst=0 src0=1 src1=0 src2=0
	v_mul_i32_i24_e32 v104, v140 /*v396*/, v148
	s_set_vgpr_msb 5                        ;  msbs: dst=0 src0=1 src1=1 src2=0
	v_mul_i32_i24_e32 v101, v91 /*v347*/, v120 /*v376*/
	s_set_vgpr_msb 0                        ;  msbs: dst=0 src0=0 src1=0 src2=0
	v_add3_u32 v118, v118, v97, v95
	v_mul_i32_i24_e32 v134, v159, v223
	s_set_vgpr_msb 4                        ;  msbs: dst=0 src0=0 src1=1 src2=0
	v_mul_i32_i24_e32 v142, v159, v120 /*v376*/
	s_set_vgpr_msb 64                       ;  msbs: dst=1 src0=0 src1=0 src2=0
	v_add3_u32 v58 /*v314*/, v138, v110, v104
	s_set_vgpr_msb 1                        ;  msbs: dst=0 src0=1 src1=0 src2=0
	v_mul_i32_i24_e32 v104, v65 /*v321*/, v228
	v_mul_i32_i24_e32 v110, v84 /*v340*/, v223
	s_set_vgpr_msb 64                       ;  msbs: dst=1 src0=0 src1=0 src2=0
	v_add3_u32 v64 /*v320*/, v139, v101, v116
	s_set_vgpr_msb 1                        ;  msbs: dst=0 src0=1 src1=0 src2=0
	v_mul_i32_i24_e32 v116, v63 /*v319*/, v222
	s_set_vgpr_msb 4                        ;  msbs: dst=0 src0=0 src1=1 src2=0
	v_mul_i32_i24_e32 v101, v247, v60 /*v316*/
	s_set_vgpr_msb 0                        ;  msbs: dst=0 src0=0 src1=0 src2=0
	v_mul_i32_i24_e32 v159, v160, v222
	v_mul_i32_i24_e32 v162, v216, v146
	s_set_vgpr_msb 4                        ;  msbs: dst=0 src0=0 src1=1 src2=0
	v_mul_i32_i24_e32 v135, v153, v45 /*v301*/
	s_set_vgpr_msb 64                       ;  msbs: dst=1 src0=0 src1=0 src2=0
	v_add3_u32 v65 /*v321*/, v120, v110, v116
	s_set_vgpr_msb 0                        ;  msbs: dst=0 src0=0 src1=0 src2=0
	v_add3_u32 v247, v109, v104, v101
	s_set_vgpr_msb 1                        ;  msbs: dst=0 src0=1 src1=0 src2=0
	v_mul_i32_i24_e32 v104, v63 /*v319*/, v148
	s_set_vgpr_msb 5                        ;  msbs: dst=0 src0=1 src1=1 src2=0
	v_mul_i32_i24_e32 v109, v84 /*v340*/, v120 /*v376*/
	s_set_vgpr_msb 1                        ;  msbs: dst=0 src0=1 src1=0 src2=0
	v_mul_i32_i24_e32 v110, v63 /*v319*/, v146
	v_mul_i32_i24_e32 v116, v53 /*v309*/, v228
	s_set_vgpr_msb 5                        ;  msbs: dst=0 src0=1 src1=1 src2=0
	v_mul_i32_i24_e32 v120, v21 /*v277*/, v60 /*v316*/
	s_set_vgpr_msb 64                       ;  msbs: dst=1 src0=0 src1=0 src2=0
	v_add3_u32 v67 /*v323*/, v121, v122, v104
	s_set_vgpr_msb 1                        ;  msbs: dst=0 src0=1 src1=0 src2=0
	v_mul_i32_i24_e32 v121, v158 /*v414*/, v223
	s_set_vgpr_msb 64                       ;  msbs: dst=1 src0=0 src1=0 src2=0
	v_add3_u32 v53 /*v309*/, v123, v109, v110
	s_set_vgpr_msb 1                        ;  msbs: dst=0 src0=1 src1=0 src2=0
	v_mul_i32_i24_e32 v109, v159 /*v415*/, v222
	s_set_vgpr_msb 5                        ;  msbs: dst=0 src0=1 src1=1 src2=0
	v_mul_i32_i24_e32 v110, v158 /*v414*/, v106 /*v362*/
	s_set_vgpr_msb 64                       ;  msbs: dst=1 src0=0 src1=0 src2=0
	v_add3_u32 v21 /*v277*/, v112, v116, v120
	s_set_vgpr_msb 1                        ;  msbs: dst=0 src0=1 src1=0 src2=0
	v_mul_i32_i24_e32 v112, v159 /*v415*/, v148
	s_set_vgpr_msb 5                        ;  msbs: dst=0 src0=1 src1=1 src2=0
	v_mul_i32_i24_e32 v116, v20 /*v276*/, v60 /*v316*/
	s_set_vgpr_msb 64                       ;  msbs: dst=1 src0=0 src1=0 src2=0
	v_add3_u32 v68 /*v324*/, v114, v121, v109
	s_set_vgpr_msb 5                        ;  msbs: dst=0 src0=1 src1=1 src2=0
	v_mul_i32_i24_e32 v109, v158 /*v414*/, v120 /*v376*/
	s_set_vgpr_msb 1                        ;  msbs: dst=0 src0=1 src1=0 src2=0
	v_mul_i32_i24_e32 v114, v159 /*v415*/, v146
	s_set_vgpr_msb 64                       ;  msbs: dst=1 src0=0 src1=0 src2=0
	v_add3_u32 v69 /*v325*/, v119, v110, v112
	s_set_vgpr_msb 1                        ;  msbs: dst=0 src0=1 src1=0 src2=0
	v_mul_i32_i24_e32 v110, v34 /*v290*/, v228
	v_mul_i32_i24_e32 v112, v167 /*v423*/, v223
	s_set_vgpr_msb 4                        ;  msbs: dst=0 src0=0 src1=1 src2=0
	v_mul_i32_i24_e32 v104, v154, v44 /*v300*/
	s_set_vgpr_msb 64                       ;  msbs: dst=1 src0=0 src1=0 src2=0
	v_add3_u32 v34 /*v290*/, v124, v109, v114
	s_set_vgpr_msb 1                        ;  msbs: dst=0 src0=1 src1=0 src2=0
	v_mul_i32_i24_e32 v109, v126 /*v382*/, v222
	s_set_vgpr_msb 5                        ;  msbs: dst=0 src0=1 src1=1 src2=0
	v_mul_i32_i24_e32 v114, v167 /*v423*/, v106 /*v362*/
	s_set_vgpr_msb 64                       ;  msbs: dst=1 src0=0 src1=0 src2=0
	v_add3_u32 v20 /*v276*/, v128, v110, v116
	s_set_vgpr_msb 1                        ;  msbs: dst=0 src0=1 src1=0 src2=0
	v_mul_i32_i24_e32 v110, v126 /*v382*/, v148
	s_set_vgpr_msb 5                        ;  msbs: dst=0 src0=1 src1=1 src2=0
	v_mul_i32_i24_e32 v116, v167 /*v423*/, v120 /*v376*/
	s_set_vgpr_msb 64                       ;  msbs: dst=1 src0=0 src1=0 src2=0
	v_add3_u32 v72 /*v328*/, v115, v112, v109
	s_set_vgpr_msb 1                        ;  msbs: dst=0 src0=1 src1=0 src2=0
	v_mul_i32_i24_e32 v109, v126 /*v382*/, v146
	s_set_vgpr_msb 0                        ;  msbs: dst=0 src0=0 src1=0 src2=0
	v_mul_i32_i24_e32 v148, v160, v148
	s_set_vgpr_msb 64                       ;  msbs: dst=1 src0=0 src1=0 src2=0
	v_add3_u32 v74 /*v330*/, v140, v114, v110
	s_set_vgpr_msb 5                        ;  msbs: dst=0 src0=1 src1=1 src2=0
	v_mul_i32_i24_e32 v110, v70 /*v326*/, v60 /*v316*/
	s_set_vgpr_msb 0                        ;  msbs: dst=0 src0=0 src1=0 src2=0
	v_mul_i32_i24_e32 v132, v221, v228
	s_set_vgpr_msb 64                       ;  msbs: dst=1 src0=0 src1=0 src2=0
	v_add3_u32 v77 /*v333*/, v118, v116, v109
	s_set_vgpr_msb 1                        ;  msbs: dst=0 src0=1 src1=0 src2=0
	v_mul_i32_i24_e32 v109, v71 /*v327*/, v228
	s_set_vgpr_msb 0                        ;  msbs: dst=0 src0=0 src1=0 src2=0
	v_mul_i32_i24_e32 v160, v160, v146
	s_set_vgpr_msb 4                        ;  msbs: dst=0 src0=0 src1=1 src2=0
	v_mul_i32_i24_e32 v115, v154, v114 /*v370*/
	v_mul_i32_i24_e32 v145, v153, v138 /*v394*/
	s_set_vgpr_msb 0                        ;  msbs: dst=0 src0=0 src1=0 src2=0
	v_mul_i32_i24_e32 v153, v214, v150
	v_add3_u32 v98, v98, v109, v110
	s_set_vgpr_msb 4                        ;  msbs: dst=0 src0=0 src1=1 src2=0
	v_mul_i32_i24_e32 v110, v154, v112 /*v368*/
	s_set_vgpr_msb 0x44                     ;  msbs: dst=1 src0=0 src1=1 src2=0
	v_mul_i32_i24_e32 v60 /*v316*/, v216, v24 /*v280*/
	s_set_vgpr_msb 0                        ;  msbs: dst=0 src0=0 src1=0 src2=0
	v_add3_u32 v154, v230, v134, v159
	v_add3_u32 v216, v238, v141, v148
	s_set_vgpr_msb 1                        ;  msbs: dst=0 src0=1 src1=0 src2=0
	v_mul_i32_i24_e32 v134, v152 /*v408*/, v206
	v_mul_i32_i24_e32 v141, v99 /*v355*/, v207
	s_set_vgpr_msb 4                        ;  msbs: dst=0 src0=0 src1=1 src2=0
	v_cvt_f32_f16_e32 v95, v94
	v_cvt_f32_f16_e64 v94, v231
	v_mul_i32_i24_e32 v231, v217, v113 /*v369*/
	s_set_vgpr_msb 0                        ;  msbs: dst=0 src0=0 src1=0 src2=0
	v_mul_i32_i24_e32 v107, v219, v163
	s_set_vgpr_msb 4                        ;  msbs: dst=0 src0=0 src1=1 src2=0
	v_mul_i32_i24_e32 v111, v219, v52 /*v308*/
	s_set_vgpr_msb 5                        ;  msbs: dst=0 src0=1 src1=1 src2=0
	v_mul_i32_i24_e32 v105, v61 /*v317*/, v36 /*v292*/
	v_mul_i32_i24_e32 v114, v61 /*v317*/, v50 /*v306*/
	;; [unrolled: 1-line block ×3, first 2 shown]
	s_set_vgpr_msb 64                       ;  msbs: dst=1 src0=0 src1=0 src2=0
	v_mul_i32_i24_e32 v61 /*v317*/, v217, v235
	s_set_vgpr_msb 4                        ;  msbs: dst=0 src0=0 src1=1 src2=0
	v_mul_i32_i24_e32 v139, v219, v76 /*v332*/
	s_set_vgpr_msb 0                        ;  msbs: dst=0 src0=0 src1=0 src2=0
	v_add3_u32 v217, v227, v142, v160
	s_set_vgpr_msb 5                        ;  msbs: dst=0 src0=1 src1=1 src2=0
	v_mul_i32_i24_e32 v142, v152 /*v408*/, v117 /*v373*/
	s_set_vgpr_msb 0                        ;  msbs: dst=0 src0=0 src1=0 src2=0
	v_add3_u32 v219, v226, v153, v132
	s_set_vgpr_msb 5                        ;  msbs: dst=0 src0=1 src1=1 src2=0
	v_mul_i32_i24_e32 v132, v99 /*v355*/, v25 /*v281*/
	;; [unrolled: 4-line block ×3, first 2 shown]
	s_set_vgpr_msb 1                        ;  msbs: dst=0 src0=1 src1=0 src2=0
	v_mul_i32_i24_e32 v141, v99 /*v355*/, v149
	s_set_vgpr_msb 4                        ;  msbs: dst=0 src0=0 src1=1 src2=0
	v_mul_i32_i24_e32 v126, v212, v85 /*v341*/
	s_set_vgpr_msb 0                        ;  msbs: dst=0 src0=0 src1=0 src2=0
	v_add3_u32 v222, v241, v132, v142
	s_set_vgpr_msb 1                        ;  msbs: dst=0 src0=1 src1=0 src2=0
	v_mul_i32_i24_e32 v132, v16 /*v272*/, v152
	v_mul_i32_i24_e32 v142, v23 /*v279*/, v150
	s_set_vgpr_msb 0                        ;  msbs: dst=0 src0=0 src1=0 src2=0
	v_add3_u32 v226, v242, v141, v134
	s_set_vgpr_msb 1                        ;  msbs: dst=0 src0=1 src1=0 src2=0
	v_mul_i32_i24_e32 v134, v136 /*v392*/, v206
	v_mul_i32_i24_e32 v141, v31 /*v287*/, v207
	s_set_vgpr_msb 4                        ;  msbs: dst=0 src0=0 src1=1 src2=0
	v_mul_i32_i24_e32 v130, v212, v132 /*v388*/
	s_set_vgpr_msb 1                        ;  msbs: dst=0 src0=1 src1=0 src2=0
	v_add3_u32 v227, v22 /*v278*/, v132, v142
	s_set_vgpr_msb 5                        ;  msbs: dst=0 src0=1 src1=1 src2=0
	v_mul_i32_i24_e32 v132, v136 /*v392*/, v117 /*v373*/
	s_set_vgpr_msb 1                        ;  msbs: dst=0 src0=1 src1=0 src2=0
	v_mul_i32_i24_e32 v148, v31 /*v287*/, v149
	v_add3_u32 v230, v32 /*v288*/, v141, v134
	s_set_vgpr_msb 5                        ;  msbs: dst=0 src0=1 src1=1 src2=0
	v_mul_i32_i24_e32 v134, v31 /*v287*/, v25 /*v281*/
	s_set_vgpr_msb 4                        ;  msbs: dst=0 src0=0 src1=1 src2=0
	v_mul_i32_i24_e32 v141, v212, v148 /*v404*/
	v_mul_i32_i24_e32 v108, v220, v25 /*v281*/
	s_set_vgpr_msb 0                        ;  msbs: dst=0 src0=0 src1=0 src2=0
	v_mul_i32_i24_e32 v113, v220, v149
	s_set_vgpr_msb 5                        ;  msbs: dst=0 src0=1 src1=1 src2=0
	v_mul_i32_i24_e32 v101, v73 /*v329*/, v41 /*v297*/
	s_set_vgpr_msb 1                        ;  msbs: dst=0 src0=1 src1=0 src2=0
	v_add3_u32 v212, v33 /*v289*/, v134, v132
	s_set_vgpr_msb 5                        ;  msbs: dst=0 src0=1 src1=1 src2=0
	v_mul_i32_i24_e32 v134, v136 /*v392*/, v26 /*v282*/
	v_mul_i32_i24_e32 v109, v73 /*v329*/, v83 /*v339*/
	s_set_vgpr_msb 0                        ;  msbs: dst=0 src0=0 src1=0 src2=0
	v_add3_u32 v229, v229, v234, v233
	s_set_vgpr_msb 5                        ;  msbs: dst=0 src0=1 src1=1 src2=0
	v_mul_i32_i24_e32 v112, v73 /*v329*/, v94 /*v350*/
	s_set_vgpr_msb 4                        ;  msbs: dst=0 src0=0 src1=1 src2=0
	v_mul_i32_i24_e32 v140, v220, v75 /*v331*/
	s_set_vgpr_msb 64                       ;  msbs: dst=1 src0=0 src1=0 src2=0
	v_mul_i32_i24_e32 v70 /*v326*/, v158, v213
	s_set_vgpr_msb 0                        ;  msbs: dst=0 src0=0 src1=0 src2=0
	v_mul_i32_i24_e32 v220, v156, v207
	s_set_vgpr_msb 64                       ;  msbs: dst=1 src0=0 src1=0 src2=0
	v_mul_i32_i24_e32 v22 /*v278*/, v158, v163
	s_set_vgpr_msb 4                        ;  msbs: dst=0 src0=0 src1=1 src2=0
	v_mul_i32_i24_e32 v228, v156, v25 /*v281*/
	s_set_vgpr_msb 0x44                     ;  msbs: dst=1 src0=0 src1=1 src2=0
	v_mul_i32_i24_e32 v73 /*v329*/, v158, v52 /*v308*/
	s_set_vgpr_msb 0                        ;  msbs: dst=0 src0=0 src1=0 src2=0
	v_mul_i32_i24_e32 v233, v156, v149
	s_set_vgpr_msb 1                        ;  msbs: dst=0 src0=1 src1=0 src2=0
	v_mul_i32_i24_e32 v153, v89 /*v345*/, v152
	v_mul_i32_i24_e32 v156, v98 /*v354*/, v150
	v_add3_u32 v234, v48 /*v304*/, v148, v134
	v_mul_i32_i24_e32 v148, v153 /*v409*/, v206
	v_mul_i32_i24_e32 v158, v55 /*v311*/, v207
	s_set_vgpr_msb 0                        ;  msbs: dst=0 src0=0 src1=0 src2=0
	v_mul_i32_i24_e32 v214, v215, v236
	s_set_vgpr_msb 1                        ;  msbs: dst=0 src0=1 src1=0 src2=0
	v_add3_u32 v238, v49 /*v305*/, v153, v156
	s_set_vgpr_msb 5                        ;  msbs: dst=0 src0=1 src1=1 src2=0
	v_mul_i32_i24_e32 v153, v153 /*v409*/, v117 /*v373*/
	v_mul_i32_i24_e32 v156, v55 /*v311*/, v25 /*v281*/
	s_set_vgpr_msb 1                        ;  msbs: dst=0 src0=1 src1=0 src2=0
	v_add3_u32 v239, v57 /*v313*/, v158, v148
	s_set_vgpr_msb 5                        ;  msbs: dst=0 src0=1 src1=1 src2=0
	v_mul_i32_i24_e32 v148, v153 /*v409*/, v26 /*v282*/
	s_set_vgpr_msb 1                        ;  msbs: dst=0 src0=1 src1=0 src2=0
	v_mul_i32_i24_e32 v158, v55 /*v311*/, v149
	s_set_vgpr_msb 0                        ;  msbs: dst=0 src0=0 src1=0 src2=0
	v_mul_i32_i24_e32 v215, v155, v206
	s_set_vgpr_msb 1                        ;  msbs: dst=0 src0=1 src1=0 src2=0
	v_add3_u32 v241, v58 /*v314*/, v156, v153
	s_set_vgpr_msb 0                        ;  msbs: dst=0 src0=0 src1=0 src2=0
	v_mul_i32_i24_e32 v153, v157, v150
	s_set_vgpr_msb 1                        ;  msbs: dst=0 src0=1 src1=0 src2=0
	v_mul_i32_i24_e32 v156, v154 /*v410*/, v206
	s_set_vgpr_msb 0x41                     ;  msbs: dst=1 src0=1 src1=0 src2=0
	v_add3_u32 v16 /*v272*/, v64 /*v320*/, v158, v148
	s_set_vgpr_msb 1                        ;  msbs: dst=0 src0=1 src1=0 src2=0
	v_mul_i32_i24_e32 v148, v144 /*v400*/, v207
	s_set_vgpr_msb 5                        ;  msbs: dst=0 src0=1 src1=1 src2=0
	v_mul_i32_i24_e32 v157, v154 /*v410*/, v117 /*v373*/
	s_set_vgpr_msb 0                        ;  msbs: dst=0 src0=0 src1=0 src2=0
	v_add3_u32 v247, v247, v147, v153
	s_set_vgpr_msb 5                        ;  msbs: dst=0 src0=1 src1=1 src2=0
	v_mul_i32_i24_e32 v147, v144 /*v400*/, v25 /*v281*/
	s_set_vgpr_msb 1                        ;  msbs: dst=0 src0=1 src1=0 src2=0
	v_mul_i32_i24_e32 v153, v144 /*v400*/, v149
	s_set_vgpr_msb 0x41                     ;  msbs: dst=1 src0=1 src1=0 src2=0
	v_add3_u32 v33 /*v289*/, v65 /*v321*/, v148, v156
	s_set_vgpr_msb 5                        ;  msbs: dst=0 src0=1 src1=1 src2=0
	v_mul_i32_i24_e32 v148, v154 /*v410*/, v26 /*v282*/
	s_set_vgpr_msb 1                        ;  msbs: dst=0 src0=1 src1=0 src2=0
	v_mul_i32_i24_e32 v156, v2 /*v258*/, v150
	s_set_vgpr_msb 0x41                     ;  msbs: dst=1 src0=1 src1=0 src2=0
	v_add3_u32 v48 /*v304*/, v67 /*v323*/, v147, v157
	s_set_vgpr_msb 0                        ;  msbs: dst=0 src0=0 src1=0 src2=0
	v_mul_i32_i24_e32 v147, v246, v152
	s_set_vgpr_msb 1                        ;  msbs: dst=0 src0=1 src1=0 src2=0
	v_mul_i32_i24_e32 v157, v161 /*v417*/, v206
	v_add3_u32 v246, v53 /*v309*/, v153, v148
	v_mul_i32_i24_e32 v148, v165 /*v421*/, v207
	s_set_vgpr_msb 5                        ;  msbs: dst=0 src0=1 src1=1 src2=0
	v_mul_i32_i24_e32 v158, v161 /*v417*/, v117 /*v373*/
	s_set_vgpr_msb 0x41                     ;  msbs: dst=1 src0=1 src1=0 src2=0
	v_add3_u32 v2 /*v258*/, v21 /*v277*/, v147, v156
	s_set_vgpr_msb 5                        ;  msbs: dst=0 src0=1 src1=1 src2=0
	v_mul_i32_i24_e32 v147, v165 /*v421*/, v25 /*v281*/
	s_set_vgpr_msb 1                        ;  msbs: dst=0 src0=1 src1=0 src2=0
	v_mul_i32_i24_e32 v242, v7 /*v263*/, v204
	s_set_vgpr_msb 0x41                     ;  msbs: dst=1 src0=1 src1=0 src2=0
	v_add3_u32 v21 /*v277*/, v68 /*v324*/, v148, v157
	s_set_vgpr_msb 5                        ;  msbs: dst=0 src0=1 src1=1 src2=0
	v_mul_i32_i24_e32 v148, v161 /*v417*/, v26 /*v282*/
	s_set_vgpr_msb 1                        ;  msbs: dst=0 src0=1 src1=0 src2=0
	v_mul_i32_i24_e32 v157, v165 /*v421*/, v149
	s_set_vgpr_msb 0x41                     ;  msbs: dst=1 src0=1 src1=0 src2=0
	v_add3_u32 v53 /*v309*/, v69 /*v325*/, v147, v158
	s_set_vgpr_msb 0                        ;  msbs: dst=0 src0=0 src1=0 src2=0
	v_mul_i32_i24_e32 v147, v248, v152
	s_set_vgpr_msb 1                        ;  msbs: dst=0 src0=1 src1=0 src2=0
	v_mul_i32_i24_e32 v158, v18 /*v274*/, v150
	v_mul_i32_i24_e32 v149, v171 /*v427*/, v149
	s_set_vgpr_msb 0x41                     ;  msbs: dst=1 src0=1 src1=0 src2=0
	v_add3_u32 v18 /*v274*/, v34 /*v290*/, v157, v148
	s_set_vgpr_msb 1                        ;  msbs: dst=0 src0=1 src1=0 src2=0
	v_mul_i32_i24_e32 v148, v169 /*v425*/, v206
	v_mul_i32_i24_e32 v157, v171 /*v427*/, v207
	s_set_vgpr_msb 0x41                     ;  msbs: dst=1 src0=1 src1=0 src2=0
	v_add3_u32 v20 /*v276*/, v20 /*v276*/, v147, v158
	s_set_vgpr_msb 5                        ;  msbs: dst=0 src0=1 src1=1 src2=0
	v_mul_i32_i24_e32 v158, v171 /*v427*/, v25 /*v281*/
	s_set_vgpr_msb 1                        ;  msbs: dst=0 src0=1 src1=0 src2=0
	v_mul_i32_i24_e32 v152, v54 /*v310*/, v152
	v_mul_i32_i24_e32 v206, v59 /*v315*/, v150
	s_set_vgpr_msb 0x41                     ;  msbs: dst=1 src0=1 src1=0 src2=0
	v_add3_u32 v25 /*v281*/, v72 /*v328*/, v157, v148
	s_set_vgpr_msb 5                        ;  msbs: dst=0 src0=1 src1=1 src2=0
	v_mul_i32_i24_e32 v148, v169 /*v425*/, v26 /*v282*/
	s_set_vgpr_msb 0x45                     ;  msbs: dst=1 src0=1 src1=1 src2=0
	v_mul_i32_i24_e32 v49 /*v305*/, v0 /*v256*/, v42 /*v298*/
	s_set_vgpr_msb 1                        ;  msbs: dst=0 src0=1 src1=0 src2=0
	v_mul_i32_i24_e32 v248, v7 /*v263*/, v100
	s_set_vgpr_msb 0x45                     ;  msbs: dst=1 src0=1 src1=1 src2=0
	v_mul_i32_i24_e32 v65 /*v321*/, v0 /*v256*/, v85 /*v341*/
	v_mul_i32_i24_e32 v58 /*v314*/, v7 /*v263*/, v27 /*v283*/
	s_set_vgpr_msb 0x41                     ;  msbs: dst=1 src0=1 src1=0 src2=0
	v_add3_u32 v68 /*v324*/, v77 /*v333*/, v149, v148
	s_set_vgpr_msb 0x45                     ;  msbs: dst=1 src0=1 src1=1 src2=0
	v_mul_i32_i24_e32 v69 /*v325*/, v0 /*v256*/, v132 /*v388*/
	s_set_vgpr_msb 5                        ;  msbs: dst=0 src0=1 src1=1 src2=0
	v_mul_i32_i24_e32 v157, v7 /*v263*/, v78 /*v334*/
	v_mul_i32_i24_e32 v149, v0 /*v256*/, v148 /*v404*/
	s_set_vgpr_msb 64                       ;  msbs: dst=1 src0=0 src1=0 src2=0
	v_add3_u32 v0 /*v256*/, v98, v152, v206
	s_set_vgpr_msb 1                        ;  msbs: dst=0 src0=1 src1=0 src2=0
	v_mul_i32_i24_e32 v98, v102 /*v358*/, v204
	s_set_vgpr_msb 0x41                     ;  msbs: dst=1 src0=1 src1=0 src2=0
	v_mul_i32_i24_e32 v7 /*v263*/, v30 /*v286*/, v213
	s_set_vgpr_msb 64                       ;  msbs: dst=1 src0=0 src1=0 src2=0
	v_add3_u32 v54 /*v310*/, v229, v162, v237
	s_set_vgpr_msb 4                        ;  msbs: dst=0 src0=0 src1=1 src2=0
	v_mul_i32_i24_e32 v162, v205, v137 /*v393*/
	v_mul_i32_i24_e32 v223, v155, v117 /*v373*/
	;; [unrolled: 1-line block ×3, first 2 shown]
	s_set_vgpr_msb 0x45                     ;  msbs: dst=1 src0=1 src1=1 src2=0
	v_mul_i32_i24_e32 v64 /*v320*/, v88 /*v344*/, v45 /*v301*/
	v_mul_i32_i24_e32 v26 /*v282*/, v88 /*v344*/, v122 /*v378*/
	;; [unrolled: 1-line block ×3, first 2 shown]
	s_set_vgpr_msb 5                        ;  msbs: dst=0 src0=1 src1=1 src2=0
	v_mul_i32_i24_e32 v150, v88 /*v344*/, v150 /*v406*/
	s_set_vgpr_msb 64                       ;  msbs: dst=1 src0=0 src1=0 src2=0
	v_add3_u32 v88 /*v344*/, v219, v214, v162
	s_set_vgpr_msb 1                        ;  msbs: dst=0 src0=1 src1=0 src2=0
	v_mul_i32_i24_e32 v162, v102 /*v358*/, v100
	v_mul_i32_i24_e32 v205, v30 /*v286*/, v163
	s_set_vgpr_msb 0x50                     ;  msbs: dst=1 src0=0 src1=0 src2=1
	v_add3_u32 v7 /*v263*/, v230, v98, v7 /*v263*/
	s_set_vgpr_msb 5                        ;  msbs: dst=0 src0=1 src1=1 src2=0
	v_mul_i32_i24_e32 v98, v102 /*v358*/, v27 /*v283*/
	v_mul_i32_i24_e32 v214, v30 /*v286*/, v52 /*v308*/
	s_set_vgpr_msb 64                       ;  msbs: dst=1 src0=0 src1=0 src2=0
	v_add3_u32 v59 /*v315*/, v154, v220, v215
	v_add3_u32 v103 /*v359*/, v212, v162, v205
	s_set_vgpr_msb 1                        ;  msbs: dst=0 src0=1 src1=0 src2=0
	v_mul_i32_i24_e32 v162, v80 /*v336*/, v236
	v_mul_i32_i24_e32 v212, v101 /*v357*/, v235
	s_set_vgpr_msb 0                        ;  msbs: dst=0 src0=0 src1=0 src2=0
	v_mul_i32_i24_e32 v215, v245, v204
	s_set_vgpr_msb 64                       ;  msbs: dst=1 src0=0 src1=0 src2=0
	v_add3_u32 v80 /*v336*/, v234, v98, v214
	s_set_vgpr_msb 0                        ;  msbs: dst=0 src0=0 src1=0 src2=0
	v_mul_i32_i24_e32 v98, v251, v213
	v_mul_i32_i24_e32 v214, v245, v100
	s_set_vgpr_msb 64                       ;  msbs: dst=1 src0=0 src1=0 src2=0
	v_add3_u32 v101 /*v357*/, v238, v212, v162
	s_set_vgpr_msb 0                        ;  msbs: dst=0 src0=0 src1=0 src2=0
	v_mul_i32_i24_e32 v162, v251, v163
	s_set_vgpr_msb 5                        ;  msbs: dst=0 src0=1 src1=1 src2=0
	v_mul_i32_i24_e32 v147, v169 /*v425*/, v117 /*v373*/
	s_set_vgpr_msb 64                       ;  msbs: dst=1 src0=0 src1=0 src2=0
	v_add3_u32 v106 /*v362*/, v239, v215, v98
	s_set_vgpr_msb 4                        ;  msbs: dst=0 src0=0 src1=1 src2=0
	v_mul_i32_i24_e32 v98, v245, v27 /*v283*/
	v_mul_i32_i24_e32 v215, v251, v52 /*v308*/
	s_set_vgpr_msb 64                       ;  msbs: dst=1 src0=0 src1=0 src2=0
	v_add3_u32 v108 /*v364*/, v241, v214, v162
	s_set_vgpr_msb 1                        ;  msbs: dst=0 src0=1 src1=0 src2=0
	v_mul_i32_i24_e32 v162, v129 /*v385*/, v236
	v_mul_i32_i24_e32 v214, v86 /*v342*/, v204
	s_set_vgpr_msb 5                        ;  msbs: dst=0 src0=1 src1=1 src2=0
	v_mul_i32_i24_e32 v117, v125 /*v381*/, v42 /*v298*/
	s_set_vgpr_msb 0x41                     ;  msbs: dst=1 src0=1 src1=0 src2=0
	v_add3_u32 v113 /*v369*/, v16 /*v272*/, v98, v215
	s_set_vgpr_msb 1                        ;  msbs: dst=0 src0=1 src1=0 src2=0
	v_mul_i32_i24_e32 v98, v96 /*v352*/, v213
	v_mul_i32_i24_e32 v215, v86 /*v342*/, v100
	s_set_vgpr_msb 64                       ;  msbs: dst=1 src0=0 src1=0 src2=0
	v_add3_u32 v115 /*v371*/, v247, v161, v162
	s_set_vgpr_msb 1                        ;  msbs: dst=0 src0=1 src1=0 src2=0
	v_mul_i32_i24_e32 v161, v96 /*v352*/, v163
	s_set_vgpr_msb 5                        ;  msbs: dst=0 src0=1 src1=1 src2=0
	v_mul_i32_i24_e32 v162, v96 /*v352*/, v52 /*v308*/
	s_set_vgpr_msb 0x41                     ;  msbs: dst=1 src0=1 src1=0 src2=0
	v_add3_u32 v117 /*v373*/, v33 /*v289*/, v214, v98
	s_set_vgpr_msb 5                        ;  msbs: dst=0 src0=1 src1=1 src2=0
	v_mul_i32_i24_e32 v98, v86 /*v342*/, v27 /*v283*/
	s_set_vgpr_msb 1                        ;  msbs: dst=0 src0=1 src1=0 src2=0
	v_mul_i32_i24_e32 v214, v3 /*v259*/, v235
	s_set_vgpr_msb 0x41                     ;  msbs: dst=1 src0=1 src1=0 src2=0
	v_add3_u32 v118 /*v374*/, v48 /*v304*/, v215, v161
	s_set_vgpr_msb 1                        ;  msbs: dst=0 src0=1 src1=0 src2=0
	v_mul_i32_i24_e32 v161, v19 /*v275*/, v236
	v_mul_i32_i24_e32 v215, v160 /*v416*/, v204
	s_set_vgpr_msb 64                       ;  msbs: dst=1 src0=0 src1=0 src2=0
	v_add3_u32 v119 /*v375*/, v246, v98, v162
	s_set_vgpr_msb 1                        ;  msbs: dst=0 src0=1 src1=0 src2=0
	v_mul_i32_i24_e32 v98, v164 /*v420*/, v213
	v_mul_i32_i24_e32 v162, v160 /*v416*/, v100
	s_set_vgpr_msb 0x41                     ;  msbs: dst=1 src0=1 src1=0 src2=0
	v_add3_u32 v120 /*v376*/, v2 /*v258*/, v214, v161
	s_set_vgpr_msb 1                        ;  msbs: dst=0 src0=1 src1=0 src2=0
	v_mul_i32_i24_e32 v161, v164 /*v420*/, v163
	s_set_vgpr_msb 5                        ;  msbs: dst=0 src0=1 src1=1 src2=0
	v_mul_i32_i24_e32 v214, v164 /*v420*/, v52 /*v308*/
	s_set_vgpr_msb 0x41                     ;  msbs: dst=1 src0=1 src1=0 src2=0
	v_add3_u32 v123 /*v379*/, v21 /*v277*/, v215, v98
	s_set_vgpr_msb 5                        ;  msbs: dst=0 src0=1 src1=1 src2=0
	v_mul_i32_i24_e32 v98, v160 /*v416*/, v27 /*v283*/
	v_mul_i32_i24_e32 v106, v62 /*v318*/, v40 /*v296*/
	;; [unrolled: 1-line block ×6, first 2 shown]
	s_set_vgpr_msb 0x41                     ;  msbs: dst=1 src0=1 src1=0 src2=0
	v_mul_i32_i24_e32 v62 /*v318*/, v135 /*v391*/, v204
	v_mul_i32_i24_e32 v32 /*v288*/, v39 /*v295*/, v213
	;; [unrolled: 1-line block ×3, first 2 shown]
	s_set_vgpr_msb 0x45                     ;  msbs: dst=1 src0=1 src1=1 src2=0
	v_mul_i32_i24_e32 v67 /*v323*/, v39 /*v295*/, v52 /*v308*/
	s_set_vgpr_msb 0x41                     ;  msbs: dst=1 src0=1 src1=0 src2=0
	v_add3_u32 v124 /*v380*/, v53 /*v309*/, v162, v161
	s_set_vgpr_msb 0                        ;  msbs: dst=0 src0=0 src1=0 src2=0
	v_mul_i32_i24_e32 v161, v243, v236
	v_mul_i32_i24_e32 v162, v240, v235
	s_set_vgpr_msb 0x41                     ;  msbs: dst=1 src0=1 src1=0 src2=0
	v_add3_u32 v125 /*v381*/, v18 /*v274*/, v98, v214
	s_set_vgpr_msb 1                        ;  msbs: dst=0 src0=1 src1=0 src2=0
	v_mul_i32_i24_e32 v98, v168 /*v424*/, v204
	v_mul_i32_i24_e32 v204, v170 /*v426*/, v213
	s_set_vgpr_msb 5                        ;  msbs: dst=0 src0=1 src1=1 src2=0
	v_mul_i32_i24_e32 v120, v87 /*v343*/, v43 /*v299*/
	v_mul_i32_i24_e32 v128, v87 /*v343*/, v121 /*v377*/
	;; [unrolled: 1-line block ×3, first 2 shown]
	s_set_vgpr_msb 0x41                     ;  msbs: dst=1 src0=1 src1=0 src2=0
	v_mul_i32_i24_e32 v71 /*v327*/, v135 /*v391*/, v100
	s_set_vgpr_msb 0x45                     ;  msbs: dst=1 src0=1 src1=1 src2=0
	v_mul_i32_i24_e32 v23 /*v279*/, v135 /*v391*/, v27 /*v283*/
	s_set_vgpr_msb 0x41                     ;  msbs: dst=1 src0=1 src1=0 src2=0
	v_add3_u32 v57 /*v313*/, v74 /*v330*/, v158, v147
	s_set_vgpr_msb 0x45                     ;  msbs: dst=1 src0=1 src1=1 src2=0
	v_mul_i32_i24_e32 v74 /*v330*/, v11 /*v267*/, v24 /*v280*/
	s_set_vgpr_msb 0x41                     ;  msbs: dst=1 src0=1 src1=0 src2=0
	v_mul_i32_i24_e32 v11 /*v267*/, v37 /*v293*/, v235
	s_set_vgpr_msb 5                        ;  msbs: dst=0 src0=1 src1=1 src2=0
	v_mul_i32_i24_e32 v158, v39 /*v295*/, v76 /*v332*/
	s_set_vgpr_msb 64                       ;  msbs: dst=1 src0=0 src1=0 src2=0
	v_add3_u32 v39 /*v295*/, v225, v232, v231
	v_add3_u32 v87 /*v343*/, v217, v233, v155
	s_set_vgpr_msb 0x50                     ;  msbs: dst=1 src0=0 src1=0 src2=1
	v_add3_u32 v89 /*v345*/, v221, v242, v32 /*v288*/
	v_add3_u32 v34 /*v290*/, v222, v248, v34 /*v290*/
	s_set_vgpr_msb 0x54                     ;  msbs: dst=1 src0=0 src1=1 src2=1
	v_add3_u32 v67 /*v323*/, v226, v58 /*v314*/, v67 /*v323*/
	s_set_vgpr_msb 0x41                     ;  msbs: dst=1 src0=1 src1=0 src2=0
	v_add3_u32 v181 /*v437*/, v20 /*v276*/, v162, v161
	s_set_vgpr_msb 1                        ;  msbs: dst=0 src0=1 src1=0 src2=0
	v_mul_i32_i24_e32 v161, v168 /*v424*/, v100
	v_mul_i32_i24_e32 v162, v170 /*v426*/, v163
	v_add3_u32 v100, v25 /*v281*/, v98, v204
	s_set_vgpr_msb 0x45                     ;  msbs: dst=1 src0=1 src1=1 src2=0
	v_mul_i32_i24_e32 v25 /*v281*/, v81 /*v337*/, v24 /*v280*/
	v_mul_i32_i24_e32 v4 /*v260*/, v4 /*v260*/, v137 /*v393*/
	s_set_vgpr_msb 4                        ;  msbs: dst=0 src0=0 src1=1 src2=0
	v_mul_i32_i24_e32 v97, v210, v47 /*v303*/
	s_set_vgpr_msb 5                        ;  msbs: dst=0 src0=1 src1=1 src2=0
	v_mul_i32_i24_e32 v122, v90 /*v346*/, v47 /*v303*/
	s_set_vgpr_msb 4                        ;  msbs: dst=0 src0=0 src1=1 src2=0
	v_mul_i32_i24_e32 v118, v210, v131 /*v387*/
	v_mul_i32_i24_e32 v119, v208, v122 /*v378*/
	s_set_vgpr_msb 5                        ;  msbs: dst=0 src0=1 src1=1 src2=0
	v_mul_i32_i24_e32 v129, v90 /*v346*/, v131 /*v387*/
	s_set_vgpr_msb 4                        ;  msbs: dst=0 src0=0 src1=1 src2=0
	v_mul_i32_i24_e32 v124, v210, v139 /*v395*/
	;; [unrolled: 5-line block ×3, first 2 shown]
	v_mul_i32_i24_e32 v132, v210, v151 /*v407*/
	v_mul_i32_i24_e32 v134, v208, v150 /*v406*/
	s_set_vgpr_msb 5                        ;  msbs: dst=0 src0=1 src1=1 src2=0
	v_mul_i32_i24_e32 v153, v79 /*v335*/, v43 /*v299*/
	v_mul_i32_i24_e32 v156, v82 /*v338*/, v47 /*v303*/
	;; [unrolled: 1-line block ×9, first 2 shown]
	s_set_vgpr_msb 64                       ;  msbs: dst=1 src0=0 src1=0 src2=0
	v_add3_u32 v37 /*v293*/, v224, v209, v151
	s_set_vgpr_msb 0x45                     ;  msbs: dst=1 src0=1 src1=1 src2=0
	v_mul_i32_i24_e32 v77 /*v333*/, v46 /*v302*/, v42 /*v298*/
	v_mul_i32_i24_e32 v79 /*v335*/, v104 /*v360*/, v45 /*v301*/
	s_set_vgpr_msb 4                        ;  msbs: dst=0 src0=0 src1=1 src2=0
	v_mul_i32_i24_e32 v207, v249, v36 /*v292*/
	s_set_vgpr_msb 64                       ;  msbs: dst=1 src0=0 src1=0 src2=0
	v_add3_u32 v82 /*v338*/, v216, v228, v223
	s_set_vgpr_msb 0x45                     ;  msbs: dst=1 src0=1 src1=1 src2=0
	v_mul_i32_i24_e32 v90 /*v346*/, v46 /*v302*/, v85 /*v341*/
	v_mul_i32_i24_e32 v98 /*v354*/, v104 /*v360*/, v122 /*v378*/
	s_set_vgpr_msb 4                        ;  msbs: dst=0 src0=0 src1=1 src2=0
	v_mul_i32_i24_e32 v221, v249, v50 /*v306*/
	s_set_vgpr_msb 0x54                     ;  msbs: dst=1 src0=0 src1=1 src2=1
	v_add3_u32 v99 /*v355*/, v227, v11 /*v267*/, v5 /*v261*/
	s_set_vgpr_msb 0x45                     ;  msbs: dst=1 src0=1 src1=1 src2=0
	v_mul_i32_i24_e32 v48 /*v304*/, v46 /*v302*/, v132 /*v388*/
	v_mul_i32_i24_e32 v21 /*v277*/, v104 /*v360*/, v138 /*v394*/
	s_set_vgpr_msb 4                        ;  msbs: dst=0 src0=0 src1=1 src2=0
	v_mul_i32_i24_e32 v239, v249, v51 /*v307*/
	s_set_vgpr_msb 1                        ;  msbs: dst=0 src0=1 src1=0 src2=0
	v_add3_u32 v98, v57 /*v313*/, v161, v162
	s_set_vgpr_msb 5                        ;  msbs: dst=0 src0=1 src1=1 src2=0
	v_mul_i32_i24_e32 v243, v30 /*v286*/, v76 /*v332*/
	s_set_vgpr_msb 0x45                     ;  msbs: dst=1 src0=1 src1=1 src2=0
	v_mul_i32_i24_e32 v2 /*v258*/, v31 /*v287*/, v75 /*v331*/
	s_set_vgpr_msb 4                        ;  msbs: dst=0 src0=0 src1=1 src2=0
	v_mul_i32_i24_e32 v214, v249, v93 /*v349*/
	s_set_vgpr_msb 5                        ;  msbs: dst=0 src0=1 src1=1 src2=0
	v_mul_i32_i24_e32 v247, v168 /*v424*/, v27 /*v283*/
	v_mul_i32_i24_e32 v249, v170 /*v426*/, v52 /*v308*/
	s_set_vgpr_msb 0x44                     ;  msbs: dst=1 src0=0 src1=1 src2=0
	v_mul_i32_i24_e32 v30 /*v286*/, v255, v85 /*v341*/
	s_set_vgpr_msb 0x41                     ;  msbs: dst=1 src0=1 src1=0 src2=0
	v_add3_u32 v31 /*v287*/, v39 /*v295*/, v252, v250
	s_set_vgpr_msb 5                        ;  msbs: dst=0 src0=1 src1=1 src2=0
	v_mul_i32_i24_e32 v250, v17 /*v273*/, v122 /*v378*/
	s_set_vgpr_msb 0x55                     ;  msbs: dst=1 src0=1 src1=1 src2=1
	v_add3_u32 v39 /*v295*/, v59 /*v315*/, v62 /*v318*/, v70 /*v326*/
	s_set_vgpr_msb 0x44                     ;  msbs: dst=1 src0=0 src1=1 src2=0
	v_mul_i32_i24_e32 v5 /*v261*/, v251, v76 /*v332*/
	s_set_vgpr_msb 0x55                     ;  msbs: dst=1 src0=1 src1=1 src2=1
	v_add3_u32 v57 /*v313*/, v87 /*v343*/, v23 /*v279*/, v73 /*v329*/
	v_add3_u32 v58 /*v314*/, v88 /*v344*/, v60 /*v316*/, v61 /*v317*/
	v_add3_u32 v59 /*v315*/, v89 /*v345*/, v64 /*v320*/, v49 /*v305*/
	v_add3_u32 v62 /*v318*/, v34 /*v290*/, v26 /*v282*/, v65 /*v321*/
	v_add3_u32 v64 /*v320*/, v67 /*v323*/, v72 /*v328*/, v69 /*v325*/
	s_set_vgpr_msb 5                        ;  msbs: dst=0 src0=1 src1=1 src2=0
	v_mul_i32_i24_e32 v251, v97 /*v353*/, v85 /*v341*/
	s_set_vgpr_msb 0x55                     ;  msbs: dst=1 src0=1 src1=1 src2=1
	v_mul_i32_i24_e32 v23 /*v279*/, v111 /*v367*/, v122 /*v378*/
	v_add3_u32 v72 /*v328*/, v101 /*v357*/, v4 /*v260*/, v25 /*v281*/
	v_mul_i32_i24_e32 v25 /*v281*/, v97 /*v353*/, v132 /*v388*/
	v_mul_i32_i24_e32 v65 /*v321*/, v111 /*v367*/, v138 /*v394*/
	;; [unrolled: 1-line block ×4, first 2 shown]
	s_set_vgpr_msb 5                        ;  msbs: dst=0 src0=1 src1=1 src2=0
	v_mul_i32_i24_e32 v224, v6 /*v262*/, v43 /*v299*/
	v_mul_i32_i24_e32 v225, v8 /*v264*/, v47 /*v303*/
	;; [unrolled: 1-line block ×12, first 2 shown]
	s_set_vgpr_msb 1                        ;  msbs: dst=0 src0=1 src1=0 src2=0
	v_mul_i32_i24_e32 v236, v9 /*v265*/, v236
	s_set_vgpr_msb 0x44                     ;  msbs: dst=1 src0=0 src1=1 src2=0
	v_mul_i32_i24_e32 v6 /*v262*/, v255, v42 /*v298*/
	s_set_vgpr_msb 1                        ;  msbs: dst=0 src0=1 src1=0 src2=0
	v_mul_i32_i24_e32 v235, v14 /*v270*/, v235
	s_set_vgpr_msb 0x41                     ;  msbs: dst=1 src0=1 src1=0 src2=0
	v_add3_u32 v142 /*v398*/, v68 /*v324*/, v247, v249
	s_set_vgpr_msb 0x45                     ;  msbs: dst=1 src0=1 src1=1 src2=0
	v_mul_i32_i24_e32 v27 /*v283*/, v17 /*v273*/, v45 /*v301*/
	v_add3_u32 v33 /*v289*/, v54 /*v310*/, v15 /*v271*/, v253
	s_set_vgpr_msb 4                        ;  msbs: dst=0 src0=0 src1=1 src2=0
	v_mul_i32_i24_e32 v252, v255, v132 /*v388*/
	s_set_vgpr_msb 5                        ;  msbs: dst=0 src0=1 src1=1 src2=0
	v_mul_i32_i24_e32 v253, v17 /*v273*/, v138 /*v394*/
	s_set_vgpr_msb 0x45                     ;  msbs: dst=1 src0=1 src1=1 src2=0
	v_mul_i32_i24_e32 v53 /*v309*/, v140 /*v396*/, v24 /*v280*/
	s_set_vgpr_msb 0x44                     ;  msbs: dst=1 src0=0 src1=1 src2=0
	v_mul_i32_i24_e32 v3 /*v259*/, v245, v78 /*v334*/
	s_set_vgpr_msb 0x51                     ;  msbs: dst=1 src0=1 src1=0 src2=1
	v_add3_u32 v52 /*v308*/, v37 /*v293*/, v244, v28 /*v284*/
	s_set_vgpr_msb 5                        ;  msbs: dst=0 src0=1 src1=1 src2=0
	v_mul_i32_i24_e32 v244, v97 /*v353*/, v42 /*v298*/
	s_set_vgpr_msb 0x55                     ;  msbs: dst=1 src0=1 src1=1 src2=1
	v_add3_u32 v54 /*v310*/, v82 /*v338*/, v71 /*v327*/, v22 /*v278*/
	s_set_vgpr_msb 5                        ;  msbs: dst=0 src0=1 src1=1 src2=0
	v_mul_i32_i24_e32 v245, v111 /*v367*/, v45 /*v301*/
	s_set_vgpr_msb 0x55                     ;  msbs: dst=1 src0=1 src1=1 src2=1
	v_mul_i32_i24_e32 v13 /*v269*/, v66 /*v322*/, v36 /*v292*/
	v_mul_i32_i24_e32 v8 /*v264*/, v29 /*v285*/, v137 /*v393*/
	v_add3_u32 v68 /*v324*/, v7 /*v263*/, v79 /*v335*/, v77 /*v333*/
	v_mul_i32_i24_e32 v28 /*v284*/, v66 /*v322*/, v50 /*v306*/
	v_add3_u32 v69 /*v325*/, v103 /*v359*/, v98 /*v354*/, v90 /*v346*/
	v_add3_u32 v70 /*v326*/, v80 /*v336*/, v21 /*v277*/, v48 /*v304*/
	s_set_vgpr_msb 0x51                     ;  msbs: dst=1 src0=1 src1=0 src2=1
	v_add3_u32 v77 /*v333*/, v108 /*v364*/, v250, v30 /*v286*/
	s_set_vgpr_msb 0x45                     ;  msbs: dst=1 src0=1 src1=1 src2=0
	v_mul_i32_i24_e32 v48 /*v304*/, v66 /*v322*/, v51 /*v307*/
	s_set_vgpr_msb 5                        ;  msbs: dst=0 src0=1 src1=1 src2=0
	v_mul_i32_i24_e32 v250, v91 /*v347*/, v137 /*v393*/
	s_set_vgpr_msb 0x45                     ;  msbs: dst=1 src0=1 src1=1 src2=0
	v_add3_u32 v82 /*v338*/, v118 /*v374*/, v23 /*v279*/, v251
	v_mul_i32_i24_e32 v63 /*v319*/, v96 /*v352*/, v76 /*v332*/
	s_set_vgpr_msb 5                        ;  msbs: dst=0 src0=1 src1=1 src2=0
	v_mul_i32_i24_e32 v251, v66 /*v322*/, v93 /*v349*/
	s_set_vgpr_msb 0x55                     ;  msbs: dst=1 src0=1 src1=1 src2=1
	v_mul_i32_i24_e32 v66 /*v322*/, v95 /*v351*/, v42 /*v298*/
	v_add3_u32 v96 /*v352*/, v119 /*v375*/, v65 /*v321*/, v25 /*v281*/
	v_mul_i32_i24_e32 v25 /*v281*/, v163 /*v419*/, v45 /*v301*/
	v_mul_i32_i24_e32 v65 /*v321*/, v95 /*v351*/, v85 /*v341*/
	v_add3_u32 v98 /*v354*/, v120 /*v376*/, v84 /*v340*/, v88 /*v344*/
	v_mul_i32_i24_e32 v84 /*v340*/, v163 /*v419*/, v122 /*v378*/
	s_set_vgpr_msb 4                        ;  msbs: dst=0 src0=0 src1=1 src2=0
	v_mul_i32_i24_e32 v127, v211, v121 /*v377*/
	v_mul_i32_i24_e32 v133, v211, v134 /*v390*/
	;; [unrolled: 1-line block ×3, first 2 shown]
	s_set_vgpr_msb 5                        ;  msbs: dst=0 src0=1 src1=1 src2=0
	v_mul_i32_i24_e32 v206, v38 /*v294*/, v36 /*v292*/
	v_mul_i32_i24_e32 v209, v40 /*v296*/, v10 /*v266*/
	;; [unrolled: 1-line block ×25, first 2 shown]
	s_set_vgpr_msb 0x44                     ;  msbs: dst=1 src0=0 src1=1 src2=0
	v_mul_i32_i24_e32 v12 /*v268*/, v254, v43 /*v299*/
	s_set_vgpr_msb 0x45                     ;  msbs: dst=1 src0=1 src1=1 src2=0
	v_mul_i32_i24_e32 v14 /*v270*/, v1 /*v257*/, v47 /*v303*/
	s_set_vgpr_msb 0x41                     ;  msbs: dst=1 src0=1 src1=0 src2=0
	v_add3_u32 v127 /*v383*/, v0 /*v256*/, v235, v236
	s_set_vgpr_msb 0x44                     ;  msbs: dst=1 src0=0 src1=1 src2=0
	v_mul_i32_i24_e32 v16 /*v272*/, v254, v121 /*v377*/
	s_set_vgpr_msb 0x45                     ;  msbs: dst=1 src0=1 src1=1 src2=0
	v_mul_i32_i24_e32 v18 /*v274*/, v1 /*v257*/, v131 /*v387*/
	s_set_vgpr_msb 0x44                     ;  msbs: dst=1 src0=0 src1=1 src2=0
	v_mul_i32_i24_e32 v19 /*v275*/, v254, v134 /*v390*/
	s_set_vgpr_msb 0x45                     ;  msbs: dst=1 src0=1 src1=1 src2=0
	v_mul_i32_i24_e32 v20 /*v276*/, v1 /*v257*/, v139 /*v395*/
	v_mul_i32_i24_e32 v32 /*v288*/, v55 /*v311*/, v75 /*v331*/
	s_set_vgpr_msb 4                        ;  msbs: dst=0 src0=0 src1=1 src2=0
	v_mul_i32_i24_e32 v247, v255, v148 /*v404*/
	v_mul_i32_i24_e32 v235, v254, v149 /*v405*/
	s_set_vgpr_msb 5                        ;  msbs: dst=0 src0=1 src1=1 src2=0
	v_mul_i32_i24_e32 v236, v1 /*v257*/, v151 /*v407*/
	v_mul_i32_i24_e32 v249, v17 /*v273*/, v150 /*v406*/
	s_set_vgpr_msb 0x45                     ;  msbs: dst=1 src0=1 src1=1 src2=0
	v_mul_i32_i24_e32 v37 /*v293*/, v100 /*v356*/, v43 /*v299*/
	v_mul_i32_i24_e32 v38 /*v294*/, v105 /*v361*/, v47 /*v303*/
	;; [unrolled: 1-line block ×5, first 2 shown]
	s_set_vgpr_msb 5                        ;  msbs: dst=0 src0=1 src1=1 src2=0
	v_mul_i32_i24_e32 v254, v41 /*v297*/, v147 /*v403*/
	v_mul_i32_i24_e32 v255, v41 /*v297*/, v146 /*v402*/
	s_set_vgpr_msb 0x55                     ;  msbs: dst=1 src0=1 src1=1 src2=1
	v_mul_i32_i24_e32 v0 /*v256*/, v44 /*v300*/, v156 /*v412*/
	v_mul_i32_i24_e32 v1 /*v257*/, v44 /*v300*/, v155 /*v411*/
	v_mul_i32_i24_e32 v55 /*v311*/, v100 /*v356*/, v121 /*v377*/
	v_add3_u32 v67 /*v323*/, v99 /*v355*/, v8 /*v264*/, v74 /*v330*/
	v_mul_i32_i24_e32 v60 /*v316*/, v105 /*v361*/, v131 /*v387*/
	v_mul_i32_i24_e32 v26 /*v282*/, v143 /*v399*/, v50 /*v306*/
	;; [unrolled: 1-line block ×6, first 2 shown]
	v_add3_u32 v74 /*v330*/, v106 /*v362*/, v27 /*v283*/, v6 /*v262*/
	v_mul_i32_i24_e32 v71 /*v327*/, v100 /*v356*/, v134 /*v390*/
	v_mul_i32_i24_e32 v73 /*v329*/, v105 /*v361*/, v139 /*v395*/
	s_set_vgpr_msb 0x41                     ;  msbs: dst=1 src0=1 src1=0 src2=0
	v_add3_u32 v79 /*v335*/, v113 /*v369*/, v253, v252
	s_set_vgpr_msb 0x45                     ;  msbs: dst=1 src0=1 src1=1 src2=0
	v_mul_i32_i24_e32 v46 /*v302*/, v143 /*v399*/, v51 /*v307*/
	s_set_vgpr_msb 0x51                     ;  msbs: dst=1 src0=1 src1=0 src2=1
	v_add3_u32 v80 /*v336*/, v115 /*v371*/, v250, v53 /*v309*/
	s_set_vgpr_msb 0x45                     ;  msbs: dst=1 src0=1 src1=1 src2=0
	v_mul_i32_i24_e32 v49 /*v305*/, v107 /*v363*/, v130 /*v386*/
	v_mul_i32_i24_e32 v53 /*v309*/, v107 /*v363*/, v145 /*v401*/
	s_set_vgpr_msb 0x41                     ;  msbs: dst=1 src0=1 src1=0 src2=0
	v_add3_u32 v81 /*v337*/, v117 /*v373*/, v245, v244
	s_set_vgpr_msb 0x45                     ;  msbs: dst=1 src0=1 src1=1 src2=0
	v_mul_i32_i24_e32 v21 /*v277*/, v94 /*v350*/, v147 /*v403*/
	v_mul_i32_i24_e32 v22 /*v278*/, v94 /*v350*/, v146 /*v402*/
	;; [unrolled: 1-line block ×8, first 2 shown]
	s_set_vgpr_msb 5                        ;  msbs: dst=0 src0=1 src1=1 src2=0
	v_mul_i32_i24_e32 v250, v143 /*v399*/, v93 /*v349*/
	v_mul_i32_i24_e32 v252, v110 /*v366*/, v130 /*v386*/
	v_mul_i32_i24_e32 v253, v110 /*v366*/, v145 /*v401*/
	v_mul_i32_i24_e32 v244, v109 /*v365*/, v147 /*v403*/
	v_mul_i32_i24_e32 v245, v109 /*v365*/, v146 /*v402*/
	s_set_vgpr_msb 0x55                     ;  msbs: dst=1 src0=1 src1=1 src2=1
	v_mul_i32_i24_e32 v86 /*v342*/, v95 /*v351*/, v132 /*v388*/
	v_add3_u32 v99 /*v355*/, v123 /*v379*/, v25 /*v281*/, v66 /*v322*/
	v_mul_i32_i24_e32 v25 /*v281*/, v163 /*v419*/, v138 /*v394*/
	v_mul_i32_i24_e32 v101 /*v357*/, v92 /*v348*/, v43 /*v299*/
	v_add3_u32 v100 /*v356*/, v124 /*v380*/, v84 /*v340*/, v65 /*v321*/
	v_mul_i32_i24_e32 v104 /*v360*/, v162 /*v418*/, v47 /*v303*/
	v_mul_i32_i24_e32 v103 /*v359*/, v92 /*v348*/, v121 /*v377*/
	;; [unrolled: 1-line block ×43, first 2 shown]
	s_set_vgpr_msb 0x41                     ;  msbs: dst=1 src0=1 src1=0 src2=0
	v_mul_i32_i24_e32 v109 /*v365*/, v44 /*v300*/, v96
	s_set_vgpr_msb 0x45                     ;  msbs: dst=1 src0=1 src1=1 src2=0
	v_mul_i32_i24_e32 v110 /*v366*/, v44 /*v300*/, v179 /*v435*/
	s_set_vgpr_msb 0x41                     ;  msbs: dst=1 src0=1 src1=0 src2=0
	v_mul_i32_i24_e32 v111 /*v367*/, v112 /*v368*/, v96
	v_mul_i32_i24_e32 v113 /*v369*/, v114 /*v370*/, v96
	;; [unrolled: 1-line block ×3, first 2 shown]
	s_set_vgpr_msb 0x45                     ;  msbs: dst=1 src0=1 src1=1 src2=0
	v_mul_i32_i24_e32 v45 /*v301*/, v133 /*v389*/, v179 /*v435*/
	v_mul_i32_i24_e32 v138 /*v394*/, v136 /*v392*/, v141 /*v397*/
	;; [unrolled: 1-line block ×5, first 2 shown]
	s_set_vgpr_msb 5                        ;  msbs: dst=0 src0=1 src1=1 src2=0
	v_mul_i32_i24_e32 v96, v158 /*v414*/, v137 /*v393*/
	s_set_vgpr_msb 0x45                     ;  msbs: dst=1 src0=1 src1=1 src2=0
	v_mul_i32_i24_e32 v133 /*v389*/, v169 /*v425*/, v141 /*v397*/
	v_mul_i32_i24_e32 v141 /*v397*/, v167 /*v423*/, v137 /*v393*/
	s_set_vgpr_msb 0x54                     ;  msbs: dst=1 src0=0 src1=1 src2=1
	v_add3_u32 v143 /*v399*/, v100, v144 /*v400*/, v143 /*v399*/
	v_add3_u32 v144 /*v400*/, v98, v147 /*v403*/, v146 /*v402*/
	s_set_vgpr_msb 0x51                     ;  msbs: dst=1 src0=1 src1=0 src2=1
	v_add3_u32 v137 /*v393*/, v181 /*v437*/, v96, v159 /*v415*/
	s_set_vgpr_msb 5                        ;  msbs: dst=0 src0=1 src1=1 src2=0
	v_mul_i32_i24_e32 v222, v56 /*v312*/, v10 /*v266*/
	s_set_vgpr_msb 0x55                     ;  msbs: dst=1 src0=1 src1=1 src2=1
	v_add3_u32 v127 /*v383*/, v127 /*v383*/, v141 /*v397*/, v140 /*v396*/
	s_set_vgpr_msb 5                        ;  msbs: dst=0 src0=1 src1=1 src2=0
	v_mul_i32_i24_e32 v240, v107 /*v363*/, v10 /*v266*/
	s_set_vgpr_msb 0x45                     ;  msbs: dst=1 src0=1 src1=1 src2=0
	v_mul_i32_i24_e32 v123 /*v379*/, v173 /*v429*/, v43 /*v299*/
	v_mul_i32_i24_e32 v106 /*v362*/, v157 /*v413*/, v50 /*v306*/
	;; [unrolled: 1-line block ×5, first 2 shown]
	s_set_vgpr_msb 1                        ;  msbs: dst=0 src0=1 src1=0 src2=0
	v_add3_u32 v117, v39 /*v295*/, v135, v117
	v_add3_u32 v102, v52 /*v308*/, v102, v103
	;; [unrolled: 1-line block ×6, first 2 shown]
	s_set_vgpr_msb 5                        ;  msbs: dst=0 src0=1 src1=1 src2=0
	v_add3_u32 v113, v58 /*v314*/, v134 /*v390*/, v146
	s_set_vgpr_msb 17                       ;  msbs: dst=0 src0=1 src1=0 src2=1
	v_add3_u32 v135, v67 /*v323*/, v218, v132 /*v388*/
	s_set_vgpr_msb 1                        ;  msbs: dst=0 src0=1 src1=0 src2=0
	v_add3_u32 v136, v59 /*v315*/, v153, v156
	v_add3_u32 v143, v68 /*v324*/, v224, v225
	;; [unrolled: 1-line block ×6, first 2 shown]
	s_set_vgpr_msb 21                       ;  msbs: dst=0 src0=1 src1=1 src2=1
	v_add3_u32 v156, v72 /*v328*/, v2 /*v258*/, v138 /*v394*/
	v_add3_u32 v159, v80 /*v336*/, v32 /*v288*/, v139 /*v395*/
	;; [unrolled: 1-line block ×10, first 2 shown]
	s_set_vgpr_msb 0x55                     ;  msbs: dst=1 src0=1 src1=1 src2=1
	v_add3_u32 v2 /*v258*/, v100 /*v356*/, v103 /*v359*/, v108 /*v364*/
	v_add3_u32 v12 /*v268*/, v144 /*v400*/, v128 /*v384*/, v129 /*v385*/
	;; [unrolled: 1-line block ×3, first 2 shown]
	v_mul_i32_i24_e32 v9 /*v265*/, v112 /*v368*/, v156 /*v412*/
	v_mul_i32_i24_e32 v10 /*v266*/, v112 /*v368*/, v155 /*v411*/
	v_add3_u32 v102 /*v358*/, v125 /*v381*/, v25 /*v281*/, v86 /*v342*/
	v_mul_i32_i24_e32 v66 /*v322*/, v163 /*v419*/, v150 /*v406*/
	v_mul_i32_i24_e32 v85 /*v341*/, v83 /*v339*/, v180 /*v436*/
	;; [unrolled: 1-line block ×8, first 2 shown]
	s_set_vgpr_msb 0                        ;  msbs: dst=0 src0=0 src1=0 src2=0
	ds_load_b32 v96, v199
	ds_load_b32 v100, v200
	;; [unrolled: 1-line block ×3, first 2 shown]
	s_set_vgpr_msb 64                       ;  msbs: dst=1 src0=0 src1=0 src2=0
	ds_load_b32 v146 /*v402*/, v201
	s_set_vgpr_msb 21                       ;  msbs: dst=0 src0=1 src1=1 src2=1
	v_add3_u32 v248, v143 /*v399*/, v123 /*v379*/, v124 /*v380*/
	s_set_vgpr_msb 0                        ;  msbs: dst=0 src0=0 src1=0 src2=0
	v_add3_u32 v117, v117, v120, v122
	v_add3_u32 v97, v102, v97, v99
	;; [unrolled: 1-line block ×15, first 2 shown]
	s_set_vgpr_msb 20                       ;  msbs: dst=0 src0=0 src1=1 src2=1
	v_add3_u32 v133, v159, v3 /*v259*/, v5 /*v261*/
	v_add3_u32 v135, v208, v13 /*v269*/, v17 /*v273*/
	;; [unrolled: 1-line block ×9, first 2 shown]
	s_set_vgpr_msb 21                       ;  msbs: dst=0 src0=1 src1=1 src2=1
	v_add3_u32 v153, v12 /*v268*/, v115 /*v371*/, v118 /*v374*/
	v_add3_u32 v156, v2 /*v258*/, v106 /*v362*/, v117 /*v373*/
	;; [unrolled: 1-line block ×3, first 2 shown]
	s_set_vgpr_msb 0x55                     ;  msbs: dst=1 src0=1 src1=1 src2=1
	v_mul_i32_i24_e32 v25 /*v281*/, v162 /*v418*/, v151 /*v407*/
	v_mul_i32_i24_e32 v50 /*v306*/, v173 /*v429*/, v149 /*v405*/
	;; [unrolled: 1-line block ×3, first 2 shown]
	v_add3_u32 v142 /*v398*/, v142 /*v398*/, v148 /*v404*/, v145 /*v401*/
	s_set_vgpr_msb 20                       ;  msbs: dst=0 src0=0 src1=1 src2=1
	v_add3_u32 v145, v248, v92 /*v348*/, v97 /*v353*/
	s_set_vgpr_msb 0                        ;  msbs: dst=0 src0=0 src1=0 src2=0
	v_add3_u32 v105, v117, v105, v106
	v_cvt_f32_i32_e32 v102, v97
	v_add3_u32 v97, v99, v114, v116
	v_add3_u32 v99, v103, v118, v119
	;; [unrolled: 1-line block ×14, first 2 shown]
	s_set_vgpr_msb 16                       ;  msbs: dst=0 src0=0 src1=0 src2=1
	v_add3_u32 v121, v136, v254, v0 /*v256*/
	v_add3_u32 v122, v135, v255, v1 /*v257*/
	s_set_vgpr_msb 20                       ;  msbs: dst=0 src0=0 src1=1 src2=1
	v_add3_u32 v123, v138, v7 /*v263*/, v9 /*v265*/
	v_add3_u32 v124, v137, v8 /*v264*/, v10 /*v266*/
	v_add3_u32 v126, v139, v22 /*v278*/, v107 /*v363*/
	v_add3_u32 v127, v143, v30 /*v286*/, v27 /*v283*/
	v_add3_u32 v128, v144, v66 /*v322*/, v65 /*v321*/
	v_add3_u32 v129, v146, v75 /*v331*/, v109 /*v365*/
	v_add3_u32 v133, v156, v85 /*v341*/, v111 /*v367*/
	v_add3_u32 v135, v153, v86 /*v342*/, v112 /*v368*/
	v_add3_u32 v138, v159, v83 /*v339*/, v78 /*v334*/
	s_set_vgpr_msb 0x45                     ;  msbs: dst=1 src0=1 src1=1 src2=0
	v_mul_i32_i24_e32 v42 /*v298*/, v157 /*v413*/, v93 /*v349*/
	v_mul_i32_i24_e32 v43 /*v299*/, v166 /*v422*/, v93 /*v349*/
	s_set_vgpr_msb 0                        ;  msbs: dst=0 src0=0 src1=0 src2=0
	v_pk_mul_f32 v[94:95], v[94:95], s[12:13] op_sel_hi:[1,0]
	s_set_vgpr_msb 21                       ;  msbs: dst=0 src0=1 src1=1 src2=1
	v_add3_u32 v224, v79 /*v335*/, v19 /*v275*/, v20 /*v276*/
	s_set_vgpr_msb 0x55                     ;  msbs: dst=1 src0=1 src1=1 src2=1
	v_add3_u32 v14 /*v270*/, v102 /*v358*/, v105 /*v361*/, v116 /*v372*/
	v_add3_u32 v16 /*v272*/, v142 /*v398*/, v130 /*v386*/, v131 /*v387*/
	s_set_vgpr_msb 20                       ;  msbs: dst=0 src0=0 src1=1 src2=1
	v_add3_u32 v130, v145, v76 /*v332*/, v110 /*v366*/
	s_set_vgpr_msb 0                        ;  msbs: dst=0 src0=0 src1=0 src2=0
	v_add3_u32 v101, v105, v101, v104
	v_add3_u32 v97, v97, v109, v110
	v_cvt_f32_i32_e32 v104, v99
	v_add3_u32 v99, v103, v112, v115
	v_add3_u32 v132, v107, v132, v134
	v_cvt_f32_i32_e32 v109, v111
	v_cvt_f32_i32_e32 v108, v108
	;; [unrolled: 1-line block ×5, first 2 shown]
	v_add3_u32 v134, v114, v147, v148
	v_add3_u32 v139, v119, v226, v227
	v_cvt_f32_i32_e32 v115, v122
	v_cvt_f32_i32_e32 v114, v121
	;; [unrolled: 1-line block ×5, first 2 shown]
	v_add3_u32 v126, v120, v235, v236
	s_set_vgpr_msb 20                       ;  msbs: dst=0 src0=0 src1=1 src2=1
	v_add3_u32 v127, v127, v4 /*v260*/, v6 /*v262*/
	v_cvt_f32_i32_e32 v120, v129
	v_cvt_f32_i32_e32 v123, v135
	;; [unrolled: 1-line block ×3, first 2 shown]
	v_add3_u32 v128, v128, v24 /*v280*/, v25 /*v281*/
	v_add3_u32 v129, v138, v50 /*v306*/, v56 /*v312*/
	s_set_vgpr_msb 0x45                     ;  msbs: dst=1 src0=1 src1=1 src2=0
	v_mul_i32_i24_e32 v23 /*v279*/, v114 /*v370*/, v156 /*v412*/
	v_mul_i32_i24_e32 v93 /*v349*/, v94 /*v350*/, v180 /*v436*/
	;; [unrolled: 1-line block ×4, first 2 shown]
	s_set_vgpr_msb 20                       ;  msbs: dst=0 src0=0 src1=1 src2=1
	v_cvt_f32_i32_e32 v131, v131
	v_add3_u32 v140, v224, v46 /*v302*/, v49 /*v305*/
	s_set_vgpr_msb 21                       ;  msbs: dst=0 src0=1 src1=1 src2=1
	v_add3_u32 v157, v16 /*v272*/, v121 /*v377*/, v125 /*v381*/
	v_add3_u32 v158, v14 /*v270*/, v119 /*v375*/, v122 /*v378*/
	s_set_vgpr_msb 0                        ;  msbs: dst=0 src0=0 src1=0 src2=0
	v_cvt_f32_i32_e32 v106, v106
	v_cvt_f32_i32_e32 v121, v130
	;; [unrolled: 1-line block ×6, first 2 shown]
	v_pk_fma_f32 v[108:109], v[80:81], v[108:109], v[90:91] neg_lo:[0,0,1] neg_hi:[0,0,1]
	v_pk_fma_f32 v[110:111], v[80:81], v[110:111], v[90:91] neg_lo:[0,0,1] neg_hi:[0,0,1]
	v_add3_u32 v97, v139, v214, v217
	v_add3_u32 v99, v134, v213, v215
	v_pk_fma_f32 v[114:115], v[82:83], v[114:115], v[92:93] neg_lo:[0,0,1] neg_hi:[0,0,1]
	v_pk_fma_f32 v[116:117], v[82:83], v[116:117], v[92:93] neg_lo:[0,0,1] neg_hi:[0,0,1]
	v_add3_u32 v101, v127, v251, v253
	v_add3_u32 v126, v126, v250, v252
	v_pk_fma_f32 v[122:123], v[84:85], v[122:123], v[94:95] neg_lo:[0,0,1] neg_hi:[0,0,1]
	s_set_vgpr_msb 20                       ;  msbs: dst=0 src0=0 src1=1 src2=1
	v_add3_u32 v127, v129, v43 /*v299*/, v51 /*v307*/
	v_add3_u32 v128, v128, v42 /*v298*/, v47 /*v303*/
	v_add3_u32 v125, v140, v21 /*v277*/, v23 /*v279*/
	v_add3_u32 v136, v158, v93 /*v349*/, v113 /*v369*/
	v_add3_u32 v137, v157, v94 /*v350*/, v114 /*v370*/
	s_set_vgpr_msb 0                        ;  msbs: dst=0 src0=0 src1=0 src2=0
	v_pk_fma_f32 v[102:103], v[86:87], v[102:103], v[88:89] neg_lo:[0,0,1] neg_hi:[0,0,1]
	v_pk_fma_f32 v[104:105], v[86:87], v[104:105], v[88:89] neg_lo:[0,0,1] neg_hi:[0,0,1]
	;; [unrolled: 1-line block ×4, first 2 shown]
	s_wait_dscnt 0x3
	v_pk_fma_f32 v[28:29], v[96:97], v[108:109], v[28:29] op_sel_hi:[0,1,1]
	s_wait_dscnt 0x2
	v_pk_fma_f32 v[22:23], v[100:101], v[110:111], v[22:23] op_sel_hi:[0,1,1]
	v_add3_u32 v88, v99, v161, v163
	v_add3_u32 v89, v97, v162, v204
	v_pk_fma_f32 v[14:15], v[96:97], v[114:115], v[14:15] op_sel_hi:[0,1,1]
	v_pk_fma_f32 v[12:13], v[100:101], v[116:117], v[12:13] op_sel_hi:[0,1,1]
	s_set_vgpr_msb 16                       ;  msbs: dst=0 src0=0 src1=0 src2=1
	v_add3_u32 v97, v126, v244, v40 /*v296*/
	v_add3_u32 v99, v101, v245, v41 /*v297*/
	s_set_vgpr_msb 0                        ;  msbs: dst=0 src0=0 src1=0 src2=0
	v_pk_fma_f32 v[4:5], v[100:101], v[122:123], v[4:5] op_sel_hi:[0,1,1]
	s_set_vgpr_msb 20                       ;  msbs: dst=0 src0=0 src1=1 src2=1
	v_add3_u32 v101, v128, v35 /*v291*/, v44 /*v300*/
	v_add3_u32 v110, v127, v36 /*v292*/, v45 /*v301*/
	v_cvt_f32_i32_e32 v113, v118
	v_cvt_f32_i32_e32 v118, v125
	;; [unrolled: 1-line block ×10, first 2 shown]
	s_set_vgpr_msb 0                        ;  msbs: dst=0 src0=0 src1=0 src2=0
	v_pk_fma_f32 v[112:113], v[80:81], v[112:113], v[90:91] neg_lo:[0,0,1] neg_hi:[0,0,1]
	v_pk_fma_f32 v[118:119], v[82:83], v[118:119], v[92:93] neg_lo:[0,0,1] neg_hi:[0,0,1]
	;; [unrolled: 1-line block ×7, first 2 shown]
	v_dual_add_nc_u32 v203, 16, v203 :: v_dual_add_nc_u32 v202, 4, v202
	v_dual_add_nc_u32 v201, 4, v201 :: v_dual_add_nc_u32 v200, 4, v200
	v_add_nc_u32_e32 v199, 4, v199
	s_wait_dscnt 0x0
	s_set_vgpr_msb 1                        ;  msbs: dst=0 src0=1 src1=0 src2=0
	v_pk_fma_f32 v[18:19], v[146:147] /*v[402:403]*/, v[112:113], v[18:19] op_sel_hi:[0,1,1]
	v_pk_fma_f32 v[10:11], v[146:147] /*v[402:403]*/, v[118:119], v[10:11] op_sel_hi:[0,1,1]
	s_set_vgpr_msb 0                        ;  msbs: dst=0 src0=0 src1=0 src2=0
	v_pk_fma_f32 v[6:7], v[96:97], v[120:121], v[6:7] op_sel_hi:[0,1,1]
	s_set_vgpr_msb 1                        ;  msbs: dst=0 src0=1 src1=0 src2=0
	v_pk_fma_f32 v[2:3], v[146:147] /*v[402:403]*/, v[124:125], v[2:3] op_sel_hi:[0,1,1]
	s_set_vgpr_msb 0                        ;  msbs: dst=0 src0=0 src1=0 src2=0
	v_pk_fma_f32 v[36:37], v[96:97], v[102:103], v[36:37] op_sel_hi:[0,1,1]
	v_pk_fma_f32 v[34:35], v[100:101], v[104:105], v[34:35] op_sel_hi:[0,1,1]
	s_set_vgpr_msb 1                        ;  msbs: dst=0 src0=1 src1=0 src2=0
	v_pk_fma_f32 v[32:33], v[146:147] /*v[402:403]*/, v[106:107], v[32:33] op_sel_hi:[0,1,1]
	s_set_vgpr_msb 0                        ;  msbs: dst=0 src0=0 src1=0 src2=0
	v_pk_fma_f32 v[30:31], v[98:99], v[86:87], v[30:31] op_sel_hi:[0,1,1]
	v_pk_fma_f32 v[16:17], v[98:99], v[80:81], v[16:17] op_sel_hi:[0,1,1]
	;; [unrolled: 1-line block ×4, first 2 shown]
	s_cbranch_scc1 .LBB157_12
; %bb.13:                               ;   in Loop: Header=BB157_7 Depth=1
	s_barrier_signal -1
	s_barrier_wait -1
	s_branch .LBB157_6
.LBB157_14:
	v_dual_mov_b32 v20, v21 :: v_dual_mov_b32 v24, v27
	s_mov_b32 s0, exec_lo
	v_cmpx_gt_u32_e64 s4, v39
	s_cbranch_execz .LBB157_3
.LBB157_15:
	v_mul_lo_u32 v27, v39, s6
	v_add_nc_u32_e32 v21, s13, v24
	s_delay_alu instid0(VALU_DEP_1)
	v_cmp_gt_u32_e32 vcc_lo, s6, v21
	s_and_saveexec_b32 s1, vcc_lo
	s_cbranch_execz .LBB157_17
; %bb.16:
	v_bfe_u32 v24, v36, 16, 1
	v_cmp_o_f32_e64 s0, v36, v36
	v_add_nc_u32_e32 v25, v21, v27
	s_delay_alu instid0(VALU_DEP_3) | instskip(NEXT) | instid1(VALU_DEP_1)
	v_add3_u32 v24, v36, v24, 0x7fff
	v_lshrrev_b32_e32 v24, 16, v24
	s_delay_alu instid0(VALU_DEP_1)
	v_cndmask_b32_e64 v24, 0x7fc0, v24, s0
	s_wait_kmcnt 0x0
	global_store_b16 v25, v24, s[8:9] scale_offset
.LBB157_17:
	s_wait_xcnt 0x0
	s_or_b32 exec_lo, exec_lo, s1
	v_add_nc_u32_e32 v24, 32, v21
	s_delay_alu instid0(VALU_DEP_1)
	v_cmp_gt_u32_e64 s0, s6, v24
	s_and_saveexec_b32 s2, s0
	s_cbranch_execz .LBB157_19
; %bb.18:
	v_bfe_u32 v25, v34, 16, 1
	v_cmp_o_f32_e64 s1, v34, v34
	v_add_nc_u32_e32 v26, v24, v27
	s_delay_alu instid0(VALU_DEP_3) | instskip(NEXT) | instid1(VALU_DEP_1)
	v_add3_u32 v25, v34, v25, 0x7fff
	v_lshrrev_b32_e32 v25, 16, v25
	s_delay_alu instid0(VALU_DEP_1)
	v_cndmask_b32_e64 v25, 0x7fc0, v25, s1
	s_wait_kmcnt 0x0
	global_store_b16 v26, v25, s[8:9] scale_offset
.LBB157_19:
	s_wait_xcnt 0x0
	s_or_b32 exec_lo, exec_lo, s2
	v_add_nc_u32_e32 v25, 64, v21
	s_delay_alu instid0(VALU_DEP_1)
	v_cmp_gt_u32_e64 s1, s6, v25
	s_and_saveexec_b32 s3, s1
	s_cbranch_execz .LBB157_21
; %bb.20:
	v_bfe_u32 v26, v32, 16, 1
	v_cmp_o_f32_e64 s2, v32, v32
	s_delay_alu instid0(VALU_DEP_2) | instskip(NEXT) | instid1(VALU_DEP_1)
	v_add3_u32 v26, v32, v26, 0x7fff
	v_dual_add_nc_u32 v32, v25, v27 :: v_dual_lshrrev_b32 v26, 16, v26
	s_delay_alu instid0(VALU_DEP_1)
	v_cndmask_b32_e64 v26, 0x7fc0, v26, s2
	s_wait_kmcnt 0x0
	global_store_b16 v32, v26, s[8:9] scale_offset
.LBB157_21:
	s_wait_xcnt 0x0
	s_or_b32 exec_lo, exec_lo, s3
	v_add_nc_u32_e32 v26, 0x60, v21
	s_delay_alu instid0(VALU_DEP_1)
	v_cmp_gt_u32_e64 s2, s6, v26
	s_and_saveexec_b32 s5, s2
	s_cbranch_execz .LBB157_23
; %bb.22:
	v_bfe_u32 v32, v30, 16, 1
	v_cmp_o_f32_e64 s3, v30, v30
	v_add_nc_u32_e32 v27, v26, v27
	s_delay_alu instid0(VALU_DEP_3) | instskip(NEXT) | instid1(VALU_DEP_1)
	v_add3_u32 v32, v30, v32, 0x7fff
	v_lshrrev_b32_e32 v32, 16, v32
	s_delay_alu instid0(VALU_DEP_1)
	v_cndmask_b32_e64 v30, 0x7fc0, v32, s3
	s_wait_kmcnt 0x0
	global_store_b16 v27, v30, s[8:9] scale_offset
.LBB157_23:
	s_wait_xcnt 0x0
	s_or_b32 exec_lo, exec_lo, s5
	v_add3_u32 v27, v20, s7, 8
	s_delay_alu instid0(VALU_DEP_1)
	v_cmp_gt_u32_e64 s3, s4, v27
	s_and_b32 exec_lo, exec_lo, s3
	s_cbranch_execz .LBB157_3
; %bb.24:
	v_mul_lo_u32 v27, v27, s6
	s_and_saveexec_b32 s5, vcc_lo
	s_cbranch_execnz .LBB157_64
; %bb.25:
	s_or_b32 exec_lo, exec_lo, s5
	s_and_saveexec_b32 s5, s0
	s_cbranch_execnz .LBB157_65
.LBB157_26:
	s_or_b32 exec_lo, exec_lo, s5
	s_and_saveexec_b32 s5, s1
	s_cbranch_execnz .LBB157_66
.LBB157_27:
	s_or_b32 exec_lo, exec_lo, s5
	s_and_saveexec_b32 s5, s2
	s_cbranch_execz .LBB157_29
.LBB157_28:
	v_bfe_u32 v30, v31, 16, 1
	v_cmp_o_f32_e64 s3, v31, v31
	v_add_nc_u32_e32 v27, v27, v26
	s_delay_alu instid0(VALU_DEP_3) | instskip(NEXT) | instid1(VALU_DEP_1)
	v_add3_u32 v30, v31, v30, 0x7fff
	v_lshrrev_b32_e32 v30, 16, v30
	s_delay_alu instid0(VALU_DEP_1)
	v_cndmask_b32_e64 v30, 0x7fc0, v30, s3
	s_wait_kmcnt 0x0
	global_store_b16 v27, v30, s[8:9] scale_offset
.LBB157_29:
	s_wait_xcnt 0x0
	s_or_b32 exec_lo, exec_lo, s5
	v_add3_u32 v27, v20, s7, 16
	s_delay_alu instid0(VALU_DEP_1)
	v_cmp_gt_u32_e64 s3, s4, v27
	s_and_b32 exec_lo, exec_lo, s3
	s_cbranch_execz .LBB157_3
; %bb.30:
	v_mul_lo_u32 v27, v27, s6
	s_and_saveexec_b32 s5, vcc_lo
	s_cbranch_execnz .LBB157_67
; %bb.31:
	s_or_b32 exec_lo, exec_lo, s5
	s_and_saveexec_b32 s5, s0
	s_cbranch_execnz .LBB157_68
.LBB157_32:
	s_or_b32 exec_lo, exec_lo, s5
	s_and_saveexec_b32 s5, s1
	s_cbranch_execnz .LBB157_69
.LBB157_33:
	s_or_b32 exec_lo, exec_lo, s5
	s_and_saveexec_b32 s5, s2
	s_cbranch_execz .LBB157_35
.LBB157_34:
	v_bfe_u32 v18, v16, 16, 1
	v_cmp_o_f32_e64 s3, v16, v16
	s_delay_alu instid0(VALU_DEP_2) | instskip(NEXT) | instid1(VALU_DEP_1)
	v_add3_u32 v18, v16, v18, 0x7fff
	v_lshrrev_b32_e32 v18, 16, v18
	s_delay_alu instid0(VALU_DEP_1)
	v_cndmask_b32_e64 v16, 0x7fc0, v18, s3
	v_add_nc_u32_e32 v18, v27, v26
	s_wait_kmcnt 0x0
	global_store_b16 v18, v16, s[8:9] scale_offset
.LBB157_35:
	s_wait_xcnt 0x0
	s_or_b32 exec_lo, exec_lo, s5
	v_add3_u32 v16, v20, s7, 24
	s_delay_alu instid0(VALU_DEP_1)
	v_cmp_gt_u32_e64 s3, s4, v16
	s_and_b32 exec_lo, exec_lo, s3
	s_cbranch_execz .LBB157_3
; %bb.36:
	v_mul_lo_u32 v16, v16, s6
	s_and_saveexec_b32 s5, vcc_lo
	s_cbranch_execnz .LBB157_70
; %bb.37:
	s_or_b32 exec_lo, exec_lo, s5
	s_and_saveexec_b32 s5, s0
	s_cbranch_execnz .LBB157_71
.LBB157_38:
	s_or_b32 exec_lo, exec_lo, s5
	s_and_saveexec_b32 s5, s1
	s_cbranch_execnz .LBB157_72
.LBB157_39:
	s_or_b32 exec_lo, exec_lo, s5
	s_and_saveexec_b32 s5, s2
	s_cbranch_execz .LBB157_41
.LBB157_40:
	v_bfe_u32 v18, v17, 16, 1
	v_cmp_o_f32_e64 s3, v17, v17
	v_add_nc_u32_e32 v16, v16, v26
	s_delay_alu instid0(VALU_DEP_3) | instskip(NEXT) | instid1(VALU_DEP_1)
	v_add3_u32 v18, v17, v18, 0x7fff
	v_lshrrev_b32_e32 v18, 16, v18
	s_delay_alu instid0(VALU_DEP_1)
	v_cndmask_b32_e64 v17, 0x7fc0, v18, s3
	s_wait_kmcnt 0x0
	global_store_b16 v16, v17, s[8:9] scale_offset
.LBB157_41:
	s_wait_xcnt 0x0
	s_or_b32 exec_lo, exec_lo, s5
	v_add3_u32 v16, v20, s7, 32
	s_delay_alu instid0(VALU_DEP_1)
	v_cmp_gt_u32_e64 s3, s4, v16
	s_and_b32 exec_lo, exec_lo, s3
	s_cbranch_execz .LBB157_3
; %bb.42:
	v_mul_lo_u32 v16, v16, s6
	s_and_saveexec_b32 s5, vcc_lo
	s_cbranch_execnz .LBB157_73
; %bb.43:
	s_or_b32 exec_lo, exec_lo, s5
	s_and_saveexec_b32 s5, s0
	s_cbranch_execnz .LBB157_74
.LBB157_44:
	s_or_b32 exec_lo, exec_lo, s5
	s_and_saveexec_b32 s5, s1
	s_cbranch_execnz .LBB157_75
.LBB157_45:
	s_or_b32 exec_lo, exec_lo, s5
	s_and_saveexec_b32 s5, s2
	s_cbranch_execz .LBB157_47
.LBB157_46:
	v_bfe_u32 v10, v8, 16, 1
	v_cmp_o_f32_e64 s3, v8, v8
	s_delay_alu instid0(VALU_DEP_2) | instskip(NEXT) | instid1(VALU_DEP_1)
	v_add3_u32 v10, v8, v10, 0x7fff
	v_lshrrev_b32_e32 v10, 16, v10
	s_delay_alu instid0(VALU_DEP_1)
	v_cndmask_b32_e64 v8, 0x7fc0, v10, s3
	v_add_nc_u32_e32 v10, v16, v26
	s_wait_kmcnt 0x0
	global_store_b16 v10, v8, s[8:9] scale_offset
.LBB157_47:
	s_wait_xcnt 0x0
	s_or_b32 exec_lo, exec_lo, s5
	v_add3_u32 v8, v20, s7, 40
	s_delay_alu instid0(VALU_DEP_1)
	v_cmp_gt_u32_e64 s3, s4, v8
	s_and_b32 exec_lo, exec_lo, s3
	s_cbranch_execz .LBB157_3
; %bb.48:
	v_mul_lo_u32 v8, v8, s6
	s_and_saveexec_b32 s5, vcc_lo
	s_cbranch_execnz .LBB157_76
; %bb.49:
	s_or_b32 exec_lo, exec_lo, s5
	s_and_saveexec_b32 s5, s0
	s_cbranch_execnz .LBB157_77
.LBB157_50:
	s_or_b32 exec_lo, exec_lo, s5
	s_and_saveexec_b32 s5, s1
	s_cbranch_execnz .LBB157_78
.LBB157_51:
	s_or_b32 exec_lo, exec_lo, s5
	s_and_saveexec_b32 s5, s2
	s_cbranch_execz .LBB157_53
.LBB157_52:
	v_bfe_u32 v10, v9, 16, 1
	v_cmp_o_f32_e64 s3, v9, v9
	v_add_nc_u32_e32 v8, v8, v26
	s_delay_alu instid0(VALU_DEP_3) | instskip(NEXT) | instid1(VALU_DEP_1)
	v_add3_u32 v10, v9, v10, 0x7fff
	v_lshrrev_b32_e32 v10, 16, v10
	s_delay_alu instid0(VALU_DEP_1)
	v_cndmask_b32_e64 v9, 0x7fc0, v10, s3
	s_wait_kmcnt 0x0
	global_store_b16 v8, v9, s[8:9] scale_offset
.LBB157_53:
	s_wait_xcnt 0x0
	s_or_b32 exec_lo, exec_lo, s5
	v_add3_u32 v8, v20, s7, 48
	s_delay_alu instid0(VALU_DEP_1)
	v_cmp_gt_u32_e64 s3, s4, v8
	s_and_b32 exec_lo, exec_lo, s3
	s_cbranch_execz .LBB157_3
; %bb.54:
	v_mul_lo_u32 v8, v8, s6
	s_and_saveexec_b32 s5, vcc_lo
	s_cbranch_execnz .LBB157_79
; %bb.55:
	s_or_b32 exec_lo, exec_lo, s5
	s_and_saveexec_b32 s5, s0
	s_cbranch_execnz .LBB157_80
.LBB157_56:
	s_or_b32 exec_lo, exec_lo, s5
	s_and_saveexec_b32 s5, s1
	s_cbranch_execnz .LBB157_81
.LBB157_57:
	s_or_b32 exec_lo, exec_lo, s5
	s_and_saveexec_b32 s5, s2
	s_cbranch_execz .LBB157_59
.LBB157_58:
	v_bfe_u32 v2, v0, 16, 1
	v_cmp_o_f32_e64 s3, v0, v0
	s_delay_alu instid0(VALU_DEP_2) | instskip(NEXT) | instid1(VALU_DEP_1)
	v_add3_u32 v2, v0, v2, 0x7fff
	v_lshrrev_b32_e32 v2, 16, v2
	s_delay_alu instid0(VALU_DEP_1)
	v_cndmask_b32_e64 v0, 0x7fc0, v2, s3
	v_add_nc_u32_e32 v2, v8, v26
	s_wait_kmcnt 0x0
	global_store_b16 v2, v0, s[8:9] scale_offset
.LBB157_59:
	s_wait_xcnt 0x0
	s_or_b32 exec_lo, exec_lo, s5
	v_add3_u32 v0, v20, s7, 56
	s_delay_alu instid0(VALU_DEP_1)
	v_cmp_gt_u32_e64 s3, s4, v0
	s_and_b32 exec_lo, exec_lo, s3
	s_cbranch_execz .LBB157_3
; %bb.60:
	v_mul_lo_u32 v0, v0, s6
	s_and_saveexec_b32 s3, vcc_lo
	s_cbranch_execnz .LBB157_82
; %bb.61:
	s_or_b32 exec_lo, exec_lo, s3
	s_and_saveexec_b32 s3, s0
	s_cbranch_execnz .LBB157_83
.LBB157_62:
	s_or_b32 exec_lo, exec_lo, s3
	s_and_saveexec_b32 s0, s1
	s_cbranch_execnz .LBB157_84
.LBB157_63:
	s_or_b32 exec_lo, exec_lo, s0
	s_delay_alu instid0(SALU_CYCLE_1)
	s_and_b32 exec_lo, exec_lo, s2
	s_cbranch_execz .LBB157_3
	s_branch .LBB157_85
.LBB157_64:
	v_bfe_u32 v30, v37, 16, 1
	v_cmp_o_f32_e64 s3, v37, v37
	s_delay_alu instid0(VALU_DEP_3) | instskip(NEXT) | instid1(VALU_DEP_3)
	v_add_nc_u32_e32 v32, v27, v21
	v_add3_u32 v30, v37, v30, 0x7fff
	s_delay_alu instid0(VALU_DEP_1) | instskip(NEXT) | instid1(VALU_DEP_1)
	v_lshrrev_b32_e32 v30, 16, v30
	v_cndmask_b32_e64 v30, 0x7fc0, v30, s3
	s_wait_kmcnt 0x0
	global_store_b16 v32, v30, s[8:9] scale_offset
	s_wait_xcnt 0x0
	s_or_b32 exec_lo, exec_lo, s5
	s_and_saveexec_b32 s5, s0
	s_cbranch_execz .LBB157_26
.LBB157_65:
	v_bfe_u32 v30, v35, 16, 1
	v_cmp_o_f32_e64 s3, v35, v35
	s_delay_alu instid0(VALU_DEP_3) | instskip(NEXT) | instid1(VALU_DEP_3)
	v_add_nc_u32_e32 v32, v27, v24
	v_add3_u32 v30, v35, v30, 0x7fff
	s_delay_alu instid0(VALU_DEP_1) | instskip(NEXT) | instid1(VALU_DEP_1)
	v_lshrrev_b32_e32 v30, 16, v30
	v_cndmask_b32_e64 v30, 0x7fc0, v30, s3
	s_wait_kmcnt 0x0
	global_store_b16 v32, v30, s[8:9] scale_offset
	s_wait_xcnt 0x0
	s_or_b32 exec_lo, exec_lo, s5
	s_and_saveexec_b32 s5, s1
	s_cbranch_execz .LBB157_27
.LBB157_66:
	v_bfe_u32 v30, v33, 16, 1
	v_cmp_o_f32_e64 s3, v33, v33
	v_add_nc_u32_e32 v32, v27, v25
	s_delay_alu instid0(VALU_DEP_3) | instskip(NEXT) | instid1(VALU_DEP_1)
	v_add3_u32 v30, v33, v30, 0x7fff
	v_lshrrev_b32_e32 v30, 16, v30
	s_delay_alu instid0(VALU_DEP_1)
	v_cndmask_b32_e64 v30, 0x7fc0, v30, s3
	s_wait_kmcnt 0x0
	global_store_b16 v32, v30, s[8:9] scale_offset
	s_wait_xcnt 0x0
	s_or_b32 exec_lo, exec_lo, s5
	s_and_saveexec_b32 s5, s2
	s_cbranch_execnz .LBB157_28
	s_branch .LBB157_29
.LBB157_67:
	v_bfe_u32 v30, v28, 16, 1
	v_cmp_o_f32_e64 s3, v28, v28
	s_delay_alu instid0(VALU_DEP_2) | instskip(NEXT) | instid1(VALU_DEP_1)
	v_add3_u32 v30, v28, v30, 0x7fff
	v_lshrrev_b32_e32 v30, 16, v30
	s_delay_alu instid0(VALU_DEP_1)
	v_cndmask_b32_e64 v28, 0x7fc0, v30, s3
	v_add_nc_u32_e32 v30, v27, v21
	s_wait_kmcnt 0x0
	global_store_b16 v30, v28, s[8:9] scale_offset
	s_wait_xcnt 0x0
	s_or_b32 exec_lo, exec_lo, s5
	s_and_saveexec_b32 s5, s0
	s_cbranch_execz .LBB157_32
.LBB157_68:
	v_bfe_u32 v28, v22, 16, 1
	v_cmp_o_f32_e64 s3, v22, v22
	s_delay_alu instid0(VALU_DEP_2) | instskip(NEXT) | instid1(VALU_DEP_1)
	v_add3_u32 v28, v22, v28, 0x7fff
	v_lshrrev_b32_e32 v28, 16, v28
	s_delay_alu instid0(VALU_DEP_1)
	v_cndmask_b32_e64 v22, 0x7fc0, v28, s3
	v_add_nc_u32_e32 v28, v27, v24
	s_wait_kmcnt 0x0
	global_store_b16 v28, v22, s[8:9] scale_offset
	s_wait_xcnt 0x0
	s_or_b32 exec_lo, exec_lo, s5
	s_and_saveexec_b32 s5, s1
	s_cbranch_execz .LBB157_33
.LBB157_69:
	v_bfe_u32 v22, v18, 16, 1
	v_cmp_o_f32_e64 s3, v18, v18
	s_delay_alu instid0(VALU_DEP_2) | instskip(NEXT) | instid1(VALU_DEP_1)
	v_add3_u32 v22, v18, v22, 0x7fff
	v_lshrrev_b32_e32 v22, 16, v22
	s_delay_alu instid0(VALU_DEP_1)
	v_cndmask_b32_e64 v18, 0x7fc0, v22, s3
	v_add_nc_u32_e32 v22, v27, v25
	s_wait_kmcnt 0x0
	global_store_b16 v22, v18, s[8:9] scale_offset
	s_wait_xcnt 0x0
	s_or_b32 exec_lo, exec_lo, s5
	s_and_saveexec_b32 s5, s2
	s_cbranch_execnz .LBB157_34
	s_branch .LBB157_35
.LBB157_70:
	v_bfe_u32 v18, v29, 16, 1
	v_cmp_o_f32_e64 s3, v29, v29
	s_delay_alu instid0(VALU_DEP_3) | instskip(NEXT) | instid1(VALU_DEP_3)
	v_add_nc_u32_e32 v22, v16, v21
	v_add3_u32 v18, v29, v18, 0x7fff
	s_delay_alu instid0(VALU_DEP_1) | instskip(NEXT) | instid1(VALU_DEP_1)
	v_lshrrev_b32_e32 v18, 16, v18
	v_cndmask_b32_e64 v18, 0x7fc0, v18, s3
	s_wait_kmcnt 0x0
	global_store_b16 v22, v18, s[8:9] scale_offset
	s_wait_xcnt 0x0
	s_or_b32 exec_lo, exec_lo, s5
	s_and_saveexec_b32 s5, s0
	s_cbranch_execz .LBB157_38
.LBB157_71:
	v_bfe_u32 v18, v23, 16, 1
	v_cmp_o_f32_e64 s3, v23, v23
	s_delay_alu instid0(VALU_DEP_3) | instskip(NEXT) | instid1(VALU_DEP_3)
	v_add_nc_u32_e32 v22, v16, v24
	v_add3_u32 v18, v23, v18, 0x7fff
	s_delay_alu instid0(VALU_DEP_1) | instskip(NEXT) | instid1(VALU_DEP_1)
	v_lshrrev_b32_e32 v18, 16, v18
	v_cndmask_b32_e64 v18, 0x7fc0, v18, s3
	s_wait_kmcnt 0x0
	global_store_b16 v22, v18, s[8:9] scale_offset
	s_wait_xcnt 0x0
	s_or_b32 exec_lo, exec_lo, s5
	s_and_saveexec_b32 s5, s1
	s_cbranch_execz .LBB157_39
.LBB157_72:
	v_bfe_u32 v18, v19, 16, 1
	v_cmp_o_f32_e64 s3, v19, v19
	s_delay_alu instid0(VALU_DEP_2) | instskip(NEXT) | instid1(VALU_DEP_1)
	v_add3_u32 v18, v19, v18, 0x7fff
	v_dual_add_nc_u32 v19, v16, v25 :: v_dual_lshrrev_b32 v18, 16, v18
	s_delay_alu instid0(VALU_DEP_1)
	v_cndmask_b32_e64 v18, 0x7fc0, v18, s3
	s_wait_kmcnt 0x0
	global_store_b16 v19, v18, s[8:9] scale_offset
	s_wait_xcnt 0x0
	s_or_b32 exec_lo, exec_lo, s5
	s_and_saveexec_b32 s5, s2
	s_cbranch_execnz .LBB157_40
	s_branch .LBB157_41
.LBB157_73:
	v_bfe_u32 v17, v14, 16, 1
	v_cmp_o_f32_e64 s3, v14, v14
	s_delay_alu instid0(VALU_DEP_2) | instskip(NEXT) | instid1(VALU_DEP_1)
	v_add3_u32 v17, v14, v17, 0x7fff
	v_lshrrev_b32_e32 v17, 16, v17
	s_delay_alu instid0(VALU_DEP_1)
	v_cndmask_b32_e64 v14, 0x7fc0, v17, s3
	v_add_nc_u32_e32 v17, v16, v21
	s_wait_kmcnt 0x0
	global_store_b16 v17, v14, s[8:9] scale_offset
	s_wait_xcnt 0x0
	s_or_b32 exec_lo, exec_lo, s5
	s_and_saveexec_b32 s5, s0
	s_cbranch_execz .LBB157_44
.LBB157_74:
	v_bfe_u32 v14, v12, 16, 1
	v_cmp_o_f32_e64 s3, v12, v12
	s_delay_alu instid0(VALU_DEP_2) | instskip(NEXT) | instid1(VALU_DEP_1)
	v_add3_u32 v14, v12, v14, 0x7fff
	v_lshrrev_b32_e32 v14, 16, v14
	s_delay_alu instid0(VALU_DEP_1)
	v_cndmask_b32_e64 v12, 0x7fc0, v14, s3
	v_add_nc_u32_e32 v14, v16, v24
	s_wait_kmcnt 0x0
	global_store_b16 v14, v12, s[8:9] scale_offset
	s_wait_xcnt 0x0
	s_or_b32 exec_lo, exec_lo, s5
	s_and_saveexec_b32 s5, s1
	s_cbranch_execz .LBB157_45
.LBB157_75:
	v_bfe_u32 v12, v10, 16, 1
	v_cmp_o_f32_e64 s3, v10, v10
	s_delay_alu instid0(VALU_DEP_2) | instskip(NEXT) | instid1(VALU_DEP_1)
	v_add3_u32 v12, v10, v12, 0x7fff
	v_lshrrev_b32_e32 v12, 16, v12
	s_delay_alu instid0(VALU_DEP_1)
	v_cndmask_b32_e64 v10, 0x7fc0, v12, s3
	v_add_nc_u32_e32 v12, v16, v25
	s_wait_kmcnt 0x0
	global_store_b16 v12, v10, s[8:9] scale_offset
	s_wait_xcnt 0x0
	s_or_b32 exec_lo, exec_lo, s5
	s_and_saveexec_b32 s5, s2
	s_cbranch_execnz .LBB157_46
	s_branch .LBB157_47
.LBB157_76:
	v_bfe_u32 v10, v15, 16, 1
	v_cmp_o_f32_e64 s3, v15, v15
	s_delay_alu instid0(VALU_DEP_3) | instskip(NEXT) | instid1(VALU_DEP_3)
	v_add_nc_u32_e32 v12, v8, v21
	v_add3_u32 v10, v15, v10, 0x7fff
	s_delay_alu instid0(VALU_DEP_1) | instskip(NEXT) | instid1(VALU_DEP_1)
	v_lshrrev_b32_e32 v10, 16, v10
	v_cndmask_b32_e64 v10, 0x7fc0, v10, s3
	s_wait_kmcnt 0x0
	global_store_b16 v12, v10, s[8:9] scale_offset
	s_wait_xcnt 0x0
	s_or_b32 exec_lo, exec_lo, s5
	s_and_saveexec_b32 s5, s0
	s_cbranch_execz .LBB157_50
.LBB157_77:
	v_bfe_u32 v10, v13, 16, 1
	v_cmp_o_f32_e64 s3, v13, v13
	s_delay_alu instid0(VALU_DEP_3) | instskip(NEXT) | instid1(VALU_DEP_3)
	v_add_nc_u32_e32 v12, v8, v24
	v_add3_u32 v10, v13, v10, 0x7fff
	s_delay_alu instid0(VALU_DEP_1) | instskip(NEXT) | instid1(VALU_DEP_1)
	v_lshrrev_b32_e32 v10, 16, v10
	v_cndmask_b32_e64 v10, 0x7fc0, v10, s3
	s_wait_kmcnt 0x0
	global_store_b16 v12, v10, s[8:9] scale_offset
	s_wait_xcnt 0x0
	s_or_b32 exec_lo, exec_lo, s5
	s_and_saveexec_b32 s5, s1
	s_cbranch_execz .LBB157_51
.LBB157_78:
	v_bfe_u32 v10, v11, 16, 1
	v_cmp_o_f32_e64 s3, v11, v11
	s_delay_alu instid0(VALU_DEP_2) | instskip(NEXT) | instid1(VALU_DEP_1)
	v_add3_u32 v10, v11, v10, 0x7fff
	v_dual_add_nc_u32 v11, v8, v25 :: v_dual_lshrrev_b32 v10, 16, v10
	s_delay_alu instid0(VALU_DEP_1)
	v_cndmask_b32_e64 v10, 0x7fc0, v10, s3
	s_wait_kmcnt 0x0
	global_store_b16 v11, v10, s[8:9] scale_offset
	s_wait_xcnt 0x0
	s_or_b32 exec_lo, exec_lo, s5
	s_and_saveexec_b32 s5, s2
	s_cbranch_execnz .LBB157_52
	s_branch .LBB157_53
.LBB157_79:
	v_bfe_u32 v9, v6, 16, 1
	v_cmp_o_f32_e64 s3, v6, v6
	s_delay_alu instid0(VALU_DEP_2) | instskip(NEXT) | instid1(VALU_DEP_1)
	v_add3_u32 v9, v6, v9, 0x7fff
	v_lshrrev_b32_e32 v9, 16, v9
	s_delay_alu instid0(VALU_DEP_1)
	v_cndmask_b32_e64 v6, 0x7fc0, v9, s3
	v_add_nc_u32_e32 v9, v8, v21
	s_wait_kmcnt 0x0
	global_store_b16 v9, v6, s[8:9] scale_offset
	s_wait_xcnt 0x0
	s_or_b32 exec_lo, exec_lo, s5
	s_and_saveexec_b32 s5, s0
	s_cbranch_execz .LBB157_56
.LBB157_80:
	v_bfe_u32 v6, v4, 16, 1
	v_cmp_o_f32_e64 s3, v4, v4
	s_delay_alu instid0(VALU_DEP_2) | instskip(NEXT) | instid1(VALU_DEP_1)
	v_add3_u32 v6, v4, v6, 0x7fff
	v_lshrrev_b32_e32 v6, 16, v6
	s_delay_alu instid0(VALU_DEP_1)
	v_cndmask_b32_e64 v4, 0x7fc0, v6, s3
	v_add_nc_u32_e32 v6, v8, v24
	s_wait_kmcnt 0x0
	global_store_b16 v6, v4, s[8:9] scale_offset
	s_wait_xcnt 0x0
	s_or_b32 exec_lo, exec_lo, s5
	s_and_saveexec_b32 s5, s1
	s_cbranch_execz .LBB157_57
.LBB157_81:
	v_bfe_u32 v4, v2, 16, 1
	v_cmp_o_f32_e64 s3, v2, v2
	s_delay_alu instid0(VALU_DEP_2) | instskip(NEXT) | instid1(VALU_DEP_1)
	v_add3_u32 v4, v2, v4, 0x7fff
	v_lshrrev_b32_e32 v4, 16, v4
	s_delay_alu instid0(VALU_DEP_1)
	v_cndmask_b32_e64 v2, 0x7fc0, v4, s3
	v_add_nc_u32_e32 v4, v8, v25
	s_wait_kmcnt 0x0
	global_store_b16 v4, v2, s[8:9] scale_offset
	s_wait_xcnt 0x0
	s_or_b32 exec_lo, exec_lo, s5
	s_and_saveexec_b32 s5, s2
	s_cbranch_execnz .LBB157_58
	s_branch .LBB157_59
.LBB157_82:
	v_bfe_u32 v2, v7, 16, 1
	v_cmp_o_f32_e32 vcc_lo, v7, v7
	s_delay_alu instid0(VALU_DEP_3) | instskip(NEXT) | instid1(VALU_DEP_3)
	v_add_nc_u32_e32 v4, v0, v21
	v_add3_u32 v2, v7, v2, 0x7fff
	s_delay_alu instid0(VALU_DEP_1) | instskip(NEXT) | instid1(VALU_DEP_1)
	v_lshrrev_b32_e32 v2, 16, v2
	v_cndmask_b32_e32 v2, 0x7fc0, v2, vcc_lo
	s_wait_kmcnt 0x0
	global_store_b16 v4, v2, s[8:9] scale_offset
	s_wait_xcnt 0x0
	s_or_b32 exec_lo, exec_lo, s3
	s_and_saveexec_b32 s3, s0
	s_cbranch_execz .LBB157_62
.LBB157_83:
	v_bfe_u32 v2, v5, 16, 1
	v_cmp_o_f32_e32 vcc_lo, v5, v5
	s_delay_alu instid0(VALU_DEP_3) | instskip(NEXT) | instid1(VALU_DEP_3)
	v_add_nc_u32_e32 v4, v0, v24
	v_add3_u32 v2, v5, v2, 0x7fff
	s_delay_alu instid0(VALU_DEP_1) | instskip(NEXT) | instid1(VALU_DEP_1)
	v_lshrrev_b32_e32 v2, 16, v2
	v_cndmask_b32_e32 v2, 0x7fc0, v2, vcc_lo
	s_wait_kmcnt 0x0
	global_store_b16 v4, v2, s[8:9] scale_offset
	s_wait_xcnt 0x0
	s_or_b32 exec_lo, exec_lo, s3
	s_and_saveexec_b32 s0, s1
	s_cbranch_execz .LBB157_63
.LBB157_84:
	v_bfe_u32 v2, v3, 16, 1
	v_cmp_o_f32_e32 vcc_lo, v3, v3
	s_delay_alu instid0(VALU_DEP_2) | instskip(NEXT) | instid1(VALU_DEP_1)
	v_add3_u32 v2, v3, v2, 0x7fff
	v_dual_add_nc_u32 v3, v0, v25 :: v_dual_lshrrev_b32 v2, 16, v2
	s_delay_alu instid0(VALU_DEP_1) | instskip(SKIP_4) | instid1(SALU_CYCLE_1)
	v_cndmask_b32_e32 v2, 0x7fc0, v2, vcc_lo
	s_wait_kmcnt 0x0
	global_store_b16 v3, v2, s[8:9] scale_offset
	s_wait_xcnt 0x0
	s_or_b32 exec_lo, exec_lo, s0
	s_and_b32 exec_lo, exec_lo, s2
	s_cbranch_execz .LBB157_3
.LBB157_85:
	v_bfe_u32 v2, v1, 16, 1
	v_cmp_o_f32_e32 vcc_lo, v1, v1
	v_add_nc_u32_e32 v0, v0, v26
	s_delay_alu instid0(VALU_DEP_3) | instskip(NEXT) | instid1(VALU_DEP_1)
	v_add3_u32 v2, v1, v2, 0x7fff
	v_lshrrev_b32_e32 v2, 16, v2
	s_delay_alu instid0(VALU_DEP_1)
	v_cndmask_b32_e32 v1, 0x7fc0, v2, vcc_lo
	s_wait_kmcnt 0x0
	global_store_b16 v0, v1, s[8:9] scale_offset
	s_sendmsg sendmsg(MSG_DEALLOC_VGPRS)
	s_endpgm
	.section	.rodata,"a",@progbits
	.p2align	6, 0x0
	.amdhsa_kernel _ZL12mul_mat_q4_0IN3c108BFloat16ELb0EEvPKvS3_PT_iiiii
		.amdhsa_group_segment_fixed_size 30336
		.amdhsa_private_segment_fixed_size 0
		.amdhsa_kernarg_size 44
		.amdhsa_user_sgpr_count 2
		.amdhsa_user_sgpr_dispatch_ptr 0
		.amdhsa_user_sgpr_queue_ptr 0
		.amdhsa_user_sgpr_kernarg_segment_ptr 1
		.amdhsa_user_sgpr_dispatch_id 0
		.amdhsa_user_sgpr_kernarg_preload_length 0
		.amdhsa_user_sgpr_kernarg_preload_offset 0
		.amdhsa_user_sgpr_private_segment_size 0
		.amdhsa_wavefront_size32 1
		.amdhsa_uses_dynamic_stack 0
		.amdhsa_enable_private_segment 0
		.amdhsa_system_sgpr_workgroup_id_x 1
		.amdhsa_system_sgpr_workgroup_id_y 1
		.amdhsa_system_sgpr_workgroup_id_z 0
		.amdhsa_system_sgpr_workgroup_info 0
		.amdhsa_system_vgpr_workitem_id 1
		.amdhsa_next_free_vgpr 438
		.amdhsa_next_free_sgpr 18
		.amdhsa_named_barrier_count 0
		.amdhsa_reserve_vcc 1
		.amdhsa_float_round_mode_32 0
		.amdhsa_float_round_mode_16_64 0
		.amdhsa_float_denorm_mode_32 3
		.amdhsa_float_denorm_mode_16_64 3
		.amdhsa_fp16_overflow 0
		.amdhsa_memory_ordered 1
		.amdhsa_forward_progress 1
		.amdhsa_inst_pref_size 255
		.amdhsa_round_robin_scheduling 0
		.amdhsa_exception_fp_ieee_invalid_op 0
		.amdhsa_exception_fp_denorm_src 0
		.amdhsa_exception_fp_ieee_div_zero 0
		.amdhsa_exception_fp_ieee_overflow 0
		.amdhsa_exception_fp_ieee_underflow 0
		.amdhsa_exception_fp_ieee_inexact 0
		.amdhsa_exception_int_div_zero 0
	.end_amdhsa_kernel
	.section	.text._ZL12mul_mat_q4_0IN3c108BFloat16ELb0EEvPKvS3_PT_iiiii,"axG",@progbits,_ZL12mul_mat_q4_0IN3c108BFloat16ELb0EEvPKvS3_PT_iiiii,comdat
.Lfunc_end157:
	.size	_ZL12mul_mat_q4_0IN3c108BFloat16ELb0EEvPKvS3_PT_iiiii, .Lfunc_end157-_ZL12mul_mat_q4_0IN3c108BFloat16ELb0EEvPKvS3_PT_iiiii
                                        ; -- End function
	.set _ZL12mul_mat_q4_0IN3c108BFloat16ELb0EEvPKvS3_PT_iiiii.num_vgpr, 438
	.set _ZL12mul_mat_q4_0IN3c108BFloat16ELb0EEvPKvS3_PT_iiiii.num_agpr, 0
	.set _ZL12mul_mat_q4_0IN3c108BFloat16ELb0EEvPKvS3_PT_iiiii.numbered_sgpr, 18
	.set _ZL12mul_mat_q4_0IN3c108BFloat16ELb0EEvPKvS3_PT_iiiii.num_named_barrier, 0
	.set _ZL12mul_mat_q4_0IN3c108BFloat16ELb0EEvPKvS3_PT_iiiii.private_seg_size, 0
	.set _ZL12mul_mat_q4_0IN3c108BFloat16ELb0EEvPKvS3_PT_iiiii.uses_vcc, 1
	.set _ZL12mul_mat_q4_0IN3c108BFloat16ELb0EEvPKvS3_PT_iiiii.uses_flat_scratch, 0
	.set _ZL12mul_mat_q4_0IN3c108BFloat16ELb0EEvPKvS3_PT_iiiii.has_dyn_sized_stack, 0
	.set _ZL12mul_mat_q4_0IN3c108BFloat16ELb0EEvPKvS3_PT_iiiii.has_recursion, 0
	.set _ZL12mul_mat_q4_0IN3c108BFloat16ELb0EEvPKvS3_PT_iiiii.has_indirect_call, 0
	.section	.AMDGPU.csdata,"",@progbits
; Kernel info:
; codeLenInByte = 40228
; TotalNumSgprs: 20
; NumVgprs: 438
; ScratchSize: 0
; MemoryBound: 0
; FloatMode: 240
; IeeeMode: 1
; LDSByteSize: 30336 bytes/workgroup (compile time only)
; SGPRBlocks: 0
; VGPRBlocks: 27
; NumSGPRsForWavesPerEU: 20
; NumVGPRsForWavesPerEU: 438
; NamedBarCnt: 0
; Occupancy: 2
; WaveLimiterHint : 0
; COMPUTE_PGM_RSRC2:SCRATCH_EN: 0
; COMPUTE_PGM_RSRC2:USER_SGPR: 2
; COMPUTE_PGM_RSRC2:TRAP_HANDLER: 0
; COMPUTE_PGM_RSRC2:TGID_X_EN: 1
; COMPUTE_PGM_RSRC2:TGID_Y_EN: 1
; COMPUTE_PGM_RSRC2:TGID_Z_EN: 0
; COMPUTE_PGM_RSRC2:TIDIG_COMP_CNT: 1
	.section	.text._ZL12mul_mat_q4_0IN3c108BFloat16ELb1EEvPKvS3_PT_iiiii,"axG",@progbits,_ZL12mul_mat_q4_0IN3c108BFloat16ELb1EEvPKvS3_PT_iiiii,comdat
	.globl	_ZL12mul_mat_q4_0IN3c108BFloat16ELb1EEvPKvS3_PT_iiiii ; -- Begin function _ZL12mul_mat_q4_0IN3c108BFloat16ELb1EEvPKvS3_PT_iiiii
	.p2align	8
	.type	_ZL12mul_mat_q4_0IN3c108BFloat16ELb1EEvPKvS3_PT_iiiii,@function
_ZL12mul_mat_q4_0IN3c108BFloat16ELb1EEvPKvS3_PT_iiiii: ; @_ZL12mul_mat_q4_0IN3c108BFloat16ELb1EEvPKvS3_PT_iiiii
; %bb.0:
	s_clause 0x1
	s_load_b128 s[4:7], s[0:1], 0x18
	s_load_b32 s11, s[0:1], 0x28
	s_bfe_u32 s2, ttmp6, 0x4000c
	s_bfe_u32 s8, ttmp6, 0x40010
	s_add_co_i32 s2, s2, 1
	s_and_b32 s3, ttmp6, 15
	s_mul_i32 s2, ttmp9, s2
	s_add_co_i32 s8, s8, 1
	s_add_co_i32 s3, s3, s2
	s_mul_i32 s2, ttmp7, s8
	s_bfe_u32 s8, ttmp6, 0x40004
	s_getreg_b32 s9, hwreg(HW_REG_IB_STS2, 6, 4)
	s_add_co_i32 s8, s8, s2
	s_cmp_eq_u32 s9, 0
	v_bfe_u32 v17, v0, 10, 10
	s_cselect_b32 s8, ttmp7, s8
	v_and_b32_e32 v31, 0x3ff, v0
	s_cselect_b32 s2, ttmp9, s3
	s_lshl_b32 s14, s8, 6
	s_mov_b32 s3, 0
	s_wait_kmcnt 0x0
	s_cmp_gt_i32 s4, 31
	s_cbranch_scc1 .LBB158_4
; %bb.1:
	v_bfe_u32 v16, v0, 10, 10
	v_and_b32_e32 v18, 0x3ff, v0
	s_delay_alu instid0(VALU_DEP_2)
	v_add_nc_u32_e32 v41, s14, v16
	s_load_b64 s[8:9], s[0:1], 0x10
	s_and_not1_b32 vcc_lo, exec_lo, s3
	s_lshl_b32 s15, s2, 7
	s_cbranch_vccz .LBB158_5
; %bb.2:
	v_mov_b64_e32 v[0:1], 0
	v_mov_b64_e32 v[8:9], 0
	;; [unrolled: 1-line block ×16, first 2 shown]
	s_wait_xcnt 0x0
	s_mov_b32 s0, exec_lo
	v_cmpx_gt_u32_e64 s6, v41
	s_cbranch_execnz .LBB158_15
.LBB158_3:
	s_sendmsg sendmsg(MSG_DEALLOC_VGPRS)
	s_endpgm
.LBB158_4:
                                        ; implicit-def: $vgpr16
                                        ; implicit-def: $vgpr18
                                        ; implicit-def: $vgpr41
	s_load_b64 s[8:9], s[0:1], 0x10
	s_lshl_b32 s15, s2, 7
.LBB158_5:
	s_delay_alu instid0(SALU_CYCLE_1) | instskip(SKIP_2) | instid1(SALU_CYCLE_1)
	s_not_b32 s13, s15
	v_bfe_u32 v43, v0, 3, 7
	s_add_co_i32 s5, s5, s13
	v_dual_add_nc_u32 v24, 8, v17 :: v_dual_min_i32 v25, s5, v17
	s_ashr_i32 s10, s4, 31
	s_delay_alu instid0(VALU_DEP_2) | instskip(NEXT) | instid1(VALU_DEP_2)
	v_lshl_add_u32 v28, v17, 2, v43
	v_dual_add_nc_u32 v27, 16, v17 :: v_dual_min_i32 v26, s5, v24
	v_add_nc_u32_e32 v41, s14, v17
	s_ashr_i32 s12, s7, 31
	s_lshr_b32 s10, s10, 27
	s_delay_alu instid0(VALU_DEP_2) | instskip(NEXT) | instid1(VALU_DEP_2)
	v_dual_add_nc_u32 v32, 24, v17 :: v_dual_min_i32 v29, s5, v27
	v_dual_add_nc_u32 v6, 8, v41 :: v_dual_min_i32 v33, s5, v28
	v_dual_add_nc_u32 v8, 16, v41 :: v_dual_add_nc_u32 v10, 24, v41
	v_dual_add_nc_u32 v12, 32, v41 :: v_dual_add_nc_u32 v14, 40, v41
	;; [unrolled: 1-line block ×3, first 2 shown]
	v_min_i32_e32 v35, s5, v32
	s_lshr_b32 s12, s12, 27
	s_add_co_i32 s4, s4, s10
	v_cvt_f64_u32_e32 v[4:5], v41
	s_ashr_i32 s16, s4, 5
	s_add_co_i32 s4, s7, s12
	s_add_co_i32 s7, s6, -1
	v_cvt_f64_u32_e32 v[6:7], v6
	v_cvt_f64_i32_e32 v[2:3], s7
	v_cvt_f64_u32_e32 v[8:9], v8
	v_cvt_f64_u32_e32 v[10:11], v10
	;; [unrolled: 1-line block ×6, first 2 shown]
	v_dual_mov_b32 v19, 0 :: v_dual_lshlrev_b32 v1, 2, v31
	v_dual_add_nc_u32 v34, 32, v17 :: v_dual_add_nc_u32 v37, 40, v17
	v_ashrrev_i32_e32 v30, 31, v33
	v_add_min_i32_e64 v74, v28, 32, s5
	v_add_min_i32_e64 v76, v28, 64, s5
	;; [unrolled: 1-line block ×3, first 2 shown]
	v_min_i32_e32 v36, s5, v34
	v_dual_lshrrev_b32 v30, 30, v30 :: v_dual_bitop2_b32 v18, 12, v1 bitop3:0x40
	s_delay_alu instid0(VALU_DEP_3) | instskip(SKIP_1) | instid1(VALU_DEP_3)
	v_dual_add_nc_u32 v38, 48, v17 :: v_dual_ashrrev_i32 v48, 31, v28
	v_dual_add_nc_u32 v40, 56, v17 :: v_dual_ashrrev_i32 v46, 31, v76
	v_add_nc_u32_e32 v39, v33, v30
	s_delay_alu instid0(VALU_DEP_3) | instskip(SKIP_4) | instid1(VALU_DEP_3)
	v_min_i32_e32 v52, s5, v38
	v_bfe_u32 v16, v0, 2, 8
	v_dual_ashrrev_i32 v42, 31, v74 :: v_dual_min_i32 v50, s5, v37
	v_and_b32_e32 v30, 7, v0
	s_ashr_i32 s4, s4, 5
	v_lshl_add_u32 v54, v17, 3, v16
	s_wait_xcnt 0x0
	s_load_b128 s[0:3], s[0:1], 0x0
	v_lshrrev_b32_e32 v42, 30, v42
	v_min_num_f64_e32 v[4:5], v[4:5], v[2:3]
	v_min_num_f64_e32 v[6:7], v[6:7], v[2:3]
	v_dual_min_num_f64 v[8:9], v[8:9], v[2:3] :: v_dual_lshrrev_b32 v48, 30, v48
	v_min_num_f64_e32 v[10:11], v[10:11], v[2:3]
	v_min_num_f64_e32 v[12:13], v[12:13], v[2:3]
	;; [unrolled: 1-line block ×5, first 2 shown]
	v_and_b32_e32 v23, 63, v54
	v_dual_add_nc_u32 v22, v74, v42 :: v_dual_bitop2_b32 v54, 3, v0 bitop3:0x40
	v_dual_lshlrev_b32 v44, 2, v30 :: v_dual_bitop2_b32 v39, -4, v39 bitop3:0x40
	v_add_min_i32_e64 v62, 0x58, v17, s5
	s_delay_alu instid0(VALU_DEP_3)
	v_lshlrev_b32_e32 v56, 2, v54
	v_lshrrev_b32_e32 v46, 30, v46
	v_add_min_i32_e64 v64, 0x60, v17, s5
	v_add3_u32 v39, v39, v44, 0x6200
	v_add_min_i32_e64 v66, 0x68, v17, s5
	v_add_min_i32_e64 v68, 0x70, v17, s5
	v_add_nc_u32_e32 v42, v76, v46
	v_dual_add_nc_u32 v46, v28, v48 :: v_dual_bitop2_b32 v48, s14, v23 bitop3:0x54
	v_add_min_i32_e64 v70, 0x78, v17, s5
	v_mad_u32 v45, 0x84, v25, v1
	v_mad_u32 v47, 0x84, v26, v1
	s_delay_alu instid0(VALU_DEP_4)
	v_and_b32_e32 v46, -4, v46
	v_min_i32_e32 v48, s7, v48
	v_and_b32_e32 v42, -4, v42
	v_and_b32_e32 v22, -4, v22
	v_mad_u32 v49, 0x84, v29, v1
	v_cvt_i32_f64_e32 v4, v[4:5]
	v_lshlrev_b32_e32 v5, 5, v33
	v_cvt_i32_f64_e32 v6, v[6:7]
	v_cvt_i32_f64_e32 v7, v[8:9]
	;; [unrolled: 1-line block ×5, first 2 shown]
	v_mad_u32 v57, v48, s4, v54
	v_cvt_i32_f64_e32 v2, v[2:3]
	v_min_i32_e32 v54, s5, v40
	v_cvt_i32_f64_e32 v11, v[20:21]
	v_add_nc_u32_e32 v12, 0x60, v31
	v_dual_add_nc_u32 v13, 64, v31 :: v_dual_add_nc_u32 v14, 32, v31
	v_lshlrev_b32_e32 v3, 5, v31
	v_and_b32_e32 v20, 0xfc, v0
	s_delay_alu instid0(VALU_DEP_4) | instskip(NEXT) | instid1(VALU_DEP_4)
	v_and_b32_e32 v12, 0x1fc, v12
	v_and_b32_e32 v13, 0x1fc, v13
	v_and_b32_e32 v15, 0x1fc, v14
	v_add3_u32 v22, v22, v44, 0x6200
	v_add3_u32 v42, v42, v44, 0x6200
	;; [unrolled: 1-line block ×3, first 2 shown]
	v_dual_lshlrev_b32 v21, 5, v74 :: v_dual_add_nc_u32 v12, v3, v12
	v_dual_add_nc_u32 v13, v3, v13 :: v_dual_add_nc_u32 v15, v3, v15
	s_delay_alu instid0(VALU_DEP_2) | instskip(SKIP_4) | instid1(VALU_DEP_4)
	v_dual_add_nc_u32 v3, v3, v20 :: v_dual_add_nc_u32 v63, v22, v21
	v_dual_lshlrev_b32 v20, 5, v76 :: v_dual_add_nc_u32 v61, v39, v5
	v_lshlrev_b32_e32 v5, 5, v28
	v_add_min_i32_e64 v21, v17, 64, s5
	v_and_b32_e32 v22, 31, v0
	v_dual_add_nc_u32 v65, v42, v20 :: v_dual_bitop2_b32 v0, 28, v1 bitop3:0x40
	s_delay_alu instid0(VALU_DEP_4)
	v_add_nc_u32_e32 v67, v44, v5
	v_add_min_i32_e64 v20, 0x48, v17, s5
	v_add_min_i32_e64 v5, 0x50, v17, s5
	v_mad_u32 v51, 0x84, v35, v1
	v_mad_u32 v53, 0x84, v36, v1
	;; [unrolled: 1-line block ×13, first 2 shown]
	v_mov_b32_e32 v1, v19
	v_lshl_or_b32 v23, v23, 4, v56
	v_mul_lo_u32 v168, s4, v4
	v_mul_lo_u32 v169, s4, v6
	v_lshlrev_b32_e32 v4, 7, v24
	v_mul_lo_u32 v170, s4, v7
	v_lshlrev_b32_e32 v6, 7, v27
	v_lshl_or_b32 v22, v22, 2, 0x4200
	v_mul_lo_u32 v171, s4, v8
	v_lshlrev_b32_e32 v7, 7, v32
	v_mul_lo_u32 v172, s4, v9
	v_lshlrev_b32_e32 v8, 7, v34
	v_mul_lo_u32 v173, s4, v10
	v_dual_lshlrev_b32 v9, 7, v37 :: v_dual_lshlrev_b32 v10, 7, v38
	v_mul_lo_u32 v175, s4, v2
	v_lshlrev_b32_e32 v2, 7, v40
	s_wait_kmcnt 0x0
	v_add_nc_u64_e32 v[38:39], s[2:3], v[0:1]
	v_dual_lshlrev_b32 v0, 7, v17 :: v_dual_add_nc_u32 v180, v22, v8
	v_mul_lo_u32 v174, s4, v11
	v_mul_lo_u32 v40, v25, s16
	v_mul_lo_u32 v42, v26, s16
	v_mul_lo_u32 v44, v29, s16
	v_mul_lo_u32 v46, v35, s16
	v_mul_lo_u32 v48, v36, s16
	v_mul_lo_u32 v50, v50, s16
	v_mul_lo_u32 v52, v52, s16
	v_mul_lo_u32 v54, v54, s16
	v_mul_lo_u32 v56, v21, s16
	v_mul_lo_u32 v58, v20, s16
	v_mul_lo_u32 v60, v5, s16
	v_mul_lo_u32 v62, v62, s16
	v_mul_lo_u32 v64, v64, s16
	v_mul_lo_u32 v66, v66, s16
	v_mul_lo_u32 v68, v68, s16
	v_mul_lo_u32 v70, v70, s16
	v_mul_lo_u32 v72, v33, s16
	v_mul_lo_u32 v74, v74, s16
	v_mul_lo_u32 v76, v76, s16
	v_mul_lo_u32 v78, v28, s16
	s_mul_i32 s12, s16, s15
	v_add_nc_u32_e32 v167, 0x7280, v23
	v_dual_lshrrev_b32 v176, 3, v14 :: v_dual_add_nc_u32 v177, v22, v4
	v_dual_add_nc_u32 v178, v22, v6 :: v_dual_add_nc_u32 v179, v22, v7
	v_dual_add_nc_u32 v181, v22, v9 :: v_dual_add_nc_u32 v182, v22, v10
	;; [unrolled: 1-line block ×3, first 2 shown]
	v_add_nc_u32_e32 v185, 0x4200, v0
	v_add_nc_u32_e32 v186, 0x6e00, v12
	;; [unrolled: 1-line block ×9, first 2 shown]
	v_mov_b64_e32 v[36:37], 0
	v_mov_b64_e32 v[26:27], 0
	;; [unrolled: 1-line block ×16, first 2 shown]
	s_ashr_i32 s13, s12, 31
	v_mul_u32_u24_e32 v194, 0x84, v31
	v_lshl_add_u32 v195, v17, 4, 0x7280
	v_mad_u32_u24 v196, 0x84, v31, 64
	s_mul_u64 s[12:13], s[12:13], 18
	s_mov_b32 s5, 0
	s_add_nc_u64 s[0:1], s[0:1], s[12:13]
	s_add_co_i32 s7, s16, 3
	s_mov_b32 s10, 0x41000000
	s_mov_b32 s4, s5
	s_branch .LBB158_7
.LBB158_6:                              ;   in Loop: Header=BB158_7 Depth=1
	s_add_co_i32 s4, s4, 8
	s_add_co_i32 s7, s7, -8
	s_cmp_ge_i32 s4, s16
	s_cbranch_scc1 .LBB158_14
.LBB158_7:                              ; =>This Loop Header: Depth=1
                                        ;     Child Loop BB158_9 Depth 2
                                        ;     Child Loop BB158_12 Depth 2
	s_mul_u64 s[12:13], s[4:5], 18
	s_cmp_gt_u32 s7, 3
	s_add_nc_u64 s[12:13], s[0:1], s[12:13]
	s_delay_alu instid0(SALU_CYCLE_1) | instskip(NEXT) | instid1(VALU_DEP_1)
	v_mad_nc_u64_u32 v[80:81], v16, 18, s[12:13]
	v_mad_nc_i64_i32 v[82:83], v40, 18, v[80:81]
	s_delay_alu instid0(VALU_DEP_1)
	v_add_nc_u64_e32 v[82:83], v[82:83], v[18:19]
	global_load_b32 v82, v[82:83], off offset:2
	s_wait_loadcnt 0x0
	ds_store_b32 v45, v82
	s_wait_xcnt 0x0
	v_mad_nc_i64_i32 v[82:83], v42, 18, v[80:81]
	s_delay_alu instid0(VALU_DEP_1)
	v_add_nc_u64_e32 v[82:83], v[82:83], v[18:19]
	global_load_b32 v82, v[82:83], off offset:2
	s_wait_loadcnt 0x0
	ds_store_b32 v47, v82
	s_wait_xcnt 0x0
	;; [unrolled: 7-line block ×14, first 2 shown]
	v_mad_nc_i64_i32 v[82:83], v68, 18, v[80:81]
	v_mad_nc_i64_i32 v[80:81], v70, 18, v[80:81]
	s_delay_alu instid0(VALU_DEP_2) | instskip(NEXT) | instid1(VALU_DEP_2)
	v_add_nc_u64_e32 v[82:83], v[82:83], v[18:19]
	v_add_nc_u64_e32 v[80:81], v[80:81], v[18:19]
	s_clause 0x1
	global_load_b32 v82, v[82:83], off offset:2
	global_load_b32 v80, v[80:81], off offset:2
	s_wait_loadcnt 0x1
	ds_store_b32 v165, v82
	s_wait_loadcnt 0x0
	ds_store_b32 v166, v80
	s_wait_xcnt 0x0
	v_mad_nc_u64_u32 v[80:81], v30, 18, s[12:13]
	s_delay_alu instid0(VALU_DEP_1)
	v_mad_nc_i64_i32 v[82:83], v72, 18, v[80:81]
	global_load_u16 v82, v[82:83], off
	s_wait_loadcnt 0x0
	s_wait_xcnt 0x0
	v_cvt_f32_f16_e32 v82, v82
	ds_store_b32 v61, v82
	v_mad_nc_i64_i32 v[82:83], v74, 18, v[80:81]
	global_load_u16 v82, v[82:83], off
	s_wait_loadcnt 0x0
	s_wait_xcnt 0x0
	v_cvt_f32_f16_e32 v82, v82
	ds_store_b32 v63, v82
	v_mad_nc_i64_i32 v[82:83], v76, 18, v[80:81]
	v_mad_nc_i64_i32 v[80:81], v78, 18, v[80:81]
	s_clause 0x1
	global_load_u16 v82, v[82:83], off
	global_load_u16 v80, v[80:81], off
	s_wait_loadcnt 0x1
	s_wait_xcnt 0x1
	v_cvt_f32_f16_e32 v82, v82
	s_wait_loadcnt 0x0
	s_wait_xcnt 0x0
	v_cvt_f32_f16_e32 v80, v80
	ds_store_b32 v65, v82
	ds_store_b32 v67, v80
	s_cbranch_scc0 .LBB158_6
; %bb.8:                                ;   in Loop: Header=BB158_7 Depth=1
	v_dual_add_nc_u32 v81, s4, v57 :: v_dual_add_nc_u32 v80, s4, v43
	v_dual_mov_b32 v152, v192 :: v_dual_mov_b32 v154, v188
	s_mov_b32 s12, -4
	s_delay_alu instid0(VALU_DEP_2) | instskip(SKIP_2) | instid1(VALU_DEP_3)
	v_dual_mov_b32 v150, v185 :: v_dual_add_nc_u32 v82, v80, v168
	v_dual_mov_b32 v151, v195 :: v_dual_mov_b32 v153, v190
	v_dual_mov_b32 v155, v186 :: v_dual_mov_b32 v156, v194
	v_mad_nc_i64_i32 v[82:83], v82, 36, v[38:39]
	global_load_b32 v82, v[82:83], off offset:4
	s_wait_loadcnt 0x0
	ds_store_b32 v184, v82
	v_add_nc_u32_e32 v82, v80, v169
	s_delay_alu instid0(VALU_DEP_1) | instskip(SKIP_4) | instid1(VALU_DEP_1)
	v_mad_nc_i64_i32 v[82:83], v82, 36, v[38:39]
	global_load_b32 v82, v[82:83], off offset:4
	s_wait_loadcnt 0x0
	ds_store_b32 v177, v82
	v_add_nc_u32_e32 v82, v80, v170
	v_mad_nc_i64_i32 v[82:83], v82, 36, v[38:39]
	global_load_b32 v82, v[82:83], off offset:4
	s_wait_loadcnt 0x0
	ds_store_b32 v178, v82
	v_add_nc_u32_e32 v82, v80, v171
	s_delay_alu instid0(VALU_DEP_1) | instskip(SKIP_4) | instid1(VALU_DEP_1)
	v_mad_nc_i64_i32 v[82:83], v82, 36, v[38:39]
	global_load_b32 v82, v[82:83], off offset:4
	s_wait_loadcnt 0x0
	ds_store_b32 v179, v82
	v_add_nc_u32_e32 v82, v80, v172
	v_mad_nc_i64_i32 v[82:83], v82, 36, v[38:39]
	global_load_b32 v82, v[82:83], off offset:4
	s_wait_loadcnt 0x0
	ds_store_b32 v180, v82
	v_add_nc_u32_e32 v82, v80, v173
	s_delay_alu instid0(VALU_DEP_1) | instskip(SKIP_4) | instid1(VALU_DEP_1)
	v_mad_nc_i64_i32 v[82:83], v82, 36, v[38:39]
	global_load_b32 v82, v[82:83], off offset:4
	s_wait_loadcnt 0x0
	ds_store_b32 v181, v82
	v_dual_add_nc_u32 v82, v80, v174 :: v_dual_add_nc_u32 v80, v80, v175
	v_mad_nc_i64_i32 v[82:83], v82, 36, v[38:39]
	global_load_b32 v82, v[82:83], off offset:4
	s_wait_loadcnt 0x0
	ds_store_b32 v182, v82
	v_mad_nc_i64_i32 v[82:83], v80, 36, v[38:39]
	global_load_b32 v80, v[82:83], off offset:4
	s_wait_xcnt 0x0
	v_mad_nc_u64_u32 v[82:83], v81, 36, s[2:3]
	s_wait_loadcnt 0x0
	ds_store_b32 v183, v80
	global_load_b32 v80, v[82:83], off
	s_wait_loadcnt 0x0
	ds_store_b32 v167, v80
	s_wait_dscnt 0x0
	s_barrier_signal -1
	s_barrier_wait -1
.LBB158_9:                              ;   Parent Loop BB158_7 Depth=1
                                        ; =>  This Inner Loop Header: Depth=2
	v_add_nc_u32_e32 v88, 0x1080, v156
	ds_load_2addr_b32 v[84:85], v150 offset1:3
	ds_load_2addr_b32 v[82:83], v150 offset0:4 offset1:7
	v_add_nc_u32_e32 v89, 0x1088, v156
	v_add_nc_u32_e32 v92, 0x2100, v156
	ds_load_2addr_b32 v[100:101], v156 offset1:1
	ds_load_2addr_b32 v[86:87], v156 offset0:2 offset1:3
	ds_load_b32 v80, v155
	v_add_nc_u32_e32 v93, 0x2108, v156
	v_add_nc_u32_e32 v96, 0x3180, v156
	;; [unrolled: 1-line block ×6, first 2 shown]
	ds_load_2addr_b32 v[104:105], v88 offset1:1
	ds_load_2addr_b32 v[90:91], v89 offset1:1
	;; [unrolled: 1-line block ×4, first 2 shown]
	ds_load_2addr_b32 v[94:95], v120 offset0:4 offset1:7
	ds_load_2addr_b32 v[110:111], v96 offset1:1
	ds_load_2addr_b32 v[96:97], v97 offset1:1
	;; [unrolled: 1-line block ×4, first 2 shown]
	v_add_nc_u32_e32 v226, 0x800, v150
	v_add_nc_u32_e32 v251, 0x1800, v150
	s_set_vgpr_msb 64                       ;  msbs: dst=1 src0=0 src1=0 src2=0
	v_add_nc_u32_e32 v0 /*v256*/, 0x1c00, v150
	s_set_vgpr_msb 0                        ;  msbs: dst=0 src0=0 src1=0 src2=0
	v_add_nc_u32_e32 v156, 16, v156
	s_add_co_i32 s12, s12, 4
	v_add_nc_u32_e32 v155, 4, v155
	s_cmp_lt_u32 s12, 12
	s_wait_dscnt 0xd
	v_bfe_i32 v92, v84, 0, 8
	v_bfe_i32 v93, v84, 8, 8
	s_wait_dscnt 0xb
	v_and_b32_e32 v200, 15, v100
	v_bfe_i32 v98, v84, 16, 8
	s_wait_dscnt 0x6
	v_dual_ashrrev_i32 v99, 24, v84 :: v_dual_bitop2_b32 v202, 15, v102 bitop3:0x40
	v_bfe_u32 v201, v100, 8, 4
	v_bfe_u32 v161, v100, 16, 4
	;; [unrolled: 1-line block ×3, first 2 shown]
	s_wait_dscnt 0x3
	v_dual_lshrrev_b32 v217, 28, v111 :: v_dual_bitop2_b32 v204, 15, v104 bitop3:0x40
	v_lshrrev_b32_e32 v227, 28, v110
	v_mul_i32_i24_e32 v108, v200, v92
	v_bfe_u32 v224, v111, 24, 4
	v_dual_ashrrev_i32 v122, 24, v94 :: v_dual_bitop2_b32 v223, 15, v111 bitop3:0x40
	s_wait_dscnt 0x0
	v_dual_ashrrev_i32 v236, 24, v112 :: v_dual_ashrrev_i32 v228, 24, v106
	v_mul_i32_i24_e32 v109, v161, v98
	v_mul_i32_i24_e32 v116, v162, v99
	v_bfe_u32 v230, v110, 20, 4
	v_bfe_i32 v123, v94, 16, 8
	v_bfe_u32 v222, v111, 16, 4
	v_bfe_i32 v231, v112, 16, 8
	;; [unrolled: 2-line block ×3, first 2 shown]
	v_mad_i32_i24 v108, v201, v93, v108
	v_mul_i32_i24_e32 v117, v122, v227
	v_mul_i32_i24_e32 v118, v236, v224
	;; [unrolled: 1-line block ×3, first 2 shown]
	v_bfe_u32 v233, v110, 4, 4
	v_bfe_i32 v124, v94, 0, 8
	v_bfe_i32 v232, v112, 0, 8
	v_bfe_u32 v219, v111, 4, 4
	v_bfe_i32 v229, v106, 0, 8
	v_add3_u32 v108, v108, v109, v116
	v_mul_i32_i24_e32 v109, v123, v230
	v_mul_i32_i24_e32 v116, v231, v222
	v_add3_u32 v117, v117, v118, v119
	v_mul_i32_i24_e32 v118, v225, v214
	v_bfe_i32 v235, v82, 0, 8
	v_bfe_i32 v234, v82, 8, 8
	v_bfe_u32 v84, v100, 4, 4
	v_bfe_u32 v121, v100, 12, 4
	v_mul_i32_i24_e32 v119, v124, v233
	v_add3_u32 v109, v109, v116, v118
	v_mul_i32_i24_e32 v116, v232, v223
	v_mul_i32_i24_e32 v118, v229, v219
	;; [unrolled: 1-line block ×4, first 2 shown]
	v_bfe_u32 v205, v104, 8, 4
	v_bfe_u32 v163, v104, 16, 4
	v_dual_lshrrev_b32 v208, 28, v96 :: v_dual_bitop2_b32 v159, 15, v110 bitop3:0x40
	v_bfe_u32 v199, v104, 24, 4
	v_add3_u32 v116, v119, v116, v118
	v_mul_i32_i24_e32 v118, v204, v92
	v_bfe_u32 v203, v102, 8, 4
	v_bfe_u32 v197, v102, 16, 4
	;; [unrolled: 1-line block ×4, first 2 shown]
	v_mul_i32_i24_e32 v119, v163, v98
	v_add3_u32 v129, v108, v115, v114
	v_mul_i32_i24_e32 v108, v202, v92
	v_mul_i32_i24_e32 v114, v199, v99
	v_mad_i32_i24 v115, v205, v93, v118
	v_bfe_u32 v160, v110, 24, 4
	v_mul_i32_i24_e32 v92, v159, v92
	v_bfe_u32 v212, v96, 24, 4
	v_dual_ashrrev_i32 v221, 24, v113 :: v_dual_bitop2_b32 v211, 15, v96 bitop3:0x40
	v_add3_u32 v130, v115, v119, v114
	v_mul_i32_i24_e32 v114, v197, v98
	v_mad_i32_i24 v108, v203, v93, v108
	v_dual_ashrrev_i32 v215, 24, v107 :: v_dual_lshrrev_b32 v137, 28, v100
	v_mad_i32_i24 v92, v158, v93, v92
	v_mul_i32_i24_e32 v93, v157, v98
	v_mul_i32_i24_e32 v98, v160, v99
	v_bfe_i32 v218, v113, 0, 8
	v_bfe_u32 v209, v96, 4, 4
	v_bfe_i32 v216, v107, 0, 8
	v_bfe_u32 v210, v96, 16, 4
	v_add3_u32 v237, v92, v93, v98
	v_mul_i32_i24_e32 v92, v221, v212
	v_mul_i32_i24_e32 v93, v215, v208
	v_bfe_i32 v220, v113, 16, 8
	v_bfe_u32 v207, v96, 20, 4
	v_bfe_i32 v213, v107, 16, 8
	v_bfe_u32 v198, v102, 24, 4
	v_add3_u32 v126, v117, v92, v93
	v_mul_i32_i24_e32 v92, v218, v211
	v_mul_i32_i24_e32 v93, v216, v209
	v_bfe_u32 v136, v100, 20, 4
	v_mul_i32_i24_e32 v115, v198, v99
	v_bfe_u32 v139, v104, 12, 4
	v_bfe_u32 v141, v102, 12, 4
	v_add3_u32 v125, v116, v92, v93
	v_mul_i32_i24_e32 v92, v220, v210
	v_mul_i32_i24_e32 v93, v213, v207
	v_bfe_u32 v142, v102, 4, 4
	v_bfe_u32 v244, v102, 20, 4
	v_lshrrev_b32_e32 v102, 28, v102
	v_bfe_u32 v138, v104, 4, 4
	v_add3_u32 v127, v109, v92, v93
	ds_load_2addr_b32 v[92:93], v226 offset0:4 offset1:7
	v_bfe_u32 v242, v104, 20, 4
	v_lshrrev_b32_e32 v243, 28, v104
	v_add3_u32 v128, v108, v114, v115
	s_set_vgpr_msb 64                       ;  msbs: dst=1 src0=0 src1=0 src2=0
	v_bfe_i32 v22 /*v278*/, v82, 16, 8
	v_dual_ashrrev_i32 v23 /*v279*/, 24, v82 :: v_dual_lshrrev_b32 v31 /*v287*/, 4, v97
	s_set_vgpr_msb 4                        ;  msbs: dst=0 src0=0 src1=1 src2=0
	v_bfe_u32 v247, v97, 24, 4
	v_bfe_i32 v248, v95, 16, 8
	v_mul_i32_i24_e32 v82, v136, v22 /*v278*/
	v_bfe_i32 v252, v95, 0, 8
	s_set_vgpr_msb 1                        ;  msbs: dst=0 src0=1 src1=0 src2=0
	v_bfe_u32 v206, v31 /*v287*/, 16, 4
	s_set_vgpr_msb 0                        ;  msbs: dst=0 src0=0 src1=0 src2=0
	v_bfe_u32 v241, v97, 4, 4
	s_set_vgpr_msb 64                       ;  msbs: dst=1 src0=0 src1=0 src2=0
	v_bfe_u32 v34 /*v290*/, v101, 8, 4
	v_bfe_u32 v35 /*v291*/, v101, 24, 4
	v_bfe_u32 v39 /*v295*/, v105, 8, 4
	v_bfe_u32 v40 /*v296*/, v105, 24, 4
	v_bfe_u32 v42 /*v298*/, v103, 8, 4
	v_bfe_u32 v43 /*v299*/, v103, 24, 4
	s_set_vgpr_msb 0                        ;  msbs: dst=0 src0=0 src1=0 src2=0
	v_lshrrev_b32_e32 v110, 4, v110
	s_wait_dscnt 0x0
	v_bfe_i32 v240, v92, 8, 8
	v_bfe_i32 v239, v92, 0, 8
	;; [unrolled: 1-line block ×3, first 2 shown]
	v_ashrrev_i32_e32 v92, 24, v92
	v_lshrrev_b16 v110, 8, v110
	v_mul_i32_i24_e32 v98, v240, v121
	v_bfe_i32 v112, v112, 8, 8
	v_mul_i32_i24_e32 v99, v238, v136
	v_mul_i32_i24_e32 v100, v92, v137
	v_bfe_i32 v113, v113, 8, 8
	v_mad_i32_i24 v98, v239, v84, v98
	v_bfe_i32 v106, v106, 8, 8
	v_bfe_i32 v107, v107, 8, 8
	s_delay_alu instid0(VALU_DEP_3) | instskip(SKIP_3) | instid1(VALU_DEP_3)
	v_add3_u32 v131, v98, v99, v100
	v_mul_i32_i24_e32 v98, v240, v139
	v_mul_i32_i24_e32 v99, v238, v242
	;; [unrolled: 1-line block ×3, first 2 shown]
	v_mad_i32_i24 v98, v239, v138, v98
	s_delay_alu instid0(VALU_DEP_1)
	v_add3_u32 v132, v98, v99, v100
	v_mul_i32_i24_e32 v98, v240, v141
	v_mul_i32_i24_e32 v99, v238, v244
	;; [unrolled: 1-line block ×5, first 2 shown]
	v_mad_i32_i24 v98, v239, v142, v98
	s_delay_alu instid0(VALU_DEP_1)
	v_add3_u32 v133, v98, v99, v100
	v_add_nc_u32_e32 v100, 0xc00, v150
	ds_load_2addr_b32 v[98:99], v100 offset0:4 offset1:7
	s_wait_dscnt 0x0
	v_bfe_i32 v250, v98, 8, 8
	v_bfe_i32 v249, v98, 0, 8
	;; [unrolled: 1-line block ×3, first 2 shown]
	v_ashrrev_i32_e32 v246, 24, v98
	s_delay_alu instid0(VALU_DEP_4) | instskip(NEXT) | instid1(VALU_DEP_3)
	v_mul_i32_i24_e32 v104, v250, v121
	v_mul_i32_i24_e32 v98, v245, v136
	s_delay_alu instid0(VALU_DEP_3) | instskip(NEXT) | instid1(VALU_DEP_3)
	v_mul_i32_i24_e32 v108, v246, v137
	v_mad_i32_i24 v104, v249, v84, v104
	s_delay_alu instid0(VALU_DEP_1) | instskip(SKIP_3) | instid1(VALU_DEP_3)
	v_add3_u32 v134, v104, v98, v108
	v_mul_i32_i24_e32 v98, v250, v139
	v_mul_i32_i24_e32 v104, v245, v242
	;; [unrolled: 1-line block ×3, first 2 shown]
	v_mad_i32_i24 v98, v249, v138, v98
	s_delay_alu instid0(VALU_DEP_1)
	v_add3_u32 v135, v98, v104, v108
	v_mul_i32_i24_e32 v98, v250, v141
	v_mul_i32_i24_e32 v104, v245, v244
	;; [unrolled: 1-line block ×5, first 2 shown]
	v_mad_i32_i24 v98, v249, v142, v98
	s_delay_alu instid0(VALU_DEP_1)
	v_add3_u32 v140, v98, v104, v108
	v_add_nc_u32_e32 v98, 0x1000, v150
	ds_load_2addr_b32 v[108:109], v98 offset0:4 offset1:7
	s_wait_dscnt 0x0
	s_set_vgpr_msb 64                       ;  msbs: dst=1 src0=0 src1=0 src2=0
	v_bfe_i32 v3 /*v259*/, v108, 8, 8
	v_bfe_i32 v2 /*v258*/, v108, 0, 8
	s_set_vgpr_msb 0                        ;  msbs: dst=0 src0=0 src1=0 src2=0
	v_bfe_i32 v255, v108, 16, 8
	v_ashrrev_i32_e32 v108, 24, v108
	s_set_vgpr_msb 1                        ;  msbs: dst=0 src0=1 src1=0 src2=0
	v_mul_i32_i24_e32 v104, v3 /*v259*/, v121
	s_set_vgpr_msb 0                        ;  msbs: dst=0 src0=0 src1=0 src2=0
	v_mul_i32_i24_e32 v114, v255, v136
	v_mul_i32_i24_e32 v115, v108, v137
	s_set_vgpr_msb 1                        ;  msbs: dst=0 src0=1 src1=0 src2=0
	v_mad_i32_i24 v104, v2 /*v258*/, v84, v104
	s_set_vgpr_msb 0                        ;  msbs: dst=0 src0=0 src1=0 src2=0
	s_delay_alu instid0(VALU_DEP_1)
	v_add3_u32 v144, v104, v114, v115
	s_set_vgpr_msb 1                        ;  msbs: dst=0 src0=1 src1=0 src2=0
	v_mul_i32_i24_e32 v104, v3 /*v259*/, v139
	s_set_vgpr_msb 0                        ;  msbs: dst=0 src0=0 src1=0 src2=0
	v_mul_i32_i24_e32 v114, v255, v242
	v_mul_i32_i24_e32 v115, v108, v243
	s_set_vgpr_msb 1                        ;  msbs: dst=0 src0=1 src1=0 src2=0
	v_mad_i32_i24 v104, v2 /*v258*/, v138, v104
	s_set_vgpr_msb 0                        ;  msbs: dst=0 src0=0 src1=0 src2=0
	s_delay_alu instid0(VALU_DEP_1)
	v_add3_u32 v145, v104, v114, v115
	s_set_vgpr_msb 1                        ;  msbs: dst=0 src0=1 src1=0 src2=0
	v_mul_i32_i24_e32 v104, v3 /*v259*/, v141
	s_set_vgpr_msb 0                        ;  msbs: dst=0 src0=0 src1=0 src2=0
	v_mul_i32_i24_e32 v114, v255, v244
	v_mul_i32_i24_e32 v115, v108, v102
	;; [unrolled: 1-line block ×3, first 2 shown]
	s_set_vgpr_msb 1                        ;  msbs: dst=0 src0=1 src1=0 src2=0
	v_mad_i32_i24 v104, v2 /*v258*/, v142, v104
	s_set_vgpr_msb 0                        ;  msbs: dst=0 src0=0 src1=0 src2=0
	s_delay_alu instid0(VALU_DEP_1)
	v_add3_u32 v146, v104, v114, v115
	v_add_nc_u32_e32 v104, 0x1400, v150
	ds_load_2addr_b32 v[114:115], v104 offset0:4 offset1:7
	s_wait_dscnt 0x0
	s_set_vgpr_msb 64                       ;  msbs: dst=1 src0=0 src1=0 src2=0
	v_bfe_i32 v7 /*v263*/, v114, 8, 8
	v_bfe_i32 v6 /*v262*/, v114, 0, 8
	;; [unrolled: 1-line block ×3, first 2 shown]
	v_ashrrev_i32_e32 v5 /*v261*/, 24, v114
	s_set_vgpr_msb 1                        ;  msbs: dst=0 src0=1 src1=0 src2=0
	v_mul_i32_i24_e32 v116, v7 /*v263*/, v121
	s_delay_alu instid0(VALU_DEP_3) | instskip(NEXT) | instid1(VALU_DEP_3)
	v_mul_i32_i24_e32 v114, v4 /*v260*/, v136
	v_mul_i32_i24_e32 v117, v5 /*v261*/, v137
	s_delay_alu instid0(VALU_DEP_3) | instskip(SKIP_1) | instid1(VALU_DEP_1)
	v_mad_i32_i24 v116, v6 /*v262*/, v84, v116
	s_set_vgpr_msb 0                        ;  msbs: dst=0 src0=0 src1=0 src2=0
	v_add3_u32 v147, v116, v114, v117
	s_set_vgpr_msb 1                        ;  msbs: dst=0 src0=1 src1=0 src2=0
	v_mul_i32_i24_e32 v114, v7 /*v263*/, v139
	v_mul_i32_i24_e32 v116, v4 /*v260*/, v242
	;; [unrolled: 1-line block ×3, first 2 shown]
	s_delay_alu instid0(VALU_DEP_3) | instskip(SKIP_1) | instid1(VALU_DEP_1)
	v_mad_i32_i24 v114, v6 /*v262*/, v138, v114
	s_set_vgpr_msb 0                        ;  msbs: dst=0 src0=0 src1=0 src2=0
	v_add3_u32 v148, v114, v116, v117
	s_set_vgpr_msb 1                        ;  msbs: dst=0 src0=1 src1=0 src2=0
	v_mul_i32_i24_e32 v114, v7 /*v263*/, v141
	v_mul_i32_i24_e32 v116, v4 /*v260*/, v244
	;; [unrolled: 1-line block ×3, first 2 shown]
	s_delay_alu instid0(VALU_DEP_3) | instskip(SKIP_1) | instid1(VALU_DEP_1)
	v_mad_i32_i24 v114, v6 /*v262*/, v142, v114
	s_set_vgpr_msb 0                        ;  msbs: dst=0 src0=0 src1=0 src2=0
	v_add3_u32 v149, v114, v116, v117
	ds_load_2addr_b32 v[116:117], v251 offset0:4 offset1:7
	s_wait_dscnt 0x0
	s_set_vgpr_msb 64                       ;  msbs: dst=1 src0=0 src1=0 src2=0
	v_bfe_i32 v8 /*v264*/, v116, 8, 8
	v_bfe_i32 v9 /*v265*/, v116, 0, 8
	;; [unrolled: 1-line block ×3, first 2 shown]
	v_ashrrev_i32_e32 v11 /*v267*/, 24, v116
	s_set_vgpr_msb 1                        ;  msbs: dst=0 src0=1 src1=0 src2=0
	v_mul_i32_i24_e32 v114, v8 /*v264*/, v121
	s_delay_alu instid0(VALU_DEP_3) | instskip(NEXT) | instid1(VALU_DEP_3)
	v_mul_i32_i24_e32 v116, v10 /*v266*/, v136
	v_mul_i32_i24_e32 v118, v11 /*v267*/, v137
	s_delay_alu instid0(VALU_DEP_3) | instskip(SKIP_1) | instid1(VALU_DEP_1)
	v_mad_i32_i24 v114, v9 /*v265*/, v84, v114
	s_set_vgpr_msb 64                       ;  msbs: dst=1 src0=0 src1=0 src2=0
	v_add3_u32 v12 /*v268*/, v114, v116, v118
	s_set_vgpr_msb 1                        ;  msbs: dst=0 src0=1 src1=0 src2=0
	v_mul_i32_i24_e32 v114, v8 /*v264*/, v139
	v_mul_i32_i24_e32 v116, v10 /*v266*/, v242
	;; [unrolled: 1-line block ×3, first 2 shown]
	s_delay_alu instid0(VALU_DEP_3) | instskip(SKIP_1) | instid1(VALU_DEP_1)
	v_mad_i32_i24 v114, v9 /*v265*/, v138, v114
	s_set_vgpr_msb 64                       ;  msbs: dst=1 src0=0 src1=0 src2=0
	v_add3_u32 v13 /*v269*/, v114, v116, v118
	s_set_vgpr_msb 1                        ;  msbs: dst=0 src0=1 src1=0 src2=0
	v_mul_i32_i24_e32 v114, v8 /*v264*/, v141
	v_mul_i32_i24_e32 v116, v10 /*v266*/, v244
	;; [unrolled: 1-line block ×3, first 2 shown]
	s_delay_alu instid0(VALU_DEP_3) | instskip(SKIP_1) | instid1(VALU_DEP_1)
	v_mad_i32_i24 v114, v9 /*v265*/, v142, v114
	s_set_vgpr_msb 64                       ;  msbs: dst=1 src0=0 src1=0 src2=0
	v_add3_u32 v14 /*v270*/, v114, v116, v118
	s_set_vgpr_msb 1                        ;  msbs: dst=0 src0=1 src1=0 src2=0
	ds_load_2addr_b32 v[118:119], v0 /*v256*/ offset0:4 offset1:7
	s_wait_dscnt 0x0
	s_set_vgpr_msb 64                       ;  msbs: dst=1 src0=0 src1=0 src2=0
	v_bfe_i32 v15 /*v271*/, v118, 8, 8
	v_bfe_i32 v16 /*v272*/, v118, 0, 8
	;; [unrolled: 1-line block ×3, first 2 shown]
	v_ashrrev_i32_e32 v18 /*v274*/, 24, v118
	s_set_vgpr_msb 1                        ;  msbs: dst=0 src0=1 src1=0 src2=0
	v_mul_i32_i24_e32 v114, v15 /*v271*/, v121
	s_delay_alu instid0(VALU_DEP_3) | instskip(NEXT) | instid1(VALU_DEP_3)
	v_mul_i32_i24_e32 v116, v17 /*v273*/, v136
	v_mul_i32_i24_e32 v118, v18 /*v274*/, v137
	s_delay_alu instid0(VALU_DEP_3) | instskip(SKIP_1) | instid1(VALU_DEP_1)
	v_mad_i32_i24 v114, v16 /*v272*/, v84, v114
	s_set_vgpr_msb 64                       ;  msbs: dst=1 src0=0 src1=0 src2=0
	v_add3_u32 v19 /*v275*/, v114, v116, v118
	s_set_vgpr_msb 1                        ;  msbs: dst=0 src0=1 src1=0 src2=0
	v_mul_i32_i24_e32 v114, v15 /*v271*/, v139
	v_mul_i32_i24_e32 v116, v17 /*v273*/, v242
	;; [unrolled: 1-line block ×3, first 2 shown]
	s_delay_alu instid0(VALU_DEP_3) | instskip(SKIP_1) | instid1(VALU_DEP_1)
	v_mad_i32_i24 v114, v16 /*v272*/, v138, v114
	s_set_vgpr_msb 64                       ;  msbs: dst=1 src0=0 src1=0 src2=0
	v_add3_u32 v20 /*v276*/, v114, v116, v118
	s_set_vgpr_msb 1                        ;  msbs: dst=0 src0=1 src1=0 src2=0
	v_mul_i32_i24_e32 v114, v15 /*v271*/, v141
	v_mul_i32_i24_e32 v116, v17 /*v273*/, v244
	;; [unrolled: 1-line block ×3, first 2 shown]
	s_delay_alu instid0(VALU_DEP_3) | instskip(SKIP_1) | instid1(VALU_DEP_1)
	v_mad_i32_i24 v114, v16 /*v272*/, v142, v114
	s_set_vgpr_msb 64                       ;  msbs: dst=1 src0=0 src1=0 src2=0
	v_add3_u32 v21 /*v277*/, v114, v116, v118
	s_set_vgpr_msb 4                        ;  msbs: dst=0 src0=0 src1=1 src2=0
	v_mul_i32_i24_e32 v114, v137, v23 /*v279*/
	s_set_vgpr_msb 0                        ;  msbs: dst=0 src0=0 src1=0 src2=0
	v_mul_i32_i24_e32 v116, v142, v235
	v_mul_i32_i24_e32 v118, v141, v234
	s_set_vgpr_msb 64                       ;  msbs: dst=1 src0=0 src1=0 src2=0
	v_add3_u32 v24 /*v280*/, v129, v82, v114
	s_set_vgpr_msb 0                        ;  msbs: dst=0 src0=0 src1=0 src2=0
	v_mul_i32_i24_e32 v82, v138, v235
	v_mul_i32_i24_e32 v114, v139, v234
	s_set_vgpr_msb 64                       ;  msbs: dst=1 src0=0 src1=0 src2=0
	v_add3_u32 v26 /*v282*/, v128, v118, v116
	s_set_vgpr_msb 0                        ;  msbs: dst=0 src0=0 src1=0 src2=0
	v_mul_i32_i24_e32 v116, v123, v136
	v_mul_i32_i24_e32 v118, v122, v137
	;; [unrolled: 1-line block ×3, first 2 shown]
	s_set_vgpr_msb 64                       ;  msbs: dst=1 src0=0 src1=0 src2=0
	v_add3_u32 v25 /*v281*/, v130, v114, v82
	s_set_vgpr_msb 0                        ;  msbs: dst=0 src0=0 src1=0 src2=0
	v_lshrrev_b16 v82, 8, v94
	v_add_nc_u32_e32 v130, 0x1c04, v150
	s_delay_alu instid0(VALU_DEP_2) | instskip(NEXT) | instid1(VALU_DEP_1)
	v_bfe_i32 v94, v82, 0, 8
	v_mul_i32_i24_e32 v82, v94, v121
	ds_load_2addr_b32 v[120:121], v120 offset1:3
	v_mul_i32_i24_e32 v114, v94, v141
	v_mad_i32_i24 v82, v124, v84, v82
	v_mul_i32_i24_e32 v84, v94, v139
	s_delay_alu instid0(VALU_DEP_3) | instskip(SKIP_1) | instid1(VALU_DEP_3)
	v_mad_i32_i24 v114, v124, v142, v114
	s_set_vgpr_msb 64                       ;  msbs: dst=1 src0=0 src1=0 src2=0
	v_add3_u32 v27 /*v283*/, v82, v116, v118
	s_set_vgpr_msb 0                        ;  msbs: dst=0 src0=0 src1=0 src2=0
	v_mad_i32_i24 v84, v124, v138, v84
	v_mul_i32_i24_e32 v82, v123, v242
	v_mul_i32_i24_e32 v116, v122, v243
	v_and_b32_e32 v118, 15, v97
	s_set_vgpr_msb 4                        ;  msbs: dst=0 src0=0 src1=1 src2=0
	v_mul_i32_i24_e32 v242, v242, v22 /*v278*/
	v_mul_i32_i24_e32 v243, v243, v23 /*v279*/
	s_set_vgpr_msb 0                        ;  msbs: dst=0 src0=0 src1=0 src2=0
	v_mul_i32_i24_e32 v108, v227, v108
	s_set_vgpr_msb 64                       ;  msbs: dst=1 src0=0 src1=0 src2=0
	v_add3_u32 v28 /*v284*/, v84, v82, v116
	s_set_vgpr_msb 0                        ;  msbs: dst=0 src0=0 src1=0 src2=0
	v_mul_i32_i24_e32 v82, v123, v244
	v_mul_i32_i24_e32 v84, v122, v102
	s_wait_dscnt 0x0
	s_set_vgpr_msb 64                       ;  msbs: dst=1 src0=0 src1=0 src2=0
	v_ashrrev_i32_e32 v1 /*v257*/, 24, v121
	s_set_vgpr_msb 0                        ;  msbs: dst=0 src0=0 src1=0 src2=0
	v_bfe_u32 v116, v97, 16, 4
	v_bfe_i32 v253, v121, 16, 8
	v_bfe_i32 v254, v121, 0, 8
	s_set_vgpr_msb 64                       ;  msbs: dst=1 src0=0 src1=0 src2=0
	v_add3_u32 v29 /*v285*/, v114, v82, v84
	s_set_vgpr_msb 0                        ;  msbs: dst=0 src0=0 src1=0 src2=0
	v_bfe_i32 v114, v120, 0, 8
	s_set_vgpr_msb 1                        ;  msbs: dst=0 src0=1 src1=0 src2=0
	v_mul_i32_i24_e32 v82, v1 /*v257*/, v247
	v_add_nc_u32_e32 v122, 0xc04, v150
	v_add_nc_u32_e32 v123, 0xc14, v150
	v_add3_u32 v242, v25 /*v281*/, v242, v243
	s_set_vgpr_msb 0                        ;  msbs: dst=0 src0=0 src1=0 src2=0
	v_mul_i32_i24_e32 v84, v159, v114
	s_set_vgpr_msb 4                        ;  msbs: dst=0 src0=0 src1=1 src2=0
	v_mul_i32_i24_e32 v243, v244, v22 /*v278*/
	v_mul_i32_i24_e32 v102, v102, v23 /*v279*/
	;; [unrolled: 1-line block ×3, first 2 shown]
	s_set_vgpr_msb 0x44                     ;  msbs: dst=1 src0=0 src1=1 src2=0
	v_mul_i32_i24_e32 v25 /*v281*/, v236, v40 /*v296*/
	s_set_vgpr_msb 64                       ;  msbs: dst=1 src0=0 src1=0 src2=0
	v_add3_u32 v30 /*v286*/, v126, v82, v84
	s_set_vgpr_msb 0                        ;  msbs: dst=0 src0=0 src1=0 src2=0
	v_mul_i32_i24_e32 v82, v253, v116
	v_mul_i32_i24_e32 v84, v248, v206
	v_add_nc_u32_e32 v126, 0x1404, v150
	s_set_vgpr_msb 1                        ;  msbs: dst=0 src0=1 src1=0 src2=0
	v_add3_u32 v102, v26 /*v282*/, v243, v102
	s_set_vgpr_msb 4                        ;  msbs: dst=0 src0=0 src1=1 src2=0
	v_mul_i32_i24_e32 v243, v112, v34 /*v290*/
	v_mul_i32_i24_e32 v236, v236, v43 /*v299*/
	s_set_vgpr_msb 64                       ;  msbs: dst=1 src0=0 src1=0 src2=0
	v_add3_u32 v32 /*v288*/, v127, v82, v84
	s_set_vgpr_msb 0                        ;  msbs: dst=0 src0=0 src1=0 src2=0
	v_mul_i32_i24_e32 v82, v254, v118
	v_mul_i32_i24_e32 v84, v252, v241
	v_add_nc_u32_e32 v127, 0x1414, v150
	s_set_vgpr_msb 1                        ;  msbs: dst=0 src0=1 src1=0 src2=0
	v_add3_u32 v243, v27 /*v283*/, v244, v243
	s_set_vgpr_msb 4                        ;  msbs: dst=0 src0=0 src1=1 src2=0
	v_mul_i32_i24_e32 v244, v112, v39 /*v295*/
	v_bfe_i32 v121, v121, 8, 8
	s_set_vgpr_msb 64                       ;  msbs: dst=1 src0=0 src1=0 src2=0
	v_add3_u32 v33 /*v289*/, v125, v82, v84
	s_set_vgpr_msb 0                        ;  msbs: dst=0 src0=0 src1=0 src2=0
	v_add_nc_u32_e32 v82, 0x804, v150
	v_add_nc_u32_e32 v84, 0x814, v150
	ds_load_2addr_b32 v[138:139], v82 offset1:1
	ds_load_2addr_b32 v[124:125], v84 offset1:1
	;; [unrolled: 1-line block ×4, first 2 shown]
	s_set_vgpr_msb 5                        ;  msbs: dst=0 src0=1 src1=1 src2=0
	v_add3_u32 v244, v28 /*v284*/, v25 /*v281*/, v244
	s_set_vgpr_msb 0x44                     ;  msbs: dst=1 src0=0 src1=1 src2=0
	v_mul_i32_i24_e32 v25 /*v281*/, v112, v42 /*v298*/
	s_set_vgpr_msb 64                       ;  msbs: dst=1 src0=0 src1=0 src2=0
	v_and_b32_e32 v65 /*v321*/, 15, v101
	v_bfe_u32 v28 /*v284*/, v105, 16, 4
	s_set_vgpr_msb 17                       ;  msbs: dst=0 src0=1 src1=0 src2=1
	v_add3_u32 v236, v29 /*v285*/, v236, v25 /*v281*/
	s_wait_dscnt 0x3
	s_set_vgpr_msb 64                       ;  msbs: dst=1 src0=0 src1=0 src2=0
	v_bfe_i32 v36 /*v292*/, v138, 8, 8
	s_wait_dscnt 0x1
	v_dual_ashrrev_i32 v37 /*v293*/, 24, v138 :: v_dual_ashrrev_i32 v46 /*v302*/, 24, v136
	v_bfe_i32 v45 /*v301*/, v136, 8, 8
	s_set_vgpr_msb 5                        ;  msbs: dst=0 src0=1 src1=1 src2=0
	v_mul_i32_i24_e32 v82, v36 /*v292*/, v34 /*v290*/
	s_delay_alu instid0(VALU_DEP_3) | instskip(SKIP_1) | instid1(VALU_DEP_1)
	v_mul_i32_i24_e32 v84, v37 /*v293*/, v35 /*v291*/
	s_set_vgpr_msb 64                       ;  msbs: dst=1 src0=0 src1=0 src2=0
	v_add3_u32 v38 /*v294*/, v131, v84, v82
	s_set_vgpr_msb 5                        ;  msbs: dst=0 src0=1 src1=1 src2=0
	v_mul_i32_i24_e32 v82, v36 /*v292*/, v39 /*v295*/
	v_mul_i32_i24_e32 v84, v37 /*v293*/, v40 /*v296*/
	s_set_vgpr_msb 0                        ;  msbs: dst=0 src0=0 src1=0 src2=0
	v_add_nc_u32_e32 v131, 0x1c14, v150
	s_set_vgpr_msb 64                       ;  msbs: dst=1 src0=0 src1=0 src2=0
	s_delay_alu instid0(VALU_DEP_2) | instskip(SKIP_4) | instid1(VALU_DEP_1)
	v_add3_u32 v41 /*v297*/, v132, v84, v82
	s_set_vgpr_msb 5                        ;  msbs: dst=0 src0=1 src1=1 src2=0
	v_mul_i32_i24_e32 v82, v36 /*v292*/, v42 /*v298*/
	v_mul_i32_i24_e32 v84, v37 /*v293*/, v43 /*v299*/
	s_set_vgpr_msb 64                       ;  msbs: dst=1 src0=0 src1=0 src2=0
	v_add3_u32 v44 /*v300*/, v133, v84, v82
	s_set_vgpr_msb 5                        ;  msbs: dst=0 src0=1 src1=1 src2=0
	v_mul_i32_i24_e32 v82, v45 /*v301*/, v34 /*v290*/
	v_mul_i32_i24_e32 v84, v46 /*v302*/, v35 /*v291*/
	s_set_vgpr_msb 64                       ;  msbs: dst=1 src0=0 src1=0 src2=0
	s_delay_alu instid0(VALU_DEP_1) | instskip(SKIP_4) | instid1(VALU_DEP_1)
	v_add3_u32 v47 /*v303*/, v134, v84, v82
	s_set_vgpr_msb 5                        ;  msbs: dst=0 src0=1 src1=1 src2=0
	v_mul_i32_i24_e32 v82, v45 /*v301*/, v39 /*v295*/
	v_mul_i32_i24_e32 v84, v46 /*v302*/, v40 /*v296*/
	s_set_vgpr_msb 64                       ;  msbs: dst=1 src0=0 src1=0 src2=0
	v_add3_u32 v48 /*v304*/, v135, v84, v82
	s_set_vgpr_msb 5                        ;  msbs: dst=0 src0=1 src1=1 src2=0
	v_mul_i32_i24_e32 v82, v45 /*v301*/, v42 /*v298*/
	v_mul_i32_i24_e32 v84, v46 /*v302*/, v43 /*v299*/
	s_set_vgpr_msb 64                       ;  msbs: dst=1 src0=0 src1=0 src2=0
	s_delay_alu instid0(VALU_DEP_1)
	v_add3_u32 v49 /*v305*/, v140, v84, v82
	s_set_vgpr_msb 0                        ;  msbs: dst=0 src0=0 src1=0 src2=0
	v_add_nc_u32_e32 v82, 0x1004, v150
	v_add_nc_u32_e32 v84, 0x1014, v150
	ds_load_2addr_b32 v[142:143], v82 offset1:1
	ds_load_2addr_b32 v[128:129], v84 offset1:1
	;; [unrolled: 1-line block ×4, first 2 shown]
	s_wait_dscnt 0x3
	s_set_vgpr_msb 64                       ;  msbs: dst=1 src0=0 src1=0 src2=0
	v_bfe_i32 v50 /*v306*/, v142, 8, 8
	s_wait_dscnt 0x1
	v_dual_ashrrev_i32 v51 /*v307*/, 24, v142 :: v_dual_ashrrev_i32 v56 /*v312*/, 24, v140
	v_bfe_i32 v55 /*v311*/, v140, 8, 8
	s_set_vgpr_msb 5                        ;  msbs: dst=0 src0=1 src1=1 src2=0
	v_mul_i32_i24_e32 v82, v50 /*v306*/, v34 /*v290*/
	s_delay_alu instid0(VALU_DEP_3) | instskip(SKIP_1) | instid1(VALU_DEP_1)
	v_mul_i32_i24_e32 v84, v51 /*v307*/, v35 /*v291*/
	s_set_vgpr_msb 64                       ;  msbs: dst=1 src0=0 src1=0 src2=0
	v_add3_u32 v52 /*v308*/, v144, v84, v82
	s_set_vgpr_msb 5                        ;  msbs: dst=0 src0=1 src1=1 src2=0
	v_mul_i32_i24_e32 v82, v50 /*v306*/, v39 /*v295*/
	v_mul_i32_i24_e32 v84, v51 /*v307*/, v40 /*v296*/
	s_set_vgpr_msb 64                       ;  msbs: dst=1 src0=0 src1=0 src2=0
	s_delay_alu instid0(VALU_DEP_1) | instskip(SKIP_4) | instid1(VALU_DEP_1)
	v_add3_u32 v53 /*v309*/, v145, v84, v82
	s_set_vgpr_msb 5                        ;  msbs: dst=0 src0=1 src1=1 src2=0
	v_mul_i32_i24_e32 v82, v50 /*v306*/, v42 /*v298*/
	v_mul_i32_i24_e32 v84, v51 /*v307*/, v43 /*v299*/
	s_set_vgpr_msb 64                       ;  msbs: dst=1 src0=0 src1=0 src2=0
	v_add3_u32 v54 /*v310*/, v146, v84, v82
	s_set_vgpr_msb 5                        ;  msbs: dst=0 src0=1 src1=1 src2=0
	v_mul_i32_i24_e32 v82, v55 /*v311*/, v34 /*v290*/
	v_mul_i32_i24_e32 v84, v56 /*v312*/, v35 /*v291*/
	s_set_vgpr_msb 64                       ;  msbs: dst=1 src0=0 src1=0 src2=0
	s_delay_alu instid0(VALU_DEP_1) | instskip(SKIP_4) | instid1(VALU_DEP_1)
	v_add3_u32 v57 /*v313*/, v147, v84, v82
	s_set_vgpr_msb 5                        ;  msbs: dst=0 src0=1 src1=1 src2=0
	v_mul_i32_i24_e32 v82, v55 /*v311*/, v39 /*v295*/
	v_mul_i32_i24_e32 v84, v56 /*v312*/, v40 /*v296*/
	s_set_vgpr_msb 64                       ;  msbs: dst=1 src0=0 src1=0 src2=0
	v_add3_u32 v58 /*v314*/, v148, v84, v82
	s_set_vgpr_msb 5                        ;  msbs: dst=0 src0=1 src1=1 src2=0
	v_mul_i32_i24_e32 v82, v55 /*v311*/, v42 /*v298*/
	v_mul_i32_i24_e32 v84, v56 /*v312*/, v43 /*v299*/
	s_set_vgpr_msb 64                       ;  msbs: dst=1 src0=0 src1=0 src2=0
	s_delay_alu instid0(VALU_DEP_1)
	v_add3_u32 v59 /*v315*/, v149, v84, v82
	s_set_vgpr_msb 0                        ;  msbs: dst=0 src0=0 src1=0 src2=0
	v_add_nc_u32_e32 v82, 0x1804, v150
	v_add_nc_u32_e32 v84, 0x1814, v150
	ds_load_2addr_b32 v[146:147], v82 offset1:1
	ds_load_2addr_b32 v[132:133], v84 offset1:1
	;; [unrolled: 1-line block ×4, first 2 shown]
	s_wait_dscnt 0x3
	s_set_vgpr_msb 64                       ;  msbs: dst=1 src0=0 src1=0 src2=0
	v_bfe_i32 v60 /*v316*/, v146, 8, 8
	s_wait_dscnt 0x1
	v_dual_ashrrev_i32 v61 /*v317*/, 24, v146 :: v_dual_ashrrev_i32 v63 /*v319*/, 24, v144
	v_bfe_i32 v62 /*v318*/, v144, 8, 8
	s_set_vgpr_msb 5                        ;  msbs: dst=0 src0=1 src1=1 src2=0
	v_mul_i32_i24_e32 v82, v60 /*v316*/, v34 /*v290*/
	s_delay_alu instid0(VALU_DEP_3) | instskip(SKIP_1) | instid1(VALU_DEP_1)
	v_mul_i32_i24_e32 v84, v61 /*v317*/, v35 /*v291*/
	s_set_vgpr_msb 0x41                     ;  msbs: dst=1 src0=1 src1=0 src2=0
	v_add3_u32 v12 /*v268*/, v12 /*v268*/, v84, v82
	s_set_vgpr_msb 5                        ;  msbs: dst=0 src0=1 src1=1 src2=0
	v_mul_i32_i24_e32 v82, v60 /*v316*/, v39 /*v295*/
	v_mul_i32_i24_e32 v84, v61 /*v317*/, v40 /*v296*/
	s_set_vgpr_msb 0x41                     ;  msbs: dst=1 src0=1 src1=0 src2=0
	s_delay_alu instid0(VALU_DEP_1) | instskip(SKIP_4) | instid1(VALU_DEP_1)
	v_add3_u32 v13 /*v269*/, v13 /*v269*/, v84, v82
	s_set_vgpr_msb 5                        ;  msbs: dst=0 src0=1 src1=1 src2=0
	v_mul_i32_i24_e32 v82, v60 /*v316*/, v42 /*v298*/
	v_mul_i32_i24_e32 v84, v61 /*v317*/, v43 /*v299*/
	s_set_vgpr_msb 0x41                     ;  msbs: dst=1 src0=1 src1=0 src2=0
	v_add3_u32 v14 /*v270*/, v14 /*v270*/, v84, v82
	s_set_vgpr_msb 5                        ;  msbs: dst=0 src0=1 src1=1 src2=0
	v_mul_i32_i24_e32 v82, v62 /*v318*/, v34 /*v290*/
	v_mul_i32_i24_e32 v84, v63 /*v319*/, v35 /*v291*/
	s_set_vgpr_msb 0x41                     ;  msbs: dst=1 src0=1 src1=0 src2=0
	s_delay_alu instid0(VALU_DEP_1) | instskip(SKIP_4) | instid1(VALU_DEP_1)
	v_add3_u32 v19 /*v275*/, v19 /*v275*/, v84, v82
	s_set_vgpr_msb 5                        ;  msbs: dst=0 src0=1 src1=1 src2=0
	v_mul_i32_i24_e32 v82, v62 /*v318*/, v39 /*v295*/
	v_mul_i32_i24_e32 v84, v63 /*v319*/, v40 /*v296*/
	s_set_vgpr_msb 0x41                     ;  msbs: dst=1 src0=1 src1=0 src2=0
	v_add3_u32 v20 /*v276*/, v20 /*v276*/, v84, v82
	s_set_vgpr_msb 5                        ;  msbs: dst=0 src0=1 src1=1 src2=0
	v_mul_i32_i24_e32 v82, v62 /*v318*/, v42 /*v298*/
	v_mul_i32_i24_e32 v84, v63 /*v319*/, v43 /*v299*/
	s_set_vgpr_msb 0x41                     ;  msbs: dst=1 src0=1 src1=0 src2=0
	s_delay_alu instid0(VALU_DEP_1)
	v_add3_u32 v21 /*v277*/, v21 /*v277*/, v84, v82
	s_set_vgpr_msb 0                        ;  msbs: dst=0 src0=0 src1=0 src2=0
	ds_load_2addr_b32 v[148:149], v150 offset0:1 offset1:2
	ds_load_2addr_b32 v[134:135], v150 offset0:5 offset1:6
	ds_load_b32 v82, v152
	ds_load_b32 v84, v153
	v_dual_add_nc_u32 v153, 4, v153 :: v_dual_bitop2_b32 v110, 15, v110 bitop3:0x40
	v_dual_add_nc_u32 v152, 4, v152 :: v_dual_add_nc_u32 v150, 32, v150
	s_delay_alu instid0(VALU_DEP_2) | instskip(NEXT) | instid1(VALU_DEP_1)
	v_and_b32_e32 v110, 0xffff, v110
	v_mul_i32_i24_e32 v234, v110, v234
	v_mul_i32_i24_e32 v240, v110, v240
	;; [unrolled: 1-line block ×3, first 2 shown]
	s_set_vgpr_msb 0x44                     ;  msbs: dst=1 src0=0 src1=1 src2=0
	v_mul_i32_i24_e32 v3 /*v259*/, v110, v3 /*v259*/
	v_mul_i32_i24_e32 v7 /*v263*/, v110, v7 /*v263*/
	s_set_vgpr_msb 0                        ;  msbs: dst=0 src0=0 src1=0 src2=0
	v_add3_u32 v234, v237, v234, v235
	v_and_b32_e32 v235, 0xf0f0f0f, v111
	v_lshrrev_b32_e32 v111, 4, v111
	s_wait_dscnt 0x3
	s_set_vgpr_msb 0x44                     ;  msbs: dst=1 src0=0 src1=1 src2=0
	v_bfe_i32 v64 /*v320*/, v148, 0, 8
	v_bfe_i32 v66 /*v322*/, v148, 8, 8
	v_mul_i32_i24_e32 v8 /*v264*/, v110, v8 /*v264*/
	s_set_vgpr_msb 0                        ;  msbs: dst=0 src0=0 src1=0 src2=0
	v_lshrrev_b16 v235, 8, v235
	v_lshrrev_b16 v111, 8, v111
	s_set_vgpr_msb 0x45                     ;  msbs: dst=1 src0=1 src1=1 src2=0
	v_mul_i32_i24_e32 v67 /*v323*/, v64 /*v320*/, v65 /*v321*/
	v_mul_i32_i24_e32 v68 /*v324*/, v66 /*v322*/, v34 /*v290*/
	s_set_vgpr_msb 0                        ;  msbs: dst=0 src0=0 src1=0 src2=0
	v_mad_i32_i24 v239, v233, v239, v240
	v_and_b32_e32 v235, 0xffff, v235
	v_and_b32_e32 v111, 15, v111
	v_mad_i32_i24 v240, v233, v249, v250
	s_set_vgpr_msb 20                       ;  msbs: dst=0 src0=0 src1=1 src2=1
	v_mad_i32_i24 v249, v233, v2 /*v258*/, v3 /*v259*/
	v_mad_i32_i24 v250, v233, v6 /*v262*/, v7 /*v263*/
	s_set_vgpr_msb 0                        ;  msbs: dst=0 src0=0 src1=0 src2=0
	v_mul_i32_i24_e32 v112, v112, v235
	s_set_vgpr_msb 0x54                     ;  msbs: dst=1 src0=0 src1=1 src2=1
	v_mad_i32_i24 v2 /*v258*/, v233, v9 /*v265*/, v8 /*v264*/
	s_set_vgpr_msb 0x55                     ;  msbs: dst=1 src0=1 src1=1 src2=1
	v_add3_u32 v24 /*v280*/, v24 /*v280*/, v68 /*v324*/, v67 /*v323*/
	s_set_vgpr_msb 0                        ;  msbs: dst=0 src0=0 src1=0 src2=0
	v_add3_u32 v92, v239, v238, v92
	v_bfe_i32 v238, v122, 0, 8
	v_mad_i32_i24 v94, v94, v110, v112
	v_and_b32_e32 v112, 0xf0f0f0f, v96
	v_lshrrev_b32_e32 v96, 4, v96
	v_and_b32_e32 v237, 0xffff, v111
	s_set_vgpr_msb 4                        ;  msbs: dst=0 src0=0 src1=1 src2=0
	v_mul_i32_i24_e32 v110, v110, v15 /*v271*/
	s_set_vgpr_msb 64                       ;  msbs: dst=1 src0=0 src1=0 src2=0
	v_lshrrev_b32_e32 v15 /*v271*/, 28, v105
	s_set_vgpr_msb 0                        ;  msbs: dst=0 src0=0 src1=0 src2=0
	v_lshrrev_b16 v112, 8, v112
	v_lshrrev_b16 v96, 8, v96
	s_set_vgpr_msb 64                       ;  msbs: dst=1 src0=0 src1=0 src2=0
	v_mul_i32_i24_e32 v25 /*v281*/, v106, v237
	s_set_vgpr_msb 4                        ;  msbs: dst=0 src0=0 src1=1 src2=0
	v_mad_i32_i24 v110, v233, v16 /*v272*/, v110
	s_set_vgpr_msb 0                        ;  msbs: dst=0 src0=0 src1=0 src2=0
	v_ashrrev_i32_e32 v233, 24, v148
	v_and_b32_e32 v112, 0xffff, v112
	v_bfe_i32 v148, v148, 16, 8
	v_dual_ashrrev_i32 v239, 24, v122 :: v_dual_bitop2_b32 v96, 15, v96 bitop3:0x40
	s_set_vgpr_msb 0x44                     ;  msbs: dst=1 src0=0 src1=1 src2=0
	v_mul_i32_i24_e32 v3 /*v259*/, v233, v35 /*v291*/
	s_set_vgpr_msb 0                        ;  msbs: dst=0 src0=0 src1=0 src2=0
	v_mul_i32_i24_e32 v111, v113, v112
	v_add3_u32 v240, v240, v245, v246
	v_ashrrev_i32_e32 v246, 24, v128
	v_bfe_i32 v245, v128, 0, 8
	v_add3_u32 v249, v249, v255, v108
	s_set_vgpr_msb 4                        ;  msbs: dst=0 src0=0 src1=1 src2=0
	v_add3_u32 v94, v94, v25 /*v281*/, v111
	v_bfe_u32 v111, v101, 16, 4
	s_set_vgpr_msb 64                       ;  msbs: dst=1 src0=0 src1=0 src2=0
	v_bfe_i32 v25 /*v281*/, v138, 0, 8
	s_set_vgpr_msb 0                        ;  msbs: dst=0 src0=0 src1=0 src2=0
	v_bfe_i32 v138, v138, 16, 8
	v_bfe_i32 v255, v126, 0, 8
	s_set_vgpr_msb 64                       ;  msbs: dst=1 src0=0 src1=0 src2=0
	v_mul_i32_i24_e32 v6 /*v262*/, v148, v111
	s_set_vgpr_msb 0x45                     ;  msbs: dst=1 src0=1 src1=1 src2=0
	v_mul_i32_i24_e32 v26 /*v282*/, v25 /*v281*/, v65 /*v321*/
	s_set_vgpr_msb 64                       ;  msbs: dst=1 src0=0 src1=0 src2=0
	v_mul_i32_i24_e32 v27 /*v283*/, v138, v111
	s_set_vgpr_msb 0x44                     ;  msbs: dst=1 src0=0 src1=1 src2=0
	v_mul_i32_i24_e32 v34 /*v290*/, v138, v28 /*v284*/
	s_set_vgpr_msb 0x55                     ;  msbs: dst=1 src0=1 src1=1 src2=1
	v_add3_u32 v3 /*v259*/, v24 /*v280*/, v6 /*v262*/, v3 /*v259*/
	v_mul_i32_i24_e32 v6 /*v262*/, v66 /*v322*/, v39 /*v295*/
	v_add3_u32 v26 /*v282*/, v38 /*v294*/, v26 /*v282*/, v27 /*v283*/
	s_set_vgpr_msb 64                       ;  msbs: dst=1 src0=0 src1=0 src2=0
	v_and_b32_e32 v27 /*v283*/, 15, v105
	v_bfe_u32 v38 /*v294*/, v103, 16, 4
	s_set_vgpr_msb 0x44                     ;  msbs: dst=1 src0=0 src1=1 src2=0
	v_mul_i32_i24_e32 v39 /*v295*/, v246, v15 /*v271*/
	s_set_vgpr_msb 0x45                     ;  msbs: dst=1 src0=1 src1=1 src2=0
	v_mul_i32_i24_e32 v29 /*v285*/, v25 /*v281*/, v27 /*v283*/
	s_set_vgpr_msb 0x44                     ;  msbs: dst=1 src0=0 src1=1 src2=0
	v_mul_i32_i24_e32 v67 /*v323*/, v138, v38 /*v294*/
	s_set_vgpr_msb 0x45                     ;  msbs: dst=1 src0=1 src1=1 src2=0
	v_mul_i32_i24_e32 v7 /*v263*/, v64 /*v320*/, v27 /*v283*/
	s_set_vgpr_msb 0                        ;  msbs: dst=0 src0=0 src1=0 src2=0
	v_mul_i32_i24_e32 v138, v138, v222
	s_set_vgpr_msb 0x55                     ;  msbs: dst=1 src0=1 src1=1 src2=1
	v_add3_u32 v29 /*v285*/, v41 /*v297*/, v29 /*v285*/, v34 /*v290*/
	s_set_vgpr_msb 64                       ;  msbs: dst=1 src0=0 src1=0 src2=0
	v_and_b32_e32 v34 /*v290*/, 15, v103
	s_set_vgpr_msb 20                       ;  msbs: dst=0 src0=0 src1=1 src2=1
	v_add3_u32 v242, v242, v6 /*v262*/, v7 /*v263*/
	s_set_vgpr_msb 0x55                     ;  msbs: dst=1 src0=1 src1=1 src2=1
	v_mul_i32_i24_e32 v6 /*v262*/, v66 /*v322*/, v42 /*v298*/
	v_mul_i32_i24_e32 v41 /*v297*/, v25 /*v281*/, v34 /*v290*/
	;; [unrolled: 1-line block ×3, first 2 shown]
	s_delay_alu instid0(VALU_DEP_2)
	v_add3_u32 v41 /*v297*/, v44 /*v300*/, v41 /*v297*/, v67 /*v323*/
	s_set_vgpr_msb 64                       ;  msbs: dst=1 src0=0 src1=0 src2=0
	v_bfe_i32 v44 /*v300*/, v136, 0, 8
	s_set_vgpr_msb 20                       ;  msbs: dst=0 src0=0 src1=1 src2=1
	v_bfe_i32 v136, v136, 16, 8
	v_add3_u32 v102, v102, v6 /*v262*/, v7 /*v263*/
	s_set_vgpr_msb 64                       ;  msbs: dst=1 src0=0 src1=0 src2=0
	v_ashrrev_i32_e32 v7 /*v263*/, 24, v124
	s_set_vgpr_msb 0x44                     ;  msbs: dst=1 src0=0 src1=1 src2=0
	v_mul_i32_i24_e32 v6 /*v262*/, v232, v65 /*v321*/
	s_set_vgpr_msb 0x45                     ;  msbs: dst=1 src0=1 src1=1 src2=0
	v_mul_i32_i24_e32 v67 /*v323*/, v44 /*v300*/, v65 /*v321*/
	s_set_vgpr_msb 64                       ;  msbs: dst=1 src0=0 src1=0 src2=0
	v_mul_i32_i24_e32 v68 /*v324*/, v136, v111
	s_set_vgpr_msb 0x55                     ;  msbs: dst=1 src0=1 src1=1 src2=1
	s_delay_alu instid0(VALU_DEP_1) | instskip(SKIP_4) | instid1(VALU_DEP_1)
	v_add3_u32 v47 /*v303*/, v47 /*v303*/, v67 /*v323*/, v68 /*v324*/
	v_mul_i32_i24_e32 v67 /*v323*/, v44 /*v300*/, v27 /*v283*/
	s_set_vgpr_msb 0x44                     ;  msbs: dst=1 src0=0 src1=1 src2=0
	v_mul_i32_i24_e32 v68 /*v324*/, v136, v28 /*v284*/
	s_set_vgpr_msb 0x55                     ;  msbs: dst=1 src0=1 src1=1 src2=1
	v_add3_u32 v48 /*v304*/, v48 /*v304*/, v67 /*v323*/, v68 /*v324*/
	v_mul_i32_i24_e32 v67 /*v323*/, v44 /*v300*/, v34 /*v290*/
	s_set_vgpr_msb 0x44                     ;  msbs: dst=1 src0=0 src1=1 src2=0
	v_mul_i32_i24_e32 v68 /*v324*/, v136, v38 /*v294*/
	s_set_vgpr_msb 0                        ;  msbs: dst=0 src0=0 src1=0 src2=0
	v_mul_i32_i24_e32 v136, v136, v222
	s_set_vgpr_msb 0x55                     ;  msbs: dst=1 src0=1 src1=1 src2=1
	s_delay_alu instid0(VALU_DEP_2)
	v_add3_u32 v49 /*v305*/, v49 /*v305*/, v67 /*v323*/, v68 /*v324*/
	s_set_vgpr_msb 64                       ;  msbs: dst=1 src0=0 src1=0 src2=0
	v_bfe_i32 v67 /*v323*/, v142, 0, 8
	s_set_vgpr_msb 0                        ;  msbs: dst=0 src0=0 src1=0 src2=0
	v_bfe_i32 v142, v142, 16, 8
	s_set_vgpr_msb 0x45                     ;  msbs: dst=1 src0=1 src1=1 src2=0
	s_delay_alu instid0(VALU_DEP_2) | instskip(SKIP_1) | instid1(VALU_DEP_2)
	v_mul_i32_i24_e32 v68 /*v324*/, v67 /*v323*/, v65 /*v321*/
	s_set_vgpr_msb 64                       ;  msbs: dst=1 src0=0 src1=0 src2=0
	v_mul_i32_i24_e32 v69 /*v325*/, v142, v111
	s_set_vgpr_msb 0x55                     ;  msbs: dst=1 src0=1 src1=1 src2=1
	s_delay_alu instid0(VALU_DEP_1) | instskip(SKIP_4) | instid1(VALU_DEP_1)
	v_add3_u32 v52 /*v308*/, v52 /*v308*/, v68 /*v324*/, v69 /*v325*/
	v_mul_i32_i24_e32 v68 /*v324*/, v67 /*v323*/, v27 /*v283*/
	s_set_vgpr_msb 0x44                     ;  msbs: dst=1 src0=0 src1=1 src2=0
	v_mul_i32_i24_e32 v69 /*v325*/, v142, v28 /*v284*/
	s_set_vgpr_msb 0x55                     ;  msbs: dst=1 src0=1 src1=1 src2=1
	v_add3_u32 v53 /*v309*/, v53 /*v309*/, v68 /*v324*/, v69 /*v325*/
	v_mul_i32_i24_e32 v68 /*v324*/, v67 /*v323*/, v34 /*v290*/
	s_set_vgpr_msb 0x44                     ;  msbs: dst=1 src0=0 src1=1 src2=0
	v_mul_i32_i24_e32 v69 /*v325*/, v142, v38 /*v294*/
	s_set_vgpr_msb 0                        ;  msbs: dst=0 src0=0 src1=0 src2=0
	v_mul_i32_i24_e32 v142, v142, v222
	s_set_vgpr_msb 0x55                     ;  msbs: dst=1 src0=1 src1=1 src2=1
	s_delay_alu instid0(VALU_DEP_2)
	v_add3_u32 v54 /*v310*/, v54 /*v310*/, v68 /*v324*/, v69 /*v325*/
	s_set_vgpr_msb 64                       ;  msbs: dst=1 src0=0 src1=0 src2=0
	v_bfe_i32 v68 /*v324*/, v140, 0, 8
	s_set_vgpr_msb 0                        ;  msbs: dst=0 src0=0 src1=0 src2=0
	v_bfe_i32 v140, v140, 16, 8
	s_set_vgpr_msb 0x45                     ;  msbs: dst=1 src0=1 src1=1 src2=0
	s_delay_alu instid0(VALU_DEP_2) | instskip(SKIP_1) | instid1(VALU_DEP_2)
	;; [unrolled: 25-line block ×4, first 2 shown]
	v_mul_i32_i24_e32 v71 /*v327*/, v70 /*v326*/, v65 /*v321*/
	s_set_vgpr_msb 64                       ;  msbs: dst=1 src0=0 src1=0 src2=0
	v_mul_i32_i24_e32 v72 /*v328*/, v144, v111
	s_set_vgpr_msb 0                        ;  msbs: dst=0 src0=0 src1=0 src2=0
	v_mul_i32_i24_e32 v111, v231, v111
	s_set_vgpr_msb 0x55                     ;  msbs: dst=1 src0=1 src1=1 src2=1
	s_delay_alu instid0(VALU_DEP_2) | instskip(SKIP_1) | instid1(VALU_DEP_2)
	v_add3_u32 v19 /*v275*/, v19 /*v275*/, v71 /*v327*/, v72 /*v328*/
	s_set_vgpr_msb 4                        ;  msbs: dst=0 src0=0 src1=1 src2=0
	v_add3_u32 v243, v243, v6 /*v262*/, v111
	v_mul_i32_i24_e32 v111, v232, v27 /*v283*/
	s_set_vgpr_msb 0x44                     ;  msbs: dst=1 src0=0 src1=1 src2=0
	v_mul_i32_i24_e32 v6 /*v262*/, v231, v28 /*v284*/
	s_set_vgpr_msb 4                        ;  msbs: dst=0 src0=0 src1=1 src2=0
	v_mul_i32_i24_e32 v231, v231, v38 /*v294*/
	s_set_vgpr_msb 0x45                     ;  msbs: dst=1 src0=1 src1=1 src2=0
	v_mul_i32_i24_e32 v71 /*v327*/, v70 /*v326*/, v27 /*v283*/
	s_set_vgpr_msb 0x44                     ;  msbs: dst=1 src0=0 src1=1 src2=0
	v_mul_i32_i24_e32 v72 /*v328*/, v144, v28 /*v284*/
	s_set_vgpr_msb 16                       ;  msbs: dst=0 src0=0 src1=0 src2=1
	v_add3_u32 v244, v244, v111, v6 /*v262*/
	s_set_vgpr_msb 4                        ;  msbs: dst=0 src0=0 src1=1 src2=0
	v_mul_i32_i24_e32 v111, v232, v34 /*v290*/
	v_mul_i32_i24_e32 v232, v227, v23 /*v279*/
	s_set_vgpr_msb 64                       ;  msbs: dst=1 src0=0 src1=0 src2=0
	v_bfe_i32 v6 /*v262*/, v124, 0, 8
	v_lshrrev_b32_e32 v23 /*v279*/, 28, v103
	s_set_vgpr_msb 0x55                     ;  msbs: dst=1 src0=1 src1=1 src2=1
	v_add3_u32 v20 /*v276*/, v20 /*v276*/, v71 /*v327*/, v72 /*v328*/
	s_set_vgpr_msb 0                        ;  msbs: dst=0 src0=0 src1=0 src2=0
	v_add3_u32 v231, v236, v111, v231
	s_set_vgpr_msb 4                        ;  msbs: dst=0 src0=0 src1=1 src2=0
	v_mul_i32_i24_e32 v111, v230, v22 /*v278*/
	s_set_vgpr_msb 0x45                     ;  msbs: dst=1 src0=1 src1=1 src2=0
	v_mul_i32_i24_e32 v22 /*v278*/, v7 /*v263*/, v15 /*v271*/
	v_mul_i32_i24_e32 v71 /*v327*/, v70 /*v326*/, v34 /*v290*/
	s_set_vgpr_msb 0x44                     ;  msbs: dst=1 src0=0 src1=1 src2=0
	v_mul_i32_i24_e32 v34 /*v290*/, v239, v23 /*v279*/
	v_mul_i32_i24_e32 v72 /*v328*/, v144, v38 /*v294*/
	s_set_vgpr_msb 0                        ;  msbs: dst=0 src0=0 src1=0 src2=0
	v_add3_u32 v232, v234, v111, v232
	v_and_b32_e32 v111, 0xf0f0f0f, v97
	v_and_b32_e32 v234, 0xffff, v96
	v_mul_i32_i24_e32 v144, v144, v222
	s_set_vgpr_msb 0x55                     ;  msbs: dst=1 src0=1 src1=1 src2=1
	v_add3_u32 v21 /*v277*/, v21 /*v277*/, v71 /*v327*/, v72 /*v328*/
	s_set_vgpr_msb 0                        ;  msbs: dst=0 src0=0 src1=0 src2=0
	v_lshrrev_b16 v111, 8, v111
	v_mul_i32_i24_e32 v236, v107, v234
	s_delay_alu instid0(VALU_DEP_2) | instskip(NEXT) | instid1(VALU_DEP_1)
	v_and_b32_e32 v111, 0xffff, v111
	v_mul_i32_i24_e32 v96, v121, v111
	s_delay_alu instid0(VALU_DEP_1) | instskip(SKIP_3) | instid1(VALU_DEP_2)
	v_add3_u32 v94, v94, v236, v96
	v_bfe_u32 v96, v101, 4, 4
	v_lshrrev_b32_e32 v236, 28, v101
	s_set_vgpr_msb 0x41                     ;  msbs: dst=1 src0=1 src1=0 src2=0
	v_mul_i32_i24_e32 v8 /*v264*/, v6 /*v262*/, v96
	s_delay_alu instid0(VALU_DEP_2)
	v_mul_i32_i24_e32 v9 /*v265*/, v7 /*v263*/, v236
	s_set_vgpr_msb 64                       ;  msbs: dst=1 src0=0 src1=0 src2=0
	v_mul_i32_i24_e32 v27 /*v283*/, v239, v236
	v_mul_i32_i24_e32 v35 /*v291*/, v246, v236
	s_set_vgpr_msb 0                        ;  msbs: dst=0 src0=0 src1=0 src2=0
	v_mul_i32_i24_e32 v108, v255, v96
	s_set_vgpr_msb 0x55                     ;  msbs: dst=1 src0=1 src1=1 src2=1
	v_add3_u32 v8 /*v264*/, v26 /*v282*/, v9 /*v265*/, v8 /*v264*/
	s_set_vgpr_msb 64                       ;  msbs: dst=1 src0=0 src1=0 src2=0
	v_bfe_u32 v9 /*v265*/, v105, 4, 4
	s_set_vgpr_msb 0x45                     ;  msbs: dst=1 src0=1 src1=1 src2=0
	v_mul_i32_i24_e32 v26 /*v282*/, v7 /*v263*/, v23 /*v279*/
	s_set_vgpr_msb 0x41                     ;  msbs: dst=1 src0=1 src1=0 src2=0
	v_mul_i32_i24_e32 v7 /*v263*/, v7 /*v263*/, v217
	s_set_vgpr_msb 0x55                     ;  msbs: dst=1 src0=1 src1=1 src2=1
	v_mul_i32_i24_e32 v16 /*v272*/, v6 /*v262*/, v9 /*v265*/
	s_delay_alu instid0(VALU_DEP_1)
	v_add3_u32 v16 /*v272*/, v29 /*v285*/, v22 /*v278*/, v16 /*v272*/
	s_set_vgpr_msb 0x44                     ;  msbs: dst=1 src0=0 src1=1 src2=0
	v_bfe_u32 v22 /*v278*/, v103, 4, 4
	v_mul_i32_i24_e32 v29 /*v285*/, v239, v15 /*v271*/
	s_set_vgpr_msb 0                        ;  msbs: dst=0 src0=0 src1=0 src2=0
	v_mul_i32_i24_e32 v239, v239, v217
	s_set_vgpr_msb 0x45                     ;  msbs: dst=1 src0=1 src1=1 src2=0
	v_mul_i32_i24_e32 v24 /*v280*/, v6 /*v262*/, v22 /*v278*/
	s_set_vgpr_msb 0x41                     ;  msbs: dst=1 src0=1 src1=0 src2=0
	v_mul_i32_i24_e32 v6 /*v262*/, v6 /*v262*/, v219
	s_set_vgpr_msb 0x55                     ;  msbs: dst=1 src0=1 src1=1 src2=1
	s_delay_alu instid0(VALU_DEP_2)
	v_add3_u32 v24 /*v280*/, v41 /*v297*/, v26 /*v282*/, v24 /*v280*/
	s_set_vgpr_msb 64                       ;  msbs: dst=1 src0=0 src1=0 src2=0
	v_mul_i32_i24_e32 v26 /*v282*/, v238, v96
	s_set_vgpr_msb 0x44                     ;  msbs: dst=1 src0=0 src1=1 src2=0
	v_mul_i32_i24_e32 v41 /*v297*/, v246, v23 /*v279*/
	s_set_vgpr_msb 0                        ;  msbs: dst=0 src0=0 src1=0 src2=0
	v_mul_i32_i24_e32 v246, v246, v217
	s_set_vgpr_msb 0x55                     ;  msbs: dst=1 src0=1 src1=1 src2=1
	v_add3_u32 v26 /*v282*/, v47 /*v303*/, v27 /*v283*/, v26 /*v282*/
	s_set_vgpr_msb 0x44                     ;  msbs: dst=1 src0=0 src1=1 src2=0
	v_mul_i32_i24_e32 v27 /*v283*/, v238, v9 /*v265*/
	s_set_vgpr_msb 0x55                     ;  msbs: dst=1 src0=1 src1=1 src2=1
	s_delay_alu instid0(VALU_DEP_1)
	v_add3_u32 v27 /*v283*/, v48 /*v304*/, v29 /*v285*/, v27 /*v283*/
	s_set_vgpr_msb 0x44                     ;  msbs: dst=1 src0=0 src1=1 src2=0
	v_mul_i32_i24_e32 v29 /*v285*/, v238, v22 /*v278*/
	s_set_vgpr_msb 0                        ;  msbs: dst=0 src0=0 src1=0 src2=0
	v_mul_i32_i24_e32 v238, v238, v219
	s_set_vgpr_msb 0x55                     ;  msbs: dst=1 src0=1 src1=1 src2=1
	s_delay_alu instid0(VALU_DEP_2) | instskip(SKIP_3) | instid1(VALU_DEP_1)
	v_add3_u32 v29 /*v285*/, v49 /*v305*/, v34 /*v290*/, v29 /*v285*/
	s_set_vgpr_msb 64                       ;  msbs: dst=1 src0=0 src1=0 src2=0
	v_mul_i32_i24_e32 v34 /*v290*/, v245, v96
	s_set_vgpr_msb 0x55                     ;  msbs: dst=1 src0=1 src1=1 src2=1
	v_add3_u32 v34 /*v290*/, v52 /*v308*/, v35 /*v291*/, v34 /*v290*/
	s_set_vgpr_msb 0x44                     ;  msbs: dst=1 src0=0 src1=1 src2=0
	v_mul_i32_i24_e32 v35 /*v291*/, v245, v9 /*v265*/
	s_set_vgpr_msb 0x55                     ;  msbs: dst=1 src0=1 src1=1 src2=1
	s_delay_alu instid0(VALU_DEP_1)
	v_add3_u32 v35 /*v291*/, v53 /*v309*/, v39 /*v295*/, v35 /*v291*/
	s_set_vgpr_msb 0x44                     ;  msbs: dst=1 src0=0 src1=1 src2=0
	v_mul_i32_i24_e32 v39 /*v295*/, v245, v22 /*v278*/
	s_set_vgpr_msb 0                        ;  msbs: dst=0 src0=0 src1=0 src2=0
	v_mul_i32_i24_e32 v245, v245, v219
	s_set_vgpr_msb 0x55                     ;  msbs: dst=1 src0=1 src1=1 src2=1
	s_delay_alu instid0(VALU_DEP_2) | instskip(SKIP_2) | instid1(VALU_DEP_1)
	v_add3_u32 v39 /*v295*/, v54 /*v310*/, v41 /*v297*/, v39 /*v295*/
	s_set_vgpr_msb 0x41                     ;  msbs: dst=1 src0=1 src1=0 src2=0
	v_ashrrev_i32_e32 v41 /*v297*/, 24, v126
	v_mul_i32_i24_e32 v42 /*v298*/, v41 /*v297*/, v236
	s_set_vgpr_msb 0x45                     ;  msbs: dst=1 src0=1 src1=1 src2=0
	v_mul_i32_i24_e32 v47 /*v303*/, v41 /*v297*/, v15 /*v271*/
	v_mul_i32_i24_e32 v48 /*v304*/, v41 /*v297*/, v23 /*v279*/
	s_delay_alu instid0(VALU_DEP_3) | instskip(SKIP_3) | instid1(VALU_DEP_1)
	v_add3_u32 v42 /*v298*/, v57 /*v313*/, v42 /*v298*/, v108
	s_set_vgpr_msb 4                        ;  msbs: dst=0 src0=0 src1=1 src2=0
	v_mul_i32_i24_e32 v108, v255, v9 /*v265*/
	s_set_vgpr_msb 0x45                     ;  msbs: dst=1 src0=1 src1=1 src2=0
	v_add3_u32 v47 /*v303*/, v58 /*v314*/, v47 /*v303*/, v108
	s_set_vgpr_msb 4                        ;  msbs: dst=0 src0=0 src1=1 src2=0
	v_mul_i32_i24_e32 v108, v255, v22 /*v278*/
	s_set_vgpr_msb 0                        ;  msbs: dst=0 src0=0 src1=0 src2=0
	v_mul_i32_i24_e32 v255, v255, v219
	s_set_vgpr_msb 0x45                     ;  msbs: dst=1 src0=1 src1=1 src2=0
	s_delay_alu instid0(VALU_DEP_2)
	v_add3_u32 v48 /*v304*/, v59 /*v315*/, v48 /*v304*/, v108
	s_set_vgpr_msb 4                        ;  msbs: dst=0 src0=0 src1=1 src2=0
	v_mul_i32_i24_e32 v108, v230, v4 /*v260*/
	s_set_vgpr_msb 0x44                     ;  msbs: dst=1 src0=0 src1=1 src2=0
	v_mul_i32_i24_e32 v4 /*v260*/, v227, v5 /*v261*/
	s_set_vgpr_msb 64                       ;  msbs: dst=1 src0=0 src1=0 src2=0
	v_ashrrev_i32_e32 v5 /*v261*/, 24, v132
	s_set_vgpr_msb 16                       ;  msbs: dst=0 src0=0 src1=0 src2=1
	s_delay_alu instid0(VALU_DEP_2)
	v_add3_u32 v250, v250, v108, v4 /*v260*/
	s_set_vgpr_msb 64                       ;  msbs: dst=1 src0=0 src1=0 src2=0
	v_bfe_i32 v4 /*v260*/, v132, 0, 8
	s_set_vgpr_msb 0x41                     ;  msbs: dst=1 src0=1 src1=0 src2=0
	v_mul_i32_i24_e32 v49 /*v305*/, v5 /*v261*/, v236
	s_set_vgpr_msb 1                        ;  msbs: dst=0 src0=1 src1=0 src2=0
	s_delay_alu instid0(VALU_DEP_2) | instskip(SKIP_1) | instid1(VALU_DEP_1)
	v_mul_i32_i24_e32 v108, v4 /*v260*/, v96
	s_set_vgpr_msb 0x45                     ;  msbs: dst=1 src0=1 src1=1 src2=0
	v_add3_u32 v12 /*v268*/, v12 /*v268*/, v49 /*v305*/, v108
	s_set_vgpr_msb 5                        ;  msbs: dst=0 src0=1 src1=1 src2=0
	v_mul_i32_i24_e32 v108, v4 /*v260*/, v9 /*v265*/
	s_set_vgpr_msb 0x45                     ;  msbs: dst=1 src0=1 src1=1 src2=0
	v_mul_i32_i24_e32 v49 /*v305*/, v5 /*v261*/, v15 /*v271*/
	s_delay_alu instid0(VALU_DEP_1)
	v_add3_u32 v13 /*v269*/, v13 /*v269*/, v49 /*v305*/, v108
	s_set_vgpr_msb 5                        ;  msbs: dst=0 src0=1 src1=1 src2=0
	v_mul_i32_i24_e32 v108, v4 /*v260*/, v22 /*v278*/
	s_set_vgpr_msb 0x45                     ;  msbs: dst=1 src0=1 src1=1 src2=0
	v_mul_i32_i24_e32 v49 /*v305*/, v5 /*v261*/, v23 /*v279*/
	s_set_vgpr_msb 0x41                     ;  msbs: dst=1 src0=1 src1=0 src2=0
	v_mul_i32_i24_e32 v4 /*v260*/, v4 /*v260*/, v219
	v_mul_i32_i24_e32 v5 /*v261*/, v5 /*v261*/, v217
	s_set_vgpr_msb 0x45                     ;  msbs: dst=1 src0=1 src1=1 src2=0
	v_add3_u32 v14 /*v270*/, v14 /*v270*/, v49 /*v305*/, v108
	s_set_vgpr_msb 4                        ;  msbs: dst=0 src0=0 src1=1 src2=0
	v_mul_i32_i24_e32 v108, v230, v10 /*v266*/
	s_set_vgpr_msb 0x44                     ;  msbs: dst=1 src0=0 src1=1 src2=0
	v_mul_i32_i24_e32 v10 /*v266*/, v227, v11 /*v267*/
	s_set_vgpr_msb 64                       ;  msbs: dst=1 src0=0 src1=0 src2=0
	v_ashrrev_i32_e32 v11 /*v267*/, 24, v130
	s_set_vgpr_msb 4                        ;  msbs: dst=0 src0=0 src1=1 src2=0
	v_mul_i32_i24_e32 v227, v227, v18 /*v274*/
	s_set_vgpr_msb 0x51                     ;  msbs: dst=1 src0=1 src1=0 src2=1
	v_add3_u32 v2 /*v258*/, v2 /*v258*/, v108, v10 /*v266*/
	s_set_vgpr_msb 64                       ;  msbs: dst=1 src0=0 src1=0 src2=0
	v_bfe_i32 v10 /*v266*/, v130, 0, 8
	s_set_vgpr_msb 0x41                     ;  msbs: dst=1 src0=1 src1=0 src2=0
	v_mul_i32_i24_e32 v49 /*v305*/, v11 /*v267*/, v236
	s_set_vgpr_msb 1                        ;  msbs: dst=0 src0=1 src1=0 src2=0
	s_delay_alu instid0(VALU_DEP_2) | instskip(SKIP_1) | instid1(VALU_DEP_1)
	v_mul_i32_i24_e32 v108, v10 /*v266*/, v96
	s_set_vgpr_msb 0x45                     ;  msbs: dst=1 src0=1 src1=1 src2=0
	v_add3_u32 v19 /*v275*/, v19 /*v275*/, v49 /*v305*/, v108
	s_set_vgpr_msb 5                        ;  msbs: dst=0 src0=1 src1=1 src2=0
	v_mul_i32_i24_e32 v108, v10 /*v266*/, v9 /*v265*/
	s_set_vgpr_msb 0x45                     ;  msbs: dst=1 src0=1 src1=1 src2=0
	v_mul_i32_i24_e32 v49 /*v305*/, v11 /*v267*/, v15 /*v271*/
	s_delay_alu instid0(VALU_DEP_1) | instskip(SKIP_4) | instid1(VALU_DEP_1)
	v_add3_u32 v20 /*v276*/, v20 /*v276*/, v49 /*v305*/, v108
	s_set_vgpr_msb 5                        ;  msbs: dst=0 src0=1 src1=1 src2=0
	v_mul_i32_i24_e32 v108, v10 /*v266*/, v22 /*v278*/
	s_set_vgpr_msb 0x45                     ;  msbs: dst=1 src0=1 src1=1 src2=0
	v_mul_i32_i24_e32 v49 /*v305*/, v11 /*v267*/, v23 /*v279*/
	v_add3_u32 v21 /*v277*/, v21 /*v277*/, v49 /*v305*/, v108
	s_set_vgpr_msb 4                        ;  msbs: dst=0 src0=0 src1=1 src2=0
	v_mul_i32_i24_e32 v108, v230, v17 /*v273*/
	s_wait_dscnt 0x2
	v_bfe_i32 v230, v134, 8, 8
	s_set_vgpr_msb 64                       ;  msbs: dst=1 src0=0 src1=0 src2=0
	v_bfe_u32 v17 /*v273*/, v101, 12, 4
	s_set_vgpr_msb 0                        ;  msbs: dst=0 src0=0 src1=0 src2=0
	v_bfe_u32 v101, v101, 20, 4
	v_add3_u32 v110, v110, v108, v227
	v_bfe_i32 v227, v134, 0, 8
	s_set_vgpr_msb 0x44                     ;  msbs: dst=1 src0=0 src1=1 src2=0
	v_mul_i32_i24_e32 v18 /*v274*/, v230, v17 /*v273*/
	s_set_vgpr_msb 0                        ;  msbs: dst=0 src0=0 src1=0 src2=0
	s_delay_alu instid0(VALU_DEP_2) | instskip(SKIP_2) | instid1(VALU_DEP_2)
	v_mul_i32_i24_e32 v108, v227, v96
	v_mul_i32_i24_e32 v96, v229, v96
	s_set_vgpr_msb 0x51                     ;  msbs: dst=1 src0=1 src1=0 src2=1
	v_add3_u32 v3 /*v259*/, v3 /*v259*/, v108, v18 /*v274*/
	s_set_vgpr_msb 4                        ;  msbs: dst=0 src0=0 src1=1 src2=0
	v_mul_i32_i24_e32 v108, v148, v28 /*v284*/
	s_set_vgpr_msb 0x44                     ;  msbs: dst=1 src0=0 src1=1 src2=0
	v_mul_i32_i24_e32 v18 /*v274*/, v233, v40 /*v296*/
	s_set_vgpr_msb 16                       ;  msbs: dst=0 src0=0 src1=0 src2=1
	s_delay_alu instid0(VALU_DEP_1)
	v_add3_u32 v242, v242, v108, v18 /*v274*/
	s_set_vgpr_msb 4                        ;  msbs: dst=0 src0=0 src1=1 src2=0
	v_mul_i32_i24_e32 v108, v148, v38 /*v294*/
	s_set_vgpr_msb 0x44                     ;  msbs: dst=1 src0=0 src1=1 src2=0
	v_mul_i32_i24_e32 v18 /*v274*/, v233, v43 /*v299*/
	s_set_vgpr_msb 16                       ;  msbs: dst=0 src0=0 src1=0 src2=1
	v_mul_i32_i24_e32 v148, v148, v222
	v_and_b32_e32 v222, 15, v86
	s_delay_alu instid0(VALU_DEP_3) | instskip(SKIP_2) | instid1(VALU_DEP_1)
	v_add3_u32 v102, v102, v108, v18 /*v274*/
	v_mul_i32_i24_e32 v108, v228, v236
	s_set_vgpr_msb 0                        ;  msbs: dst=0 src0=0 src1=0 src2=0
	v_add3_u32 v96, v243, v108, v96
	s_set_vgpr_msb 4                        ;  msbs: dst=0 src0=0 src1=1 src2=0
	v_mul_i32_i24_e32 v108, v229, v9 /*v265*/
	v_mul_i32_i24_e32 v243, v228, v15 /*v271*/
	;; [unrolled: 1-line block ×3, first 2 shown]
	s_set_vgpr_msb 0                        ;  msbs: dst=0 src0=0 src1=0 src2=0
	s_delay_alu instid0(VALU_DEP_2)
	v_add3_u32 v243, v244, v243, v108
	s_set_vgpr_msb 4                        ;  msbs: dst=0 src0=0 src1=1 src2=0
	v_mul_i32_i24_e32 v108, v229, v22 /*v278*/
	s_set_vgpr_msb 1                        ;  msbs: dst=0 src0=1 src1=0 src2=0
	v_mul_i32_i24_e32 v229, v66 /*v322*/, v235
	s_set_vgpr_msb 0                        ;  msbs: dst=0 src0=0 src1=0 src2=0
	s_delay_alu instid0(VALU_DEP_2) | instskip(SKIP_4) | instid1(VALU_DEP_2)
	v_add3_u32 v228, v231, v228, v108
	s_set_vgpr_msb 1                        ;  msbs: dst=0 src0=1 src1=0 src2=0
	v_mul_i32_i24_e32 v108, v64 /*v320*/, v223
	s_set_vgpr_msb 0                        ;  msbs: dst=0 src0=0 src1=0 src2=0
	v_bfe_i32 v231, v95, 8, 8
	v_add3_u32 v229, v232, v229, v108
	s_set_vgpr_msb 4                        ;  msbs: dst=0 src0=0 src1=1 src2=0
	v_and_b32_e32 v108, 0xf0f0f, v31 /*v287*/
	s_set_vgpr_msb 16                       ;  msbs: dst=0 src0=0 src1=0 src2=1
	s_delay_alu instid0(VALU_DEP_1) | instskip(NEXT) | instid1(VALU_DEP_1)
	v_lshrrev_b16 v108, 8, v108
	v_and_b32_e32 v108, 0xffff, v108
	s_delay_alu instid0(VALU_DEP_1) | instskip(NEXT) | instid1(VALU_DEP_1)
	v_mul_i32_i24_e32 v232, v231, v108
	v_add3_u32 v94, v94, v232, v30 /*v286*/
	v_bfe_i32 v232, v124, 8, 8
	v_bfe_i32 v124, v124, 16, 8
	s_set_vgpr_msb 5                        ;  msbs: dst=0 src0=1 src1=1 src2=0
	s_delay_alu instid0(VALU_DEP_3)
	v_add3_u32 v94, v33 /*v289*/, v32 /*v288*/, v94
	s_set_vgpr_msb 4                        ;  msbs: dst=0 src0=0 src1=1 src2=0
	v_mul_i32_i24_e32 v244, v232, v17 /*v273*/
	s_set_vgpr_msb 64                       ;  msbs: dst=1 src0=0 src1=0 src2=0
	v_mul_i32_i24_e32 v18 /*v274*/, v124, v101
	v_ashrrev_i32_e32 v32 /*v288*/, 24, v141
	s_set_vgpr_msb 17                       ;  msbs: dst=0 src0=1 src1=0 src2=1
	s_delay_alu instid0(VALU_DEP_2)
	v_add3_u32 v244, v8 /*v264*/, v244, v18 /*v274*/
	s_set_vgpr_msb 64                       ;  msbs: dst=1 src0=0 src1=0 src2=0
	v_bfe_u32 v8 /*v264*/, v105, 12, 4
	s_set_vgpr_msb 0                        ;  msbs: dst=0 src0=0 src1=0 src2=0
	v_bfe_u32 v105, v105, 20, 4
	s_set_vgpr_msb 0x44                     ;  msbs: dst=1 src0=0 src1=1 src2=0
	s_delay_alu instid0(VALU_DEP_2) | instskip(SKIP_1) | instid1(VALU_DEP_2)
	v_mul_i32_i24_e32 v18 /*v274*/, v232, v8 /*v264*/
	s_set_vgpr_msb 64                       ;  msbs: dst=1 src0=0 src1=0 src2=0
	v_mul_i32_i24_e32 v28 /*v284*/, v124, v105
	s_set_vgpr_msb 0x55                     ;  msbs: dst=1 src0=1 src1=1 src2=1
	s_delay_alu instid0(VALU_DEP_1)
	v_add3_u32 v16 /*v272*/, v16 /*v272*/, v18 /*v274*/, v28 /*v284*/
	s_set_vgpr_msb 64                       ;  msbs: dst=1 src0=0 src1=0 src2=0
	v_bfe_u32 v18 /*v274*/, v103, 12, 4
	s_set_vgpr_msb 0                        ;  msbs: dst=0 src0=0 src1=0 src2=0
	v_bfe_u32 v103, v103, 20, 4
	s_set_vgpr_msb 0x44                     ;  msbs: dst=1 src0=0 src1=1 src2=0
	s_delay_alu instid0(VALU_DEP_2) | instskip(SKIP_1) | instid1(VALU_DEP_2)
	v_mul_i32_i24_e32 v28 /*v284*/, v232, v18 /*v274*/
	s_set_vgpr_msb 64                       ;  msbs: dst=1 src0=0 src1=0 src2=0
	v_mul_i32_i24_e32 v30 /*v286*/, v124, v103
	s_set_vgpr_msb 0                        ;  msbs: dst=0 src0=0 src1=0 src2=0
	v_mul_i32_i24_e32 v124, v124, v214
	v_mul_i32_i24_e32 v232, v232, v237
	s_set_vgpr_msb 0x55                     ;  msbs: dst=1 src0=1 src1=1 src2=1
	v_add3_u32 v24 /*v280*/, v24 /*v280*/, v28 /*v284*/, v30 /*v286*/
	s_set_vgpr_msb 0x41                     ;  msbs: dst=1 src0=1 src1=0 src2=0
	v_mul_i32_i24_e32 v28 /*v284*/, v37 /*v293*/, v224
	v_mul_i32_i24_e32 v30 /*v286*/, v36 /*v292*/, v235
	;; [unrolled: 1-line block ×3, first 2 shown]
	s_set_vgpr_msb 20                       ;  msbs: dst=0 src0=0 src1=1 src2=1
	s_delay_alu instid0(VALU_DEP_2)
	v_add3_u32 v92, v92, v28 /*v284*/, v30 /*v286*/
	s_set_vgpr_msb 64                       ;  msbs: dst=1 src0=0 src1=0 src2=0
	v_bfe_i32 v28 /*v284*/, v122, 8, 8
	s_set_vgpr_msb 0                        ;  msbs: dst=0 src0=0 src1=0 src2=0
	v_bfe_i32 v122, v122, 16, 8
	s_set_vgpr_msb 0x45                     ;  msbs: dst=1 src0=1 src1=1 src2=0
	s_delay_alu instid0(VALU_DEP_2) | instskip(SKIP_1) | instid1(VALU_DEP_2)
	v_mul_i32_i24_e32 v30 /*v286*/, v28 /*v284*/, v17 /*v273*/
	s_set_vgpr_msb 64                       ;  msbs: dst=1 src0=0 src1=0 src2=0
	v_mul_i32_i24_e32 v31 /*v287*/, v122, v101
	s_set_vgpr_msb 0x55                     ;  msbs: dst=1 src0=1 src1=1 src2=1
	s_delay_alu instid0(VALU_DEP_1) | instskip(SKIP_4) | instid1(VALU_DEP_1)
	v_add3_u32 v26 /*v282*/, v26 /*v282*/, v30 /*v286*/, v31 /*v287*/
	v_mul_i32_i24_e32 v30 /*v286*/, v28 /*v284*/, v8 /*v264*/
	s_set_vgpr_msb 64                       ;  msbs: dst=1 src0=0 src1=0 src2=0
	v_mul_i32_i24_e32 v31 /*v287*/, v122, v105
	s_set_vgpr_msb 0x55                     ;  msbs: dst=1 src0=1 src1=1 src2=1
	v_add3_u32 v27 /*v283*/, v27 /*v283*/, v30 /*v286*/, v31 /*v287*/
	v_mul_i32_i24_e32 v30 /*v286*/, v28 /*v284*/, v18 /*v274*/
	s_set_vgpr_msb 64                       ;  msbs: dst=1 src0=0 src1=0 src2=0
	v_mul_i32_i24_e32 v31 /*v287*/, v122, v103
	s_set_vgpr_msb 0                        ;  msbs: dst=0 src0=0 src1=0 src2=0
	v_mul_i32_i24_e32 v122, v122, v214
	s_set_vgpr_msb 0x55                     ;  msbs: dst=1 src0=1 src1=1 src2=1
	s_delay_alu instid0(VALU_DEP_2) | instskip(SKIP_4) | instid1(VALU_DEP_1)
	v_add3_u32 v29 /*v285*/, v29 /*v285*/, v30 /*v286*/, v31 /*v287*/
	s_set_vgpr_msb 0x41                     ;  msbs: dst=1 src0=1 src1=0 src2=0
	v_mul_i32_i24_e32 v30 /*v286*/, v46 /*v302*/, v224
	v_mul_i32_i24_e32 v31 /*v287*/, v45 /*v301*/, v235
	s_set_vgpr_msb 20                       ;  msbs: dst=0 src0=0 src1=1 src2=1
	v_add3_u32 v240, v240, v30 /*v286*/, v31 /*v287*/
	s_set_vgpr_msb 64                       ;  msbs: dst=1 src0=0 src1=0 src2=0
	v_bfe_i32 v30 /*v286*/, v128, 8, 8
	s_set_vgpr_msb 0                        ;  msbs: dst=0 src0=0 src1=0 src2=0
	v_bfe_i32 v128, v128, 16, 8
	s_set_vgpr_msb 0x45                     ;  msbs: dst=1 src0=1 src1=1 src2=0
	s_delay_alu instid0(VALU_DEP_2) | instskip(SKIP_1) | instid1(VALU_DEP_2)
	v_mul_i32_i24_e32 v31 /*v287*/, v30 /*v286*/, v17 /*v273*/
	s_set_vgpr_msb 64                       ;  msbs: dst=1 src0=0 src1=0 src2=0
	v_mul_i32_i24_e32 v36 /*v292*/, v128, v101
	s_set_vgpr_msb 0x55                     ;  msbs: dst=1 src0=1 src1=1 src2=1
	s_delay_alu instid0(VALU_DEP_1) | instskip(SKIP_4) | instid1(VALU_DEP_1)
	v_add3_u32 v31 /*v287*/, v34 /*v290*/, v31 /*v287*/, v36 /*v292*/
	v_mul_i32_i24_e32 v34 /*v290*/, v30 /*v286*/, v8 /*v264*/
	s_set_vgpr_msb 64                       ;  msbs: dst=1 src0=0 src1=0 src2=0
	v_mul_i32_i24_e32 v36 /*v292*/, v128, v105
	s_set_vgpr_msb 0x55                     ;  msbs: dst=1 src0=1 src1=1 src2=1
	v_add3_u32 v34 /*v290*/, v35 /*v291*/, v34 /*v290*/, v36 /*v292*/
	v_mul_i32_i24_e32 v35 /*v291*/, v30 /*v286*/, v18 /*v274*/
	s_set_vgpr_msb 64                       ;  msbs: dst=1 src0=0 src1=0 src2=0
	v_mul_i32_i24_e32 v36 /*v292*/, v128, v103
	s_set_vgpr_msb 0                        ;  msbs: dst=0 src0=0 src1=0 src2=0
	v_mul_i32_i24_e32 v128, v128, v214
	s_set_vgpr_msb 0x55                     ;  msbs: dst=1 src0=1 src1=1 src2=1
	s_delay_alu instid0(VALU_DEP_2) | instskip(SKIP_3) | instid1(VALU_DEP_1)
	v_add3_u32 v35 /*v291*/, v39 /*v295*/, v35 /*v291*/, v36 /*v292*/
	s_set_vgpr_msb 0x41                     ;  msbs: dst=1 src0=1 src1=0 src2=0
	v_mul_i32_i24_e32 v36 /*v292*/, v51 /*v307*/, v224
	s_set_vgpr_msb 20                       ;  msbs: dst=0 src0=0 src1=1 src2=1
	v_add3_u32 v249, v249, v36 /*v292*/, v37 /*v293*/
	s_set_vgpr_msb 64                       ;  msbs: dst=1 src0=0 src1=0 src2=0
	v_bfe_i32 v36 /*v292*/, v126, 8, 8
	s_set_vgpr_msb 0                        ;  msbs: dst=0 src0=0 src1=0 src2=0
	v_bfe_i32 v126, v126, 16, 8
	s_set_vgpr_msb 0x45                     ;  msbs: dst=1 src0=1 src1=1 src2=0
	s_delay_alu instid0(VALU_DEP_2) | instskip(SKIP_1) | instid1(VALU_DEP_2)
	v_mul_i32_i24_e32 v37 /*v293*/, v36 /*v292*/, v17 /*v273*/
	s_set_vgpr_msb 64                       ;  msbs: dst=1 src0=0 src1=0 src2=0
	v_mul_i32_i24_e32 v38 /*v294*/, v126, v101
	v_mul_i32_i24_e32 v39 /*v295*/, v126, v105
	;; [unrolled: 1-line block ×3, first 2 shown]
	s_set_vgpr_msb 0                        ;  msbs: dst=0 src0=0 src1=0 src2=0
	v_mul_i32_i24_e32 v126, v126, v214
	s_set_vgpr_msb 0x55                     ;  msbs: dst=1 src0=1 src1=1 src2=1
	v_add3_u32 v37 /*v293*/, v42 /*v298*/, v37 /*v293*/, v38 /*v294*/
	v_mul_i32_i24_e32 v38 /*v294*/, v36 /*v292*/, v8 /*v264*/
	s_set_vgpr_msb 0x41                     ;  msbs: dst=1 src0=1 src1=0 src2=0
	v_mul_i32_i24_e32 v42 /*v298*/, v55 /*v311*/, v235
	s_set_vgpr_msb 0x55                     ;  msbs: dst=1 src0=1 src1=1 src2=1
	s_delay_alu instid0(VALU_DEP_2) | instskip(SKIP_1) | instid1(VALU_DEP_1)
	v_add3_u32 v38 /*v294*/, v47 /*v303*/, v38 /*v294*/, v39 /*v295*/
	v_mul_i32_i24_e32 v39 /*v295*/, v36 /*v292*/, v18 /*v274*/
	v_add3_u32 v39 /*v295*/, v48 /*v304*/, v39 /*v295*/, v40 /*v296*/
	s_set_vgpr_msb 0x41                     ;  msbs: dst=1 src0=1 src1=0 src2=0
	v_mul_i32_i24_e32 v40 /*v296*/, v56 /*v312*/, v224
	s_set_vgpr_msb 20                       ;  msbs: dst=0 src0=0 src1=1 src2=1
	s_delay_alu instid0(VALU_DEP_1)
	v_add3_u32 v250, v250, v40 /*v296*/, v42 /*v298*/
	s_set_vgpr_msb 64                       ;  msbs: dst=1 src0=0 src1=0 src2=0
	v_bfe_i32 v40 /*v296*/, v132, 8, 8
	s_set_vgpr_msb 0                        ;  msbs: dst=0 src0=0 src1=0 src2=0
	v_bfe_i32 v132, v132, 16, 8
	s_set_vgpr_msb 0x45                     ;  msbs: dst=1 src0=1 src1=1 src2=0
	s_delay_alu instid0(VALU_DEP_2) | instskip(SKIP_1) | instid1(VALU_DEP_2)
	v_mul_i32_i24_e32 v42 /*v298*/, v40 /*v296*/, v17 /*v273*/
	s_set_vgpr_msb 64                       ;  msbs: dst=1 src0=0 src1=0 src2=0
	v_mul_i32_i24_e32 v43 /*v299*/, v132, v101
	s_set_vgpr_msb 0x55                     ;  msbs: dst=1 src0=1 src1=1 src2=1
	s_delay_alu instid0(VALU_DEP_1) | instskip(SKIP_4) | instid1(VALU_DEP_1)
	v_add3_u32 v12 /*v268*/, v12 /*v268*/, v42 /*v298*/, v43 /*v299*/
	v_mul_i32_i24_e32 v42 /*v298*/, v40 /*v296*/, v8 /*v264*/
	s_set_vgpr_msb 64                       ;  msbs: dst=1 src0=0 src1=0 src2=0
	v_mul_i32_i24_e32 v43 /*v299*/, v132, v105
	s_set_vgpr_msb 0x55                     ;  msbs: dst=1 src0=1 src1=1 src2=1
	v_add3_u32 v13 /*v269*/, v13 /*v269*/, v42 /*v298*/, v43 /*v299*/
	v_mul_i32_i24_e32 v42 /*v298*/, v40 /*v296*/, v18 /*v274*/
	s_set_vgpr_msb 64                       ;  msbs: dst=1 src0=0 src1=0 src2=0
	v_mul_i32_i24_e32 v43 /*v299*/, v132, v103
	s_set_vgpr_msb 0                        ;  msbs: dst=0 src0=0 src1=0 src2=0
	v_mul_i32_i24_e32 v132, v132, v214
	s_set_vgpr_msb 0x55                     ;  msbs: dst=1 src0=1 src1=1 src2=1
	s_delay_alu instid0(VALU_DEP_2)
	v_add3_u32 v14 /*v270*/, v14 /*v270*/, v42 /*v298*/, v43 /*v299*/
	s_set_vgpr_msb 0x41                     ;  msbs: dst=1 src0=1 src1=0 src2=0
	v_mul_i32_i24_e32 v42 /*v298*/, v61 /*v317*/, v224
	v_mul_i32_i24_e32 v43 /*v299*/, v60 /*v316*/, v235
	s_set_vgpr_msb 1                        ;  msbs: dst=0 src0=1 src1=0 src2=0
	v_mul_i32_i24_e32 v235, v62 /*v318*/, v235
	s_set_vgpr_msb 0x55                     ;  msbs: dst=1 src0=1 src1=1 src2=1
	s_delay_alu instid0(VALU_DEP_2)
	v_add3_u32 v2 /*v258*/, v2 /*v258*/, v42 /*v298*/, v43 /*v299*/
	s_set_vgpr_msb 64                       ;  msbs: dst=1 src0=0 src1=0 src2=0
	v_bfe_i32 v42 /*v298*/, v130, 8, 8
	s_set_vgpr_msb 0                        ;  msbs: dst=0 src0=0 src1=0 src2=0
	v_bfe_i32 v130, v130, 16, 8
	s_set_vgpr_msb 0x45                     ;  msbs: dst=1 src0=1 src1=1 src2=0
	s_delay_alu instid0(VALU_DEP_2) | instskip(SKIP_1) | instid1(VALU_DEP_2)
	v_mul_i32_i24_e32 v43 /*v299*/, v42 /*v298*/, v17 /*v273*/
	s_set_vgpr_msb 64                       ;  msbs: dst=1 src0=0 src1=0 src2=0
	v_mul_i32_i24_e32 v45 /*v301*/, v130, v101
	s_set_vgpr_msb 0x55                     ;  msbs: dst=1 src0=1 src1=1 src2=1
	s_delay_alu instid0(VALU_DEP_1) | instskip(SKIP_4) | instid1(VALU_DEP_1)
	v_add3_u32 v19 /*v275*/, v19 /*v275*/, v43 /*v299*/, v45 /*v301*/
	v_mul_i32_i24_e32 v43 /*v299*/, v42 /*v298*/, v8 /*v264*/
	s_set_vgpr_msb 64                       ;  msbs: dst=1 src0=0 src1=0 src2=0
	v_mul_i32_i24_e32 v45 /*v301*/, v130, v105
	s_set_vgpr_msb 0x55                     ;  msbs: dst=1 src0=1 src1=1 src2=1
	v_add3_u32 v20 /*v276*/, v20 /*v276*/, v43 /*v299*/, v45 /*v301*/
	v_mul_i32_i24_e32 v43 /*v299*/, v42 /*v298*/, v18 /*v274*/
	s_set_vgpr_msb 64                       ;  msbs: dst=1 src0=0 src1=0 src2=0
	v_mul_i32_i24_e32 v45 /*v301*/, v130, v103
	s_set_vgpr_msb 0                        ;  msbs: dst=0 src0=0 src1=0 src2=0
	v_mul_i32_i24_e32 v130, v130, v214
	s_set_vgpr_msb 0x55                     ;  msbs: dst=1 src0=1 src1=1 src2=1
	s_delay_alu instid0(VALU_DEP_2)
	v_add3_u32 v21 /*v277*/, v21 /*v277*/, v43 /*v299*/, v45 /*v301*/
	s_set_vgpr_msb 0x41                     ;  msbs: dst=1 src0=1 src1=0 src2=0
	v_mul_i32_i24_e32 v43 /*v299*/, v63 /*v319*/, v224
	s_set_vgpr_msb 0                        ;  msbs: dst=0 src0=0 src1=0 src2=0
	v_mul_i32_i24_e32 v224, v233, v224
	s_set_vgpr_msb 4                        ;  msbs: dst=0 src0=0 src1=1 src2=0
	s_delay_alu instid0(VALU_DEP_2)
	v_add3_u32 v110, v110, v43 /*v299*/, v235
	s_set_vgpr_msb 0                        ;  msbs: dst=0 src0=0 src1=0 src2=0
	v_ashrrev_i32_e32 v235, 24, v134
	v_bfe_i32 v134, v134, 16, 8
	v_add3_u32 v148, v229, v148, v224
	v_ashrrev_i32_e32 v229, 24, v139
	v_bfe_u32 v224, v86, 8, 4
	v_mul_i32_i24_e32 v236, v235, v236
	s_set_vgpr_msb 64                       ;  msbs: dst=1 src0=0 src1=0 src2=0
	v_mul_i32_i24_e32 v43 /*v299*/, v134, v101
	s_set_vgpr_msb 0                        ;  msbs: dst=0 src0=0 src1=0 src2=0
	v_mul_i32_i24_e32 v101, v225, v101
	s_set_vgpr_msb 5                        ;  msbs: dst=0 src0=1 src1=1 src2=0
	s_delay_alu instid0(VALU_DEP_2) | instskip(SKIP_4) | instid1(VALU_DEP_1)
	v_add3_u32 v236, v3 /*v259*/, v43 /*v299*/, v236
	s_set_vgpr_msb 0x44                     ;  msbs: dst=1 src0=0 src1=1 src2=0
	v_mul_i32_i24_e32 v3 /*v259*/, v227, v9 /*v265*/
	v_mul_i32_i24_e32 v9 /*v265*/, v230, v8 /*v264*/
	s_set_vgpr_msb 20                       ;  msbs: dst=0 src0=0 src1=1 src2=1
	v_add3_u32 v242, v242, v3 /*v259*/, v9 /*v265*/
	s_set_vgpr_msb 0x44                     ;  msbs: dst=1 src0=0 src1=1 src2=0
	v_mul_i32_i24_e32 v3 /*v259*/, v227, v22 /*v278*/
	v_mul_i32_i24_e32 v9 /*v265*/, v230, v18 /*v274*/
	s_set_vgpr_msb 20                       ;  msbs: dst=0 src0=0 src1=1 src2=1
	s_delay_alu instid0(VALU_DEP_1) | instskip(SKIP_4) | instid1(VALU_DEP_2)
	v_add3_u32 v102, v102, v3 /*v259*/, v9 /*v265*/
	s_set_vgpr_msb 0x44                     ;  msbs: dst=1 src0=0 src1=1 src2=0
	v_mul_i32_i24_e32 v3 /*v259*/, v106, v17 /*v273*/
	v_bfe_u32 v9 /*v265*/, v88, 24, 4
	s_set_vgpr_msb 4                        ;  msbs: dst=0 src0=0 src1=1 src2=0
	v_add3_u32 v96, v96, v3 /*v259*/, v101
	v_mul_i32_i24_e32 v101, v106, v8 /*v264*/
	s_set_vgpr_msb 64                       ;  msbs: dst=1 src0=0 src1=0 src2=0
	v_mul_i32_i24_e32 v3 /*v259*/, v225, v105
	s_set_vgpr_msb 4                        ;  msbs: dst=0 src0=0 src1=1 src2=0
	v_mul_i32_i24_e32 v106, v106, v18 /*v274*/
	s_set_vgpr_msb 0                        ;  msbs: dst=0 src0=0 src1=0 src2=0
	v_mul_i32_i24_e32 v225, v225, v103
	s_set_vgpr_msb 0x44                     ;  msbs: dst=1 src0=0 src1=1 src2=0
	v_mul_i32_i24_e32 v17 /*v273*/, v229, v9 /*v265*/
	s_set_vgpr_msb 64                       ;  msbs: dst=1 src0=0 src1=0 src2=0
	v_ashrrev_i32_e32 v18 /*v274*/, 24, v137
	s_set_vgpr_msb 16                       ;  msbs: dst=0 src0=0 src1=0 src2=1
	v_add3_u32 v101, v243, v101, v3 /*v259*/
	s_set_vgpr_msb 0                        ;  msbs: dst=0 src0=0 src1=0 src2=0
	v_add3_u32 v106, v228, v106, v225
	v_bfe_u32 v225, v86, 24, 4
	v_bfe_i32 v228, v139, 8, 8
	s_delay_alu instid0(VALU_DEP_2) | instskip(NEXT) | instid1(VALU_DEP_2)
	v_mul_i32_i24_e32 v243, v229, v225
	v_mul_i32_i24_e32 v233, v228, v224
	s_set_vgpr_msb 0x41                     ;  msbs: dst=1 src0=1 src1=0 src2=0
	v_mul_i32_i24_e32 v22 /*v278*/, v18 /*v274*/, v225
	v_mul_i32_i24_e32 v33 /*v289*/, v32 /*v288*/, v225
	s_set_vgpr_msb 0                        ;  msbs: dst=0 src0=0 src1=0 src2=0
	v_add3_u32 v233, v244, v243, v233
	v_bfe_u32 v243, v90, 8, 4
	v_bfe_u32 v244, v90, 24, 4
	s_set_vgpr_msb 64                       ;  msbs: dst=1 src0=0 src1=0 src2=0
	s_delay_alu instid0(VALU_DEP_2) | instskip(NEXT) | instid1(VALU_DEP_2)
	v_mul_i32_i24_e32 v3 /*v259*/, v228, v243
	v_mul_i32_i24_e32 v8 /*v264*/, v229, v244
	s_set_vgpr_msb 0x55                     ;  msbs: dst=1 src0=1 src1=1 src2=1
	s_delay_alu instid0(VALU_DEP_1) | instskip(SKIP_2) | instid1(VALU_DEP_1)
	v_add3_u32 v3 /*v259*/, v16 /*v272*/, v8 /*v264*/, v3 /*v259*/
	s_set_vgpr_msb 0x44                     ;  msbs: dst=1 src0=0 src1=1 src2=0
	v_bfe_u32 v8 /*v264*/, v88, 8, 4
	v_mul_i32_i24_e32 v16 /*v272*/, v228, v8 /*v264*/
	s_set_vgpr_msb 0x55                     ;  msbs: dst=1 src0=1 src1=1 src2=1
	s_delay_alu instid0(VALU_DEP_1)
	v_add3_u32 v16 /*v272*/, v24 /*v280*/, v17 /*v273*/, v16 /*v272*/
	s_set_vgpr_msb 0x41                     ;  msbs: dst=1 src0=1 src1=0 src2=0
	v_mul_i32_i24_e32 v17 /*v273*/, v25 /*v281*/, v223
	v_mul_i32_i24_e32 v24 /*v280*/, v18 /*v274*/, v244
	s_set_vgpr_msb 0x45                     ;  msbs: dst=1 src0=1 src1=1 src2=0
	v_mul_i32_i24_e32 v25 /*v281*/, v18 /*v274*/, v9 /*v265*/
	s_set_vgpr_msb 4                        ;  msbs: dst=0 src0=0 src1=1 src2=0
	v_add3_u32 v138, v92, v17 /*v273*/, v138
	s_set_vgpr_msb 64                       ;  msbs: dst=1 src0=0 src1=0 src2=0
	v_bfe_i32 v17 /*v273*/, v137, 8, 8
	s_set_vgpr_msb 20                       ;  msbs: dst=0 src0=0 src1=1 src2=1
	s_delay_alu instid0(VALU_DEP_2) | instskip(SKIP_1) | instid1(VALU_DEP_2)
	v_add3_u32 v138, v138, v7 /*v263*/, v6 /*v262*/
	s_set_vgpr_msb 1                        ;  msbs: dst=0 src0=1 src1=0 src2=0
	v_mul_i32_i24_e32 v92, v17 /*v273*/, v224
	s_set_vgpr_msb 64                       ;  msbs: dst=1 src0=0 src1=0 src2=0
	v_bfe_i32 v6 /*v262*/, v137, 0, 8
	s_set_vgpr_msb 0                        ;  msbs: dst=0 src0=0 src1=0 src2=0
	v_bfe_i32 v137, v137, 16, 8
	v_add3_u32 v124, v138, v232, v124
	s_set_vgpr_msb 0x45                     ;  msbs: dst=1 src0=1 src1=1 src2=0
	v_add3_u32 v22 /*v278*/, v26 /*v282*/, v22 /*v278*/, v92
	s_set_vgpr_msb 1                        ;  msbs: dst=0 src0=1 src1=0 src2=0
	v_mul_i32_i24_e32 v92, v17 /*v273*/, v243
	s_set_vgpr_msb 64                       ;  msbs: dst=1 src0=0 src1=0 src2=0
	v_ashrrev_i32_e32 v26 /*v282*/, 24, v143
	s_set_vgpr_msb 0                        ;  msbs: dst=0 src0=0 src1=0 src2=0
	v_bfe_i32 v138, v123, 0, 8
	v_ashrrev_i32_e32 v232, 24, v123
	s_set_vgpr_msb 0x45                     ;  msbs: dst=1 src0=1 src1=1 src2=0
	v_add3_u32 v24 /*v280*/, v27 /*v283*/, v24 /*v280*/, v92
	s_set_vgpr_msb 5                        ;  msbs: dst=0 src0=1 src1=1 src2=0
	v_mul_i32_i24_e32 v92, v17 /*v273*/, v8 /*v264*/
	s_set_vgpr_msb 0x41                     ;  msbs: dst=1 src0=1 src1=0 src2=0
	v_mul_i32_i24_e32 v27 /*v283*/, v26 /*v282*/, v225
	s_set_vgpr_msb 0x45                     ;  msbs: dst=1 src0=1 src1=1 src2=0
	s_delay_alu instid0(VALU_DEP_2)
	v_add3_u32 v25 /*v281*/, v29 /*v285*/, v25 /*v281*/, v92
	s_set_vgpr_msb 1                        ;  msbs: dst=0 src0=1 src1=0 src2=0
	v_mul_i32_i24_e32 v92, v44 /*v300*/, v223
	s_set_vgpr_msb 0x41                     ;  msbs: dst=1 src0=1 src1=0 src2=0
	v_mul_i32_i24_e32 v29 /*v285*/, v26 /*v282*/, v244
	s_set_vgpr_msb 0                        ;  msbs: dst=0 src0=0 src1=0 src2=0
	s_delay_alu instid0(VALU_DEP_2) | instskip(SKIP_1) | instid1(VALU_DEP_2)
	v_add3_u32 v136, v240, v92, v136
	v_bfe_i32 v240, v143, 8, 8
	v_add3_u32 v136, v136, v239, v238
	s_delay_alu instid0(VALU_DEP_2) | instskip(SKIP_3) | instid1(VALU_DEP_3)
	v_mul_i32_i24_e32 v92, v240, v224
	v_bfe_i32 v238, v143, 0, 8
	v_bfe_i32 v143, v143, 16, 8
	s_set_vgpr_msb 0x45                     ;  msbs: dst=1 src0=1 src1=1 src2=0
	v_add3_u32 v27 /*v283*/, v31 /*v287*/, v27 /*v283*/, v92
	s_set_vgpr_msb 0                        ;  msbs: dst=0 src0=0 src1=0 src2=0
	v_mul_i32_i24_e32 v92, v240, v243
	s_set_vgpr_msb 0x45                     ;  msbs: dst=1 src0=1 src1=1 src2=0
	v_mul_i32_i24_e32 v31 /*v287*/, v26 /*v282*/, v9 /*v265*/
	s_delay_alu instid0(VALU_DEP_2)
	v_add3_u32 v29 /*v285*/, v34 /*v290*/, v29 /*v285*/, v92
	s_set_vgpr_msb 4                        ;  msbs: dst=0 src0=0 src1=1 src2=0
	v_mul_i32_i24_e32 v92, v240, v8 /*v264*/
	s_set_vgpr_msb 0x41                     ;  msbs: dst=1 src0=1 src1=0 src2=0
	v_mul_i32_i24_e32 v34 /*v290*/, v32 /*v288*/, v244
	s_set_vgpr_msb 0                        ;  msbs: dst=0 src0=0 src1=0 src2=0
	v_mul_i32_i24_e32 v240, v240, v112
	s_set_vgpr_msb 0x45                     ;  msbs: dst=1 src0=1 src1=1 src2=0
	v_add3_u32 v31 /*v287*/, v35 /*v291*/, v31 /*v287*/, v92
	s_set_vgpr_msb 1                        ;  msbs: dst=0 src0=1 src1=0 src2=0
	v_mul_i32_i24_e32 v92, v67 /*v323*/, v223
	s_set_vgpr_msb 0x45                     ;  msbs: dst=1 src0=1 src1=1 src2=0
	v_mul_i32_i24_e32 v35 /*v291*/, v32 /*v288*/, v9 /*v265*/
	s_set_vgpr_msb 0                        ;  msbs: dst=0 src0=0 src1=0 src2=0
	s_delay_alu instid0(VALU_DEP_2) | instskip(SKIP_1) | instid1(VALU_DEP_2)
	v_add3_u32 v142, v249, v92, v142
	v_bfe_i32 v249, v141, 8, 8
	v_add3_u32 v142, v142, v246, v245
	s_delay_alu instid0(VALU_DEP_2) | instskip(SKIP_3) | instid1(VALU_DEP_3)
	v_mul_i32_i24_e32 v92, v249, v224
	v_bfe_i32 v245, v141, 0, 8
	v_bfe_i32 v141, v141, 16, 8
	s_set_vgpr_msb 0x45                     ;  msbs: dst=1 src0=1 src1=1 src2=0
	v_add3_u32 v33 /*v289*/, v37 /*v293*/, v33 /*v289*/, v92
	s_set_vgpr_msb 0                        ;  msbs: dst=0 src0=0 src1=0 src2=0
	v_mul_i32_i24_e32 v92, v249, v243
	s_set_vgpr_msb 64                       ;  msbs: dst=1 src0=0 src1=0 src2=0
	v_ashrrev_i32_e32 v37 /*v293*/, 24, v147
	s_set_vgpr_msb 0x45                     ;  msbs: dst=1 src0=1 src1=1 src2=0
	s_delay_alu instid0(VALU_DEP_2)
	v_add3_u32 v34 /*v290*/, v38 /*v294*/, v34 /*v290*/, v92
	s_set_vgpr_msb 4                        ;  msbs: dst=0 src0=0 src1=1 src2=0
	v_mul_i32_i24_e32 v92, v249, v8 /*v264*/
	s_set_vgpr_msb 0x41                     ;  msbs: dst=1 src0=1 src1=0 src2=0
	v_mul_i32_i24_e32 v38 /*v294*/, v37 /*v293*/, v225
	s_set_vgpr_msb 0                        ;  msbs: dst=0 src0=0 src1=0 src2=0
	v_mul_i32_i24_e32 v249, v249, v112
	s_set_vgpr_msb 0x45                     ;  msbs: dst=1 src0=1 src1=1 src2=0
	v_add3_u32 v35 /*v291*/, v39 /*v295*/, v35 /*v291*/, v92
	s_set_vgpr_msb 1                        ;  msbs: dst=0 src0=1 src1=0 src2=0
	v_mul_i32_i24_e32 v92, v68 /*v324*/, v223
	s_set_vgpr_msb 0                        ;  msbs: dst=0 src0=0 src1=0 src2=0
	s_delay_alu instid0(VALU_DEP_1) | instskip(SKIP_1) | instid1(VALU_DEP_1)
	v_add3_u32 v140, v250, v92, v140
	v_bfe_i32 v250, v147, 8, 8
	v_mul_i32_i24_e32 v92, v250, v224
	s_set_vgpr_msb 0x45                     ;  msbs: dst=1 src0=1 src1=1 src2=0
	s_delay_alu instid0(VALU_DEP_1)
	v_add3_u32 v12 /*v268*/, v12 /*v268*/, v38 /*v294*/, v92
	s_set_vgpr_msb 0                        ;  msbs: dst=0 src0=0 src1=0 src2=0
	v_mul_i32_i24_e32 v92, v250, v243
	s_set_vgpr_msb 0x41                     ;  msbs: dst=1 src0=1 src1=0 src2=0
	v_mul_i32_i24_e32 v38 /*v294*/, v37 /*v293*/, v244
	s_set_vgpr_msb 0x45                     ;  msbs: dst=1 src0=1 src1=1 src2=0
	s_delay_alu instid0(VALU_DEP_1)
	v_add3_u32 v13 /*v269*/, v13 /*v269*/, v38 /*v294*/, v92
	s_set_vgpr_msb 4                        ;  msbs: dst=0 src0=0 src1=1 src2=0
	v_mul_i32_i24_e32 v92, v250, v8 /*v264*/
	s_set_vgpr_msb 0x45                     ;  msbs: dst=1 src0=1 src1=1 src2=0
	v_mul_i32_i24_e32 v38 /*v294*/, v37 /*v293*/, v9 /*v265*/
	s_set_vgpr_msb 0                        ;  msbs: dst=0 src0=0 src1=0 src2=0
	v_mul_i32_i24_e32 v250, v250, v112
	s_set_vgpr_msb 0x45                     ;  msbs: dst=1 src0=1 src1=1 src2=0
	s_delay_alu instid0(VALU_DEP_2)
	v_add3_u32 v14 /*v270*/, v14 /*v270*/, v38 /*v294*/, v92
	s_set_vgpr_msb 1                        ;  msbs: dst=0 src0=1 src1=0 src2=0
	v_mul_i32_i24_e32 v92, v69 /*v325*/, v223
	s_set_vgpr_msb 64                       ;  msbs: dst=1 src0=0 src1=0 src2=0
	v_ashrrev_i32_e32 v38 /*v294*/, 24, v145
	s_set_vgpr_msb 1                        ;  msbs: dst=0 src0=1 src1=0 src2=0
	s_delay_alu instid0(VALU_DEP_2)
	v_add3_u32 v146, v2 /*v258*/, v92, v146
	s_set_vgpr_msb 64                       ;  msbs: dst=1 src0=0 src1=0 src2=0
	v_bfe_i32 v2 /*v258*/, v145, 8, 8
	s_set_vgpr_msb 0x41                     ;  msbs: dst=1 src0=1 src1=0 src2=0
	v_mul_i32_i24_e32 v39 /*v295*/, v38 /*v294*/, v225
	s_set_vgpr_msb 20                       ;  msbs: dst=0 src0=0 src1=1 src2=1
	v_add3_u32 v146, v146, v5 /*v261*/, v4 /*v260*/
	s_set_vgpr_msb 1                        ;  msbs: dst=0 src0=1 src1=0 src2=0
	v_mul_i32_i24_e32 v92, v2 /*v258*/, v224
	s_set_vgpr_msb 64                       ;  msbs: dst=1 src0=0 src1=0 src2=0
	v_bfe_i32 v4 /*v260*/, v145, 0, 8
	s_set_vgpr_msb 0                        ;  msbs: dst=0 src0=0 src1=0 src2=0
	v_bfe_i32 v145, v145, 16, 8
	s_set_vgpr_msb 0x45                     ;  msbs: dst=1 src0=1 src1=1 src2=0
	v_add3_u32 v19 /*v275*/, v19 /*v275*/, v39 /*v295*/, v92
	s_set_vgpr_msb 1                        ;  msbs: dst=0 src0=1 src1=0 src2=0
	v_mul_i32_i24_e32 v92, v2 /*v258*/, v243
	s_set_vgpr_msb 0x41                     ;  msbs: dst=1 src0=1 src1=0 src2=0
	v_mul_i32_i24_e32 v39 /*v295*/, v38 /*v294*/, v244
	s_set_vgpr_msb 0x45                     ;  msbs: dst=1 src0=1 src1=1 src2=0
	s_delay_alu instid0(VALU_DEP_1) | instskip(SKIP_4) | instid1(VALU_DEP_1)
	v_add3_u32 v20 /*v276*/, v20 /*v276*/, v39 /*v295*/, v92
	s_set_vgpr_msb 5                        ;  msbs: dst=0 src0=1 src1=1 src2=0
	v_mul_i32_i24_e32 v92, v2 /*v258*/, v8 /*v264*/
	s_set_vgpr_msb 0x45                     ;  msbs: dst=1 src0=1 src1=1 src2=0
	v_mul_i32_i24_e32 v39 /*v295*/, v38 /*v294*/, v9 /*v265*/
	v_add3_u32 v21 /*v277*/, v21 /*v277*/, v39 /*v295*/, v92
	s_set_vgpr_msb 1                        ;  msbs: dst=0 src0=1 src1=0 src2=0
	v_mul_i32_i24_e32 v92, v70 /*v326*/, v223
	s_set_vgpr_msb 0                        ;  msbs: dst=0 src0=0 src1=0 src2=0
	v_bfe_i32 v223, v149, 8, 8
	s_delay_alu instid0(VALU_DEP_2) | instskip(SKIP_2) | instid1(VALU_DEP_3)
	v_add3_u32 v110, v110, v92, v144
	v_bfe_i32 v144, v149, 0, 8
	s_set_vgpr_msb 64                       ;  msbs: dst=1 src0=0 src1=0 src2=0
	v_mul_i32_i24_e32 v39 /*v295*/, v223, v224
	s_set_vgpr_msb 0                        ;  msbs: dst=0 src0=0 src1=0 src2=0
	s_delay_alu instid0(VALU_DEP_2) | instskip(SKIP_1) | instid1(VALU_DEP_1)
	v_mul_i32_i24_e32 v92, v144, v222
	s_set_vgpr_msb 4                        ;  msbs: dst=0 src0=0 src1=1 src2=0
	v_add3_u32 v236, v236, v39 /*v295*/, v92
	s_set_vgpr_msb 0                        ;  msbs: dst=0 src0=0 src1=0 src2=0
	v_mul_i32_i24_e32 v92, v134, v105
	s_set_vgpr_msb 4                        ;  msbs: dst=0 src0=0 src1=1 src2=0
	v_mul_i32_i24_e32 v105, v235, v15 /*v271*/
	s_set_vgpr_msb 0                        ;  msbs: dst=0 src0=0 src1=0 src2=0
	s_delay_alu instid0(VALU_DEP_1)
	v_add3_u32 v105, v242, v92, v105
	v_mul_i32_i24_e32 v92, v134, v103
	s_set_vgpr_msb 4                        ;  msbs: dst=0 src0=0 src1=1 src2=0
	v_mul_i32_i24_e32 v103, v235, v23 /*v279*/
	v_bfe_u32 v242, v88, 16, 4
	s_set_vgpr_msb 0                        ;  msbs: dst=0 src0=0 src1=0 src2=0
	s_delay_alu instid0(VALU_DEP_2) | instskip(SKIP_2) | instid1(VALU_DEP_1)
	v_add3_u32 v102, v102, v92, v103
	v_mul_i32_i24_e32 v92, v113, v224
	v_mul_i32_i24_e32 v103, v221, v225
	v_add3_u32 v96, v96, v103, v92
	v_mul_i32_i24_e32 v92, v113, v243
	v_mul_i32_i24_e32 v103, v221, v244
	s_delay_alu instid0(VALU_DEP_1)
	v_add3_u32 v101, v101, v103, v92
	s_set_vgpr_msb 4                        ;  msbs: dst=0 src0=0 src1=1 src2=0
	v_mul_i32_i24_e32 v92, v113, v8 /*v264*/
	v_mul_i32_i24_e32 v103, v221, v9 /*v265*/
	s_set_vgpr_msb 0                        ;  msbs: dst=0 src0=0 src1=0 src2=0
	v_ashrrev_i32_e32 v113, 24, v95
	s_set_vgpr_msb 0x41                     ;  msbs: dst=1 src0=1 src1=0 src2=0
	v_mul_i32_i24_e32 v7 /*v263*/, v6 /*v262*/, v222
	s_set_vgpr_msb 0                        ;  msbs: dst=0 src0=0 src1=0 src2=0
	v_mul_i32_i24_e32 v239, v238, v222
	v_mul_i32_i24_e32 v246, v245, v222
	v_add3_u32 v103, v106, v103, v92
	v_mul_i32_i24_e32 v92, v227, v219
	v_mul_i32_i24_e32 v106, v230, v237
	v_bfe_u32 v227, v90, 16, 4
	s_set_vgpr_msb 1                        ;  msbs: dst=0 src0=1 src1=0 src2=0
	v_mul_i32_i24_e32 v219, v10 /*v266*/, v219
	s_set_vgpr_msb 0x41                     ;  msbs: dst=1 src0=1 src1=0 src2=0
	v_mul_i32_i24_e32 v10 /*v266*/, v11 /*v267*/, v217
	v_mul_i32_i24_e32 v5 /*v261*/, v4 /*v260*/, v222
	s_set_vgpr_msb 0                        ;  msbs: dst=0 src0=0 src1=0 src2=0
	v_add3_u32 v106, v148, v92, v106
	v_lshrrev_b32_e32 v92, 28, v97
	v_bfe_i32 v148, v120, 8, 8
	s_set_vgpr_msb 64                       ;  msbs: dst=1 src0=0 src1=0 src2=0
	v_mul_i32_i24_e32 v23 /*v279*/, v143, v227
	s_set_vgpr_msb 4                        ;  msbs: dst=0 src0=0 src1=1 src2=0
	v_add3_u32 v219, v110, v10 /*v266*/, v219
	s_set_vgpr_msb 64                       ;  msbs: dst=1 src0=0 src1=0 src2=0
	v_ashrrev_i32_e32 v10 /*v266*/, 24, v149
	s_set_vgpr_msb 0                        ;  msbs: dst=0 src0=0 src1=0 src2=0
	v_mul_i32_i24_e32 v97, v113, v92
	v_mul_i32_i24_e32 v95, v148, v158
	v_bfe_i32 v149, v149, 16, 8
	s_set_vgpr_msb 1                        ;  msbs: dst=0 src0=1 src1=0 src2=0
	v_mul_i32_i24_e32 v110, v10 /*v266*/, v225
	s_set_vgpr_msb 0                        ;  msbs: dst=0 src0=0 src1=0 src2=0
	v_add3_u32 v94, v94, v97, v95
	v_bfe_i32 v97, v139, 0, 8
	v_bfe_i32 v139, v139, 16, 8
	v_bfe_u32 v95, v86, 16, 4
	s_delay_alu instid0(VALU_DEP_3) | instskip(SKIP_1) | instid1(VALU_DEP_3)
	v_mul_i32_i24_e32 v221, v97, v222
	s_set_vgpr_msb 64                       ;  msbs: dst=1 src0=0 src1=0 src2=0
	v_mul_i32_i24_e32 v15 /*v271*/, v139, v242
	s_set_vgpr_msb 0                        ;  msbs: dst=0 src0=0 src1=0 src2=0
	v_mul_i32_i24_e32 v224, v139, v95
	v_mul_i32_i24_e32 v225, v149, v95
	s_delay_alu instid0(VALU_DEP_2) | instskip(SKIP_2) | instid1(VALU_DEP_4)
	v_add3_u32 v221, v233, v221, v224
	v_and_b32_e32 v224, 15, v90
	v_mul_i32_i24_e32 v233, v139, v227
	v_add3_u32 v225, v236, v225, v110
	v_mul_i32_i24_e32 v110, v223, v243
	s_delay_alu instid0(VALU_DEP_4) | instskip(SKIP_2) | instid1(VALU_DEP_2)
	v_mul_i32_i24_e32 v230, v97, v224
	v_mul_i32_i24_e32 v236, v144, v224
	s_set_vgpr_msb 1                        ;  msbs: dst=0 src0=1 src1=0 src2=0
	v_add3_u32 v230, v3 /*v259*/, v230, v233
	v_and_b32_e32 v233, 15, v88
	s_set_vgpr_msb 0                        ;  msbs: dst=0 src0=0 src1=0 src2=0
	v_add3_u32 v105, v105, v110, v236
	s_set_vgpr_msb 4                        ;  msbs: dst=0 src0=0 src1=1 src2=0
	v_mul_i32_i24_e32 v110, v223, v8 /*v264*/
	s_set_vgpr_msb 64                       ;  msbs: dst=1 src0=0 src1=0 src2=0
	v_mul_i32_i24_e32 v3 /*v259*/, v97, v233
	s_set_vgpr_msb 0                        ;  msbs: dst=0 src0=0 src1=0 src2=0
	v_mul_i32_i24_e32 v236, v144, v233
	s_set_vgpr_msb 0x55                     ;  msbs: dst=1 src0=1 src1=1 src2=1
	s_delay_alu instid0(VALU_DEP_2)
	v_add3_u32 v3 /*v259*/, v16 /*v272*/, v3 /*v259*/, v15 /*v271*/
	s_set_vgpr_msb 64                       ;  msbs: dst=1 src0=0 src1=0 src2=0
	v_mul_i32_i24_e32 v15 /*v271*/, v137, v95
	v_mul_i32_i24_e32 v16 /*v272*/, v137, v227
	s_set_vgpr_msb 0                        ;  msbs: dst=0 src0=0 src1=0 src2=0
	v_add3_u32 v102, v102, v110, v236
	v_mul_i32_i24_e32 v110, v218, v222
	s_set_vgpr_msb 0x55                     ;  msbs: dst=1 src0=1 src1=1 src2=1
	v_add3_u32 v7 /*v263*/, v22 /*v278*/, v7 /*v263*/, v15 /*v271*/
	s_set_vgpr_msb 0x41                     ;  msbs: dst=1 src0=1 src1=0 src2=0
	v_mul_i32_i24_e32 v15 /*v271*/, v6 /*v262*/, v224
	s_set_vgpr_msb 64                       ;  msbs: dst=1 src0=0 src1=0 src2=0
	v_mul_i32_i24_e32 v22 /*v278*/, v137, v242
	s_set_vgpr_msb 0x55                     ;  msbs: dst=1 src0=1 src1=1 src2=1
	s_delay_alu instid0(VALU_DEP_2)
	v_add3_u32 v15 /*v271*/, v24 /*v280*/, v15 /*v271*/, v16 /*v272*/
	s_set_vgpr_msb 0x41                     ;  msbs: dst=1 src0=1 src1=0 src2=0
	v_mul_i32_i24_e32 v16 /*v272*/, v6 /*v262*/, v233
	s_set_vgpr_msb 64                       ;  msbs: dst=1 src0=0 src1=0 src2=0
	v_mul_i32_i24_e32 v24 /*v280*/, v143, v242
	s_set_vgpr_msb 0x55                     ;  msbs: dst=1 src0=1 src1=1 src2=1
	s_delay_alu instid0(VALU_DEP_2) | instskip(SKIP_4) | instid1(VALU_DEP_2)
	v_add3_u32 v16 /*v272*/, v25 /*v281*/, v16 /*v272*/, v22 /*v278*/
	s_set_vgpr_msb 64                       ;  msbs: dst=1 src0=0 src1=0 src2=0
	v_mul_i32_i24_e32 v22 /*v278*/, v143, v95
	v_mul_i32_i24_e32 v25 /*v281*/, v141, v227
	s_set_vgpr_msb 17                       ;  msbs: dst=0 src0=1 src1=0 src2=1
	v_add3_u32 v239, v27 /*v283*/, v239, v22 /*v278*/
	s_set_vgpr_msb 64                       ;  msbs: dst=1 src0=0 src1=0 src2=0
	v_mul_i32_i24_e32 v22 /*v278*/, v238, v224
	v_mul_i32_i24_e32 v27 /*v283*/, v141, v242
	s_set_vgpr_msb 0x55                     ;  msbs: dst=1 src0=1 src1=1 src2=1
	s_delay_alu instid0(VALU_DEP_2) | instskip(SKIP_3) | instid1(VALU_DEP_1)
	v_add3_u32 v22 /*v278*/, v29 /*v285*/, v22 /*v278*/, v23 /*v279*/
	s_set_vgpr_msb 64                       ;  msbs: dst=1 src0=0 src1=0 src2=0
	v_mul_i32_i24_e32 v23 /*v279*/, v238, v233
	s_set_vgpr_msb 0x55                     ;  msbs: dst=1 src0=1 src1=1 src2=1
	v_add3_u32 v23 /*v279*/, v31 /*v287*/, v23 /*v279*/, v24 /*v280*/
	s_set_vgpr_msb 64                       ;  msbs: dst=1 src0=0 src1=0 src2=0
	v_mul_i32_i24_e32 v24 /*v280*/, v141, v95
	s_set_vgpr_msb 17                       ;  msbs: dst=0 src0=1 src1=0 src2=1
	s_delay_alu instid0(VALU_DEP_1) | instskip(SKIP_3) | instid1(VALU_DEP_1)
	v_add3_u32 v246, v33 /*v289*/, v246, v24 /*v280*/
	s_set_vgpr_msb 64                       ;  msbs: dst=1 src0=0 src1=0 src2=0
	v_mul_i32_i24_e32 v24 /*v280*/, v245, v224
	s_set_vgpr_msb 0x55                     ;  msbs: dst=1 src0=1 src1=1 src2=1
	v_add3_u32 v24 /*v280*/, v34 /*v290*/, v24 /*v280*/, v25 /*v281*/
	s_set_vgpr_msb 64                       ;  msbs: dst=1 src0=0 src1=0 src2=0
	v_mul_i32_i24_e32 v25 /*v281*/, v245, v233
	s_set_vgpr_msb 0x55                     ;  msbs: dst=1 src0=1 src1=1 src2=1
	s_delay_alu instid0(VALU_DEP_1) | instskip(SKIP_3) | instid1(VALU_DEP_1)
	v_add3_u32 v25 /*v281*/, v35 /*v291*/, v25 /*v281*/, v27 /*v283*/
	s_set_vgpr_msb 0x41                     ;  msbs: dst=1 src0=1 src1=0 src2=0
	v_mul_i32_i24_e32 v27 /*v283*/, v41 /*v297*/, v217
	s_set_vgpr_msb 4                        ;  msbs: dst=0 src0=0 src1=1 src2=0
	v_add3_u32 v140, v140, v27 /*v283*/, v255
	v_bfe_i32 v255, v147, 0, 8
	v_bfe_i32 v147, v147, 16, 8
	s_set_vgpr_msb 64                       ;  msbs: dst=1 src0=0 src1=0 src2=0
	s_delay_alu instid0(VALU_DEP_2) | instskip(NEXT) | instid1(VALU_DEP_2)
	v_mul_i32_i24_e32 v27 /*v283*/, v255, v222
	v_mul_i32_i24_e32 v29 /*v285*/, v147, v95
	s_set_vgpr_msb 0x55                     ;  msbs: dst=1 src0=1 src1=1 src2=1
	s_delay_alu instid0(VALU_DEP_1) | instskip(SKIP_4) | instid1(VALU_DEP_1)
	v_add3_u32 v12 /*v268*/, v12 /*v268*/, v27 /*v283*/, v29 /*v285*/
	s_set_vgpr_msb 64                       ;  msbs: dst=1 src0=0 src1=0 src2=0
	v_mul_i32_i24_e32 v27 /*v283*/, v255, v224
	v_mul_i32_i24_e32 v29 /*v285*/, v147, v227
	s_set_vgpr_msb 0x55                     ;  msbs: dst=1 src0=1 src1=1 src2=1
	v_add3_u32 v13 /*v269*/, v13 /*v269*/, v27 /*v283*/, v29 /*v285*/
	s_set_vgpr_msb 64                       ;  msbs: dst=1 src0=0 src1=0 src2=0
	v_mul_i32_i24_e32 v27 /*v283*/, v255, v233
	v_mul_i32_i24_e32 v29 /*v285*/, v147, v242
	s_set_vgpr_msb 0x55                     ;  msbs: dst=1 src0=1 src1=1 src2=1
	s_delay_alu instid0(VALU_DEP_1)
	v_add3_u32 v14 /*v270*/, v14 /*v270*/, v27 /*v283*/, v29 /*v285*/
	s_set_vgpr_msb 64                       ;  msbs: dst=1 src0=0 src1=0 src2=0
	v_mul_i32_i24_e32 v27 /*v283*/, v145, v95
	s_set_vgpr_msb 0                        ;  msbs: dst=0 src0=0 src1=0 src2=0
	v_mul_i32_i24_e32 v95, v220, v95
	s_set_vgpr_msb 0x55                     ;  msbs: dst=1 src0=1 src1=1 src2=1
	s_delay_alu instid0(VALU_DEP_2) | instskip(SKIP_1) | instid1(VALU_DEP_2)
	v_add3_u32 v5 /*v261*/, v19 /*v275*/, v5 /*v261*/, v27 /*v283*/
	s_set_vgpr_msb 0                        ;  msbs: dst=0 src0=0 src1=0 src2=0
	v_add3_u32 v95, v96, v110, v95
	v_mul_i32_i24_e32 v96, v218, v224
	v_mul_i32_i24_e32 v110, v220, v227
	s_set_vgpr_msb 0x41                     ;  msbs: dst=1 src0=1 src1=0 src2=0
	v_mul_i32_i24_e32 v19 /*v275*/, v4 /*v260*/, v224
	s_set_vgpr_msb 64                       ;  msbs: dst=1 src0=0 src1=0 src2=0
	v_mul_i32_i24_e32 v27 /*v283*/, v145, v227
	s_set_vgpr_msb 0                        ;  msbs: dst=0 src0=0 src1=0 src2=0
	v_mul_i32_i24_e32 v227, v149, v227
	v_add3_u32 v96, v101, v96, v110
	v_mul_i32_i24_e32 v101, v218, v233
	v_mul_i32_i24_e32 v110, v220, v242
	v_ashrrev_i32_e32 v218, 24, v125
	s_set_vgpr_msb 0x55                     ;  msbs: dst=1 src0=1 src1=1 src2=1
	v_add3_u32 v19 /*v275*/, v20 /*v276*/, v19 /*v275*/, v27 /*v283*/
	s_set_vgpr_msb 64                       ;  msbs: dst=1 src0=0 src1=0 src2=0
	v_mul_i32_i24_e32 v27 /*v283*/, v145, v242
	s_set_vgpr_msb 0                        ;  msbs: dst=0 src0=0 src1=0 src2=0
	v_mul_i32_i24_e32 v242, v149, v242
	v_add3_u32 v101, v103, v101, v110
	v_mul_i32_i24_e32 v103, v235, v217
	v_mul_i32_i24_e32 v110, v134, v214
	v_bfe_i32 v134, v120, 16, 8
	v_ashrrev_i32_e32 v217, 24, v120
	v_bfe_i32 v120, v125, 0, 8
	s_set_vgpr_msb 1                        ;  msbs: dst=0 src0=1 src1=0 src2=0
	v_mul_i32_i24_e32 v214, v42 /*v298*/, v237
	s_set_vgpr_msb 0                        ;  msbs: dst=0 src0=0 src1=0 src2=0
	v_add3_u32 v103, v106, v110, v103
	v_mul_i32_i24_e32 v106, v134, v157
	v_mul_i32_i24_e32 v110, v217, v160
	;; [unrolled: 1-line block ×3, first 2 shown]
	v_add3_u32 v130, v219, v214, v130
	v_bfe_u32 v219, v86, 12, 4
	v_bfe_i32 v214, v135, 8, 8
	v_add3_u32 v110, v94, v106, v110
	v_bfe_u32 v94, v86, 4, 4
	v_lshrrev_b32_e32 v106, 28, v86
	s_set_vgpr_msb 0x41                     ;  msbs: dst=1 src0=1 src1=0 src2=0
	v_mul_i32_i24_e32 v20 /*v276*/, v4 /*v260*/, v233
	s_set_vgpr_msb 0                        ;  msbs: dst=0 src0=0 src1=0 src2=0
	v_bfe_u32 v86, v86, 20, 4
	v_mul_i32_i24_e32 v220, v120, v94
	v_mul_i32_i24_e32 v222, v218, v106
	;; [unrolled: 1-line block ×3, first 2 shown]
	s_set_vgpr_msb 0x55                     ;  msbs: dst=1 src0=1 src1=1 src2=1
	v_add3_u32 v20 /*v276*/, v21 /*v277*/, v20 /*v276*/, v27 /*v283*/
	s_set_vgpr_msb 0                        ;  msbs: dst=0 src0=0 src1=0 src2=0
	v_add3_u32 v220, v221, v222, v220
	v_bfe_u32 v221, v90, 4, 4
	v_lshrrev_b32_e32 v222, 28, v90
	s_delay_alu instid0(VALU_DEP_2) | instskip(NEXT) | instid1(VALU_DEP_2)
	v_mul_i32_i24_e32 v224, v120, v221
	v_mul_i32_i24_e32 v233, v218, v222
	s_delay_alu instid0(VALU_DEP_1) | instskip(SKIP_2) | instid1(VALU_DEP_2)
	v_add3_u32 v224, v230, v233, v224
	v_bfe_u32 v230, v88, 4, 4
	v_lshrrev_b32_e32 v233, 28, v88
	v_mul_i32_i24_e32 v235, v120, v230
	s_delay_alu instid0(VALU_DEP_2) | instskip(SKIP_3) | instid1(VALU_DEP_3)
	v_mul_i32_i24_e32 v236, v218, v233
	v_mul_i32_i24_e32 v120, v120, v209
	;; [unrolled: 1-line block ×3, first 2 shown]
	s_set_vgpr_msb 1                        ;  msbs: dst=0 src0=1 src1=0 src2=0
	v_add3_u32 v235, v3 /*v259*/, v236, v235
	s_set_vgpr_msb 0                        ;  msbs: dst=0 src0=0 src1=0 src2=0
	v_mul_i32_i24_e32 v236, v138, v94
	s_set_vgpr_msb 64                       ;  msbs: dst=1 src0=0 src1=0 src2=0
	v_mul_i32_i24_e32 v3 /*v259*/, v232, v222
	s_set_vgpr_msb 1                        ;  msbs: dst=0 src0=1 src1=0 src2=0
	s_delay_alu instid0(VALU_DEP_2)
	v_add3_u32 v236, v7 /*v263*/, v243, v236
	s_set_vgpr_msb 0                        ;  msbs: dst=0 src0=0 src1=0 src2=0
	v_mul_i32_i24_e32 v243, v138, v221
	s_set_vgpr_msb 64                       ;  msbs: dst=1 src0=0 src1=0 src2=0
	v_mul_i32_i24_e32 v7 /*v263*/, v232, v233
	s_set_vgpr_msb 5                        ;  msbs: dst=0 src0=1 src1=1 src2=0
	s_delay_alu instid0(VALU_DEP_2)
	v_add3_u32 v243, v15 /*v271*/, v3 /*v259*/, v243
	s_set_vgpr_msb 64                       ;  msbs: dst=1 src0=0 src1=0 src2=0
	v_mul_i32_i24_e32 v3 /*v259*/, v138, v230
	s_set_vgpr_msb 0                        ;  msbs: dst=0 src0=0 src1=0 src2=0
	v_mul_i32_i24_e32 v138, v138, v209
	s_set_vgpr_msb 0x55                     ;  msbs: dst=1 src0=1 src1=1 src2=1
	s_delay_alu instid0(VALU_DEP_2) | instskip(SKIP_3) | instid1(VALU_DEP_1)
	v_add3_u32 v3 /*v259*/, v16 /*v272*/, v7 /*v263*/, v3 /*v259*/
	s_set_vgpr_msb 0x41                     ;  msbs: dst=1 src0=1 src1=0 src2=0
	v_mul_i32_i24_e32 v7 /*v263*/, v28 /*v284*/, v237
	s_set_vgpr_msb 4                        ;  msbs: dst=0 src0=0 src1=1 src2=0
	v_add3_u32 v122, v136, v7 /*v263*/, v122
	v_bfe_i32 v136, v129, 0, 8
	s_set_vgpr_msb 64                       ;  msbs: dst=1 src0=0 src1=0 src2=0
	v_ashrrev_i32_e32 v7 /*v263*/, 24, v129
	s_delay_alu instid0(VALU_DEP_2) | instskip(SKIP_1) | instid1(VALU_DEP_2)
	v_mul_i32_i24_e32 v8 /*v264*/, v136, v94
	s_set_vgpr_msb 0x41                     ;  msbs: dst=1 src0=1 src1=0 src2=0
	v_mul_i32_i24_e32 v11 /*v267*/, v7 /*v263*/, v106
	v_mul_i32_i24_e32 v15 /*v271*/, v7 /*v263*/, v233
	s_set_vgpr_msb 20                       ;  msbs: dst=0 src0=0 src1=1 src2=1
	s_delay_alu instid0(VALU_DEP_2)
	v_add3_u32 v239, v239, v11 /*v267*/, v8 /*v264*/
	s_set_vgpr_msb 64                       ;  msbs: dst=1 src0=0 src1=0 src2=0
	v_mul_i32_i24_e32 v8 /*v264*/, v136, v221
	s_set_vgpr_msb 0x41                     ;  msbs: dst=1 src0=1 src1=0 src2=0
	v_mul_i32_i24_e32 v11 /*v267*/, v7 /*v263*/, v222
	s_set_vgpr_msb 0x55                     ;  msbs: dst=1 src0=1 src1=1 src2=1
	s_delay_alu instid0(VALU_DEP_1)
	v_add3_u32 v8 /*v264*/, v22 /*v278*/, v11 /*v267*/, v8 /*v264*/
	s_set_vgpr_msb 64                       ;  msbs: dst=1 src0=0 src1=0 src2=0
	v_mul_i32_i24_e32 v11 /*v267*/, v136, v230
	s_set_vgpr_msb 0                        ;  msbs: dst=0 src0=0 src1=0 src2=0
	v_mul_i32_i24_e32 v136, v136, v209
	s_set_vgpr_msb 0x55                     ;  msbs: dst=1 src0=1 src1=1 src2=1
	s_delay_alu instid0(VALU_DEP_2) | instskip(SKIP_3) | instid1(VALU_DEP_1)
	v_add3_u32 v11 /*v267*/, v23 /*v279*/, v15 /*v271*/, v11 /*v267*/
	s_set_vgpr_msb 0x41                     ;  msbs: dst=1 src0=1 src1=0 src2=0
	v_mul_i32_i24_e32 v15 /*v271*/, v30 /*v286*/, v237
	s_set_vgpr_msb 4                        ;  msbs: dst=0 src0=0 src1=1 src2=0
	v_add3_u32 v128, v142, v15 /*v271*/, v128
	v_bfe_i32 v142, v127, 0, 8
	s_set_vgpr_msb 64                       ;  msbs: dst=1 src0=0 src1=0 src2=0
	v_ashrrev_i32_e32 v15 /*v271*/, 24, v127
	s_set_vgpr_msb 1                        ;  msbs: dst=0 src0=1 src1=0 src2=0
	v_mul_i32_i24_e32 v244, v10 /*v266*/, v244
	s_set_vgpr_msb 64                       ;  msbs: dst=1 src0=0 src1=0 src2=0
	v_mul_i32_i24_e32 v16 /*v272*/, v142, v94
	s_set_vgpr_msb 0x41                     ;  msbs: dst=1 src0=1 src1=0 src2=0
	v_mul_i32_i24_e32 v21 /*v277*/, v15 /*v271*/, v106
	v_mul_i32_i24_e32 v22 /*v278*/, v15 /*v271*/, v233
	s_set_vgpr_msb 0                        ;  msbs: dst=0 src0=0 src1=0 src2=0
	v_add3_u32 v105, v105, v227, v244
	s_set_vgpr_msb 5                        ;  msbs: dst=0 src0=1 src1=1 src2=0
	v_mul_i32_i24_e32 v227, v10 /*v266*/, v9 /*v265*/
	s_set_vgpr_msb 20                       ;  msbs: dst=0 src0=0 src1=1 src2=1
	v_add3_u32 v246, v246, v21 /*v277*/, v16 /*v272*/
	s_set_vgpr_msb 64                       ;  msbs: dst=1 src0=0 src1=0 src2=0
	v_mul_i32_i24_e32 v16 /*v272*/, v142, v221
	s_set_vgpr_msb 0x41                     ;  msbs: dst=1 src0=1 src1=0 src2=0
	v_mul_i32_i24_e32 v21 /*v277*/, v15 /*v271*/, v222
	s_set_vgpr_msb 0                        ;  msbs: dst=0 src0=0 src1=0 src2=0
	v_add3_u32 v102, v102, v242, v227
	v_mul_i32_i24_e32 v227, v215, v106
	s_set_vgpr_msb 0x55                     ;  msbs: dst=1 src0=1 src1=1 src2=1
	v_add3_u32 v16 /*v272*/, v24 /*v280*/, v21 /*v277*/, v16 /*v272*/
	s_set_vgpr_msb 64                       ;  msbs: dst=1 src0=0 src1=0 src2=0
	v_mul_i32_i24_e32 v21 /*v277*/, v142, v230
	s_set_vgpr_msb 0                        ;  msbs: dst=0 src0=0 src1=0 src2=0
	v_mul_i32_i24_e32 v142, v142, v209
	s_set_vgpr_msb 0x55                     ;  msbs: dst=1 src0=1 src1=1 src2=1
	s_delay_alu instid0(VALU_DEP_2) | instskip(SKIP_3) | instid1(VALU_DEP_1)
	v_add3_u32 v21 /*v277*/, v25 /*v281*/, v22 /*v278*/, v21 /*v277*/
	s_set_vgpr_msb 0x41                     ;  msbs: dst=1 src0=1 src1=0 src2=0
	v_mul_i32_i24_e32 v22 /*v278*/, v36 /*v292*/, v237
	s_set_vgpr_msb 4                        ;  msbs: dst=0 src0=0 src1=1 src2=0
	v_add3_u32 v126, v140, v22 /*v278*/, v126
	v_bfe_i32 v140, v133, 0, 8
	s_set_vgpr_msb 64                       ;  msbs: dst=1 src0=0 src1=0 src2=0
	v_ashrrev_i32_e32 v22 /*v278*/, 24, v133
	s_delay_alu instid0(VALU_DEP_2) | instskip(SKIP_1) | instid1(VALU_DEP_2)
	v_mul_i32_i24_e32 v23 /*v279*/, v140, v94
	s_set_vgpr_msb 0x41                     ;  msbs: dst=1 src0=1 src1=0 src2=0
	v_mul_i32_i24_e32 v24 /*v280*/, v22 /*v278*/, v106
	s_set_vgpr_msb 0x55                     ;  msbs: dst=1 src0=1 src1=1 src2=1
	s_delay_alu instid0(VALU_DEP_1)
	v_add3_u32 v12 /*v268*/, v12 /*v268*/, v24 /*v280*/, v23 /*v279*/
	s_set_vgpr_msb 64                       ;  msbs: dst=1 src0=0 src1=0 src2=0
	v_mul_i32_i24_e32 v23 /*v279*/, v140, v221
	s_set_vgpr_msb 0x41                     ;  msbs: dst=1 src0=1 src1=0 src2=0
	v_mul_i32_i24_e32 v24 /*v280*/, v22 /*v278*/, v222
	s_set_vgpr_msb 0x55                     ;  msbs: dst=1 src0=1 src1=1 src2=1
	s_delay_alu instid0(VALU_DEP_1)
	v_add3_u32 v13 /*v269*/, v13 /*v269*/, v24 /*v280*/, v23 /*v279*/
	s_set_vgpr_msb 64                       ;  msbs: dst=1 src0=0 src1=0 src2=0
	v_mul_i32_i24_e32 v23 /*v279*/, v140, v230
	s_set_vgpr_msb 0x41                     ;  msbs: dst=1 src0=1 src1=0 src2=0
	v_mul_i32_i24_e32 v24 /*v280*/, v22 /*v278*/, v233
	s_set_vgpr_msb 0                        ;  msbs: dst=0 src0=0 src1=0 src2=0
	v_mul_i32_i24_e32 v140, v140, v209
	s_set_vgpr_msb 0x55                     ;  msbs: dst=1 src0=1 src1=1 src2=1
	s_delay_alu instid0(VALU_DEP_2) | instskip(SKIP_4) | instid1(VALU_DEP_2)
	v_add3_u32 v14 /*v270*/, v14 /*v270*/, v24 /*v280*/, v23 /*v279*/
	s_set_vgpr_msb 0x41                     ;  msbs: dst=1 src0=1 src1=0 src2=0
	v_mul_i32_i24_e32 v23 /*v279*/, v40 /*v296*/, v237
	s_set_vgpr_msb 4                        ;  msbs: dst=0 src0=0 src1=1 src2=0
	v_bfe_i32 v237, v135, 0, 8
	v_add3_u32 v132, v146, v23 /*v279*/, v132
	v_bfe_i32 v146, v131, 0, 8
	s_set_vgpr_msb 64                       ;  msbs: dst=1 src0=0 src1=0 src2=0
	v_ashrrev_i32_e32 v23 /*v279*/, 24, v131
	s_delay_alu instid0(VALU_DEP_2) | instskip(SKIP_1) | instid1(VALU_DEP_2)
	v_mul_i32_i24_e32 v24 /*v280*/, v146, v94
	s_set_vgpr_msb 0x41                     ;  msbs: dst=1 src0=1 src1=0 src2=0
	v_mul_i32_i24_e32 v25 /*v281*/, v23 /*v279*/, v106
	s_set_vgpr_msb 0x55                     ;  msbs: dst=1 src0=1 src1=1 src2=1
	s_delay_alu instid0(VALU_DEP_1)
	v_add3_u32 v5 /*v261*/, v5 /*v261*/, v25 /*v281*/, v24 /*v280*/
	s_set_vgpr_msb 64                       ;  msbs: dst=1 src0=0 src1=0 src2=0
	v_mul_i32_i24_e32 v24 /*v280*/, v146, v221
	s_set_vgpr_msb 0x41                     ;  msbs: dst=1 src0=1 src1=0 src2=0
	v_mul_i32_i24_e32 v25 /*v281*/, v23 /*v279*/, v222
	s_set_vgpr_msb 0x55                     ;  msbs: dst=1 src0=1 src1=1 src2=1
	s_delay_alu instid0(VALU_DEP_1)
	v_add3_u32 v19 /*v275*/, v19 /*v275*/, v25 /*v281*/, v24 /*v280*/
	s_set_vgpr_msb 64                       ;  msbs: dst=1 src0=0 src1=0 src2=0
	v_mul_i32_i24_e32 v24 /*v280*/, v146, v230
	s_set_vgpr_msb 0x41                     ;  msbs: dst=1 src0=1 src1=0 src2=0
	v_mul_i32_i24_e32 v25 /*v281*/, v23 /*v279*/, v233
	s_set_vgpr_msb 0                        ;  msbs: dst=0 src0=0 src1=0 src2=0
	v_mul_i32_i24_e32 v146, v146, v209
	s_set_vgpr_msb 0x55                     ;  msbs: dst=1 src0=1 src1=1 src2=1
	s_delay_alu instid0(VALU_DEP_2)
	v_add3_u32 v20 /*v276*/, v20 /*v276*/, v25 /*v281*/, v24 /*v280*/
	s_set_vgpr_msb 64                       ;  msbs: dst=1 src0=0 src1=0 src2=0
	v_mul_i32_i24_e32 v25 /*v281*/, v237, v94
	s_set_vgpr_msb 0                        ;  msbs: dst=0 src0=0 src1=0 src2=0
	v_mul_i32_i24_e32 v94, v216, v94
	s_set_vgpr_msb 64                       ;  msbs: dst=1 src0=0 src1=0 src2=0
	v_mul_i32_i24_e32 v24 /*v280*/, v214, v219
	s_set_vgpr_msb 0                        ;  msbs: dst=0 src0=0 src1=0 src2=0
	s_delay_alu instid0(VALU_DEP_2)
	v_add3_u32 v94, v95, v227, v94
	v_mul_i32_i24_e32 v95, v216, v221
	v_mul_i32_i24_e32 v227, v215, v222
	;; [unrolled: 1-line block ×3, first 2 shown]
	s_set_vgpr_msb 20                       ;  msbs: dst=0 src0=0 src1=1 src2=1
	v_add3_u32 v225, v225, v25 /*v281*/, v24 /*v280*/
	s_set_vgpr_msb 0                        ;  msbs: dst=0 src0=0 src1=0 src2=0
	v_add3_u32 v95, v96, v227, v95
	v_mul_i32_i24_e32 v96, v216, v230
	v_mul_i32_i24_e32 v227, v228, v112
	s_delay_alu instid0(VALU_DEP_2) | instskip(SKIP_2) | instid1(VALU_DEP_1)
	v_add3_u32 v96, v101, v215, v96
	v_mul_i32_i24_e32 v101, v144, v211
	v_mul_i32_i24_e32 v144, v223, v112
	v_add3_u32 v101, v103, v144, v101
	v_bfe_i32 v144, v125, 8, 8
	v_bfe_i32 v125, v125, 16, 8
	s_delay_alu instid0(VALU_DEP_2) | instskip(NEXT) | instid1(VALU_DEP_2)
	v_mul_i32_i24_e32 v103, v144, v219
	v_mul_i32_i24_e32 v215, v125, v86
	s_delay_alu instid0(VALU_DEP_1) | instskip(SKIP_2) | instid1(VALU_DEP_2)
	v_add3_u32 v103, v220, v103, v215
	v_bfe_u32 v215, v90, 12, 4
	v_bfe_u32 v90, v90, 20, 4
	v_mul_i32_i24_e32 v216, v144, v215
	s_delay_alu instid0(VALU_DEP_2) | instskip(NEXT) | instid1(VALU_DEP_1)
	v_mul_i32_i24_e32 v220, v125, v90
	v_add3_u32 v216, v224, v216, v220
	v_bfe_u32 v220, v88, 12, 4
	v_bfe_u32 v88, v88, 20, 4
	s_delay_alu instid0(VALU_DEP_2) | instskip(NEXT) | instid1(VALU_DEP_2)
	v_mul_i32_i24_e32 v223, v144, v220
	v_mul_i32_i24_e32 v224, v125, v88
	;; [unrolled: 1-line block ×4, first 2 shown]
	s_delay_alu instid0(VALU_DEP_3) | instskip(SKIP_1) | instid1(VALU_DEP_1)
	v_add3_u32 v223, v235, v223, v224
	v_mul_i32_i24_e32 v224, v229, v212
	v_add3_u32 v124, v124, v224, v227
	v_bfe_i32 v224, v123, 8, 8
	v_bfe_i32 v123, v123, 16, 8
	s_delay_alu instid0(VALU_DEP_2) | instskip(NEXT) | instid1(VALU_DEP_2)
	v_mul_i32_i24_e32 v227, v224, v219
	v_mul_i32_i24_e32 v228, v123, v86
	;; [unrolled: 1-line block ×5, first 2 shown]
	s_delay_alu instid0(VALU_DEP_4)
	v_add3_u32 v227, v236, v227, v228
	v_mul_i32_i24_e32 v228, v224, v215
	s_set_vgpr_msb 1                        ;  msbs: dst=0 src0=1 src1=0 src2=0
	v_mul_i32_i24_e32 v236, v17 /*v273*/, v112
	v_mul_i32_i24_e32 v112, v2 /*v258*/, v112
	s_set_vgpr_msb 0x41                     ;  msbs: dst=1 src0=1 src1=0 src2=0
	v_mul_i32_i24_e32 v2 /*v258*/, v38 /*v294*/, v212
	s_set_vgpr_msb 0                        ;  msbs: dst=0 src0=0 src1=0 src2=0
	v_add3_u32 v228, v243, v228, v229
	v_mul_i32_i24_e32 v229, v224, v220
	v_mul_i32_i24_e32 v224, v224, v234
	s_set_vgpr_msb 4                        ;  msbs: dst=0 src0=0 src1=1 src2=0
	v_add3_u32 v112, v130, v2 /*v258*/, v112
	s_set_vgpr_msb 0                        ;  msbs: dst=0 src0=0 src1=0 src2=0
	v_ashrrev_i32_e32 v130, 24, v135
	v_bfe_i32 v135, v135, 16, 8
	s_set_vgpr_msb 1                        ;  msbs: dst=0 src0=1 src1=0 src2=0
	v_add3_u32 v229, v3 /*v259*/, v229, v235
	v_mul_i32_i24_e32 v235, v18 /*v274*/, v212
	s_set_vgpr_msb 0                        ;  msbs: dst=0 src0=0 src1=0 src2=0
	v_mul_i32_i24_e32 v106, v130, v106
	s_set_vgpr_msb 64                       ;  msbs: dst=1 src0=0 src1=0 src2=0
	v_mul_i32_i24_e32 v2 /*v258*/, v135, v86
	s_set_vgpr_msb 0                        ;  msbs: dst=0 src0=0 src1=0 src2=0
	v_add3_u32 v122, v122, v235, v236
	v_bfe_i32 v235, v129, 8, 8
	v_bfe_i32 v129, v129, 16, 8
	s_set_vgpr_msb 4                        ;  msbs: dst=0 src0=0 src1=1 src2=0
	v_add3_u32 v225, v225, v2 /*v258*/, v106
	s_set_vgpr_msb 0                        ;  msbs: dst=0 src0=0 src1=0 src2=0
	v_mul_i32_i24_e32 v106, v237, v221
	v_mul_i32_i24_e32 v221, v214, v215
	v_mul_i32_i24_e32 v236, v235, v219
	v_mul_i32_i24_e32 v242, v129, v86
	v_mul_i32_i24_e32 v243, v129, v88
	s_delay_alu instid0(VALU_DEP_4) | instskip(SKIP_1) | instid1(VALU_DEP_4)
	v_add3_u32 v221, v105, v106, v221
	v_mul_i32_i24_e32 v105, v237, v230
	v_add3_u32 v236, v239, v236, v242
	v_mul_i32_i24_e32 v239, v235, v215
	v_mul_i32_i24_e32 v242, v129, v90
	;; [unrolled: 1-line block ×4, first 2 shown]
	s_set_vgpr_msb 1                        ;  msbs: dst=0 src0=1 src1=0 src2=0
	s_delay_alu instid0(VALU_DEP_3)
	v_add3_u32 v239, v8 /*v264*/, v239, v242
	s_set_vgpr_msb 0                        ;  msbs: dst=0 src0=0 src1=0 src2=0
	v_mul_i32_i24_e32 v242, v235, v220
	v_add3_u32 v230, v102, v105, v106
	v_mul_i32_i24_e32 v102, v107, v219
	ds_load_2addr_b32 v[104:105], v104 offset1:3
	s_set_vgpr_msb 1                        ;  msbs: dst=0 src0=1 src1=0 src2=0
	v_add3_u32 v242, v11 /*v267*/, v242, v243
	v_mul_i32_i24_e32 v243, v26 /*v282*/, v212
	s_set_vgpr_msb 0                        ;  msbs: dst=0 src0=0 src1=0 src2=0
	s_delay_alu instid0(VALU_DEP_1) | instskip(SKIP_2) | instid1(VALU_DEP_2)
	v_add3_u32 v128, v128, v243, v240
	v_bfe_i32 v240, v127, 8, 8
	v_bfe_i32 v127, v127, 16, 8
	v_mul_i32_i24_e32 v243, v240, v219
	s_delay_alu instid0(VALU_DEP_2) | instskip(SKIP_3) | instid1(VALU_DEP_2)
	v_mul_i32_i24_e32 v244, v127, v86
	s_set_vgpr_msb 64                       ;  msbs: dst=1 src0=0 src1=0 src2=0
	v_mul_i32_i24_e32 v3 /*v259*/, v127, v88
	s_set_vgpr_msb 0                        ;  msbs: dst=0 src0=0 src1=0 src2=0
	v_add3_u32 v243, v246, v243, v244
	v_mul_i32_i24_e32 v244, v240, v215
	v_mul_i32_i24_e32 v246, v127, v90
	s_set_vgpr_msb 1                        ;  msbs: dst=0 src0=1 src1=0 src2=0
	s_delay_alu instid0(VALU_DEP_1)
	v_add3_u32 v244, v16 /*v272*/, v244, v246
	s_set_vgpr_msb 0                        ;  msbs: dst=0 src0=0 src1=0 src2=0
	v_mul_i32_i24_e32 v246, v240, v220
	s_set_vgpr_msb 64                       ;  msbs: dst=1 src0=0 src1=0 src2=0
	v_bfe_u32 v16 /*v272*/, v89, 24, 4
	s_set_vgpr_msb 17                       ;  msbs: dst=0 src0=1 src1=0 src2=1
	s_delay_alu instid0(VALU_DEP_2) | instskip(SKIP_3) | instid1(VALU_DEP_1)
	v_add3_u32 v246, v21 /*v277*/, v246, v3 /*v259*/
	s_set_vgpr_msb 0x41                     ;  msbs: dst=1 src0=1 src1=0 src2=0
	v_mul_i32_i24_e32 v3 /*v259*/, v32 /*v288*/, v212
	s_set_vgpr_msb 4                        ;  msbs: dst=0 src0=0 src1=1 src2=0
	v_add3_u32 v126, v126, v3 /*v259*/, v249
	v_bfe_i32 v249, v133, 8, 8
	v_bfe_i32 v133, v133, 16, 8
	s_set_vgpr_msb 64                       ;  msbs: dst=1 src0=0 src1=0 src2=0
	s_delay_alu instid0(VALU_DEP_2) | instskip(NEXT) | instid1(VALU_DEP_2)
	v_mul_i32_i24_e32 v3 /*v259*/, v249, v219
	v_mul_i32_i24_e32 v8 /*v264*/, v133, v86
	;; [unrolled: 1-line block ×4, first 2 shown]
	s_set_vgpr_msb 0x55                     ;  msbs: dst=1 src0=1 src1=1 src2=1
	s_delay_alu instid0(VALU_DEP_3) | instskip(SKIP_3) | instid1(VALU_DEP_1)
	v_add3_u32 v3 /*v259*/, v12 /*v268*/, v3 /*v259*/, v8 /*v264*/
	s_set_vgpr_msb 64                       ;  msbs: dst=1 src0=0 src1=0 src2=0
	v_mul_i32_i24_e32 v8 /*v264*/, v249, v215
	s_set_vgpr_msb 0x55                     ;  msbs: dst=1 src0=1 src1=1 src2=1
	v_add3_u32 v8 /*v264*/, v13 /*v269*/, v8 /*v264*/, v9 /*v265*/
	s_set_vgpr_msb 64                       ;  msbs: dst=1 src0=0 src1=0 src2=0
	v_mul_i32_i24_e32 v9 /*v265*/, v249, v220
	s_set_vgpr_msb 0x55                     ;  msbs: dst=1 src0=1 src1=1 src2=1
	s_delay_alu instid0(VALU_DEP_1)
	v_add3_u32 v9 /*v265*/, v14 /*v270*/, v9 /*v265*/, v11 /*v267*/
	s_set_vgpr_msb 0x41                     ;  msbs: dst=1 src0=1 src1=0 src2=0
	v_mul_i32_i24_e32 v11 /*v267*/, v37 /*v293*/, v212
	s_set_vgpr_msb 64                       ;  msbs: dst=1 src0=0 src1=0 src2=0
	v_bfe_u32 v14 /*v270*/, v89, 8, 4
	s_set_vgpr_msb 4                        ;  msbs: dst=0 src0=0 src1=1 src2=0
	s_delay_alu instid0(VALU_DEP_2) | instskip(SKIP_3) | instid1(VALU_DEP_2)
	v_add3_u32 v132, v132, v11 /*v267*/, v250
	v_bfe_i32 v250, v131, 8, 8
	v_bfe_i32 v131, v131, 16, 8
	s_set_vgpr_msb 64                       ;  msbs: dst=1 src0=0 src1=0 src2=0
	v_mul_i32_i24_e32 v11 /*v267*/, v250, v219
	s_delay_alu instid0(VALU_DEP_2)
	v_mul_i32_i24_e32 v12 /*v268*/, v131, v86
	s_set_vgpr_msb 0                        ;  msbs: dst=0 src0=0 src1=0 src2=0
	v_mul_i32_i24_e32 v86, v213, v86
	v_bfe_u32 v219, v87, 24, 4
	s_set_vgpr_msb 64                       ;  msbs: dst=1 src0=0 src1=0 src2=0
	v_mul_i32_i24_e32 v13 /*v269*/, v131, v88
	s_set_vgpr_msb 0x55                     ;  msbs: dst=1 src0=1 src1=1 src2=1
	v_add3_u32 v5 /*v261*/, v5 /*v261*/, v11 /*v267*/, v12 /*v268*/
	s_set_vgpr_msb 0                        ;  msbs: dst=0 src0=0 src1=0 src2=0
	v_add3_u32 v86, v94, v102, v86
	v_mul_i32_i24_e32 v94, v107, v215
	v_mul_i32_i24_e32 v102, v213, v90
	s_set_vgpr_msb 64                       ;  msbs: dst=1 src0=0 src1=0 src2=0
	v_mul_i32_i24_e32 v11 /*v267*/, v250, v215
	v_mul_i32_i24_e32 v12 /*v268*/, v131, v90
	s_set_vgpr_msb 0                        ;  msbs: dst=0 src0=0 src1=0 src2=0
	v_mul_i32_i24_e32 v90, v135, v90
	v_add3_u32 v215, v95, v94, v102
	v_mul_i32_i24_e32 v94, v107, v220
	v_mul_i32_i24_e32 v95, v213, v88
	s_set_vgpr_msb 0x55                     ;  msbs: dst=1 src0=1 src1=1 src2=1
	v_add3_u32 v11 /*v267*/, v19 /*v275*/, v11 /*v267*/, v12 /*v268*/
	s_set_vgpr_msb 64                       ;  msbs: dst=1 src0=0 src1=0 src2=0
	v_mul_i32_i24_e32 v12 /*v268*/, v250, v220
	s_set_vgpr_msb 0                        ;  msbs: dst=0 src0=0 src1=0 src2=0
	v_mul_i32_i24_e32 v88, v135, v88
	v_mul_i32_i24_e32 v135, v135, v207
	v_add3_u32 v213, v96, v94, v95
	s_set_vgpr_msb 1                        ;  msbs: dst=0 src0=1 src1=0 src2=0
	v_mul_i32_i24_e32 v94, v10 /*v266*/, v212
	s_set_vgpr_msb 0                        ;  msbs: dst=0 src0=0 src1=0 src2=0
	v_mul_i32_i24_e32 v95, v149, v210
	v_bfe_u32 v212, v87, 8, 4
	s_set_vgpr_msb 0x55                     ;  msbs: dst=1 src0=1 src1=1 src2=1
	v_add3_u32 v12 /*v268*/, v20 /*v276*/, v12 /*v268*/, v13 /*v269*/
	s_set_vgpr_msb 64                       ;  msbs: dst=1 src0=0 src1=0 src2=0
	v_bfe_u32 v10 /*v266*/, v91, 8, 4
	v_bfe_u32 v13 /*v269*/, v91, 24, 4
	s_set_vgpr_msb 0                        ;  msbs: dst=0 src0=0 src1=0 src2=0
	v_add3_u32 v149, v101, v95, v94
	ds_load_2addr_b32 v[94:95], v226 offset1:3
	s_wait_dscnt 0x0
	v_bfe_i32 v220, v95, 8, 8
	v_ashrrev_i32_e32 v226, 24, v95
	s_delay_alu instid0(VALU_DEP_2) | instskip(NEXT) | instid1(VALU_DEP_2)
	v_mul_i32_i24_e32 v96, v220, v212
	v_mul_i32_i24_e32 v101, v226, v219
	s_set_vgpr_msb 64                       ;  msbs: dst=1 src0=0 src1=0 src2=0
	s_delay_alu instid0(VALU_DEP_1)
	v_add3_u32 v2 /*v258*/, v103, v101, v96
	s_set_vgpr_msb 4                        ;  msbs: dst=0 src0=0 src1=1 src2=0
	ds_load_2addr_b32 v[102:103], v100 offset1:3
	v_mul_i32_i24_e32 v96, v220, v10 /*v266*/
	v_mul_i32_i24_e32 v101, v226, v13 /*v269*/
	s_set_vgpr_msb 0                        ;  msbs: dst=0 src0=0 src1=0 src2=0
	s_delay_alu instid0(VALU_DEP_1) | instskip(SKIP_4) | instid1(VALU_DEP_1)
	v_add3_u32 v216, v216, v101, v96
	s_set_vgpr_msb 4                        ;  msbs: dst=0 src0=0 src1=1 src2=0
	v_mul_i32_i24_e32 v96, v220, v14 /*v270*/
	v_mul_i32_i24_e32 v101, v226, v16 /*v272*/
	s_set_vgpr_msb 0                        ;  msbs: dst=0 src0=0 src1=0 src2=0
	v_add3_u32 v223, v223, v101, v96
	v_mul_i32_i24_e32 v96, v97, v211
	v_mul_i32_i24_e32 v97, v139, v210
	s_wait_dscnt 0x0
	v_bfe_i32 v139, v103, 8, 8
	s_set_vgpr_msb 64                       ;  msbs: dst=1 src0=0 src1=0 src2=0
	v_ashrrev_i32_e32 v17 /*v273*/, 24, v103
	s_set_vgpr_msb 0                        ;  msbs: dst=0 src0=0 src1=0 src2=0
	v_add3_u32 v124, v124, v96, v97
	v_mul_i32_i24_e32 v96, v139, v212
	s_set_vgpr_msb 1                        ;  msbs: dst=0 src0=1 src1=0 src2=0
	v_mul_i32_i24_e32 v97, v17 /*v273*/, v219
	s_set_vgpr_msb 0                        ;  msbs: dst=0 src0=0 src1=0 src2=0
	v_add3_u32 v120, v124, v218, v120
	v_bfe_i32 v218, v103, 0, 8
	v_bfe_i32 v103, v103, 16, 8
	v_add3_u32 v227, v227, v97, v96
	s_set_vgpr_msb 4                        ;  msbs: dst=0 src0=0 src1=1 src2=0
	v_mul_i32_i24_e32 v96, v139, v10 /*v266*/
	s_set_vgpr_msb 5                        ;  msbs: dst=0 src0=1 src1=1 src2=0
	v_mul_i32_i24_e32 v97, v17 /*v273*/, v13 /*v269*/
	s_set_vgpr_msb 0                        ;  msbs: dst=0 src0=0 src1=0 src2=0
	v_add3_u32 v120, v120, v144, v125
	v_bfe_i32 v125, v99, 0, 8
	s_delay_alu instid0(VALU_DEP_3)
	v_add3_u32 v228, v228, v97, v96
	s_set_vgpr_msb 4                        ;  msbs: dst=0 src0=0 src1=1 src2=0
	v_mul_i32_i24_e32 v96, v139, v14 /*v270*/
	s_set_vgpr_msb 5                        ;  msbs: dst=0 src0=1 src1=1 src2=0
	v_mul_i32_i24_e32 v97, v17 /*v273*/, v16 /*v272*/
	s_set_vgpr_msb 0                        ;  msbs: dst=0 src0=0 src1=0 src2=0
	s_delay_alu instid0(VALU_DEP_1) | instskip(SKIP_4) | instid1(VALU_DEP_1)
	v_add3_u32 v229, v229, v97, v96
	s_set_vgpr_msb 1                        ;  msbs: dst=0 src0=1 src1=0 src2=0
	v_mul_i32_i24_e32 v96, v6 /*v262*/, v211
	s_set_vgpr_msb 0                        ;  msbs: dst=0 src0=0 src1=0 src2=0
	v_mul_i32_i24_e32 v97, v137, v210
	v_add3_u32 v122, v122, v96, v97
	ds_load_2addr_b32 v[96:97], v98 offset1:3
	s_wait_dscnt 0x0
	v_bfe_i32 v98, v97, 8, 8
	v_ashrrev_i32_e32 v137, 24, v97
	s_delay_alu instid0(VALU_DEP_2) | instskip(NEXT) | instid1(VALU_DEP_2)
	v_mul_i32_i24_e32 v100, v98, v212
	v_mul_i32_i24_e32 v101, v137, v219
	s_delay_alu instid0(VALU_DEP_1) | instskip(SKIP_4) | instid1(VALU_DEP_1)
	v_add3_u32 v236, v236, v101, v100
	s_set_vgpr_msb 4                        ;  msbs: dst=0 src0=0 src1=1 src2=0
	v_mul_i32_i24_e32 v100, v98, v10 /*v266*/
	v_mul_i32_i24_e32 v101, v137, v13 /*v269*/
	s_set_vgpr_msb 0                        ;  msbs: dst=0 src0=0 src1=0 src2=0
	v_add3_u32 v239, v239, v101, v100
	s_set_vgpr_msb 4                        ;  msbs: dst=0 src0=0 src1=1 src2=0
	v_mul_i32_i24_e32 v100, v98, v14 /*v270*/
	v_mul_i32_i24_e32 v101, v137, v16 /*v272*/
	s_set_vgpr_msb 0                        ;  msbs: dst=0 src0=0 src1=0 src2=0
	v_mul_i32_i24_e32 v98, v98, v111
	s_delay_alu instid0(VALU_DEP_2)
	v_add3_u32 v242, v242, v101, v100
	v_mul_i32_i24_e32 v100, v238, v211
	v_mul_i32_i24_e32 v101, v143, v210
	v_bfe_i32 v143, v105, 8, 8
	v_ashrrev_i32_e32 v238, 24, v105
	v_mul_i32_i24_e32 v222, v130, v222
	s_delay_alu instid0(VALU_DEP_4) | instskip(NEXT) | instid1(VALU_DEP_4)
	v_add3_u32 v128, v128, v100, v101
	v_mul_i32_i24_e32 v100, v143, v212
	s_delay_alu instid0(VALU_DEP_4) | instskip(NEXT) | instid1(VALU_DEP_4)
	v_mul_i32_i24_e32 v101, v238, v219
	v_add3_u32 v90, v221, v90, v222
	v_mul_i32_i24_e32 v221, v130, v233
	v_bfe_u32 v222, v91, 16, 4
	v_mul_i32_i24_e32 v130, v130, v208
	v_add3_u32 v243, v243, v101, v100
	s_set_vgpr_msb 4                        ;  msbs: dst=0 src0=0 src1=1 src2=0
	v_mul_i32_i24_e32 v100, v143, v10 /*v266*/
	v_mul_i32_i24_e32 v101, v238, v13 /*v269*/
	s_set_vgpr_msb 0                        ;  msbs: dst=0 src0=0 src1=0 src2=0
	v_add3_u32 v88, v230, v88, v221
	s_set_vgpr_msb 1                        ;  msbs: dst=0 src0=1 src1=0 src2=0
	v_mul_i32_i24_e32 v221, v1 /*v257*/, v219
	s_set_vgpr_msb 0                        ;  msbs: dst=0 src0=0 src1=0 src2=0
	v_add3_u32 v244, v244, v101, v100
	s_set_vgpr_msb 4                        ;  msbs: dst=0 src0=0 src1=1 src2=0
	v_mul_i32_i24_e32 v100, v143, v14 /*v270*/
	v_mul_i32_i24_e32 v101, v238, v16 /*v272*/
	s_set_vgpr_msb 0                        ;  msbs: dst=0 src0=0 src1=0 src2=0
	s_delay_alu instid0(VALU_DEP_1) | instskip(SKIP_2) | instid1(VALU_DEP_1)
	v_add3_u32 v246, v246, v101, v100
	v_mul_i32_i24_e32 v100, v245, v211
	v_mul_i32_i24_e32 v101, v141, v210
	v_add3_u32 v126, v126, v100, v101
	ds_load_2addr_b32 v[100:101], v251 offset1:3
	s_wait_dscnt 0x0
	v_bfe_i32 v141, v101, 8, 8
	v_ashrrev_i32_e32 v245, 24, v101
	s_delay_alu instid0(VALU_DEP_2) | instskip(NEXT) | instid1(VALU_DEP_2)
	v_mul_i32_i24_e32 v106, v141, v212
	v_mul_i32_i24_e32 v107, v245, v219
	s_set_vgpr_msb 1                        ;  msbs: dst=0 src0=1 src1=0 src2=0
	s_delay_alu instid0(VALU_DEP_1) | instskip(SKIP_4) | instid1(VALU_DEP_1)
	v_add3_u32 v251, v3 /*v259*/, v107, v106
	s_set_vgpr_msb 4                        ;  msbs: dst=0 src0=0 src1=1 src2=0
	v_mul_i32_i24_e32 v106, v141, v10 /*v266*/
	v_mul_i32_i24_e32 v107, v245, v13 /*v269*/
	s_set_vgpr_msb 0x41                     ;  msbs: dst=1 src0=1 src1=0 src2=0
	v_add3_u32 v3 /*v259*/, v8 /*v264*/, v107, v106
	s_set_vgpr_msb 4                        ;  msbs: dst=0 src0=0 src1=1 src2=0
	v_mul_i32_i24_e32 v106, v141, v14 /*v270*/
	v_mul_i32_i24_e32 v107, v245, v16 /*v272*/
	s_set_vgpr_msb 0x41                     ;  msbs: dst=1 src0=1 src1=0 src2=0
	s_delay_alu instid0(VALU_DEP_1)
	v_add3_u32 v6 /*v262*/, v9 /*v265*/, v107, v106
	s_set_vgpr_msb 0                        ;  msbs: dst=0 src0=0 src1=0 src2=0
	v_mul_i32_i24_e32 v106, v255, v211
	v_mul_i32_i24_e32 v107, v147, v210
	s_set_vgpr_msb 1                        ;  msbs: dst=0 src0=1 src1=0 src2=0
	v_mul_i32_i24_e32 v211, v4 /*v260*/, v211
	v_and_b32_e32 v210, 15, v87
	s_set_vgpr_msb 0                        ;  msbs: dst=0 src0=0 src1=0 src2=0
	v_add3_u32 v132, v132, v106, v107
	s_set_vgpr_msb 1                        ;  msbs: dst=0 src0=1 src1=0 src2=0
	ds_load_2addr_b32 v[106:107], v0 /*v256*/ offset1:3
	s_set_vgpr_msb 0                        ;  msbs: dst=0 src0=0 src1=0 src2=0
	v_add3_u32 v112, v112, v211, v145
	v_bfe_i32 v211, v85, 8, 8
	v_bfe_i32 v145, v85, 0, 8
	s_wait_dscnt 0x0
	v_bfe_i32 v147, v107, 8, 8
	v_ashrrev_i32_e32 v255, 24, v107
	s_set_vgpr_msb 64                       ;  msbs: dst=1 src0=0 src1=0 src2=0
	s_delay_alu instid0(VALU_DEP_2) | instskip(NEXT) | instid1(VALU_DEP_2)
	v_mul_i32_i24_e32 v0 /*v256*/, v147, v212
	v_mul_i32_i24_e32 v8 /*v264*/, v255, v219
	s_set_vgpr_msb 0x44                     ;  msbs: dst=1 src0=0 src1=1 src2=0
	v_mul_i32_i24_e32 v9 /*v265*/, v255, v16 /*v272*/
	s_set_vgpr_msb 0x55                     ;  msbs: dst=1 src0=1 src1=1 src2=1
	s_delay_alu instid0(VALU_DEP_2) | instskip(SKIP_4) | instid1(VALU_DEP_1)
	v_add3_u32 v0 /*v256*/, v5 /*v261*/, v8 /*v264*/, v0 /*v256*/
	s_set_vgpr_msb 0x44                     ;  msbs: dst=1 src0=0 src1=1 src2=0
	v_mul_i32_i24_e32 v5 /*v261*/, v147, v10 /*v266*/
	v_mul_i32_i24_e32 v8 /*v264*/, v255, v13 /*v269*/
	s_set_vgpr_msb 0x55                     ;  msbs: dst=1 src0=1 src1=1 src2=1
	v_add3_u32 v5 /*v261*/, v11 /*v267*/, v8 /*v264*/, v5 /*v261*/
	s_set_vgpr_msb 0x44                     ;  msbs: dst=1 src0=0 src1=1 src2=0
	v_mul_i32_i24_e32 v8 /*v264*/, v147, v14 /*v270*/
	s_set_vgpr_msb 0x55                     ;  msbs: dst=1 src0=1 src1=1 src2=1
	s_delay_alu instid0(VALU_DEP_1) | instskip(SKIP_4) | instid1(VALU_DEP_1)
	v_add3_u32 v8 /*v264*/, v12 /*v268*/, v9 /*v265*/, v8 /*v264*/
	s_set_vgpr_msb 64                       ;  msbs: dst=1 src0=0 src1=0 src2=0
	v_mul_i32_i24_e32 v9 /*v265*/, v211, v212
	s_set_vgpr_msb 0                        ;  msbs: dst=0 src0=0 src1=0 src2=0
	v_mul_i32_i24_e32 v212, v121, v212
	v_add3_u32 v86, v86, v221, v212
	s_set_vgpr_msb 4                        ;  msbs: dst=0 src0=0 src1=1 src2=0
	v_mul_i32_i24_e32 v212, v121, v10 /*v266*/
	s_set_vgpr_msb 5                        ;  msbs: dst=0 src0=1 src1=1 src2=0
	v_mul_i32_i24_e32 v221, v1 /*v257*/, v13 /*v269*/
	s_set_vgpr_msb 4                        ;  msbs: dst=0 src0=0 src1=1 src2=0
	v_mul_i32_i24_e32 v121, v121, v14 /*v270*/
	s_set_vgpr_msb 0                        ;  msbs: dst=0 src0=0 src1=0 src2=0
	s_delay_alu instid0(VALU_DEP_2) | instskip(SKIP_3) | instid1(VALU_DEP_1)
	v_add3_u32 v212, v215, v221, v212
	s_set_vgpr_msb 5                        ;  msbs: dst=0 src0=1 src1=1 src2=0
	v_mul_i32_i24_e32 v215, v1 /*v257*/, v16 /*v272*/
	s_set_vgpr_msb 0                        ;  msbs: dst=0 src0=0 src1=0 src2=0
	v_add3_u32 v121, v213, v215, v121
	v_mul_i32_i24_e32 v213, v237, v209
	s_set_vgpr_msb 1                        ;  msbs: dst=0 src0=1 src1=0 src2=0
	v_mul_i32_i24_e32 v209, v23 /*v279*/, v208
	s_set_vgpr_msb 0                        ;  msbs: dst=0 src0=0 src1=0 src2=0
	s_delay_alu instid0(VALU_DEP_2)
	v_add3_u32 v149, v149, v213, v214
	v_bfe_u32 v213, v87, 16, 4
	v_bfe_i32 v214, v95, 0, 8
	v_bfe_i32 v95, v95, 16, 8
	v_add3_u32 v112, v112, v209, v146
	v_ashrrev_i32_e32 v146, 24, v85
	v_mul_i32_i24_e32 v124, v218, v210
	v_mul_i32_i24_e32 v215, v214, v210
	;; [unrolled: 1-line block ×4, first 2 shown]
	v_bfe_i32 v85, v85, 16, 8
	s_set_vgpr_msb 64                       ;  msbs: dst=1 src0=0 src1=0 src2=0
	v_mul_i32_i24_e32 v4 /*v260*/, v145, v210
	s_set_vgpr_msb 0                        ;  msbs: dst=0 src0=0 src1=0 src2=0
	v_mul_i32_i24_e32 v209, v146, v219
	s_set_vgpr_msb 1                        ;  msbs: dst=0 src0=1 src1=0 src2=0
	v_add3_u32 v215, v2 /*v258*/, v215, v221
	v_and_b32_e32 v221, 15, v91
	s_set_vgpr_msb 0                        ;  msbs: dst=0 src0=0 src1=0 src2=0
	v_mul_i32_i24_e32 v219, v85, v213
	s_set_vgpr_msb 20                       ;  msbs: dst=0 src0=0 src1=1 src2=1
	v_add3_u32 v225, v225, v9 /*v265*/, v4 /*v260*/
	s_set_vgpr_msb 0                        ;  msbs: dst=0 src0=0 src1=0 src2=0
	v_add3_u32 v130, v149, v135, v130
	v_bfe_u32 v135, v87, 4, 4
	v_mul_i32_i24_e32 v230, v214, v221
	v_lshrrev_b32_e32 v149, 28, v87
	v_add3_u32 v209, v225, v219, v209
	s_set_vgpr_msb 4                        ;  msbs: dst=0 src0=0 src1=1 src2=0
	v_mul_i32_i24_e32 v219, v211, v10 /*v266*/
	s_set_vgpr_msb 0                        ;  msbs: dst=0 src0=0 src1=0 src2=0
	v_mul_i32_i24_e32 v144, v125, v135
	v_add3_u32 v216, v216, v230, v233
	v_and_b32_e32 v230, 15, v89
	v_bfe_u32 v233, v89, 16, 4
	s_delay_alu instid0(VALU_DEP_2) | instskip(SKIP_1) | instid1(VALU_DEP_2)
	v_mul_i32_i24_e32 v237, v214, v230
	s_set_vgpr_msb 64                       ;  msbs: dst=1 src0=0 src1=0 src2=0
	v_mul_i32_i24_e32 v1 /*v257*/, v95, v233
	s_set_vgpr_msb 16                       ;  msbs: dst=0 src0=0 src1=0 src2=1
	v_mul_i32_i24_e32 v95, v95, v116
	s_delay_alu instid0(VALU_DEP_2) | instskip(SKIP_2) | instid1(VALU_DEP_1)
	v_add3_u32 v223, v223, v237, v1 /*v257*/
	v_mul_i32_i24_e32 v237, v103, v213
	s_set_vgpr_msb 0                        ;  msbs: dst=0 src0=0 src1=0 src2=0
	v_add3_u32 v124, v227, v124, v237
	v_mul_i32_i24_e32 v227, v218, v221
	v_mul_i32_i24_e32 v237, v103, v222
	s_delay_alu instid0(VALU_DEP_1) | instskip(SKIP_2) | instid1(VALU_DEP_1)
	v_add3_u32 v227, v228, v227, v237
	v_mul_i32_i24_e32 v228, v218, v230
	v_mul_i32_i24_e32 v237, v103, v233
	v_add3_u32 v228, v229, v228, v237
	v_mul_i32_i24_e32 v229, v232, v208
	v_bfe_i32 v232, v97, 16, 8
	s_delay_alu instid0(VALU_DEP_2) | instskip(SKIP_1) | instid1(VALU_DEP_3)
	v_add3_u32 v122, v122, v229, v138
	v_bfe_i32 v229, v97, 0, 8
	v_mul_i32_i24_e32 v138, v232, v213
	v_mul_i32_i24_e32 v237, v232, v233
	s_delay_alu instid0(VALU_DEP_4) | instskip(NEXT) | instid1(VALU_DEP_4)
	v_add3_u32 v122, v122, v224, v123
	v_mul_i32_i24_e32 v97, v229, v210
	v_ashrrev_i32_e32 v224, 24, v109
	v_bfe_i32 v123, v109, 0, 8
	s_delay_alu instid0(VALU_DEP_3) | instskip(SKIP_2) | instid1(VALU_DEP_1)
	v_add3_u32 v97, v236, v97, v138
	v_mul_i32_i24_e32 v138, v229, v221
	v_mul_i32_i24_e32 v236, v232, v222
	v_add3_u32 v138, v239, v138, v236
	v_mul_i32_i24_e32 v236, v229, v230
	s_delay_alu instid0(VALU_DEP_1) | instskip(SKIP_3) | instid1(VALU_DEP_1)
	v_add3_u32 v236, v242, v236, v237
	s_set_vgpr_msb 1                        ;  msbs: dst=0 src0=1 src1=0 src2=0
	v_mul_i32_i24_e32 v237, v7 /*v263*/, v208
	s_set_vgpr_msb 0                        ;  msbs: dst=0 src0=0 src1=0 src2=0
	v_add3_u32 v128, v128, v237, v136
	v_bfe_i32 v237, v105, 0, 8
	v_bfe_i32 v105, v105, 16, 8
	s_delay_alu instid0(VALU_DEP_2) | instskip(NEXT) | instid1(VALU_DEP_2)
	v_mul_i32_i24_e32 v136, v237, v210
	v_mul_i32_i24_e32 v239, v105, v213
	;; [unrolled: 1-line block ×3, first 2 shown]
	s_delay_alu instid0(VALU_DEP_2) | instskip(SKIP_2) | instid1(VALU_DEP_2)
	v_add3_u32 v136, v243, v136, v239
	v_mul_i32_i24_e32 v239, v237, v221
	v_mul_i32_i24_e32 v243, v105, v233
	v_add3_u32 v239, v244, v239, v242
	v_mul_i32_i24_e32 v242, v237, v230
	s_delay_alu instid0(VALU_DEP_1) | instskip(SKIP_3) | instid1(VALU_DEP_1)
	v_add3_u32 v242, v246, v242, v243
	s_set_vgpr_msb 1                        ;  msbs: dst=0 src0=1 src1=0 src2=0
	v_mul_i32_i24_e32 v243, v15 /*v271*/, v208
	s_set_vgpr_msb 0                        ;  msbs: dst=0 src0=0 src1=0 src2=0
	v_add3_u32 v126, v126, v243, v142
	v_bfe_i32 v243, v101, 0, 8
	v_bfe_i32 v101, v101, 16, 8
	s_delay_alu instid0(VALU_DEP_2) | instskip(NEXT) | instid1(VALU_DEP_2)
	v_mul_i32_i24_e32 v142, v243, v210
	v_mul_i32_i24_e32 v244, v101, v213
	;; [unrolled: 1-line block ×3, first 2 shown]
	s_delay_alu instid0(VALU_DEP_2) | instskip(SKIP_3) | instid1(VALU_DEP_2)
	v_add3_u32 v142, v251, v142, v244
	v_mul_i32_i24_e32 v244, v243, v221
	v_mul_i32_i24_e32 v251, v101, v233
	s_set_vgpr_msb 1                        ;  msbs: dst=0 src0=1 src1=0 src2=0
	v_add3_u32 v244, v3 /*v259*/, v244, v246
	s_set_vgpr_msb 0                        ;  msbs: dst=0 src0=0 src1=0 src2=0
	v_mul_i32_i24_e32 v246, v243, v230
	s_set_vgpr_msb 1                        ;  msbs: dst=0 src0=1 src1=0 src2=0
	s_delay_alu instid0(VALU_DEP_1) | instskip(SKIP_2) | instid1(VALU_DEP_1)
	v_add3_u32 v246, v6 /*v262*/, v246, v251
	v_mul_i32_i24_e32 v251, v22 /*v278*/, v208
	s_set_vgpr_msb 0                        ;  msbs: dst=0 src0=0 src1=0 src2=0
	v_add3_u32 v132, v132, v251, v140
	v_bfe_i32 v251, v107, 0, 8
	v_bfe_i32 v107, v107, 16, 8
	s_delay_alu instid0(VALU_DEP_2) | instskip(SKIP_1) | instid1(VALU_DEP_2)
	v_mul_i32_i24_e32 v140, v251, v210
	s_set_vgpr_msb 64                       ;  msbs: dst=1 src0=0 src1=0 src2=0
	v_mul_i32_i24_e32 v1 /*v257*/, v107, v213
	s_set_vgpr_msb 0                        ;  msbs: dst=0 src0=0 src1=0 src2=0
	v_mul_i32_i24_e32 v210, v254, v210
	v_mul_i32_i24_e32 v213, v253, v213
	s_set_vgpr_msb 64                       ;  msbs: dst=1 src0=0 src1=0 src2=0
	v_mul_i32_i24_e32 v2 /*v258*/, v107, v233
	s_set_vgpr_msb 17                       ;  msbs: dst=0 src0=1 src1=0 src2=1
	v_add3_u32 v140, v0 /*v256*/, v140, v1 /*v257*/
	s_set_vgpr_msb 64                       ;  msbs: dst=1 src0=0 src1=0 src2=0
	v_mul_i32_i24_e32 v1 /*v257*/, v107, v222
	s_set_vgpr_msb 0                        ;  msbs: dst=0 src0=0 src1=0 src2=0
	v_add3_u32 v86, v86, v210, v213
	v_mul_i32_i24_e32 v210, v254, v221
	v_mul_i32_i24_e32 v213, v253, v222
	s_delay_alu instid0(VALU_DEP_1) | instskip(SKIP_2) | instid1(VALU_DEP_1)
	v_add3_u32 v210, v212, v210, v213
	v_mul_i32_i24_e32 v212, v254, v230
	v_mul_i32_i24_e32 v213, v253, v233
	v_add3_u32 v121, v121, v212, v213
	v_ashrrev_i32_e32 v213, 24, v93
	v_mul_i32_i24_e32 v225, v145, v221
	v_bfe_i32 v212, v93, 0, 8
	s_set_vgpr_msb 64                       ;  msbs: dst=1 src0=0 src1=0 src2=0
	v_mul_i32_i24_e32 v0 /*v256*/, v251, v221
	s_set_vgpr_msb 0                        ;  msbs: dst=0 src0=0 src1=0 src2=0
	v_add3_u32 v90, v90, v219, v225
	s_set_vgpr_msb 4                        ;  msbs: dst=0 src0=0 src1=1 src2=0
	v_mul_i32_i24_e32 v219, v211, v14 /*v270*/
	s_set_vgpr_msb 0                        ;  msbs: dst=0 src0=0 src1=0 src2=0
	v_mul_i32_i24_e32 v225, v145, v230
	v_mul_i32_i24_e32 v208, v212, v135
	s_set_vgpr_msb 0x55                     ;  msbs: dst=1 src0=1 src1=1 src2=1
	v_add3_u32 v0 /*v256*/, v5 /*v261*/, v0 /*v256*/, v1 /*v257*/
	s_set_vgpr_msb 64                       ;  msbs: dst=1 src0=0 src1=0 src2=0
	v_mul_i32_i24_e32 v1 /*v257*/, v251, v230
	s_set_vgpr_msb 0                        ;  msbs: dst=0 src0=0 src1=0 src2=0
	v_add3_u32 v88, v88, v219, v225
	v_mul_i32_i24_e32 v219, v213, v149
	s_set_vgpr_msb 0x55                     ;  msbs: dst=1 src0=1 src1=1 src2=1
	v_add3_u32 v1 /*v257*/, v8 /*v264*/, v1 /*v257*/, v2 /*v258*/
	s_set_vgpr_msb 64                       ;  msbs: dst=1 src0=0 src1=0 src2=0
	v_bfe_u32 v2 /*v258*/, v89, 20, 4
	s_set_vgpr_msb 0                        ;  msbs: dst=0 src0=0 src1=0 src2=0
	v_add3_u32 v208, v215, v219, v208
	v_bfe_u32 v215, v91, 4, 4
	v_lshrrev_b32_e32 v219, 28, v91
	s_delay_alu instid0(VALU_DEP_2) | instskip(NEXT) | instid1(VALU_DEP_2)
	v_mul_i32_i24_e32 v221, v212, v215
	v_mul_i32_i24_e32 v225, v213, v219
	s_delay_alu instid0(VALU_DEP_1) | instskip(SKIP_2) | instid1(VALU_DEP_2)
	v_add3_u32 v216, v216, v225, v221
	v_bfe_u32 v221, v89, 4, 4
	v_lshrrev_b32_e32 v225, 28, v89
	v_mul_i32_i24_e32 v230, v212, v221
	s_delay_alu instid0(VALU_DEP_2) | instskip(NEXT) | instid1(VALU_DEP_1)
	v_mul_i32_i24_e32 v253, v213, v225
	v_add3_u32 v223, v223, v253, v230
	v_ashrrev_i32_e32 v230, 24, v99
	s_delay_alu instid0(VALU_DEP_1) | instskip(NEXT) | instid1(VALU_DEP_1)
	v_mul_i32_i24_e32 v253, v230, v149
	v_add3_u32 v124, v124, v253, v144
	v_mul_i32_i24_e32 v144, v125, v215
	v_mul_i32_i24_e32 v253, v230, v219
	s_delay_alu instid0(VALU_DEP_1) | instskip(SKIP_2) | instid1(VALU_DEP_1)
	v_add3_u32 v144, v227, v253, v144
	v_mul_i32_i24_e32 v227, v125, v221
	v_mul_i32_i24_e32 v253, v230, v225
	v_add3_u32 v227, v228, v253, v227
	v_mul_i32_i24_e32 v228, v123, v135
	v_mul_i32_i24_e32 v253, v224, v149
	s_delay_alu instid0(VALU_DEP_1) | instskip(SKIP_2) | instid1(VALU_DEP_1)
	v_add3_u32 v228, v97, v253, v228
	v_mul_i32_i24_e32 v97, v123, v215
	v_mul_i32_i24_e32 v253, v224, v219
	v_add3_u32 v138, v138, v253, v97
	v_mul_i32_i24_e32 v97, v123, v221
	v_mul_i32_i24_e32 v253, v224, v225
	s_delay_alu instid0(VALU_DEP_1) | instskip(SKIP_3) | instid1(VALU_DEP_2)
	v_add3_u32 v236, v236, v253, v97
	v_mul_i32_i24_e32 v97, v129, v207
	v_mul_i32_i24_e32 v129, v235, v234
	v_ashrrev_i32_e32 v235, 24, v115
	v_add3_u32 v128, v128, v129, v97
	v_bfe_i32 v129, v115, 0, 8
	s_delay_alu instid0(VALU_DEP_3) | instskip(NEXT) | instid1(VALU_DEP_2)
	v_mul_i32_i24_e32 v253, v235, v149
	v_mul_i32_i24_e32 v97, v129, v135
	s_delay_alu instid0(VALU_DEP_1) | instskip(SKIP_2) | instid1(VALU_DEP_1)
	v_add3_u32 v136, v136, v253, v97
	v_mul_i32_i24_e32 v97, v129, v215
	v_mul_i32_i24_e32 v253, v235, v219
	v_add3_u32 v239, v239, v253, v97
	v_mul_i32_i24_e32 v97, v129, v221
	v_mul_i32_i24_e32 v253, v235, v225
	s_delay_alu instid0(VALU_DEP_1) | instskip(SKIP_3) | instid1(VALU_DEP_2)
	v_add3_u32 v242, v242, v253, v97
	v_mul_i32_i24_e32 v97, v127, v207
	v_mul_i32_i24_e32 v127, v240, v234
	v_ashrrev_i32_e32 v240, 24, v117
	v_add3_u32 v126, v126, v127, v97
	v_bfe_i32 v127, v117, 0, 8
	s_delay_alu instid0(VALU_DEP_3) | instskip(NEXT) | instid1(VALU_DEP_2)
	v_mul_i32_i24_e32 v253, v240, v149
	v_mul_i32_i24_e32 v97, v127, v135
	s_delay_alu instid0(VALU_DEP_1) | instskip(SKIP_2) | instid1(VALU_DEP_1)
	v_add3_u32 v142, v142, v253, v97
	v_mul_i32_i24_e32 v97, v127, v215
	v_mul_i32_i24_e32 v253, v240, v219
	v_add3_u32 v244, v244, v253, v97
	v_mul_i32_i24_e32 v97, v127, v221
	v_mul_i32_i24_e32 v253, v240, v225
	s_delay_alu instid0(VALU_DEP_1) | instskip(SKIP_3) | instid1(VALU_DEP_2)
	v_add3_u32 v246, v246, v253, v97
	v_mul_i32_i24_e32 v97, v133, v207
	v_mul_i32_i24_e32 v133, v249, v234
	v_ashrrev_i32_e32 v249, 24, v119
	v_add3_u32 v132, v132, v133, v97
	v_bfe_i32 v133, v119, 0, 8
	s_delay_alu instid0(VALU_DEP_3) | instskip(SKIP_1) | instid1(VALU_DEP_3)
	v_mul_i32_i24_e32 v253, v249, v149
	v_mul_i32_i24_e32 v254, v249, v225
	v_mul_i32_i24_e32 v97, v133, v135
	s_delay_alu instid0(VALU_DEP_1) | instskip(SKIP_3) | instid1(VALU_DEP_1)
	v_add3_u32 v140, v140, v253, v97
	v_mul_i32_i24_e32 v97, v133, v215
	v_mul_i32_i24_e32 v253, v249, v219
	s_set_vgpr_msb 1                        ;  msbs: dst=0 src0=1 src1=0 src2=0
	v_add3_u32 v253, v0 /*v256*/, v253, v97
	s_set_vgpr_msb 0                        ;  msbs: dst=0 src0=0 src1=0 src2=0
	v_mul_i32_i24_e32 v97, v133, v221
	s_set_vgpr_msb 64                       ;  msbs: dst=1 src0=0 src1=0 src2=0
	v_bfe_u32 v0 /*v256*/, v91, 20, 4
	s_set_vgpr_msb 1                        ;  msbs: dst=0 src0=1 src1=0 src2=0
	s_delay_alu instid0(VALU_DEP_2)
	v_add3_u32 v254, v1 /*v257*/, v254, v97
	s_set_vgpr_msb 0                        ;  msbs: dst=0 src0=0 src1=0 src2=0
	v_mul_i32_i24_e32 v97, v131, v207
	v_mul_i32_i24_e32 v131, v250, v234
	v_bfe_i32 v234, v83, 8, 8
	s_set_vgpr_msb 64                       ;  msbs: dst=1 src0=0 src1=0 src2=0
	v_bfe_u32 v1 /*v257*/, v89, 12, 4
	s_set_vgpr_msb 0                        ;  msbs: dst=0 src0=0 src1=0 src2=0
	v_bfe_i32 v207, v115, 8, 8
	v_add3_u32 v112, v112, v131, v97
	s_set_vgpr_msb 4                        ;  msbs: dst=0 src0=0 src1=1 src2=0
	v_mul_i32_i24_e32 v97, v146, v13 /*v269*/
	s_set_vgpr_msb 0                        ;  msbs: dst=0 src0=0 src1=0 src2=0
	v_mul_i32_i24_e32 v131, v85, v222
	s_delay_alu instid0(VALU_DEP_1)
	v_add3_u32 v131, v90, v131, v97
	s_set_vgpr_msb 4                        ;  msbs: dst=0 src0=0 src1=1 src2=0
	v_mul_i32_i24_e32 v90, v146, v16 /*v272*/
	s_set_vgpr_msb 0                        ;  msbs: dst=0 src0=0 src1=0 src2=0
	v_mul_i32_i24_e32 v97, v85, v233
	v_mul_i32_i24_e32 v85, v85, v116
	s_delay_alu instid0(VALU_DEP_2) | instskip(SKIP_3) | instid1(VALU_DEP_2)
	v_add3_u32 v222, v88, v97, v90
	v_mul_i32_i24_e32 v88, v252, v135
	v_mul_i32_i24_e32 v90, v113, v149
	v_bfe_i32 v97, v109, 16, 8
	v_add3_u32 v90, v86, v90, v88
	v_mul_i32_i24_e32 v86, v252, v215
	v_mul_i32_i24_e32 v88, v113, v219
	s_delay_alu instid0(VALU_DEP_1) | instskip(SKIP_4) | instid1(VALU_DEP_3)
	v_add3_u32 v233, v210, v88, v86
	v_mul_i32_i24_e32 v86, v252, v221
	v_mul_i32_i24_e32 v88, v113, v225
	v_bfe_u32 v252, v91, 12, 4
	v_bfe_i32 v210, v119, 16, 8
	v_add3_u32 v113, v121, v88, v86
	v_bfe_i32 v121, v83, 0, 8
	s_delay_alu instid0(VALU_DEP_1) | instskip(SKIP_1) | instid1(VALU_DEP_1)
	v_mul_i32_i24_e32 v86, v121, v135
	v_bfe_u32 v135, v87, 12, 4
	v_mul_i32_i24_e32 v88, v234, v135
	s_delay_alu instid0(VALU_DEP_1)
	v_add3_u32 v250, v209, v86, v88
	v_mul_i32_i24_e32 v86, v145, v118
	v_mul_i32_i24_e32 v88, v211, v111
	v_bfe_u32 v145, v87, 20, 4
	v_bfe_i32 v87, v93, 16, 8
	v_bfe_i32 v209, v117, 16, 8
	s_delay_alu instid0(VALU_DEP_4) | instskip(SKIP_1) | instid1(VALU_DEP_4)
	v_add3_u32 v130, v130, v88, v86
	v_bfe_i32 v86, v93, 8, 8
	v_mul_i32_i24_e32 v93, v87, v145
	s_set_vgpr_msb 4                        ;  msbs: dst=0 src0=0 src1=1 src2=0
	v_mul_i32_i24_e32 v91, v87, v0 /*v256*/
	v_mul_i32_i24_e32 v89, v87, v2 /*v258*/
	s_set_vgpr_msb 0                        ;  msbs: dst=0 src0=0 src1=0 src2=0
	v_mul_i32_i24_e32 v87, v87, v206
	v_mul_i32_i24_e32 v88, v86, v135
	s_delay_alu instid0(VALU_DEP_1) | instskip(SKIP_2) | instid1(VALU_DEP_2)
	v_add3_u32 v211, v208, v88, v93
	v_mul_i32_i24_e32 v88, v86, v252
	v_bfe_i32 v208, v115, 16, 8
	v_add3_u32 v216, v216, v88, v91
	s_set_vgpr_msb 4                        ;  msbs: dst=0 src0=0 src1=1 src2=0
	v_mul_i32_i24_e32 v88, v86, v1 /*v257*/
	s_set_vgpr_msb 0                        ;  msbs: dst=0 src0=0 src1=0 src2=0
	v_mul_i32_i24_e32 v115, v208, v145
	v_mul_i32_i24_e32 v86, v86, v108
	s_delay_alu instid0(VALU_DEP_3) | instskip(SKIP_2) | instid1(VALU_DEP_1)
	v_add3_u32 v223, v223, v88, v89
	v_mul_i32_i24_e32 v88, v226, v247
	v_mul_i32_i24_e32 v89, v220, v111
	v_add3_u32 v220, v120, v88, v89
	v_bfe_i32 v88, v99, 8, 8
	v_bfe_i32 v89, v99, 16, 8
	s_set_vgpr_msb 4                        ;  msbs: dst=0 src0=0 src1=1 src2=0
	v_mul_i32_i24_e32 v120, v97, v0 /*v256*/
	s_set_vgpr_msb 0                        ;  msbs: dst=0 src0=0 src1=0 src2=0
	v_mul_i32_i24_e32 v91, v88, v135
	v_mul_i32_i24_e32 v93, v89, v145
	s_delay_alu instid0(VALU_DEP_1)
	v_add3_u32 v99, v124, v91, v93
	v_mul_i32_i24_e32 v91, v88, v252
	s_set_vgpr_msb 4                        ;  msbs: dst=0 src0=0 src1=1 src2=0
	v_mul_i32_i24_e32 v93, v89, v0 /*v256*/
	v_mul_i32_i24_e32 v124, v209, v0 /*v256*/
	s_set_vgpr_msb 0                        ;  msbs: dst=0 src0=0 src1=0 src2=0
	s_delay_alu instid0(VALU_DEP_2) | instskip(SKIP_4) | instid1(VALU_DEP_1)
	v_add3_u32 v144, v144, v91, v93
	s_set_vgpr_msb 4                        ;  msbs: dst=0 src0=0 src1=1 src2=0
	v_mul_i32_i24_e32 v91, v88, v1 /*v257*/
	v_mul_i32_i24_e32 v93, v89, v2 /*v258*/
	s_set_vgpr_msb 0                        ;  msbs: dst=0 src0=0 src1=0 src2=0
	v_add3_u32 v226, v227, v91, v93
	s_set_vgpr_msb 1                        ;  msbs: dst=0 src0=1 src1=0 src2=0
	v_mul_i32_i24_e32 v91, v17 /*v273*/, v247
	s_set_vgpr_msb 0                        ;  msbs: dst=0 src0=0 src1=0 src2=0
	v_mul_i32_i24_e32 v93, v139, v111
	v_bfe_i32 v139, v104, 8, 8
	s_delay_alu instid0(VALU_DEP_2) | instskip(SKIP_2) | instid1(VALU_DEP_2)
	v_add3_u32 v122, v122, v91, v93
	v_bfe_i32 v93, v109, 8, 8
	v_mul_i32_i24_e32 v109, v97, v145
	v_mul_i32_i24_e32 v91, v93, v135
	s_delay_alu instid0(VALU_DEP_1) | instskip(SKIP_1) | instid1(VALU_DEP_1)
	v_add3_u32 v109, v228, v91, v109
	v_mul_i32_i24_e32 v91, v93, v252
	v_add3_u32 v227, v138, v91, v120
	s_set_vgpr_msb 4                        ;  msbs: dst=0 src0=0 src1=1 src2=0
	v_mul_i32_i24_e32 v91, v93, v1 /*v257*/
	v_mul_i32_i24_e32 v120, v97, v2 /*v258*/
	v_bfe_i32 v138, v94, 0, 8
	s_set_vgpr_msb 0                        ;  msbs: dst=0 src0=0 src1=0 src2=0
	s_delay_alu instid0(VALU_DEP_2)
	v_add3_u32 v228, v236, v91, v120
	v_mul_i32_i24_e32 v91, v137, v247
	s_set_vgpr_msb 4                        ;  msbs: dst=0 src0=0 src1=1 src2=0
	v_mul_i32_i24_e32 v120, v208, v0 /*v256*/
	v_bfe_i32 v137, v94, 8, 8
	s_set_vgpr_msb 0                        ;  msbs: dst=0 src0=0 src1=0 src2=0
	v_add3_u32 v98, v128, v91, v98
	v_mul_i32_i24_e32 v91, v207, v135
	s_delay_alu instid0(VALU_DEP_1) | instskip(SKIP_4) | instid1(VALU_DEP_2)
	v_add3_u32 v115, v136, v91, v115
	v_mul_i32_i24_e32 v91, v207, v252
	s_set_vgpr_msb 4                        ;  msbs: dst=0 src0=0 src1=1 src2=0
	v_mul_i32_i24_e32 v136, v210, v0 /*v256*/
	s_set_vgpr_msb 0                        ;  msbs: dst=0 src0=0 src1=0 src2=0
	v_add3_u32 v128, v239, v91, v120
	s_set_vgpr_msb 4                        ;  msbs: dst=0 src0=0 src1=1 src2=0
	v_mul_i32_i24_e32 v91, v207, v1 /*v257*/
	v_mul_i32_i24_e32 v120, v208, v2 /*v258*/
	s_set_vgpr_msb 0                        ;  msbs: dst=0 src0=0 src1=0 src2=0
	s_delay_alu instid0(VALU_DEP_1) | instskip(SKIP_3) | instid1(VALU_DEP_2)
	v_add3_u32 v236, v242, v91, v120
	v_mul_i32_i24_e32 v91, v238, v247
	v_mul_i32_i24_e32 v120, v143, v111
	v_bfe_i32 v143, v106, 8, 8
	v_add3_u32 v126, v126, v91, v120
	v_bfe_i32 v120, v117, 8, 8
	v_mul_i32_i24_e32 v117, v209, v145
	s_delay_alu instid0(VALU_DEP_2) | instskip(NEXT) | instid1(VALU_DEP_1)
	v_mul_i32_i24_e32 v91, v120, v135
	v_add3_u32 v117, v142, v91, v117
	v_mul_i32_i24_e32 v91, v120, v252
	v_bfe_i32 v142, v96, 0, 8
	s_delay_alu instid0(VALU_DEP_2)
	v_add3_u32 v238, v244, v91, v124
	s_set_vgpr_msb 4                        ;  msbs: dst=0 src0=0 src1=1 src2=0
	v_mul_i32_i24_e32 v91, v120, v1 /*v257*/
	v_mul_i32_i24_e32 v124, v209, v2 /*v258*/
	s_set_vgpr_msb 0                        ;  msbs: dst=0 src0=0 src1=0 src2=0
	v_mul_i32_i24_e32 v120, v120, v108
	s_delay_alu instid0(VALU_DEP_2) | instskip(SKIP_3) | instid1(VALU_DEP_2)
	v_add3_u32 v239, v246, v91, v124
	v_mul_i32_i24_e32 v91, v245, v247
	v_mul_i32_i24_e32 v124, v141, v111
	v_bfe_i32 v141, v96, 8, 8
	v_add3_u32 v132, v132, v91, v124
	v_bfe_i32 v124, v119, 8, 8
	v_mul_i32_i24_e32 v119, v210, v145
	s_delay_alu instid0(VALU_DEP_2) | instskip(NEXT) | instid1(VALU_DEP_1)
	v_mul_i32_i24_e32 v91, v124, v135
	v_add3_u32 v119, v140, v91, v119
	v_mul_i32_i24_e32 v91, v124, v252
	v_bfe_i32 v140, v104, 0, 8
	s_delay_alu instid0(VALU_DEP_2)
	v_add3_u32 v242, v253, v91, v136
	s_set_vgpr_msb 4                        ;  msbs: dst=0 src0=0 src1=1 src2=0
	v_mul_i32_i24_e32 v91, v124, v1 /*v257*/
	v_mul_i32_i24_e32 v136, v210, v2 /*v258*/
	s_set_vgpr_msb 0                        ;  msbs: dst=0 src0=0 src1=0 src2=0
	v_mul_i32_i24_e32 v124, v124, v108
	s_delay_alu instid0(VALU_DEP_2) | instskip(SKIP_4) | instid1(VALU_DEP_3)
	v_add3_u32 v244, v254, v91, v136
	v_mul_i32_i24_e32 v91, v147, v111
	v_mul_i32_i24_e32 v111, v255, v247
	;; [unrolled: 1-line block ×3, first 2 shown]
	v_bfe_i32 v147, v100, 0, 8
	v_add3_u32 v111, v112, v111, v91
	v_mul_i32_i24_e32 v91, v231, v135
	v_mul_i32_i24_e32 v112, v248, v145
	s_delay_alu instid0(VALU_DEP_1) | instskip(SKIP_4) | instid1(VALU_DEP_1)
	v_add3_u32 v112, v90, v91, v112
	v_mul_i32_i24_e32 v90, v231, v252
	s_set_vgpr_msb 4                        ;  msbs: dst=0 src0=0 src1=1 src2=0
	v_mul_i32_i24_e32 v91, v248, v0 /*v256*/
	s_set_vgpr_msb 0                        ;  msbs: dst=0 src0=0 src1=0 src2=0
	v_add3_u32 v233, v233, v90, v91
	s_set_vgpr_msb 4                        ;  msbs: dst=0 src0=0 src1=1 src2=0
	v_mul_i32_i24_e32 v90, v231, v1 /*v257*/
	v_mul_i32_i24_e32 v91, v248, v2 /*v258*/
	s_set_vgpr_msb 0                        ;  msbs: dst=0 src0=0 src1=0 src2=0
	s_delay_alu instid0(VALU_DEP_1) | instskip(SKIP_2) | instid1(VALU_DEP_2)
	v_add3_u32 v113, v113, v90, v91
	v_bfe_i32 v90, v83, 16, 8
	v_ashrrev_i32_e32 v91, 24, v83
	v_mul_i32_i24_e32 v83, v90, v145
	s_delay_alu instid0(VALU_DEP_2) | instskip(NEXT) | instid1(VALU_DEP_1)
	v_mul_i32_i24_e32 v135, v91, v149
	v_add3_u32 v83, v250, v83, v135
	v_mul_i32_i24_e32 v135, v121, v215
	s_delay_alu instid0(VALU_DEP_1) | instskip(SKIP_4) | instid1(VALU_DEP_1)
	v_add3_u32 v131, v131, v135, v136
	v_mul_i32_i24_e32 v135, v121, v221
	s_set_vgpr_msb 4                        ;  msbs: dst=0 src0=0 src1=1 src2=0
	v_mul_i32_i24_e32 v136, v234, v1 /*v257*/
	s_set_vgpr_msb 0                        ;  msbs: dst=0 src0=0 src1=0 src2=0
	v_add3_u32 v145, v222, v135, v136
	v_mul_i32_i24_e32 v135, v146, v247
	v_bfe_i32 v136, v102, 0, 8
	v_bfe_i32 v146, v100, 8, 8
	s_delay_alu instid0(VALU_DEP_3) | instskip(SKIP_2) | instid1(VALU_DEP_2)
	v_add3_u32 v130, v130, v85, v135
	v_mul_i32_i24_e32 v85, v214, v118
	v_bfe_i32 v135, v102, 8, 8
	v_add3_u32 v149, v220, v85, v95
	v_mul_i32_i24_e32 v85, v136, v200
	s_delay_alu instid0(VALU_DEP_3) | instskip(NEXT) | instid1(VALU_DEP_1)
	v_mul_i32_i24_e32 v95, v135, v201
	v_add3_u32 v214, v99, v85, v95
	v_mul_i32_i24_e32 v85, v138, v200
	v_mul_i32_i24_e32 v95, v137, v201
	v_mul_i32_i24_e32 v99, v234, v108
	s_delay_alu instid0(VALU_DEP_2) | instskip(SKIP_2) | instid1(VALU_DEP_1)
	v_add3_u32 v211, v211, v85, v95
	v_mul_i32_i24_e32 v85, v136, v204
	v_mul_i32_i24_e32 v95, v135, v205
	v_add3_u32 v215, v144, v85, v95
	v_mul_i32_i24_e32 v85, v138, v204
	v_mul_i32_i24_e32 v95, v137, v205
	v_bfe_i32 v144, v106, 0, 8
	s_delay_alu instid0(VALU_DEP_2) | instskip(SKIP_2) | instid1(VALU_DEP_1)
	v_add3_u32 v216, v216, v85, v95
	v_mul_i32_i24_e32 v85, v136, v202
	v_mul_i32_i24_e32 v95, v135, v203
	v_add3_u32 v220, v226, v85, v95
	v_mul_i32_i24_e32 v85, v138, v202
	v_mul_i32_i24_e32 v95, v137, v203
	s_delay_alu instid0(VALU_DEP_1) | instskip(SKIP_2) | instid1(VALU_DEP_1)
	v_add3_u32 v221, v223, v85, v95
	v_mul_i32_i24_e32 v85, v218, v118
	v_mul_i32_i24_e32 v95, v103, v116
	v_add3_u32 v103, v122, v85, v95
	v_mul_i32_i24_e32 v85, v229, v118
	v_mul_i32_i24_e32 v95, v232, v116
	s_delay_alu instid0(VALU_DEP_1) | instskip(SKIP_3) | instid1(VALU_DEP_2)
	v_add3_u32 v122, v98, v85, v95
	v_mul_i32_i24_e32 v85, v140, v200
	v_mul_i32_i24_e32 v95, v139, v201
	;; [unrolled: 1-line block ×3, first 2 shown]
	v_add3_u32 v115, v115, v85, v95
	v_mul_i32_i24_e32 v85, v142, v200
	v_mul_i32_i24_e32 v95, v141, v201
	s_delay_alu instid0(VALU_DEP_1) | instskip(SKIP_2) | instid1(VALU_DEP_1)
	v_add3_u32 v218, v109, v85, v95
	v_mul_i32_i24_e32 v85, v140, v204
	v_mul_i32_i24_e32 v95, v139, v205
	v_add3_u32 v128, v128, v85, v95
	v_mul_i32_i24_e32 v85, v142, v204
	v_mul_i32_i24_e32 v95, v141, v205
	s_delay_alu instid0(VALU_DEP_1) | instskip(SKIP_2) | instid1(VALU_DEP_1)
	v_add3_u32 v222, v227, v85, v95
	v_mul_i32_i24_e32 v85, v140, v202
	v_mul_i32_i24_e32 v95, v139, v203
	;; [unrolled: 7-line block ×3, first 2 shown]
	v_add3_u32 v126, v126, v85, v95
	v_mul_i32_i24_e32 v85, v243, v118
	v_mul_i32_i24_e32 v95, v101, v116
	v_mul_i32_i24_e32 v101, v213, v92
	s_delay_alu instid0(VALU_DEP_2) | instskip(SKIP_2) | instid1(VALU_DEP_1)
	v_add3_u32 v132, v132, v85, v95
	v_mul_i32_i24_e32 v85, v144, v200
	v_mul_i32_i24_e32 v95, v143, v201
	v_add3_u32 v227, v119, v85, v95
	v_mul_i32_i24_e32 v85, v147, v200
	v_mul_i32_i24_e32 v95, v146, v201
	s_delay_alu instid0(VALU_DEP_1) | instskip(SKIP_2) | instid1(VALU_DEP_1)
	v_add3_u32 v119, v117, v85, v95
	v_mul_i32_i24_e32 v85, v144, v204
	v_mul_i32_i24_e32 v95, v143, v205
	v_add3_u32 v228, v242, v85, v95
	v_mul_i32_i24_e32 v85, v147, v204
	v_mul_i32_i24_e32 v95, v146, v205
	s_delay_alu instid0(VALU_DEP_1) | instskip(SKIP_3) | instid1(VALU_DEP_2)
	v_add3_u32 v229, v238, v85, v95
	v_mul_i32_i24_e32 v85, v144, v202
	v_mul_i32_i24_e32 v95, v143, v203
	;; [unrolled: 1-line block ×3, first 2 shown]
	v_add3_u32 v231, v244, v85, v95
	v_mul_i32_i24_e32 v85, v147, v202
	v_mul_i32_i24_e32 v95, v146, v203
	v_bfe_i32 v202, v102, 16, 8
	s_delay_alu instid0(VALU_DEP_2) | instskip(SKIP_2) | instid1(VALU_DEP_1)
	v_add3_u32 v232, v239, v85, v95
	v_mul_i32_i24_e32 v85, v251, v118
	v_mul_i32_i24_e32 v95, v107, v116
	v_add3_u32 v236, v111, v85, v95
	v_mul_i32_i24_e32 v85, v148, v201
	v_mul_i32_i24_e32 v95, v114, v200
	v_bfe_i32 v200, v94, 16, 8
	v_ashrrev_i32_e32 v94, 24, v94
	v_ashrrev_i32_e32 v201, 24, v102
	s_delay_alu instid0(VALU_DEP_4)
	v_add3_u32 v237, v112, v95, v85
	v_mul_i32_i24_e32 v85, v148, v205
	v_mul_i32_i24_e32 v95, v114, v204
	;; [unrolled: 1-line block ×4, first 2 shown]
	v_bfe_i32 v204, v96, 16, 8
	v_ashrrev_i32_e32 v205, 24, v104
	v_add3_u32 v233, v233, v95, v85
	s_set_vgpr_msb 4                        ;  msbs: dst=0 src0=0 src1=1 src2=0
	v_mul_i32_i24_e32 v85, v90, v0 /*v256*/
	s_set_vgpr_msb 0                        ;  msbs: dst=0 src0=0 src1=0 src2=0
	v_mul_i32_i24_e32 v95, v91, v219
	s_delay_alu instid0(VALU_DEP_1) | instskip(SKIP_3) | instid1(VALU_DEP_3)
	v_add3_u32 v85, v131, v85, v95
	v_mul_i32_i24_e32 v95, v148, v203
	v_ashrrev_i32_e32 v203, 24, v96
	v_mul_i32_i24_e32 v96, v204, v161
	v_add3_u32 v131, v113, v98, v95
	s_set_vgpr_msb 4                        ;  msbs: dst=0 src0=0 src1=1 src2=0
	v_mul_i32_i24_e32 v95, v90, v2 /*v258*/
	s_set_vgpr_msb 0                        ;  msbs: dst=0 src0=0 src1=0 src2=0
	v_mul_i32_i24_e32 v98, v91, v225
	v_mul_i32_i24_e32 v91, v91, v92
	;; [unrolled: 1-line block ×3, first 2 shown]
	s_delay_alu instid0(VALU_DEP_3) | instskip(SKIP_1) | instid1(VALU_DEP_1)
	v_add3_u32 v95, v145, v95, v98
	v_mul_i32_i24_e32 v98, v121, v241
	v_add3_u32 v99, v130, v98, v99
	v_mul_i32_i24_e32 v98, v212, v241
	s_delay_alu instid0(VALU_DEP_1)
	v_add3_u32 v98, v149, v101, v98
	v_mul_i32_i24_e32 v101, v200, v161
	ds_load_2addr_b32 v[148:149], v151 offset1:32
	v_ashrrev_i32_e32 v213, 24, v100
	v_add3_u32 v105, v211, v101, v105
	v_mul_i32_i24_e32 v101, v202, v161
	v_bfe_i32 v211, v104, 16, 8
	s_delay_alu instid0(VALU_DEP_2) | instskip(SKIP_4) | instid1(VALU_DEP_3)
	v_add3_u32 v107, v214, v101, v102
	v_mul_i32_i24_e32 v101, v200, v163
	v_mul_i32_i24_e32 v102, v199, v94
	v_bfe_i32 v214, v100, 16, 8
	v_mul_i32_i24_e32 v100, v162, v213
	v_add3_u32 v109, v216, v101, v102
	v_mul_i32_i24_e32 v101, v202, v163
	v_mul_i32_i24_e32 v102, v199, v201
	v_bfe_i32 v216, v106, 16, 8
	s_delay_alu instid0(VALU_DEP_2) | instskip(SKIP_3) | instid1(VALU_DEP_2)
	v_add3_u32 v111, v215, v101, v102
	v_mul_i32_i24_e32 v101, v200, v197
	v_mul_i32_i24_e32 v102, v198, v94
	v_ashrrev_i32_e32 v215, 24, v106
	v_add3_u32 v112, v221, v101, v102
	v_mul_i32_i24_e32 v101, v202, v197
	v_mul_i32_i24_e32 v102, v198, v201
	s_delay_alu instid0(VALU_DEP_3) | instskip(NEXT) | instid1(VALU_DEP_2)
	v_cvt_f32_i32_e32 v112, v112
	v_add3_u32 v113, v220, v101, v102
	v_mul_i32_i24_e32 v101, v125, v241
	v_mul_i32_i24_e32 v102, v230, v92
	s_delay_alu instid0(VALU_DEP_3) | instskip(NEXT) | instid1(VALU_DEP_2)
	v_cvt_f32_i32_e32 v113, v113
	v_add3_u32 v102, v103, v102, v101
	v_mul_i32_i24_e32 v101, v123, v241
	v_mul_i32_i24_e32 v103, v224, v92
	s_delay_alu instid0(VALU_DEP_1) | instskip(SKIP_1) | instid1(VALU_DEP_1)
	v_add3_u32 v101, v122, v103, v101
	v_mul_i32_i24_e32 v103, v162, v203
	v_add3_u32 v114, v218, v96, v103
	v_mul_i32_i24_e32 v96, v211, v161
	v_mul_i32_i24_e32 v103, v162, v205
	s_delay_alu instid0(VALU_DEP_1) | instskip(SKIP_2) | instid1(VALU_DEP_1)
	v_add3_u32 v104, v115, v96, v103
	v_mul_i32_i24_e32 v96, v204, v163
	v_mul_i32_i24_e32 v103, v199, v203
	v_add3_u32 v115, v222, v96, v103
	v_mul_i32_i24_e32 v96, v211, v163
	v_mul_i32_i24_e32 v103, v199, v205
	s_delay_alu instid0(VALU_DEP_1) | instskip(SKIP_2) | instid1(VALU_DEP_1)
	v_add3_u32 v116, v128, v96, v103
	v_mul_i32_i24_e32 v96, v204, v197
	;; [unrolled: 7-line block ×3, first 2 shown]
	v_mul_i32_i24_e32 v103, v235, v92
	v_add3_u32 v212, v126, v103, v96
	v_mul_i32_i24_e32 v96, v127, v241
	v_mul_i32_i24_e32 v103, v240, v92
	s_delay_alu instid0(VALU_DEP_1) | instskip(SKIP_4) | instid1(VALU_DEP_4)
	v_add3_u32 v130, v132, v103, v96
	v_mul_i32_i24_e32 v96, v214, v161
	v_add3_u32 v132, v98, v86, v87
	v_mul_i32_i24_e32 v86, v89, v206
	v_mul_i32_i24_e32 v87, v88, v108
	v_add3_u32 v119, v119, v96, v100
	v_mul_i32_i24_e32 v96, v216, v161
	v_mul_i32_i24_e32 v100, v162, v215
	s_delay_alu instid0(VALU_DEP_1) | instskip(SKIP_2) | instid1(VALU_DEP_1)
	v_add3_u32 v106, v227, v96, v100
	v_mul_i32_i24_e32 v96, v214, v163
	v_mul_i32_i24_e32 v100, v199, v213
	v_add3_u32 v121, v229, v96, v100
	v_mul_i32_i24_e32 v96, v216, v163
	v_mul_i32_i24_e32 v100, v199, v215
	s_delay_alu instid0(VALU_DEP_1) | instskip(SKIP_2) | instid1(VALU_DEP_1)
	v_add3_u32 v122, v228, v96, v100
	v_mul_i32_i24_e32 v96, v214, v197
	v_mul_i32_i24_e32 v100, v198, v213
	v_add3_u32 v123, v232, v96, v100
	v_mul_i32_i24_e32 v96, v216, v197
	v_mul_i32_i24_e32 v100, v198, v215
	s_delay_alu instid0(VALU_DEP_1)
	v_add3_u32 v125, v231, v96, v100
	v_mul_i32_i24_e32 v96, v133, v241
	v_mul_i32_i24_e32 v100, v249, v92
	v_add3_u32 v133, v102, v87, v86
	v_mul_i32_i24_e32 v86, v97, v206
	v_mul_i32_i24_e32 v87, v93, v108
	s_delay_alu instid0(VALU_DEP_4) | instskip(SKIP_2) | instid1(VALU_DEP_1)
	v_add3_u32 v129, v236, v100, v96
	v_mul_i32_i24_e32 v96, v134, v161
	v_mul_i32_i24_e32 v100, v217, v162
	v_add3_u32 v126, v237, v96, v100
	v_mul_i32_i24_e32 v96, v134, v163
	v_mul_i32_i24_e32 v100, v217, v199
	ds_load_2addr_b32 v[162:163], v151 offset0:64 offset1:96
	s_wait_dscnt 0x1
	v_lshrrev_b32_e32 v102, 16, v148
	v_mul_i32_i24_e32 v199, v135, v158
	v_mul_i32_i24_e32 v135, v216, v157
	v_add3_u32 v127, v233, v96, v100
	v_mul_i32_i24_e32 v96, v134, v197
	v_mul_i32_i24_e32 v100, v217, v198
	v_add3_u32 v134, v101, v87, v86
	v_mul_i32_i24_e32 v198, v137, v158
	v_mul_i32_i24_e32 v197, v139, v158
	v_mul_i32_i24_e32 v139, v202, v157
	v_add3_u32 v128, v131, v96, v100
	v_add3_u32 v131, v99, v90, v91
	ds_load_2addr_b32 v[98:99], v151 offset0:128 offset1:160
	ds_load_2addr_b32 v[96:97], v151 offset0:192 offset1:224
	v_cvt_f32_f16_e64 v91, v149
	v_cvt_f32_f16_e64 v90, v148
	v_lshrrev_b32_e32 v100, 16, v149
	v_mul_i32_i24_e32 v137, v211, v157
	v_cvt_f32_i32_e32 v202, v131
	s_wait_dscnt 0x2
	v_dual_lshrrev_b32 v101, 16, v163 :: v_dual_lshrrev_b32 v103, 16, v162
	v_cvt_f32_f16_e64 v87, v163
	v_cvt_f32_f16_e64 v86, v162
	v_mul_i32_i24_e32 v163, v141, v158
	v_mul_i32_i24_e32 v162, v143, v158
	;; [unrolled: 1-line block ×5, first 2 shown]
	v_add_nc_u32_e32 v151, 4, v151
	s_wait_dscnt 0x1
	v_dual_lshrrev_b32 v145, 16, v99 :: v_dual_lshrrev_b32 v148, 16, v98
	s_wait_dscnt 0x0
	v_dual_lshrrev_b32 v149, 16, v97 :: v_dual_lshrrev_b32 v161, 16, v96
	v_cvt_f32_f16_e32 v89, v99
	v_cvt_f32_f16_e32 v88, v98
	v_cvt_f32_f16_e32 v93, v97
	v_cvt_f32_f16_e32 v92, v96
	v_cvt_f32_f16_e32 v97, v100
	v_cvt_f32_f16_e32 v96, v102
	v_cvt_f32_f16_e32 v99, v101
	v_cvt_f32_f16_e32 v98, v103
	v_cvt_f32_f16_e64 v101, v145
	v_cvt_f32_f16_e64 v100, v148
	;; [unrolled: 1-line block ×4, first 2 shown]
	v_mul_i32_i24_e32 v149, v138, v159
	v_mul_i32_i24_e32 v161, v136, v159
	;; [unrolled: 1-line block ×16, first 2 shown]
	v_pk_mul_f32 v[98:99], v[98:99], s[10:11] op_sel_hi:[1,0]
	v_pk_mul_f32 v[100:101], v[100:101], s[10:11] op_sel_hi:[1,0]
	;; [unrolled: 1-line block ×3, first 2 shown]
	v_add3_u32 v160, v212, v160, v94
	ds_load_b32 v94, v154
	v_add3_u32 v130, v130, v120, v201
	v_cvt_f32_i32_e32 v108, v83
	v_add3_u32 v83, v129, v124, v200
	v_cvt_f32_i32_e32 v201, v107
	v_cvt_f32_i32_e32 v200, v105
	;; [unrolled: 1-line block ×20, first 2 shown]
	v_pk_fma_f32 v[122:123], v[86:87], v[200:201], v[98:99] neg_lo:[0,0,1] neg_hi:[0,0,1]
	v_pk_fma_f32 v[124:125], v[86:87], v[204:205], v[98:99] neg_lo:[0,0,1] neg_hi:[0,0,1]
	;; [unrolled: 1-line block ×3, first 2 shown]
	v_add3_u32 v85, v133, v161, v199
	v_add3_u32 v95, v132, v149, v198
	v_pk_fma_f32 v[104:105], v[88:89], v[104:105], v[100:101] neg_lo:[0,0,1] neg_hi:[0,0,1]
	v_add3_u32 v128, v160, v148, v197
	v_add3_u32 v129, v134, v145, v163
	v_pk_fma_f32 v[106:107], v[92:93], v[106:107], v[102:103] neg_lo:[0,0,1] neg_hi:[0,0,1]
	v_add3_u32 v83, v83, v144, v162
	v_add3_u32 v130, v130, v140, v159
	v_pk_mul_f32 v[96:97], v[96:97], s[10:11] op_sel_hi:[1,0]
	v_cvt_f32_i32_e32 v109, v126
	v_cvt_f32_i32_e32 v111, v127
	v_pk_fma_f32 v[26:27], v[82:83], v[122:123], v[26:27] op_sel_hi:[0,1,1]
	v_pk_fma_f32 v[24:25], v[84:85], v[124:125], v[24:25] op_sel_hi:[0,1,1]
	s_wait_dscnt 0x0
	v_pk_fma_f32 v[22:23], v[94:95], v[112:113], v[22:23] op_sel_hi:[0,1,1]
	v_add3_u32 v95, v95, v143, v157
	v_add3_u32 v85, v85, v139, v158
	v_pk_fma_f32 v[14:15], v[82:83], v[104:105], v[14:15] op_sel_hi:[0,1,1]
	v_add3_u32 v104, v129, v138, v146
	v_add3_u32 v105, v128, v137, v147
	;; [unrolled: 3-line block ×3, first 2 shown]
	v_pk_fma_f32 v[126:127], v[88:89], v[206:207], v[100:101] neg_lo:[0,0,1] neg_hi:[0,0,1]
	v_pk_fma_f32 v[116:117], v[92:93], v[116:117], v[102:103] neg_lo:[0,0,1] neg_hi:[0,0,1]
	;; [unrolled: 1-line block ×6, first 2 shown]
	v_cvt_f32_i32_e32 v97, v85
	v_cvt_f32_i32_e32 v96, v95
	v_cvt_f32_i32_e32 v105, v105
	v_cvt_f32_i32_e32 v104, v104
	v_cvt_f32_i32_e32 v107, v83
	v_cvt_f32_i32_e32 v106, v106
	v_pk_fma_f32 v[114:115], v[88:89], v[114:115], v[100:101] neg_lo:[0,0,1] neg_hi:[0,0,1]
	v_pk_fma_f32 v[118:119], v[92:93], v[118:119], v[102:103] neg_lo:[0,0,1] neg_hi:[0,0,1]
	v_pk_fma_f32 v[12:13], v[84:85], v[126:127], v[12:13] op_sel_hi:[0,1,1]
	v_pk_fma_f32 v[4:5], v[84:85], v[116:117], v[4:5] op_sel_hi:[0,1,1]
	;; [unrolled: 1-line block ×4, first 2 shown]
	v_pk_fma_f32 v[82:83], v[86:87], v[96:97], v[98:99] neg_lo:[0,0,1] neg_hi:[0,0,1]
	v_pk_fma_f32 v[84:85], v[88:89], v[104:105], v[100:101] neg_lo:[0,0,1] neg_hi:[0,0,1]
	;; [unrolled: 1-line block ×3, first 2 shown]
	v_add_nc_u32_e32 v154, 4, v154
	v_pk_fma_f32 v[10:11], v[94:95], v[114:115], v[10:11] op_sel_hi:[0,1,1]
	v_pk_fma_f32 v[2:3], v[94:95], v[118:119], v[2:3] op_sel_hi:[0,1,1]
	;; [unrolled: 1-line block ×7, first 2 shown]
	s_cbranch_scc1 .LBB158_9
; %bb.10:                               ;   in Loop: Header=BB158_7 Depth=1
	s_and_b32 s12, s7, -4
	s_delay_alu instid0(SALU_CYCLE_1)
	s_cmp_eq_u32 s12, 4
	s_barrier_signal -1
	s_barrier_wait -1
	s_cbranch_scc1 .LBB158_6
; %bb.11:                               ;   in Loop: Header=BB158_7 Depth=1
	v_dual_add_nc_u32 v80, s4, v176 :: v_dual_add_nc_u32 v96, 4, v81
	v_dual_mov_b32 v197, v195 :: v_dual_mov_b32 v198, v185
	v_dual_mov_b32 v199, v193 :: v_dual_mov_b32 v200, v191
	s_delay_alu instid0(VALU_DEP_3) | instskip(SKIP_3) | instid1(VALU_DEP_4)
	v_dual_add_nc_u32 v86, v80, v170 :: v_dual_add_nc_u32 v81, v80, v175
	v_dual_add_nc_u32 v82, v80, v168 :: v_dual_add_nc_u32 v84, v80, v169
	;; [unrolled: 1-line block ×4, first 2 shown]
	v_mad_nc_i64_i32 v[80:81], v81, 36, v[38:39]
	s_delay_alu instid0(VALU_DEP_4)
	v_mad_nc_i64_i32 v[82:83], v82, 36, v[38:39]
	v_mad_nc_i64_i32 v[84:85], v84, 36, v[38:39]
	;; [unrolled: 1-line block ×7, first 2 shown]
	v_mad_nc_u64_u32 v[96:97], v96, 36, s[2:3]
	s_clause 0x8
	global_load_b32 v98, v[80:81], off offset:4
	global_load_b32 v99, v[82:83], off offset:4
	;; [unrolled: 1-line block ×8, first 2 shown]
	global_load_b32 v106, v[96:97], off
	v_dual_mov_b32 v201, v189 :: v_dual_mov_b32 v202, v187
	v_mov_b32_e32 v203, v196
	s_mov_b32 s12, 12
	s_wait_loadcnt 0x8
	ds_store_b32 v183, v98
	s_wait_loadcnt 0x7
	ds_store_b32 v184, v99
	;; [unrolled: 2-line block ×9, first 2 shown]
	s_wait_dscnt 0x0
	s_barrier_signal -1
	s_barrier_wait -1
.LBB158_12:                             ;   Parent Loop BB158_7 Depth=1
                                        ; =>  This Inner Loop Header: Depth=2
	ds_load_2addr_b32 v[84:85], v198 offset1:3
	ds_load_2addr_b32 v[82:83], v198 offset0:4 offset1:7
	ds_load_2addr_b32 v[80:81], v197 offset1:32
	ds_load_2addr_b32 v[88:89], v198 offset0:1 offset1:2
	ds_load_2addr_b32 v[86:87], v198 offset0:5 offset1:6
	ds_load_2addr_b32 v[90:91], v203 offset1:1
	ds_load_2addr_b32 v[92:93], v203 offset0:2 offset1:3
	v_add_nc_u32_e32 v96, 0x1080, v203
	v_add_nc_u32_e32 v97, 0x1088, v203
	;; [unrolled: 1-line block ×23, first 2 shown]
	ds_load_2addr_b32 v[94:95], v197 offset0:64 offset1:96
	ds_load_2addr_b32 v[150:151], v197 offset0:128 offset1:160
	v_add_nc_u32_e32 v204, 0x1814, v198
	ds_load_2addr_b32 v[224:225], v197 offset0:192 offset1:224
	v_add_nc_u32_e32 v205, 0x1c04, v198
	v_add_nc_u32_e32 v206, 0x1c14, v198
	;; [unrolled: 1-line block ×3, first 2 shown]
	ds_load_2addr_b32 v[162:163], v96 offset1:1
	ds_load_2addr_b32 v[148:149], v97 offset1:1
	;; [unrolled: 1-line block ×4, first 2 shown]
	ds_load_2addr_b32 v[152:153], v102 offset0:4 offset1:7
	ds_load_2addr_b32 v[242:243], v100 offset1:1
	ds_load_2addr_b32 v[144:145], v101 offset1:1
	ds_load_2addr_b32 v[160:161], v103 offset1:1
	ds_load_2addr_b32 v[158:159], v104 offset1:1
	ds_load_2addr_b32 v[154:155], v102 offset1:3
	ds_load_2addr_b32 v[126:127], v107 offset1:3
	ds_load_2addr_b32 v[136:137], v107 offset0:4 offset1:7
	ds_load_2addr_b32 v[142:143], v105 offset1:1
	ds_load_2addr_b32 v[140:141], v106 offset1:1
	;; [unrolled: 1-line block ×5, first 2 shown]
	ds_load_2addr_b32 v[132:133], v110 offset0:4 offset1:7
	ds_load_2addr_b32 v[108:109], v113 offset1:3
	ds_load_2addr_b32 v[120:121], v113 offset0:4 offset1:7
	ds_load_2addr_b32 v[128:129], v111 offset1:1
	ds_load_2addr_b32 v[124:125], v112 offset1:1
	;; [unrolled: 1-line block ×5, first 2 shown]
	ds_load_2addr_b32 v[112:113], v116 offset0:4 offset1:7
	ds_load_2addr_b32 v[96:97], v118 offset1:3
	ds_load_2addr_b32 v[104:105], v118 offset0:4 offset1:7
	ds_load_2addr_b32 v[118:119], v117 offset1:1
	ds_load_2addr_b32 v[106:107], v204 offset1:1
	;; [unrolled: 1-line block ×5, first 2 shown]
	ds_load_2addr_b32 v[100:101], v207 offset0:4 offset1:7
	s_wait_dscnt 0x2b
	v_bfe_i32 v245, v84, 0, 8
	s_wait_dscnt 0x26
	s_set_vgpr_msb 64                       ;  msbs: dst=1 src0=0 src1=0 src2=0
	v_dual_ashrrev_i32 v0 /*v256*/, 24, v88 :: v_dual_bitop2_b32 v36 /*v292*/, 15, v90 bitop3:0x40
	s_set_vgpr_msb 0                        ;  msbs: dst=0 src0=0 src1=0 src2=0
	v_bfe_i32 v246, v84, 8, 8
	v_bfe_i32 v247, v84, 16, 8
	v_dual_ashrrev_i32 v248, 24, v84 :: v_dual_ashrrev_i32 v252, 24, v82
	s_set_vgpr_msb 64                       ;  msbs: dst=1 src0=0 src1=0 src2=0
	v_bfe_u32 v40 /*v296*/, v90, 8, 4
	v_bfe_u32 v44 /*v300*/, v90, 24, 4
	;; [unrolled: 1-line block ×3, first 2 shown]
	s_set_vgpr_msb 0x41                     ;  msbs: dst=1 src0=1 src1=0 src2=0
	v_mul_i32_i24_e32 v16 /*v272*/, v36 /*v292*/, v245
	s_set_vgpr_msb 0                        ;  msbs: dst=0 src0=0 src1=0 src2=0
	v_bfe_i32 v249, v82, 0, 8
	v_bfe_i32 v250, v82, 8, 8
	v_dual_ashrrev_i32 v237, 24, v86 :: v_dual_ashrrev_i32 v221, 24, v89
	v_bfe_i32 v227, v89, 0, 8
	v_bfe_i32 v226, v89, 8, 8
	;; [unrolled: 1-line block ×3, first 2 shown]
	v_bfe_u32 v89, v90, 4, 4
	s_set_vgpr_msb 64                       ;  msbs: dst=1 src0=0 src1=0 src2=0
	v_bfe_u32 v3 /*v259*/, v90, 12, 4
	s_wait_dscnt 0x21
	v_dual_lshrrev_b32 v39 /*v295*/, 28, v162 :: v_dual_bitop2_b32 v50 /*v306*/, 15, v162 bitop3:0x40
	s_wait_dscnt 0x1f
	v_dual_lshrrev_b32 v58 /*v314*/, 28, v156 :: v_dual_bitop2_b32 v51 /*v307*/, 15, v156 bitop3:0x40
	s_wait_dscnt 0x1c
	v_bfe_u32 v65 /*v321*/, v243, 24, 4
	v_and_b32_e32 v66 /*v322*/, 0xf0f0f0f, v243
	v_dual_lshrrev_b32 v67 /*v323*/, 4, v243 :: v_dual_lshrrev_b32 v68 /*v324*/, 28, v243
	s_set_vgpr_msb 0x41                     ;  msbs: dst=1 src0=1 src1=0 src2=0
	v_mul_i32_i24_e32 v70 /*v326*/, v41 /*v297*/, v247
	v_mul_i32_i24_e32 v71 /*v327*/, v44 /*v300*/, v248
	s_set_vgpr_msb 64                       ;  msbs: dst=1 src0=0 src1=0 src2=0
	v_bfe_u32 v73 /*v329*/, v242, 4, 4
	v_dual_ashrrev_i32 v74 /*v330*/, 24, v152 :: v_dual_bitop2_b32 v81 /*v337*/, 15, v243 bitop3:0x40
	v_bfe_i32 v77 /*v333*/, v152, 0, 8
	v_bfe_u32 v80 /*v336*/, v243, 16, 4
	s_wait_dscnt 0x1a
	v_bfe_i32 v86 /*v342*/, v160, 0, 8
	s_set_vgpr_msb 0                        ;  msbs: dst=0 src0=0 src1=0 src2=0
	v_bfe_u32 v239, v243, 20, 4
	v_bfe_u32 v243, v243, 4, 4
	s_wait_dscnt 0x19
	s_set_vgpr_msb 64                       ;  msbs: dst=1 src0=0 src1=0 src2=0
	v_bfe_i32 v90 /*v346*/, v158, 0, 8
	s_set_vgpr_msb 0x51                     ;  msbs: dst=1 src0=1 src1=0 src2=1
	v_mad_i32_i24 v16 /*v272*/, v40 /*v296*/, v246, v16 /*v272*/
	s_set_vgpr_msb 64                       ;  msbs: dst=1 src0=0 src1=0 src2=0
	v_mul_i32_i24_e32 v17 /*v273*/, v89, v249
	s_set_vgpr_msb 0x41                     ;  msbs: dst=1 src0=1 src1=0 src2=0
	v_mul_i32_i24_e32 v18 /*v274*/, v3 /*v259*/, v250
	s_set_vgpr_msb 64                       ;  msbs: dst=1 src0=0 src1=0 src2=0
	v_bfe_u32 v57 /*v313*/, v156, 12, 4
	v_dual_lshrrev_b32 v64 /*v320*/, 28, v242 :: v_dual_bitop2_b32 v93 /*v349*/, 15, v242 bitop3:0x40
	s_set_vgpr_msb 0                        ;  msbs: dst=0 src0=0 src1=0 src2=0
	v_lshrrev_b32_e32 v235, 28, v144
	s_set_vgpr_msb 64                       ;  msbs: dst=1 src0=0 src1=0 src2=0
	v_lshrrev_b16 v69 /*v325*/, 8, v152
	v_bfe_u32 v56 /*v312*/, v162, 8, 4
	v_bfe_u32 v112 /*v368*/, v162, 24, 4
	;; [unrolled: 1-line block ×6, first 2 shown]
	v_bfe_i32 v79 /*v335*/, v152, 16, 8
	s_set_vgpr_msb 0                        ;  msbs: dst=0 src0=0 src1=0 src2=0
	v_and_b32_e32 v152, 15, v144
	s_set_vgpr_msb 64                       ;  msbs: dst=1 src0=0 src1=0 src2=0
	v_bfe_i32 v95 /*v351*/, v161, 0, 8
	s_set_vgpr_msb 0                        ;  msbs: dst=0 src0=0 src1=0 src2=0
	v_bfe_u32 v236, v144, 4, 4
	v_bfe_i32 v238, v159, 0, 8
	s_wait_dscnt 0x0
	s_set_vgpr_msb 64                       ;  msbs: dst=1 src0=0 src1=0 src2=0
	v_dual_ashrrev_i32 v120 /*v376*/, 24, v100 :: v_dual_bitop2_b32 v78 /*v334*/, 15, v145 bitop3:0x40
	v_bfe_i32 v96 /*v352*/, v136, 8, 8
	v_bfe_i32 v117 /*v373*/, v100, 0, 8
	;; [unrolled: 1-line block ×4, first 2 shown]
	s_set_vgpr_msb 1                        ;  msbs: dst=0 src0=1 src1=0 src2=0
	v_mul_i32_i24_e32 v100, v50 /*v306*/, v245
	s_set_vgpr_msb 0x41                     ;  msbs: dst=1 src0=1 src1=0 src2=0
	v_mul_i32_i24_e32 v121 /*v377*/, v51 /*v307*/, v245
	s_set_vgpr_msb 0x45                     ;  msbs: dst=1 src0=1 src1=1 src2=0
	v_mul_i32_i24_e32 v126 /*v382*/, v77 /*v333*/, v73 /*v329*/
	v_mul_i32_i24_e32 v127 /*v383*/, v86 /*v342*/, v81 /*v337*/
	s_set_vgpr_msb 0x41                     ;  msbs: dst=1 src0=1 src1=0 src2=0
	v_mul_i32_i24_e32 v130 /*v386*/, v90 /*v346*/, v243
	s_set_vgpr_msb 0x55                     ;  msbs: dst=1 src0=1 src1=1 src2=1
	v_add3_u32 v16 /*v272*/, v16 /*v272*/, v70 /*v326*/, v71 /*v327*/
	s_set_vgpr_msb 0                        ;  msbs: dst=0 src0=0 src1=0 src2=0
	v_bfe_i32 v253, v88, 0, 8
	v_bfe_i32 v254, v88, 8, 8
	;; [unrolled: 1-line block ×3, first 2 shown]
	v_bfe_u32 v88, v90, 20, 4
	s_set_vgpr_msb 64                       ;  msbs: dst=1 src0=0 src1=0 src2=0
	v_dual_lshrrev_b32 v4 /*v260*/, 28, v90 :: v_dual_bitop2_b32 v6 /*v262*/, 15, v91 bitop3:0x40
	v_bfe_u32 v38 /*v294*/, v162, 12, 4
	v_bfe_u32 v54 /*v310*/, v156, 20, 4
	;; [unrolled: 1-line block ×3, first 2 shown]
	v_dual_lshrrev_b32 v63 /*v319*/, 4, v242 :: v_dual_bitop2_b32 v59 /*v315*/, 15, v157 bitop3:0x40
	v_bfe_u32 v72 /*v328*/, v242, 20, 4
	v_dual_ashrrev_i32 v82 /*v338*/, 24, v160 :: v_dual_ashrrev_i32 v87 /*v343*/, 24, v158
	s_set_vgpr_msb 0                        ;  msbs: dst=0 src0=0 src1=0 src2=0
	v_ashrrev_i32_e32 v156, 24, v155
	s_set_vgpr_msb 64                       ;  msbs: dst=1 src0=0 src1=0 src2=0
	v_bfe_u32 v110 /*v366*/, v242, 8, 4
	v_bfe_u32 v133 /*v389*/, v242, 24, 4
	;; [unrolled: 1-line block ×3, first 2 shown]
	s_set_vgpr_msb 0                        ;  msbs: dst=0 src0=0 src1=0 src2=0
	v_bfe_i32 v242, v136, 0, 8
	s_set_vgpr_msb 64                       ;  msbs: dst=1 src0=0 src1=0 src2=0
	v_bfe_i32 v97 /*v353*/, v136, 16, 8
	s_set_vgpr_msb 0                        ;  msbs: dst=0 src0=0 src1=0 src2=0
	v_ashrrev_i32_e32 v136, 24, v136
	s_set_vgpr_msb 64                       ;  msbs: dst=1 src0=0 src1=0 src2=0
	v_bfe_i32 v101 /*v357*/, v132, 8, 8
	v_bfe_i32 v104 /*v360*/, v120, 8, 8
	s_set_vgpr_msb 1                        ;  msbs: dst=0 src0=1 src1=0 src2=0
	v_mul_i32_i24_e32 v245, v93 /*v349*/, v245
	s_set_vgpr_msb 0x41                     ;  msbs: dst=1 src0=1 src1=0 src2=0
	v_mul_i32_i24_e32 v122 /*v378*/, v83 /*v339*/, v247
	v_mul_i32_i24_e32 v123 /*v379*/, v112 /*v368*/, v248
	;; [unrolled: 1-line block ×5, first 2 shown]
	s_set_vgpr_msb 64                       ;  msbs: dst=1 src0=0 src1=0 src2=0
	v_mul_i32_i24_e32 v137 /*v393*/, v238, v236
	s_set_vgpr_msb 0x55                     ;  msbs: dst=1 src0=1 src1=1 src2=1
	v_mul_i32_i24_e32 v138 /*v394*/, v96 /*v352*/, v3 /*v259*/
	v_add3_u32 v126 /*v382*/, v126 /*v382*/, v127 /*v383*/, v130 /*v386*/
	v_add3_u32 v16 /*v272*/, v16 /*v272*/, v18 /*v274*/, v17 /*v273*/
	v_mul_i32_i24_e32 v18 /*v274*/, v96 /*v352*/, v57 /*v313*/
	s_set_vgpr_msb 1                        ;  msbs: dst=0 src0=1 src1=0 src2=0
	v_mad_i32_i24 v100, v56 /*v312*/, v246, v100
	s_set_vgpr_msb 0x51                     ;  msbs: dst=1 src0=1 src1=0 src2=1
	v_mad_i32_i24 v121 /*v377*/, v107 /*v363*/, v246, v121 /*v377*/
	s_set_vgpr_msb 64                       ;  msbs: dst=1 src0=0 src1=0 src2=0
	v_bfe_u32 v34 /*v290*/, v162, 20, 4
	v_bfe_u32 v37 /*v293*/, v162, 4, 4
	s_set_vgpr_msb 0                        ;  msbs: dst=0 src0=0 src1=0 src2=0
	v_bfe_u32 v228, v144, 24, 4
	s_set_vgpr_msb 64                       ;  msbs: dst=1 src0=0 src1=0 src2=0
	v_bfe_i32 v84 /*v340*/, v160, 16, 8
	v_dual_ashrrev_i32 v91 /*v347*/, 24, v161 :: v_dual_ashrrev_i32 v99 /*v355*/, 24, v142
	v_bfe_i32 v100 /*v356*/, v132, 0, 8
	v_bfe_i32 v102 /*v358*/, v132, 16, 8
	s_set_vgpr_msb 0                        ;  msbs: dst=0 src0=0 src1=0 src2=0
	v_ashrrev_i32_e32 v132, 24, v132
	s_set_vgpr_msb 64                       ;  msbs: dst=1 src0=0 src1=0 src2=0
	v_bfe_i32 v103 /*v359*/, v120, 0, 8
	v_bfe_i32 v105 /*v361*/, v120, 16, 8
	s_set_vgpr_msb 0                        ;  msbs: dst=0 src0=0 src1=0 src2=0
	v_ashrrev_i32_e32 v120, 24, v120
	s_set_vgpr_msb 0x45                     ;  msbs: dst=1 src0=1 src1=1 src2=0
	v_mul_i32_i24_e32 v129 /*v385*/, v82 /*v338*/, v65 /*v321*/
	s_set_vgpr_msb 1                        ;  msbs: dst=0 src0=1 src1=0 src2=0
	v_mul_i32_i24_e32 v247, v109 /*v365*/, v247
	v_mul_i32_i24_e32 v248, v133 /*v389*/, v248
	s_set_vgpr_msb 0x41                     ;  msbs: dst=1 src0=1 src1=0 src2=0
	v_mul_i32_i24_e32 v70 /*v326*/, v97 /*v353*/, v88
	s_set_vgpr_msb 0x44                     ;  msbs: dst=1 src0=0 src1=1 src2=0
	v_mul_i32_i24_e32 v71 /*v327*/, v136, v4 /*v260*/
	s_set_vgpr_msb 0x45                     ;  msbs: dst=1 src0=1 src1=1 src2=0
	v_mul_i32_i24_e32 v127 /*v383*/, v96 /*v352*/, v38 /*v294*/
	s_set_vgpr_msb 20                       ;  msbs: dst=0 src0=0 src1=1 src2=1
	v_add3_u32 v100, v100, v122 /*v378*/, v123 /*v379*/
	s_set_vgpr_msb 0x45                     ;  msbs: dst=1 src0=1 src1=1 src2=0
	v_mul_i32_i24_e32 v122 /*v378*/, v97 /*v353*/, v54 /*v310*/
	s_set_vgpr_msb 0x44                     ;  msbs: dst=1 src0=0 src1=1 src2=0
	v_mul_i32_i24_e32 v123 /*v379*/, v136, v58 /*v314*/
	s_set_vgpr_msb 0x55                     ;  msbs: dst=1 src0=1 src1=1 src2=1
	v_add3_u32 v121 /*v377*/, v121 /*v377*/, v124 /*v380*/, v125 /*v381*/
	v_mul_i32_i24_e32 v124 /*v380*/, v101 /*v357*/, v3 /*v259*/
	s_set_vgpr_msb 1                        ;  msbs: dst=0 src0=1 src1=0 src2=0
	v_mad_i32_i24 v245, v110 /*v366*/, v246, v245
	s_set_vgpr_msb 0x55                     ;  msbs: dst=1 src0=1 src1=1 src2=1
	v_add3_u32 v126 /*v382*/, v126 /*v382*/, v134 /*v390*/, v137 /*v393*/
	v_mul_i32_i24_e32 v134 /*v390*/, v104 /*v360*/, v3 /*v259*/
	s_set_vgpr_msb 0x50                     ;  msbs: dst=1 src0=0 src1=0 src2=1
	v_mad_i32_i24 v138 /*v394*/, v242, v89, v138 /*v394*/
	s_set_vgpr_msb 0x54                     ;  msbs: dst=1 src0=0 src1=1 src2=1
	v_mad_i32_i24 v18 /*v274*/, v242, v55 /*v311*/, v18 /*v274*/
	s_set_vgpr_msb 0                        ;  msbs: dst=0 src0=0 src1=0 src2=0
	v_bfe_i32 v251, v82, 16, 8
	v_cvt_f32_f16_e64 v82, v150
	s_set_vgpr_msb 64                       ;  msbs: dst=1 src0=0 src1=0 src2=0
	v_dual_lshrrev_b32 v15 /*v271*/, 16, v150 :: v_dual_bitop2_b32 v48 /*v304*/, 15, v163 bitop3:0x40
	v_bfe_i32 v88 /*v344*/, v158, 16, 8
	s_set_vgpr_msb 0                        ;  msbs: dst=0 src0=0 src1=0 src2=0
	v_bfe_u32 v150, v144, 16, 4
	s_set_vgpr_msb 64                       ;  msbs: dst=1 src0=0 src1=0 src2=0
	v_bfe_i32 v92 /*v348*/, v161, 16, 8
	v_bfe_i32 v108 /*v364*/, v112, 8, 8
	s_set_vgpr_msb 0x45                     ;  msbs: dst=1 src0=1 src1=1 src2=0
	v_mul_i32_i24_e32 v128 /*v384*/, v84 /*v340*/, v80 /*v336*/
	v_mul_i32_i24_e32 v132 /*v388*/, v87 /*v343*/, v68 /*v324*/
	s_set_vgpr_msb 0x41                     ;  msbs: dst=1 src0=1 src1=0 src2=0
	v_mul_i32_i24_e32 v136 /*v392*/, v91 /*v347*/, v228
	s_set_vgpr_msb 0x45                     ;  msbs: dst=1 src0=1 src1=1 src2=0
	v_mul_i32_i24_e32 v130 /*v386*/, v97 /*v353*/, v34 /*v290*/
	s_set_vgpr_msb 0x44                     ;  msbs: dst=1 src0=0 src1=1 src2=0
	v_mul_i32_i24_e32 v17 /*v273*/, v136, v39 /*v295*/
	s_set_vgpr_msb 0x41                     ;  msbs: dst=1 src0=1 src1=0 src2=0
	v_mul_i32_i24_e32 v125 /*v381*/, v102 /*v358*/, v88
	s_set_vgpr_msb 4                        ;  msbs: dst=0 src0=0 src1=1 src2=0
	v_mul_i32_i24_e32 v246, v132, v4 /*v260*/
	s_set_vgpr_msb 0                        ;  msbs: dst=0 src0=0 src1=0 src2=0
	v_add3_u32 v245, v245, v247, v248
	s_set_vgpr_msb 5                        ;  msbs: dst=0 src0=1 src1=1 src2=0
	v_mul_i32_i24_e32 v247, v101 /*v357*/, v38 /*v294*/
	s_set_vgpr_msb 0x55                     ;  msbs: dst=1 src0=1 src1=1 src2=1
	v_mad_i32_i24 v129 /*v385*/, v74 /*v330*/, v64 /*v320*/, v129 /*v385*/
	s_set_vgpr_msb 0x41                     ;  msbs: dst=1 src0=1 src1=0 src2=0
	v_mul_i32_i24_e32 v137 /*v393*/, v105 /*v361*/, v88
	s_set_vgpr_msb 0x55                     ;  msbs: dst=1 src0=1 src1=1 src2=1
	v_add3_u32 v70 /*v326*/, v138 /*v394*/, v70 /*v326*/, v71 /*v327*/
	s_set_vgpr_msb 0x44                     ;  msbs: dst=1 src0=0 src1=1 src2=0
	v_mul_i32_i24_e32 v71 /*v327*/, v120, v4 /*v260*/
	s_set_vgpr_msb 0x45                     ;  msbs: dst=1 src0=1 src1=1 src2=0
	v_mul_i32_i24_e32 v138 /*v394*/, v104 /*v360*/, v38 /*v294*/
	s_set_vgpr_msb 0x54                     ;  msbs: dst=1 src0=0 src1=1 src2=1
	v_mad_i32_i24 v127 /*v383*/, v242, v37 /*v293*/, v127 /*v383*/
	s_set_vgpr_msb 0x55                     ;  msbs: dst=1 src0=1 src1=1 src2=1
	v_add3_u32 v18 /*v274*/, v18 /*v274*/, v122 /*v378*/, v123 /*v379*/
	v_mul_i32_i24_e32 v122 /*v378*/, v104 /*v360*/, v57 /*v313*/
	s_set_vgpr_msb 0x51                     ;  msbs: dst=1 src0=1 src1=0 src2=1
	v_mad_i32_i24 v124 /*v380*/, v100 /*v356*/, v89, v124 /*v380*/
	v_mad_i32_i24 v134 /*v390*/, v103 /*v359*/, v89, v134 /*v390*/
	s_set_vgpr_msb 64                       ;  msbs: dst=1 src0=0 src1=0 src2=0
	v_bfe_i32 v106 /*v362*/, v112, 0, 8
	v_bfe_i32 v111 /*v367*/, v112, 16, 8
	s_set_vgpr_msb 0                        ;  msbs: dst=0 src0=0 src1=0 src2=0
	v_ashrrev_i32_e32 v112, 24, v112
	s_set_vgpr_msb 64                       ;  msbs: dst=1 src0=0 src1=0 src2=0
	v_bfe_i32 v115 /*v371*/, v104, 8, 8
	s_set_vgpr_msb 0x41                     ;  msbs: dst=1 src0=1 src1=0 src2=0
	v_mul_i32_i24_e32 v131 /*v387*/, v88 /*v344*/, v239
	v_mul_i32_i24_e32 v135 /*v391*/, v92 /*v348*/, v150
	s_set_vgpr_msb 5                        ;  msbs: dst=0 src0=1 src1=1 src2=0
	v_mul_i32_i24_e32 v248, v102 /*v358*/, v34 /*v290*/
	s_set_vgpr_msb 0x55                     ;  msbs: dst=1 src0=1 src1=1 src2=1
	v_add3_u32 v129 /*v385*/, v129 /*v385*/, v132 /*v388*/, v136 /*v392*/
	s_set_vgpr_msb 0x44                     ;  msbs: dst=1 src0=0 src1=1 src2=0
	v_mul_i32_i24_e32 v132 /*v388*/, v132, v39 /*v295*/
	s_set_vgpr_msb 0x55                     ;  msbs: dst=1 src0=1 src1=1 src2=1
	v_mul_i32_i24_e32 v136 /*v392*/, v101 /*v357*/, v57 /*v313*/
	v_mad_i32_i24 v128 /*v384*/, v79 /*v335*/, v72 /*v328*/, v128 /*v384*/
	v_add3_u32 v17 /*v273*/, v127 /*v383*/, v130 /*v386*/, v17 /*v273*/
	v_mul_i32_i24_e32 v127 /*v383*/, v105 /*v361*/, v34 /*v290*/
	s_set_vgpr_msb 0x44                     ;  msbs: dst=1 src0=0 src1=1 src2=0
	v_mul_i32_i24_e32 v130 /*v386*/, v120, v39 /*v295*/
	s_set_vgpr_msb 0x45                     ;  msbs: dst=1 src0=1 src1=1 src2=0
	v_mul_i32_i24_e32 v123 /*v379*/, v105 /*v361*/, v54 /*v310*/
	s_set_vgpr_msb 5                        ;  msbs: dst=0 src0=1 src1=1 src2=0
	v_add3_u32 v246, v124 /*v380*/, v125 /*v381*/, v246
	s_set_vgpr_msb 0x44                     ;  msbs: dst=1 src0=0 src1=1 src2=0
	v_mul_i32_i24_e32 v124 /*v380*/, v120, v58 /*v314*/
	s_set_vgpr_msb 0x45                     ;  msbs: dst=1 src0=1 src1=1 src2=0
	v_mul_i32_i24_e32 v125 /*v381*/, v108 /*v364*/, v3 /*v259*/
	s_set_vgpr_msb 5                        ;  msbs: dst=0 src0=1 src1=1 src2=0
	v_mad_i32_i24 v247, v100 /*v356*/, v37 /*v293*/, v247
	s_set_vgpr_msb 0x55                     ;  msbs: dst=1 src0=1 src1=1 src2=1
	v_add3_u32 v71 /*v327*/, v134 /*v390*/, v137 /*v393*/, v71 /*v327*/
	v_mul_i32_i24_e32 v137 /*v393*/, v108 /*v364*/, v57 /*v313*/
	v_mad_i32_i24 v138 /*v394*/, v103 /*v359*/, v37 /*v293*/, v138 /*v394*/
	v_mad_i32_i24 v122 /*v378*/, v103 /*v359*/, v55 /*v311*/, v122 /*v378*/
	s_set_vgpr_msb 64                       ;  msbs: dst=1 src0=0 src1=0 src2=0
	v_bfe_i32 v113 /*v369*/, v104, 0, 8
	v_bfe_i32 v116 /*v372*/, v104, 16, 8
	s_set_vgpr_msb 0                        ;  msbs: dst=0 src0=0 src1=0 src2=0
	v_ashrrev_i32_e32 v104, 24, v104
	s_set_vgpr_msb 0x55                     ;  msbs: dst=1 src0=1 src1=1 src2=1
	v_add3_u32 v128 /*v384*/, v128 /*v384*/, v131 /*v387*/, v135 /*v391*/
	v_mul_i32_i24_e32 v131 /*v387*/, v102 /*v358*/, v54 /*v310*/
	s_set_vgpr_msb 0x44                     ;  msbs: dst=1 src0=0 src1=1 src2=0
	v_mul_i32_i24_e32 v135 /*v391*/, v132, v58 /*v314*/
	s_set_vgpr_msb 16                       ;  msbs: dst=0 src0=0 src1=0 src2=1
	v_add3_u32 v247, v247, v248, v132 /*v388*/
	s_set_vgpr_msb 1                        ;  msbs: dst=0 src0=1 src1=0 src2=0
	v_mul_i32_i24_e32 v248, v111 /*v367*/, v88
	s_set_vgpr_msb 0x44                     ;  msbs: dst=1 src0=0 src1=1 src2=0
	v_mul_i32_i24_e32 v132 /*v388*/, v112, v4 /*v260*/
	s_set_vgpr_msb 0x55                     ;  msbs: dst=1 src0=1 src1=1 src2=1
	v_mad_i32_i24 v136 /*v392*/, v100 /*v356*/, v55 /*v311*/, v136 /*v392*/
	v_add3_u32 v127 /*v383*/, v138 /*v394*/, v127 /*v383*/, v130 /*v386*/
	v_mul_i32_i24_e32 v130 /*v386*/, v111 /*v367*/, v54 /*v310*/
	s_set_vgpr_msb 0x44                     ;  msbs: dst=1 src0=0 src1=1 src2=0
	v_mul_i32_i24_e32 v138 /*v394*/, v112, v58 /*v314*/
	s_set_vgpr_msb 0x55                     ;  msbs: dst=1 src0=1 src1=1 src2=1
	v_add3_u32 v122 /*v378*/, v122 /*v378*/, v123 /*v379*/, v124 /*v380*/
	v_mul_i32_i24_e32 v123 /*v379*/, v115 /*v371*/, v3 /*v259*/
	s_set_vgpr_msb 0x51                     ;  msbs: dst=1 src0=1 src1=0 src2=1
	v_mad_i32_i24 v125 /*v381*/, v106 /*v362*/, v89, v125 /*v381*/
	s_set_vgpr_msb 0x55                     ;  msbs: dst=1 src0=1 src1=1 src2=1
	v_mad_i32_i24 v137 /*v393*/, v106 /*v362*/, v55 /*v311*/, v137 /*v393*/
	v_add3_u32 v131 /*v387*/, v136 /*v392*/, v131 /*v387*/, v135 /*v391*/
	v_mul_i32_i24_e32 v135 /*v391*/, v108 /*v364*/, v38 /*v294*/
	s_set_vgpr_msb 0x41                     ;  msbs: dst=1 src0=1 src1=0 src2=0
	v_mul_i32_i24_e32 v124 /*v380*/, v116 /*v372*/, v88
	s_set_vgpr_msb 17                       ;  msbs: dst=0 src0=1 src1=0 src2=1
	v_add3_u32 v248, v125 /*v381*/, v248, v132 /*v388*/
	s_set_vgpr_msb 0x44                     ;  msbs: dst=1 src0=0 src1=1 src2=0
	v_mul_i32_i24_e32 v125 /*v381*/, v104, v4 /*v260*/
	s_set_vgpr_msb 0x55                     ;  msbs: dst=1 src0=1 src1=1 src2=1
	v_add3_u32 v130 /*v386*/, v137 /*v393*/, v130 /*v386*/, v138 /*v394*/
	v_mul_i32_i24_e32 v137 /*v393*/, v115 /*v371*/, v57 /*v313*/
	s_set_vgpr_msb 0x51                     ;  msbs: dst=1 src0=1 src1=0 src2=1
	v_mad_i32_i24 v123 /*v379*/, v113 /*v369*/, v89, v123 /*v379*/
	s_set_vgpr_msb 64                       ;  msbs: dst=1 src0=0 src1=0 src2=0
	v_mul_i32_i24_e32 v19 /*v275*/, v88, v251
	s_set_vgpr_msb 0x41                     ;  msbs: dst=1 src0=1 src1=0 src2=0
	v_mul_i32_i24_e32 v20 /*v276*/, v4 /*v260*/, v252
	s_set_vgpr_msb 0x45                     ;  msbs: dst=1 src0=1 src1=1 src2=0
	v_mul_i32_i24_e32 v136 /*v392*/, v111 /*v367*/, v34 /*v290*/
	s_set_vgpr_msb 0x44                     ;  msbs: dst=1 src0=0 src1=1 src2=0
	v_mul_i32_i24_e32 v134 /*v390*/, v112, v39 /*v295*/
	s_set_vgpr_msb 0x55                     ;  msbs: dst=1 src0=1 src1=1 src2=1
	v_mul_i32_i24_e32 v132 /*v388*/, v115 /*v371*/, v38 /*v294*/
	v_mad_i32_i24 v135 /*v391*/, v106 /*v362*/, v37 /*v293*/, v135 /*v391*/
	v_mul_i32_i24_e32 v138 /*v394*/, v116 /*v372*/, v54 /*v310*/
	v_add3_u32 v123 /*v379*/, v123 /*v379*/, v124 /*v380*/, v125 /*v381*/
	s_set_vgpr_msb 0x44                     ;  msbs: dst=1 src0=0 src1=1 src2=0
	v_mul_i32_i24_e32 v124 /*v380*/, v104, v58 /*v314*/
	s_set_vgpr_msb 0x55                     ;  msbs: dst=1 src0=1 src1=1 src2=1
	v_mad_i32_i24 v137 /*v393*/, v113 /*v369*/, v55 /*v311*/, v137 /*v393*/
	v_bfe_i32 v69 /*v325*/, v69 /*v325*/, 0, 8
	v_add3_u32 v134 /*v390*/, v135 /*v391*/, v136 /*v392*/, v134 /*v390*/
	v_mul_i32_i24_e32 v135 /*v391*/, v116 /*v372*/, v34 /*v290*/
	s_set_vgpr_msb 0x44                     ;  msbs: dst=1 src0=0 src1=1 src2=0
	v_mul_i32_i24_e32 v136 /*v392*/, v104, v39 /*v295*/
	s_set_vgpr_msb 0x55                     ;  msbs: dst=1 src0=1 src1=1 src2=1
	v_mul_i32_i24_e32 v125 /*v381*/, v118 /*v374*/, v3 /*v259*/
	v_mad_i32_i24 v132 /*v388*/, v113 /*v369*/, v37 /*v293*/, v132 /*v388*/
	v_add3_u32 v124 /*v380*/, v137 /*v393*/, v138 /*v394*/, v124 /*v380*/
	v_mul_i32_i24_e32 v137 /*v393*/, v118 /*v374*/, v38 /*v294*/
	v_add3_u32 v16 /*v272*/, v16 /*v272*/, v19 /*v275*/, v20 /*v276*/
	s_set_vgpr_msb 0x41                     ;  msbs: dst=1 src0=1 src1=0 src2=0
	v_mul_i32_i24_e32 v20 /*v276*/, v38 /*v294*/, v250
	s_set_vgpr_msb 0x55                     ;  msbs: dst=1 src0=1 src1=1 src2=1
	v_mul_i32_i24_e32 v3 /*v259*/, v69 /*v325*/, v3 /*v259*/
	v_mul_i32_i24_e32 v38 /*v294*/, v69 /*v325*/, v38 /*v294*/
	v_add3_u32 v132 /*v388*/, v132 /*v388*/, v135 /*v391*/, v136 /*v392*/
	s_set_vgpr_msb 0x41                     ;  msbs: dst=1 src0=1 src1=0 src2=0
	v_mul_i32_i24_e32 v135 /*v391*/, v119 /*v375*/, v88
	s_set_vgpr_msb 0x45                     ;  msbs: dst=1 src0=1 src1=1 src2=0
	v_mul_i32_i24_e32 v136 /*v392*/, v120 /*v376*/, v4 /*v260*/
	s_set_vgpr_msb 0x51                     ;  msbs: dst=1 src0=1 src1=0 src2=1
	v_mad_i32_i24 v125 /*v381*/, v117 /*v373*/, v89, v125 /*v381*/
	s_set_vgpr_msb 0x55                     ;  msbs: dst=1 src0=1 src1=1 src2=1
	v_mad_i32_i24 v137 /*v393*/, v117 /*v373*/, v37 /*v293*/, v137 /*v393*/
	s_set_vgpr_msb 0x41                     ;  msbs: dst=1 src0=1 src1=0 src2=0
	v_mul_i32_i24_e32 v19 /*v275*/, v37 /*v293*/, v249
	s_set_vgpr_msb 17                       ;  msbs: dst=0 src0=1 src1=0 src2=1
	v_mad_i32_i24 v89, v77 /*v333*/, v89, v3 /*v259*/
	s_set_vgpr_msb 0x55                     ;  msbs: dst=1 src0=1 src1=1 src2=1
	v_mad_i32_i24 v37 /*v293*/, v77 /*v333*/, v37 /*v293*/, v38 /*v294*/
	v_mul_i32_i24_e32 v38 /*v294*/, v69 /*v325*/, v57 /*v313*/
	s_set_vgpr_msb 1                        ;  msbs: dst=0 src0=1 src1=0 src2=0
	v_mul_i32_i24_e32 v88, v79 /*v335*/, v88
	s_set_vgpr_msb 0x45                     ;  msbs: dst=1 src0=1 src1=1 src2=0
	v_mul_i32_i24_e32 v4 /*v260*/, v74 /*v330*/, v4 /*v260*/
	s_set_vgpr_msb 64                       ;  msbs: dst=1 src0=0 src1=0 src2=0
	v_bfe_i32 v85 /*v341*/, v160, 8, 8
	v_bfe_i32 v89 /*v345*/, v158, 8, 8
	v_bfe_u32 v24 /*v280*/, v144, 20, 4
	s_set_vgpr_msb 0                        ;  msbs: dst=0 src0=0 src1=0 src2=0
	v_bfe_i32 v160, v159, 16, 8
	s_set_vgpr_msb 64                       ;  msbs: dst=1 src0=0 src1=0 src2=0
	v_bfe_u32 v76 /*v332*/, v145, 16, 4
	s_set_vgpr_msb 0                        ;  msbs: dst=0 src0=0 src1=0 src2=0
	v_bfe_i32 v158, v155, 16, 8
	s_set_vgpr_msb 0x55                     ;  msbs: dst=1 src0=1 src1=1 src2=1
	v_mad_i32_i24 v38 /*v294*/, v77 /*v333*/, v55 /*v311*/, v38 /*v294*/
	s_set_vgpr_msb 16                       ;  msbs: dst=0 src0=0 src1=0 src2=1
	v_add3_u32 v88, v89, v88, v4 /*v260*/
	s_set_vgpr_msb 5                        ;  msbs: dst=0 src0=1 src1=1 src2=0
	v_mul_i32_i24_e32 v89, v79 /*v335*/, v34 /*v290*/
	s_set_vgpr_msb 0x45                     ;  msbs: dst=1 src0=1 src1=1 src2=0
	v_mul_i32_i24_e32 v4 /*v260*/, v74 /*v330*/, v39 /*v295*/
	v_mul_i32_i24_e32 v79 /*v335*/, v79 /*v335*/, v54 /*v310*/
	;; [unrolled: 1-line block ×3, first 2 shown]
	s_set_vgpr_msb 0                        ;  msbs: dst=0 src0=0 src1=0 src2=0
	v_dual_lshrrev_b32 v231, 16, v224 :: v_dual_ashrrev_i32 v162, 24, v159
	s_set_vgpr_msb 64                       ;  msbs: dst=1 src0=0 src1=0 src2=0
	v_bfe_u32 v75 /*v331*/, v145, 24, 4
	v_bfe_u32 v7 /*v263*/, v91, 8, 4
	s_set_vgpr_msb 0x55                     ;  msbs: dst=1 src0=1 src1=1 src2=1
	v_add3_u32 v38 /*v294*/, v38 /*v294*/, v79 /*v335*/, v74 /*v330*/
	s_set_vgpr_msb 0x44                     ;  msbs: dst=1 src0=0 src1=1 src2=0
	v_mul_i32_i24_e32 v74 /*v330*/, v160, v24 /*v280*/
	v_mul_i32_i24_e32 v79 /*v335*/, v158, v76 /*v332*/
	v_bfe_u32 v9 /*v265*/, v91, 24, 4
	v_bfe_i32 v98 /*v354*/, v142, 8, 8
	v_bfe_u32 v49 /*v305*/, v163, 8, 4
	v_bfe_u32 v53 /*v309*/, v163, 24, 4
	s_set_vgpr_msb 0x55                     ;  msbs: dst=1 src0=1 src1=1 src2=1
	v_add3_u32 v74 /*v330*/, v128 /*v384*/, v74 /*v330*/, v79 /*v335*/
	s_set_vgpr_msb 64                       ;  msbs: dst=1 src0=0 src1=0 src2=0
	v_mul_i32_i24_e32 v79 /*v335*/, v162, v235
	s_set_vgpr_msb 0x44                     ;  msbs: dst=1 src0=0 src1=1 src2=0
	v_mul_i32_i24_e32 v128 /*v384*/, v156, v75 /*v331*/
	s_set_vgpr_msb 0x55                     ;  msbs: dst=1 src0=1 src1=1 src2=1
	v_mul_i32_i24_e32 v138 /*v394*/, v119 /*v375*/, v34 /*v290*/
	v_add3_u32 v125 /*v381*/, v125 /*v381*/, v135 /*v391*/, v136 /*v392*/
	v_mul_i32_i24_e32 v135 /*v391*/, v120 /*v376*/, v39 /*v295*/
	v_mul_i32_i24_e32 v136 /*v392*/, v118 /*v374*/, v57 /*v313*/
	v_add3_u32 v79 /*v335*/, v129 /*v385*/, v79 /*v335*/, v128 /*v384*/
	v_mul_i32_i24_e32 v128 /*v384*/, v98 /*v354*/, v7 /*v263*/
	v_mul_i32_i24_e32 v129 /*v385*/, v99 /*v355*/, v9 /*v265*/
	s_set_vgpr_msb 64                       ;  msbs: dst=1 src0=0 src1=0 src2=0
	v_bfe_u32 v60 /*v316*/, v157, 8, 4
	v_bfe_u32 v62 /*v318*/, v157, 24, 4
	s_set_vgpr_msb 0x55                     ;  msbs: dst=1 src0=1 src1=1 src2=1
	v_add3_u32 v135 /*v391*/, v137 /*v393*/, v138 /*v394*/, v135 /*v391*/
	v_mul_i32_i24_e32 v137 /*v393*/, v119 /*v375*/, v54 /*v310*/
	v_mul_i32_i24_e32 v138 /*v394*/, v120 /*v376*/, v58 /*v314*/
	v_mad_i32_i24 v136 /*v392*/, v117 /*v373*/, v55 /*v311*/, v136 /*v392*/
	v_add3_u32 v70 /*v326*/, v70 /*v326*/, v129 /*v385*/, v128 /*v384*/
	v_mul_i32_i24_e32 v128 /*v384*/, v98 /*v354*/, v49 /*v305*/
	v_mul_i32_i24_e32 v129 /*v385*/, v99 /*v355*/, v53 /*v309*/
	s_set_vgpr_msb 64                       ;  msbs: dst=1 src0=0 src1=0 src2=0
	v_ashrrev_i32_e32 v139 /*v395*/, 24, v138
	s_set_vgpr_msb 0x55                     ;  msbs: dst=1 src0=1 src1=1 src2=1
	v_add3_u32 v136 /*v392*/, v136 /*v392*/, v137 /*v393*/, v138 /*v394*/
	s_set_vgpr_msb 64                       ;  msbs: dst=1 src0=0 src1=0 src2=0
	v_bfe_i32 v138 /*v394*/, v138, 8, 8
	s_set_vgpr_msb 20                       ;  msbs: dst=0 src0=0 src1=1 src2=1
	v_add3_u32 v100, v100, v20 /*v276*/, v19 /*v275*/
	s_set_vgpr_msb 0x55                     ;  msbs: dst=1 src0=1 src1=1 src2=1
	v_add3_u32 v17 /*v273*/, v17 /*v273*/, v129 /*v385*/, v128 /*v384*/
	v_mul_i32_i24_e32 v128 /*v384*/, v98 /*v354*/, v60 /*v316*/
	v_mul_i32_i24_e32 v129 /*v385*/, v99 /*v355*/, v62 /*v318*/
	s_set_vgpr_msb 64                       ;  msbs: dst=1 src0=0 src1=0 src2=0
	v_ashrrev_i32_e32 v20 /*v276*/, 24, v128
	v_bfe_i32 v19 /*v275*/, v128, 8, 8
	v_bfe_i32 v3 /*v259*/, v122, 8, 8
	v_ashrrev_i32_e32 v77 /*v333*/, 24, v122
	s_set_vgpr_msb 0x55                     ;  msbs: dst=1 src0=1 src1=1 src2=1
	v_add3_u32 v18 /*v274*/, v18 /*v274*/, v129 /*v385*/, v128 /*v384*/
	v_mul_i32_i24_e32 v128 /*v384*/, v138 /*v394*/, v7 /*v263*/
	v_mul_i32_i24_e32 v129 /*v385*/, v139 /*v395*/, v9 /*v265*/
	s_set_vgpr_msb 17                       ;  msbs: dst=0 src0=1 src1=0 src2=1
	v_add3_u32 v89, v37 /*v293*/, v89, v4 /*v260*/
	s_set_vgpr_msb 0x41                     ;  msbs: dst=1 src0=1 src1=0 src2=0
	v_ashrrev_i32_e32 v37 /*v293*/, 24, v116
	v_mul_i32_i24_e32 v55 /*v311*/, v55 /*v311*/, v249
	v_mul_i32_i24_e32 v57 /*v313*/, v57 /*v313*/, v250
	s_set_vgpr_msb 20                       ;  msbs: dst=0 src0=0 src1=1 src2=1
	v_add3_u32 v246, v246, v129 /*v385*/, v128 /*v384*/
	s_set_vgpr_msb 0x45                     ;  msbs: dst=1 src0=1 src1=1 src2=0
	v_mul_i32_i24_e32 v128 /*v384*/, v138 /*v394*/, v49 /*v305*/
	v_mul_i32_i24_e32 v129 /*v385*/, v139 /*v395*/, v53 /*v309*/
	s_set_vgpr_msb 0x44                     ;  msbs: dst=1 src0=0 src1=1 src2=0
	v_mul_i32_i24_e32 v21 /*v277*/, v253, v6 /*v262*/
	s_set_vgpr_msb 0x55                     ;  msbs: dst=1 src0=1 src1=1 src2=1
	v_add3_u32 v55 /*v311*/, v121 /*v377*/, v57 /*v313*/, v55 /*v311*/
	s_set_vgpr_msb 64                       ;  msbs: dst=1 src0=0 src1=0 src2=0
	v_bfe_i32 v57 /*v313*/, v118, 8, 8
	v_ashrrev_i32_e32 v121 /*v377*/, 24, v118
	s_set_vgpr_msb 20                       ;  msbs: dst=0 src0=0 src1=1 src2=1
	v_add3_u32 v247, v247, v129 /*v385*/, v128 /*v384*/
	s_set_vgpr_msb 0x45                     ;  msbs: dst=1 src0=1 src1=1 src2=0
	v_mul_i32_i24_e32 v128 /*v384*/, v138 /*v394*/, v60 /*v316*/
	v_mul_i32_i24_e32 v129 /*v385*/, v139 /*v395*/, v62 /*v318*/
	s_set_vgpr_msb 0x44                     ;  msbs: dst=1 src0=0 src1=1 src2=0
	v_mul_i32_i24_e32 v22 /*v278*/, v254, v7 /*v263*/
	v_bfe_i32 v4 /*v260*/, v116, 8, 8
	s_set_vgpr_msb 1                        ;  msbs: dst=0 src0=1 src1=0 src2=0
	v_mul_i32_i24_e32 v249, v73 /*v329*/, v249
	s_set_vgpr_msb 64                       ;  msbs: dst=1 src0=0 src1=0 src2=0
	v_bfe_u32 v8 /*v264*/, v91, 16, 4
	s_set_vgpr_msb 0x55                     ;  msbs: dst=1 src0=1 src1=1 src2=1
	v_add3_u32 v128 /*v384*/, v131 /*v387*/, v129 /*v385*/, v128 /*v384*/
	v_mul_i32_i24_e32 v129 /*v385*/, v19 /*v275*/, v7 /*v263*/
	v_mul_i32_i24_e32 v131 /*v387*/, v20 /*v276*/, v9 /*v265*/
	v_add3_u32 v16 /*v272*/, v16 /*v272*/, v22 /*v278*/, v21 /*v277*/
	s_set_vgpr_msb 0x41                     ;  msbs: dst=1 src0=1 src1=0 src2=0
	v_mul_i32_i24_e32 v22 /*v278*/, v34 /*v290*/, v251
	v_mul_i32_i24_e32 v34 /*v290*/, v39 /*v295*/, v252
	;; [unrolled: 1-line block ×3, first 2 shown]
	s_set_vgpr_msb 0x55                     ;  msbs: dst=1 src0=1 src1=1 src2=1
	v_add3_u32 v71 /*v327*/, v71 /*v327*/, v131 /*v387*/, v129 /*v385*/
	v_mul_i32_i24_e32 v129 /*v385*/, v19 /*v275*/, v49 /*v305*/
	v_mul_i32_i24_e32 v131 /*v387*/, v20 /*v276*/, v53 /*v309*/
	s_set_vgpr_msb 0x54                     ;  msbs: dst=1 src0=0 src1=1 src2=1
	v_add3_u32 v22 /*v278*/, v100, v22 /*v278*/, v34 /*v290*/
	s_set_vgpr_msb 1                        ;  msbs: dst=0 src0=1 src1=0 src2=0
	v_mul_i32_i24_e32 v100, v54 /*v310*/, v251
	s_set_vgpr_msb 64                       ;  msbs: dst=1 src0=0 src1=0 src2=0
	v_bfe_u32 v52 /*v308*/, v163, 16, 4
	v_bfe_u32 v61 /*v317*/, v157, 16, 4
	s_set_vgpr_msb 0x55                     ;  msbs: dst=1 src0=1 src1=1 src2=1
	v_add3_u32 v127 /*v383*/, v127 /*v383*/, v131 /*v387*/, v129 /*v385*/
	v_mul_i32_i24_e32 v129 /*v385*/, v19 /*v275*/, v60 /*v316*/
	v_mul_i32_i24_e32 v131 /*v387*/, v20 /*v276*/, v62 /*v318*/
	s_set_vgpr_msb 0x51                     ;  msbs: dst=1 src0=1 src1=0 src2=1
	v_add3_u32 v39 /*v295*/, v55 /*v311*/, v100, v39 /*v295*/
	s_set_vgpr_msb 5                        ;  msbs: dst=0 src0=1 src1=1 src2=0
	v_mul_i32_i24_e32 v100, v85 /*v341*/, v7 /*v263*/
	s_set_vgpr_msb 64                       ;  msbs: dst=1 src0=0 src1=0 src2=0
	v_bfe_i32 v21 /*v277*/, v138, 0, 8
	s_set_vgpr_msb 0                        ;  msbs: dst=0 src0=0 src1=0 src2=0
	v_bfe_i32 v138, v138, 16, 8
	s_set_vgpr_msb 0x55                     ;  msbs: dst=1 src0=1 src1=1 src2=1
	v_add3_u32 v122 /*v378*/, v122 /*v378*/, v131 /*v387*/, v129 /*v385*/
	v_mul_i32_i24_e32 v129 /*v385*/, v3 /*v259*/, v7 /*v263*/
	v_mul_i32_i24_e32 v131 /*v387*/, v77 /*v333*/, v9 /*v265*/
	s_set_vgpr_msb 64                       ;  msbs: dst=1 src0=0 src1=0 src2=0
	v_bfe_i32 v34 /*v290*/, v128, 0, 8
	s_set_vgpr_msb 0                        ;  msbs: dst=0 src0=0 src1=0 src2=0
	v_bfe_i32 v128, v128, 16, 8
	s_set_vgpr_msb 64                       ;  msbs: dst=1 src0=0 src1=0 src2=0
	v_bfe_i32 v54 /*v310*/, v122, 0, 8
	s_set_vgpr_msb 20                       ;  msbs: dst=0 src0=0 src1=1 src2=1
	v_bfe_i32 v122, v122, 16, 8
	v_add3_u32 v248, v248, v131 /*v387*/, v129 /*v385*/
	s_set_vgpr_msb 0x45                     ;  msbs: dst=1 src0=1 src1=1 src2=0
	v_mul_i32_i24_e32 v129 /*v385*/, v3 /*v259*/, v49 /*v305*/
	v_mul_i32_i24_e32 v131 /*v387*/, v77 /*v333*/, v53 /*v309*/
	;; [unrolled: 1-line block ×3, first 2 shown]
	s_set_vgpr_msb 0x44                     ;  msbs: dst=1 src0=0 src1=1 src2=0
	v_mul_i32_i24_e32 v23 /*v279*/, v255, v8 /*v264*/
	v_bfe_u32 v46 /*v302*/, v163, 20, 4
	s_set_vgpr_msb 0                        ;  msbs: dst=0 src0=0 src1=0 src2=0
	v_bfe_i32 v161, v161, 8, 8
	s_set_vgpr_msb 0x55                     ;  msbs: dst=1 src0=1 src1=1 src2=1
	v_add3_u32 v129 /*v385*/, v134 /*v390*/, v131 /*v387*/, v129 /*v385*/
	v_mul_i32_i24_e32 v131 /*v387*/, v3 /*v259*/, v60 /*v316*/
	v_mul_i32_i24_e32 v134 /*v390*/, v77 /*v333*/, v62 /*v318*/
	v_add3_u32 v16 /*v272*/, v16 /*v272*/, v23 /*v279*/, v25 /*v281*/
	s_set_vgpr_msb 0x44                     ;  msbs: dst=1 src0=0 src1=1 src2=0
	v_mul_i32_i24_e32 v25 /*v281*/, v254, v60 /*v316*/
	v_mul_i32_i24_e32 v23 /*v279*/, v254, v49 /*v305*/
	s_set_vgpr_msb 0                        ;  msbs: dst=0 src0=0 src1=0 src2=0
	v_bfe_i32 v159, v159, 8, 8
	s_set_vgpr_msb 0x55                     ;  msbs: dst=1 src0=1 src1=1 src2=1
	v_add3_u32 v130 /*v386*/, v130 /*v386*/, v134 /*v390*/, v131 /*v387*/
	v_mul_i32_i24_e32 v131 /*v387*/, v57 /*v313*/, v7 /*v263*/
	v_mul_i32_i24_e32 v134 /*v390*/, v121 /*v377*/, v9 /*v265*/
	s_set_vgpr_msb 1                        ;  msbs: dst=0 src0=1 src1=0 src2=0
	v_mul_i32_i24_e32 v251, v72 /*v328*/, v251
	v_mul_i32_i24_e32 v252, v64 /*v320*/, v252
	s_set_vgpr_msb 64                       ;  msbs: dst=1 src0=0 src1=0 src2=0
	v_bfe_u32 v5 /*v261*/, v91, 20, 4
	v_bfe_u32 v10 /*v266*/, v91, 4, 4
	s_set_vgpr_msb 0x55                     ;  msbs: dst=1 src0=1 src1=1 src2=1
	v_add3_u32 v123 /*v379*/, v123 /*v379*/, v134 /*v390*/, v131 /*v387*/
	v_mul_i32_i24_e32 v131 /*v387*/, v57 /*v313*/, v49 /*v305*/
	v_mul_i32_i24_e32 v134 /*v390*/, v121 /*v377*/, v53 /*v309*/
	s_set_vgpr_msb 64                       ;  msbs: dst=1 src0=0 src1=0 src2=0
	v_bfe_u32 v11 /*v267*/, v91, 12, 4
	s_set_vgpr_msb 1                        ;  msbs: dst=0 src0=1 src1=0 src2=0
	v_dual_lshrrev_b32 v91, 28, v91 :: v_dual_lshrrev_b32 v230, 28, v92
	v_mul_i32_i24_e32 v136, v64 /*v320*/, v136
	s_set_vgpr_msb 0x55                     ;  msbs: dst=1 src0=1 src1=1 src2=1
	v_add3_u32 v131 /*v387*/, v132 /*v388*/, v134 /*v390*/, v131 /*v387*/
	v_mul_i32_i24_e32 v132 /*v388*/, v57 /*v313*/, v60 /*v316*/
	v_mul_i32_i24_e32 v134 /*v390*/, v121 /*v377*/, v62 /*v318*/
	s_set_vgpr_msb 64                       ;  msbs: dst=1 src0=0 src1=0 src2=0
	v_bfe_i32 v1 /*v257*/, v86, 0, 8
	v_bfe_i32 v2 /*v258*/, v86, 8, 8
	s_set_vgpr_msb 0x45                     ;  msbs: dst=1 src0=1 src1=1 src2=0
	v_mul_i32_i24_e32 v116 /*v372*/, v72 /*v328*/, v116 /*v372*/
	s_set_vgpr_msb 1                        ;  msbs: dst=0 src0=1 src1=0 src2=0
	v_mul_i32_i24_e32 v104, v64 /*v320*/, v104
	s_set_vgpr_msb 0x55                     ;  msbs: dst=1 src0=1 src1=1 src2=1
	v_add3_u32 v124 /*v380*/, v124 /*v380*/, v134 /*v390*/, v132 /*v388*/
	v_mul_i32_i24_e32 v132 /*v388*/, v4 /*v260*/, v7 /*v263*/
	v_mul_i32_i24_e32 v7 /*v263*/, v82 /*v338*/, v9 /*v265*/
	;; [unrolled: 1-line block ×3, first 2 shown]
	s_set_vgpr_msb 64                       ;  msbs: dst=1 src0=0 src1=0 src2=0
	v_bfe_i32 v9 /*v265*/, v118, 0, 8
	s_set_vgpr_msb 0                        ;  msbs: dst=0 src0=0 src1=0 src2=0
	v_bfe_i32 v118, v118, 16, 8
	s_set_vgpr_msb 0x45                     ;  msbs: dst=1 src0=1 src1=1 src2=0
	v_mul_i32_i24_e32 v26 /*v282*/, v1 /*v257*/, v10 /*v266*/
	s_set_vgpr_msb 4                        ;  msbs: dst=0 src0=0 src1=1 src2=0
	v_add3_u32 v88, v88, v7 /*v263*/, v100
	s_set_vgpr_msb 5                        ;  msbs: dst=0 src0=1 src1=1 src2=0
	v_mul_i32_i24_e32 v100, v85 /*v341*/, v49 /*v305*/
	s_set_vgpr_msb 0x55                     ;  msbs: dst=1 src0=1 src1=1 src2=1
	v_mul_i32_i24_e32 v7 /*v263*/, v82 /*v338*/, v53 /*v309*/
	v_add3_u32 v125 /*v381*/, v125 /*v381*/, v134 /*v390*/, v132 /*v388*/
	v_mul_i32_i24_e32 v132 /*v388*/, v4 /*v260*/, v49 /*v305*/
	v_mul_i32_i24_e32 v134 /*v390*/, v37 /*v293*/, v53 /*v309*/
	s_set_vgpr_msb 64                       ;  msbs: dst=1 src0=0 src1=0 src2=0
	v_and_b32_e32 v49 /*v305*/, 15, v146
	s_set_vgpr_msb 4                        ;  msbs: dst=0 src0=0 src1=1 src2=0
	v_add3_u32 v89, v89, v7 /*v263*/, v100
	s_set_vgpr_msb 5                        ;  msbs: dst=0 src0=1 src1=1 src2=0
	v_mul_i32_i24_e32 v100, v85 /*v341*/, v60 /*v316*/
	s_set_vgpr_msb 0x55                     ;  msbs: dst=1 src0=1 src1=1 src2=1
	v_mul_i32_i24_e32 v7 /*v263*/, v82 /*v338*/, v62 /*v318*/
	v_add3_u32 v132 /*v388*/, v135 /*v391*/, v134 /*v390*/, v132 /*v388*/
	v_mul_i32_i24_e32 v134 /*v390*/, v4 /*v260*/, v60 /*v316*/
	v_mul_i32_i24_e32 v135 /*v391*/, v37 /*v293*/, v62 /*v318*/
	s_set_vgpr_msb 0x44                     ;  msbs: dst=1 src0=0 src1=1 src2=0
	v_mul_i32_i24_e32 v82 /*v338*/, v122, v61 /*v317*/
	s_set_vgpr_msb 0x45                     ;  msbs: dst=1 src0=1 src1=1 src2=0
	v_add3_u32 v7 /*v263*/, v38 /*v294*/, v7 /*v263*/, v100
	s_set_vgpr_msb 4                        ;  msbs: dst=0 src0=0 src1=1 src2=0
	v_lshrrev_b16 v100, 8, v63 /*v319*/
	s_set_vgpr_msb 0x55                     ;  msbs: dst=1 src0=1 src1=1 src2=1
	v_lshrrev_b16 v38 /*v294*/, 8, v66 /*v322*/
	v_add3_u32 v134 /*v390*/, v136 /*v392*/, v135 /*v391*/, v134 /*v390*/
	s_set_vgpr_msb 64                       ;  msbs: dst=1 src0=0 src1=0 src2=0
	v_bfe_i32 v136 /*v392*/, v142, 0, 8
	s_set_vgpr_msb 0                        ;  msbs: dst=0 src0=0 src1=0 src2=0
	v_bfe_i32 v142, v142, 16, 8
	v_and_b32_e32 v100, 15, v100
	s_set_vgpr_msb 0x44                     ;  msbs: dst=1 src0=0 src1=1 src2=0
	v_and_b32_e32 v38 /*v294*/, 0xffff, v38 /*v294*/
	v_bfe_i32 v135 /*v391*/, v155, 0, 8
	s_set_vgpr_msb 64                       ;  msbs: dst=1 src0=0 src1=0 src2=0
	v_and_b32_e32 v60 /*v316*/, 0xf0f0f0f, v144
	s_set_vgpr_msb 0x44                     ;  msbs: dst=1 src0=0 src1=1 src2=0
	v_mul_i32_i24_e32 v66 /*v322*/, v142, v8 /*v264*/
	s_set_vgpr_msb 0                        ;  msbs: dst=0 src0=0 src1=0 src2=0
	v_and_b32_e32 v100, 0xffff, v100
	s_set_vgpr_msb 0x45                     ;  msbs: dst=1 src0=1 src1=1 src2=0
	v_mul_i32_i24_e32 v55 /*v311*/, v85 /*v341*/, v38 /*v294*/
	s_set_vgpr_msb 0x44                     ;  msbs: dst=1 src0=0 src1=1 src2=0
	v_mul_i32_i24_e32 v85 /*v341*/, v118, v8 /*v264*/
	s_set_vgpr_msb 0                        ;  msbs: dst=0 src0=0 src1=0 src2=0
	v_lshrrev_b32_e32 v144, 4, v144
	s_set_vgpr_msb 0x44                     ;  msbs: dst=1 src0=0 src1=1 src2=0
	v_lshrrev_b16 v60 /*v316*/, 8, v60 /*v316*/
	s_set_vgpr_msb 0                        ;  msbs: dst=0 src0=0 src1=0 src2=0
	v_mul_i32_i24_e32 v250, v100, v250
	s_set_vgpr_msb 0x41                     ;  msbs: dst=1 src0=1 src1=0 src2=0
	v_mul_i32_i24_e32 v58 /*v314*/, v69 /*v325*/, v100
	s_set_vgpr_msb 0x44                     ;  msbs: dst=1 src0=0 src1=1 src2=0
	v_mul_i32_i24_e32 v69 /*v325*/, v128, v8 /*v264*/
	s_set_vgpr_msb 0                        ;  msbs: dst=0 src0=0 src1=0 src2=0
	v_lshrrev_b16 v144, 8, v144
	s_set_vgpr_msb 0x44                     ;  msbs: dst=1 src0=0 src1=1 src2=0
	v_and_b32_e32 v60 /*v316*/, 0xffff, v60 /*v316*/
	s_set_vgpr_msb 0                        ;  msbs: dst=0 src0=0 src1=0 src2=0
	v_add3_u32 v245, v245, v250, v249
	s_set_vgpr_msb 4                        ;  msbs: dst=0 src0=0 src1=1 src2=0
	v_lshrrev_b16 v250, 8, v67 /*v323*/
	s_set_vgpr_msb 0x44                     ;  msbs: dst=1 src0=0 src1=1 src2=0
	v_mul_i32_i24_e32 v67 /*v323*/, v142, v52 /*v308*/
	s_set_vgpr_msb 0                        ;  msbs: dst=0 src0=0 src1=0 src2=0
	v_bfe_i32 v249, v116, 0, 8
	v_bfe_i32 v116, v116, 16, 8
	v_and_b32_e32 v144, 15, v144
	v_and_b32_e32 v250, 15, v250
	s_set_vgpr_msb 1                        ;  msbs: dst=0 src0=1 src1=0 src2=0
	v_mul_i32_i24_e32 v132, v64 /*v320*/, v132
	s_set_vgpr_msb 0x45                     ;  msbs: dst=1 src0=1 src1=1 src2=0
	v_mul_i32_i24_e32 v27 /*v283*/, v2 /*v258*/, v11 /*v267*/
	s_set_vgpr_msb 64                       ;  msbs: dst=1 src0=0 src1=0 src2=0
	v_mul_i32_i24_e32 v29 /*v285*/, v237, v91
	v_and_b32_e32 v137 /*v393*/, 0xffff, v144
	s_set_vgpr_msb 0                        ;  msbs: dst=0 src0=0 src1=0 src2=0
	v_and_b32_e32 v250, 0xffff, v250
	v_add3_u32 v144, v245, v251, v252
	s_set_vgpr_msb 4                        ;  msbs: dst=0 src0=0 src1=1 src2=0
	v_mul_i32_i24_e32 v245, v161, v60 /*v316*/
	s_set_vgpr_msb 0x55                     ;  msbs: dst=1 src0=1 src1=1 src2=1
	v_add3_u32 v16 /*v272*/, v16 /*v272*/, v26 /*v282*/, v27 /*v283*/
	s_set_vgpr_msb 4                        ;  msbs: dst=0 src0=0 src1=1 src2=0
	v_mul_i32_i24_e32 v251, v159, v137 /*v393*/
	s_set_vgpr_msb 0x41                     ;  msbs: dst=1 src0=1 src1=0 src2=0
	v_mul_i32_i24_e32 v63 /*v319*/, v89 /*v345*/, v250
	v_and_b32_e32 v27 /*v283*/, 15, v147
	s_set_vgpr_msb 0                        ;  msbs: dst=0 src0=0 src1=0 src2=0
	v_dual_ashrrev_i32 v208, 24, v83 :: v_dual_bitop2_b32 v240, 15, v92 bitop3:0x40
	s_set_vgpr_msb 64                       ;  msbs: dst=1 src0=0 src1=0 src2=0
	v_bfe_u32 v12 /*v268*/, v92, 8, 4
	s_set_vgpr_msb 0x55                     ;  msbs: dst=1 src0=1 src1=1 src2=1
	v_add3_u32 v55 /*v311*/, v58 /*v314*/, v55 /*v311*/, v63 /*v319*/
	v_mul_i32_i24_e32 v63 /*v319*/, v136 /*v392*/, v6 /*v262*/
	v_mul_i32_i24_e32 v58 /*v314*/, v135 /*v391*/, v78 /*v334*/
	s_set_vgpr_msb 64                       ;  msbs: dst=1 src0=0 src1=0 src2=0
	v_bfe_u32 v13 /*v269*/, v92, 24, 4
	s_set_vgpr_msb 0                        ;  msbs: dst=0 src0=0 src1=0 src2=0
	v_bfe_u32 v241, v92, 16, 4
	s_set_vgpr_msb 1                        ;  msbs: dst=0 src0=1 src1=0 src2=0
	v_add3_u32 v245, v55 /*v311*/, v245, v251
	s_set_vgpr_msb 0x55                     ;  msbs: dst=1 src0=1 src1=1 src2=1
	v_add3_u32 v63 /*v319*/, v70 /*v326*/, v63 /*v319*/, v66 /*v322*/
	v_mul_i32_i24_e32 v66 /*v322*/, v136 /*v392*/, v48 /*v304*/
	s_set_vgpr_msb 0x44                     ;  msbs: dst=1 src0=0 src1=1 src2=0
	v_mul_i32_i24_e32 v70 /*v326*/, v128, v52 /*v308*/
	s_set_vgpr_msb 0x55                     ;  msbs: dst=1 src0=1 src1=1 src2=1
	v_add3_u32 v58 /*v314*/, v126 /*v382*/, v58 /*v314*/, v74 /*v330*/
	s_set_vgpr_msb 0x44                     ;  msbs: dst=1 src0=0 src1=1 src2=0
	v_mul_i32_i24_e32 v74 /*v330*/, v122, v8 /*v264*/
	v_mul_i32_i24_e32 v126 /*v382*/, v116, v61 /*v317*/
	s_set_vgpr_msb 0x55                     ;  msbs: dst=1 src0=1 src1=1 src2=1
	v_add3_u32 v17 /*v273*/, v17 /*v273*/, v66 /*v322*/, v67 /*v323*/
	v_mul_i32_i24_e32 v66 /*v322*/, v136 /*v392*/, v59 /*v315*/
	s_set_vgpr_msb 0x44                     ;  msbs: dst=1 src0=0 src1=1 src2=0
	v_mul_i32_i24_e32 v67 /*v323*/, v142, v61 /*v317*/
	s_set_vgpr_msb 0                        ;  msbs: dst=0 src0=0 src1=0 src2=0
	v_bfe_u32 v229, v92, 4, 4
	v_bfe_u32 v223, v92, 12, 4
	;; [unrolled: 1-line block ×3, first 2 shown]
	v_dual_lshrrev_b32 v92, 16, v80 :: v_dual_bitop2_b32 v204, 15, v93 bitop3:0x40
	s_set_vgpr_msb 0x55                     ;  msbs: dst=1 src0=1 src1=1 src2=1
	v_add3_u32 v18 /*v274*/, v18 /*v274*/, v66 /*v322*/, v67 /*v323*/
	v_mul_i32_i24_e32 v66 /*v322*/, v21 /*v277*/, v6 /*v262*/
	s_set_vgpr_msb 0x44                     ;  msbs: dst=1 src0=0 src1=1 src2=0
	v_mul_i32_i24_e32 v67 /*v323*/, v138, v8 /*v264*/
	s_set_vgpr_msb 0                        ;  msbs: dst=0 src0=0 src1=0 src2=0
	v_lshrrev_b32_e32 v90, 16, v81
	s_set_vgpr_msb 0x45                     ;  msbs: dst=1 src0=1 src1=1 src2=0
	v_mul_i32_i24_e32 v53 /*v309*/, v0 /*v256*/, v53 /*v309*/
	s_set_vgpr_msb 20                       ;  msbs: dst=0 src0=0 src1=1 src2=1
	v_bfe_u32 v206, v93, 8, 4
	v_bfe_u32 v213, v93, 16, 4
	v_add3_u32 v246, v246, v66 /*v322*/, v67 /*v323*/
	s_set_vgpr_msb 0x45                     ;  msbs: dst=1 src0=1 src1=1 src2=0
	v_mul_i32_i24_e32 v66 /*v322*/, v21 /*v277*/, v48 /*v304*/
	s_set_vgpr_msb 0x44                     ;  msbs: dst=1 src0=0 src1=1 src2=0
	v_mul_i32_i24_e32 v67 /*v323*/, v138, v52 /*v308*/
	s_set_vgpr_msb 0                        ;  msbs: dst=0 src0=0 src1=0 src2=0
	v_bfe_u32 v207, v93, 24, 4
	s_set_vgpr_msb 64                       ;  msbs: dst=1 src0=0 src1=0 src2=0
	v_bfe_u32 v42 /*v298*/, v93, 4, 4
	v_bfe_u32 v43 /*v299*/, v93, 12, 4
	v_dual_lshrrev_b32 v45 /*v301*/, 28, v93 :: v_dual_lshrrev_b32 v14 /*v270*/, 16, v151
	s_set_vgpr_msb 20                       ;  msbs: dst=0 src0=0 src1=1 src2=1
	v_add3_u32 v247, v247, v66 /*v322*/, v67 /*v323*/
	s_set_vgpr_msb 0x45                     ;  msbs: dst=1 src0=1 src1=1 src2=0
	v_mul_i32_i24_e32 v66 /*v322*/, v21 /*v277*/, v59 /*v315*/
	s_set_vgpr_msb 0x44                     ;  msbs: dst=1 src0=0 src1=1 src2=0
	v_mul_i32_i24_e32 v67 /*v323*/, v138, v61 /*v317*/
	v_bfe_u32 v47 /*v303*/, v93, 20, 4
	s_set_vgpr_msb 0                        ;  msbs: dst=0 src0=0 src1=0 src2=0
	v_lshrrev_b32_e32 v93, 16, v95
	v_bfe_i32 v155, v155, 8, 8
	s_set_vgpr_msb 0x55                     ;  msbs: dst=1 src0=1 src1=1 src2=1
	v_mul_i32_i24_e32 v20 /*v276*/, v20 /*v276*/, v65 /*v321*/
	v_add3_u32 v66 /*v322*/, v128 /*v384*/, v66 /*v322*/, v67 /*v323*/
	v_mul_i32_i24_e32 v67 /*v323*/, v34 /*v290*/, v6 /*v262*/
	s_set_vgpr_msb 64                       ;  msbs: dst=1 src0=0 src1=0 src2=0
	v_bfe_u32 v128 /*v384*/, v163, 12, 4
	s_set_vgpr_msb 0x55                     ;  msbs: dst=1 src0=1 src1=1 src2=1
	v_mul_i32_i24_e32 v19 /*v275*/, v19 /*v275*/, v38 /*v294*/
	v_mul_i32_i24_e32 v3 /*v259*/, v3 /*v259*/, v38 /*v294*/
	;; [unrolled: 1-line block ×3, first 2 shown]
	v_add3_u32 v67 /*v323*/, v71 /*v327*/, v67 /*v323*/, v69 /*v325*/
	v_mul_i32_i24_e32 v69 /*v325*/, v34 /*v290*/, v48 /*v304*/
	s_set_vgpr_msb 0x44                     ;  msbs: dst=1 src0=0 src1=1 src2=0
	v_mul_i32_i24_e32 v71 /*v327*/, v128, v61 /*v317*/
	s_set_vgpr_msb 0                        ;  msbs: dst=0 src0=0 src1=0 src2=0
	v_bfe_i32 v234, v86, 16, 8
	s_set_vgpr_msb 0x45                     ;  msbs: dst=1 src0=1 src1=1 src2=0
	v_mul_i32_i24_e32 v62 /*v318*/, v0 /*v256*/, v62 /*v318*/
	s_set_vgpr_msb 64                       ;  msbs: dst=1 src0=0 src1=0 src2=0
	v_bfe_u32 v148 /*v404*/, v145, 4, 4
	s_set_vgpr_msb 0x55                     ;  msbs: dst=1 src0=1 src1=1 src2=1
	v_add3_u32 v69 /*v325*/, v127 /*v383*/, v69 /*v325*/, v70 /*v326*/
	v_mul_i32_i24_e32 v70 /*v326*/, v34 /*v290*/, v59 /*v315*/
	s_set_vgpr_msb 64                       ;  msbs: dst=1 src0=0 src1=0 src2=0
	v_bfe_u32 v127 /*v383*/, v163, 4, 4
	v_bfe_u32 v149 /*v405*/, v145, 12, 4
	v_lshrrev_b32_e32 v150 /*v406*/, 28, v145
	v_bfe_u32 v151 /*v407*/, v145, 20, 4
	s_set_vgpr_msb 0x55                     ;  msbs: dst=1 src0=1 src1=1 src2=1
	v_add3_u32 v70 /*v326*/, v122 /*v378*/, v70 /*v326*/, v71 /*v327*/
	v_mul_i32_i24_e32 v71 /*v327*/, v54 /*v310*/, v6 /*v262*/
	s_set_vgpr_msb 0x44                     ;  msbs: dst=1 src0=0 src1=1 src2=0
	v_mul_i32_i24_e32 v122 /*v378*/, v118, v52 /*v308*/
	v_mul_i32_i24_e32 v28 /*v284*/, v234, v5 /*v261*/
	s_set_vgpr_msb 0x45                     ;  msbs: dst=1 src0=1 src1=1 src2=0
	v_mul_i32_i24_e32 v0 /*v256*/, v0 /*v256*/, v65 /*v321*/
	s_set_vgpr_msb 64                       ;  msbs: dst=1 src0=0 src1=0 src2=0
	v_bfe_u32 v26 /*v282*/, v147, 8, 4
	s_set_vgpr_msb 20                       ;  msbs: dst=0 src0=0 src1=1 src2=1
	v_add3_u32 v248, v248, v71 /*v327*/, v74 /*v330*/
	s_set_vgpr_msb 0x45                     ;  msbs: dst=1 src0=1 src1=1 src2=0
	v_mul_i32_i24_e32 v71 /*v327*/, v54 /*v310*/, v48 /*v304*/
	s_set_vgpr_msb 0x44                     ;  msbs: dst=1 src0=0 src1=1 src2=0
	v_mul_i32_i24_e32 v74 /*v330*/, v122, v52 /*v308*/
	s_set_vgpr_msb 4                        ;  msbs: dst=0 src0=0 src1=1 src2=0
	v_mul_i32_i24_e32 v142, v142, v80 /*v336*/
	v_mul_i32_i24_e32 v138, v138, v80 /*v336*/
	;; [unrolled: 1-line block ×4, first 2 shown]
	s_set_vgpr_msb 0x55                     ;  msbs: dst=1 src0=1 src1=1 src2=1
	v_add3_u32 v71 /*v327*/, v129 /*v385*/, v71 /*v327*/, v74 /*v330*/
	v_mul_i32_i24_e32 v74 /*v330*/, v54 /*v310*/, v59 /*v315*/
	s_set_vgpr_msb 64                       ;  msbs: dst=1 src0=0 src1=0 src2=0
	v_lshrrev_b32_e32 v129 /*v385*/, 28, v163
	s_set_vgpr_msb 4                        ;  msbs: dst=0 src0=0 src1=1 src2=0
	v_mul_i32_i24_e32 v163, v100, v96 /*v352*/
	s_set_vgpr_msb 0x44                     ;  msbs: dst=1 src0=0 src1=1 src2=0
	v_mul_i32_i24_e32 v96 /*v352*/, v100, v104 /*v360*/
	v_mul_i32_i24_e32 v104 /*v360*/, v100, v115 /*v371*/
	s_set_vgpr_msb 0x55                     ;  msbs: dst=1 src0=1 src1=1 src2=1
	v_add3_u32 v74 /*v330*/, v130 /*v386*/, v74 /*v330*/, v82 /*v338*/
	v_mul_i32_i24_e32 v82 /*v338*/, v9 /*v265*/, v6 /*v262*/
	s_set_vgpr_msb 1                        ;  msbs: dst=0 src0=1 src1=0 src2=0
	v_mad_i32_i24 v242, v73 /*v329*/, v242, v163
	s_set_vgpr_msb 4                        ;  msbs: dst=0 src0=0 src1=1 src2=0
	v_mul_i32_i24_e32 v163, v253, v48 /*v304*/
	s_set_vgpr_msb 0x55                     ;  msbs: dst=1 src0=1 src1=1 src2=1
	v_mad_i32_i24 v96 /*v352*/, v73 /*v329*/, v103 /*v359*/, v96 /*v352*/
	v_mad_i32_i24 v104 /*v360*/, v73 /*v329*/, v113 /*v369*/, v104 /*v360*/
	v_add3_u32 v82 /*v338*/, v123 /*v379*/, v82 /*v338*/, v85 /*v341*/
	v_mul_i32_i24_e32 v85 /*v341*/, v9 /*v265*/, v48 /*v304*/
	s_set_vgpr_msb 0x44                     ;  msbs: dst=1 src0=0 src1=1 src2=0
	v_mul_i32_i24_e32 v123 /*v379*/, v118, v61 /*v317*/
	s_set_vgpr_msb 0x45                     ;  msbs: dst=1 src0=1 src1=1 src2=0
	v_add3_u32 v22 /*v278*/, v22 /*v278*/, v23 /*v279*/, v163
	s_set_vgpr_msb 0x44                     ;  msbs: dst=1 src0=0 src1=1 src2=0
	v_mul_i32_i24_e32 v23 /*v279*/, v253, v59 /*v315*/
	s_set_vgpr_msb 5                        ;  msbs: dst=0 src0=1 src1=1 src2=0
	v_add3_u32 v104, v104 /*v360*/, v116 /*v372*/, v104
	s_set_vgpr_msb 0x55                     ;  msbs: dst=1 src0=1 src1=1 src2=1
	v_add3_u32 v122 /*v378*/, v131 /*v387*/, v85 /*v341*/, v122 /*v378*/
	v_mul_i32_i24_e32 v85 /*v341*/, v9 /*v265*/, v59 /*v315*/
	s_set_vgpr_msb 0                        ;  msbs: dst=0 src0=0 src1=0 src2=0
	v_bfe_u32 v163, v149, 16, 4
	s_set_vgpr_msb 0x55                     ;  msbs: dst=1 src0=1 src1=1 src2=1
	v_add3_u32 v23 /*v279*/, v39 /*v295*/, v25 /*v281*/, v23 /*v279*/
	v_mul_i32_i24_e32 v39 /*v295*/, v84 /*v340*/, v52 /*v308*/
	s_set_vgpr_msb 64                       ;  msbs: dst=1 src0=0 src1=0 src2=0
	v_bfe_u32 v25 /*v281*/, v149, 24, 4
	s_set_vgpr_msb 0x55                     ;  msbs: dst=1 src0=1 src1=1 src2=1
	v_add3_u32 v123 /*v379*/, v124 /*v380*/, v85 /*v341*/, v123 /*v379*/
	s_set_vgpr_msb 0x44                     ;  msbs: dst=1 src0=0 src1=1 src2=0
	v_mul_i32_i24_e32 v85 /*v341*/, v249, v6 /*v262*/
	v_mul_i32_i24_e32 v124 /*v380*/, v116, v8 /*v264*/
	s_set_vgpr_msb 0x45                     ;  msbs: dst=1 src0=1 src1=1 src2=0
	v_mul_i32_i24_e32 v8 /*v264*/, v84 /*v340*/, v8 /*v264*/
	v_mul_i32_i24_e32 v84 /*v340*/, v84 /*v340*/, v61 /*v317*/
	;; [unrolled: 1-line block ×3, first 2 shown]
	s_set_vgpr_msb 0x44                     ;  msbs: dst=1 src0=0 src1=1 src2=0
	v_mul_i32_i24_e32 v61 /*v317*/, v255, v61 /*v317*/
	s_set_vgpr_msb 0x55                     ;  msbs: dst=1 src0=1 src1=1 src2=1
	v_add3_u32 v124 /*v380*/, v125 /*v381*/, v85 /*v341*/, v124 /*v380*/
	s_set_vgpr_msb 0x44                     ;  msbs: dst=1 src0=0 src1=1 src2=0
	v_mul_i32_i24_e32 v85 /*v341*/, v249, v48 /*v304*/
	v_mul_i32_i24_e32 v125 /*v381*/, v116, v52 /*v308*/
	s_set_vgpr_msb 20                       ;  msbs: dst=0 src0=0 src1=1 src2=1
	v_add3_u32 v88, v88, v6 /*v262*/, v8 /*v264*/
	s_set_vgpr_msb 0x45                     ;  msbs: dst=1 src0=1 src1=1 src2=0
	v_mul_i32_i24_e32 v8 /*v264*/, v86 /*v342*/, v48 /*v304*/
	s_set_vgpr_msb 0x44                     ;  msbs: dst=1 src0=0 src1=1 src2=0
	v_bfe_u32 v6 /*v262*/, v157, 20, 4
	v_mul_i32_i24_e32 v52 /*v308*/, v255, v52 /*v308*/
	s_set_vgpr_msb 0x55                     ;  msbs: dst=1 src0=1 src1=1 src2=1
	v_add3_u32 v125 /*v381*/, v132 /*v388*/, v85 /*v341*/, v125 /*v381*/
	s_set_vgpr_msb 0x44                     ;  msbs: dst=1 src0=0 src1=1 src2=0
	v_mul_i32_i24_e32 v85 /*v341*/, v249, v59 /*v315*/
	s_set_vgpr_msb 0x45                     ;  msbs: dst=1 src0=1 src1=1 src2=0
	v_mul_i32_i24_e32 v59 /*v315*/, v86 /*v342*/, v59 /*v315*/
	s_set_vgpr_msb 20                       ;  msbs: dst=0 src0=0 src1=1 src2=1
	v_add3_u32 v89, v89, v8 /*v264*/, v39 /*v295*/
	s_set_vgpr_msb 64                       ;  msbs: dst=1 src0=0 src1=0 src2=0
	v_bfe_u32 v8 /*v264*/, v157, 4, 4
	v_bfe_u32 v39 /*v295*/, v157, 12, 4
	s_set_vgpr_msb 0                        ;  msbs: dst=0 src0=0 src1=0 src2=0
	v_lshrrev_b32_e32 v157, 28, v157
	s_set_vgpr_msb 0x55                     ;  msbs: dst=1 src0=1 src1=1 src2=1
	v_add3_u32 v7 /*v263*/, v7 /*v263*/, v59 /*v315*/, v84 /*v340*/
	s_set_vgpr_msb 64                       ;  msbs: dst=1 src0=0 src1=0 src2=0
	v_bfe_i32 v59 /*v315*/, v140, 0, 8
	v_ashrrev_i32_e32 v84 /*v340*/, 24, v140
	s_set_vgpr_msb 0x55                     ;  msbs: dst=1 src0=1 src1=1 src2=1
	v_add3_u32 v126 /*v382*/, v134 /*v390*/, v85 /*v341*/, v126 /*v382*/
	s_set_vgpr_msb 0x44                     ;  msbs: dst=1 src0=0 src1=1 src2=0
	v_mul_i32_i24_e32 v85 /*v341*/, v100, v101 /*v357*/
	s_set_vgpr_msb 0x45                     ;  msbs: dst=1 src0=1 src1=1 src2=0
	v_mul_i32_i24_e32 v86 /*v342*/, v72 /*v328*/, v102 /*v358*/
	s_set_vgpr_msb 5                        ;  msbs: dst=0 src0=1 src1=1 src2=0
	v_mul_i32_i24_e32 v251, v59 /*v315*/, v10 /*v266*/
	s_set_vgpr_msb 1                        ;  msbs: dst=0 src0=1 src1=0 src2=0
	v_mul_i32_i24_e32 v252, v84 /*v340*/, v91
	s_set_vgpr_msb 0x55                     ;  msbs: dst=1 src0=1 src1=1 src2=1
	v_mul_i32_i24_e32 v55 /*v311*/, v84 /*v340*/, v129 /*v385*/
	v_mad_i32_i24 v100 /*v356*/, v73 /*v329*/, v100 /*v356*/, v85 /*v341*/
	s_set_vgpr_msb 0x44                     ;  msbs: dst=1 src0=0 src1=1 src2=0
	v_mul_i32_i24_e32 v101 /*v357*/, v100, v108 /*v364*/
	s_set_vgpr_msb 4                        ;  msbs: dst=0 src0=0 src1=1 src2=0
	v_mul_i32_i24_e32 v100, v100, v118 /*v374*/
	s_set_vgpr_msb 1                        ;  msbs: dst=0 src0=1 src1=0 src2=0
	v_add3_u32 v251, v63 /*v319*/, v252, v251
	s_set_vgpr_msb 5                        ;  msbs: dst=0 src0=1 src1=1 src2=0
	v_mul_i32_i24_e32 v252, v59 /*v315*/, v127 /*v383*/
	s_set_vgpr_msb 0x45                     ;  msbs: dst=1 src0=1 src1=1 src2=0
	v_mul_i32_i24_e32 v63 /*v319*/, v72 /*v328*/, v97 /*v353*/
	s_set_vgpr_msb 5                        ;  msbs: dst=0 src0=1 src1=1 src2=0
	v_add3_u32 v132, v100 /*v356*/, v86 /*v342*/, v132
	s_set_vgpr_msb 0x55                     ;  msbs: dst=1 src0=1 src1=1 src2=1
	v_mad_i32_i24 v101 /*v357*/, v73 /*v329*/, v106 /*v362*/, v101 /*v357*/
	s_set_vgpr_msb 0x45                     ;  msbs: dst=1 src0=1 src1=1 src2=0
	v_mad_i32_i24 v73 /*v329*/, v73 /*v329*/, v117 /*v373*/, v100
	s_set_vgpr_msb 5                        ;  msbs: dst=0 src0=1 src1=1 src2=0
	v_add3_u32 v252, v17 /*v273*/, v55 /*v311*/, v252
	s_set_vgpr_msb 0x45                     ;  msbs: dst=1 src0=1 src1=1 src2=0
	v_mul_i32_i24_e32 v17 /*v273*/, v59 /*v315*/, v8 /*v264*/
	s_set_vgpr_msb 0x41                     ;  msbs: dst=1 src0=1 src1=0 src2=0
	v_mul_i32_i24_e32 v55 /*v311*/, v84 /*v340*/, v157
	s_set_vgpr_msb 4                        ;  msbs: dst=0 src0=0 src1=1 src2=0
	v_add3_u32 v136, v242, v63 /*v319*/, v136
	s_set_vgpr_msb 0                        ;  msbs: dst=0 src0=0 src1=0 src2=0
	v_and_b32_e32 v100, 15, v149
	s_set_vgpr_msb 0x45                     ;  msbs: dst=1 src0=1 src1=1 src2=0
	v_mul_i32_i24_e32 v100 /*v356*/, v72 /*v328*/, v105 /*v361*/
	s_set_vgpr_msb 1                        ;  msbs: dst=0 src0=1 src1=0 src2=0
	v_mul_i32_i24_e32 v120, v64 /*v320*/, v120
	s_set_vgpr_msb 0x55                     ;  msbs: dst=1 src0=1 src1=1 src2=1
	v_add3_u32 v17 /*v273*/, v18 /*v274*/, v55 /*v311*/, v17 /*v273*/
	s_set_vgpr_msb 64                       ;  msbs: dst=1 src0=0 src1=0 src2=0
	v_bfe_i32 v18 /*v274*/, v134, 0, 8
	v_ashrrev_i32_e32 v55 /*v311*/, 24, v134
	s_set_vgpr_msb 0x45                     ;  msbs: dst=1 src0=1 src1=1 src2=0
	v_mul_i32_i24_e32 v102 /*v358*/, v72 /*v328*/, v111 /*v367*/
	s_set_vgpr_msb 5                        ;  msbs: dst=0 src0=1 src1=1 src2=0
	v_add3_u32 v120, v96 /*v352*/, v100 /*v356*/, v120
	s_set_vgpr_msb 1                        ;  msbs: dst=0 src0=1 src1=0 src2=0
	v_mul_i32_i24_e32 v112, v64 /*v320*/, v112
	s_set_vgpr_msb 5                        ;  msbs: dst=0 src0=1 src1=1 src2=0
	v_mul_i32_i24_e32 v242, v18 /*v274*/, v10 /*v266*/
	s_set_vgpr_msb 0x41                     ;  msbs: dst=1 src0=1 src1=0 src2=0
	v_mul_i32_i24_e32 v63 /*v319*/, v55 /*v311*/, v91
	v_ashrrev_i32_e32 v111 /*v367*/, 24, v102
	s_set_vgpr_msb 0x55                     ;  msbs: dst=1 src0=1 src1=1 src2=1
	v_add3_u32 v22 /*v278*/, v22 /*v278*/, v52 /*v308*/, v53 /*v309*/
	s_set_vgpr_msb 5                        ;  msbs: dst=0 src0=1 src1=1 src2=0
	v_add3_u32 v112, v101 /*v357*/, v102 /*v358*/, v112
	s_set_vgpr_msb 64                       ;  msbs: dst=1 src0=0 src1=0 src2=0
	v_and_b32_e32 v53 /*v309*/, 0xf0f0f0f, v145
	s_set_vgpr_msb 4                        ;  msbs: dst=0 src0=0 src1=1 src2=0
	v_add3_u32 v242, v246, v63 /*v319*/, v242
	s_set_vgpr_msb 5                        ;  msbs: dst=0 src0=1 src1=1 src2=0
	v_mul_i32_i24_e32 v246, v18 /*v274*/, v127 /*v383*/
	s_set_vgpr_msb 0x45                     ;  msbs: dst=1 src0=1 src1=1 src2=0
	v_mul_i32_i24_e32 v63 /*v319*/, v55 /*v311*/, v129 /*v385*/
	s_set_vgpr_msb 0x41                     ;  msbs: dst=1 src0=1 src1=0 src2=0
	v_mul_i32_i24_e32 v116 /*v372*/, v111 /*v367*/, v91
	s_set_vgpr_msb 20                       ;  msbs: dst=0 src0=0 src1=1 src2=1
	v_add3_u32 v120, v120, v20 /*v276*/, v19 /*v275*/
	s_set_vgpr_msb 0x45                     ;  msbs: dst=1 src0=1 src1=1 src2=0
	v_mul_i32_i24_e32 v72 /*v328*/, v72 /*v328*/, v119 /*v375*/
	v_mul_i32_i24_e32 v64 /*v320*/, v64 /*v320*/, v120 /*v376*/
	s_set_vgpr_msb 4                        ;  msbs: dst=0 src0=0 src1=1 src2=0
	v_add3_u32 v246, v247, v63 /*v319*/, v246
	s_set_vgpr_msb 5                        ;  msbs: dst=0 src0=1 src1=1 src2=0
	v_mul_i32_i24_e32 v247, v18 /*v274*/, v8 /*v264*/
	s_set_vgpr_msb 0x41                     ;  msbs: dst=1 src0=1 src1=0 src2=0
	v_mul_i32_i24_e32 v63 /*v319*/, v55 /*v311*/, v157
	s_set_vgpr_msb 5                        ;  msbs: dst=0 src0=1 src1=1 src2=0
	v_mul_i32_i24_e32 v145, v2 /*v258*/, v128 /*v384*/
	s_set_vgpr_msb 0x55                     ;  msbs: dst=1 src0=1 src1=1 src2=1
	v_add3_u32 v64 /*v320*/, v73 /*v329*/, v72 /*v328*/, v64 /*v320*/
	s_set_vgpr_msb 64                       ;  msbs: dst=1 src0=0 src1=0 src2=0
	v_lshrrev_b32_e32 v72 /*v328*/, 28, v146
	s_set_vgpr_msb 0x55                     ;  msbs: dst=1 src0=1 src1=1 src2=1
	v_add3_u32 v23 /*v279*/, v23 /*v279*/, v61 /*v317*/, v62 /*v318*/
	s_set_vgpr_msb 5                        ;  msbs: dst=0 src0=1 src1=1 src2=0
	v_add3_u32 v247, v66 /*v322*/, v63 /*v319*/, v247
	s_set_vgpr_msb 64                       ;  msbs: dst=1 src0=0 src1=0 src2=0
	v_bfe_i32 v63 /*v319*/, v124, 0, 8
	v_ashrrev_i32_e32 v66 /*v322*/, 24, v124
	s_set_vgpr_msb 4                        ;  msbs: dst=0 src0=0 src1=1 src2=0
	v_mul_i32_i24_e32 v255, v255, v80 /*v336*/
	s_set_vgpr_msb 64                       ;  msbs: dst=1 src0=0 src1=0 src2=0
	v_bfe_u32 v117 /*v373*/, v149, 8, 4
	v_bfe_u32 v85 /*v341*/, v149, 4, 4
	s_set_vgpr_msb 0x45                     ;  msbs: dst=1 src0=1 src1=1 src2=0
	v_mul_i32_i24_e32 v86 /*v342*/, v63 /*v319*/, v10 /*v266*/
	s_set_vgpr_msb 0x41                     ;  msbs: dst=1 src0=1 src1=0 src2=0
	v_mul_i32_i24_e32 v97 /*v353*/, v66 /*v322*/, v91
	s_set_vgpr_msb 64                       ;  msbs: dst=1 src0=0 src1=0 src2=0
	v_bfe_u32 v52 /*v308*/, v147, 16, 4
	v_bfe_u32 v131 /*v387*/, v149, 20, 4
	;; [unrolled: 1-line block ×4, first 2 shown]
	s_set_vgpr_msb 0x55                     ;  msbs: dst=1 src0=1 src1=1 src2=1
	v_add3_u32 v67 /*v323*/, v67 /*v323*/, v97 /*v353*/, v86 /*v342*/
	v_mul_i32_i24_e32 v86 /*v342*/, v63 /*v319*/, v127 /*v383*/
	v_mul_i32_i24_e32 v97 /*v353*/, v66 /*v322*/, v129 /*v385*/
	s_set_vgpr_msb 64                       ;  msbs: dst=1 src0=0 src1=0 src2=0
	v_bfe_u32 v130 /*v386*/, v148, 8, 4
	v_bfe_u32 v115 /*v371*/, v148, 24, 4
	;; [unrolled: 1-line block ×3, first 2 shown]
	s_set_vgpr_msb 4                        ;  msbs: dst=0 src0=0 src1=1 src2=0
	v_mul_i32_i24_e32 v118, v118, v80 /*v336*/
	s_set_vgpr_msb 0x55                     ;  msbs: dst=1 src0=1 src1=1 src2=1
	v_add3_u32 v69 /*v325*/, v69 /*v325*/, v97 /*v353*/, v86 /*v342*/
	v_mul_i32_i24_e32 v86 /*v342*/, v63 /*v319*/, v8 /*v264*/
	s_set_vgpr_msb 0x41                     ;  msbs: dst=1 src0=1 src1=0 src2=0
	v_mul_i32_i24_e32 v97 /*v353*/, v66 /*v322*/, v157
	s_set_vgpr_msb 4                        ;  msbs: dst=0 src0=0 src1=1 src2=0
	v_mul_i32_i24_e32 v116, v116, v80 /*v336*/
	s_set_vgpr_msb 64                       ;  msbs: dst=1 src0=0 src1=0 src2=0
	v_mul_i32_i24_e32 v30 /*v286*/, v227, v240
	s_set_vgpr_msb 0x44                     ;  msbs: dst=1 src0=0 src1=1 src2=0
	v_mul_i32_i24_e32 v31 /*v287*/, v226, v12 /*v268*/
	v_bfe_i32 v80 /*v336*/, v135, 0, 8
	s_set_vgpr_msb 0x55                     ;  msbs: dst=1 src0=1 src1=1 src2=1
	v_add3_u32 v70 /*v326*/, v70 /*v326*/, v97 /*v353*/, v86 /*v342*/
	s_set_vgpr_msb 64                       ;  msbs: dst=1 src0=0 src1=0 src2=0
	v_bfe_i32 v86 /*v342*/, v114, 0, 8
	v_ashrrev_i32_e32 v97 /*v353*/, 24, v114
	v_bfe_i32 v152 /*v408*/, v127, 8, 8
	s_set_vgpr_msb 0                        ;  msbs: dst=0 src0=0 src1=0 src2=0
	v_bfe_i32 v215, v87, 0, 8
	v_bfe_i32 v205, v87, 8, 8
	s_set_vgpr_msb 0x45                     ;  msbs: dst=1 src0=1 src1=1 src2=0
	v_mul_i32_i24_e32 v96 /*v352*/, v86 /*v342*/, v10 /*v266*/
	s_set_vgpr_msb 0x41                     ;  msbs: dst=1 src0=1 src1=0 src2=0
	v_mul_i32_i24_e32 v100 /*v356*/, v97 /*v353*/, v91
	s_set_vgpr_msb 0                        ;  msbs: dst=0 src0=0 src1=0 src2=0
	v_bfe_i32 v216, v87, 16, 8
	v_dual_ashrrev_i32 v217, 24, v87 :: v_dual_ashrrev_i32 v220, 24, v85
	v_cvt_f32_f16_e32 v87, v81
	s_set_vgpr_msb 20                       ;  msbs: dst=0 src0=0 src1=1 src2=1
	v_add3_u32 v248, v248, v100 /*v356*/, v96 /*v352*/
	s_set_vgpr_msb 0x45                     ;  msbs: dst=1 src0=1 src1=1 src2=0
	v_mul_i32_i24_e32 v96 /*v352*/, v86 /*v342*/, v127 /*v383*/
	v_mul_i32_i24_e32 v100 /*v356*/, v97 /*v353*/, v129 /*v385*/
	s_set_vgpr_msb 0                        ;  msbs: dst=0 src0=0 src1=0 src2=0
	v_cvt_f32_f16_e32 v81, v95
	v_lshrrev_b32_e32 v95, 16, v94
	v_cvt_f32_f16_e32 v86, v80
	v_cvt_f32_f16_e32 v80, v94
	s_set_vgpr_msb 0x55                     ;  msbs: dst=1 src0=1 src1=1 src2=1
	v_add3_u32 v71 /*v327*/, v71 /*v327*/, v100 /*v356*/, v96 /*v352*/
	v_mul_i32_i24_e32 v96 /*v352*/, v86 /*v342*/, v8 /*v264*/
	s_set_vgpr_msb 0x41                     ;  msbs: dst=1 src0=1 src1=0 src2=0
	v_mul_i32_i24_e32 v100 /*v356*/, v97 /*v353*/, v157
	s_set_vgpr_msb 0                        ;  msbs: dst=0 src0=0 src1=0 src2=0
	v_lshrrev_b32_e32 v94, 16, v225
	s_set_vgpr_msb 64                       ;  msbs: dst=1 src0=0 src1=0 src2=0
	v_bfe_i32 v140 /*v396*/, v125, 16, 8
	v_dual_lshrrev_b32 v113 /*v369*/, 28, v148 :: v_dual_bitop2_b32 v108 /*v364*/, 15, v148 bitop3:0x40
	s_set_vgpr_msb 0x55                     ;  msbs: dst=1 src0=1 src1=1 src2=1
	v_add3_u32 v74 /*v330*/, v74 /*v330*/, v100 /*v356*/, v96 /*v352*/
	s_set_vgpr_msb 64                       ;  msbs: dst=1 src0=0 src1=0 src2=0
	v_bfe_i32 v96 /*v352*/, v106, 0, 8
	v_ashrrev_i32_e32 v100 /*v356*/, 24, v106
	v_bfe_u32 v118 /*v374*/, v148, 16, 4
	s_set_vgpr_msb 0x44                     ;  msbs: dst=1 src0=0 src1=1 src2=0
	v_mul_i32_i24_e32 v32 /*v288*/, v221, v13 /*v269*/
	v_bfe_i32 v153 /*v409*/, v109, 8, 8
	s_set_vgpr_msb 0x45                     ;  msbs: dst=1 src0=1 src1=1 src2=0
	v_mul_i32_i24_e32 v101 /*v357*/, v96 /*v352*/, v10 /*v266*/
	s_set_vgpr_msb 0x41                     ;  msbs: dst=1 src0=1 src1=0 src2=0
	v_mul_i32_i24_e32 v102 /*v358*/, v100 /*v356*/, v91
	v_mul_i32_i24_e32 v105 /*v361*/, v100 /*v356*/, v157
	s_set_vgpr_msb 1                        ;  msbs: dst=0 src0=1 src1=0 src2=0
	v_mul_i32_i24_e32 v91, v87 /*v343*/, v91
	s_set_vgpr_msb 64                       ;  msbs: dst=1 src0=0 src1=0 src2=0
	v_mul_i32_i24_e32 v33 /*v289*/, v214, v241
	v_bfe_i32 v143 /*v399*/, v108, 0, 8
	s_set_vgpr_msb 0x55                     ;  msbs: dst=1 src0=1 src1=1 src2=1
	v_add3_u32 v82 /*v338*/, v82 /*v338*/, v102 /*v358*/, v101 /*v357*/
	v_mul_i32_i24_e32 v101 /*v357*/, v96 /*v352*/, v127 /*v383*/
	v_mul_i32_i24_e32 v102 /*v358*/, v100 /*v356*/, v129 /*v385*/
	s_set_vgpr_msb 64                       ;  msbs: dst=1 src0=0 src1=0 src2=0
	v_bfe_i32 v145 /*v401*/, v110, 8, 8
	v_bfe_i32 v146 /*v402*/, v110, 16, 8
	v_dual_ashrrev_i32 v155 /*v411*/, 24, v110 :: v_dual_ashrrev_i32 v156 /*v412*/, 24, v108
	s_set_vgpr_msb 0x55                     ;  msbs: dst=1 src0=1 src1=1 src2=1
	v_add3_u32 v101 /*v357*/, v122 /*v378*/, v102 /*v358*/, v101 /*v357*/
	v_mul_i32_i24_e32 v102 /*v358*/, v96 /*v352*/, v8 /*v264*/
	v_mul_i32_i24_e32 v122 /*v378*/, v111 /*v367*/, v129 /*v385*/
	s_set_vgpr_msb 64                       ;  msbs: dst=1 src0=0 src1=0 src2=0
	v_bfe_i32 v147 /*v403*/, v108, 16, 8
	v_bfe_i32 v154 /*v410*/, v111, 8, 8
	;; [unrolled: 1-line block ×3, first 2 shown]
	s_set_vgpr_msb 0x55                     ;  msbs: dst=1 src0=1 src1=1 src2=1
	v_add3_u32 v102 /*v358*/, v123 /*v379*/, v105 /*v361*/, v102 /*v358*/
	s_set_vgpr_msb 64                       ;  msbs: dst=1 src0=0 src1=0 src2=0
	v_bfe_i32 v105 /*v361*/, v102, 0, 8
	s_set_vgpr_msb 0x41                     ;  msbs: dst=1 src0=1 src1=0 src2=0
	v_mul_i32_i24_e32 v123 /*v379*/, v111 /*v367*/, v157
	s_set_vgpr_msb 64                       ;  msbs: dst=1 src0=0 src1=0 src2=0
	v_bfe_i32 v159 /*v415*/, v107, 16, 8
	v_bfe_i32 v61 /*v317*/, v154, 0, 8
	;; [unrolled: 1-line block ×3, first 2 shown]
	s_set_vgpr_msb 0x45                     ;  msbs: dst=1 src0=1 src1=1 src2=0
	v_mul_i32_i24_e32 v104 /*v360*/, v105 /*v361*/, v10 /*v266*/
	v_mul_i32_i24_e32 v10 /*v266*/, v90 /*v346*/, v10 /*v266*/
	s_set_vgpr_msb 64                       ;  msbs: dst=1 src0=0 src1=0 src2=0
	v_bfe_i32 v160 /*v416*/, v97, 0, 8
	v_bfe_i32 v161 /*v417*/, v97, 8, 8
	;; [unrolled: 1-line block ×3, first 2 shown]
	s_set_vgpr_msb 0x55                     ;  msbs: dst=1 src0=1 src1=1 src2=1
	v_add3_u32 v104 /*v360*/, v124 /*v380*/, v116 /*v372*/, v104 /*v360*/
	s_set_vgpr_msb 16                       ;  msbs: dst=0 src0=0 src1=0 src2=1
	v_add3_u32 v91, v88, v91, v10 /*v266*/
	s_set_vgpr_msb 5                        ;  msbs: dst=0 src0=1 src1=1 src2=0
	v_mul_i32_i24_e32 v88, v90 /*v346*/, v127 /*v383*/
	s_set_vgpr_msb 0x45                     ;  msbs: dst=1 src0=1 src1=1 src2=0
	v_mul_i32_i24_e32 v10 /*v266*/, v87 /*v343*/, v129 /*v385*/
	v_mul_i32_i24_e32 v116 /*v372*/, v105 /*v361*/, v127 /*v383*/
	s_set_vgpr_msb 64                       ;  msbs: dst=1 src0=0 src1=0 src2=0
	v_bfe_u32 v124 /*v380*/, v146, 16, 4
	v_dual_ashrrev_i32 v165 /*v421*/, 24, v97 :: v_dual_ashrrev_i32 v171 /*v427*/, 24, v99
	s_set_vgpr_msb 0x44                     ;  msbs: dst=1 src0=0 src1=1 src2=0
	v_add3_u32 v10 /*v266*/, v89, v10 /*v266*/, v88
	s_set_vgpr_msb 5                        ;  msbs: dst=0 src0=1 src1=1 src2=0
	v_mul_i32_i24_e32 v88, v90 /*v346*/, v8 /*v264*/
	s_set_vgpr_msb 1                        ;  msbs: dst=0 src0=1 src1=0 src2=0
	v_mul_i32_i24_e32 v89, v87 /*v343*/, v157
	s_set_vgpr_msb 0x55                     ;  msbs: dst=1 src0=1 src1=1 src2=1
	v_add3_u32 v116 /*v372*/, v125 /*v381*/, v122 /*v378*/, v116 /*v372*/
	v_mul_i32_i24_e32 v122 /*v378*/, v105 /*v361*/, v8 /*v264*/
	s_set_vgpr_msb 64                       ;  msbs: dst=1 src0=0 src1=0 src2=0
	v_bfe_i32 v125 /*v381*/, v153, 0, 8
	v_bfe_i32 v87 /*v343*/, v153, 8, 8
	s_set_vgpr_msb 0x41                     ;  msbs: dst=1 src0=1 src1=0 src2=0
	v_add3_u32 v7 /*v263*/, v7 /*v263*/, v89, v88
	s_set_vgpr_msb 4                        ;  msbs: dst=0 src0=0 src1=1 src2=0
	v_cvt_f32_f16_e32 v89, v90
	v_cvt_f32_f16_e32 v88, v92
	v_mul_i32_i24_e32 v90, v253, v81 /*v337*/
	v_mul_i32_i24_e32 v92, v254, v38 /*v294*/
	s_set_vgpr_msb 0x55                     ;  msbs: dst=1 src0=1 src1=1 src2=1
	v_add3_u32 v122 /*v378*/, v126 /*v382*/, v123 /*v379*/, v122 /*v378*/
	s_set_vgpr_msb 64                       ;  msbs: dst=1 src0=0 src1=0 src2=0
	v_bfe_i32 v126 /*v382*/, v140, 8, 8
	s_set_vgpr_msb 0                        ;  msbs: dst=0 src0=0 src1=0 src2=0
	v_bfe_i32 v140, v140, 16, 8
	s_set_vgpr_msb 5                        ;  msbs: dst=0 src0=1 src1=1 src2=0
	v_mul_i32_i24_e32 v253, v99 /*v355*/, v65 /*v321*/
	s_set_vgpr_msb 0                        ;  msbs: dst=0 src0=0 src1=0 src2=0
	v_add3_u32 v90, v144, v92, v90
	s_set_vgpr_msb 5                        ;  msbs: dst=0 src0=1 src1=1 src2=0
	v_lshrrev_b16 v92, 8, v53 /*v309*/
	v_mul_i32_i24_e32 v144, v126 /*v382*/, v11 /*v267*/
	v_mul_i32_i24_e32 v254, v98 /*v354*/, v38 /*v294*/
	s_set_vgpr_msb 64                       ;  msbs: dst=1 src0=0 src1=0 src2=0
	v_bfe_i32 v90 /*v346*/, v153, 16, 8
	s_set_vgpr_msb 0                        ;  msbs: dst=0 src0=0 src1=0 src2=0
	v_ashrrev_i32_e32 v153, 24, v153
	s_set_vgpr_msb 64                       ;  msbs: dst=1 src0=0 src1=0 src2=0
	v_and_b32_e32 v141 /*v397*/, 0xffff, v92
	s_set_vgpr_msb 16                       ;  msbs: dst=0 src0=0 src1=0 src2=1
	v_add3_u32 v255, v90, v255, v0 /*v256*/
	s_set_vgpr_msb 0                        ;  msbs: dst=0 src0=0 src1=0 src2=0
	v_add3_u32 v136, v136, v253, v254
	s_set_vgpr_msb 64                       ;  msbs: dst=1 src0=0 src1=0 src2=0
	v_bfe_u32 v123 /*v379*/, v146, 24, 4
	s_set_vgpr_msb 4                        ;  msbs: dst=0 src0=0 src1=1 src2=0
	v_mul_i32_i24_e32 v90, v153, v150 /*v406*/
	v_mul_i32_i24_e32 v92, v155, v141 /*v397*/
	s_set_vgpr_msb 64                       ;  msbs: dst=1 src0=0 src1=0 src2=0
	v_ashrrev_i32_e32 v99 /*v355*/, 24, v127
	v_bfe_i32 v0 /*v256*/, v137, 0, 8
	v_bfe_i32 v98 /*v354*/, v139, 16, 8
	s_set_vgpr_msb 16                       ;  msbs: dst=0 src0=0 src1=0 src2=1
	v_mul_i32_i24_e32 v97, v234, v239
	v_add3_u32 v92, v245, v92, v79 /*v335*/
	s_set_vgpr_msb 4                        ;  msbs: dst=0 src0=0 src1=1 src2=0
	v_mul_i32_i24_e32 v245, v140, v5 /*v261*/
	s_set_vgpr_msb 64                       ;  msbs: dst=1 src0=0 src1=0 src2=0
	v_bfe_i32 v162 /*v418*/, v105, 16, 8
	v_ashrrev_i32_e32 v163 /*v419*/, 24, v105
	v_bfe_u32 v103 /*v359*/, v148, 4, 4
	s_set_vgpr_msb 1                        ;  msbs: dst=0 src0=1 src1=0 src2=0
	v_add3_u32 v92, v58 /*v314*/, v92, v90
	s_set_vgpr_msb 0                        ;  msbs: dst=0 src0=0 src1=0 src2=0
	v_add3_u32 v144, v251, v144, v245
	s_set_vgpr_msb 5                        ;  msbs: dst=0 src0=1 src1=1 src2=0
	v_mul_i32_i24_e32 v245, v126 /*v382*/, v128 /*v384*/
	s_set_vgpr_msb 4                        ;  msbs: dst=0 src0=0 src1=1 src2=0
	v_mul_i32_i24_e32 v251, v140, v46 /*v302*/
	s_set_vgpr_msb 64                       ;  msbs: dst=1 src0=0 src1=0 src2=0
	v_bfe_u32 v119 /*v375*/, v146, 4, 4
	v_bfe_i32 v157 /*v413*/, v96, 0, 8
	v_bfe_i32 v177 /*v433*/, v96, 8, 8
	;; [unrolled: 1-line block ×3, first 2 shown]
	s_set_vgpr_msb 0                        ;  msbs: dst=0 src0=0 src1=0 src2=0
	v_add3_u32 v245, v252, v245, v251
	s_set_vgpr_msb 5                        ;  msbs: dst=0 src0=1 src1=1 src2=0
	v_mul_i32_i24_e32 v251, v126 /*v382*/, v39 /*v295*/
	s_set_vgpr_msb 4                        ;  msbs: dst=0 src0=0 src1=1 src2=0
	v_mul_i32_i24_e32 v252, v140, v6 /*v262*/
	s_set_vgpr_msb 64                       ;  msbs: dst=1 src0=0 src1=0 src2=0
	v_bfe_i32 v166 /*v422*/, v98, 0, 8
	v_bfe_i32 v172 /*v428*/, v101, 0, 8
	;; [unrolled: 1-line block ×4, first 2 shown]
	s_set_vgpr_msb 1                        ;  msbs: dst=0 src0=1 src1=0 src2=0
	v_add3_u32 v251, v17 /*v273*/, v251, v252
	s_set_vgpr_msb 0                        ;  msbs: dst=0 src0=0 src1=0 src2=0
	v_bfe_i32 v252, v134, 8, 8
	v_bfe_i32 v134, v134, 16, 8
	s_set_vgpr_msb 0x45                     ;  msbs: dst=1 src0=1 src1=1 src2=0
	v_mul_i32_i24_e32 v17 /*v273*/, v138 /*v394*/, v38 /*v294*/
	s_set_vgpr_msb 64                       ;  msbs: dst=1 src0=0 src1=0 src2=0
	v_dual_lshrrev_b32 v138 /*v394*/, 28, v147 :: v_dual_ashrrev_i32 v175 /*v431*/, 24, v101
	v_ashrrev_i32_e32 v179 /*v435*/, 24, v98
	s_set_vgpr_msb 4                        ;  msbs: dst=0 src0=0 src1=1 src2=0
	v_mul_i32_i24_e32 v253, v252, v11 /*v267*/
	v_mul_i32_i24_e32 v254, v134, v5 /*v261*/
	s_set_vgpr_msb 64                       ;  msbs: dst=1 src0=0 src1=0 src2=0
	v_bfe_i32 v176 /*v432*/, v98, 8, 8
	v_bfe_i32 v178 /*v434*/, v98, 16, 8
	s_set_vgpr_msb 0                        ;  msbs: dst=0 src0=0 src1=0 src2=0
	v_cvt_f32_f16_e64 v84, v224
	v_mul_i32_i24_e32 v232, v205, v223
	v_add3_u32 v242, v242, v253, v254
	s_set_vgpr_msb 4                        ;  msbs: dst=0 src0=0 src1=1 src2=0
	v_mul_i32_i24_e32 v253, v252, v128 /*v384*/
	v_mul_i32_i24_e32 v254, v134, v46 /*v302*/
	s_set_vgpr_msb 0                        ;  msbs: dst=0 src0=0 src1=0 src2=0
	v_mul_i32_i24_e32 v233, v215, v229
	v_mul_i32_i24_e32 v224, v217, v230
	s_set_vgpr_msb 64                       ;  msbs: dst=1 src0=0 src1=0 src2=0
	v_bfe_i32 v73 /*v329*/, v154, 16, 8
	s_set_vgpr_msb 0                        ;  msbs: dst=0 src0=0 src1=0 src2=0
	v_ashrrev_i32_e32 v154, 24, v154
	v_add3_u32 v246, v246, v253, v254
	s_set_vgpr_msb 4                        ;  msbs: dst=0 src0=0 src1=1 src2=0
	v_mul_i32_i24_e32 v253, v252, v39 /*v295*/
	v_mul_i32_i24_e32 v254, v134, v6 /*v262*/
	s_set_vgpr_msb 64                       ;  msbs: dst=1 src0=0 src1=0 src2=0
	v_bfe_u32 v106 /*v362*/, v148, 12, 4
	s_set_vgpr_msb 0                        ;  msbs: dst=0 src0=0 src1=0 src2=0
	v_bfe_u32 v148, v148, 20, 4
	s_set_vgpr_msb 64                       ;  msbs: dst=1 src0=0 src1=0 src2=0
	v_bfe_u32 v120 /*v376*/, v146, 12, 4
	s_set_vgpr_msb 0                        ;  msbs: dst=0 src0=0 src1=0 src2=0
	v_bfe_u32 v146, v146, 20, 4
	v_add3_u32 v247, v247, v253, v254
	v_bfe_i32 v253, v124, 8, 8
	v_bfe_i32 v124, v124, 16, 8
	s_set_vgpr_msb 5                        ;  msbs: dst=0 src0=1 src1=1 src2=0
	v_mul_i32_i24_e32 v254, v139 /*v395*/, v65 /*v321*/
	s_set_vgpr_msb 64                       ;  msbs: dst=1 src0=0 src1=0 src2=0
	v_bfe_u32 v139 /*v395*/, v147, 20, 4
	v_bfe_i32 v167 /*v423*/, v103, 8, 8
	s_set_vgpr_msb 0                        ;  msbs: dst=0 src0=0 src1=0 src2=0
	v_bfe_i32 v218, v85, 0, 8
	s_set_vgpr_msb 0x44                     ;  msbs: dst=1 src0=0 src1=1 src2=0
	v_mul_i32_i24_e32 v53 /*v309*/, v124, v46 /*v302*/
	s_set_vgpr_msb 16                       ;  msbs: dst=0 src0=0 src1=0 src2=1
	v_add3_u32 v132, v132, v254, v17 /*v273*/
	s_set_vgpr_msb 4                        ;  msbs: dst=0 src0=0 src1=1 src2=0
	v_mul_i32_i24_e32 v254, v253, v11 /*v267*/
	s_set_vgpr_msb 0x44                     ;  msbs: dst=1 src0=0 src1=1 src2=0
	v_mul_i32_i24_e32 v17 /*v273*/, v124, v5 /*v261*/
	v_bfe_i32 v35 /*v291*/, v85, 8, 8
	s_set_vgpr_msb 0                        ;  msbs: dst=0 src0=0 src1=0 src2=0
	v_bfe_i32 v219, v85, 16, 8
	v_cvt_f32_f16_e64 v85, v225
	v_mul_i32_i24_e32 v225, v216, v222
	s_set_vgpr_msb 17                       ;  msbs: dst=0 src0=1 src1=0 src2=1
	v_add3_u32 v254, v67 /*v323*/, v254, v17 /*v273*/
	s_set_vgpr_msb 0x44                     ;  msbs: dst=1 src0=0 src1=1 src2=0
	v_mul_i32_i24_e32 v17 /*v273*/, v253, v128 /*v384*/
	v_mul_i32_i24_e32 v67 /*v323*/, v124, v6 /*v262*/
	s_set_vgpr_msb 0                        ;  msbs: dst=0 src0=0 src1=0 src2=0
	v_mul_i32_i24_e32 v244, v219, v213
	v_bfe_i32 v212, v83, 0, 8
	s_set_vgpr_msb 64                       ;  msbs: dst=1 src0=0 src1=0 src2=0
	v_bfe_i32 v169 /*v425*/, v99, 8, 8
	s_set_vgpr_msb 0x55                     ;  msbs: dst=1 src0=1 src1=1 src2=1
	v_add3_u32 v17 /*v273*/, v69 /*v325*/, v17 /*v273*/, v53 /*v309*/
	s_set_vgpr_msb 0x44                     ;  msbs: dst=1 src0=0 src1=1 src2=0
	v_mul_i32_i24_e32 v53 /*v309*/, v253, v39 /*v295*/
	s_set_vgpr_msb 1                        ;  msbs: dst=0 src0=1 src1=0 src2=0
	v_mul_i32_i24_e32 v209, v35 /*v291*/, v206
	s_set_vgpr_msb 64                       ;  msbs: dst=1 src0=0 src1=0 src2=0
	v_bfe_i32 v168 /*v424*/, v99, 0, 8
	v_bfe_i32 v170 /*v426*/, v99, 16, 8
	s_set_vgpr_msb 0                        ;  msbs: dst=0 src0=0 src1=0 src2=0
	v_bfe_i32 v211, v83, 8, 8
	s_set_vgpr_msb 0x55                     ;  msbs: dst=1 src0=1 src1=1 src2=1
	v_add3_u32 v53 /*v309*/, v70 /*v326*/, v53 /*v309*/, v67 /*v323*/
	s_set_vgpr_msb 64                       ;  msbs: dst=1 src0=0 src1=0 src2=0
	v_bfe_i32 v67 /*v323*/, v114, 8, 8
	s_set_vgpr_msb 0                        ;  msbs: dst=0 src0=0 src1=0 src2=0
	v_bfe_i32 v114, v114, 16, 8
	s_set_vgpr_msb 0x45                     ;  msbs: dst=1 src0=1 src1=1 src2=0
	v_mul_i32_i24_e32 v70 /*v326*/, v77 /*v333*/, v65 /*v321*/
	s_set_vgpr_msb 64                       ;  msbs: dst=1 src0=0 src1=0 src2=0
	v_bfe_i32 v77 /*v333*/, v102, 16, 8
	s_set_vgpr_msb 0                        ;  msbs: dst=0 src0=0 src1=0 src2=0
	v_bfe_i32 v210, v83, 16, 8
	s_set_vgpr_msb 0x45                     ;  msbs: dst=1 src0=1 src1=1 src2=0
	v_mul_i32_i24_e32 v19 /*v275*/, v67 /*v323*/, v11 /*v267*/
	s_set_vgpr_msb 0x44                     ;  msbs: dst=1 src0=0 src1=1 src2=0
	v_mul_i32_i24_e32 v20 /*v276*/, v114, v5 /*v261*/
	v_mul_i32_i24_e32 v69 /*v325*/, v114, v6 /*v262*/
	s_set_vgpr_msb 20                       ;  msbs: dst=0 src0=0 src1=1 src2=1
	v_add3_u32 v112, v112, v70 /*v326*/, v3 /*v259*/
	s_set_vgpr_msb 0x45                     ;  msbs: dst=1 src0=1 src1=1 src2=0
	v_mul_i32_i24_e32 v79 /*v335*/, v77 /*v333*/, v46 /*v302*/
	s_set_vgpr_msb 1                        ;  msbs: dst=0 src0=1 src1=0 src2=0
	v_mul_i32_i24_e32 v98, v77 /*v333*/, v239
	s_set_vgpr_msb 20                       ;  msbs: dst=0 src0=0 src1=1 src2=1
	v_add3_u32 v248, v248, v19 /*v275*/, v20 /*v276*/
	s_set_vgpr_msb 0x45                     ;  msbs: dst=1 src0=1 src1=1 src2=0
	v_mul_i32_i24_e32 v19 /*v275*/, v67 /*v323*/, v128 /*v384*/
	s_set_vgpr_msb 0x44                     ;  msbs: dst=1 src0=0 src1=1 src2=0
	v_mul_i32_i24_e32 v20 /*v276*/, v114, v46 /*v302*/
	s_set_vgpr_msb 0                        ;  msbs: dst=0 src0=0 src1=0 src2=0
	v_cvt_f32_f16_e64 v83, v151
	v_mul_i32_i24_e32 v151, v218, v204
	s_set_vgpr_msb 4                        ;  msbs: dst=0 src0=0 src1=1 src2=0
	v_mul_i32_i24_e32 v99, v208, v45 /*v301*/
	v_pk_mul_f32 v[88:89], v[88:89], s[10:11] op_sel_hi:[1,0]
	s_set_vgpr_msb 0x55                     ;  msbs: dst=1 src0=1 src1=1 src2=1
	v_add3_u32 v19 /*v275*/, v71 /*v327*/, v19 /*v275*/, v20 /*v276*/
	v_mul_i32_i24_e32 v20 /*v276*/, v67 /*v323*/, v39 /*v295*/
	s_set_vgpr_msb 0                        ;  msbs: dst=0 src0=0 src1=0 src2=0
	v_add_nc_u32_e32 v197, 4, v197
	s_set_vgpr_msb 64                       ;  msbs: dst=1 src0=0 src1=0 src2=0
	v_ashrrev_i32_e32 v144 /*v400*/, 24, v111
	s_add_co_i32 s12, s12, 4
	s_set_vgpr_msb 0                        ;  msbs: dst=0 src0=0 src1=0 src2=0
	v_ashrrev_i32_e32 v96, 24, v96
	s_set_vgpr_msb 0x55                     ;  msbs: dst=1 src0=1 src1=1 src2=1
	v_add3_u32 v20 /*v276*/, v74 /*v330*/, v20 /*v276*/, v69 /*v325*/
	s_set_vgpr_msb 64                       ;  msbs: dst=1 src0=0 src1=0 src2=0
	v_bfe_i32 v69 /*v325*/, v106, 8, 8
	s_set_vgpr_msb 0                        ;  msbs: dst=0 src0=0 src1=0 src2=0
	v_bfe_i32 v106, v106, 16, 8
	s_cmp_lt_u32 s12, 28
	v_add_nc_u32_e32 v198, 32, v198
	s_set_vgpr_msb 0x45                     ;  msbs: dst=1 src0=1 src1=1 src2=0
	v_mul_i32_i24_e32 v3 /*v259*/, v69 /*v325*/, v11 /*v267*/
	s_set_vgpr_msb 0x44                     ;  msbs: dst=1 src0=0 src1=1 src2=0
	v_mul_i32_i24_e32 v70 /*v326*/, v106, v5 /*v261*/
	v_mul_i32_i24_e32 v71 /*v327*/, v106, v46 /*v302*/
	v_mul_i32_i24_e32 v74 /*v330*/, v106, v6 /*v262*/
	s_set_vgpr_msb 0x55                     ;  msbs: dst=1 src0=1 src1=1 src2=1
	s_delay_alu instid0(VALU_DEP_3) | instskip(SKIP_2) | instid1(VALU_DEP_2)
	v_add3_u32 v3 /*v259*/, v82 /*v338*/, v3 /*v259*/, v70 /*v326*/
	v_mul_i32_i24_e32 v70 /*v326*/, v69 /*v325*/, v128 /*v384*/
	v_mul_i32_i24_e32 v82 /*v338*/, v77 /*v333*/, v6 /*v262*/
	v_add3_u32 v70 /*v326*/, v101 /*v357*/, v70 /*v326*/, v71 /*v327*/
	v_mul_i32_i24_e32 v71 /*v327*/, v69 /*v325*/, v39 /*v295*/
	s_set_vgpr_msb 64                       ;  msbs: dst=1 src0=0 src1=0 src2=0
	v_ashrrev_i32_e32 v101 /*v357*/, 24, v135
	s_set_vgpr_msb 0x55                     ;  msbs: dst=1 src0=1 src1=1 src2=1
	s_delay_alu instid0(VALU_DEP_2)
	v_add3_u32 v71 /*v327*/, v102 /*v358*/, v71 /*v327*/, v74 /*v330*/
	s_set_vgpr_msb 64                       ;  msbs: dst=1 src0=0 src1=0 src2=0
	v_bfe_i32 v74 /*v330*/, v102, 8, 8
	s_set_vgpr_msb 5                        ;  msbs: dst=0 src0=1 src1=1 src2=0
	v_mul_i32_i24_e32 v102, v121 /*v377*/, v65 /*v321*/
	s_set_vgpr_msb 64                       ;  msbs: dst=1 src0=0 src1=0 src2=0
	v_bfe_u32 v121 /*v377*/, v149, 12, 4
	v_bfe_i32 v102 /*v358*/, v131, 0, 8
	s_set_vgpr_msb 1                        ;  msbs: dst=0 src0=1 src1=0 src2=0
	v_mul_i32_i24_e32 v101, v74 /*v330*/, v250
	s_set_vgpr_msb 16                       ;  msbs: dst=0 src0=0 src1=0 src2=1
	v_add3_u32 v104, v104, v102, v57 /*v313*/
	s_set_vgpr_msb 5                        ;  msbs: dst=0 src0=1 src1=1 src2=0
	v_mul_i32_i24_e32 v102, v74 /*v330*/, v11 /*v267*/
	s_set_vgpr_msb 0x45                     ;  msbs: dst=1 src0=1 src1=1 src2=0
	v_mul_i32_i24_e32 v57 /*v313*/, v77 /*v333*/, v5 /*v261*/
	v_mul_i32_i24_e32 v5 /*v261*/, v88 /*v344*/, v5 /*v261*/
	s_set_vgpr_msb 0x51                     ;  msbs: dst=1 src0=1 src1=0 src2=1
	s_delay_alu instid0(VALU_DEP_2) | instskip(SKIP_4) | instid1(VALU_DEP_2)
	v_add3_u32 v57 /*v313*/, v104 /*v360*/, v102, v57 /*v313*/
	s_set_vgpr_msb 5                        ;  msbs: dst=0 src0=1 src1=1 src2=0
	v_mul_i32_i24_e32 v102, v74 /*v330*/, v128 /*v384*/
	s_set_vgpr_msb 0x51                     ;  msbs: dst=1 src0=1 src1=0 src2=1
	v_ashrrev_i32_e32 v104 /*v360*/, 24, v133
	v_add3_u32 v79 /*v335*/, v116 /*v372*/, v102, v79 /*v335*/
	s_set_vgpr_msb 5                        ;  msbs: dst=0 src0=1 src1=1 src2=0
	v_mul_i32_i24_e32 v102, v74 /*v330*/, v39 /*v295*/
	s_set_vgpr_msb 64                       ;  msbs: dst=1 src0=0 src1=0 src2=0
	v_bfe_i32 v116 /*v372*/, v130, 8, 8
	s_set_vgpr_msb 0x51                     ;  msbs: dst=1 src0=1 src1=0 src2=1
	s_delay_alu instid0(VALU_DEP_2)
	v_add3_u32 v82 /*v338*/, v122 /*v378*/, v102, v82 /*v338*/
	s_set_vgpr_msb 5                        ;  msbs: dst=0 src0=1 src1=1 src2=0
	v_mul_i32_i24_e32 v102, v4 /*v260*/, v38 /*v294*/
	s_set_vgpr_msb 0x45                     ;  msbs: dst=1 src0=1 src1=1 src2=0
	v_mul_i32_i24_e32 v4 /*v260*/, v37 /*v293*/, v65 /*v321*/
	s_set_vgpr_msb 64                       ;  msbs: dst=1 src0=0 src1=0 src2=0
	v_lshrrev_b32_e32 v122 /*v378*/, 28, v149
	s_set_vgpr_msb 0                        ;  msbs: dst=0 src0=0 src1=0 src2=0
	v_bfe_u32 v149, v147, 24, 4
	s_set_vgpr_msb 21                       ;  msbs: dst=0 src0=1 src1=1 src2=1
	v_add3_u32 v147, v16 /*v272*/, v28 /*v284*/, v29 /*v285*/
	s_set_vgpr_msb 64                       ;  msbs: dst=1 src0=0 src1=0 src2=0
	v_bfe_i32 v16 /*v272*/, v143, 0, 8
	s_set_vgpr_msb 0x45                     ;  msbs: dst=1 src0=1 src1=1 src2=0
	v_add3_u32 v4 /*v260*/, v64 /*v320*/, v4 /*v260*/, v102
	s_set_vgpr_msb 5                        ;  msbs: dst=0 src0=1 src1=1 src2=0
	v_mul_i32_i24_e32 v102, v1 /*v257*/, v127 /*v383*/
	s_set_vgpr_msb 64                       ;  msbs: dst=1 src0=0 src1=0 src2=0
	v_dual_ashrrev_i32 v37 /*v293*/, 24, v141 :: v_dual_ashrrev_i32 v64 /*v320*/, 24, v139
	v_ashrrev_i32_e32 v65 /*v321*/, 24, v129
	v_bfe_i32 v29 /*v285*/, v141, 8, 8
	s_set_vgpr_msb 1                        ;  msbs: dst=0 src0=1 src1=0 src2=0
	v_add3_u32 v145, v22 /*v278*/, v102, v145
	s_set_vgpr_msb 5                        ;  msbs: dst=0 src0=1 src1=1 src2=0
	v_mul_i32_i24_e32 v102, v1 /*v257*/, v8 /*v264*/
	s_set_vgpr_msb 0x45                     ;  msbs: dst=1 src0=1 src1=1 src2=0
	v_mul_i32_i24_e32 v8 /*v264*/, v2 /*v258*/, v39 /*v295*/
	s_set_vgpr_msb 64                       ;  msbs: dst=1 src0=0 src1=0 src2=0
	v_bfe_i32 v22 /*v278*/, v143, 8, 8
	v_bfe_i32 v38 /*v294*/, v126, 0, 8
	;; [unrolled: 1-line block ×3, first 2 shown]
	v_mul_i32_i24_e32 v28 /*v284*/, v220, v207
	s_set_vgpr_msb 0x51                     ;  msbs: dst=1 src0=1 src1=0 src2=1
	v_add3_u32 v8 /*v264*/, v23 /*v279*/, v102, v8 /*v264*/
	s_set_vgpr_msb 64                       ;  msbs: dst=1 src0=0 src1=0 src2=0
	v_bfe_i32 v23 /*v279*/, v143, 16, 8
	s_set_vgpr_msb 0                        ;  msbs: dst=0 src0=0 src1=0 src2=0
	v_ashrrev_i32_e32 v143, 24, v143
	s_set_vgpr_msb 5                        ;  msbs: dst=0 src0=1 src1=1 src2=0
	v_mul_i32_i24_e32 v90, v22 /*v278*/, v12 /*v268*/
	v_mul_i32_i24_e32 v102, v89 /*v345*/, v11 /*v267*/
	s_set_vgpr_msb 0x45                     ;  msbs: dst=1 src0=1 src1=1 src2=0
	v_mul_i32_i24_e32 v11 /*v267*/, v88 /*v344*/, v46 /*v302*/
	s_set_vgpr_msb 0x44                     ;  msbs: dst=1 src0=0 src1=1 src2=0
	v_mul_i32_i24_e32 v58 /*v314*/, v143, v13 /*v269*/
	s_set_vgpr_msb 16                       ;  msbs: dst=0 src0=0 src1=0 src2=1
	v_add3_u32 v91, v91, v102, v5 /*v261*/
	s_set_vgpr_msb 5                        ;  msbs: dst=0 src0=1 src1=1 src2=0
	v_mul_i32_i24_e32 v102, v89 /*v345*/, v128 /*v384*/
	s_set_vgpr_msb 64                       ;  msbs: dst=1 src0=0 src1=0 src2=0
	v_bfe_i32 v5 /*v261*/, v141, 0, 8
	s_set_vgpr_msb 4                        ;  msbs: dst=0 src0=0 src1=1 src2=0
	v_add3_u32 v144, v144, v58 /*v314*/, v90
	s_set_vgpr_msb 5                        ;  msbs: dst=0 src0=1 src1=1 src2=0
	v_mul_i32_i24_e32 v90, v22 /*v278*/, v130 /*v386*/
	s_set_vgpr_msb 0x44                     ;  msbs: dst=1 src0=0 src1=1 src2=0
	v_mul_i32_i24_e32 v58 /*v314*/, v143, v115 /*v371*/
	s_set_vgpr_msb 0x51                     ;  msbs: dst=1 src0=1 src1=0 src2=1
	v_add3_u32 v10 /*v266*/, v10 /*v266*/, v102, v11 /*v267*/
	s_set_vgpr_msb 64                       ;  msbs: dst=1 src0=0 src1=0 src2=0
	v_bfe_i32 v11 /*v267*/, v141, 16, 8
	s_set_vgpr_msb 5                        ;  msbs: dst=0 src0=1 src1=1 src2=0
	v_mul_i32_i24_e32 v141, v89 /*v345*/, v39 /*v295*/
	s_set_vgpr_msb 0x45                     ;  msbs: dst=1 src0=1 src1=1 src2=0
	v_mul_i32_i24_e32 v39 /*v295*/, v88 /*v344*/, v6 /*v262*/
	s_set_vgpr_msb 4                        ;  msbs: dst=0 src0=0 src1=1 src2=0
	v_add3_u32 v245, v245, v58 /*v314*/, v90
	s_set_vgpr_msb 5                        ;  msbs: dst=0 src0=1 src1=1 src2=0
	v_mul_i32_i24_e32 v90, v22 /*v278*/, v48 /*v304*/
	s_set_vgpr_msb 0x44                     ;  msbs: dst=1 src0=0 src1=1 src2=0
	v_mul_i32_i24_e32 v58 /*v314*/, v143, v123 /*v379*/
	s_set_vgpr_msb 64                       ;  msbs: dst=1 src0=0 src1=0 src2=0
	v_ashrrev_i32_e32 v88 /*v344*/, 24, v137
	s_set_vgpr_msb 17                       ;  msbs: dst=0 src0=1 src1=0 src2=1
	v_add3_u32 v141, v7 /*v263*/, v141, v39 /*v295*/
	s_set_vgpr_msb 64                       ;  msbs: dst=1 src0=0 src1=0 src2=0
	v_bfe_i32 v7 /*v263*/, v127, 0, 8
	v_bfe_i32 v39 /*v295*/, v127, 16, 8
	s_set_vgpr_msb 4                        ;  msbs: dst=0 src0=0 src1=1 src2=0
	v_add3_u32 v251, v251, v58 /*v314*/, v90
	s_set_vgpr_msb 64                       ;  msbs: dst=1 src0=0 src1=0 src2=0
	v_bfe_i32 v58 /*v314*/, v139, 8, 8
	s_set_vgpr_msb 5                        ;  msbs: dst=0 src0=1 src1=1 src2=0
	v_mul_i32_i24_e32 v90, v136 /*v392*/, v81 /*v337*/
	s_set_vgpr_msb 20                       ;  msbs: dst=0 src0=0 src1=1 src2=1
	v_add3_u32 v127, v147, v31 /*v287*/, v30 /*v286*/
	s_set_vgpr_msb 64                       ;  msbs: dst=1 src0=0 src1=0 src2=0
	v_bfe_i32 v136 /*v392*/, v131, 8, 8
	v_bfe_i32 v30 /*v286*/, v131, 16, 8
	v_ashrrev_i32_e32 v31 /*v287*/, 24, v131
	s_set_vgpr_msb 0                        ;  msbs: dst=0 src0=0 src1=0 src2=0
	v_add3_u32 v136, v136, v90, v142
	s_set_vgpr_msb 5                        ;  msbs: dst=0 src0=1 src1=1 src2=0
	v_mul_i32_i24_e32 v90, v58 /*v314*/, v12 /*v268*/
	v_mul_i32_i24_e32 v142, v64 /*v320*/, v13 /*v269*/
	s_set_vgpr_msb 0                        ;  msbs: dst=0 src0=0 src1=0 src2=0
	v_mul_i32_i24_e32 v131, v237, v157
	s_set_vgpr_msb 64                       ;  msbs: dst=1 src0=0 src1=0 src2=0
	v_ashrrev_i32_e32 v128 /*v384*/, 24, v126
	s_set_vgpr_msb 0                        ;  msbs: dst=0 src0=0 src1=0 src2=0
	v_bfe_i32 v147, v129, 0, 8
	v_bfe_i32 v157, v129, 16, 8
	v_add3_u32 v142, v242, v142, v90
	s_set_vgpr_msb 5                        ;  msbs: dst=0 src0=1 src1=1 src2=0
	v_mul_i32_i24_e32 v90, v58 /*v314*/, v130 /*v386*/
	v_mul_i32_i24_e32 v242, v64 /*v320*/, v115 /*v371*/
	s_set_vgpr_msb 64                       ;  msbs: dst=1 src0=0 src1=0 src2=0
	v_bfe_i32 v89 /*v345*/, v139, 0, 8
	s_set_vgpr_msb 4                        ;  msbs: dst=0 src0=0 src1=1 src2=0
	v_mul_i32_i24_e32 v102, v212, v42 /*v298*/
	s_set_vgpr_msb 0                        ;  msbs: dst=0 src0=0 src1=0 src2=0
	v_add3_u32 v242, v246, v242, v90
	s_set_vgpr_msb 5                        ;  msbs: dst=0 src0=1 src1=1 src2=0
	v_mul_i32_i24_e32 v90, v58 /*v314*/, v48 /*v304*/
	v_mul_i32_i24_e32 v246, v64 /*v320*/, v123 /*v379*/
	s_set_vgpr_msb 0                        ;  msbs: dst=0 src0=0 src1=0 src2=0
	s_delay_alu instid0(VALU_DEP_1)
	v_add3_u32 v246, v247, v246, v90
	v_bfe_i32 v247, v129, 8, 8
	s_set_vgpr_msb 5                        ;  msbs: dst=0 src0=1 src1=1 src2=0
	v_mul_i32_i24_e32 v90, v21 /*v277*/, v81 /*v337*/
	s_set_vgpr_msb 64                       ;  msbs: dst=1 src0=0 src1=0 src2=0
	v_bfe_i32 v21 /*v277*/, v123, 8, 8
	s_set_vgpr_msb 0                        ;  msbs: dst=0 src0=0 src1=0 src2=0
	s_delay_alu instid0(VALU_DEP_2)
	v_add3_u32 v132, v132, v90, v138
	s_set_vgpr_msb 4                        ;  msbs: dst=0 src0=0 src1=1 src2=0
	v_mul_i32_i24_e32 v90, v247, v12 /*v268*/
	s_set_vgpr_msb 5                        ;  msbs: dst=0 src0=1 src1=1 src2=0
	v_mul_i32_i24_e32 v138, v65 /*v321*/, v13 /*v269*/
	s_set_vgpr_msb 0                        ;  msbs: dst=0 src0=0 src1=0 src2=0
	s_delay_alu instid0(VALU_DEP_1)
	v_add3_u32 v138, v254, v138, v90
	s_set_vgpr_msb 4                        ;  msbs: dst=0 src0=0 src1=1 src2=0
	v_mul_i32_i24_e32 v90, v247, v130 /*v386*/
	s_set_vgpr_msb 5                        ;  msbs: dst=0 src0=1 src1=1 src2=0
	v_mul_i32_i24_e32 v254, v65 /*v321*/, v115 /*v371*/
	s_set_vgpr_msb 1                        ;  msbs: dst=0 src0=1 src1=0 src2=0
	s_delay_alu instid0(VALU_DEP_1) | instskip(SKIP_4) | instid1(VALU_DEP_1)
	v_add3_u32 v254, v17 /*v273*/, v254, v90
	s_set_vgpr_msb 4                        ;  msbs: dst=0 src0=0 src1=1 src2=0
	v_mul_i32_i24_e32 v90, v247, v48 /*v304*/
	s_set_vgpr_msb 0x45                     ;  msbs: dst=1 src0=1 src1=1 src2=0
	v_mul_i32_i24_e32 v17 /*v273*/, v65 /*v321*/, v123 /*v379*/
	v_add3_u32 v17 /*v273*/, v53 /*v309*/, v17 /*v273*/, v90
	s_set_vgpr_msb 64                       ;  msbs: dst=1 src0=0 src1=0 src2=0
	v_ashrrev_i32_e32 v53 /*v309*/, 24, v123
	s_set_vgpr_msb 5                        ;  msbs: dst=0 src0=1 src1=1 src2=0
	v_mul_i32_i24_e32 v90, v34 /*v290*/, v81 /*v337*/
	s_set_vgpr_msb 64                       ;  msbs: dst=1 src0=0 src1=0 src2=0
	v_ashrrev_i32_e32 v34 /*v290*/, 24, v119
	s_set_vgpr_msb 0                        ;  msbs: dst=0 src0=0 src1=0 src2=0
	s_delay_alu instid0(VALU_DEP_2) | instskip(SKIP_4) | instid1(VALU_DEP_1)
	v_add3_u32 v120, v120, v90, v128
	s_set_vgpr_msb 5                        ;  msbs: dst=0 src0=1 src1=1 src2=0
	v_mul_i32_i24_e32 v90, v21 /*v277*/, v12 /*v268*/
	v_mul_i32_i24_e32 v128, v53 /*v309*/, v13 /*v269*/
	s_set_vgpr_msb 0                        ;  msbs: dst=0 src0=0 src1=0 src2=0
	v_add3_u32 v128, v248, v128, v90
	s_set_vgpr_msb 5                        ;  msbs: dst=0 src0=1 src1=1 src2=0
	v_mul_i32_i24_e32 v90, v21 /*v277*/, v130 /*v386*/
	v_mul_i32_i24_e32 v248, v53 /*v309*/, v115 /*v371*/
	s_set_vgpr_msb 1                        ;  msbs: dst=0 src0=1 src1=0 src2=0
	s_delay_alu instid0(VALU_DEP_1) | instskip(SKIP_4) | instid1(VALU_DEP_1)
	v_add3_u32 v248, v19 /*v275*/, v248, v90
	s_set_vgpr_msb 5                        ;  msbs: dst=0 src0=1 src1=1 src2=0
	v_mul_i32_i24_e32 v90, v21 /*v277*/, v48 /*v304*/
	s_set_vgpr_msb 0x45                     ;  msbs: dst=1 src0=1 src1=1 src2=0
	v_mul_i32_i24_e32 v19 /*v275*/, v53 /*v309*/, v123 /*v379*/
	v_add3_u32 v19 /*v275*/, v20 /*v276*/, v19 /*v275*/, v90
	s_set_vgpr_msb 64                       ;  msbs: dst=1 src0=0 src1=0 src2=0
	v_bfe_i32 v20 /*v276*/, v119, 8, 8
	s_set_vgpr_msb 5                        ;  msbs: dst=0 src0=1 src1=1 src2=0
	v_mul_i32_i24_e32 v90, v54 /*v310*/, v81 /*v337*/
	s_set_vgpr_msb 0x45                     ;  msbs: dst=1 src0=1 src1=1 src2=0
	v_mul_i32_i24_e32 v54 /*v310*/, v34 /*v290*/, v123 /*v379*/
	s_set_vgpr_msb 0                        ;  msbs: dst=0 src0=0 src1=0 src2=0
	s_delay_alu instid0(VALU_DEP_2) | instskip(SKIP_4) | instid1(VALU_DEP_1)
	v_add3_u32 v112, v112, v90, v122
	s_set_vgpr_msb 5                        ;  msbs: dst=0 src0=1 src1=1 src2=0
	v_mul_i32_i24_e32 v90, v20 /*v276*/, v12 /*v268*/
	v_mul_i32_i24_e32 v122, v34 /*v290*/, v13 /*v269*/
	s_set_vgpr_msb 1                        ;  msbs: dst=0 src0=1 src1=0 src2=0
	v_add3_u32 v122, v3 /*v259*/, v122, v90
	s_set_vgpr_msb 5                        ;  msbs: dst=0 src0=1 src1=1 src2=0
	v_mul_i32_i24_e32 v90, v20 /*v276*/, v130 /*v386*/
	s_set_vgpr_msb 0x45                     ;  msbs: dst=1 src0=1 src1=1 src2=0
	v_mul_i32_i24_e32 v3 /*v259*/, v34 /*v290*/, v115 /*v371*/
	s_delay_alu instid0(VALU_DEP_1)
	v_add3_u32 v3 /*v259*/, v70 /*v326*/, v3 /*v259*/, v90
	s_set_vgpr_msb 5                        ;  msbs: dst=0 src0=1 src1=1 src2=0
	v_mul_i32_i24_e32 v90, v20 /*v276*/, v48 /*v304*/
	s_set_vgpr_msb 64                       ;  msbs: dst=1 src0=0 src1=0 src2=0
	v_bfe_i32 v70 /*v326*/, v117, 8, 8
	s_set_vgpr_msb 0x45                     ;  msbs: dst=1 src0=1 src1=1 src2=0
	s_delay_alu instid0(VALU_DEP_2)
	v_add3_u32 v54 /*v310*/, v71 /*v327*/, v54 /*v310*/, v90
	s_set_vgpr_msb 64                       ;  msbs: dst=1 src0=0 src1=0 src2=0
	v_ashrrev_i32_e32 v71 /*v327*/, 24, v117
	s_set_vgpr_msb 5                        ;  msbs: dst=0 src0=1 src1=1 src2=0
	v_mul_i32_i24_e32 v90, v9 /*v265*/, v81 /*v337*/
	s_set_vgpr_msb 0x45                     ;  msbs: dst=1 src0=1 src1=1 src2=0
	s_delay_alu instid0(VALU_DEP_2) | instskip(SKIP_1) | instid1(VALU_DEP_2)
	v_mul_i32_i24_e32 v9 /*v265*/, v71 /*v327*/, v115 /*v371*/
	s_set_vgpr_msb 0                        ;  msbs: dst=0 src0=0 src1=0 src2=0
	v_add3_u32 v104, v104, v90, v118
	s_set_vgpr_msb 5                        ;  msbs: dst=0 src0=1 src1=1 src2=0
	v_mul_i32_i24_e32 v90, v70 /*v326*/, v12 /*v268*/
	v_mul_i32_i24_e32 v118, v71 /*v327*/, v13 /*v269*/
	s_set_vgpr_msb 1                        ;  msbs: dst=0 src0=1 src1=0 src2=0
	s_delay_alu instid0(VALU_DEP_1) | instskip(SKIP_4) | instid1(VALU_DEP_2)
	v_add3_u32 v118, v57 /*v313*/, v118, v90
	s_set_vgpr_msb 5                        ;  msbs: dst=0 src0=1 src1=1 src2=0
	v_mul_i32_i24_e32 v90, v70 /*v326*/, v130 /*v386*/
	s_set_vgpr_msb 0x45                     ;  msbs: dst=1 src0=1 src1=1 src2=0
	v_mul_i32_i24_e32 v57 /*v313*/, v71 /*v327*/, v123 /*v379*/
	v_add3_u32 v9 /*v265*/, v79 /*v335*/, v9 /*v265*/, v90
	s_set_vgpr_msb 5                        ;  msbs: dst=0 src0=1 src1=1 src2=0
	v_mul_i32_i24_e32 v90, v70 /*v326*/, v48 /*v304*/
	s_set_vgpr_msb 64                       ;  msbs: dst=1 src0=0 src1=0 src2=0
	v_bfe_i32 v79 /*v335*/, v137, 8, 8
	s_set_vgpr_msb 0x45                     ;  msbs: dst=1 src0=1 src1=1 src2=0
	s_delay_alu instid0(VALU_DEP_2)
	v_add3_u32 v57 /*v313*/, v82 /*v338*/, v57 /*v313*/, v90
	s_set_vgpr_msb 4                        ;  msbs: dst=0 src0=0 src1=1 src2=0
	v_mul_i32_i24_e32 v90, v249, v81 /*v337*/
	s_set_vgpr_msb 64                       ;  msbs: dst=1 src0=0 src1=0 src2=0
	v_bfe_i32 v81 /*v337*/, v135, 16, 8
	v_bfe_i32 v82 /*v338*/, v137, 16, 8
	s_set_vgpr_msb 0                        ;  msbs: dst=0 src0=0 src1=0 src2=0
	v_bfe_i32 v249, v130, 0, 8
	s_set_vgpr_msb 1                        ;  msbs: dst=0 src0=1 src1=0 src2=0
	v_add3_u32 v116, v4 /*v260*/, v90, v116
	s_set_vgpr_msb 64                       ;  msbs: dst=1 src0=0 src1=0 src2=0
	v_bfe_i32 v4 /*v260*/, v135, 8, 8
	s_set_vgpr_msb 4                        ;  msbs: dst=0 src0=0 src1=1 src2=0
	v_mul_i32_i24_e32 v90, v234, v46 /*v302*/
	v_mul_i32_i24_e32 v135, v237, v129 /*v385*/
	s_set_vgpr_msb 64                       ;  msbs: dst=1 src0=0 src1=0 src2=0
	v_bfe_i32 v46 /*v302*/, v133, 0, 8
	v_bfe_i32 v129 /*v385*/, v125, 0, 8
	s_set_vgpr_msb 0                        ;  msbs: dst=0 src0=0 src1=0 src2=0
	v_add3_u32 v135, v145, v90, v135
	s_set_vgpr_msb 4                        ;  msbs: dst=0 src0=0 src1=1 src2=0
	v_mul_i32_i24_e32 v90, v234, v6 /*v262*/
	s_set_vgpr_msb 64                       ;  msbs: dst=1 src0=0 src1=0 src2=0
	v_bfe_i32 v6 /*v262*/, v133, 8, 8
	s_set_vgpr_msb 4                        ;  msbs: dst=0 src0=0 src1=1 src2=0
	v_mul_i32_i24_e32 v234, v215, v119 /*v375*/
	s_set_vgpr_msb 1                        ;  msbs: dst=0 src0=1 src1=0 src2=0
	v_add3_u32 v131, v8 /*v264*/, v90, v131
	s_set_vgpr_msb 64                       ;  msbs: dst=1 src0=0 src1=0 src2=0
	v_bfe_i32 v8 /*v264*/, v133, 16, 8
	s_set_vgpr_msb 4                        ;  msbs: dst=0 src0=0 src1=1 src2=0
	v_mul_i32_i24_e32 v90, v161, v12 /*v268*/
	s_set_vgpr_msb 5                        ;  msbs: dst=0 src0=1 src1=1 src2=0
	v_mul_i32_i24_e32 v133, v91 /*v347*/, v13 /*v269*/
	s_set_vgpr_msb 64                       ;  msbs: dst=1 src0=0 src1=0 src2=0
	v_bfe_i32 v12 /*v268*/, v130, 16, 8
	v_ashrrev_i32_e32 v13 /*v269*/, 24, v130
	s_set_vgpr_msb 0                        ;  msbs: dst=0 src0=0 src1=0 src2=0
	v_add3_u32 v133, v91, v133, v90
	s_set_vgpr_msb 4                        ;  msbs: dst=0 src0=0 src1=1 src2=0
	v_mul_i32_i24_e32 v90, v161, v130 /*v386*/
	s_set_vgpr_msb 5                        ;  msbs: dst=0 src0=1 src1=1 src2=0
	v_mul_i32_i24_e32 v91, v91 /*v347*/, v115 /*v371*/
	s_set_vgpr_msb 1                        ;  msbs: dst=0 src0=1 src1=0 src2=0
	s_delay_alu instid0(VALU_DEP_1)
	v_add3_u32 v137, v10 /*v266*/, v91, v90
	s_set_vgpr_msb 4                        ;  msbs: dst=0 src0=0 src1=1 src2=0
	v_cvt_f32_f16_e32 v91, v93
	v_cvt_f32_f16_e32 v90, v95
	v_mul_i32_i24_e32 v93, v161, v48 /*v304*/
	s_set_vgpr_msb 5                        ;  msbs: dst=0 src0=1 src1=1 src2=0
	v_mul_i32_i24_e32 v95, v91 /*v347*/, v123 /*v379*/
	s_set_vgpr_msb 64                       ;  msbs: dst=1 src0=0 src1=0 src2=0
	v_bfe_i32 v91 /*v347*/, v125, 8, 8
	s_set_vgpr_msb 1                        ;  msbs: dst=0 src0=1 src1=0 src2=0
	v_ashrrev_i32_e32 v161, 24, v125
	v_mul_i32_i24_e32 v125, v2 /*v258*/, v250
	s_set_vgpr_msb 64                       ;  msbs: dst=1 src0=0 src1=0 src2=0
	v_bfe_i32 v10 /*v266*/, v126, 8, 8
	s_set_vgpr_msb 0                        ;  msbs: dst=0 src0=0 src1=0 src2=0
	v_add3_u32 v95, v141, v95, v93
	s_set_vgpr_msb 1                        ;  msbs: dst=0 src0=1 src1=0 src2=0
	v_mul_i32_i24_e32 v93, v1 /*v257*/, v243
	s_set_vgpr_msb 5                        ;  msbs: dst=0 src0=1 src1=1 src2=0
	v_mul_i32_i24_e32 v126, v90 /*v346*/, v151 /*v407*/
	s_set_vgpr_msb 64                       ;  msbs: dst=1 src0=0 src1=0 src2=0
	v_bfe_i32 v2 /*v258*/, v123, 16, 8
	v_bfe_i32 v1 /*v257*/, v121, 16, 8
	s_set_vgpr_msb 0                        ;  msbs: dst=0 src0=0 src1=0 src2=0
	v_pk_mul_f32 v[90:91], v[90:91], s[10:11] op_sel_hi:[1,0]
	v_add3_u32 v125, v255, v93, v125
	s_set_vgpr_msb 5                        ;  msbs: dst=0 src0=1 src1=1 src2=0
	v_mul_i32_i24_e32 v93, v87 /*v343*/, v149 /*v405*/
	s_set_vgpr_msb 0                        ;  msbs: dst=0 src0=0 src1=0 src2=0
	v_bfe_i32 v255, v121, 0, 8
	s_set_vgpr_msb 5                        ;  msbs: dst=0 src0=1 src1=1 src2=0
	s_delay_alu instid0(VALU_DEP_2) | instskip(SKIP_1) | instid1(VALU_DEP_1)
	v_mad_i32_i24 v93, v125 /*v381*/, v148 /*v404*/, v93
	s_set_vgpr_msb 0                        ;  msbs: dst=0 src0=0 src1=0 src2=0
	v_add3_u32 v126, v92, v93, v126
	s_set_vgpr_msb 1                        ;  msbs: dst=0 src0=1 src1=0 src2=0
	v_mul_i32_i24_e32 v92, v16 /*v272*/, v240
	v_mul_i32_i24_e32 v93, v23 /*v279*/, v241
	s_set_vgpr_msb 0                        ;  msbs: dst=0 src0=0 src1=0 src2=0
	s_delay_alu instid0(VALU_DEP_1) | instskip(SKIP_4) | instid1(VALU_DEP_1)
	v_add3_u32 v129, v144, v92, v93
	s_set_vgpr_msb 5                        ;  msbs: dst=0 src0=1 src1=1 src2=0
	v_mul_i32_i24_e32 v92, v16 /*v272*/, v108 /*v364*/
	v_mul_i32_i24_e32 v93, v23 /*v279*/, v118 /*v374*/
	s_set_vgpr_msb 0                        ;  msbs: dst=0 src0=0 src1=0 src2=0
	v_add3_u32 v130, v245, v92, v93
	s_set_vgpr_msb 5                        ;  msbs: dst=0 src0=1 src1=1 src2=0
	v_mul_i32_i24_e32 v92, v16 /*v272*/, v49 /*v305*/
	v_mul_i32_i24_e32 v93, v23 /*v279*/, v124 /*v380*/
	s_set_vgpr_msb 0                        ;  msbs: dst=0 src0=0 src1=0 src2=0
	v_bfe_i32 v245, v109, 0, 8
	s_delay_alu instid0(VALU_DEP_2)
	v_add3_u32 v139, v251, v92, v93
	s_set_vgpr_msb 1                        ;  msbs: dst=0 src0=1 src1=0 src2=0
	v_mul_i32_i24_e32 v92, v59 /*v315*/, v243
	s_set_vgpr_msb 5                        ;  msbs: dst=0 src0=1 src1=1 src2=0
	v_mul_i32_i24_e32 v93, v84 /*v340*/, v68 /*v324*/
	s_set_vgpr_msb 0                        ;  msbs: dst=0 src0=0 src1=0 src2=0
	v_bfe_i32 v251, v109, 16, 8
	s_set_vgpr_msb 64                       ;  msbs: dst=1 src0=0 src1=0 src2=0
	v_bfe_i32 v59 /*v315*/, v117, 16, 8
	v_bfe_i32 v84 /*v340*/, v115, 8, 8
	s_set_vgpr_msb 0                        ;  msbs: dst=0 src0=0 src1=0 src2=0
	v_add3_u32 v136, v136, v93, v92
	s_set_vgpr_msb 1                        ;  msbs: dst=0 src0=1 src1=0 src2=0
	v_mul_i32_i24_e32 v92, v89 /*v345*/, v240
	v_mul_i32_i24_e32 v93, v98 /*v354*/, v241
	s_set_vgpr_msb 0                        ;  msbs: dst=0 src0=0 src1=0 src2=0
	s_delay_alu instid0(VALU_DEP_1) | instskip(SKIP_4) | instid1(VALU_DEP_1)
	v_add3_u32 v141, v142, v92, v93
	s_set_vgpr_msb 5                        ;  msbs: dst=0 src0=1 src1=1 src2=0
	v_mul_i32_i24_e32 v92, v89 /*v345*/, v108 /*v364*/
	v_mul_i32_i24_e32 v93, v98 /*v354*/, v118 /*v374*/
	s_set_vgpr_msb 0                        ;  msbs: dst=0 src0=0 src1=0 src2=0
	v_add3_u32 v142, v242, v92, v93
	s_set_vgpr_msb 5                        ;  msbs: dst=0 src0=1 src1=1 src2=0
	v_mul_i32_i24_e32 v92, v89 /*v345*/, v49 /*v305*/
	v_mul_i32_i24_e32 v93, v98 /*v354*/, v124 /*v380*/
	s_set_vgpr_msb 0                        ;  msbs: dst=0 src0=0 src1=0 src2=0
	s_delay_alu instid0(VALU_DEP_1)
	v_add3_u32 v144, v246, v92, v93
	s_set_vgpr_msb 1                        ;  msbs: dst=0 src0=1 src1=0 src2=0
	v_mul_i32_i24_e32 v92, v18 /*v274*/, v243
	s_set_vgpr_msb 5                        ;  msbs: dst=0 src0=1 src1=1 src2=0
	v_mul_i32_i24_e32 v93, v55 /*v311*/, v68 /*v324*/
	s_set_vgpr_msb 0                        ;  msbs: dst=0 src0=0 src1=0 src2=0
	v_bfe_i32 v246, v123, 0, 8
	s_set_vgpr_msb 64                       ;  msbs: dst=1 src0=0 src1=0 src2=0
	v_ashrrev_i32_e32 v55 /*v311*/, 24, v109
	v_bfe_i32 v18 /*v274*/, v119, 16, 8
	s_set_vgpr_msb 0                        ;  msbs: dst=0 src0=0 src1=0 src2=0
	v_add3_u32 v132, v132, v93, v92
	v_mul_i32_i24_e32 v92, v147, v240
	v_mul_i32_i24_e32 v93, v157, v241
	s_delay_alu instid0(VALU_DEP_1) | instskip(SKIP_4) | instid1(VALU_DEP_1)
	v_add3_u32 v138, v138, v92, v93
	s_set_vgpr_msb 4                        ;  msbs: dst=0 src0=0 src1=1 src2=0
	v_mul_i32_i24_e32 v92, v147, v108 /*v364*/
	v_mul_i32_i24_e32 v93, v157, v118 /*v374*/
	s_set_vgpr_msb 0                        ;  msbs: dst=0 src0=0 src1=0 src2=0
	v_add3_u32 v145, v254, v92, v93
	s_set_vgpr_msb 4                        ;  msbs: dst=0 src0=0 src1=1 src2=0
	v_mul_i32_i24_e32 v92, v147, v49 /*v305*/
	v_mul_i32_i24_e32 v93, v157, v124 /*v380*/
	v_bfe_i32 v254, v121, 8, 8
	s_set_vgpr_msb 0                        ;  msbs: dst=0 src0=0 src1=0 src2=0
	v_mul_i32_i24_e32 v147, v147, v152
	s_set_vgpr_msb 1                        ;  msbs: dst=0 src0=1 src1=0 src2=0
	v_add3_u32 v242, v17 /*v273*/, v92, v93
	v_mul_i32_i24_e32 v92, v63 /*v319*/, v243
	s_set_vgpr_msb 5                        ;  msbs: dst=0 src0=1 src1=1 src2=0
	v_mul_i32_i24_e32 v93, v66 /*v322*/, v68 /*v324*/
	s_set_vgpr_msb 64                       ;  msbs: dst=1 src0=0 src1=0 src2=0
	v_ashrrev_i32_e32 v17 /*v273*/, 24, v121
	v_bfe_i32 v63 /*v319*/, v115, 16, 8
	v_bfe_i32 v66 /*v322*/, v110, 0, 8
	s_set_vgpr_msb 4                        ;  msbs: dst=0 src0=0 src1=1 src2=0
	v_mul_i32_i24_e32 v110, v226, v48 /*v304*/
	s_set_vgpr_msb 0                        ;  msbs: dst=0 src0=0 src1=0 src2=0
	v_add3_u32 v109, v120, v93, v92
	v_mul_i32_i24_e32 v92, v246, v240
	s_set_vgpr_msb 1                        ;  msbs: dst=0 src0=1 src1=0 src2=0
	v_mul_i32_i24_e32 v93, v2 /*v258*/, v241
	s_set_vgpr_msb 0                        ;  msbs: dst=0 src0=0 src1=0 src2=0
	s_delay_alu instid0(VALU_DEP_1)
	v_add3_u32 v120, v128, v92, v93
	s_set_vgpr_msb 4                        ;  msbs: dst=0 src0=0 src1=1 src2=0
	v_mul_i32_i24_e32 v92, v246, v108 /*v364*/
	s_set_vgpr_msb 5                        ;  msbs: dst=0 src0=1 src1=1 src2=0
	v_mul_i32_i24_e32 v93, v2 /*v258*/, v118 /*v374*/
	s_set_vgpr_msb 0                        ;  msbs: dst=0 src0=0 src1=0 src2=0
	s_delay_alu instid0(VALU_DEP_1)
	v_add3_u32 v121, v248, v92, v93
	s_set_vgpr_msb 4                        ;  msbs: dst=0 src0=0 src1=1 src2=0
	v_mul_i32_i24_e32 v92, v246, v49 /*v305*/
	s_set_vgpr_msb 5                        ;  msbs: dst=0 src0=1 src1=1 src2=0
	v_mul_i32_i24_e32 v93, v2 /*v258*/, v124 /*v380*/
	s_set_vgpr_msb 0                        ;  msbs: dst=0 src0=0 src1=0 src2=0
	v_bfe_i32 v248, v119, 0, 8
	s_set_vgpr_msb 1                        ;  msbs: dst=0 src0=1 src1=0 src2=0
	s_delay_alu instid0(VALU_DEP_2)
	v_add3_u32 v123, v19 /*v275*/, v92, v93
	v_mul_i32_i24_e32 v92, v86 /*v342*/, v243
	s_set_vgpr_msb 5                        ;  msbs: dst=0 src0=1 src1=1 src2=0
	v_mul_i32_i24_e32 v93, v97 /*v353*/, v68 /*v324*/
	s_set_vgpr_msb 64                       ;  msbs: dst=1 src0=0 src1=0 src2=0
	v_bfe_i32 v19 /*v275*/, v115, 0, 8
	v_bfe_i32 v86 /*v342*/, v111, 0, 8
	;; [unrolled: 1-line block ×3, first 2 shown]
	s_set_vgpr_msb 0                        ;  msbs: dst=0 src0=0 src1=0 src2=0
	v_add3_u32 v112, v112, v93, v92
	v_mul_i32_i24_e32 v92, v248, v240
	s_set_vgpr_msb 1                        ;  msbs: dst=0 src0=1 src1=0 src2=0
	v_mul_i32_i24_e32 v93, v18 /*v274*/, v241
	s_set_vgpr_msb 0                        ;  msbs: dst=0 src0=0 src1=0 src2=0
	s_delay_alu instid0(VALU_DEP_1)
	v_add3_u32 v119, v122, v92, v93
	s_set_vgpr_msb 4                        ;  msbs: dst=0 src0=0 src1=1 src2=0
	v_mul_i32_i24_e32 v92, v248, v108 /*v364*/
	s_set_vgpr_msb 5                        ;  msbs: dst=0 src0=1 src1=1 src2=0
	v_mul_i32_i24_e32 v93, v18 /*v274*/, v118 /*v374*/
	s_set_vgpr_msb 1                        ;  msbs: dst=0 src0=1 src1=0 src2=0
	s_delay_alu instid0(VALU_DEP_1)
	v_add3_u32 v122, v3 /*v259*/, v92, v93
	s_set_vgpr_msb 4                        ;  msbs: dst=0 src0=0 src1=1 src2=0
	v_mul_i32_i24_e32 v92, v248, v49 /*v305*/
	s_set_vgpr_msb 5                        ;  msbs: dst=0 src0=1 src1=1 src2=0
	v_mul_i32_i24_e32 v93, v18 /*v274*/, v124 /*v380*/
	s_set_vgpr_msb 64                       ;  msbs: dst=1 src0=0 src1=0 src2=0
	v_ashrrev_i32_e32 v3 /*v259*/, 24, v115
	s_set_vgpr_msb 1                        ;  msbs: dst=0 src0=1 src1=0 src2=0
	s_delay_alu instid0(VALU_DEP_2)
	v_add3_u32 v128, v54 /*v310*/, v92, v93
	s_set_vgpr_msb 64                       ;  msbs: dst=1 src0=0 src1=0 src2=0
	v_bfe_i32 v54 /*v310*/, v117, 0, 8
	s_set_vgpr_msb 1                        ;  msbs: dst=0 src0=1 src1=0 src2=0
	v_mul_i32_i24_e32 v92, v96 /*v352*/, v243
	s_set_vgpr_msb 5                        ;  msbs: dst=0 src0=1 src1=1 src2=0
	v_mul_i32_i24_e32 v93, v100 /*v356*/, v68 /*v324*/
	s_set_vgpr_msb 64                       ;  msbs: dst=1 src0=0 src1=0 src2=0
	v_bfe_i32 v96 /*v352*/, v111, 16, 8
	s_set_vgpr_msb 20                       ;  msbs: dst=0 src0=0 src1=1 src2=1
	v_add3_u32 v111, v127, v33 /*v289*/, v32 /*v288*/
	s_set_vgpr_msb 1                        ;  msbs: dst=0 src0=1 src1=0 src2=0
	v_mul_i32_i24_e32 v127, v92 /*v348*/, v241
	s_set_vgpr_msb 64                       ;  msbs: dst=1 src0=0 src1=0 src2=0
	v_bfe_i32 v100 /*v356*/, v113, 8, 8
	s_set_vgpr_msb 0                        ;  msbs: dst=0 src0=0 src1=0 src2=0
	v_add3_u32 v104, v104, v93, v92
	s_set_vgpr_msb 1                        ;  msbs: dst=0 src0=1 src1=0 src2=0
	v_mul_i32_i24_e32 v92, v54 /*v310*/, v240
	v_mul_i32_i24_e32 v93, v59 /*v315*/, v241
	s_set_vgpr_msb 0                        ;  msbs: dst=0 src0=0 src1=0 src2=0
	s_delay_alu instid0(VALU_DEP_1) | instskip(SKIP_4) | instid1(VALU_DEP_1)
	v_add3_u32 v115, v118, v92, v93
	s_set_vgpr_msb 5                        ;  msbs: dst=0 src0=1 src1=1 src2=0
	v_mul_i32_i24_e32 v92, v54 /*v310*/, v108 /*v364*/
	v_mul_i32_i24_e32 v93, v59 /*v315*/, v118 /*v374*/
	s_set_vgpr_msb 1                        ;  msbs: dst=0 src0=1 src1=0 src2=0
	v_add3_u32 v117, v9 /*v265*/, v92, v93
	s_set_vgpr_msb 5                        ;  msbs: dst=0 src0=1 src1=1 src2=0
	v_mul_i32_i24_e32 v92, v54 /*v310*/, v49 /*v305*/
	v_mul_i32_i24_e32 v93, v59 /*v315*/, v124 /*v380*/
	s_set_vgpr_msb 64                       ;  msbs: dst=1 src0=0 src1=0 src2=0
	v_bfe_i32 v9 /*v265*/, v103, 0, 8
	s_set_vgpr_msb 1                        ;  msbs: dst=0 src0=1 src1=0 src2=0
	s_delay_alu instid0(VALU_DEP_2)
	v_add3_u32 v118, v57 /*v313*/, v92, v93
	v_mul_i32_i24_e32 v92, v105 /*v361*/, v243
	s_set_vgpr_msb 5                        ;  msbs: dst=0 src0=1 src1=1 src2=0
	v_mul_i32_i24_e32 v93, v111 /*v367*/, v68 /*v324*/
	s_set_vgpr_msb 64                       ;  msbs: dst=1 src0=0 src1=0 src2=0
	v_ashrrev_i32_e32 v111 /*v367*/, 24, v113
	s_set_vgpr_msb 0                        ;  msbs: dst=0 src0=0 src1=0 src2=0
	v_bfe_i32 v243, v107, 0, 8
	s_set_vgpr_msb 64                       ;  msbs: dst=1 src0=0 src1=0 src2=0
	v_bfe_i32 v105 /*v361*/, v113, 16, 8
	s_set_vgpr_msb 0                        ;  msbs: dst=0 src0=0 src1=0 src2=0
	v_add3_u32 v116, v116, v93, v92
	s_set_vgpr_msb 4                        ;  msbs: dst=0 src0=0 src1=1 src2=0
	v_mul_i32_i24_e32 v93, v226, v130 /*v386*/
	s_set_vgpr_msb 64                       ;  msbs: dst=1 src0=0 src1=0 src2=0
	v_bfe_i32 v130 /*v386*/, v108, 8, 8
	s_set_vgpr_msb 4                        ;  msbs: dst=0 src0=0 src1=1 src2=0
	v_mul_i32_i24_e32 v108, v227, v49 /*v305*/
	v_mul_i32_i24_e32 v92, v227, v108 /*v364*/
	s_set_vgpr_msb 0                        ;  msbs: dst=0 src0=0 src1=0 src2=0
	v_add3_u32 v98, v116, v101, v98
	s_set_vgpr_msb 4                        ;  msbs: dst=0 src0=0 src1=1 src2=0
	v_mul_i32_i24_e32 v101, v221, v123 /*v379*/
	s_set_vgpr_msb 1                        ;  msbs: dst=0 src0=1 src1=0 src2=0
	v_mul_i32_i24_e32 v116, v140 /*v396*/, v146
	s_set_vgpr_msb 0                        ;  msbs: dst=0 src0=0 src1=0 src2=0
	v_add3_u32 v108, v131, v110, v108
	s_set_vgpr_msb 1                        ;  msbs: dst=0 src0=1 src1=0 src2=0
	v_mul_i32_i24_e32 v110, v95 /*v351*/, v240
	v_ashrrev_i32_e32 v240, 24, v107
	s_set_vgpr_msb 5                        ;  msbs: dst=0 src0=1 src1=1 src2=0
	v_mul_i32_i24_e32 v107, v95 /*v351*/, v108 /*v364*/
	v_mul_i32_i24_e32 v131, v92 /*v348*/, v124 /*v380*/
	s_set_vgpr_msb 0                        ;  msbs: dst=0 src0=0 src1=0 src2=0
	v_add3_u32 v113, v135, v93, v92
	v_add3_u32 v110, v133, v110, v127
	s_set_vgpr_msb 5                        ;  msbs: dst=0 src0=1 src1=1 src2=0
	v_mul_i32_i24_e32 v127, v92 /*v348*/, v118 /*v374*/
	s_set_vgpr_msb 64                       ;  msbs: dst=1 src0=0 src1=0 src2=0
	v_bfe_i32 v92 /*v348*/, v105, 8, 8
	s_set_vgpr_msb 1                        ;  msbs: dst=0 src0=1 src1=0 src2=0
	v_cvt_f32_f16_e64 v93, v14 /*v270*/
	s_set_vgpr_msb 64                       ;  msbs: dst=1 src0=0 src1=0 src2=0
	v_ashrrev_i32_e32 v14 /*v270*/, 24, v103
	s_set_vgpr_msb 1                        ;  msbs: dst=0 src0=1 src1=0 src2=0
	v_cvt_f32_f16_e64 v92, v15 /*v271*/
	s_set_vgpr_msb 0                        ;  msbs: dst=0 src0=0 src1=0 src2=0
	v_add3_u32 v127, v137, v107, v127
	s_set_vgpr_msb 5                        ;  msbs: dst=0 src0=1 src1=1 src2=0
	v_mul_i32_i24_e32 v107, v95 /*v351*/, v49 /*v305*/
	s_set_vgpr_msb 64                       ;  msbs: dst=1 src0=0 src1=0 src2=0
	v_bfe_i32 v95 /*v351*/, v105, 0, 8
	s_set_vgpr_msb 0x45                     ;  msbs: dst=1 src0=1 src1=1 src2=0
	v_mul_i32_i24_e32 v15 /*v271*/, v35 /*v291*/, v26 /*v282*/
	s_set_vgpr_msb 0                        ;  msbs: dst=0 src0=0 src1=0 src2=0
	v_pk_mul_f32 v[92:93], v[92:93], s[10:11] op_sel_hi:[1,0]
	v_add3_u32 v131, v95, v107, v131
	s_set_vgpr_msb 4                        ;  msbs: dst=0 src0=0 src1=1 src2=0
	v_mul_i32_i24_e32 v95, v237, v68 /*v324*/
	v_mul_i32_i24_e32 v107, v214, v124 /*v380*/
	v_mul_i32_i24_e32 v237, v217, v72 /*v328*/
	s_set_vgpr_msb 0                        ;  msbs: dst=0 src0=0 src1=0 src2=0
	s_delay_alu instid0(VALU_DEP_3) | instskip(SKIP_4) | instid1(VALU_DEP_1)
	v_add3_u32 v105, v125, v97, v95
	s_set_vgpr_msb 5                        ;  msbs: dst=0 src0=1 src1=1 src2=0
	v_mul_i32_i24_e32 v95, v61 /*v317*/, v93 /*v349*/
	v_mul_i32_i24_e32 v97, v62 /*v318*/, v110 /*v366*/
	s_set_vgpr_msb 0                        ;  msbs: dst=0 src0=0 src1=0 src2=0
	v_add3_u32 v125, v126, v95, v97
	s_set_vgpr_msb 1                        ;  msbs: dst=0 src0=1 src1=0 src2=0
	v_mul_i32_i24_e32 v95, v5 /*v261*/, v229
	v_mul_i32_i24_e32 v97, v37 /*v293*/, v230
	s_set_vgpr_msb 0                        ;  msbs: dst=0 src0=0 src1=0 src2=0
	s_delay_alu instid0(VALU_DEP_1) | instskip(SKIP_4) | instid1(VALU_DEP_1)
	v_add3_u32 v126, v129, v97, v95
	s_set_vgpr_msb 5                        ;  msbs: dst=0 src0=1 src1=1 src2=0
	v_mul_i32_i24_e32 v95, v5 /*v261*/, v103 /*v359*/
	v_mul_i32_i24_e32 v97, v37 /*v293*/, v113 /*v369*/
	s_set_vgpr_msb 0                        ;  msbs: dst=0 src0=0 src1=0 src2=0
	v_add3_u32 v129, v130, v97, v95
	s_set_vgpr_msb 5                        ;  msbs: dst=0 src0=1 src1=1 src2=0
	v_mul_i32_i24_e32 v95, v5 /*v261*/, v119 /*v375*/
	v_mul_i32_i24_e32 v97, v37 /*v293*/, v72 /*v328*/
	s_set_vgpr_msb 0x41                     ;  msbs: dst=1 src0=1 src1=0 src2=0
	v_mul_i32_i24_e32 v5 /*v261*/, v5 /*v261*/, v236
	s_set_vgpr_msb 0                        ;  msbs: dst=0 src0=0 src1=0 src2=0
	s_delay_alu instid0(VALU_DEP_2)
	v_add3_u32 v130, v139, v97, v95
	v_mul_i32_i24_e32 v95, v140, v239
	s_set_vgpr_msb 1                        ;  msbs: dst=0 src0=1 src1=0 src2=0
	v_mul_i32_i24_e32 v97, v126 /*v382*/, v250
	s_set_vgpr_msb 64                       ;  msbs: dst=1 src0=0 src1=0 src2=0
	v_bfe_i32 v126 /*v382*/, v103, 16, 8
	s_set_vgpr_msb 4                        ;  msbs: dst=0 src0=0 src1=1 src2=0
	v_mul_i32_i24_e32 v103, v211, v43 /*v299*/
	s_set_vgpr_msb 0                        ;  msbs: dst=0 src0=0 src1=0 src2=0
	v_add3_u32 v133, v136, v97, v95
	s_set_vgpr_msb 1                        ;  msbs: dst=0 src0=1 src1=0 src2=0
	v_mul_i32_i24_e32 v95, v80 /*v336*/, v229
	v_mul_i32_i24_e32 v97, v101 /*v357*/, v230
	s_set_vgpr_msb 0                        ;  msbs: dst=0 src0=0 src1=0 src2=0
	s_delay_alu instid0(VALU_DEP_1)
	v_add3_u32 v135, v141, v97, v95
	s_set_vgpr_msb 5                        ;  msbs: dst=0 src0=1 src1=1 src2=0
	v_mul_i32_i24_e32 v95, v80 /*v336*/, v103 /*v359*/
	v_mul_i32_i24_e32 v97, v101 /*v357*/, v113 /*v369*/
	s_set_vgpr_msb 4                        ;  msbs: dst=0 src0=0 src1=1 src2=0
	v_mul_i32_i24_e32 v141, v205, v106 /*v362*/
	s_set_vgpr_msb 0                        ;  msbs: dst=0 src0=0 src1=0 src2=0
	s_delay_alu instid0(VALU_DEP_2)
	v_add3_u32 v136, v142, v97, v95
	s_set_vgpr_msb 5                        ;  msbs: dst=0 src0=1 src1=1 src2=0
	v_mul_i32_i24_e32 v95, v80 /*v336*/, v119 /*v375*/
	v_mul_i32_i24_e32 v97, v101 /*v357*/, v72 /*v328*/
	s_set_vgpr_msb 4                        ;  msbs: dst=0 src0=0 src1=1 src2=0
	v_mul_i32_i24_e32 v142, v215, v103 /*v359*/
	s_set_vgpr_msb 0                        ;  msbs: dst=0 src0=0 src1=0 src2=0
	s_delay_alu instid0(VALU_DEP_2)
	v_add3_u32 v137, v144, v97, v95
	v_mul_i32_i24_e32 v95, v134, v239
	v_mul_i32_i24_e32 v97, v252, v250
	v_add3_u32 v144, v111, v233, v232
	s_set_vgpr_msb 4                        ;  msbs: dst=0 src0=0 src1=1 src2=0
	v_mul_i32_i24_e32 v111, v226, v60 /*v316*/
	s_set_vgpr_msb 0                        ;  msbs: dst=0 src0=0 src1=0 src2=0
	v_mul_i32_i24_e32 v232, v216, v148
	s_set_vgpr_msb 4                        ;  msbs: dst=0 src0=0 src1=1 src2=0
	v_mul_i32_i24_e32 v233, v205, v120 /*v376*/
	s_set_vgpr_msb 0                        ;  msbs: dst=0 src0=0 src1=0 src2=0
	v_add3_u32 v132, v132, v97, v95
	s_set_vgpr_msb 1                        ;  msbs: dst=0 src0=1 src1=0 src2=0
	v_mul_i32_i24_e32 v95, v129 /*v385*/, v229
	s_set_vgpr_msb 0                        ;  msbs: dst=0 src0=0 src1=0 src2=0
	v_mul_i32_i24_e32 v97, v161, v230
	v_add3_u32 v224, v144, v225, v224
	s_set_vgpr_msb 4                        ;  msbs: dst=0 src0=0 src1=1 src2=0
	v_mul_i32_i24_e32 v144, v153, v122 /*v378*/
	s_set_vgpr_msb 5                        ;  msbs: dst=0 src0=1 src1=1 src2=0
	v_mul_i32_i24_e32 v252, v35 /*v291*/, v117 /*v373*/
	s_set_vgpr_msb 0                        ;  msbs: dst=0 src0=0 src1=0 src2=0
	v_add3_u32 v134, v138, v97, v95
	s_set_vgpr_msb 5                        ;  msbs: dst=0 src0=1 src1=1 src2=0
	v_mul_i32_i24_e32 v95, v129 /*v385*/, v103 /*v359*/
	s_set_vgpr_msb 4                        ;  msbs: dst=0 src0=0 src1=1 src2=0
	v_mul_i32_i24_e32 v97, v161, v113 /*v369*/
	s_set_vgpr_msb 0                        ;  msbs: dst=0 src0=0 src1=0 src2=0
	s_delay_alu instid0(VALU_DEP_1)
	v_add3_u32 v138, v145, v97, v95
	s_set_vgpr_msb 5                        ;  msbs: dst=0 src0=1 src1=1 src2=0
	v_mul_i32_i24_e32 v95, v129 /*v385*/, v119 /*v375*/
	s_set_vgpr_msb 4                        ;  msbs: dst=0 src0=0 src1=1 src2=0
	v_mul_i32_i24_e32 v97, v161, v72 /*v328*/
	s_set_vgpr_msb 0                        ;  msbs: dst=0 src0=0 src1=0 src2=0
	v_mul_i32_i24_e32 v161, v161, v235
	s_delay_alu instid0(VALU_DEP_2)
	v_add3_u32 v139, v242, v97, v95
	v_mul_i32_i24_e32 v95, v124, v239
	v_mul_i32_i24_e32 v97, v253, v250
	s_set_vgpr_msb 4                        ;  msbs: dst=0 src0=0 src1=1 src2=0
	v_mul_i32_i24_e32 v253, v218, v27 /*v283*/
	s_set_vgpr_msb 0                        ;  msbs: dst=0 src0=0 src1=0 src2=0
	s_delay_alu instid0(VALU_DEP_2) | instskip(SKIP_4) | instid1(VALU_DEP_1)
	v_add3_u32 v109, v109, v97, v95
	s_set_vgpr_msb 1                        ;  msbs: dst=0 src0=1 src1=0 src2=0
	v_mul_i32_i24_e32 v95, v19 /*v275*/, v229
	v_mul_i32_i24_e32 v97, v3 /*v259*/, v230
	s_set_vgpr_msb 0                        ;  msbs: dst=0 src0=0 src1=0 src2=0
	v_add3_u32 v120, v120, v97, v95
	s_set_vgpr_msb 5                        ;  msbs: dst=0 src0=1 src1=1 src2=0
	v_mul_i32_i24_e32 v95, v19 /*v275*/, v103 /*v359*/
	v_mul_i32_i24_e32 v97, v3 /*v259*/, v113 /*v369*/
	s_set_vgpr_msb 0                        ;  msbs: dst=0 src0=0 src1=0 src2=0
	s_delay_alu instid0(VALU_DEP_1) | instskip(SKIP_4) | instid1(VALU_DEP_1)
	v_add3_u32 v121, v121, v97, v95
	s_set_vgpr_msb 5                        ;  msbs: dst=0 src0=1 src1=1 src2=0
	v_mul_i32_i24_e32 v95, v19 /*v275*/, v119 /*v375*/
	v_mul_i32_i24_e32 v97, v3 /*v259*/, v72 /*v328*/
	s_set_vgpr_msb 0                        ;  msbs: dst=0 src0=0 src1=0 src2=0
	v_add3_u32 v123, v123, v97, v95
	v_mul_i32_i24_e32 v95, v114, v239
	s_set_vgpr_msb 1                        ;  msbs: dst=0 src0=1 src1=0 src2=0
	v_mul_i32_i24_e32 v97, v67 /*v323*/, v250
	s_set_vgpr_msb 0                        ;  msbs: dst=0 src0=0 src1=0 src2=0
	s_delay_alu instid0(VALU_DEP_1) | instskip(SKIP_2) | instid1(VALU_DEP_1)
	v_add3_u32 v112, v112, v97, v95
	v_mul_i32_i24_e32 v95, v243, v229
	v_mul_i32_i24_e32 v97, v240, v230
	v_add3_u32 v114, v119, v97, v95
	s_set_vgpr_msb 4                        ;  msbs: dst=0 src0=0 src1=1 src2=0
	v_mul_i32_i24_e32 v95, v243, v103 /*v359*/
	v_mul_i32_i24_e32 v97, v240, v113 /*v369*/
	s_set_vgpr_msb 0                        ;  msbs: dst=0 src0=0 src1=0 src2=0
	s_delay_alu instid0(VALU_DEP_1)
	v_add3_u32 v119, v122, v97, v95
	s_set_vgpr_msb 4                        ;  msbs: dst=0 src0=0 src1=1 src2=0
	v_mul_i32_i24_e32 v95, v243, v119 /*v375*/
	v_mul_i32_i24_e32 v97, v240, v72 /*v328*/
	s_set_vgpr_msb 5                        ;  msbs: dst=0 src0=1 src1=1 src2=0
	v_mul_i32_i24_e32 v122, v84 /*v340*/, v106 /*v362*/
	s_set_vgpr_msb 0                        ;  msbs: dst=0 src0=0 src1=0 src2=0
	s_delay_alu instid0(VALU_DEP_2)
	v_add3_u32 v124, v128, v97, v95
	v_mul_i32_i24_e32 v95, v106, v239
	s_set_vgpr_msb 1                        ;  msbs: dst=0 src0=1 src1=0 src2=0
	v_mul_i32_i24_e32 v97, v69 /*v325*/, v250
	s_set_vgpr_msb 4                        ;  msbs: dst=0 src0=0 src1=1 src2=0
	v_mul_i32_i24_e32 v106, v214, v118 /*v374*/
	s_set_vgpr_msb 0                        ;  msbs: dst=0 src0=0 src1=0 src2=0
	v_mul_i32_i24_e32 v250, v218, v100
	v_add3_u32 v128, v104, v97, v95
	s_set_vgpr_msb 4                        ;  msbs: dst=0 src0=0 src1=1 src2=0
	v_mul_i32_i24_e32 v104, v221, v115 /*v371*/
	s_set_vgpr_msb 1                        ;  msbs: dst=0 src0=1 src1=0 src2=0
	v_mul_i32_i24_e32 v95, v9 /*v265*/, v229
	v_mul_i32_i24_e32 v97, v14 /*v270*/, v230
	s_set_vgpr_msb 0                        ;  msbs: dst=0 src0=0 src1=0 src2=0
	v_add3_u32 v145, v113, v106, v104
	v_mul_i32_i24_e32 v104, v238, v229
	v_mul_i32_i24_e32 v106, v162, v230
	v_add3_u32 v229, v108, v107, v101
	s_set_vgpr_msb 4                        ;  msbs: dst=0 src0=0 src1=1 src2=0
	v_mul_i32_i24_e32 v101, v238, v103 /*v359*/
	s_set_vgpr_msb 0                        ;  msbs: dst=0 src0=0 src1=0 src2=0
	v_add3_u32 v115, v115, v97, v95
	s_set_vgpr_msb 5                        ;  msbs: dst=0 src0=1 src1=1 src2=0
	v_mul_i32_i24_e32 v95, v9 /*v265*/, v103 /*v359*/
	s_set_vgpr_msb 0                        ;  msbs: dst=0 src0=0 src1=0 src2=0
	v_add3_u32 v230, v110, v106, v104
	s_set_vgpr_msb 4                        ;  msbs: dst=0 src0=0 src1=1 src2=0
	v_mul_i32_i24_e32 v104, v162, v113 /*v369*/
	v_mul_i32_i24_e32 v106, v238, v119 /*v375*/
	;; [unrolled: 1-line block ×3, first 2 shown]
	s_set_vgpr_msb 5                        ;  msbs: dst=0 src0=1 src1=1 src2=0
	v_mul_i32_i24_e32 v97, v14 /*v270*/, v113 /*v369*/
	s_set_vgpr_msb 0                        ;  msbs: dst=0 src0=0 src1=0 src2=0
	v_add3_u32 v225, v145, v142, v141
	v_add3_u32 v238, v127, v104, v101
	v_mul_i32_i24_e32 v101, v227, v152
	s_set_vgpr_msb 5                        ;  msbs: dst=0 src0=1 src1=1 src2=0
	v_mul_i32_i24_e32 v104, v73 /*v329*/, v109 /*v365*/
	s_set_vgpr_msb 0                        ;  msbs: dst=0 src0=0 src1=0 src2=0
	v_add3_u32 v227, v131, v110, v106
	s_set_vgpr_msb 4                        ;  msbs: dst=0 src0=0 src1=1 src2=0
	v_mul_i32_i24_e32 v106, v154, v133 /*v389*/
	s_set_vgpr_msb 1                        ;  msbs: dst=0 src0=1 src1=0 src2=0
	v_mul_i32_i24_e32 v110, v29 /*v285*/, v223
	s_set_vgpr_msb 0                        ;  msbs: dst=0 src0=0 src1=0 src2=0
	v_add3_u32 v226, v105, v111, v101
	s_set_vgpr_msb 1                        ;  msbs: dst=0 src0=1 src1=0 src2=0
	v_mul_i32_i24_e32 v101, v11 /*v267*/, v222
	s_set_vgpr_msb 5                        ;  msbs: dst=0 src0=1 src1=1 src2=0
	v_mul_i32_i24_e32 v105, v29 /*v285*/, v106 /*v362*/
	s_set_vgpr_msb 0                        ;  msbs: dst=0 src0=0 src1=0 src2=0
	v_add3_u32 v131, v125, v104, v106
	s_set_vgpr_msb 1                        ;  msbs: dst=0 src0=1 src1=0 src2=0
	v_mul_i32_i24_e32 v104, v11 /*v267*/, v148
	v_mul_i32_i24_e32 v106, v11 /*v267*/, v146
	s_set_vgpr_msb 0                        ;  msbs: dst=0 src0=0 src1=0 src2=0
	v_add3_u32 v239, v126, v110, v101
	s_set_vgpr_msb 5                        ;  msbs: dst=0 src0=1 src1=1 src2=0
	v_mul_i32_i24_e32 v101, v29 /*v285*/, v120 /*v376*/
	v_mul_i32_i24_e32 v110, v22 /*v278*/, v60 /*v316*/
	s_set_vgpr_msb 0                        ;  msbs: dst=0 src0=0 src1=0 src2=0
	v_add3_u32 v241, v129, v105, v104
	v_mul_i32_i24_e32 v104, v143, v228
	s_set_vgpr_msb 1                        ;  msbs: dst=0 src0=1 src1=0 src2=0
	v_mul_i32_i24_e32 v105, v4 /*v260*/, v223
	s_set_vgpr_msb 0                        ;  msbs: dst=0 src0=0 src1=0 src2=0
	v_add3_u32 v242, v130, v101, v106
	s_set_vgpr_msb 1                        ;  msbs: dst=0 src0=1 src1=0 src2=0
	v_mul_i32_i24_e32 v101, v81 /*v337*/, v222
	s_set_vgpr_msb 5                        ;  msbs: dst=0 src0=1 src1=1 src2=0
	v_mul_i32_i24_e32 v106, v4 /*v260*/, v106 /*v362*/
	s_set_vgpr_msb 64                       ;  msbs: dst=1 src0=0 src1=0 src2=0
	v_add3_u32 v22 /*v278*/, v133, v104, v110
	s_set_vgpr_msb 1                        ;  msbs: dst=0 src0=1 src1=0 src2=0
	v_mul_i32_i24_e32 v104, v81 /*v337*/, v148
	s_set_vgpr_msb 5                        ;  msbs: dst=0 src0=1 src1=1 src2=0
	v_mul_i32_i24_e32 v110, v91 /*v347*/, v106 /*v362*/
	s_set_vgpr_msb 64                       ;  msbs: dst=1 src0=0 src1=0 src2=0
	v_add3_u32 v32 /*v288*/, v135, v105, v101
	s_set_vgpr_msb 5                        ;  msbs: dst=0 src0=1 src1=1 src2=0
	v_mul_i32_i24_e32 v101, v4 /*v260*/, v120 /*v376*/
	s_set_vgpr_msb 1                        ;  msbs: dst=0 src0=1 src1=0 src2=0
	v_mul_i32_i24_e32 v105, v81 /*v337*/, v146
	s_set_vgpr_msb 64                       ;  msbs: dst=1 src0=0 src1=0 src2=0
	v_add3_u32 v33 /*v289*/, v136, v106, v104
	s_set_vgpr_msb 1                        ;  msbs: dst=0 src0=1 src1=0 src2=0
	v_mul_i32_i24_e32 v104, v64 /*v320*/, v228
	v_mul_i32_i24_e32 v106, v91 /*v347*/, v223
	s_set_vgpr_msb 0                        ;  msbs: dst=0 src0=0 src1=0 src2=0
	v_add3_u32 v140, v117, v97, v95
	s_set_vgpr_msb 64                       ;  msbs: dst=1 src0=0 src1=0 src2=0
	v_add3_u32 v48 /*v304*/, v137, v101, v105
	s_set_vgpr_msb 1                        ;  msbs: dst=0 src0=1 src1=0 src2=0
	v_mul_i32_i24_e32 v101, v140 /*v396*/, v222
	s_set_vgpr_msb 5                        ;  msbs: dst=0 src0=1 src1=1 src2=0
	v_mul_i32_i24_e32 v105, v58 /*v314*/, v60 /*v316*/
	v_mul_i32_i24_e32 v95, v9 /*v265*/, v119 /*v375*/
	;; [unrolled: 1-line block ×3, first 2 shown]
	s_set_vgpr_msb 4                        ;  msbs: dst=0 src0=0 src1=1 src2=0
	v_mul_i32_i24_e32 v141, v159, v106 /*v362*/
	s_set_vgpr_msb 64                       ;  msbs: dst=1 src0=0 src1=0 src2=0
	v_add3_u32 v57 /*v313*/, v134, v106, v101
	v_add3_u32 v49 /*v305*/, v132, v104, v105
	s_set_vgpr_msb 1                        ;  msbs: dst=0 src0=1 src1=0 src2=0
	v_mul_i32_i24_e32 v104, v140 /*v396*/, v148
	s_set_vgpr_msb 5                        ;  msbs: dst=0 src0=1 src1=1 src2=0
	v_mul_i32_i24_e32 v101, v91 /*v347*/, v120 /*v376*/
	s_set_vgpr_msb 0                        ;  msbs: dst=0 src0=0 src1=0 src2=0
	v_add3_u32 v118, v118, v97, v95
	v_mul_i32_i24_e32 v134, v159, v223
	s_set_vgpr_msb 4                        ;  msbs: dst=0 src0=0 src1=1 src2=0
	v_mul_i32_i24_e32 v142, v159, v120 /*v376*/
	s_set_vgpr_msb 64                       ;  msbs: dst=1 src0=0 src1=0 src2=0
	v_add3_u32 v58 /*v314*/, v138, v110, v104
	s_set_vgpr_msb 1                        ;  msbs: dst=0 src0=1 src1=0 src2=0
	v_mul_i32_i24_e32 v104, v65 /*v321*/, v228
	v_mul_i32_i24_e32 v110, v84 /*v340*/, v223
	s_set_vgpr_msb 64                       ;  msbs: dst=1 src0=0 src1=0 src2=0
	v_add3_u32 v64 /*v320*/, v139, v101, v116
	s_set_vgpr_msb 1                        ;  msbs: dst=0 src0=1 src1=0 src2=0
	v_mul_i32_i24_e32 v116, v63 /*v319*/, v222
	s_set_vgpr_msb 4                        ;  msbs: dst=0 src0=0 src1=1 src2=0
	v_mul_i32_i24_e32 v101, v247, v60 /*v316*/
	s_set_vgpr_msb 0                        ;  msbs: dst=0 src0=0 src1=0 src2=0
	v_mul_i32_i24_e32 v159, v160, v222
	v_mul_i32_i24_e32 v162, v216, v146
	s_set_vgpr_msb 4                        ;  msbs: dst=0 src0=0 src1=1 src2=0
	v_mul_i32_i24_e32 v135, v153, v45 /*v301*/
	s_set_vgpr_msb 64                       ;  msbs: dst=1 src0=0 src1=0 src2=0
	v_add3_u32 v65 /*v321*/, v120, v110, v116
	s_set_vgpr_msb 0                        ;  msbs: dst=0 src0=0 src1=0 src2=0
	v_add3_u32 v247, v109, v104, v101
	s_set_vgpr_msb 1                        ;  msbs: dst=0 src0=1 src1=0 src2=0
	v_mul_i32_i24_e32 v104, v63 /*v319*/, v148
	s_set_vgpr_msb 5                        ;  msbs: dst=0 src0=1 src1=1 src2=0
	v_mul_i32_i24_e32 v109, v84 /*v340*/, v120 /*v376*/
	s_set_vgpr_msb 1                        ;  msbs: dst=0 src0=1 src1=0 src2=0
	v_mul_i32_i24_e32 v110, v63 /*v319*/, v146
	v_mul_i32_i24_e32 v116, v53 /*v309*/, v228
	s_set_vgpr_msb 5                        ;  msbs: dst=0 src0=1 src1=1 src2=0
	v_mul_i32_i24_e32 v120, v21 /*v277*/, v60 /*v316*/
	s_set_vgpr_msb 64                       ;  msbs: dst=1 src0=0 src1=0 src2=0
	v_add3_u32 v67 /*v323*/, v121, v122, v104
	s_set_vgpr_msb 1                        ;  msbs: dst=0 src0=1 src1=0 src2=0
	v_mul_i32_i24_e32 v121, v158 /*v414*/, v223
	s_set_vgpr_msb 64                       ;  msbs: dst=1 src0=0 src1=0 src2=0
	v_add3_u32 v53 /*v309*/, v123, v109, v110
	s_set_vgpr_msb 1                        ;  msbs: dst=0 src0=1 src1=0 src2=0
	v_mul_i32_i24_e32 v109, v159 /*v415*/, v222
	s_set_vgpr_msb 5                        ;  msbs: dst=0 src0=1 src1=1 src2=0
	v_mul_i32_i24_e32 v110, v158 /*v414*/, v106 /*v362*/
	s_set_vgpr_msb 64                       ;  msbs: dst=1 src0=0 src1=0 src2=0
	v_add3_u32 v21 /*v277*/, v112, v116, v120
	s_set_vgpr_msb 1                        ;  msbs: dst=0 src0=1 src1=0 src2=0
	v_mul_i32_i24_e32 v112, v159 /*v415*/, v148
	s_set_vgpr_msb 5                        ;  msbs: dst=0 src0=1 src1=1 src2=0
	v_mul_i32_i24_e32 v116, v20 /*v276*/, v60 /*v316*/
	s_set_vgpr_msb 64                       ;  msbs: dst=1 src0=0 src1=0 src2=0
	v_add3_u32 v68 /*v324*/, v114, v121, v109
	s_set_vgpr_msb 5                        ;  msbs: dst=0 src0=1 src1=1 src2=0
	v_mul_i32_i24_e32 v109, v158 /*v414*/, v120 /*v376*/
	s_set_vgpr_msb 1                        ;  msbs: dst=0 src0=1 src1=0 src2=0
	v_mul_i32_i24_e32 v114, v159 /*v415*/, v146
	s_set_vgpr_msb 64                       ;  msbs: dst=1 src0=0 src1=0 src2=0
	v_add3_u32 v69 /*v325*/, v119, v110, v112
	s_set_vgpr_msb 1                        ;  msbs: dst=0 src0=1 src1=0 src2=0
	v_mul_i32_i24_e32 v110, v34 /*v290*/, v228
	v_mul_i32_i24_e32 v112, v167 /*v423*/, v223
	s_set_vgpr_msb 4                        ;  msbs: dst=0 src0=0 src1=1 src2=0
	v_mul_i32_i24_e32 v104, v154, v44 /*v300*/
	s_set_vgpr_msb 64                       ;  msbs: dst=1 src0=0 src1=0 src2=0
	v_add3_u32 v34 /*v290*/, v124, v109, v114
	s_set_vgpr_msb 1                        ;  msbs: dst=0 src0=1 src1=0 src2=0
	v_mul_i32_i24_e32 v109, v126 /*v382*/, v222
	s_set_vgpr_msb 5                        ;  msbs: dst=0 src0=1 src1=1 src2=0
	v_mul_i32_i24_e32 v114, v167 /*v423*/, v106 /*v362*/
	s_set_vgpr_msb 64                       ;  msbs: dst=1 src0=0 src1=0 src2=0
	v_add3_u32 v20 /*v276*/, v128, v110, v116
	s_set_vgpr_msb 1                        ;  msbs: dst=0 src0=1 src1=0 src2=0
	v_mul_i32_i24_e32 v110, v126 /*v382*/, v148
	s_set_vgpr_msb 5                        ;  msbs: dst=0 src0=1 src1=1 src2=0
	v_mul_i32_i24_e32 v116, v167 /*v423*/, v120 /*v376*/
	s_set_vgpr_msb 64                       ;  msbs: dst=1 src0=0 src1=0 src2=0
	v_add3_u32 v72 /*v328*/, v115, v112, v109
	s_set_vgpr_msb 1                        ;  msbs: dst=0 src0=1 src1=0 src2=0
	v_mul_i32_i24_e32 v109, v126 /*v382*/, v146
	s_set_vgpr_msb 0                        ;  msbs: dst=0 src0=0 src1=0 src2=0
	v_mul_i32_i24_e32 v148, v160, v148
	s_set_vgpr_msb 64                       ;  msbs: dst=1 src0=0 src1=0 src2=0
	v_add3_u32 v74 /*v330*/, v140, v114, v110
	s_set_vgpr_msb 5                        ;  msbs: dst=0 src0=1 src1=1 src2=0
	v_mul_i32_i24_e32 v110, v70 /*v326*/, v60 /*v316*/
	s_set_vgpr_msb 0                        ;  msbs: dst=0 src0=0 src1=0 src2=0
	v_mul_i32_i24_e32 v132, v221, v228
	s_set_vgpr_msb 64                       ;  msbs: dst=1 src0=0 src1=0 src2=0
	v_add3_u32 v77 /*v333*/, v118, v116, v109
	s_set_vgpr_msb 1                        ;  msbs: dst=0 src0=1 src1=0 src2=0
	v_mul_i32_i24_e32 v109, v71 /*v327*/, v228
	s_set_vgpr_msb 0                        ;  msbs: dst=0 src0=0 src1=0 src2=0
	v_mul_i32_i24_e32 v160, v160, v146
	s_set_vgpr_msb 4                        ;  msbs: dst=0 src0=0 src1=1 src2=0
	v_mul_i32_i24_e32 v115, v154, v114 /*v370*/
	v_mul_i32_i24_e32 v145, v153, v138 /*v394*/
	s_set_vgpr_msb 0                        ;  msbs: dst=0 src0=0 src1=0 src2=0
	v_mul_i32_i24_e32 v153, v214, v150
	v_add3_u32 v98, v98, v109, v110
	s_set_vgpr_msb 4                        ;  msbs: dst=0 src0=0 src1=1 src2=0
	v_mul_i32_i24_e32 v110, v154, v112 /*v368*/
	s_set_vgpr_msb 0x44                     ;  msbs: dst=1 src0=0 src1=1 src2=0
	v_mul_i32_i24_e32 v60 /*v316*/, v216, v24 /*v280*/
	s_set_vgpr_msb 0                        ;  msbs: dst=0 src0=0 src1=0 src2=0
	v_add3_u32 v154, v230, v134, v159
	v_add3_u32 v216, v238, v141, v148
	s_set_vgpr_msb 1                        ;  msbs: dst=0 src0=1 src1=0 src2=0
	v_mul_i32_i24_e32 v134, v152 /*v408*/, v206
	v_mul_i32_i24_e32 v141, v99 /*v355*/, v207
	s_set_vgpr_msb 4                        ;  msbs: dst=0 src0=0 src1=1 src2=0
	v_cvt_f32_f16_e32 v95, v94
	v_cvt_f32_f16_e64 v94, v231
	v_mul_i32_i24_e32 v231, v217, v113 /*v369*/
	s_set_vgpr_msb 0                        ;  msbs: dst=0 src0=0 src1=0 src2=0
	v_mul_i32_i24_e32 v107, v219, v163
	s_set_vgpr_msb 4                        ;  msbs: dst=0 src0=0 src1=1 src2=0
	v_mul_i32_i24_e32 v111, v219, v52 /*v308*/
	s_set_vgpr_msb 5                        ;  msbs: dst=0 src0=1 src1=1 src2=0
	v_mul_i32_i24_e32 v105, v61 /*v317*/, v36 /*v292*/
	v_mul_i32_i24_e32 v114, v61 /*v317*/, v50 /*v306*/
	;; [unrolled: 1-line block ×3, first 2 shown]
	s_set_vgpr_msb 64                       ;  msbs: dst=1 src0=0 src1=0 src2=0
	v_mul_i32_i24_e32 v61 /*v317*/, v217, v235
	s_set_vgpr_msb 4                        ;  msbs: dst=0 src0=0 src1=1 src2=0
	v_mul_i32_i24_e32 v139, v219, v76 /*v332*/
	s_set_vgpr_msb 0                        ;  msbs: dst=0 src0=0 src1=0 src2=0
	v_add3_u32 v217, v227, v142, v160
	s_set_vgpr_msb 5                        ;  msbs: dst=0 src0=1 src1=1 src2=0
	v_mul_i32_i24_e32 v142, v152 /*v408*/, v117 /*v373*/
	s_set_vgpr_msb 0                        ;  msbs: dst=0 src0=0 src1=0 src2=0
	v_add3_u32 v219, v226, v153, v132
	s_set_vgpr_msb 5                        ;  msbs: dst=0 src0=1 src1=1 src2=0
	v_mul_i32_i24_e32 v132, v99 /*v355*/, v25 /*v281*/
	;; [unrolled: 4-line block ×3, first 2 shown]
	s_set_vgpr_msb 1                        ;  msbs: dst=0 src0=1 src1=0 src2=0
	v_mul_i32_i24_e32 v141, v99 /*v355*/, v149
	s_set_vgpr_msb 4                        ;  msbs: dst=0 src0=0 src1=1 src2=0
	v_mul_i32_i24_e32 v126, v212, v85 /*v341*/
	s_set_vgpr_msb 0                        ;  msbs: dst=0 src0=0 src1=0 src2=0
	v_add3_u32 v222, v241, v132, v142
	s_set_vgpr_msb 1                        ;  msbs: dst=0 src0=1 src1=0 src2=0
	v_mul_i32_i24_e32 v132, v16 /*v272*/, v152
	v_mul_i32_i24_e32 v142, v23 /*v279*/, v150
	s_set_vgpr_msb 0                        ;  msbs: dst=0 src0=0 src1=0 src2=0
	v_add3_u32 v226, v242, v141, v134
	s_set_vgpr_msb 1                        ;  msbs: dst=0 src0=1 src1=0 src2=0
	v_mul_i32_i24_e32 v134, v136 /*v392*/, v206
	v_mul_i32_i24_e32 v141, v31 /*v287*/, v207
	s_set_vgpr_msb 4                        ;  msbs: dst=0 src0=0 src1=1 src2=0
	v_mul_i32_i24_e32 v130, v212, v132 /*v388*/
	s_set_vgpr_msb 1                        ;  msbs: dst=0 src0=1 src1=0 src2=0
	v_add3_u32 v227, v22 /*v278*/, v132, v142
	s_set_vgpr_msb 5                        ;  msbs: dst=0 src0=1 src1=1 src2=0
	v_mul_i32_i24_e32 v132, v136 /*v392*/, v117 /*v373*/
	s_set_vgpr_msb 1                        ;  msbs: dst=0 src0=1 src1=0 src2=0
	v_mul_i32_i24_e32 v148, v31 /*v287*/, v149
	v_add3_u32 v230, v32 /*v288*/, v141, v134
	s_set_vgpr_msb 5                        ;  msbs: dst=0 src0=1 src1=1 src2=0
	v_mul_i32_i24_e32 v134, v31 /*v287*/, v25 /*v281*/
	s_set_vgpr_msb 4                        ;  msbs: dst=0 src0=0 src1=1 src2=0
	v_mul_i32_i24_e32 v141, v212, v148 /*v404*/
	v_mul_i32_i24_e32 v108, v220, v25 /*v281*/
	s_set_vgpr_msb 0                        ;  msbs: dst=0 src0=0 src1=0 src2=0
	v_mul_i32_i24_e32 v113, v220, v149
	s_set_vgpr_msb 5                        ;  msbs: dst=0 src0=1 src1=1 src2=0
	v_mul_i32_i24_e32 v101, v73 /*v329*/, v41 /*v297*/
	s_set_vgpr_msb 1                        ;  msbs: dst=0 src0=1 src1=0 src2=0
	v_add3_u32 v212, v33 /*v289*/, v134, v132
	s_set_vgpr_msb 5                        ;  msbs: dst=0 src0=1 src1=1 src2=0
	v_mul_i32_i24_e32 v134, v136 /*v392*/, v26 /*v282*/
	v_mul_i32_i24_e32 v109, v73 /*v329*/, v83 /*v339*/
	s_set_vgpr_msb 0                        ;  msbs: dst=0 src0=0 src1=0 src2=0
	v_add3_u32 v229, v229, v234, v233
	s_set_vgpr_msb 5                        ;  msbs: dst=0 src0=1 src1=1 src2=0
	v_mul_i32_i24_e32 v112, v73 /*v329*/, v94 /*v350*/
	s_set_vgpr_msb 4                        ;  msbs: dst=0 src0=0 src1=1 src2=0
	v_mul_i32_i24_e32 v140, v220, v75 /*v331*/
	s_set_vgpr_msb 64                       ;  msbs: dst=1 src0=0 src1=0 src2=0
	v_mul_i32_i24_e32 v70 /*v326*/, v158, v213
	s_set_vgpr_msb 0                        ;  msbs: dst=0 src0=0 src1=0 src2=0
	v_mul_i32_i24_e32 v220, v156, v207
	s_set_vgpr_msb 64                       ;  msbs: dst=1 src0=0 src1=0 src2=0
	v_mul_i32_i24_e32 v22 /*v278*/, v158, v163
	s_set_vgpr_msb 4                        ;  msbs: dst=0 src0=0 src1=1 src2=0
	v_mul_i32_i24_e32 v228, v156, v25 /*v281*/
	s_set_vgpr_msb 0x44                     ;  msbs: dst=1 src0=0 src1=1 src2=0
	v_mul_i32_i24_e32 v73 /*v329*/, v158, v52 /*v308*/
	s_set_vgpr_msb 0                        ;  msbs: dst=0 src0=0 src1=0 src2=0
	v_mul_i32_i24_e32 v233, v156, v149
	s_set_vgpr_msb 1                        ;  msbs: dst=0 src0=1 src1=0 src2=0
	v_mul_i32_i24_e32 v153, v89 /*v345*/, v152
	v_mul_i32_i24_e32 v156, v98 /*v354*/, v150
	v_add3_u32 v234, v48 /*v304*/, v148, v134
	v_mul_i32_i24_e32 v148, v153 /*v409*/, v206
	v_mul_i32_i24_e32 v158, v55 /*v311*/, v207
	s_set_vgpr_msb 0                        ;  msbs: dst=0 src0=0 src1=0 src2=0
	v_mul_i32_i24_e32 v214, v215, v236
	s_set_vgpr_msb 1                        ;  msbs: dst=0 src0=1 src1=0 src2=0
	v_add3_u32 v238, v49 /*v305*/, v153, v156
	s_set_vgpr_msb 5                        ;  msbs: dst=0 src0=1 src1=1 src2=0
	v_mul_i32_i24_e32 v153, v153 /*v409*/, v117 /*v373*/
	v_mul_i32_i24_e32 v156, v55 /*v311*/, v25 /*v281*/
	s_set_vgpr_msb 1                        ;  msbs: dst=0 src0=1 src1=0 src2=0
	v_add3_u32 v239, v57 /*v313*/, v158, v148
	s_set_vgpr_msb 5                        ;  msbs: dst=0 src0=1 src1=1 src2=0
	v_mul_i32_i24_e32 v148, v153 /*v409*/, v26 /*v282*/
	s_set_vgpr_msb 1                        ;  msbs: dst=0 src0=1 src1=0 src2=0
	v_mul_i32_i24_e32 v158, v55 /*v311*/, v149
	s_set_vgpr_msb 0                        ;  msbs: dst=0 src0=0 src1=0 src2=0
	v_mul_i32_i24_e32 v215, v155, v206
	s_set_vgpr_msb 1                        ;  msbs: dst=0 src0=1 src1=0 src2=0
	v_add3_u32 v241, v58 /*v314*/, v156, v153
	s_set_vgpr_msb 0                        ;  msbs: dst=0 src0=0 src1=0 src2=0
	v_mul_i32_i24_e32 v153, v157, v150
	s_set_vgpr_msb 1                        ;  msbs: dst=0 src0=1 src1=0 src2=0
	v_mul_i32_i24_e32 v156, v154 /*v410*/, v206
	s_set_vgpr_msb 0x41                     ;  msbs: dst=1 src0=1 src1=0 src2=0
	v_add3_u32 v16 /*v272*/, v64 /*v320*/, v158, v148
	s_set_vgpr_msb 1                        ;  msbs: dst=0 src0=1 src1=0 src2=0
	v_mul_i32_i24_e32 v148, v144 /*v400*/, v207
	s_set_vgpr_msb 5                        ;  msbs: dst=0 src0=1 src1=1 src2=0
	v_mul_i32_i24_e32 v157, v154 /*v410*/, v117 /*v373*/
	s_set_vgpr_msb 0                        ;  msbs: dst=0 src0=0 src1=0 src2=0
	v_add3_u32 v247, v247, v147, v153
	s_set_vgpr_msb 5                        ;  msbs: dst=0 src0=1 src1=1 src2=0
	v_mul_i32_i24_e32 v147, v144 /*v400*/, v25 /*v281*/
	s_set_vgpr_msb 1                        ;  msbs: dst=0 src0=1 src1=0 src2=0
	v_mul_i32_i24_e32 v153, v144 /*v400*/, v149
	s_set_vgpr_msb 0x41                     ;  msbs: dst=1 src0=1 src1=0 src2=0
	v_add3_u32 v33 /*v289*/, v65 /*v321*/, v148, v156
	s_set_vgpr_msb 5                        ;  msbs: dst=0 src0=1 src1=1 src2=0
	v_mul_i32_i24_e32 v148, v154 /*v410*/, v26 /*v282*/
	s_set_vgpr_msb 1                        ;  msbs: dst=0 src0=1 src1=0 src2=0
	v_mul_i32_i24_e32 v156, v2 /*v258*/, v150
	s_set_vgpr_msb 0x41                     ;  msbs: dst=1 src0=1 src1=0 src2=0
	v_add3_u32 v48 /*v304*/, v67 /*v323*/, v147, v157
	s_set_vgpr_msb 0                        ;  msbs: dst=0 src0=0 src1=0 src2=0
	v_mul_i32_i24_e32 v147, v246, v152
	s_set_vgpr_msb 1                        ;  msbs: dst=0 src0=1 src1=0 src2=0
	v_mul_i32_i24_e32 v157, v161 /*v417*/, v206
	v_add3_u32 v246, v53 /*v309*/, v153, v148
	v_mul_i32_i24_e32 v148, v165 /*v421*/, v207
	s_set_vgpr_msb 5                        ;  msbs: dst=0 src0=1 src1=1 src2=0
	v_mul_i32_i24_e32 v158, v161 /*v417*/, v117 /*v373*/
	s_set_vgpr_msb 0x41                     ;  msbs: dst=1 src0=1 src1=0 src2=0
	v_add3_u32 v2 /*v258*/, v21 /*v277*/, v147, v156
	s_set_vgpr_msb 5                        ;  msbs: dst=0 src0=1 src1=1 src2=0
	v_mul_i32_i24_e32 v147, v165 /*v421*/, v25 /*v281*/
	s_set_vgpr_msb 1                        ;  msbs: dst=0 src0=1 src1=0 src2=0
	v_mul_i32_i24_e32 v242, v7 /*v263*/, v204
	s_set_vgpr_msb 0x41                     ;  msbs: dst=1 src0=1 src1=0 src2=0
	v_add3_u32 v21 /*v277*/, v68 /*v324*/, v148, v157
	s_set_vgpr_msb 5                        ;  msbs: dst=0 src0=1 src1=1 src2=0
	v_mul_i32_i24_e32 v148, v161 /*v417*/, v26 /*v282*/
	s_set_vgpr_msb 1                        ;  msbs: dst=0 src0=1 src1=0 src2=0
	v_mul_i32_i24_e32 v157, v165 /*v421*/, v149
	s_set_vgpr_msb 0x41                     ;  msbs: dst=1 src0=1 src1=0 src2=0
	v_add3_u32 v53 /*v309*/, v69 /*v325*/, v147, v158
	s_set_vgpr_msb 0                        ;  msbs: dst=0 src0=0 src1=0 src2=0
	v_mul_i32_i24_e32 v147, v248, v152
	s_set_vgpr_msb 1                        ;  msbs: dst=0 src0=1 src1=0 src2=0
	v_mul_i32_i24_e32 v158, v18 /*v274*/, v150
	v_mul_i32_i24_e32 v149, v171 /*v427*/, v149
	s_set_vgpr_msb 0x41                     ;  msbs: dst=1 src0=1 src1=0 src2=0
	v_add3_u32 v18 /*v274*/, v34 /*v290*/, v157, v148
	s_set_vgpr_msb 1                        ;  msbs: dst=0 src0=1 src1=0 src2=0
	v_mul_i32_i24_e32 v148, v169 /*v425*/, v206
	v_mul_i32_i24_e32 v157, v171 /*v427*/, v207
	s_set_vgpr_msb 0x41                     ;  msbs: dst=1 src0=1 src1=0 src2=0
	v_add3_u32 v20 /*v276*/, v20 /*v276*/, v147, v158
	s_set_vgpr_msb 5                        ;  msbs: dst=0 src0=1 src1=1 src2=0
	v_mul_i32_i24_e32 v158, v171 /*v427*/, v25 /*v281*/
	s_set_vgpr_msb 1                        ;  msbs: dst=0 src0=1 src1=0 src2=0
	v_mul_i32_i24_e32 v152, v54 /*v310*/, v152
	v_mul_i32_i24_e32 v206, v59 /*v315*/, v150
	s_set_vgpr_msb 0x41                     ;  msbs: dst=1 src0=1 src1=0 src2=0
	v_add3_u32 v25 /*v281*/, v72 /*v328*/, v157, v148
	s_set_vgpr_msb 5                        ;  msbs: dst=0 src0=1 src1=1 src2=0
	v_mul_i32_i24_e32 v148, v169 /*v425*/, v26 /*v282*/
	s_set_vgpr_msb 0x45                     ;  msbs: dst=1 src0=1 src1=1 src2=0
	v_mul_i32_i24_e32 v49 /*v305*/, v0 /*v256*/, v42 /*v298*/
	s_set_vgpr_msb 1                        ;  msbs: dst=0 src0=1 src1=0 src2=0
	v_mul_i32_i24_e32 v248, v7 /*v263*/, v100
	s_set_vgpr_msb 0x45                     ;  msbs: dst=1 src0=1 src1=1 src2=0
	v_mul_i32_i24_e32 v65 /*v321*/, v0 /*v256*/, v85 /*v341*/
	v_mul_i32_i24_e32 v58 /*v314*/, v7 /*v263*/, v27 /*v283*/
	s_set_vgpr_msb 0x41                     ;  msbs: dst=1 src0=1 src1=0 src2=0
	v_add3_u32 v68 /*v324*/, v77 /*v333*/, v149, v148
	s_set_vgpr_msb 0x45                     ;  msbs: dst=1 src0=1 src1=1 src2=0
	v_mul_i32_i24_e32 v69 /*v325*/, v0 /*v256*/, v132 /*v388*/
	s_set_vgpr_msb 5                        ;  msbs: dst=0 src0=1 src1=1 src2=0
	v_mul_i32_i24_e32 v157, v7 /*v263*/, v78 /*v334*/
	v_mul_i32_i24_e32 v149, v0 /*v256*/, v148 /*v404*/
	s_set_vgpr_msb 64                       ;  msbs: dst=1 src0=0 src1=0 src2=0
	v_add3_u32 v0 /*v256*/, v98, v152, v206
	s_set_vgpr_msb 1                        ;  msbs: dst=0 src0=1 src1=0 src2=0
	v_mul_i32_i24_e32 v98, v102 /*v358*/, v204
	s_set_vgpr_msb 0x41                     ;  msbs: dst=1 src0=1 src1=0 src2=0
	v_mul_i32_i24_e32 v7 /*v263*/, v30 /*v286*/, v213
	s_set_vgpr_msb 64                       ;  msbs: dst=1 src0=0 src1=0 src2=0
	v_add3_u32 v54 /*v310*/, v229, v162, v237
	s_set_vgpr_msb 4                        ;  msbs: dst=0 src0=0 src1=1 src2=0
	v_mul_i32_i24_e32 v162, v205, v137 /*v393*/
	v_mul_i32_i24_e32 v223, v155, v117 /*v373*/
	;; [unrolled: 1-line block ×3, first 2 shown]
	s_set_vgpr_msb 0x45                     ;  msbs: dst=1 src0=1 src1=1 src2=0
	v_mul_i32_i24_e32 v64 /*v320*/, v88 /*v344*/, v45 /*v301*/
	v_mul_i32_i24_e32 v26 /*v282*/, v88 /*v344*/, v122 /*v378*/
	;; [unrolled: 1-line block ×3, first 2 shown]
	s_set_vgpr_msb 5                        ;  msbs: dst=0 src0=1 src1=1 src2=0
	v_mul_i32_i24_e32 v150, v88 /*v344*/, v150 /*v406*/
	s_set_vgpr_msb 64                       ;  msbs: dst=1 src0=0 src1=0 src2=0
	v_add3_u32 v88 /*v344*/, v219, v214, v162
	s_set_vgpr_msb 1                        ;  msbs: dst=0 src0=1 src1=0 src2=0
	v_mul_i32_i24_e32 v162, v102 /*v358*/, v100
	v_mul_i32_i24_e32 v205, v30 /*v286*/, v163
	s_set_vgpr_msb 0x50                     ;  msbs: dst=1 src0=0 src1=0 src2=1
	v_add3_u32 v7 /*v263*/, v230, v98, v7 /*v263*/
	s_set_vgpr_msb 5                        ;  msbs: dst=0 src0=1 src1=1 src2=0
	v_mul_i32_i24_e32 v98, v102 /*v358*/, v27 /*v283*/
	v_mul_i32_i24_e32 v214, v30 /*v286*/, v52 /*v308*/
	s_set_vgpr_msb 64                       ;  msbs: dst=1 src0=0 src1=0 src2=0
	v_add3_u32 v59 /*v315*/, v154, v220, v215
	v_add3_u32 v103 /*v359*/, v212, v162, v205
	s_set_vgpr_msb 1                        ;  msbs: dst=0 src0=1 src1=0 src2=0
	v_mul_i32_i24_e32 v162, v80 /*v336*/, v236
	v_mul_i32_i24_e32 v212, v101 /*v357*/, v235
	s_set_vgpr_msb 0                        ;  msbs: dst=0 src0=0 src1=0 src2=0
	v_mul_i32_i24_e32 v215, v245, v204
	s_set_vgpr_msb 64                       ;  msbs: dst=1 src0=0 src1=0 src2=0
	v_add3_u32 v80 /*v336*/, v234, v98, v214
	s_set_vgpr_msb 0                        ;  msbs: dst=0 src0=0 src1=0 src2=0
	v_mul_i32_i24_e32 v98, v251, v213
	v_mul_i32_i24_e32 v214, v245, v100
	s_set_vgpr_msb 64                       ;  msbs: dst=1 src0=0 src1=0 src2=0
	v_add3_u32 v101 /*v357*/, v238, v212, v162
	s_set_vgpr_msb 0                        ;  msbs: dst=0 src0=0 src1=0 src2=0
	v_mul_i32_i24_e32 v162, v251, v163
	s_set_vgpr_msb 5                        ;  msbs: dst=0 src0=1 src1=1 src2=0
	v_mul_i32_i24_e32 v147, v169 /*v425*/, v117 /*v373*/
	s_set_vgpr_msb 64                       ;  msbs: dst=1 src0=0 src1=0 src2=0
	v_add3_u32 v106 /*v362*/, v239, v215, v98
	s_set_vgpr_msb 4                        ;  msbs: dst=0 src0=0 src1=1 src2=0
	v_mul_i32_i24_e32 v98, v245, v27 /*v283*/
	v_mul_i32_i24_e32 v215, v251, v52 /*v308*/
	s_set_vgpr_msb 64                       ;  msbs: dst=1 src0=0 src1=0 src2=0
	v_add3_u32 v108 /*v364*/, v241, v214, v162
	s_set_vgpr_msb 1                        ;  msbs: dst=0 src0=1 src1=0 src2=0
	v_mul_i32_i24_e32 v162, v129 /*v385*/, v236
	v_mul_i32_i24_e32 v214, v86 /*v342*/, v204
	s_set_vgpr_msb 5                        ;  msbs: dst=0 src0=1 src1=1 src2=0
	v_mul_i32_i24_e32 v117, v125 /*v381*/, v42 /*v298*/
	s_set_vgpr_msb 0x41                     ;  msbs: dst=1 src0=1 src1=0 src2=0
	v_add3_u32 v113 /*v369*/, v16 /*v272*/, v98, v215
	s_set_vgpr_msb 1                        ;  msbs: dst=0 src0=1 src1=0 src2=0
	v_mul_i32_i24_e32 v98, v96 /*v352*/, v213
	v_mul_i32_i24_e32 v215, v86 /*v342*/, v100
	s_set_vgpr_msb 64                       ;  msbs: dst=1 src0=0 src1=0 src2=0
	v_add3_u32 v115 /*v371*/, v247, v161, v162
	s_set_vgpr_msb 1                        ;  msbs: dst=0 src0=1 src1=0 src2=0
	v_mul_i32_i24_e32 v161, v96 /*v352*/, v163
	s_set_vgpr_msb 5                        ;  msbs: dst=0 src0=1 src1=1 src2=0
	v_mul_i32_i24_e32 v162, v96 /*v352*/, v52 /*v308*/
	s_set_vgpr_msb 0x41                     ;  msbs: dst=1 src0=1 src1=0 src2=0
	v_add3_u32 v117 /*v373*/, v33 /*v289*/, v214, v98
	s_set_vgpr_msb 5                        ;  msbs: dst=0 src0=1 src1=1 src2=0
	v_mul_i32_i24_e32 v98, v86 /*v342*/, v27 /*v283*/
	s_set_vgpr_msb 1                        ;  msbs: dst=0 src0=1 src1=0 src2=0
	v_mul_i32_i24_e32 v214, v3 /*v259*/, v235
	s_set_vgpr_msb 0x41                     ;  msbs: dst=1 src0=1 src1=0 src2=0
	v_add3_u32 v118 /*v374*/, v48 /*v304*/, v215, v161
	s_set_vgpr_msb 1                        ;  msbs: dst=0 src0=1 src1=0 src2=0
	v_mul_i32_i24_e32 v161, v19 /*v275*/, v236
	v_mul_i32_i24_e32 v215, v160 /*v416*/, v204
	s_set_vgpr_msb 64                       ;  msbs: dst=1 src0=0 src1=0 src2=0
	v_add3_u32 v119 /*v375*/, v246, v98, v162
	s_set_vgpr_msb 1                        ;  msbs: dst=0 src0=1 src1=0 src2=0
	v_mul_i32_i24_e32 v98, v164 /*v420*/, v213
	v_mul_i32_i24_e32 v162, v160 /*v416*/, v100
	s_set_vgpr_msb 0x41                     ;  msbs: dst=1 src0=1 src1=0 src2=0
	v_add3_u32 v120 /*v376*/, v2 /*v258*/, v214, v161
	s_set_vgpr_msb 1                        ;  msbs: dst=0 src0=1 src1=0 src2=0
	v_mul_i32_i24_e32 v161, v164 /*v420*/, v163
	s_set_vgpr_msb 5                        ;  msbs: dst=0 src0=1 src1=1 src2=0
	v_mul_i32_i24_e32 v214, v164 /*v420*/, v52 /*v308*/
	s_set_vgpr_msb 0x41                     ;  msbs: dst=1 src0=1 src1=0 src2=0
	v_add3_u32 v123 /*v379*/, v21 /*v277*/, v215, v98
	s_set_vgpr_msb 5                        ;  msbs: dst=0 src0=1 src1=1 src2=0
	v_mul_i32_i24_e32 v98, v160 /*v416*/, v27 /*v283*/
	v_mul_i32_i24_e32 v106, v62 /*v318*/, v40 /*v296*/
	;; [unrolled: 1-line block ×6, first 2 shown]
	s_set_vgpr_msb 0x41                     ;  msbs: dst=1 src0=1 src1=0 src2=0
	v_mul_i32_i24_e32 v62 /*v318*/, v135 /*v391*/, v204
	v_mul_i32_i24_e32 v32 /*v288*/, v39 /*v295*/, v213
	;; [unrolled: 1-line block ×3, first 2 shown]
	s_set_vgpr_msb 0x45                     ;  msbs: dst=1 src0=1 src1=1 src2=0
	v_mul_i32_i24_e32 v67 /*v323*/, v39 /*v295*/, v52 /*v308*/
	s_set_vgpr_msb 0x41                     ;  msbs: dst=1 src0=1 src1=0 src2=0
	v_add3_u32 v124 /*v380*/, v53 /*v309*/, v162, v161
	s_set_vgpr_msb 0                        ;  msbs: dst=0 src0=0 src1=0 src2=0
	v_mul_i32_i24_e32 v161, v243, v236
	v_mul_i32_i24_e32 v162, v240, v235
	s_set_vgpr_msb 0x41                     ;  msbs: dst=1 src0=1 src1=0 src2=0
	v_add3_u32 v125 /*v381*/, v18 /*v274*/, v98, v214
	s_set_vgpr_msb 1                        ;  msbs: dst=0 src0=1 src1=0 src2=0
	v_mul_i32_i24_e32 v98, v168 /*v424*/, v204
	v_mul_i32_i24_e32 v204, v170 /*v426*/, v213
	s_set_vgpr_msb 5                        ;  msbs: dst=0 src0=1 src1=1 src2=0
	v_mul_i32_i24_e32 v120, v87 /*v343*/, v43 /*v299*/
	v_mul_i32_i24_e32 v128, v87 /*v343*/, v121 /*v377*/
	;; [unrolled: 1-line block ×3, first 2 shown]
	s_set_vgpr_msb 0x41                     ;  msbs: dst=1 src0=1 src1=0 src2=0
	v_mul_i32_i24_e32 v71 /*v327*/, v135 /*v391*/, v100
	s_set_vgpr_msb 0x45                     ;  msbs: dst=1 src0=1 src1=1 src2=0
	v_mul_i32_i24_e32 v23 /*v279*/, v135 /*v391*/, v27 /*v283*/
	s_set_vgpr_msb 0x41                     ;  msbs: dst=1 src0=1 src1=0 src2=0
	v_add3_u32 v57 /*v313*/, v74 /*v330*/, v158, v147
	s_set_vgpr_msb 0x45                     ;  msbs: dst=1 src0=1 src1=1 src2=0
	v_mul_i32_i24_e32 v74 /*v330*/, v11 /*v267*/, v24 /*v280*/
	s_set_vgpr_msb 0x41                     ;  msbs: dst=1 src0=1 src1=0 src2=0
	v_mul_i32_i24_e32 v11 /*v267*/, v37 /*v293*/, v235
	s_set_vgpr_msb 5                        ;  msbs: dst=0 src0=1 src1=1 src2=0
	v_mul_i32_i24_e32 v158, v39 /*v295*/, v76 /*v332*/
	s_set_vgpr_msb 64                       ;  msbs: dst=1 src0=0 src1=0 src2=0
	v_add3_u32 v39 /*v295*/, v225, v232, v231
	v_add3_u32 v87 /*v343*/, v217, v233, v155
	s_set_vgpr_msb 0x50                     ;  msbs: dst=1 src0=0 src1=0 src2=1
	v_add3_u32 v89 /*v345*/, v221, v242, v32 /*v288*/
	v_add3_u32 v34 /*v290*/, v222, v248, v34 /*v290*/
	s_set_vgpr_msb 0x54                     ;  msbs: dst=1 src0=0 src1=1 src2=1
	v_add3_u32 v67 /*v323*/, v226, v58 /*v314*/, v67 /*v323*/
	s_set_vgpr_msb 0x41                     ;  msbs: dst=1 src0=1 src1=0 src2=0
	v_add3_u32 v181 /*v437*/, v20 /*v276*/, v162, v161
	s_set_vgpr_msb 1                        ;  msbs: dst=0 src0=1 src1=0 src2=0
	v_mul_i32_i24_e32 v161, v168 /*v424*/, v100
	v_mul_i32_i24_e32 v162, v170 /*v426*/, v163
	v_add3_u32 v100, v25 /*v281*/, v98, v204
	s_set_vgpr_msb 0x45                     ;  msbs: dst=1 src0=1 src1=1 src2=0
	v_mul_i32_i24_e32 v25 /*v281*/, v81 /*v337*/, v24 /*v280*/
	v_mul_i32_i24_e32 v4 /*v260*/, v4 /*v260*/, v137 /*v393*/
	s_set_vgpr_msb 4                        ;  msbs: dst=0 src0=0 src1=1 src2=0
	v_mul_i32_i24_e32 v97, v210, v47 /*v303*/
	s_set_vgpr_msb 5                        ;  msbs: dst=0 src0=1 src1=1 src2=0
	v_mul_i32_i24_e32 v122, v90 /*v346*/, v47 /*v303*/
	s_set_vgpr_msb 4                        ;  msbs: dst=0 src0=0 src1=1 src2=0
	v_mul_i32_i24_e32 v118, v210, v131 /*v387*/
	v_mul_i32_i24_e32 v119, v208, v122 /*v378*/
	s_set_vgpr_msb 5                        ;  msbs: dst=0 src0=1 src1=1 src2=0
	v_mul_i32_i24_e32 v129, v90 /*v346*/, v131 /*v387*/
	s_set_vgpr_msb 4                        ;  msbs: dst=0 src0=0 src1=1 src2=0
	v_mul_i32_i24_e32 v124, v210, v139 /*v395*/
	;; [unrolled: 5-line block ×3, first 2 shown]
	v_mul_i32_i24_e32 v132, v210, v151 /*v407*/
	v_mul_i32_i24_e32 v134, v208, v150 /*v406*/
	s_set_vgpr_msb 5                        ;  msbs: dst=0 src0=1 src1=1 src2=0
	v_mul_i32_i24_e32 v153, v79 /*v335*/, v43 /*v299*/
	v_mul_i32_i24_e32 v156, v82 /*v338*/, v47 /*v303*/
	;; [unrolled: 1-line block ×9, first 2 shown]
	s_set_vgpr_msb 64                       ;  msbs: dst=1 src0=0 src1=0 src2=0
	v_add3_u32 v37 /*v293*/, v224, v209, v151
	s_set_vgpr_msb 0x45                     ;  msbs: dst=1 src0=1 src1=1 src2=0
	v_mul_i32_i24_e32 v77 /*v333*/, v46 /*v302*/, v42 /*v298*/
	v_mul_i32_i24_e32 v79 /*v335*/, v104 /*v360*/, v45 /*v301*/
	s_set_vgpr_msb 4                        ;  msbs: dst=0 src0=0 src1=1 src2=0
	v_mul_i32_i24_e32 v207, v249, v36 /*v292*/
	s_set_vgpr_msb 64                       ;  msbs: dst=1 src0=0 src1=0 src2=0
	v_add3_u32 v82 /*v338*/, v216, v228, v223
	s_set_vgpr_msb 0x45                     ;  msbs: dst=1 src0=1 src1=1 src2=0
	v_mul_i32_i24_e32 v90 /*v346*/, v46 /*v302*/, v85 /*v341*/
	v_mul_i32_i24_e32 v98 /*v354*/, v104 /*v360*/, v122 /*v378*/
	s_set_vgpr_msb 4                        ;  msbs: dst=0 src0=0 src1=1 src2=0
	v_mul_i32_i24_e32 v221, v249, v50 /*v306*/
	s_set_vgpr_msb 0x54                     ;  msbs: dst=1 src0=0 src1=1 src2=1
	v_add3_u32 v99 /*v355*/, v227, v11 /*v267*/, v5 /*v261*/
	s_set_vgpr_msb 0x45                     ;  msbs: dst=1 src0=1 src1=1 src2=0
	v_mul_i32_i24_e32 v48 /*v304*/, v46 /*v302*/, v132 /*v388*/
	v_mul_i32_i24_e32 v21 /*v277*/, v104 /*v360*/, v138 /*v394*/
	s_set_vgpr_msb 4                        ;  msbs: dst=0 src0=0 src1=1 src2=0
	v_mul_i32_i24_e32 v239, v249, v51 /*v307*/
	s_set_vgpr_msb 1                        ;  msbs: dst=0 src0=1 src1=0 src2=0
	v_add3_u32 v98, v57 /*v313*/, v161, v162
	s_set_vgpr_msb 5                        ;  msbs: dst=0 src0=1 src1=1 src2=0
	v_mul_i32_i24_e32 v243, v30 /*v286*/, v76 /*v332*/
	s_set_vgpr_msb 0x45                     ;  msbs: dst=1 src0=1 src1=1 src2=0
	v_mul_i32_i24_e32 v2 /*v258*/, v31 /*v287*/, v75 /*v331*/
	s_set_vgpr_msb 4                        ;  msbs: dst=0 src0=0 src1=1 src2=0
	v_mul_i32_i24_e32 v214, v249, v93 /*v349*/
	s_set_vgpr_msb 5                        ;  msbs: dst=0 src0=1 src1=1 src2=0
	v_mul_i32_i24_e32 v247, v168 /*v424*/, v27 /*v283*/
	v_mul_i32_i24_e32 v249, v170 /*v426*/, v52 /*v308*/
	s_set_vgpr_msb 0x44                     ;  msbs: dst=1 src0=0 src1=1 src2=0
	v_mul_i32_i24_e32 v30 /*v286*/, v255, v85 /*v341*/
	s_set_vgpr_msb 0x41                     ;  msbs: dst=1 src0=1 src1=0 src2=0
	v_add3_u32 v31 /*v287*/, v39 /*v295*/, v252, v250
	s_set_vgpr_msb 5                        ;  msbs: dst=0 src0=1 src1=1 src2=0
	v_mul_i32_i24_e32 v250, v17 /*v273*/, v122 /*v378*/
	s_set_vgpr_msb 0x55                     ;  msbs: dst=1 src0=1 src1=1 src2=1
	v_add3_u32 v39 /*v295*/, v59 /*v315*/, v62 /*v318*/, v70 /*v326*/
	s_set_vgpr_msb 0x44                     ;  msbs: dst=1 src0=0 src1=1 src2=0
	v_mul_i32_i24_e32 v5 /*v261*/, v251, v76 /*v332*/
	s_set_vgpr_msb 0x55                     ;  msbs: dst=1 src0=1 src1=1 src2=1
	v_add3_u32 v57 /*v313*/, v87 /*v343*/, v23 /*v279*/, v73 /*v329*/
	v_add3_u32 v58 /*v314*/, v88 /*v344*/, v60 /*v316*/, v61 /*v317*/
	;; [unrolled: 1-line block ×5, first 2 shown]
	s_set_vgpr_msb 5                        ;  msbs: dst=0 src0=1 src1=1 src2=0
	v_mul_i32_i24_e32 v251, v97 /*v353*/, v85 /*v341*/
	s_set_vgpr_msb 0x55                     ;  msbs: dst=1 src0=1 src1=1 src2=1
	v_mul_i32_i24_e32 v23 /*v279*/, v111 /*v367*/, v122 /*v378*/
	v_add3_u32 v72 /*v328*/, v101 /*v357*/, v4 /*v260*/, v25 /*v281*/
	v_mul_i32_i24_e32 v25 /*v281*/, v97 /*v353*/, v132 /*v388*/
	v_mul_i32_i24_e32 v65 /*v321*/, v111 /*v367*/, v138 /*v394*/
	;; [unrolled: 1-line block ×4, first 2 shown]
	s_set_vgpr_msb 5                        ;  msbs: dst=0 src0=1 src1=1 src2=0
	v_mul_i32_i24_e32 v224, v6 /*v262*/, v43 /*v299*/
	v_mul_i32_i24_e32 v225, v8 /*v264*/, v47 /*v303*/
	;; [unrolled: 1-line block ×12, first 2 shown]
	s_set_vgpr_msb 1                        ;  msbs: dst=0 src0=1 src1=0 src2=0
	v_mul_i32_i24_e32 v236, v9 /*v265*/, v236
	s_set_vgpr_msb 0x44                     ;  msbs: dst=1 src0=0 src1=1 src2=0
	v_mul_i32_i24_e32 v6 /*v262*/, v255, v42 /*v298*/
	s_set_vgpr_msb 1                        ;  msbs: dst=0 src0=1 src1=0 src2=0
	v_mul_i32_i24_e32 v235, v14 /*v270*/, v235
	s_set_vgpr_msb 0x41                     ;  msbs: dst=1 src0=1 src1=0 src2=0
	v_add3_u32 v142 /*v398*/, v68 /*v324*/, v247, v249
	s_set_vgpr_msb 0x45                     ;  msbs: dst=1 src0=1 src1=1 src2=0
	v_mul_i32_i24_e32 v27 /*v283*/, v17 /*v273*/, v45 /*v301*/
	v_add3_u32 v33 /*v289*/, v54 /*v310*/, v15 /*v271*/, v253
	s_set_vgpr_msb 4                        ;  msbs: dst=0 src0=0 src1=1 src2=0
	v_mul_i32_i24_e32 v252, v255, v132 /*v388*/
	s_set_vgpr_msb 5                        ;  msbs: dst=0 src0=1 src1=1 src2=0
	v_mul_i32_i24_e32 v253, v17 /*v273*/, v138 /*v394*/
	s_set_vgpr_msb 0x45                     ;  msbs: dst=1 src0=1 src1=1 src2=0
	v_mul_i32_i24_e32 v53 /*v309*/, v140 /*v396*/, v24 /*v280*/
	s_set_vgpr_msb 0x44                     ;  msbs: dst=1 src0=0 src1=1 src2=0
	v_mul_i32_i24_e32 v3 /*v259*/, v245, v78 /*v334*/
	s_set_vgpr_msb 0x51                     ;  msbs: dst=1 src0=1 src1=0 src2=1
	v_add3_u32 v52 /*v308*/, v37 /*v293*/, v244, v28 /*v284*/
	s_set_vgpr_msb 5                        ;  msbs: dst=0 src0=1 src1=1 src2=0
	v_mul_i32_i24_e32 v244, v97 /*v353*/, v42 /*v298*/
	s_set_vgpr_msb 0x55                     ;  msbs: dst=1 src0=1 src1=1 src2=1
	v_add3_u32 v54 /*v310*/, v82 /*v338*/, v71 /*v327*/, v22 /*v278*/
	s_set_vgpr_msb 5                        ;  msbs: dst=0 src0=1 src1=1 src2=0
	v_mul_i32_i24_e32 v245, v111 /*v367*/, v45 /*v301*/
	s_set_vgpr_msb 0x55                     ;  msbs: dst=1 src0=1 src1=1 src2=1
	v_mul_i32_i24_e32 v13 /*v269*/, v66 /*v322*/, v36 /*v292*/
	v_mul_i32_i24_e32 v8 /*v264*/, v29 /*v285*/, v137 /*v393*/
	v_add3_u32 v68 /*v324*/, v7 /*v263*/, v79 /*v335*/, v77 /*v333*/
	v_mul_i32_i24_e32 v28 /*v284*/, v66 /*v322*/, v50 /*v306*/
	v_add3_u32 v69 /*v325*/, v103 /*v359*/, v98 /*v354*/, v90 /*v346*/
	v_add3_u32 v70 /*v326*/, v80 /*v336*/, v21 /*v277*/, v48 /*v304*/
	s_set_vgpr_msb 0x51                     ;  msbs: dst=1 src0=1 src1=0 src2=1
	v_add3_u32 v77 /*v333*/, v108 /*v364*/, v250, v30 /*v286*/
	s_set_vgpr_msb 0x45                     ;  msbs: dst=1 src0=1 src1=1 src2=0
	v_mul_i32_i24_e32 v48 /*v304*/, v66 /*v322*/, v51 /*v307*/
	s_set_vgpr_msb 5                        ;  msbs: dst=0 src0=1 src1=1 src2=0
	v_mul_i32_i24_e32 v250, v91 /*v347*/, v137 /*v393*/
	s_set_vgpr_msb 0x45                     ;  msbs: dst=1 src0=1 src1=1 src2=0
	v_add3_u32 v82 /*v338*/, v118 /*v374*/, v23 /*v279*/, v251
	v_mul_i32_i24_e32 v63 /*v319*/, v96 /*v352*/, v76 /*v332*/
	s_set_vgpr_msb 5                        ;  msbs: dst=0 src0=1 src1=1 src2=0
	v_mul_i32_i24_e32 v251, v66 /*v322*/, v93 /*v349*/
	s_set_vgpr_msb 0x55                     ;  msbs: dst=1 src0=1 src1=1 src2=1
	v_mul_i32_i24_e32 v66 /*v322*/, v95 /*v351*/, v42 /*v298*/
	v_add3_u32 v96 /*v352*/, v119 /*v375*/, v65 /*v321*/, v25 /*v281*/
	v_mul_i32_i24_e32 v25 /*v281*/, v163 /*v419*/, v45 /*v301*/
	v_mul_i32_i24_e32 v65 /*v321*/, v95 /*v351*/, v85 /*v341*/
	v_add3_u32 v98 /*v354*/, v120 /*v376*/, v84 /*v340*/, v88 /*v344*/
	v_mul_i32_i24_e32 v84 /*v340*/, v163 /*v419*/, v122 /*v378*/
	s_set_vgpr_msb 4                        ;  msbs: dst=0 src0=0 src1=1 src2=0
	v_mul_i32_i24_e32 v127, v211, v121 /*v377*/
	v_mul_i32_i24_e32 v133, v211, v134 /*v390*/
	;; [unrolled: 1-line block ×3, first 2 shown]
	s_set_vgpr_msb 5                        ;  msbs: dst=0 src0=1 src1=1 src2=0
	v_mul_i32_i24_e32 v206, v38 /*v294*/, v36 /*v292*/
	v_mul_i32_i24_e32 v209, v40 /*v296*/, v10 /*v266*/
	v_mul_i32_i24_e32 v211, v40 /*v296*/, v116 /*v372*/
	v_mul_i32_i24_e32 v151, v41 /*v297*/, v127 /*v383*/
	v_mul_i32_i24_e32 v152, v41 /*v297*/, v12 /*v268*/
	v_mul_i32_i24_e32 v154, v44 /*v300*/, v128 /*v384*/
	v_mul_i32_i24_e32 v219, v38 /*v294*/, v50 /*v306*/
	v_mul_i32_i24_e32 v223, v56 /*v312*/, v116 /*v372*/
	v_mul_i32_i24_e32 v205, v83 /*v339*/, v127 /*v383*/
	v_mul_i32_i24_e32 v212, v83 /*v339*/, v12 /*v268*/
	v_mul_i32_i24_e32 v216, v112 /*v368*/, v128 /*v384*/
	v_mul_i32_i24_e32 v238, v38 /*v294*/, v51 /*v307*/
	v_mul_i32_i24_e32 v241, v107 /*v363*/, v116 /*v372*/
	v_mul_i32_i24_e32 v230, v94 /*v350*/, v127 /*v383*/
	v_mul_i32_i24_e32 v231, v94 /*v350*/, v12 /*v268*/
	v_mul_i32_i24_e32 v232, v114 /*v370*/, v128 /*v384*/
	v_mul_i32_i24_e32 v242, v102 /*v358*/, v78 /*v334*/
	v_mul_i32_i24_e32 v234, v46 /*v302*/, v148 /*v404*/
	v_mul_i32_i24_e32 v237, v104 /*v360*/, v150 /*v406*/
	v_mul_i32_i24_e32 v213, v38 /*v294*/, v93 /*v349*/
	v_mul_i32_i24_e32 v215, v110 /*v366*/, v10 /*v266*/
	v_mul_i32_i24_e32 v217, v110 /*v366*/, v116 /*v372*/
	v_mul_i32_i24_e32 v161, v109 /*v365*/, v127 /*v383*/
	v_mul_i32_i24_e32 v162, v109 /*v365*/, v12 /*v268*/
	v_mul_i32_i24_e32 v163, v133 /*v389*/, v128 /*v384*/
	s_set_vgpr_msb 0x44                     ;  msbs: dst=1 src0=0 src1=1 src2=0
	v_mul_i32_i24_e32 v12 /*v268*/, v254, v43 /*v299*/
	s_set_vgpr_msb 0x45                     ;  msbs: dst=1 src0=1 src1=1 src2=0
	v_mul_i32_i24_e32 v14 /*v270*/, v1 /*v257*/, v47 /*v303*/
	s_set_vgpr_msb 0x41                     ;  msbs: dst=1 src0=1 src1=0 src2=0
	v_add3_u32 v127 /*v383*/, v0 /*v256*/, v235, v236
	s_set_vgpr_msb 0x44                     ;  msbs: dst=1 src0=0 src1=1 src2=0
	v_mul_i32_i24_e32 v16 /*v272*/, v254, v121 /*v377*/
	s_set_vgpr_msb 0x45                     ;  msbs: dst=1 src0=1 src1=1 src2=0
	v_mul_i32_i24_e32 v18 /*v274*/, v1 /*v257*/, v131 /*v387*/
	s_set_vgpr_msb 0x44                     ;  msbs: dst=1 src0=0 src1=1 src2=0
	v_mul_i32_i24_e32 v19 /*v275*/, v254, v134 /*v390*/
	s_set_vgpr_msb 0x45                     ;  msbs: dst=1 src0=1 src1=1 src2=0
	v_mul_i32_i24_e32 v20 /*v276*/, v1 /*v257*/, v139 /*v395*/
	v_mul_i32_i24_e32 v32 /*v288*/, v55 /*v311*/, v75 /*v331*/
	s_set_vgpr_msb 4                        ;  msbs: dst=0 src0=0 src1=1 src2=0
	v_mul_i32_i24_e32 v247, v255, v148 /*v404*/
	v_mul_i32_i24_e32 v235, v254, v149 /*v405*/
	s_set_vgpr_msb 5                        ;  msbs: dst=0 src0=1 src1=1 src2=0
	v_mul_i32_i24_e32 v236, v1 /*v257*/, v151 /*v407*/
	v_mul_i32_i24_e32 v249, v17 /*v273*/, v150 /*v406*/
	s_set_vgpr_msb 0x45                     ;  msbs: dst=1 src0=1 src1=1 src2=0
	v_mul_i32_i24_e32 v37 /*v293*/, v100 /*v356*/, v43 /*v299*/
	v_mul_i32_i24_e32 v38 /*v294*/, v105 /*v361*/, v47 /*v303*/
	;; [unrolled: 1-line block ×5, first 2 shown]
	s_set_vgpr_msb 5                        ;  msbs: dst=0 src0=1 src1=1 src2=0
	v_mul_i32_i24_e32 v254, v41 /*v297*/, v147 /*v403*/
	v_mul_i32_i24_e32 v255, v41 /*v297*/, v146 /*v402*/
	s_set_vgpr_msb 0x55                     ;  msbs: dst=1 src0=1 src1=1 src2=1
	v_mul_i32_i24_e32 v0 /*v256*/, v44 /*v300*/, v156 /*v412*/
	v_mul_i32_i24_e32 v1 /*v257*/, v44 /*v300*/, v155 /*v411*/
	;; [unrolled: 1-line block ×3, first 2 shown]
	v_add3_u32 v67 /*v323*/, v99 /*v355*/, v8 /*v264*/, v74 /*v330*/
	v_mul_i32_i24_e32 v60 /*v316*/, v105 /*v361*/, v131 /*v387*/
	v_mul_i32_i24_e32 v26 /*v282*/, v143 /*v399*/, v50 /*v306*/
	;; [unrolled: 1-line block ×6, first 2 shown]
	v_add3_u32 v74 /*v330*/, v106 /*v362*/, v27 /*v283*/, v6 /*v262*/
	v_mul_i32_i24_e32 v71 /*v327*/, v100 /*v356*/, v134 /*v390*/
	v_mul_i32_i24_e32 v73 /*v329*/, v105 /*v361*/, v139 /*v395*/
	s_set_vgpr_msb 0x41                     ;  msbs: dst=1 src0=1 src1=0 src2=0
	v_add3_u32 v79 /*v335*/, v113 /*v369*/, v253, v252
	s_set_vgpr_msb 0x45                     ;  msbs: dst=1 src0=1 src1=1 src2=0
	v_mul_i32_i24_e32 v46 /*v302*/, v143 /*v399*/, v51 /*v307*/
	s_set_vgpr_msb 0x51                     ;  msbs: dst=1 src0=1 src1=0 src2=1
	v_add3_u32 v80 /*v336*/, v115 /*v371*/, v250, v53 /*v309*/
	s_set_vgpr_msb 0x45                     ;  msbs: dst=1 src0=1 src1=1 src2=0
	v_mul_i32_i24_e32 v49 /*v305*/, v107 /*v363*/, v130 /*v386*/
	v_mul_i32_i24_e32 v53 /*v309*/, v107 /*v363*/, v145 /*v401*/
	s_set_vgpr_msb 0x41                     ;  msbs: dst=1 src0=1 src1=0 src2=0
	v_add3_u32 v81 /*v337*/, v117 /*v373*/, v245, v244
	s_set_vgpr_msb 0x45                     ;  msbs: dst=1 src0=1 src1=1 src2=0
	v_mul_i32_i24_e32 v21 /*v277*/, v94 /*v350*/, v147 /*v403*/
	v_mul_i32_i24_e32 v22 /*v278*/, v94 /*v350*/, v146 /*v402*/
	;; [unrolled: 1-line block ×8, first 2 shown]
	s_set_vgpr_msb 5                        ;  msbs: dst=0 src0=1 src1=1 src2=0
	v_mul_i32_i24_e32 v250, v143 /*v399*/, v93 /*v349*/
	v_mul_i32_i24_e32 v252, v110 /*v366*/, v130 /*v386*/
	;; [unrolled: 1-line block ×5, first 2 shown]
	s_set_vgpr_msb 0x55                     ;  msbs: dst=1 src0=1 src1=1 src2=1
	v_mul_i32_i24_e32 v86 /*v342*/, v95 /*v351*/, v132 /*v388*/
	v_add3_u32 v99 /*v355*/, v123 /*v379*/, v25 /*v281*/, v66 /*v322*/
	v_mul_i32_i24_e32 v25 /*v281*/, v163 /*v419*/, v138 /*v394*/
	v_mul_i32_i24_e32 v101 /*v357*/, v92 /*v348*/, v43 /*v299*/
	v_add3_u32 v100 /*v356*/, v124 /*v380*/, v84 /*v340*/, v65 /*v321*/
	v_mul_i32_i24_e32 v104 /*v360*/, v162 /*v418*/, v47 /*v303*/
	v_mul_i32_i24_e32 v103 /*v359*/, v92 /*v348*/, v121 /*v377*/
	;; [unrolled: 1-line block ×43, first 2 shown]
	s_set_vgpr_msb 0x41                     ;  msbs: dst=1 src0=1 src1=0 src2=0
	v_mul_i32_i24_e32 v109 /*v365*/, v44 /*v300*/, v96
	s_set_vgpr_msb 0x45                     ;  msbs: dst=1 src0=1 src1=1 src2=0
	v_mul_i32_i24_e32 v110 /*v366*/, v44 /*v300*/, v179 /*v435*/
	s_set_vgpr_msb 0x41                     ;  msbs: dst=1 src0=1 src1=0 src2=0
	v_mul_i32_i24_e32 v111 /*v367*/, v112 /*v368*/, v96
	v_mul_i32_i24_e32 v113 /*v369*/, v114 /*v370*/, v96
	;; [unrolled: 1-line block ×3, first 2 shown]
	s_set_vgpr_msb 0x45                     ;  msbs: dst=1 src0=1 src1=1 src2=0
	v_mul_i32_i24_e32 v45 /*v301*/, v133 /*v389*/, v179 /*v435*/
	v_mul_i32_i24_e32 v138 /*v394*/, v136 /*v392*/, v141 /*v397*/
	v_mul_i32_i24_e32 v139 /*v395*/, v153 /*v409*/, v141 /*v397*/
	v_mul_i32_i24_e32 v135 /*v391*/, v154 /*v410*/, v141 /*v397*/
	v_mul_i32_i24_e32 v136 /*v392*/, v161 /*v417*/, v141 /*v397*/
	s_set_vgpr_msb 5                        ;  msbs: dst=0 src0=1 src1=1 src2=0
	v_mul_i32_i24_e32 v96, v158 /*v414*/, v137 /*v393*/
	s_set_vgpr_msb 0x45                     ;  msbs: dst=1 src0=1 src1=1 src2=0
	v_mul_i32_i24_e32 v133 /*v389*/, v169 /*v425*/, v141 /*v397*/
	v_mul_i32_i24_e32 v141 /*v397*/, v167 /*v423*/, v137 /*v393*/
	s_set_vgpr_msb 0x54                     ;  msbs: dst=1 src0=0 src1=1 src2=1
	v_add3_u32 v143 /*v399*/, v100, v144 /*v400*/, v143 /*v399*/
	v_add3_u32 v144 /*v400*/, v98, v147 /*v403*/, v146 /*v402*/
	s_set_vgpr_msb 0x51                     ;  msbs: dst=1 src0=1 src1=0 src2=1
	v_add3_u32 v137 /*v393*/, v181 /*v437*/, v96, v159 /*v415*/
	s_set_vgpr_msb 5                        ;  msbs: dst=0 src0=1 src1=1 src2=0
	v_mul_i32_i24_e32 v222, v56 /*v312*/, v10 /*v266*/
	s_set_vgpr_msb 0x55                     ;  msbs: dst=1 src0=1 src1=1 src2=1
	v_add3_u32 v127 /*v383*/, v127 /*v383*/, v141 /*v397*/, v140 /*v396*/
	s_set_vgpr_msb 5                        ;  msbs: dst=0 src0=1 src1=1 src2=0
	v_mul_i32_i24_e32 v240, v107 /*v363*/, v10 /*v266*/
	s_set_vgpr_msb 0x45                     ;  msbs: dst=1 src0=1 src1=1 src2=0
	v_mul_i32_i24_e32 v123 /*v379*/, v173 /*v429*/, v43 /*v299*/
	v_mul_i32_i24_e32 v106 /*v362*/, v157 /*v413*/, v50 /*v306*/
	;; [unrolled: 1-line block ×5, first 2 shown]
	s_set_vgpr_msb 1                        ;  msbs: dst=0 src0=1 src1=0 src2=0
	v_add3_u32 v117, v39 /*v295*/, v135, v117
	v_add3_u32 v102, v52 /*v308*/, v102, v103
	;; [unrolled: 1-line block ×6, first 2 shown]
	s_set_vgpr_msb 5                        ;  msbs: dst=0 src0=1 src1=1 src2=0
	v_add3_u32 v113, v58 /*v314*/, v134 /*v390*/, v146
	s_set_vgpr_msb 17                       ;  msbs: dst=0 src0=1 src1=0 src2=1
	v_add3_u32 v135, v67 /*v323*/, v218, v132 /*v388*/
	s_set_vgpr_msb 1                        ;  msbs: dst=0 src0=1 src1=0 src2=0
	v_add3_u32 v136, v59 /*v315*/, v153, v156
	v_add3_u32 v143, v68 /*v324*/, v224, v225
	;; [unrolled: 1-line block ×6, first 2 shown]
	s_set_vgpr_msb 21                       ;  msbs: dst=0 src0=1 src1=1 src2=1
	v_add3_u32 v156, v72 /*v328*/, v2 /*v258*/, v138 /*v394*/
	v_add3_u32 v159, v80 /*v336*/, v32 /*v288*/, v139 /*v395*/
	;; [unrolled: 1-line block ×10, first 2 shown]
	s_set_vgpr_msb 0x55                     ;  msbs: dst=1 src0=1 src1=1 src2=1
	v_add3_u32 v2 /*v258*/, v100 /*v356*/, v103 /*v359*/, v108 /*v364*/
	v_add3_u32 v12 /*v268*/, v144 /*v400*/, v128 /*v384*/, v129 /*v385*/
	v_add3_u32 v18 /*v274*/, v127 /*v383*/, v126 /*v382*/, v133 /*v389*/
	v_mul_i32_i24_e32 v9 /*v265*/, v112 /*v368*/, v156 /*v412*/
	v_mul_i32_i24_e32 v10 /*v266*/, v112 /*v368*/, v155 /*v411*/
	v_add3_u32 v102 /*v358*/, v125 /*v381*/, v25 /*v281*/, v86 /*v342*/
	v_mul_i32_i24_e32 v66 /*v322*/, v163 /*v419*/, v150 /*v406*/
	v_mul_i32_i24_e32 v85 /*v341*/, v83 /*v339*/, v180 /*v436*/
	;; [unrolled: 1-line block ×8, first 2 shown]
	s_set_vgpr_msb 0                        ;  msbs: dst=0 src0=0 src1=0 src2=0
	ds_load_b32 v96, v199
	ds_load_b32 v100, v200
	;; [unrolled: 1-line block ×3, first 2 shown]
	s_set_vgpr_msb 64                       ;  msbs: dst=1 src0=0 src1=0 src2=0
	ds_load_b32 v146 /*v402*/, v201
	s_set_vgpr_msb 21                       ;  msbs: dst=0 src0=1 src1=1 src2=1
	v_add3_u32 v248, v143 /*v399*/, v123 /*v379*/, v124 /*v380*/
	s_set_vgpr_msb 0                        ;  msbs: dst=0 src0=0 src1=0 src2=0
	v_add3_u32 v117, v117, v120, v122
	v_add3_u32 v97, v102, v97, v99
	;; [unrolled: 1-line block ×15, first 2 shown]
	s_set_vgpr_msb 20                       ;  msbs: dst=0 src0=0 src1=1 src2=1
	v_add3_u32 v133, v159, v3 /*v259*/, v5 /*v261*/
	v_add3_u32 v135, v208, v13 /*v269*/, v17 /*v273*/
	;; [unrolled: 1-line block ×9, first 2 shown]
	s_set_vgpr_msb 21                       ;  msbs: dst=0 src0=1 src1=1 src2=1
	v_add3_u32 v153, v12 /*v268*/, v115 /*v371*/, v118 /*v374*/
	v_add3_u32 v156, v2 /*v258*/, v106 /*v362*/, v117 /*v373*/
	;; [unrolled: 1-line block ×3, first 2 shown]
	s_set_vgpr_msb 0x55                     ;  msbs: dst=1 src0=1 src1=1 src2=1
	v_mul_i32_i24_e32 v25 /*v281*/, v162 /*v418*/, v151 /*v407*/
	v_mul_i32_i24_e32 v50 /*v306*/, v173 /*v429*/, v149 /*v405*/
	;; [unrolled: 1-line block ×3, first 2 shown]
	v_add3_u32 v142 /*v398*/, v142 /*v398*/, v148 /*v404*/, v145 /*v401*/
	s_set_vgpr_msb 20                       ;  msbs: dst=0 src0=0 src1=1 src2=1
	v_add3_u32 v145, v248, v92 /*v348*/, v97 /*v353*/
	s_set_vgpr_msb 0                        ;  msbs: dst=0 src0=0 src1=0 src2=0
	v_add3_u32 v105, v117, v105, v106
	v_cvt_f32_i32_e32 v102, v97
	v_add3_u32 v97, v99, v114, v116
	v_add3_u32 v99, v103, v118, v119
	;; [unrolled: 1-line block ×14, first 2 shown]
	s_set_vgpr_msb 16                       ;  msbs: dst=0 src0=0 src1=0 src2=1
	v_add3_u32 v121, v136, v254, v0 /*v256*/
	v_add3_u32 v122, v135, v255, v1 /*v257*/
	s_set_vgpr_msb 20                       ;  msbs: dst=0 src0=0 src1=1 src2=1
	v_add3_u32 v123, v138, v7 /*v263*/, v9 /*v265*/
	v_add3_u32 v124, v137, v8 /*v264*/, v10 /*v266*/
	;; [unrolled: 1-line block ×9, first 2 shown]
	s_set_vgpr_msb 0x45                     ;  msbs: dst=1 src0=1 src1=1 src2=0
	v_mul_i32_i24_e32 v42 /*v298*/, v157 /*v413*/, v93 /*v349*/
	v_mul_i32_i24_e32 v43 /*v299*/, v166 /*v422*/, v93 /*v349*/
	s_set_vgpr_msb 0                        ;  msbs: dst=0 src0=0 src1=0 src2=0
	v_pk_mul_f32 v[94:95], v[94:95], s[10:11] op_sel_hi:[1,0]
	s_set_vgpr_msb 21                       ;  msbs: dst=0 src0=1 src1=1 src2=1
	v_add3_u32 v224, v79 /*v335*/, v19 /*v275*/, v20 /*v276*/
	s_set_vgpr_msb 0x55                     ;  msbs: dst=1 src0=1 src1=1 src2=1
	v_add3_u32 v14 /*v270*/, v102 /*v358*/, v105 /*v361*/, v116 /*v372*/
	v_add3_u32 v16 /*v272*/, v142 /*v398*/, v130 /*v386*/, v131 /*v387*/
	s_set_vgpr_msb 20                       ;  msbs: dst=0 src0=0 src1=1 src2=1
	v_add3_u32 v130, v145, v76 /*v332*/, v110 /*v366*/
	s_set_vgpr_msb 0                        ;  msbs: dst=0 src0=0 src1=0 src2=0
	v_add3_u32 v101, v105, v101, v104
	v_add3_u32 v97, v97, v109, v110
	v_cvt_f32_i32_e32 v104, v99
	v_add3_u32 v99, v103, v112, v115
	v_add3_u32 v132, v107, v132, v134
	v_cvt_f32_i32_e32 v109, v111
	v_cvt_f32_i32_e32 v108, v108
	;; [unrolled: 1-line block ×5, first 2 shown]
	v_add3_u32 v134, v114, v147, v148
	v_add3_u32 v139, v119, v226, v227
	v_cvt_f32_i32_e32 v115, v122
	v_cvt_f32_i32_e32 v114, v121
	;; [unrolled: 1-line block ×5, first 2 shown]
	v_add3_u32 v126, v120, v235, v236
	s_set_vgpr_msb 20                       ;  msbs: dst=0 src0=0 src1=1 src2=1
	v_add3_u32 v127, v127, v4 /*v260*/, v6 /*v262*/
	v_cvt_f32_i32_e32 v120, v129
	v_cvt_f32_i32_e32 v123, v135
	;; [unrolled: 1-line block ×3, first 2 shown]
	v_add3_u32 v128, v128, v24 /*v280*/, v25 /*v281*/
	v_add3_u32 v129, v138, v50 /*v306*/, v56 /*v312*/
	s_set_vgpr_msb 0x45                     ;  msbs: dst=1 src0=1 src1=1 src2=0
	v_mul_i32_i24_e32 v23 /*v279*/, v114 /*v370*/, v156 /*v412*/
	v_mul_i32_i24_e32 v93 /*v349*/, v94 /*v350*/, v180 /*v436*/
	;; [unrolled: 1-line block ×4, first 2 shown]
	s_set_vgpr_msb 20                       ;  msbs: dst=0 src0=0 src1=1 src2=1
	v_cvt_f32_i32_e32 v131, v131
	v_add3_u32 v140, v224, v46 /*v302*/, v49 /*v305*/
	s_set_vgpr_msb 21                       ;  msbs: dst=0 src0=1 src1=1 src2=1
	v_add3_u32 v157, v16 /*v272*/, v121 /*v377*/, v125 /*v381*/
	v_add3_u32 v158, v14 /*v270*/, v119 /*v375*/, v122 /*v378*/
	s_set_vgpr_msb 0                        ;  msbs: dst=0 src0=0 src1=0 src2=0
	v_cvt_f32_i32_e32 v106, v106
	v_cvt_f32_i32_e32 v121, v130
	;; [unrolled: 1-line block ×6, first 2 shown]
	v_pk_fma_f32 v[108:109], v[80:81], v[108:109], v[90:91] neg_lo:[0,0,1] neg_hi:[0,0,1]
	v_pk_fma_f32 v[110:111], v[80:81], v[110:111], v[90:91] neg_lo:[0,0,1] neg_hi:[0,0,1]
	v_add3_u32 v97, v139, v214, v217
	v_add3_u32 v99, v134, v213, v215
	v_pk_fma_f32 v[114:115], v[82:83], v[114:115], v[92:93] neg_lo:[0,0,1] neg_hi:[0,0,1]
	v_pk_fma_f32 v[116:117], v[82:83], v[116:117], v[92:93] neg_lo:[0,0,1] neg_hi:[0,0,1]
	v_add3_u32 v101, v127, v251, v253
	v_add3_u32 v126, v126, v250, v252
	v_pk_fma_f32 v[122:123], v[84:85], v[122:123], v[94:95] neg_lo:[0,0,1] neg_hi:[0,0,1]
	s_set_vgpr_msb 20                       ;  msbs: dst=0 src0=0 src1=1 src2=1
	v_add3_u32 v127, v129, v43 /*v299*/, v51 /*v307*/
	v_add3_u32 v128, v128, v42 /*v298*/, v47 /*v303*/
	;; [unrolled: 1-line block ×5, first 2 shown]
	s_set_vgpr_msb 0                        ;  msbs: dst=0 src0=0 src1=0 src2=0
	v_pk_fma_f32 v[102:103], v[86:87], v[102:103], v[88:89] neg_lo:[0,0,1] neg_hi:[0,0,1]
	v_pk_fma_f32 v[104:105], v[86:87], v[104:105], v[88:89] neg_lo:[0,0,1] neg_hi:[0,0,1]
	;; [unrolled: 1-line block ×4, first 2 shown]
	s_wait_dscnt 0x3
	v_pk_fma_f32 v[26:27], v[96:97], v[108:109], v[26:27] op_sel_hi:[0,1,1]
	s_wait_dscnt 0x2
	v_pk_fma_f32 v[24:25], v[100:101], v[110:111], v[24:25] op_sel_hi:[0,1,1]
	v_add3_u32 v88, v99, v161, v163
	v_add3_u32 v89, v97, v162, v204
	v_pk_fma_f32 v[14:15], v[96:97], v[114:115], v[14:15] op_sel_hi:[0,1,1]
	v_pk_fma_f32 v[12:13], v[100:101], v[116:117], v[12:13] op_sel_hi:[0,1,1]
	s_set_vgpr_msb 16                       ;  msbs: dst=0 src0=0 src1=0 src2=1
	v_add3_u32 v97, v126, v244, v40 /*v296*/
	v_add3_u32 v99, v101, v245, v41 /*v297*/
	s_set_vgpr_msb 0                        ;  msbs: dst=0 src0=0 src1=0 src2=0
	v_pk_fma_f32 v[4:5], v[100:101], v[122:123], v[4:5] op_sel_hi:[0,1,1]
	s_set_vgpr_msb 20                       ;  msbs: dst=0 src0=0 src1=1 src2=1
	v_add3_u32 v101, v128, v35 /*v291*/, v44 /*v300*/
	v_add3_u32 v110, v127, v36 /*v292*/, v45 /*v301*/
	v_cvt_f32_i32_e32 v113, v118
	v_cvt_f32_i32_e32 v118, v125
	v_cvt_f32_i32_e32 v125, v137
	v_cvt_f32_i32_e32 v124, v136
	v_cvt_f32_i32_e32 v89, v89
	v_cvt_f32_i32_e32 v88, v88
	v_cvt_f32_i32_e32 v109, v99
	v_cvt_f32_i32_e32 v108, v97
	v_cvt_f32_i32_e32 v111, v110
	v_cvt_f32_i32_e32 v110, v101
	s_set_vgpr_msb 0                        ;  msbs: dst=0 src0=0 src1=0 src2=0
	v_pk_fma_f32 v[112:113], v[80:81], v[112:113], v[90:91] neg_lo:[0,0,1] neg_hi:[0,0,1]
	v_pk_fma_f32 v[118:119], v[82:83], v[118:119], v[92:93] neg_lo:[0,0,1] neg_hi:[0,0,1]
	;; [unrolled: 1-line block ×7, first 2 shown]
	v_dual_add_nc_u32 v203, 16, v203 :: v_dual_add_nc_u32 v202, 4, v202
	v_dual_add_nc_u32 v201, 4, v201 :: v_dual_add_nc_u32 v200, 4, v200
	v_add_nc_u32_e32 v199, 4, v199
	s_wait_dscnt 0x0
	s_set_vgpr_msb 1                        ;  msbs: dst=0 src0=1 src1=0 src2=0
	v_pk_fma_f32 v[22:23], v[146:147] /*v[402:403]*/, v[112:113], v[22:23] op_sel_hi:[0,1,1]
	v_pk_fma_f32 v[10:11], v[146:147] /*v[402:403]*/, v[118:119], v[10:11] op_sel_hi:[0,1,1]
	s_set_vgpr_msb 0                        ;  msbs: dst=0 src0=0 src1=0 src2=0
	v_pk_fma_f32 v[6:7], v[96:97], v[120:121], v[6:7] op_sel_hi:[0,1,1]
	s_set_vgpr_msb 1                        ;  msbs: dst=0 src0=1 src1=0 src2=0
	v_pk_fma_f32 v[2:3], v[146:147] /*v[402:403]*/, v[124:125], v[2:3] op_sel_hi:[0,1,1]
	s_set_vgpr_msb 0                        ;  msbs: dst=0 src0=0 src1=0 src2=0
	v_pk_fma_f32 v[36:37], v[96:97], v[102:103], v[36:37] op_sel_hi:[0,1,1]
	v_pk_fma_f32 v[34:35], v[100:101], v[104:105], v[34:35] op_sel_hi:[0,1,1]
	s_set_vgpr_msb 1                        ;  msbs: dst=0 src0=1 src1=0 src2=0
	v_pk_fma_f32 v[32:33], v[146:147] /*v[402:403]*/, v[106:107], v[32:33] op_sel_hi:[0,1,1]
	s_set_vgpr_msb 0                        ;  msbs: dst=0 src0=0 src1=0 src2=0
	v_pk_fma_f32 v[28:29], v[98:99], v[86:87], v[28:29] op_sel_hi:[0,1,1]
	v_pk_fma_f32 v[20:21], v[98:99], v[80:81], v[20:21] op_sel_hi:[0,1,1]
	;; [unrolled: 1-line block ×4, first 2 shown]
	s_cbranch_scc1 .LBB158_12
; %bb.13:                               ;   in Loop: Header=BB158_7 Depth=1
	s_barrier_signal -1
	s_barrier_wait -1
	s_branch .LBB158_6
.LBB158_14:
	v_dual_mov_b32 v16, v17 :: v_dual_mov_b32 v18, v31
	s_mov_b32 s0, exec_lo
	v_cmpx_gt_u32_e64 s6, v41
	s_cbranch_execz .LBB158_3
.LBB158_15:
	v_mul_lo_u32 v31, v41, s11
	v_add_nc_u32_e32 v17, s15, v18
	s_delay_alu instid0(VALU_DEP_1)
	v_cmp_gt_u32_e32 vcc_lo, s11, v17
	s_and_saveexec_b32 s1, vcc_lo
	s_cbranch_execz .LBB158_17
; %bb.16:
	v_bfe_u32 v18, v36, 16, 1
	v_cmp_o_f32_e64 s0, v36, v36
	v_add_nc_u32_e32 v19, v17, v31
	s_delay_alu instid0(VALU_DEP_3) | instskip(NEXT) | instid1(VALU_DEP_1)
	v_add3_u32 v18, v36, v18, 0x7fff
	v_lshrrev_b32_e32 v18, 16, v18
	s_delay_alu instid0(VALU_DEP_1)
	v_cndmask_b32_e64 v18, 0x7fc0, v18, s0
	s_wait_kmcnt 0x0
	global_store_b16 v19, v18, s[8:9] scale_offset
.LBB158_17:
	s_wait_xcnt 0x0
	s_or_b32 exec_lo, exec_lo, s1
	v_add_nc_u32_e32 v18, 32, v17
	s_delay_alu instid0(VALU_DEP_1)
	v_cmp_gt_u32_e64 s0, s11, v18
	s_and_saveexec_b32 s2, s0
	s_cbranch_execz .LBB158_19
; %bb.18:
	v_bfe_u32 v19, v34, 16, 1
	v_cmp_o_f32_e64 s1, v34, v34
	v_add_nc_u32_e32 v30, v18, v31
	s_delay_alu instid0(VALU_DEP_3) | instskip(NEXT) | instid1(VALU_DEP_1)
	v_add3_u32 v19, v34, v19, 0x7fff
	v_lshrrev_b32_e32 v19, 16, v19
	s_delay_alu instid0(VALU_DEP_1)
	v_cndmask_b32_e64 v19, 0x7fc0, v19, s1
	s_wait_kmcnt 0x0
	global_store_b16 v30, v19, s[8:9] scale_offset
.LBB158_19:
	s_wait_xcnt 0x0
	s_or_b32 exec_lo, exec_lo, s2
	v_add_nc_u32_e32 v19, 64, v17
	s_delay_alu instid0(VALU_DEP_1)
	v_cmp_gt_u32_e64 s1, s11, v19
	s_and_saveexec_b32 s3, s1
	s_cbranch_execz .LBB158_21
; %bb.20:
	v_bfe_u32 v30, v32, 16, 1
	v_cmp_o_f32_e64 s2, v32, v32
	s_delay_alu instid0(VALU_DEP_2) | instskip(NEXT) | instid1(VALU_DEP_1)
	v_add3_u32 v30, v32, v30, 0x7fff
	v_dual_add_nc_u32 v32, v19, v31 :: v_dual_lshrrev_b32 v30, 16, v30
	s_delay_alu instid0(VALU_DEP_1)
	v_cndmask_b32_e64 v30, 0x7fc0, v30, s2
	s_wait_kmcnt 0x0
	global_store_b16 v32, v30, s[8:9] scale_offset
.LBB158_21:
	s_wait_xcnt 0x0
	s_or_b32 exec_lo, exec_lo, s3
	v_add_nc_u32_e32 v30, 0x60, v17
	s_delay_alu instid0(VALU_DEP_1)
	v_cmp_gt_u32_e64 s2, s11, v30
	s_and_saveexec_b32 s4, s2
	s_cbranch_execz .LBB158_23
; %bb.22:
	v_bfe_u32 v32, v28, 16, 1
	v_cmp_o_f32_e64 s3, v28, v28
	v_add_nc_u32_e32 v31, v30, v31
	s_delay_alu instid0(VALU_DEP_3) | instskip(NEXT) | instid1(VALU_DEP_1)
	v_add3_u32 v32, v28, v32, 0x7fff
	v_lshrrev_b32_e32 v32, 16, v32
	s_delay_alu instid0(VALU_DEP_1)
	v_cndmask_b32_e64 v28, 0x7fc0, v32, s3
	s_wait_kmcnt 0x0
	global_store_b16 v31, v28, s[8:9] scale_offset
.LBB158_23:
	s_wait_xcnt 0x0
	s_or_b32 exec_lo, exec_lo, s4
	v_add3_u32 v28, v16, s14, 8
	s_delay_alu instid0(VALU_DEP_1)
	v_cmp_gt_u32_e64 s3, s6, v28
	s_and_b32 exec_lo, exec_lo, s3
	s_cbranch_execz .LBB158_3
; %bb.24:
	v_mul_lo_u32 v28, v28, s11
	s_and_saveexec_b32 s4, vcc_lo
	s_cbranch_execnz .LBB158_64
; %bb.25:
	s_or_b32 exec_lo, exec_lo, s4
	s_and_saveexec_b32 s4, s0
	s_cbranch_execnz .LBB158_65
.LBB158_26:
	s_or_b32 exec_lo, exec_lo, s4
	s_and_saveexec_b32 s4, s1
	s_cbranch_execnz .LBB158_66
.LBB158_27:
	s_or_b32 exec_lo, exec_lo, s4
	s_and_saveexec_b32 s4, s2
	s_cbranch_execz .LBB158_29
.LBB158_28:
	v_bfe_u32 v31, v29, 16, 1
	v_cmp_o_f32_e64 s3, v29, v29
	v_add_nc_u32_e32 v28, v28, v30
	s_delay_alu instid0(VALU_DEP_3) | instskip(NEXT) | instid1(VALU_DEP_1)
	v_add3_u32 v31, v29, v31, 0x7fff
	v_lshrrev_b32_e32 v31, 16, v31
	s_delay_alu instid0(VALU_DEP_1)
	v_cndmask_b32_e64 v29, 0x7fc0, v31, s3
	s_wait_kmcnt 0x0
	global_store_b16 v28, v29, s[8:9] scale_offset
.LBB158_29:
	s_wait_xcnt 0x0
	s_or_b32 exec_lo, exec_lo, s4
	v_add3_u32 v28, v16, s14, 16
	s_delay_alu instid0(VALU_DEP_1)
	v_cmp_gt_u32_e64 s3, s6, v28
	s_and_b32 exec_lo, exec_lo, s3
	s_cbranch_execz .LBB158_3
; %bb.30:
	v_mul_lo_u32 v28, v28, s11
	s_and_saveexec_b32 s4, vcc_lo
	s_cbranch_execnz .LBB158_67
; %bb.31:
	s_or_b32 exec_lo, exec_lo, s4
	s_and_saveexec_b32 s4, s0
	s_cbranch_execnz .LBB158_68
.LBB158_32:
	s_or_b32 exec_lo, exec_lo, s4
	s_and_saveexec_b32 s4, s1
	s_cbranch_execnz .LBB158_69
.LBB158_33:
	s_or_b32 exec_lo, exec_lo, s4
	s_and_saveexec_b32 s4, s2
	s_cbranch_execz .LBB158_35
.LBB158_34:
	v_bfe_u32 v22, v20, 16, 1
	v_cmp_o_f32_e64 s3, v20, v20
	s_delay_alu instid0(VALU_DEP_2) | instskip(NEXT) | instid1(VALU_DEP_1)
	v_add3_u32 v22, v20, v22, 0x7fff
	v_lshrrev_b32_e32 v22, 16, v22
	s_delay_alu instid0(VALU_DEP_1)
	v_cndmask_b32_e64 v20, 0x7fc0, v22, s3
	v_add_nc_u32_e32 v22, v28, v30
	s_wait_kmcnt 0x0
	global_store_b16 v22, v20, s[8:9] scale_offset
.LBB158_35:
	s_wait_xcnt 0x0
	s_or_b32 exec_lo, exec_lo, s4
	v_add3_u32 v20, v16, s14, 24
	s_delay_alu instid0(VALU_DEP_1)
	v_cmp_gt_u32_e64 s3, s6, v20
	s_and_b32 exec_lo, exec_lo, s3
	s_cbranch_execz .LBB158_3
; %bb.36:
	v_mul_lo_u32 v20, v20, s11
	s_and_saveexec_b32 s4, vcc_lo
	s_cbranch_execnz .LBB158_70
; %bb.37:
	s_or_b32 exec_lo, exec_lo, s4
	s_and_saveexec_b32 s4, s0
	s_cbranch_execnz .LBB158_71
.LBB158_38:
	s_or_b32 exec_lo, exec_lo, s4
	s_and_saveexec_b32 s4, s1
	s_cbranch_execnz .LBB158_72
.LBB158_39:
	s_or_b32 exec_lo, exec_lo, s4
	s_and_saveexec_b32 s4, s2
	s_cbranch_execz .LBB158_41
.LBB158_40:
	v_bfe_u32 v22, v21, 16, 1
	v_cmp_o_f32_e64 s3, v21, v21
	v_add_nc_u32_e32 v20, v20, v30
	s_delay_alu instid0(VALU_DEP_3) | instskip(NEXT) | instid1(VALU_DEP_1)
	v_add3_u32 v22, v21, v22, 0x7fff
	v_lshrrev_b32_e32 v22, 16, v22
	s_delay_alu instid0(VALU_DEP_1)
	v_cndmask_b32_e64 v21, 0x7fc0, v22, s3
	s_wait_kmcnt 0x0
	global_store_b16 v20, v21, s[8:9] scale_offset
.LBB158_41:
	s_wait_xcnt 0x0
	s_or_b32 exec_lo, exec_lo, s4
	v_add3_u32 v20, v16, s14, 32
	s_delay_alu instid0(VALU_DEP_1)
	v_cmp_gt_u32_e64 s3, s6, v20
	s_and_b32 exec_lo, exec_lo, s3
	s_cbranch_execz .LBB158_3
; %bb.42:
	v_mul_lo_u32 v20, v20, s11
	s_and_saveexec_b32 s4, vcc_lo
	s_cbranch_execnz .LBB158_73
; %bb.43:
	s_or_b32 exec_lo, exec_lo, s4
	s_and_saveexec_b32 s4, s0
	s_cbranch_execnz .LBB158_74
.LBB158_44:
	s_or_b32 exec_lo, exec_lo, s4
	s_and_saveexec_b32 s4, s1
	s_cbranch_execnz .LBB158_75
.LBB158_45:
	s_or_b32 exec_lo, exec_lo, s4
	s_and_saveexec_b32 s4, s2
	s_cbranch_execz .LBB158_47
.LBB158_46:
	v_bfe_u32 v10, v8, 16, 1
	v_cmp_o_f32_e64 s3, v8, v8
	s_delay_alu instid0(VALU_DEP_2) | instskip(NEXT) | instid1(VALU_DEP_1)
	v_add3_u32 v10, v8, v10, 0x7fff
	v_lshrrev_b32_e32 v10, 16, v10
	s_delay_alu instid0(VALU_DEP_1)
	v_cndmask_b32_e64 v8, 0x7fc0, v10, s3
	v_add_nc_u32_e32 v10, v20, v30
	s_wait_kmcnt 0x0
	global_store_b16 v10, v8, s[8:9] scale_offset
.LBB158_47:
	s_wait_xcnt 0x0
	s_or_b32 exec_lo, exec_lo, s4
	v_add3_u32 v8, v16, s14, 40
	s_delay_alu instid0(VALU_DEP_1)
	v_cmp_gt_u32_e64 s3, s6, v8
	s_and_b32 exec_lo, exec_lo, s3
	s_cbranch_execz .LBB158_3
; %bb.48:
	v_mul_lo_u32 v8, v8, s11
	s_and_saveexec_b32 s4, vcc_lo
	s_cbranch_execnz .LBB158_76
; %bb.49:
	s_or_b32 exec_lo, exec_lo, s4
	s_and_saveexec_b32 s4, s0
	s_cbranch_execnz .LBB158_77
.LBB158_50:
	s_or_b32 exec_lo, exec_lo, s4
	s_and_saveexec_b32 s4, s1
	s_cbranch_execnz .LBB158_78
.LBB158_51:
	s_or_b32 exec_lo, exec_lo, s4
	s_and_saveexec_b32 s4, s2
	s_cbranch_execz .LBB158_53
.LBB158_52:
	v_bfe_u32 v10, v9, 16, 1
	v_cmp_o_f32_e64 s3, v9, v9
	v_add_nc_u32_e32 v8, v8, v30
	s_delay_alu instid0(VALU_DEP_3) | instskip(NEXT) | instid1(VALU_DEP_1)
	v_add3_u32 v10, v9, v10, 0x7fff
	v_lshrrev_b32_e32 v10, 16, v10
	s_delay_alu instid0(VALU_DEP_1)
	v_cndmask_b32_e64 v9, 0x7fc0, v10, s3
	s_wait_kmcnt 0x0
	global_store_b16 v8, v9, s[8:9] scale_offset
.LBB158_53:
	s_wait_xcnt 0x0
	s_or_b32 exec_lo, exec_lo, s4
	v_add3_u32 v8, v16, s14, 48
	s_delay_alu instid0(VALU_DEP_1)
	v_cmp_gt_u32_e64 s3, s6, v8
	s_and_b32 exec_lo, exec_lo, s3
	s_cbranch_execz .LBB158_3
; %bb.54:
	v_mul_lo_u32 v8, v8, s11
	s_and_saveexec_b32 s4, vcc_lo
	s_cbranch_execnz .LBB158_79
; %bb.55:
	s_or_b32 exec_lo, exec_lo, s4
	s_and_saveexec_b32 s4, s0
	s_cbranch_execnz .LBB158_80
.LBB158_56:
	s_or_b32 exec_lo, exec_lo, s4
	s_and_saveexec_b32 s4, s1
	s_cbranch_execnz .LBB158_81
.LBB158_57:
	s_or_b32 exec_lo, exec_lo, s4
	s_and_saveexec_b32 s4, s2
	s_cbranch_execz .LBB158_59
.LBB158_58:
	v_bfe_u32 v2, v0, 16, 1
	v_cmp_o_f32_e64 s3, v0, v0
	s_delay_alu instid0(VALU_DEP_2) | instskip(NEXT) | instid1(VALU_DEP_1)
	v_add3_u32 v2, v0, v2, 0x7fff
	v_lshrrev_b32_e32 v2, 16, v2
	s_delay_alu instid0(VALU_DEP_1)
	v_cndmask_b32_e64 v0, 0x7fc0, v2, s3
	v_add_nc_u32_e32 v2, v8, v30
	s_wait_kmcnt 0x0
	global_store_b16 v2, v0, s[8:9] scale_offset
.LBB158_59:
	s_wait_xcnt 0x0
	s_or_b32 exec_lo, exec_lo, s4
	v_add3_u32 v0, v16, s14, 56
	s_delay_alu instid0(VALU_DEP_1)
	v_cmp_gt_u32_e64 s3, s6, v0
	s_and_b32 exec_lo, exec_lo, s3
	s_cbranch_execz .LBB158_3
; %bb.60:
	v_mul_lo_u32 v0, v0, s11
	s_and_saveexec_b32 s3, vcc_lo
	s_cbranch_execnz .LBB158_82
; %bb.61:
	s_or_b32 exec_lo, exec_lo, s3
	s_and_saveexec_b32 s3, s0
	s_cbranch_execnz .LBB158_83
.LBB158_62:
	s_or_b32 exec_lo, exec_lo, s3
	s_and_saveexec_b32 s0, s1
	s_cbranch_execnz .LBB158_84
.LBB158_63:
	s_or_b32 exec_lo, exec_lo, s0
	s_delay_alu instid0(SALU_CYCLE_1)
	s_and_b32 exec_lo, exec_lo, s2
	s_cbranch_execz .LBB158_3
	s_branch .LBB158_85
.LBB158_64:
	v_bfe_u32 v31, v37, 16, 1
	v_cmp_o_f32_e64 s3, v37, v37
	s_delay_alu instid0(VALU_DEP_3) | instskip(NEXT) | instid1(VALU_DEP_3)
	v_add_nc_u32_e32 v32, v28, v17
	v_add3_u32 v31, v37, v31, 0x7fff
	s_delay_alu instid0(VALU_DEP_1) | instskip(NEXT) | instid1(VALU_DEP_1)
	v_lshrrev_b32_e32 v31, 16, v31
	v_cndmask_b32_e64 v31, 0x7fc0, v31, s3
	s_wait_kmcnt 0x0
	global_store_b16 v32, v31, s[8:9] scale_offset
	s_wait_xcnt 0x0
	s_or_b32 exec_lo, exec_lo, s4
	s_and_saveexec_b32 s4, s0
	s_cbranch_execz .LBB158_26
.LBB158_65:
	v_bfe_u32 v31, v35, 16, 1
	v_cmp_o_f32_e64 s3, v35, v35
	s_delay_alu instid0(VALU_DEP_3) | instskip(NEXT) | instid1(VALU_DEP_3)
	v_add_nc_u32_e32 v32, v28, v18
	v_add3_u32 v31, v35, v31, 0x7fff
	s_delay_alu instid0(VALU_DEP_1) | instskip(NEXT) | instid1(VALU_DEP_1)
	v_lshrrev_b32_e32 v31, 16, v31
	v_cndmask_b32_e64 v31, 0x7fc0, v31, s3
	s_wait_kmcnt 0x0
	global_store_b16 v32, v31, s[8:9] scale_offset
	s_wait_xcnt 0x0
	s_or_b32 exec_lo, exec_lo, s4
	s_and_saveexec_b32 s4, s1
	s_cbranch_execz .LBB158_27
.LBB158_66:
	v_bfe_u32 v31, v33, 16, 1
	v_cmp_o_f32_e64 s3, v33, v33
	v_add_nc_u32_e32 v32, v28, v19
	s_delay_alu instid0(VALU_DEP_3) | instskip(NEXT) | instid1(VALU_DEP_1)
	v_add3_u32 v31, v33, v31, 0x7fff
	v_lshrrev_b32_e32 v31, 16, v31
	s_delay_alu instid0(VALU_DEP_1)
	v_cndmask_b32_e64 v31, 0x7fc0, v31, s3
	s_wait_kmcnt 0x0
	global_store_b16 v32, v31, s[8:9] scale_offset
	s_wait_xcnt 0x0
	s_or_b32 exec_lo, exec_lo, s4
	s_and_saveexec_b32 s4, s2
	s_cbranch_execnz .LBB158_28
	s_branch .LBB158_29
.LBB158_67:
	v_bfe_u32 v29, v26, 16, 1
	v_cmp_o_f32_e64 s3, v26, v26
	s_delay_alu instid0(VALU_DEP_2) | instskip(NEXT) | instid1(VALU_DEP_1)
	v_add3_u32 v29, v26, v29, 0x7fff
	v_lshrrev_b32_e32 v29, 16, v29
	s_delay_alu instid0(VALU_DEP_1)
	v_cndmask_b32_e64 v26, 0x7fc0, v29, s3
	v_add_nc_u32_e32 v29, v28, v17
	s_wait_kmcnt 0x0
	global_store_b16 v29, v26, s[8:9] scale_offset
	s_wait_xcnt 0x0
	s_or_b32 exec_lo, exec_lo, s4
	s_and_saveexec_b32 s4, s0
	s_cbranch_execz .LBB158_32
.LBB158_68:
	v_bfe_u32 v26, v24, 16, 1
	v_cmp_o_f32_e64 s3, v24, v24
	s_delay_alu instid0(VALU_DEP_2) | instskip(NEXT) | instid1(VALU_DEP_1)
	v_add3_u32 v26, v24, v26, 0x7fff
	v_lshrrev_b32_e32 v26, 16, v26
	s_delay_alu instid0(VALU_DEP_1)
	v_cndmask_b32_e64 v24, 0x7fc0, v26, s3
	v_add_nc_u32_e32 v26, v28, v18
	s_wait_kmcnt 0x0
	global_store_b16 v26, v24, s[8:9] scale_offset
	s_wait_xcnt 0x0
	s_or_b32 exec_lo, exec_lo, s4
	s_and_saveexec_b32 s4, s1
	s_cbranch_execz .LBB158_33
.LBB158_69:
	v_bfe_u32 v24, v22, 16, 1
	v_cmp_o_f32_e64 s3, v22, v22
	s_delay_alu instid0(VALU_DEP_2) | instskip(NEXT) | instid1(VALU_DEP_1)
	v_add3_u32 v24, v22, v24, 0x7fff
	v_lshrrev_b32_e32 v24, 16, v24
	s_delay_alu instid0(VALU_DEP_1)
	v_cndmask_b32_e64 v22, 0x7fc0, v24, s3
	v_add_nc_u32_e32 v24, v28, v19
	s_wait_kmcnt 0x0
	global_store_b16 v24, v22, s[8:9] scale_offset
	s_wait_xcnt 0x0
	s_or_b32 exec_lo, exec_lo, s4
	s_and_saveexec_b32 s4, s2
	s_cbranch_execnz .LBB158_34
	s_branch .LBB158_35
.LBB158_70:
	v_bfe_u32 v22, v27, 16, 1
	v_cmp_o_f32_e64 s3, v27, v27
	s_delay_alu instid0(VALU_DEP_3) | instskip(NEXT) | instid1(VALU_DEP_3)
	v_add_nc_u32_e32 v24, v20, v17
	v_add3_u32 v22, v27, v22, 0x7fff
	s_delay_alu instid0(VALU_DEP_1) | instskip(NEXT) | instid1(VALU_DEP_1)
	v_lshrrev_b32_e32 v22, 16, v22
	v_cndmask_b32_e64 v22, 0x7fc0, v22, s3
	s_wait_kmcnt 0x0
	global_store_b16 v24, v22, s[8:9] scale_offset
	s_wait_xcnt 0x0
	s_or_b32 exec_lo, exec_lo, s4
	s_and_saveexec_b32 s4, s0
	s_cbranch_execz .LBB158_38
.LBB158_71:
	v_bfe_u32 v22, v25, 16, 1
	v_cmp_o_f32_e64 s3, v25, v25
	s_delay_alu instid0(VALU_DEP_3) | instskip(NEXT) | instid1(VALU_DEP_3)
	v_add_nc_u32_e32 v24, v20, v18
	v_add3_u32 v22, v25, v22, 0x7fff
	s_delay_alu instid0(VALU_DEP_1) | instskip(NEXT) | instid1(VALU_DEP_1)
	v_lshrrev_b32_e32 v22, 16, v22
	v_cndmask_b32_e64 v22, 0x7fc0, v22, s3
	s_wait_kmcnt 0x0
	global_store_b16 v24, v22, s[8:9] scale_offset
	s_wait_xcnt 0x0
	s_or_b32 exec_lo, exec_lo, s4
	s_and_saveexec_b32 s4, s1
	s_cbranch_execz .LBB158_39
.LBB158_72:
	v_bfe_u32 v22, v23, 16, 1
	v_cmp_o_f32_e64 s3, v23, v23
	s_delay_alu instid0(VALU_DEP_2) | instskip(NEXT) | instid1(VALU_DEP_1)
	v_add3_u32 v22, v23, v22, 0x7fff
	v_dual_add_nc_u32 v23, v20, v19 :: v_dual_lshrrev_b32 v22, 16, v22
	s_delay_alu instid0(VALU_DEP_1)
	v_cndmask_b32_e64 v22, 0x7fc0, v22, s3
	s_wait_kmcnt 0x0
	global_store_b16 v23, v22, s[8:9] scale_offset
	s_wait_xcnt 0x0
	s_or_b32 exec_lo, exec_lo, s4
	s_and_saveexec_b32 s4, s2
	s_cbranch_execnz .LBB158_40
	s_branch .LBB158_41
.LBB158_73:
	v_bfe_u32 v21, v14, 16, 1
	v_cmp_o_f32_e64 s3, v14, v14
	s_delay_alu instid0(VALU_DEP_2) | instskip(NEXT) | instid1(VALU_DEP_1)
	v_add3_u32 v21, v14, v21, 0x7fff
	v_lshrrev_b32_e32 v21, 16, v21
	s_delay_alu instid0(VALU_DEP_1)
	v_cndmask_b32_e64 v14, 0x7fc0, v21, s3
	v_add_nc_u32_e32 v21, v20, v17
	s_wait_kmcnt 0x0
	global_store_b16 v21, v14, s[8:9] scale_offset
	s_wait_xcnt 0x0
	s_or_b32 exec_lo, exec_lo, s4
	s_and_saveexec_b32 s4, s0
	s_cbranch_execz .LBB158_44
.LBB158_74:
	v_bfe_u32 v14, v12, 16, 1
	v_cmp_o_f32_e64 s3, v12, v12
	s_delay_alu instid0(VALU_DEP_2) | instskip(NEXT) | instid1(VALU_DEP_1)
	v_add3_u32 v14, v12, v14, 0x7fff
	v_lshrrev_b32_e32 v14, 16, v14
	s_delay_alu instid0(VALU_DEP_1)
	v_cndmask_b32_e64 v12, 0x7fc0, v14, s3
	v_add_nc_u32_e32 v14, v20, v18
	s_wait_kmcnt 0x0
	global_store_b16 v14, v12, s[8:9] scale_offset
	s_wait_xcnt 0x0
	s_or_b32 exec_lo, exec_lo, s4
	s_and_saveexec_b32 s4, s1
	s_cbranch_execz .LBB158_45
.LBB158_75:
	v_bfe_u32 v12, v10, 16, 1
	v_cmp_o_f32_e64 s3, v10, v10
	s_delay_alu instid0(VALU_DEP_2) | instskip(NEXT) | instid1(VALU_DEP_1)
	v_add3_u32 v12, v10, v12, 0x7fff
	v_lshrrev_b32_e32 v12, 16, v12
	s_delay_alu instid0(VALU_DEP_1)
	v_cndmask_b32_e64 v10, 0x7fc0, v12, s3
	v_add_nc_u32_e32 v12, v20, v19
	s_wait_kmcnt 0x0
	global_store_b16 v12, v10, s[8:9] scale_offset
	s_wait_xcnt 0x0
	s_or_b32 exec_lo, exec_lo, s4
	s_and_saveexec_b32 s4, s2
	s_cbranch_execnz .LBB158_46
	s_branch .LBB158_47
.LBB158_76:
	v_bfe_u32 v10, v15, 16, 1
	v_cmp_o_f32_e64 s3, v15, v15
	s_delay_alu instid0(VALU_DEP_3) | instskip(NEXT) | instid1(VALU_DEP_3)
	v_add_nc_u32_e32 v12, v8, v17
	v_add3_u32 v10, v15, v10, 0x7fff
	s_delay_alu instid0(VALU_DEP_1) | instskip(NEXT) | instid1(VALU_DEP_1)
	v_lshrrev_b32_e32 v10, 16, v10
	v_cndmask_b32_e64 v10, 0x7fc0, v10, s3
	s_wait_kmcnt 0x0
	global_store_b16 v12, v10, s[8:9] scale_offset
	s_wait_xcnt 0x0
	s_or_b32 exec_lo, exec_lo, s4
	s_and_saveexec_b32 s4, s0
	s_cbranch_execz .LBB158_50
.LBB158_77:
	v_bfe_u32 v10, v13, 16, 1
	v_cmp_o_f32_e64 s3, v13, v13
	s_delay_alu instid0(VALU_DEP_3) | instskip(NEXT) | instid1(VALU_DEP_3)
	v_add_nc_u32_e32 v12, v8, v18
	v_add3_u32 v10, v13, v10, 0x7fff
	s_delay_alu instid0(VALU_DEP_1) | instskip(NEXT) | instid1(VALU_DEP_1)
	v_lshrrev_b32_e32 v10, 16, v10
	v_cndmask_b32_e64 v10, 0x7fc0, v10, s3
	s_wait_kmcnt 0x0
	global_store_b16 v12, v10, s[8:9] scale_offset
	s_wait_xcnt 0x0
	s_or_b32 exec_lo, exec_lo, s4
	s_and_saveexec_b32 s4, s1
	s_cbranch_execz .LBB158_51
.LBB158_78:
	v_bfe_u32 v10, v11, 16, 1
	v_cmp_o_f32_e64 s3, v11, v11
	s_delay_alu instid0(VALU_DEP_2) | instskip(NEXT) | instid1(VALU_DEP_1)
	v_add3_u32 v10, v11, v10, 0x7fff
	v_dual_add_nc_u32 v11, v8, v19 :: v_dual_lshrrev_b32 v10, 16, v10
	s_delay_alu instid0(VALU_DEP_1)
	v_cndmask_b32_e64 v10, 0x7fc0, v10, s3
	s_wait_kmcnt 0x0
	global_store_b16 v11, v10, s[8:9] scale_offset
	s_wait_xcnt 0x0
	s_or_b32 exec_lo, exec_lo, s4
	s_and_saveexec_b32 s4, s2
	s_cbranch_execnz .LBB158_52
	s_branch .LBB158_53
.LBB158_79:
	v_bfe_u32 v9, v6, 16, 1
	v_cmp_o_f32_e64 s3, v6, v6
	s_delay_alu instid0(VALU_DEP_2) | instskip(NEXT) | instid1(VALU_DEP_1)
	v_add3_u32 v9, v6, v9, 0x7fff
	v_lshrrev_b32_e32 v9, 16, v9
	s_delay_alu instid0(VALU_DEP_1)
	v_cndmask_b32_e64 v6, 0x7fc0, v9, s3
	v_add_nc_u32_e32 v9, v8, v17
	s_wait_kmcnt 0x0
	global_store_b16 v9, v6, s[8:9] scale_offset
	s_wait_xcnt 0x0
	s_or_b32 exec_lo, exec_lo, s4
	s_and_saveexec_b32 s4, s0
	s_cbranch_execz .LBB158_56
.LBB158_80:
	v_bfe_u32 v6, v4, 16, 1
	v_cmp_o_f32_e64 s3, v4, v4
	s_delay_alu instid0(VALU_DEP_2) | instskip(NEXT) | instid1(VALU_DEP_1)
	v_add3_u32 v6, v4, v6, 0x7fff
	v_lshrrev_b32_e32 v6, 16, v6
	s_delay_alu instid0(VALU_DEP_1)
	v_cndmask_b32_e64 v4, 0x7fc0, v6, s3
	v_add_nc_u32_e32 v6, v8, v18
	s_wait_kmcnt 0x0
	global_store_b16 v6, v4, s[8:9] scale_offset
	s_wait_xcnt 0x0
	s_or_b32 exec_lo, exec_lo, s4
	s_and_saveexec_b32 s4, s1
	s_cbranch_execz .LBB158_57
.LBB158_81:
	v_bfe_u32 v4, v2, 16, 1
	v_cmp_o_f32_e64 s3, v2, v2
	s_delay_alu instid0(VALU_DEP_2) | instskip(NEXT) | instid1(VALU_DEP_1)
	v_add3_u32 v4, v2, v4, 0x7fff
	v_lshrrev_b32_e32 v4, 16, v4
	s_delay_alu instid0(VALU_DEP_1)
	v_cndmask_b32_e64 v2, 0x7fc0, v4, s3
	v_add_nc_u32_e32 v4, v8, v19
	s_wait_kmcnt 0x0
	global_store_b16 v4, v2, s[8:9] scale_offset
	s_wait_xcnt 0x0
	s_or_b32 exec_lo, exec_lo, s4
	s_and_saveexec_b32 s4, s2
	s_cbranch_execnz .LBB158_58
	s_branch .LBB158_59
.LBB158_82:
	v_bfe_u32 v2, v7, 16, 1
	v_cmp_o_f32_e32 vcc_lo, v7, v7
	s_delay_alu instid0(VALU_DEP_3) | instskip(NEXT) | instid1(VALU_DEP_3)
	v_add_nc_u32_e32 v4, v0, v17
	v_add3_u32 v2, v7, v2, 0x7fff
	s_delay_alu instid0(VALU_DEP_1) | instskip(NEXT) | instid1(VALU_DEP_1)
	v_lshrrev_b32_e32 v2, 16, v2
	v_cndmask_b32_e32 v2, 0x7fc0, v2, vcc_lo
	s_wait_kmcnt 0x0
	global_store_b16 v4, v2, s[8:9] scale_offset
	s_wait_xcnt 0x0
	s_or_b32 exec_lo, exec_lo, s3
	s_and_saveexec_b32 s3, s0
	s_cbranch_execz .LBB158_62
.LBB158_83:
	v_bfe_u32 v2, v5, 16, 1
	v_cmp_o_f32_e32 vcc_lo, v5, v5
	s_delay_alu instid0(VALU_DEP_3) | instskip(NEXT) | instid1(VALU_DEP_3)
	v_add_nc_u32_e32 v4, v0, v18
	v_add3_u32 v2, v5, v2, 0x7fff
	s_delay_alu instid0(VALU_DEP_1) | instskip(NEXT) | instid1(VALU_DEP_1)
	v_lshrrev_b32_e32 v2, 16, v2
	v_cndmask_b32_e32 v2, 0x7fc0, v2, vcc_lo
	s_wait_kmcnt 0x0
	global_store_b16 v4, v2, s[8:9] scale_offset
	s_wait_xcnt 0x0
	s_or_b32 exec_lo, exec_lo, s3
	s_and_saveexec_b32 s0, s1
	s_cbranch_execz .LBB158_63
.LBB158_84:
	v_bfe_u32 v2, v3, 16, 1
	v_cmp_o_f32_e32 vcc_lo, v3, v3
	s_delay_alu instid0(VALU_DEP_2) | instskip(NEXT) | instid1(VALU_DEP_1)
	v_add3_u32 v2, v3, v2, 0x7fff
	v_dual_add_nc_u32 v3, v0, v19 :: v_dual_lshrrev_b32 v2, 16, v2
	s_delay_alu instid0(VALU_DEP_1) | instskip(SKIP_4) | instid1(SALU_CYCLE_1)
	v_cndmask_b32_e32 v2, 0x7fc0, v2, vcc_lo
	s_wait_kmcnt 0x0
	global_store_b16 v3, v2, s[8:9] scale_offset
	s_wait_xcnt 0x0
	s_or_b32 exec_lo, exec_lo, s0
	s_and_b32 exec_lo, exec_lo, s2
	s_cbranch_execz .LBB158_3
.LBB158_85:
	v_bfe_u32 v2, v1, 16, 1
	v_cmp_o_f32_e32 vcc_lo, v1, v1
	v_add_nc_u32_e32 v0, v0, v30
	s_delay_alu instid0(VALU_DEP_3) | instskip(NEXT) | instid1(VALU_DEP_1)
	v_add3_u32 v2, v1, v2, 0x7fff
	v_lshrrev_b32_e32 v2, 16, v2
	s_delay_alu instid0(VALU_DEP_1)
	v_cndmask_b32_e32 v1, 0x7fc0, v2, vcc_lo
	s_wait_kmcnt 0x0
	global_store_b16 v0, v1, s[8:9] scale_offset
	s_sendmsg sendmsg(MSG_DEALLOC_VGPRS)
	s_endpgm
	.section	.rodata,"a",@progbits
	.p2align	6, 0x0
	.amdhsa_kernel _ZL12mul_mat_q4_0IN3c108BFloat16ELb1EEvPKvS3_PT_iiiii
		.amdhsa_group_segment_fixed_size 30336
		.amdhsa_private_segment_fixed_size 0
		.amdhsa_kernarg_size 44
		.amdhsa_user_sgpr_count 2
		.amdhsa_user_sgpr_dispatch_ptr 0
		.amdhsa_user_sgpr_queue_ptr 0
		.amdhsa_user_sgpr_kernarg_segment_ptr 1
		.amdhsa_user_sgpr_dispatch_id 0
		.amdhsa_user_sgpr_kernarg_preload_length 0
		.amdhsa_user_sgpr_kernarg_preload_offset 0
		.amdhsa_user_sgpr_private_segment_size 0
		.amdhsa_wavefront_size32 1
		.amdhsa_uses_dynamic_stack 0
		.amdhsa_enable_private_segment 0
		.amdhsa_system_sgpr_workgroup_id_x 1
		.amdhsa_system_sgpr_workgroup_id_y 1
		.amdhsa_system_sgpr_workgroup_id_z 0
		.amdhsa_system_sgpr_workgroup_info 0
		.amdhsa_system_vgpr_workitem_id 1
		.amdhsa_next_free_vgpr 438
		.amdhsa_next_free_sgpr 17
		.amdhsa_named_barrier_count 0
		.amdhsa_reserve_vcc 1
		.amdhsa_float_round_mode_32 0
		.amdhsa_float_round_mode_16_64 0
		.amdhsa_float_denorm_mode_32 3
		.amdhsa_float_denorm_mode_16_64 3
		.amdhsa_fp16_overflow 0
		.amdhsa_memory_ordered 1
		.amdhsa_forward_progress 1
		.amdhsa_inst_pref_size 255
		.amdhsa_round_robin_scheduling 0
		.amdhsa_exception_fp_ieee_invalid_op 0
		.amdhsa_exception_fp_denorm_src 0
		.amdhsa_exception_fp_ieee_div_zero 0
		.amdhsa_exception_fp_ieee_overflow 0
		.amdhsa_exception_fp_ieee_underflow 0
		.amdhsa_exception_fp_ieee_inexact 0
		.amdhsa_exception_int_div_zero 0
	.end_amdhsa_kernel
	.section	.text._ZL12mul_mat_q4_0IN3c108BFloat16ELb1EEvPKvS3_PT_iiiii,"axG",@progbits,_ZL12mul_mat_q4_0IN3c108BFloat16ELb1EEvPKvS3_PT_iiiii,comdat
.Lfunc_end158:
	.size	_ZL12mul_mat_q4_0IN3c108BFloat16ELb1EEvPKvS3_PT_iiiii, .Lfunc_end158-_ZL12mul_mat_q4_0IN3c108BFloat16ELb1EEvPKvS3_PT_iiiii
                                        ; -- End function
	.set _ZL12mul_mat_q4_0IN3c108BFloat16ELb1EEvPKvS3_PT_iiiii.num_vgpr, 438
	.set _ZL12mul_mat_q4_0IN3c108BFloat16ELb1EEvPKvS3_PT_iiiii.num_agpr, 0
	.set _ZL12mul_mat_q4_0IN3c108BFloat16ELb1EEvPKvS3_PT_iiiii.numbered_sgpr, 17
	.set _ZL12mul_mat_q4_0IN3c108BFloat16ELb1EEvPKvS3_PT_iiiii.num_named_barrier, 0
	.set _ZL12mul_mat_q4_0IN3c108BFloat16ELb1EEvPKvS3_PT_iiiii.private_seg_size, 0
	.set _ZL12mul_mat_q4_0IN3c108BFloat16ELb1EEvPKvS3_PT_iiiii.uses_vcc, 1
	.set _ZL12mul_mat_q4_0IN3c108BFloat16ELb1EEvPKvS3_PT_iiiii.uses_flat_scratch, 0
	.set _ZL12mul_mat_q4_0IN3c108BFloat16ELb1EEvPKvS3_PT_iiiii.has_dyn_sized_stack, 0
	.set _ZL12mul_mat_q4_0IN3c108BFloat16ELb1EEvPKvS3_PT_iiiii.has_recursion, 0
	.set _ZL12mul_mat_q4_0IN3c108BFloat16ELb1EEvPKvS3_PT_iiiii.has_indirect_call, 0
	.section	.AMDGPU.csdata,"",@progbits
; Kernel info:
; codeLenInByte = 40568
; TotalNumSgprs: 19
; NumVgprs: 438
; ScratchSize: 0
; MemoryBound: 0
; FloatMode: 240
; IeeeMode: 1
; LDSByteSize: 30336 bytes/workgroup (compile time only)
; SGPRBlocks: 0
; VGPRBlocks: 27
; NumSGPRsForWavesPerEU: 19
; NumVGPRsForWavesPerEU: 438
; NamedBarCnt: 0
; Occupancy: 2
; WaveLimiterHint : 0
; COMPUTE_PGM_RSRC2:SCRATCH_EN: 0
; COMPUTE_PGM_RSRC2:USER_SGPR: 2
; COMPUTE_PGM_RSRC2:TRAP_HANDLER: 0
; COMPUTE_PGM_RSRC2:TGID_X_EN: 1
; COMPUTE_PGM_RSRC2:TGID_Y_EN: 1
; COMPUTE_PGM_RSRC2:TGID_Z_EN: 0
; COMPUTE_PGM_RSRC2:TIDIG_COMP_CNT: 1
	.section	.text._ZL12mul_mat_q4_1IN3c108BFloat16ELb0EEvPKvS3_PT_iiiii,"axG",@progbits,_ZL12mul_mat_q4_1IN3c108BFloat16ELb0EEvPKvS3_PT_iiiii,comdat
	.globl	_ZL12mul_mat_q4_1IN3c108BFloat16ELb0EEvPKvS3_PT_iiiii ; -- Begin function _ZL12mul_mat_q4_1IN3c108BFloat16ELb0EEvPKvS3_PT_iiiii
	.p2align	8
	.type	_ZL12mul_mat_q4_1IN3c108BFloat16ELb0EEvPKvS3_PT_iiiii,@function
_ZL12mul_mat_q4_1IN3c108BFloat16ELb0EEvPKvS3_PT_iiiii: ; @_ZL12mul_mat_q4_1IN3c108BFloat16ELb0EEvPKvS3_PT_iiiii
; %bb.0:
	s_clause 0x1
	s_load_b32 s10, s[0:1], 0x18
	s_load_b96 s[4:6], s[0:1], 0x20
	s_bfe_u32 s2, ttmp6, 0x4000c
	s_bfe_u32 s7, ttmp6, 0x40010
	s_add_co_i32 s2, s2, 1
	s_and_b32 s3, ttmp6, 15
	s_mul_i32 s2, ttmp9, s2
	s_add_co_i32 s7, s7, 1
	s_add_co_i32 s3, s3, s2
	s_mul_i32 s2, ttmp7, s7
	s_bfe_u32 s7, ttmp6, 0x40004
	s_getreg_b32 s8, hwreg(HW_REG_IB_STS2, 6, 4)
	s_add_co_i32 s7, s7, s2
	s_cmp_eq_u32 s8, 0
	v_bfe_u32 v27, v0, 10, 10
	s_cselect_b32 s7, ttmp7, s7
	v_and_b32_e32 v31, 0x3ff, v0
	s_cselect_b32 s2, ttmp9, s3
	s_lshl_b32 s7, s7, 6
	s_mov_b32 s3, 0
	s_wait_kmcnt 0x0
	s_cmp_gt_i32 s10, 31
	s_cbranch_scc1 .LBB159_4
; %bb.1:
	v_bfe_u32 v26, v0, 10, 10
	v_and_b32_e32 v28, 0x3ff, v0
	s_delay_alu instid0(VALU_DEP_2)
	v_add_nc_u32_e32 v39, s7, v26
	s_load_b64 s[8:9], s[0:1], 0x10
	s_and_not1_b32 vcc_lo, exec_lo, s3
	s_lshl_b32 s14, s2, 7
	s_cbranch_vccz .LBB159_5
; %bb.2:
	v_dual_mov_b32 v11, 0 :: v_dual_mov_b32 v10, 0
	v_mov_b64_e32 v[0:1], 0
	v_mov_b64_e32 v[32:33], 0
	;; [unrolled: 1-line block ×7, first 2 shown]
	v_dual_mov_b32 v19, 0 :: v_dual_mov_b32 v18, 0
	v_dual_mov_b32 v13, 0 :: v_dual_mov_b32 v12, 0
	;; [unrolled: 1-line block ×8, first 2 shown]
	s_wait_xcnt 0x0
	s_mov_b32 s0, exec_lo
	v_cmpx_gt_u32_e64 s4, v39
	s_cbranch_execnz .LBB159_15
.LBB159_3:
	s_sendmsg sendmsg(MSG_DEALLOC_VGPRS)
	s_endpgm
.LBB159_4:
                                        ; implicit-def: $vgpr26
                                        ; implicit-def: $vgpr28
                                        ; implicit-def: $vgpr39
	s_load_b64 s[8:9], s[0:1], 0x10
	s_lshl_b32 s14, s2, 7
.LBB159_5:
	v_dual_add_nc_u32 v39, s7, v27 :: v_dual_mov_b32 v29, 0
	s_add_co_i32 s16, s4, -1
	v_bfe_u32 v41, v0, 3, 7
	v_cvt_f64_i32_e32 v[2:3], s16
	s_delay_alu instid0(VALU_DEP_3) | instskip(SKIP_2) | instid1(VALU_DEP_3)
	v_dual_add_nc_u32 v1, 8, v39 :: v_dual_add_nc_u32 v8, 16, v39
	v_dual_add_nc_u32 v10, 24, v39 :: v_dual_add_nc_u32 v12, 32, v39
	v_cvt_f64_u32_e32 v[4:5], v39
	v_cvt_f64_u32_e32 v[6:7], v1
	v_lshl_add_u32 v25, v27, 2, v41
	s_delay_alu instid0(VALU_DEP_4) | instskip(SKIP_4) | instid1(VALU_DEP_3)
	v_cvt_f64_u32_e32 v[10:11], v10
	v_dual_add_nc_u32 v14, 40, v39 :: v_dual_add_nc_u32 v1, 48, v39
	v_cvt_f64_u32_e32 v[8:9], v8
	v_cvt_f64_u32_e32 v[12:13], v12
	s_ashr_i32 s11, s10, 31
	v_cvt_f64_u32_e32 v[14:15], v14
	v_cvt_f64_u32_e32 v[16:17], v1
	s_ashr_i32 s12, s5, 31
	s_lshr_b32 s11, s11, 27
	s_lshr_b32 s12, s12, 27
	s_add_co_i32 s17, s10, s11
	s_add_co_i32 s10, s5, s12
	s_ashr_i32 s5, s17, 5
	s_ashr_i32 s19, s10, 5
	v_mul_lo_u32 v38, s5, v27
	s_lshl_b32 s18, s5, 3
	v_dual_add_nc_u32 v18, 56, v39 :: v_dual_bitop2_b32 v23, 3, v0 bitop3:0x40
	v_bfe_u32 v26, v0, 2, 8
	v_dual_lshlrev_b32 v1, 2, v31 :: v_dual_bitop2_b32 v30, 7, v0 bitop3:0x40
	v_dual_lshlrev_b32 v24, 7, v27 :: v_dual_bitop2_b32 v22, 31, v0 bitop3:0x40
	s_delay_alu instid0(VALU_DEP_4) | instskip(NEXT) | instid1(VALU_DEP_3)
	v_cvt_f64_u32_e32 v[18:19], v18
	v_dual_lshlrev_b32 v32, 2, v30 :: v_dual_bitop2_b32 v28, 12, v1 bitop3:0x40
	v_add_nc_u32_e32 v40, s18, v38
	v_mad_u32_u24 v43, 0x84, v27, v1
	v_min_num_f64_e32 v[4:5], v[4:5], v[2:3]
	v_dual_min_num_f64 v[6:7], v[6:7], v[2:3] :: v_dual_bitop2_b32 v20, 28, v1 bitop3:0x40
	v_dual_min_num_f64 v[10:11], v[10:11], v[2:3] :: v_dual_mov_b32 v21, v29
	v_dual_min_num_f64 v[8:9], v[8:9], v[2:3] :: v_dual_add_nc_u32 v42, s18, v40
	v_min_num_f64_e32 v[12:13], v[12:13], v[2:3]
	v_lshl_or_b32 v1, v22, 2, 0x4200
	v_min_num_f64_e32 v[14:15], v[14:15], v[2:3]
	s_delay_alu instid0(VALU_DEP_4)
	v_add_nc_u32_e32 v44, s18, v42
	v_lshl_add_u32 v22, v27, 3, v26
	v_lshlrev_b32_e32 v33, 2, v23
	v_and_b32_e32 v0, 0xfc, v0
	v_add_nc_u32_e32 v34, 0x400, v24
	v_add_nc_u32_e32 v35, 0x800, v24
	s_wait_xcnt 0x0
	s_load_b128 s[0:3], s[0:1], 0x0
	v_mul_lo_u32 v62, s5, v25
	s_and_not1_b32 s17, s17, 31
	s_mul_i32 s10, s5, s14
	v_add_nc_u32_e32 v180, 0x4200, v24
	v_mov_b64_e32 v[36:37], 0
	s_ashr_i32 s11, s10, 31
	v_add_nc_u32_e32 v45, 0x420, v43
	v_add_nc_u32_e32 v47, 0x840, v43
	;; [unrolled: 1-line block ×9, first 2 shown]
	v_cvt_i32_f64_e32 v4, v[4:5]
	v_cvt_i32_f64_e32 v5, v[6:7]
	v_add_nc_u32_e32 v65, 0x2940, v43
	v_add_nc_u32_e32 v67, 0x2d60, v43
	v_cvt_i32_f64_e32 v7, v[10:11]
	v_lshlrev_b32_e32 v10, 5, v25
	s_wait_kmcnt 0x0
	v_add_nc_u64_e32 v[54:55], s[2:3], v[20:21]
	v_mov_b64_e32 v[20:21], 0
	v_add_nc_u32_e32 v69, 0x3180, v43
	v_cvt_i32_f64_e32 v11, v[14:15]
	v_add_nc_u32_e32 v14, 64, v25
	v_cvt_i32_f64_e32 v6, v[8:9]
	v_cvt_i32_f64_e32 v8, v[12:13]
	v_add_nc_u32_e32 v15, 0x60, v25
	v_add_nc_u32_e32 v12, 32, v25
	v_and_b32_e32 v9, 0x7fc, v25
	v_add_nc_u32_e32 v71, 0x35a0, v43
	v_add_nc_u32_e32 v73, 0x39c0, v43
	;; [unrolled: 1-line block ×3, first 2 shown]
	v_mul_u32_u24_e32 v186, 0x84, v31
	v_add3_u32 v9, v9, v32, 0x6200
	v_lshl_add_u32 v187, v27, 4, 0x7280
	v_mad_u32_u24 v188, 0x84, v31, 64
	s_mul_u64 s[12:13], s[10:11], 20
	s_mov_b32 s11, 0
	s_add_co_i32 s15, s5, 3
	s_add_nc_u64 s[0:1], s[0:1], s[12:13]
	s_mov_b32 s10, s11
	v_add_nc_u32_e32 v164, v9, v10
	v_add_nc_u32_e32 v172, v1, v34
	;; [unrolled: 1-line block ×3, first 2 shown]
	v_mul_lo_u32 v79, s19, v4
	v_mul_lo_u32 v156, s19, v5
	v_add_nc_u32_e32 v4, 0x1000, v24
	v_add_nc_u32_e32 v5, 0x1400, v24
	v_mul_lo_u32 v158, s19, v7
	v_add_nc_u32_e32 v7, 64, v31
	v_dual_min_num_f64 v[16:17], v[16:17], v[2:3] :: v_dual_add_nc_u32 v46, s18, v44
	v_add_nc_u32_e32 v175, v1, v4
	v_mul_lo_u32 v160, s19, v11
	s_delay_alu instid0(VALU_DEP_4)
	v_and_b32_e32 v7, 0x1fc, v7
	v_mul_lo_u32 v157, s19, v6
	v_mul_lo_u32 v159, s19, v8
	v_add_nc_u32_e32 v8, 32, v31
	v_add_nc_u32_e32 v6, 0x60, v31
	;; [unrolled: 1-line block ×4, first 2 shown]
	v_mov_b64_e32 v[4:5], 0
	v_add_nc_u32_e32 v74, s17, v70
	v_and_b32_e32 v6, 0x1fc, v6
	v_add_nc_u32_e32 v177, v1, v11
	v_mov_b64_e32 v[10:11], 0
	s_delay_alu instid0(VALU_DEP_4)
	v_add_nc_u32_e32 v78, s17, v74
	v_cvt_i32_f64_e32 v13, v[16:17]
	v_and_b32_e32 v16, 63, v22
	v_and_b32_e32 v22, 0xffc, v15
	v_lshlrev_b32_e32 v15, 5, v15
	v_and_b32_e32 v17, 0xffc, v12
	v_lshlrev_b32_e32 v12, 5, v12
	s_delay_alu instid0(VALU_DEP_2) | instskip(SKIP_4) | instid1(VALU_DEP_3)
	v_add3_u32 v17, v17, v32, 0x6200
	v_mul_lo_u32 v161, s19, v13
	v_dual_lshlrev_b32 v13, 5, v31 :: v_dual_add_nc_u32 v48, s18, v46
	v_dual_min_num_f64 v[2:3], v[18:19], v[2:3] :: v_dual_bitop2_b32 v19, s7, v16 bitop3:0x54
	v_and_b32_e32 v18, 0xffc, v14
	v_dual_lshlrev_b32 v14, 5, v14 :: v_dual_add_nc_u32 v50, s18, v48
	s_delay_alu instid0(VALU_DEP_4) | instskip(SKIP_1) | instid1(VALU_DEP_4)
	v_add_nc_u32_e32 v0, v13, v0
	v_lshrrev_b32_e32 v163, 3, v8
	v_add3_u32 v18, v18, v32, 0x6200
	s_delay_alu instid0(VALU_DEP_4) | instskip(NEXT) | instid1(VALU_DEP_4)
	v_dual_add_nc_u32 v166, v17, v12 :: v_dual_add_nc_u32 v52, s18, v50
	v_add_nc_u32_e32 v171, 0x6200, v0
	v_add_nc_u32_e32 v184, 0x6210, v0
	s_delay_alu instid0(VALU_DEP_4)
	v_add_nc_u32_e32 v168, v18, v14
	v_cvt_i32_f64_e32 v2, v[2:3]
	v_lshl_or_b32 v3, v16, 4, v33
	v_min_i32_e32 v16, s16, v19
	v_add3_u32 v19, v22, v32, 0x6200
	v_add_nc_u32_e32 v56, s18, v52
	v_mov_b64_e32 v[32:33], 0
	v_add_nc_u32_e32 v75, 0x7280, v3
	v_mad_u32 v77, v16, s19, v23
	s_delay_alu instid0(VALU_DEP_4)
	v_dual_add_nc_u32 v170, v19, v15 :: v_dual_add_nc_u32 v58, s18, v56
	v_and_b32_e32 v16, 0x1fc, v8
	v_add_nc_u32_e32 v173, v1, v35
	v_add_nc_u32_e32 v3, 0xc00, v24
	v_mov_b64_e32 v[34:35], 0
	v_add_nc_u32_e32 v60, s18, v58
	v_mov_b64_e32 v[8:9], 0
	v_mov_b64_e32 v[22:23], 0
	v_add_nc_u32_e32 v174, v1, v3
	v_mov_b64_e32 v[14:15], 0
	v_mov_b64_e32 v[18:19], 0
	v_mul_lo_u32 v162, s19, v2
	v_dual_add_nc_u32 v2, v13, v6 :: v_dual_add_nc_u32 v6, v13, v7
	v_add_nc_u32_e32 v7, v13, v16
	v_add_nc_u32_e32 v13, 0x1c00, v24
	;; [unrolled: 1-line block ×3, first 2 shown]
	s_delay_alu instid0(VALU_DEP_4) | instskip(SKIP_2) | instid1(VALU_DEP_4)
	v_add_nc_u32_e32 v165, 0x6e00, v2
	v_add_nc_u32_e32 v167, 0x6a00, v6
	v_add_nc_u32_e32 v169, 0x6600, v7
	v_dual_add_nc_u32 v178, v1, v13 :: v_dual_add_nc_u32 v66, s18, v64
	v_add_nc_u32_e32 v179, v1, v24
	v_add_nc_u32_e32 v181, 0x6e10, v2
	;; [unrolled: 1-line block ×5, first 2 shown]
	v_mov_b64_e32 v[6:7], 0
	v_mov_b64_e32 v[2:3], 0
	;; [unrolled: 1-line block ×4, first 2 shown]
	v_add_nc_u32_e32 v72, s18, v68
	v_mov_b64_e32 v[24:25], 0
	v_mov_b64_e32 v[16:17], 0
	s_delay_alu instid0(VALU_DEP_3)
	v_add_nc_u32_e32 v76, s18, v72
	s_branch .LBB159_7
.LBB159_6:                              ;   in Loop: Header=BB159_7 Depth=1
	s_add_co_i32 s10, s10, 8
	s_add_co_i32 s15, s15, -8
	s_cmp_ge_i32 s10, s5
	s_cbranch_scc1 .LBB159_14
.LBB159_7:                              ; =>This Loop Header: Depth=1
                                        ;     Child Loop BB159_9 Depth 2
                                        ;     Child Loop BB159_12 Depth 2
	s_mul_u64 s[12:13], s[10:11], 20
	s_cmp_gt_u32 s15, 3
	s_add_nc_u64 s[12:13], s[0:1], s[12:13]
	s_wait_xcnt 0x0
	v_mad_nc_u64_u32 v[80:81], v26, 20, s[12:13]
	s_delay_alu instid0(VALU_DEP_1) | instskip(NEXT) | instid1(VALU_DEP_1)
	v_mad_nc_u64_u32 v[82:83], v38, 20, v[80:81]
	v_add_nc_u64_e32 v[82:83], v[82:83], v[28:29]
	global_load_b32 v82, v[82:83], off offset:4
	s_wait_loadcnt 0x0
	ds_store_b32 v43, v82
	s_wait_xcnt 0x0
	v_mad_nc_u64_u32 v[82:83], v40, 20, v[80:81]
	s_delay_alu instid0(VALU_DEP_1)
	v_add_nc_u64_e32 v[82:83], v[82:83], v[28:29]
	global_load_b32 v82, v[82:83], off offset:4
	s_wait_loadcnt 0x0
	ds_store_b32 v45, v82
	s_wait_xcnt 0x0
	v_mad_nc_u64_u32 v[82:83], v42, 20, v[80:81]
	s_delay_alu instid0(VALU_DEP_1)
	;; [unrolled: 7-line block ×13, first 2 shown]
	v_add_nc_u64_e32 v[82:83], v[82:83], v[28:29]
	global_load_b32 v82, v[82:83], off offset:4
	s_wait_loadcnt 0x0
	ds_store_b32 v71, v82
	s_wait_xcnt 0x0
	v_mad_nc_u64_u32 v[82:83], v72, 20, v[80:81]
	v_mad_nc_u64_u32 v[80:81], v76, 20, v[80:81]
	s_delay_alu instid0(VALU_DEP_2) | instskip(NEXT) | instid1(VALU_DEP_2)
	v_add_nc_u64_e32 v[82:83], v[82:83], v[28:29]
	v_add_nc_u64_e32 v[80:81], v[80:81], v[28:29]
	s_clause 0x1
	global_load_b32 v82, v[82:83], off offset:4
	global_load_b32 v80, v[80:81], off offset:4
	s_wait_loadcnt 0x1
	ds_store_b32 v73, v82
	s_wait_loadcnt 0x0
	ds_store_b32 v185, v80
	s_wait_xcnt 0x0
	v_mad_nc_u64_u32 v[80:81], v30, 20, s[12:13]
	s_delay_alu instid0(VALU_DEP_1)
	v_mad_nc_u64_u32 v[82:83], v62, 20, v[80:81]
	global_load_b32 v82, v[82:83], off
	s_wait_loadcnt 0x0
	ds_store_b32 v164, v82
	s_wait_xcnt 0x0
	v_mad_nc_u64_u32 v[82:83], v70, 20, v[80:81]
	global_load_b32 v82, v[82:83], off
	s_wait_loadcnt 0x0
	ds_store_b32 v166, v82
	s_wait_xcnt 0x0
	v_mad_nc_u64_u32 v[82:83], v74, 20, v[80:81]
	v_mad_nc_u64_u32 v[80:81], v78, 20, v[80:81]
	s_clause 0x1
	global_load_b32 v82, v[82:83], off
	global_load_b32 v80, v[80:81], off
	s_wait_loadcnt 0x1
	ds_store_b32 v168, v82
	s_wait_loadcnt 0x0
	ds_store_b32 v170, v80
	s_cbranch_scc0 .LBB159_6
; %bb.8:                                ;   in Loop: Header=BB159_7 Depth=1
	s_wait_xcnt 0x1
	v_dual_add_nc_u32 v82, s10, v41 :: v_dual_mov_b32 v190, v180
	v_dual_mov_b32 v196, v186 :: v_dual_add_nc_u32 v189, s10, v77
	s_mov_b32 s12, -4
	s_wait_xcnt 0x0
	s_delay_alu instid0(VALU_DEP_2) | instskip(SKIP_2) | instid1(VALU_DEP_3)
	v_dual_mov_b32 v191, v187 :: v_dual_add_nc_u32 v80, v82, v79
	v_dual_mov_b32 v192, v171 :: v_dual_mov_b32 v193, v169
	v_mov_b32_e32 v194, v167
	v_mad_nc_i64_i32 v[80:81], v80, 36, v[54:55]
	v_mov_b32_e32 v195, v165
	global_load_b32 v80, v[80:81], off offset:4
	s_wait_loadcnt 0x0
	ds_store_b32 v179, v80
	s_wait_xcnt 0x0
	v_add_nc_u32_e32 v80, v82, v156
	s_delay_alu instid0(VALU_DEP_1)
	v_mad_nc_i64_i32 v[80:81], v80, 36, v[54:55]
	global_load_b32 v80, v[80:81], off offset:4
	s_wait_loadcnt 0x0
	ds_store_b32 v172, v80
	s_wait_xcnt 0x0
	v_add_nc_u32_e32 v80, v82, v157
	s_delay_alu instid0(VALU_DEP_1)
	v_mad_nc_i64_i32 v[80:81], v80, 36, v[54:55]
	;; [unrolled: 7-line block ×7, first 2 shown]
	global_load_b32 v80, v[80:81], off offset:4
	s_wait_loadcnt 0x0
	ds_store_b32 v178, v80
	s_wait_xcnt 0x0
	v_mad_nc_u64_u32 v[80:81], v189, 36, s[2:3]
	global_load_b32 v80, v[80:81], off
	s_wait_loadcnt 0x0
	ds_store_b32 v75, v80
	s_wait_dscnt 0x0
	s_barrier_signal -1
	s_barrier_wait -1
.LBB159_9:                              ;   Parent Loop BB159_7 Depth=1
                                        ; =>  This Inner Loop Header: Depth=2
	ds_load_2addr_b32 v[82:83], v190 offset1:3
	s_wait_xcnt 0x0
	ds_load_2addr_b32 v[80:81], v190 offset0:4 offset1:7
	ds_load_2addr_b32 v[86:87], v190 offset0:1 offset1:2
	;; [unrolled: 1-line block ×3, first 2 shown]
	ds_load_b32 v197, v192
	ds_load_b32 v198, v193
	ds_load_b32 v199, v194
	ds_load_2addr_b32 v[88:89], v196 offset0:2 offset1:3
	ds_load_b32 v200, v195
	ds_load_2addr_b32 v[90:91], v191 offset1:32
	ds_load_2addr_b32 v[136:137], v191 offset0:128 offset1:160
	ds_load_2addr_b32 v[150:151], v191 offset0:64 offset1:96
	;; [unrolled: 1-line block ×3, first 2 shown]
	ds_load_2addr_b32 v[236:237], v196 offset1:1
	v_add_nc_u32_e32 v92, 0x2100, v196
	v_add_nc_u32_e32 v93, 0x2108, v196
	;; [unrolled: 1-line block ×21, first 2 shown]
	s_set_vgpr_msb 64                       ;  msbs: dst=1 src0=0 src1=0 src2=0
	v_add_nc_u32_e32 v2 /*v258*/, 0xc00, v190
	v_add_nc_u32_e32 v3 /*v259*/, 0x1800, v190
	;; [unrolled: 1-line block ×3, first 2 shown]
	s_set_vgpr_msb 0                        ;  msbs: dst=0 src0=0 src1=0 src2=0
	v_add_nc_u32_e32 v201, 0x1814, v190
	v_add_nc_u32_e32 v202, 0x1c04, v190
	;; [unrolled: 1-line block ×3, first 2 shown]
	ds_load_2addr_b32 v[242:243], v92 offset1:1
	ds_load_2addr_b32 v[142:143], v93 offset1:1
	;; [unrolled: 1-line block ×5, first 2 shown]
	ds_load_2addr_b32 v[144:145], v96 offset0:4 offset1:7
	ds_load_2addr_b32 v[138:139], v97 offset1:1
	ds_load_2addr_b32 v[132:133], v98 offset1:1
	ds_load_2addr_b32 v[120:121], v99 offset0:4 offset1:7
	ds_load_2addr_b32 v[118:119], v100 offset0:4 offset1:7
	ds_load_2addr_b32 v[130:131], v102 offset1:1
	ds_load_2addr_b32 v[128:129], v104 offset1:1
	;; [unrolled: 1-line block ×8, first 2 shown]
	s_set_vgpr_msb 1                        ;  msbs: dst=0 src0=1 src1=0 src2=0
	ds_load_2addr_b32 v[92:93], v2 /*v258*/ offset0:4 offset1:7
	ds_load_2addr_b32 v[96:97], v3 /*v259*/ offset0:4 offset1:7
	s_set_vgpr_msb 0                        ;  msbs: dst=0 src0=0 src1=0 src2=0
	ds_load_2addr_b32 v[148:149], v107 offset1:1
	ds_load_2addr_b32 v[146:147], v108 offset1:1
	;; [unrolled: 1-line block ×4, first 2 shown]
	ds_load_2addr_b32 v[122:123], v110 offset0:4 offset1:7
	ds_load_2addr_b32 v[106:107], v110 offset1:3
	s_set_vgpr_msb 1                        ;  msbs: dst=0 src0=1 src1=0 src2=0
	ds_load_2addr_b32 v[98:99], v4 /*v260*/ offset0:4 offset1:7
	s_set_vgpr_msb 0                        ;  msbs: dst=0 src0=0 src1=0 src2=0
	ds_load_2addr_b32 v[112:113], v112 offset1:1
	ds_load_2addr_b32 v[104:105], v201 offset1:1
	;; [unrolled: 1-line block ×4, first 2 shown]
	s_wait_dscnt 0x2a
	s_set_vgpr_msb 64                       ;  msbs: dst=1 src0=0 src1=0 src2=0
	v_bfe_i32 v9 /*v265*/, v86, 0, 8
	v_bfe_i32 v10 /*v266*/, v86, 8, 8
	;; [unrolled: 1-line block ×3, first 2 shown]
	s_wait_dscnt 0x29
	s_set_vgpr_msb 0                        ;  msbs: dst=0 src0=0 src1=0 src2=0
	v_dual_ashrrev_i32 v86, 24, v86 :: v_dual_ashrrev_i32 v247, 24, v84
	s_set_vgpr_msb 64                       ;  msbs: dst=1 src0=0 src1=0 src2=0
	v_bfe_i32 v12 /*v268*/, v84, 0, 8
	v_bfe_i32 v13 /*v269*/, v84, 8, 8
	s_set_vgpr_msb 0                        ;  msbs: dst=0 src0=0 src1=0 src2=0
	v_bfe_i32 v249, v84, 16, 8
	v_bfe_i32 v234, v87, 0, 8
	v_bfe_i32 v233, v87, 8, 8
	v_bfe_i32 v204, v87, 16, 8
	v_dual_ashrrev_i32 v205, 24, v87 :: v_dual_ashrrev_i32 v217, 24, v85
	v_bfe_i32 v201, v85, 8, 8
	v_bfe_i32 v202, v85, 0, 8
	;; [unrolled: 1-line block ×5, first 2 shown]
	v_ashrrev_i32_e32 v227, 24, v83
	v_bfe_i32 v228, v83, 16, 8
	s_set_vgpr_msb 64                       ;  msbs: dst=1 src0=0 src1=0 src2=0
	v_bfe_i32 v15 /*v271*/, v81, 0, 8
	v_bfe_i32 v18 /*v274*/, v81, 8, 8
	;; [unrolled: 1-line block ×3, first 2 shown]
	s_wait_dscnt 0x1f
	v_dual_ashrrev_i32 v54 /*v310*/, 24, v81 :: v_dual_bitop2_b32 v80 /*v336*/, 15, v236 bitop3:0x40
	s_set_vgpr_msb 0                        ;  msbs: dst=0 src0=0 src1=0 src2=0
	v_pk_mul_f16 v83, v199, v91
	v_pk_mul_f16 v84, v90, v199
	;; [unrolled: 1-line block ×4, first 2 shown]
	s_set_vgpr_msb 64                       ;  msbs: dst=1 src0=0 src1=0 src2=0
	v_pk_mul_f16 v14 /*v270*/, v199, v137
	v_pk_mul_f16 v16 /*v272*/, v199, v136
	;; [unrolled: 1-line block ×4, first 2 shown]
	s_set_vgpr_msb 0                        ;  msbs: dst=0 src0=0 src1=0 src2=0
	v_pk_mul_f16 v223, v90, v197
	v_pk_mul_f16 v214, v90, v198
	;; [unrolled: 1-line block ×12, first 2 shown]
	s_set_vgpr_msb 64                       ;  msbs: dst=1 src0=0 src1=0 src2=0
	v_pk_mul_f16 v145 /*v401*/, v198, v136
	s_set_vgpr_msb 0                        ;  msbs: dst=0 src0=0 src1=0 src2=0
	v_pk_mul_f16 v220, v197, v137
	s_set_vgpr_msb 64                       ;  msbs: dst=1 src0=0 src1=0 src2=0
	v_pk_mul_f16 v146 /*v402*/, v198, v137
	s_set_vgpr_msb 0                        ;  msbs: dst=0 src0=0 src1=0 src2=0
	v_pk_mul_f16 v215, v197, v152
	v_pk_mul_f16 v218, v197, v153
	;; [unrolled: 1-line block ×4, first 2 shown]
	s_set_vgpr_msb 64                       ;  msbs: dst=1 src0=0 src1=0 src2=0
	v_pk_mul_f16 v147 /*v403*/, v199, v152
	v_pk_mul_f16 v153 /*v409*/, v199, v153
	;; [unrolled: 1-line block ×4, first 2 shown]
	v_bfe_u32 v88 /*v344*/, v236, 8, 4
	v_bfe_u32 v93 /*v349*/, v236, 16, 4
	;; [unrolled: 1-line block ×3, first 2 shown]
	s_set_vgpr_msb 0                        ;  msbs: dst=0 src0=0 src1=0 src2=0
	v_lshrrev_b32_e32 v81, 28, v236
	v_bfe_u32 v90, v236, 4, 4
	v_bfe_u32 v91, v236, 20, 4
	s_set_vgpr_msb 64                       ;  msbs: dst=1 src0=0 src1=0 src2=0
	v_bfe_u32 v73 /*v329*/, v89, 20, 4
	s_set_vgpr_msb 0                        ;  msbs: dst=0 src0=0 src1=0 src2=0
	v_dual_lshrrev_b32 v236, 4, v236 :: v_dual_bitop2_b32 v230, 15, v89 bitop3:0x40
	v_bfe_u32 v229, v89, 16, 4
	s_wait_dscnt 0x1d
	v_dual_lshrrev_b32 v200, 28, v88 :: v_dual_bitop2_b32 v253, 15, v142 bitop3:0x40
	v_bfe_u32 v225, v89, 24, 4
	s_set_vgpr_msb 64                       ;  msbs: dst=1 src0=0 src1=0 src2=0
	v_dual_lshrrev_b32 v19 /*v275*/, 4, v88 :: v_dual_lshrrev_b32 v5 /*v261*/, 28, v89
	v_and_b32_e32 v28 /*v284*/, 0xf0f0f0f, v89
	v_bfe_u32 v7 /*v263*/, v89, 4, 4
	v_bfe_u32 v75 /*v331*/, v89, 12, 4
	s_set_vgpr_msb 0                        ;  msbs: dst=0 src0=0 src1=0 src2=0
	v_bfe_u32 v89, v242, 20, 4
	s_set_vgpr_msb 64                       ;  msbs: dst=1 src0=0 src1=0 src2=0
	v_dual_lshrrev_b32 v8 /*v264*/, 28, v242 :: v_dual_bitop2_b32 v61 /*v317*/, 15, v242 bitop3:0x40
	v_bfe_u32 v64 /*v320*/, v242, 8, 4
	s_set_vgpr_msb 0                        ;  msbs: dst=0 src0=0 src1=0 src2=0
	v_bfe_u32 v254, v242, 4, 4
	v_bfe_u32 v255, v242, 12, 4
	s_set_vgpr_msb 64                       ;  msbs: dst=1 src0=0 src1=0 src2=0
	v_bfe_u32 v37 /*v293*/, v142, 8, 4
	s_set_vgpr_msb 0                        ;  msbs: dst=0 src0=0 src1=0 src2=0
	v_bfe_u32 v240, v142, 24, 4
	v_bfe_u32 v241, v142, 16, 4
	;; [unrolled: 1-line block ×4, first 2 shown]
	v_lshrrev_b32_e32 v197, 28, v142
	v_bfe_u32 v153, v142, 20, 4
	s_wait_dscnt 0x19
	s_set_vgpr_msb 64                       ;  msbs: dst=1 src0=0 src1=0 src2=0
	v_bfe_i32 v38 /*v294*/, v144, 8, 8
	s_set_vgpr_msb 0                        ;  msbs: dst=0 src0=0 src1=0 src2=0
	v_bfe_u32 v142, v242, 24, 4
	s_set_vgpr_msb 64                       ;  msbs: dst=1 src0=0 src1=0 src2=0
	v_bfe_u32 v90 /*v346*/, v242, 16, 4
	s_wait_dscnt 0x18
	s_set_vgpr_msb 0                        ;  msbs: dst=0 src0=0 src1=0 src2=0
	v_bfe_u32 v242, v138, 12, 4
	v_bfe_i32 v232, v82, 0, 8
	s_set_vgpr_msb 64                       ;  msbs: dst=1 src0=0 src1=0 src2=0
	v_bfe_u32 v29 /*v285*/, v243, 20, 4
	v_dual_lshrrev_b32 v36 /*v292*/, 28, v243 :: v_dual_bitop2_b32 v30 /*v286*/, 15, v243 bitop3:0x40
	v_bfe_u32 v21 /*v277*/, v243, 8, 4
	v_bfe_u32 v31 /*v287*/, v243, 16, 4
	;; [unrolled: 1-line block ×5, first 2 shown]
	s_set_vgpr_msb 0                        ;  msbs: dst=0 src0=0 src1=0 src2=0
	v_bfe_i32 v243, v144, 0, 8
	s_set_vgpr_msb 64                       ;  msbs: dst=1 src0=0 src1=0 src2=0
	v_bfe_i32 v39 /*v295*/, v144, 16, 8
	s_set_vgpr_msb 0                        ;  msbs: dst=0 src0=0 src1=0 src2=0
	v_ashrrev_i32_e32 v144, 24, v144
	s_set_vgpr_msb 64                       ;  msbs: dst=1 src0=0 src1=0 src2=0
	v_bfe_i32 v40 /*v296*/, v244, 0, 8
	v_bfe_i32 v41 /*v297*/, v244, 8, 8
	;; [unrolled: 1-line block ×3, first 2 shown]
	v_dual_ashrrev_i32 v43 /*v299*/, 24, v244 :: v_dual_ashrrev_i32 v47 /*v303*/, 24, v154
	v_dual_ashrrev_i32 v1 /*v257*/, 24, v245 :: v_dual_lshrrev_b32 v50 /*v306*/, 28, v138
	s_set_vgpr_msb 0                        ;  msbs: dst=0 src0=0 src1=0 src2=0
	v_bfe_u32 v244, v138, 4, 4
	s_set_vgpr_msb 64                       ;  msbs: dst=1 src0=0 src1=0 src2=0
	v_bfe_u32 v49 /*v305*/, v138, 20, 4
	s_wait_dscnt 0x16
	v_dual_ashrrev_i32 v58 /*v314*/, 24, v120 :: v_dual_bitop2_b32 v69 /*v325*/, 15, v138 bitop3:0x40
	s_wait_dscnt 0x15
	v_bfe_i32 v59 /*v315*/, v118, 8, 8
	s_set_vgpr_msb 0x41                     ;  msbs: dst=1 src0=1 src1=0 src2=0
	v_mul_i32_i24_e32 v118 /*v374*/, v38 /*v294*/, v242
	s_set_vgpr_msb 0                        ;  msbs: dst=0 src0=0 src1=0 src2=0
	v_bfe_i32 v235, v82, 8, 8
	v_bfe_i32 v246, v82, 16, 8
	v_ashrrev_i32_e32 v82, 24, v82
	v_pk_mul_f16 v207, v199, v150
	v_bfe_i32 v150, v245, 0, 8
	s_set_vgpr_msb 64                       ;  msbs: dst=1 src0=0 src1=0 src2=0
	v_bfe_i32 v0 /*v256*/, v245, 8, 8
	s_set_vgpr_msb 0                        ;  msbs: dst=0 src0=0 src1=0 src2=0
	v_bfe_i32 v238, v245, 16, 8
	s_set_vgpr_msb 64                       ;  msbs: dst=1 src0=0 src1=0 src2=0
	v_bfe_u32 v70 /*v326*/, v138, 8, 4
	v_bfe_u32 v92 /*v348*/, v138, 16, 4
	s_set_vgpr_msb 0                        ;  msbs: dst=0 src0=0 src1=0 src2=0
	v_bfe_u32 v138, v138, 24, 4
	s_set_vgpr_msb 64                       ;  msbs: dst=1 src0=0 src1=0 src2=0
	v_dual_ashrrev_i32 v63 /*v319*/, 24, v118 :: v_dual_bitop2_b32 v53 /*v309*/, 15, v139 bitop3:0x40
	s_set_vgpr_msb 0                        ;  msbs: dst=0 src0=0 src1=0 src2=0
	v_bfe_i32 v245, v120, 8, 8
	s_set_vgpr_msb 64                       ;  msbs: dst=1 src0=0 src1=0 src2=0
	v_bfe_i32 v60 /*v316*/, v118, 0, 8
	v_bfe_i32 v62 /*v318*/, v118, 16, 8
	s_set_vgpr_msb 0x41                     ;  msbs: dst=1 src0=1 src1=0 src2=0
	v_mul_i32_i24_e32 v71 /*v327*/, v80 /*v336*/, v232
	s_wait_dscnt 0xe
	s_set_vgpr_msb 64                       ;  msbs: dst=1 src0=0 src1=0 src2=0
	v_bfe_u32 v78 /*v334*/, v134, 12, 4
	s_wait_dscnt 0xc
	v_bfe_i32 v83 /*v339*/, v92, 8, 8
	s_set_vgpr_msb 0x41                     ;  msbs: dst=1 src0=1 src1=0 src2=0
	v_mul_i32_i24_e32 v112 /*v368*/, v38 /*v294*/, v255
	s_set_vgpr_msb 0x45                     ;  msbs: dst=1 src0=1 src1=1 src2=0
	v_mul_i32_i24_e32 v119 /*v375*/, v39 /*v295*/, v49 /*v305*/
	s_set_vgpr_msb 0x44                     ;  msbs: dst=1 src0=0 src1=1 src2=0
	v_mul_i32_i24_e32 v120 /*v376*/, v144, v50 /*v306*/
	s_set_vgpr_msb 0x41                     ;  msbs: dst=1 src0=1 src1=0 src2=0
	v_mul_i32_i24_e32 v122 /*v378*/, v69 /*v325*/, v232
	v_mul_i32_i24_e32 v128 /*v384*/, v59 /*v315*/, v255
	s_set_vgpr_msb 0x50                     ;  msbs: dst=1 src0=0 src1=0 src2=1
	v_mad_i32_i24 v118 /*v374*/, v243, v244, v118 /*v374*/
	s_set_vgpr_msb 0                        ;  msbs: dst=0 src0=0 src1=0 src2=0
	v_bfe_i32 v250, v80, 0, 8
	v_bfe_i32 v251, v80, 8, 8
	s_set_vgpr_msb 64                       ;  msbs: dst=1 src0=0 src1=0 src2=0
	v_bfe_i32 v6 /*v262*/, v80, 16, 8
	s_set_vgpr_msb 0                        ;  msbs: dst=0 src0=0 src1=0 src2=0
	v_ashrrev_i32_e32 v80, 24, v80
	s_set_vgpr_msb 64                       ;  msbs: dst=1 src0=0 src1=0 src2=0
	v_bfe_i32 v56 /*v312*/, v120, 0, 8
	v_bfe_i32 v57 /*v313*/, v120, 16, 8
	s_set_vgpr_msb 0x41                     ;  msbs: dst=1 src0=1 src1=0 src2=0
	v_mul_i32_i24_e32 v72 /*v328*/, v93 /*v349*/, v246
	v_mul_i32_i24_e32 v77 /*v333*/, v121 /*v377*/, v82
	s_set_vgpr_msb 64                       ;  msbs: dst=1 src0=0 src1=0 src2=0
	v_bfe_u32 v79 /*v335*/, v134, 4, 4
	v_bfe_u32 v81 /*v337*/, v134, 20, 4
	s_wait_dscnt 0xa
	v_dual_lshrrev_b32 v82 /*v338*/, 28, v134 :: v_dual_ashrrev_i32 v91 /*v347*/, 24, v148
	v_bfe_i32 v84 /*v340*/, v92, 0, 8
	v_bfe_i32 v85 /*v341*/, v92, 16, 8
	s_set_vgpr_msb 0                        ;  msbs: dst=0 src0=0 src1=0 src2=0
	v_dual_ashrrev_i32 v92, 24, v92 :: v_dual_bitop2_b32 v120, 15, v134 bitop3:0x40
	s_set_vgpr_msb 0x41                     ;  msbs: dst=1 src0=1 src1=0 src2=0
	v_mul_i32_i24_e32 v113 /*v369*/, v61 /*v317*/, v232
	v_mul_i32_i24_e32 v114 /*v370*/, v39 /*v295*/, v89
	s_set_vgpr_msb 0x44                     ;  msbs: dst=1 src0=0 src1=1 src2=0
	v_mul_i32_i24_e32 v115 /*v371*/, v144, v8 /*v264*/
	s_set_vgpr_msb 0x41                     ;  msbs: dst=1 src0=1 src1=0 src2=0
	v_mul_i32_i24_e32 v123 /*v379*/, v92 /*v348*/, v246
	s_set_vgpr_msb 64                       ;  msbs: dst=1 src0=0 src1=0 src2=0
	v_mul_i32_i24_e32 v124 /*v380*/, v138, v82
	v_mul_i32_i24_e32 v125 /*v381*/, v245, v255
	s_set_vgpr_msb 0x51                     ;  msbs: dst=1 src0=1 src1=0 src2=1
	v_mul_i32_i24_e32 v129 /*v385*/, v62 /*v318*/, v89
	v_mad_i32_i24 v71 /*v327*/, v88 /*v344*/, v235, v71 /*v327*/
	s_set_vgpr_msb 0x45                     ;  msbs: dst=1 src0=1 src1=1 src2=0
	v_mul_i32_i24_e32 v130 /*v386*/, v63 /*v319*/, v8 /*v264*/
	s_set_vgpr_msb 0x50                     ;  msbs: dst=1 src0=0 src1=0 src2=1
	v_mul_i32_i24_e32 v131 /*v387*/, v245, v242
	v_mad_i32_i24 v112 /*v368*/, v243, v254, v112 /*v368*/
	s_set_vgpr_msb 0x55                     ;  msbs: dst=1 src0=1 src1=1 src2=1
	v_add3_u32 v118 /*v374*/, v118 /*v374*/, v119 /*v375*/, v120 /*v376*/
	v_mul_i32_i24_e32 v119 /*v375*/, v83 /*v339*/, v78 /*v334*/
	s_set_vgpr_msb 0x51                     ;  msbs: dst=1 src0=1 src1=0 src2=1
	v_mad_i32_i24 v122 /*v378*/, v70 /*v326*/, v235, v122 /*v378*/
	v_mad_i32_i24 v128 /*v384*/, v60 /*v316*/, v254, v128 /*v384*/
	s_set_vgpr_msb 64                       ;  msbs: dst=1 src0=0 src1=0 src2=0
	v_bfe_i32 v86 /*v342*/, v96, 8, 8
	s_set_vgpr_msb 0x41                     ;  msbs: dst=1 src0=1 src1=0 src2=0
	v_mul_i32_i24_e32 v116 /*v372*/, v90 /*v346*/, v246
	s_set_vgpr_msb 64                       ;  msbs: dst=1 src0=0 src1=0 src2=0
	v_mul_i32_i24_e32 v117 /*v373*/, v142, v82
	s_set_vgpr_msb 0x41                     ;  msbs: dst=1 src0=1 src1=0 src2=0
	v_mul_i32_i24_e32 v126 /*v382*/, v57 /*v313*/, v89
	s_set_vgpr_msb 0x55                     ;  msbs: dst=1 src0=1 src1=1 src2=1
	v_mul_i32_i24_e32 v127 /*v383*/, v58 /*v314*/, v8 /*v264*/
	v_mul_i32_i24_e32 v132 /*v388*/, v57 /*v313*/, v49 /*v305*/
	;; [unrolled: 1-line block ×3, first 2 shown]
	v_add3_u32 v71 /*v327*/, v71 /*v327*/, v72 /*v328*/, v77 /*v333*/
	s_set_vgpr_msb 0x41                     ;  msbs: dst=1 src0=1 src1=0 src2=0
	v_mul_i32_i24_e32 v72 /*v328*/, v59 /*v315*/, v242
	s_set_vgpr_msb 0x55                     ;  msbs: dst=1 src0=1 src1=1 src2=1
	v_add3_u32 v112 /*v368*/, v112 /*v368*/, v114 /*v370*/, v115 /*v371*/
	v_mul_i32_i24_e32 v115 /*v371*/, v38 /*v294*/, v78 /*v334*/
	s_set_vgpr_msb 0x51                     ;  msbs: dst=1 src0=1 src1=0 src2=1
	v_mad_i32_i24 v113 /*v369*/, v64 /*v320*/, v235, v113 /*v369*/
	s_set_vgpr_msb 0x55                     ;  msbs: dst=1 src0=1 src1=1 src2=1
	v_mul_i32_i24_e32 v120 /*v376*/, v85 /*v341*/, v81 /*v337*/
	v_add3_u32 v122 /*v378*/, v122 /*v378*/, v123 /*v379*/, v124 /*v380*/
	s_set_vgpr_msb 0x44                     ;  msbs: dst=1 src0=0 src1=1 src2=0
	v_mul_i32_i24_e32 v123 /*v379*/, v92, v82 /*v338*/
	s_set_vgpr_msb 0x51                     ;  msbs: dst=1 src0=1 src1=0 src2=1
	v_mul_i32_i24_e32 v124 /*v380*/, v83 /*v339*/, v255
	v_mad_i32_i24 v125 /*v381*/, v56 /*v312*/, v254, v125 /*v381*/
	s_set_vgpr_msb 0x55                     ;  msbs: dst=1 src0=1 src1=1 src2=1
	v_add3_u32 v128 /*v384*/, v128 /*v384*/, v129 /*v385*/, v130 /*v386*/
	s_set_vgpr_msb 0x51                     ;  msbs: dst=1 src0=1 src1=0 src2=1
	v_mul_i32_i24_e32 v129 /*v385*/, v83 /*v339*/, v242
	v_mad_i32_i24 v131 /*v387*/, v56 /*v312*/, v244, v131 /*v387*/
	s_set_vgpr_msb 0x55                     ;  msbs: dst=1 src0=1 src1=1 src2=1
	v_mad_i32_i24 v119 /*v375*/, v84 /*v340*/, v79 /*v335*/, v119 /*v375*/
	s_set_vgpr_msb 64                       ;  msbs: dst=1 src0=0 src1=0 src2=0
	v_bfe_i32 v87 /*v343*/, v96, 0, 8
	v_bfe_i32 v89 /*v345*/, v96, 16, 8
	s_set_vgpr_msb 0                        ;  msbs: dst=0 src0=0 src1=0 src2=0
	v_ashrrev_i32_e32 v96, 24, v96
	s_set_vgpr_msb 0x55                     ;  msbs: dst=1 src0=1 src1=1 src2=1
	v_mul_i32_i24_e32 v77 /*v333*/, v62 /*v318*/, v49 /*v305*/
	v_mul_i32_i24_e32 v114 /*v370*/, v63 /*v319*/, v50 /*v306*/
	v_add3_u32 v113 /*v369*/, v113 /*v369*/, v116 /*v372*/, v117 /*v373*/
	v_mul_i32_i24_e32 v116 /*v372*/, v39 /*v295*/, v81 /*v337*/
	s_set_vgpr_msb 0x44                     ;  msbs: dst=1 src0=0 src1=1 src2=0
	v_mul_i32_i24_e32 v117 /*v373*/, v144, v82 /*v338*/
	s_set_vgpr_msb 0x55                     ;  msbs: dst=1 src0=1 src1=1 src2=1
	v_add3_u32 v125 /*v381*/, v125 /*v381*/, v126 /*v382*/, v127 /*v383*/
	s_set_vgpr_msb 0x41                     ;  msbs: dst=1 src0=1 src1=0 src2=0
	v_mul_i32_i24_e32 v126 /*v382*/, v85 /*v341*/, v89
	s_set_vgpr_msb 0x44                     ;  msbs: dst=1 src0=0 src1=1 src2=0
	v_mul_i32_i24_e32 v127 /*v383*/, v92, v8 /*v264*/
	s_set_vgpr_msb 0x55                     ;  msbs: dst=1 src0=1 src1=1 src2=1
	v_mul_i32_i24_e32 v130 /*v386*/, v85 /*v341*/, v49 /*v305*/
	v_add3_u32 v131 /*v387*/, v131 /*v387*/, v132 /*v388*/, v133 /*v389*/
	s_set_vgpr_msb 0x44                     ;  msbs: dst=1 src0=0 src1=1 src2=0
	v_mul_i32_i24_e32 v132 /*v388*/, v92, v50 /*v306*/
	v_mul_i32_i24_e32 v133 /*v389*/, v245, v78 /*v334*/
	s_set_vgpr_msb 0x51                     ;  msbs: dst=1 src0=1 src1=0 src2=1
	v_mad_i32_i24 v72 /*v328*/, v60 /*v316*/, v244, v72 /*v328*/
	s_set_vgpr_msb 0x54                     ;  msbs: dst=1 src0=0 src1=1 src2=1
	v_mad_i32_i24 v115 /*v371*/, v243, v79 /*v335*/, v115 /*v371*/
	s_set_vgpr_msb 0x55                     ;  msbs: dst=1 src0=1 src1=1 src2=1
	v_add3_u32 v119 /*v375*/, v119 /*v375*/, v120 /*v376*/, v123 /*v379*/
	v_mul_i32_i24_e32 v123 /*v379*/, v86 /*v342*/, v78 /*v334*/
	s_set_vgpr_msb 0x51                     ;  msbs: dst=1 src0=1 src1=0 src2=1
	v_mad_i32_i24 v124 /*v380*/, v84 /*v340*/, v254, v124 /*v380*/
	v_mad_i32_i24 v129 /*v385*/, v84 /*v340*/, v244, v129 /*v385*/
	s_set_vgpr_msb 64                       ;  msbs: dst=1 src0=0 src1=0 src2=0
	v_bfe_u32 v22 /*v278*/, v237, 24, 4
	s_wait_dscnt 0x4
	v_bfe_i32 v107 /*v363*/, v98, 8, 8
	v_bfe_i32 v108 /*v364*/, v98, 0, 8
	;; [unrolled: 1-line block ×3, first 2 shown]
	s_set_vgpr_msb 0                        ;  msbs: dst=0 src0=0 src1=0 src2=0
	v_ashrrev_i32_e32 v98, 24, v98
	s_set_vgpr_msb 0x55                     ;  msbs: dst=1 src0=1 src1=1 src2=1
	v_add3_u32 v72 /*v328*/, v72 /*v328*/, v77 /*v333*/, v114 /*v370*/
	v_mul_i32_i24_e32 v77 /*v333*/, v57 /*v313*/, v81 /*v337*/
	v_mul_i32_i24_e32 v114 /*v370*/, v58 /*v314*/, v82 /*v338*/
	v_add3_u32 v115 /*v371*/, v115 /*v371*/, v116 /*v372*/, v117 /*v373*/
	v_mul_i32_i24_e32 v116 /*v372*/, v59 /*v315*/, v78 /*v334*/
	v_add3_u32 v124 /*v380*/, v124 /*v380*/, v126 /*v382*/, v127 /*v383*/
	v_mul_i32_i24_e32 v126 /*v382*/, v89 /*v345*/, v81 /*v337*/
	s_set_vgpr_msb 0x44                     ;  msbs: dst=1 src0=0 src1=1 src2=0
	v_mul_i32_i24_e32 v127 /*v383*/, v96, v82 /*v338*/
	s_set_vgpr_msb 0x55                     ;  msbs: dst=1 src0=1 src1=1 src2=1
	v_add3_u32 v129 /*v385*/, v129 /*v385*/, v130 /*v386*/, v132 /*v388*/
	s_set_vgpr_msb 0x41                     ;  msbs: dst=1 src0=1 src1=0 src2=0
	v_mul_i32_i24_e32 v130 /*v386*/, v86 /*v342*/, v255
	s_set_vgpr_msb 0x55                     ;  msbs: dst=1 src0=1 src1=1 src2=1
	v_mad_i32_i24 v133 /*v389*/, v56 /*v312*/, v79 /*v335*/, v133 /*v389*/
	v_mad_i32_i24 v123 /*v379*/, v87 /*v343*/, v79 /*v335*/, v123 /*v379*/
	s_set_vgpr_msb 64                       ;  msbs: dst=1 src0=0 src1=0 src2=0
	v_dual_lshrrev_b32 v23 /*v279*/, 28, v237 :: v_dual_bitop2_b32 v24 /*v280*/, 15, v237 bitop3:0x40
	s_set_vgpr_msb 0                        ;  msbs: dst=0 src0=0 src1=0 src2=0
	v_bfe_u32 v239, v88, 24, 4
	s_set_vgpr_msb 64                       ;  msbs: dst=1 src0=0 src1=0 src2=0
	v_dual_ashrrev_i32 v94 /*v350*/, 24, v122 :: v_dual_ashrrev_i32 v98 /*v354*/, 24, v149
	v_dual_ashrrev_i32 v97 /*v353*/, 24, v146 :: v_dual_ashrrev_i32 v134 /*v390*/, 24, v108
	v_bfe_i32 v99 /*v355*/, v148, 0, 8
	s_set_vgpr_msb 0x45                     ;  msbs: dst=1 src0=1 src1=1 src2=0
	v_mul_i32_i24_e32 v117 /*v373*/, v62 /*v318*/, v81 /*v337*/
	v_mul_i32_i24_e32 v120 /*v376*/, v63 /*v319*/, v82 /*v338*/
	s_set_vgpr_msb 0x41                     ;  msbs: dst=1 src0=1 src1=0 src2=0
	v_mul_i32_i24_e32 v132 /*v388*/, v89 /*v345*/, v89
	s_set_vgpr_msb 0x55                     ;  msbs: dst=1 src0=1 src1=1 src2=1
	v_add3_u32 v77 /*v333*/, v133 /*v389*/, v77 /*v333*/, v114 /*v370*/
	s_set_vgpr_msb 0x44                     ;  msbs: dst=1 src0=0 src1=1 src2=0
	v_mul_i32_i24_e32 v114 /*v370*/, v96, v8 /*v264*/
	s_set_vgpr_msb 0x41                     ;  msbs: dst=1 src0=1 src1=0 src2=0
	v_mul_i32_i24_e32 v133 /*v389*/, v86 /*v342*/, v242
	s_set_vgpr_msb 0x55                     ;  msbs: dst=1 src0=1 src1=1 src2=1
	v_mad_i32_i24 v116 /*v372*/, v60 /*v316*/, v79 /*v335*/, v116 /*v372*/
	v_add3_u32 v123 /*v379*/, v123 /*v379*/, v126 /*v382*/, v127 /*v383*/
	v_mul_i32_i24_e32 v126 /*v382*/, v91 /*v347*/, v22 /*v278*/
	s_set_vgpr_msb 0x51                     ;  msbs: dst=1 src0=1 src1=0 src2=1
	v_mad_i32_i24 v130 /*v386*/, v87 /*v343*/, v254, v130 /*v386*/
	s_set_vgpr_msb 64                       ;  msbs: dst=1 src0=0 src1=0 src2=0
	v_bfe_u32 v25 /*v281*/, v237, 4, 4
	s_set_vgpr_msb 0                        ;  msbs: dst=0 src0=0 src1=0 src2=0
	v_dual_lshrrev_b32 v252, 4, v237 :: v_dual_bitop2_b32 v199, 15, v88 bitop3:0x40
	s_set_vgpr_msb 64                       ;  msbs: dst=1 src0=0 src1=0 src2=0
	v_bfe_u32 v26 /*v282*/, v237, 16, 4
	s_set_vgpr_msb 0                        ;  msbs: dst=0 src0=0 src1=0 src2=0
	v_bfe_u32 v118, v134, 8, 4
	s_set_vgpr_msb 64                       ;  msbs: dst=1 src0=0 src1=0 src2=0
	v_bfe_u32 v95 /*v351*/, v134, 16, 4
	s_set_vgpr_msb 0                        ;  msbs: dst=0 src0=0 src1=0 src2=0
	v_bfe_u32 v134, v134, 24, 4
	s_set_vgpr_msb 64                       ;  msbs: dst=1 src0=0 src1=0 src2=0
	v_bfe_i32 v100 /*v356*/, v122, 0, 8
	v_bfe_i32 v101 /*v357*/, v146, 0, 8
	;; [unrolled: 1-line block ×5, first 2 shown]
	s_set_vgpr_msb 0x55                     ;  msbs: dst=1 src0=1 src1=1 src2=1
	v_add3_u32 v116 /*v372*/, v116 /*v372*/, v117 /*v373*/, v120 /*v376*/
	v_mul_i32_i24_e32 v117 /*v373*/, v89 /*v345*/, v49 /*v305*/
	s_set_vgpr_msb 0x44                     ;  msbs: dst=1 src0=0 src1=1 src2=0
	v_mul_i32_i24_e32 v120 /*v376*/, v96, v50 /*v306*/
	s_set_vgpr_msb 0                        ;  msbs: dst=0 src0=0 src1=0 src2=0
	v_mul_i32_i24_e32 v232, v120, v232
	s_set_vgpr_msb 0x55                     ;  msbs: dst=1 src0=1 src1=1 src2=1
	v_mul_i32_i24_e32 v127 /*v383*/, v97 /*v353*/, v23 /*v279*/
	v_add3_u32 v114 /*v370*/, v130 /*v386*/, v132 /*v388*/, v114 /*v370*/
	s_set_vgpr_msb 0x41                     ;  msbs: dst=1 src0=1 src1=0 src2=0
	v_mul_i32_i24_e32 v130 /*v386*/, v98 /*v354*/, v239
	s_set_vgpr_msb 0x45                     ;  msbs: dst=1 src0=1 src1=1 src2=0
	v_mul_i32_i24_e32 v132 /*v388*/, v99 /*v355*/, v24 /*v280*/
	s_set_vgpr_msb 0x51                     ;  msbs: dst=1 src0=1 src1=0 src2=1
	v_mad_i32_i24 v133 /*v389*/, v87 /*v343*/, v244, v133 /*v389*/
	v_mad_i32_i24 v126 /*v382*/, v94 /*v350*/, v81, v126 /*v382*/
	s_set_vgpr_msb 64                       ;  msbs: dst=1 src0=0 src1=0 src2=0
	v_bfe_u32 v27 /*v283*/, v237, 20, 4
	s_set_vgpr_msb 0                        ;  msbs: dst=0 src0=0 src1=0 src2=0
	v_bfe_u32 v231, v88, 16, 4
	s_set_vgpr_msb 64                       ;  msbs: dst=1 src0=0 src1=0 src2=0
	v_bfe_i32 v104 /*v360*/, v122, 16, 8
	v_bfe_i32 v105 /*v361*/, v146, 16, 8
	;; [unrolled: 1-line block ×6, first 2 shown]
	s_set_vgpr_msb 1                        ;  msbs: dst=0 src0=1 src1=0 src2=0
	v_mul_i32_i24_e32 v246, v95 /*v351*/, v246
	s_set_vgpr_msb 0                        ;  msbs: dst=0 src0=0 src1=0 src2=0
	v_mul_i32_i24_e32 v82, v134, v82
	s_set_vgpr_msb 0x55                     ;  msbs: dst=1 src0=1 src1=1 src2=1
	v_add3_u32 v117 /*v373*/, v133 /*v389*/, v117 /*v373*/, v120 /*v376*/
	v_mul_i32_i24_e32 v120 /*v376*/, v101 /*v357*/, v25 /*v281*/
	s_set_vgpr_msb 0x41                     ;  msbs: dst=1 src0=1 src1=0 src2=0
	v_mul_i32_i24_e32 v133 /*v389*/, v102 /*v358*/, v199
	s_set_vgpr_msb 0                        ;  msbs: dst=0 src0=0 src1=0 src2=0
	v_mad_i32_i24 v232, v118, v235, v232
	s_set_vgpr_msb 5                        ;  msbs: dst=0 src0=1 src1=1 src2=0
	v_mul_i32_i24_e32 v235, v103 /*v359*/, v26 /*v282*/
	s_set_vgpr_msb 0x55                     ;  msbs: dst=1 src0=1 src1=1 src2=1
	v_add3_u32 v126 /*v382*/, v126 /*v382*/, v127 /*v383*/, v130 /*v386*/
	v_mul_i32_i24_e32 v127 /*v383*/, v96 /*v352*/, v93 /*v349*/
	s_set_vgpr_msb 0x51                     ;  msbs: dst=1 src0=1 src1=0 src2=1
	v_mad_i32_i24 v132 /*v388*/, v100 /*v356*/, v90, v132 /*v388*/
	s_set_vgpr_msb 0                        ;  msbs: dst=0 src0=0 src1=0 src2=0
	v_add3_u32 v82, v232, v246, v82
	s_set_vgpr_msb 5                        ;  msbs: dst=0 src0=1 src1=1 src2=0
	v_mul_i32_i24_e32 v232, v105 /*v361*/, v27 /*v283*/
	s_set_vgpr_msb 1                        ;  msbs: dst=0 src0=1 src1=0 src2=0
	v_mul_i32_i24_e32 v246, v106 /*v362*/, v231
	s_set_vgpr_msb 0x55                     ;  msbs: dst=1 src0=1 src1=1 src2=1
	v_mul_i32_i24_e32 v130 /*v386*/, v32 /*v288*/, v73 /*v329*/
	v_add3_u32 v120 /*v376*/, v132 /*v388*/, v120 /*v376*/, v133 /*v389*/
	v_mul_i32_i24_e32 v132 /*v388*/, v76 /*v332*/, v80 /*v336*/
	v_mul_i32_i24_e32 v133 /*v389*/, v107 /*v363*/, v78 /*v334*/
	s_set_vgpr_msb 1                        ;  msbs: dst=0 src0=1 src1=0 src2=0
	v_mad_i32_i24 v235, v104 /*v360*/, v91, v235
	s_set_vgpr_msb 0x55                     ;  msbs: dst=1 src0=1 src1=1 src2=1
	v_mad_i32_i24 v127 /*v383*/, v74 /*v330*/, v88 /*v344*/, v127 /*v383*/
	s_set_vgpr_msb 64                       ;  msbs: dst=1 src0=0 src1=0 src2=0
	v_bfe_u32 v51 /*v307*/, v139, 8, 4
	v_bfe_u32 v52 /*v308*/, v139, 24, 4
	s_set_vgpr_msb 0x55                     ;  msbs: dst=1 src0=1 src1=1 src2=1
	v_mad_i32_i24 v133 /*v389*/, v108 /*v364*/, v79 /*v335*/, v133 /*v389*/
	s_set_vgpr_msb 0                        ;  msbs: dst=0 src0=0 src1=0 src2=0
	v_add3_u32 v235, v235, v232, v246
	s_set_vgpr_msb 5                        ;  msbs: dst=0 src0=1 src1=1 src2=0
	v_mul_i32_i24_e32 v232, v109 /*v365*/, v81 /*v337*/
	s_set_vgpr_msb 4                        ;  msbs: dst=0 src0=0 src1=1 src2=0
	v_mul_i32_i24_e32 v246, v98, v82 /*v338*/
	s_set_vgpr_msb 0x55                     ;  msbs: dst=1 src0=1 src1=1 src2=1
	v_add3_u32 v127 /*v383*/, v130 /*v386*/, v132 /*v388*/, v127 /*v383*/
	s_set_vgpr_msb 0x41                     ;  msbs: dst=1 src0=1 src1=0 src2=0
	v_mul_i32_i24_e32 v130 /*v386*/, v107 /*v363*/, v255
	v_mul_i32_i24_e32 v132 /*v388*/, v109 /*v365*/, v89
	s_set_vgpr_msb 64                       ;  msbs: dst=1 src0=0 src1=0 src2=0
	v_bfe_i32 v65 /*v321*/, v130, 8, 8
	s_set_vgpr_msb 1                        ;  msbs: dst=0 src0=1 src1=0 src2=0
	v_add3_u32 v246, v133 /*v389*/, v232, v246
	s_set_vgpr_msb 4                        ;  msbs: dst=0 src0=0 src1=1 src2=0
	v_mul_i32_i24_e32 v232, v98, v8 /*v264*/
	s_set_vgpr_msb 0x51                     ;  msbs: dst=1 src0=1 src1=0 src2=1
	v_mul_i32_i24_e32 v133 /*v389*/, v107 /*v363*/, v242
	v_mad_i32_i24 v130 /*v386*/, v108 /*v364*/, v254, v130 /*v386*/
	v_dual_ashrrev_i32 v66 /*v322*/, 24, v130 :: v_dual_ashrrev_i32 v68 /*v324*/, 24, v128
	s_set_vgpr_msb 64                       ;  msbs: dst=1 src0=0 src1=0 src2=0
	v_bfe_i32 v67 /*v323*/, v128, 8, 8
	s_set_vgpr_msb 0x51                     ;  msbs: dst=1 src0=1 src1=0 src2=1
	v_mad_i32_i24 v133 /*v389*/, v108 /*v364*/, v244, v133 /*v389*/
	s_set_vgpr_msb 0x45                     ;  msbs: dst=1 src0=1 src1=1 src2=0
	v_add3_u32 v130 /*v386*/, v130 /*v386*/, v132 /*v388*/, v232
	s_set_vgpr_msb 5                        ;  msbs: dst=0 src0=1 src1=1 src2=0
	v_mul_i32_i24_e32 v232, v109 /*v365*/, v49 /*v305*/
	s_set_vgpr_msb 0x44                     ;  msbs: dst=1 src0=0 src1=1 src2=0
	v_mul_i32_i24_e32 v132 /*v388*/, v98, v50 /*v306*/
	s_set_vgpr_msb 0                        ;  msbs: dst=0 src0=0 src1=0 src2=0
	v_lshrrev_b16 v122, 8, v122
	s_set_vgpr_msb 64                       ;  msbs: dst=1 src0=0 src1=0 src2=0
	v_bfe_u32 v110 /*v366*/, v135, 8, 4
	v_bfe_u32 v111 /*v367*/, v135, 24, 4
	s_wait_dscnt 0x3
	v_bfe_i32 v136 /*v392*/, v112, 8, 8
	s_set_vgpr_msb 0x51                     ;  msbs: dst=1 src0=1 src1=0 src2=1
	v_add3_u32 v132 /*v388*/, v133 /*v389*/, v232, v132 /*v388*/
	s_set_vgpr_msb 5                        ;  msbs: dst=0 src0=1 src1=1 src2=0
	v_mul_i32_i24_e32 v232, v41 /*v297*/, v21 /*v277*/
	s_set_vgpr_msb 0x45                     ;  msbs: dst=1 src0=1 src1=1 src2=0
	v_mul_i32_i24_e32 v133 /*v389*/, v43 /*v299*/, v33 /*v289*/
	s_set_vgpr_msb 64                       ;  msbs: dst=1 src0=0 src1=0 src2=0
	v_bfe_i32 v135 /*v391*/, v122, 0, 8
	v_ashrrev_i32_e32 v137 /*v393*/, 24, v112
	v_bfe_i32 v138 /*v394*/, v130, 16, 8
	s_set_vgpr_msb 0                        ;  msbs: dst=0 src0=0 src1=0 src2=0
	v_and_b32_e32 v237, 0xf0f0f0f, v237
	s_set_vgpr_msb 0x45                     ;  msbs: dst=1 src0=1 src1=1 src2=0
	v_add3_u32 v112 /*v368*/, v112 /*v368*/, v133 /*v389*/, v232
	s_set_vgpr_msb 0                        ;  msbs: dst=0 src0=0 src1=0 src2=0
	v_mul_i32_i24_e32 v232, v254, v250
	s_set_vgpr_msb 64                       ;  msbs: dst=1 src0=0 src1=0 src2=0
	v_mul_i32_i24_e32 v133 /*v389*/, v255, v251
	s_set_vgpr_msb 1                        ;  msbs: dst=0 src0=1 src1=0 src2=0
	v_mul_i32_i24_e32 v122, v135 /*v391*/, v255
	v_lshrrev_b16 v237, 8, v237
	s_set_vgpr_msb 64                       ;  msbs: dst=1 src0=0 src1=0 src2=0
	v_bfe_i32 v44 /*v300*/, v154, 0, 8
	v_bfe_i32 v45 /*v301*/, v154, 8, 8
	s_set_vgpr_msb 0x45                     ;  msbs: dst=1 src0=1 src1=1 src2=0
	v_add3_u32 v113 /*v369*/, v113 /*v369*/, v133 /*v389*/, v232
	s_set_vgpr_msb 5                        ;  msbs: dst=0 src0=1 src1=1 src2=0
	v_mul_i32_i24_e32 v232, v41 /*v297*/, v51 /*v307*/
	s_set_vgpr_msb 0x45                     ;  msbs: dst=1 src0=1 src1=1 src2=0
	v_mul_i32_i24_e32 v133 /*v389*/, v43 /*v299*/, v52 /*v308*/
	s_set_vgpr_msb 1                        ;  msbs: dst=0 src0=1 src1=0 src2=0
	v_mad_i32_i24 v122, v100 /*v356*/, v254, v122
	s_set_vgpr_msb 5                        ;  msbs: dst=0 src0=1 src1=1 src2=0
	v_mul_i32_i24_e32 v254, v94 /*v350*/, v82 /*v338*/
	s_set_vgpr_msb 64                       ;  msbs: dst=1 src0=0 src1=0 src2=0
	v_bfe_i32 v46 /*v302*/, v154, 16, 8
	s_set_vgpr_msb 0                        ;  msbs: dst=0 src0=0 src1=0 src2=0
	v_bfe_i32 v154, v155, 0, 8
	s_set_vgpr_msb 0x45                     ;  msbs: dst=1 src0=1 src1=1 src2=0
	v_add3_u32 v118 /*v374*/, v118 /*v374*/, v133 /*v389*/, v232
	s_set_vgpr_msb 0                        ;  msbs: dst=0 src0=0 src1=0 src2=0
	v_mul_i32_i24_e32 v232, v244, v250
	s_set_vgpr_msb 64                       ;  msbs: dst=1 src0=0 src1=0 src2=0
	v_mul_i32_i24_e32 v133 /*v389*/, v242, v251
	s_set_vgpr_msb 1                        ;  msbs: dst=0 src0=1 src1=0 src2=0
	v_mul_i32_i24_e32 v242, v135 /*v391*/, v242
	s_set_vgpr_msb 0                        ;  msbs: dst=0 src0=0 src1=0 src2=0
	v_bfe_i32 v146, v146, 8, 8
	v_bfe_i32 v255, v155, 16, 8
	v_bfe_u32 v211, v88, 20, 4
	s_set_vgpr_msb 0x45                     ;  msbs: dst=1 src0=1 src1=1 src2=0
	v_add3_u32 v122 /*v378*/, v122 /*v378*/, v133 /*v389*/, v232
	s_set_vgpr_msb 5                        ;  msbs: dst=0 src0=1 src1=1 src2=0
	v_mul_i32_i24_e32 v232, v65 /*v321*/, v21 /*v277*/
	s_set_vgpr_msb 0x45                     ;  msbs: dst=1 src0=1 src1=1 src2=0
	v_mul_i32_i24_e32 v133 /*v389*/, v66 /*v322*/, v33 /*v289*/
	s_set_vgpr_msb 1                        ;  msbs: dst=0 src0=1 src1=0 src2=0
	v_mad_i32_i24 v242, v100 /*v356*/, v244, v242
	s_set_vgpr_msb 5                        ;  msbs: dst=0 src0=1 src1=1 src2=0
	v_mul_i32_i24_e32 v244, v135 /*v391*/, v78 /*v334*/
	s_set_vgpr_msb 0                        ;  msbs: dst=0 src0=0 src1=0 src2=0
	v_bfe_u32 v203, v88, 4, 4
	s_set_vgpr_msb 64                       ;  msbs: dst=1 src0=0 src1=0 src2=0
	v_bfe_u32 v55 /*v311*/, v139, 16, 4
	s_set_vgpr_msb 0x45                     ;  msbs: dst=1 src0=1 src1=1 src2=0
	v_add3_u32 v125 /*v381*/, v125 /*v381*/, v133 /*v389*/, v232
	s_set_vgpr_msb 5                        ;  msbs: dst=0 src0=1 src1=1 src2=0
	v_mul_i32_i24_e32 v232, v67 /*v323*/, v21 /*v277*/
	s_set_vgpr_msb 0x45                     ;  msbs: dst=1 src0=1 src1=1 src2=0
	v_mul_i32_i24_e32 v133 /*v389*/, v68 /*v324*/, v33 /*v289*/
	s_set_vgpr_msb 5                        ;  msbs: dst=0 src0=1 src1=1 src2=0
	v_mad_i32_i24 v244, v100 /*v356*/, v79 /*v335*/, v244
	s_set_vgpr_msb 0                        ;  msbs: dst=0 src0=0 src1=0 src2=0
	v_mul_i32_i24_e32 v144, v81, v144
	v_mul_i32_i24_e32 v92, v81, v92
	;; [unrolled: 1-line block ×3, first 2 shown]
	s_set_vgpr_msb 0x45                     ;  msbs: dst=1 src0=1 src1=1 src2=0
	v_add3_u32 v128 /*v384*/, v128 /*v384*/, v133 /*v389*/, v232
	s_set_vgpr_msb 5                        ;  msbs: dst=0 src0=1 src1=1 src2=0
	v_mul_i32_i24_e32 v232, v65 /*v321*/, v51 /*v307*/
	s_set_vgpr_msb 0x45                     ;  msbs: dst=1 src0=1 src1=1 src2=0
	v_mul_i32_i24_e32 v133 /*v389*/, v66 /*v322*/, v52 /*v308*/
	s_set_vgpr_msb 0                        ;  msbs: dst=0 src0=0 src1=0 src2=0
	v_mul_i32_i24_e32 v98, v81, v98
	v_and_b32_e32 v88, 0xf0f0f0f, v88
	v_bfe_i32 v149, v149, 8, 8
	s_set_vgpr_msb 64                       ;  msbs: dst=1 src0=0 src1=0 src2=0
	v_lshrrev_b32_e32 v139 /*v395*/, 28, v135
	s_set_vgpr_msb 0x45                     ;  msbs: dst=1 src0=1 src1=1 src2=0
	v_add3_u32 v131 /*v387*/, v131 /*v387*/, v133 /*v389*/, v232
	s_set_vgpr_msb 5                        ;  msbs: dst=0 src0=1 src1=1 src2=0
	v_mul_i32_i24_e32 v232, v67 /*v323*/, v51 /*v307*/
	s_set_vgpr_msb 0x45                     ;  msbs: dst=1 src0=1 src1=1 src2=0
	v_mul_i32_i24_e32 v133 /*v389*/, v68 /*v324*/, v52 /*v308*/
	s_set_vgpr_msb 0                        ;  msbs: dst=0 src0=0 src1=0 src2=0
	v_lshrrev_b16 v88, 8, v88
	v_bfe_u32 v208, v143, 8, 4
	s_set_vgpr_msb 64                       ;  msbs: dst=1 src0=0 src1=0 src2=0
	v_dual_ashrrev_i32 v144 /*v400*/, 24, v116 :: v_dual_ashrrev_i32 v154 /*v410*/, 24, v114
	s_set_vgpr_msb 0x45                     ;  msbs: dst=1 src0=1 src1=1 src2=0
	v_add3_u32 v72 /*v328*/, v72 /*v328*/, v133 /*v389*/, v232
	s_set_vgpr_msb 5                        ;  msbs: dst=0 src0=1 src1=1 src2=0
	v_mul_i32_i24_e32 v232, v41 /*v297*/, v110 /*v366*/
	s_set_vgpr_msb 0x45                     ;  msbs: dst=1 src0=1 src1=1 src2=0
	v_mul_i32_i24_e32 v133 /*v389*/, v43 /*v299*/, v111 /*v367*/
	s_set_vgpr_msb 64                       ;  msbs: dst=1 src0=0 src1=0 src2=0
	v_bfe_i32 v141 /*v397*/, v114, 16, 8
	v_bfe_i32 v140 /*v396*/, v116, 16, 8
	v_ashrrev_i32_e32 v155 /*v411*/, 24, v106
	s_wait_dscnt 0x1
	s_set_vgpr_msb 0                        ;  msbs: dst=0 src0=0 src1=0 src2=0
	v_bfe_i32 v106, v111, 0, 8
	s_set_vgpr_msb 0x45                     ;  msbs: dst=1 src0=1 src1=1 src2=0
	v_add3_u32 v115 /*v371*/, v115 /*v371*/, v133 /*v389*/, v232
	s_set_vgpr_msb 5                        ;  msbs: dst=0 src0=1 src1=1 src2=0
	v_mul_i32_i24_e32 v232, v104 /*v360*/, v81 /*v337*/
	s_set_vgpr_msb 64                       ;  msbs: dst=1 src0=0 src1=0 src2=0
	v_bfe_i32 v133 /*v389*/, v108, 8, 8
	v_bfe_i32 v157 /*v413*/, v93, 8, 8
	;; [unrolled: 1-line block ×3, first 2 shown]
	v_dual_lshrrev_b32 v186 /*v442*/, 16, v151 :: v_dual_lshrrev_b32 v187 /*v443*/, 16, v206
	s_set_vgpr_msb 0                        ;  msbs: dst=0 src0=0 src1=0 src2=0
	v_add3_u32 v244, v244, v232, v254
	s_set_vgpr_msb 1                        ;  msbs: dst=0 src0=1 src1=0 src2=0
	v_mul_i32_i24_e32 v232, v104 /*v360*/, v89
	s_set_vgpr_msb 5                        ;  msbs: dst=0 src0=1 src1=1 src2=0
	v_mul_i32_i24_e32 v254, v94 /*v350*/, v8 /*v264*/
	s_set_vgpr_msb 4                        ;  msbs: dst=0 src0=0 src1=1 src2=0
	v_mul_i32_i24_e32 v89, v89, v6 /*v262*/
	s_set_vgpr_msb 64                       ;  msbs: dst=1 src0=0 src1=0 src2=0
	v_bfe_i32 v159 /*v415*/, v99, 8, 8
	v_bfe_i32 v160 /*v416*/, v99, 16, 8
	v_dual_lshrrev_b32 v184 /*v440*/, 16, v210 :: v_dual_lshrrev_b32 v185 /*v441*/, 16, v207
	v_add3_u32 v100 /*v356*/, v122, v232, v254
	s_set_vgpr_msb 5                        ;  msbs: dst=0 src0=1 src1=1 src2=0
	v_mul_i32_i24_e32 v122, v104 /*v360*/, v49 /*v305*/
	v_mul_i32_i24_e32 v232, v94 /*v350*/, v50 /*v306*/
	s_set_vgpr_msb 0                        ;  msbs: dst=0 src0=0 src1=0 src2=0
	v_bfe_i32 v254, v155, 8, 8
	v_ashrrev_i32_e32 v155, 24, v155
	s_set_vgpr_msb 64                       ;  msbs: dst=1 src0=0 src1=0 src2=0
	v_dual_lshrrev_b32 v182 /*v438*/, 16, v212 :: v_dual_lshrrev_b32 v183 /*v439*/, 16, v209
	v_add3_u32 v94 /*v350*/, v242, v122, v232
	s_set_vgpr_msb 5                        ;  msbs: dst=0 src0=1 src1=1 src2=0
	v_mul_i32_i24_e32 v122, v133 /*v389*/, v110 /*v366*/
	v_mul_i32_i24_e32 v232, v134 /*v390*/, v111 /*v367*/
	s_set_vgpr_msb 0                        ;  msbs: dst=0 src0=0 src1=0 src2=0
	v_lshrrev_b16 v242, 8, v252
	v_bfe_u32 v252, v143, 24, 4
	s_set_vgpr_msb 64                       ;  msbs: dst=1 src0=0 src1=0 src2=0
	v_bfe_u32 v142 /*v398*/, v95, 20, 4
	v_bfe_i32 v143 /*v399*/, v97, 8, 8
	s_set_vgpr_msb 0x41                     ;  msbs: dst=1 src0=1 src1=0 src2=0
	v_add3_u32 v104 /*v360*/, v119 /*v375*/, v232, v122
	s_set_vgpr_msb 5                        ;  msbs: dst=0 src0=1 src1=1 src2=0
	v_mul_i32_i24_e32 v122, v133 /*v389*/, v21 /*v277*/
	v_mul_i32_i24_e32 v232, v134 /*v390*/, v33 /*v289*/
	s_set_vgpr_msb 64                       ;  msbs: dst=1 src0=0 src1=0 src2=0
	v_bfe_i32 v156 /*v412*/, v97, 16, 8
	v_dual_lshrrev_b32 v178 /*v434*/, 16, v218 :: v_dual_lshrrev_b32 v180 /*v436*/, 16, v213
	v_dual_lshrrev_b32 v179 /*v435*/, 16, v214 :: v_dual_lshrrev_b32 v181 /*v437*/, 16, v215
	s_set_vgpr_msb 0x41                     ;  msbs: dst=1 src0=1 src1=0 src2=0
	v_add3_u32 v119 /*v375*/, v124 /*v380*/, v232, v122
	s_set_vgpr_msb 5                        ;  msbs: dst=0 src0=1 src1=1 src2=0
	v_mul_i32_i24_e32 v122, v133 /*v389*/, v51 /*v307*/
	v_mul_i32_i24_e32 v232, v134 /*v390*/, v52 /*v308*/
	s_set_vgpr_msb 0x41                     ;  msbs: dst=1 src0=1 src1=0 src2=0
	v_dual_lshrrev_b32 v173 /*v429*/, 16, v226 :: v_dual_lshrrev_b32 v174 /*v430*/, 16, v223
	v_dual_lshrrev_b32 v175 /*v431*/, 16, v221 :: v_dual_lshrrev_b32 v176 /*v432*/, 16, v222
	s_delay_alu instid0(VALU_DEP_3)
	v_add3_u32 v124 /*v380*/, v129 /*v385*/, v232, v122
	s_set_vgpr_msb 5                        ;  msbs: dst=0 src0=1 src1=1 src2=0
	v_mul_i32_i24_e32 v122, v65 /*v321*/, v110 /*v366*/
	v_mul_i32_i24_e32 v232, v66 /*v322*/, v111 /*v367*/
	s_set_vgpr_msb 64                       ;  msbs: dst=1 src0=0 src1=0 src2=0
	v_bfe_i32 v129 /*v385*/, v130, 0, 8
	s_set_vgpr_msb 1                        ;  msbs: dst=0 src0=1 src1=0 src2=0
	v_mul_i32_i24_e32 v130, v79 /*v335*/, v250
	s_set_vgpr_msb 64                       ;  msbs: dst=1 src0=0 src1=0 src2=0
	v_ashrrev_i32_e32 v79 /*v335*/, 24, v147
	s_set_vgpr_msb 0x45                     ;  msbs: dst=1 src0=1 src1=1 src2=0
	v_mul_i32_i24_e32 v66 /*v322*/, v66 /*v322*/, v22 /*v278*/
	s_set_vgpr_msb 0x41                     ;  msbs: dst=1 src0=1 src1=0 src2=0
	v_add3_u32 v77 /*v333*/, v77 /*v333*/, v232, v122
	s_set_vgpr_msb 5                        ;  msbs: dst=0 src0=1 src1=1 src2=0
	v_mul_i32_i24_e32 v122, v67 /*v323*/, v110 /*v366*/
	v_mul_i32_i24_e32 v232, v68 /*v324*/, v111 /*v367*/
	s_set_vgpr_msb 0x45                     ;  msbs: dst=1 src0=1 src1=1 src2=0
	v_mul_i32_i24_e32 v68 /*v324*/, v68 /*v324*/, v22 /*v278*/
	s_set_vgpr_msb 0                        ;  msbs: dst=0 src0=0 src1=0 src2=0
	v_dual_add_nc_u32 v196, 16, v196 :: v_dual_add_nc_u32 v195, 4, v195
	v_dual_add_nc_u32 v194, 4, v194 :: v_dual_add_nc_u32 v193, 4, v193
	s_set_vgpr_msb 0x41                     ;  msbs: dst=1 src0=1 src1=0 src2=0
	v_add3_u32 v116 /*v372*/, v116 /*v372*/, v232, v122
	s_set_vgpr_msb 5                        ;  msbs: dst=0 src0=1 src1=1 src2=0
	v_mul_i32_i24_e32 v122, v136 /*v392*/, v110 /*v366*/
	v_mul_i32_i24_e32 v232, v137 /*v393*/, v111 /*v367*/
	s_set_vgpr_msb 0                        ;  msbs: dst=0 src0=0 src1=0 src2=0
	v_dual_add_nc_u32 v192, 4, v192 :: v_dual_add_nc_u32 v191, 4, v191
	v_add_nc_u32_e32 v190, 32, v190
	s_add_co_i32 s12, s12, 4
	s_set_vgpr_msb 0x41                     ;  msbs: dst=1 src0=1 src1=0 src2=0
	v_add3_u32 v123 /*v379*/, v123 /*v379*/, v232, v122
	s_set_vgpr_msb 5                        ;  msbs: dst=0 src0=1 src1=1 src2=0
	v_mul_i32_i24_e32 v122, v136 /*v392*/, v21 /*v277*/
	v_mul_i32_i24_e32 v232, v137 /*v393*/, v33 /*v289*/
	s_cmp_lt_u32 s12, 12
	s_set_vgpr_msb 0x41                     ;  msbs: dst=1 src0=1 src1=0 src2=0
	v_lshrrev_b32_e32 v177 /*v433*/, 16, v220
	s_delay_alu instid0(VALU_DEP_2) | instskip(SKIP_4) | instid1(VALU_DEP_1)
	v_add3_u32 v114 /*v370*/, v114 /*v370*/, v232, v122
	s_set_vgpr_msb 5                        ;  msbs: dst=0 src0=1 src1=1 src2=0
	v_mul_i32_i24_e32 v122, v136 /*v392*/, v51 /*v307*/
	v_mul_i32_i24_e32 v232, v137 /*v393*/, v52 /*v308*/
	s_set_vgpr_msb 0x41                     ;  msbs: dst=1 src0=1 src1=0 src2=0
	v_add3_u32 v117 /*v373*/, v117 /*v373*/, v232, v122
	s_set_vgpr_msb 1                        ;  msbs: dst=0 src0=1 src1=0 src2=0
	v_lshrrev_b16 v122, 8, v236
	v_mul_i32_i24_e32 v232, v78 /*v334*/, v251
	s_set_vgpr_msb 0                        ;  msbs: dst=0 src0=0 src1=0 src2=0
	v_mul_i32_i24_e32 v236, v90, v250
	s_set_vgpr_msb 64                       ;  msbs: dst=1 src0=0 src1=0 src2=0
	v_bfe_i32 v78 /*v334*/, v147, 0, 8
	s_set_vgpr_msb 0                        ;  msbs: dst=0 src0=0 src1=0 src2=0
	v_and_b32_e32 v122, 15, v122
	v_add3_u32 v82, v82, v232, v130
	v_bfe_i32 v130, v148, 8, 8
	s_delay_alu instid0(VALU_DEP_3) | instskip(NEXT) | instid1(VALU_DEP_1)
	v_and_b32_e32 v148, 0xffff, v122
	v_mul_i32_i24_e32 v232, v148, v245
	v_mul_i32_i24_e32 v251, v148, v251
	s_set_vgpr_msb 4                        ;  msbs: dst=0 src0=0 src1=1 src2=0
	v_mul_i32_i24_e32 v122, v148, v38 /*v294*/
	v_mul_i32_i24_e32 v245, v148, v86 /*v342*/
	s_set_vgpr_msb 64                       ;  msbs: dst=1 src0=0 src1=0 src2=0
	v_and_b32_e32 v86 /*v342*/, 0xffff, v237
	s_set_vgpr_msb 0x44                     ;  msbs: dst=1 src0=0 src1=1 src2=0
	v_mad_i32_i24 v56 /*v312*/, v90, v56 /*v312*/, v232
	s_set_vgpr_msb 4                        ;  msbs: dst=0 src0=0 src1=1 src2=0
	v_mul_i32_i24_e32 v232, v148, v59 /*v315*/
	s_set_vgpr_msb 0x41                     ;  msbs: dst=1 src0=1 src1=0 src2=0
	v_add3_u32 v71 /*v327*/, v71 /*v327*/, v251, v236
	s_set_vgpr_msb 0                        ;  msbs: dst=0 src0=0 src1=0 src2=0
	v_and_b32_e32 v236, 15, v242
	v_mad_i32_i24 v243, v90, v243, v122
	s_set_vgpr_msb 4                        ;  msbs: dst=0 src0=0 src1=1 src2=0
	v_mul_i32_i24_e32 v122, v148, v83 /*v339*/
	s_set_vgpr_msb 0x44                     ;  msbs: dst=1 src0=0 src1=1 src2=0
	v_mad_i32_i24 v59 /*v315*/, v90, v60 /*v316*/, v232
	v_mad_i32_i24 v60 /*v316*/, v90, v87 /*v343*/, v245
	s_set_vgpr_msb 64                       ;  msbs: dst=1 src0=0 src1=0 src2=0
	v_and_b32_e32 v87 /*v343*/, 0xffff, v236
	v_bfe_i32 v38 /*v294*/, v147, 16, 8
	s_set_vgpr_msb 4                        ;  msbs: dst=0 src0=0 src1=1 src2=0
	v_mad_i32_i24 v250, v90, v84 /*v340*/, v122
	v_bfe_i32 v122, v107, 16, 8
	v_mul_i32_i24_e32 v245, v148, v107 /*v363*/
	v_mul_i32_i24_e32 v236, v130, v86 /*v342*/
	s_set_vgpr_msb 1                        ;  msbs: dst=0 src0=1 src1=0 src2=0
	v_mul_i32_i24_e32 v148, v135 /*v391*/, v148
	s_set_vgpr_msb 4                        ;  msbs: dst=0 src0=0 src1=1 src2=0
	v_mul_i32_i24_e32 v237, v146, v87 /*v343*/
	v_bfe_i32 v232, v107, 0, 8
	v_mad_i32_i24 v90, v90, v108 /*v364*/, v245
	s_set_vgpr_msb 0                        ;  msbs: dst=0 src0=0 src1=0 src2=0
	v_ashrrev_i32_e32 v245, 24, v107
	s_set_vgpr_msb 64                       ;  msbs: dst=1 src0=0 src1=0 src2=0
	v_bfe_i32 v83 /*v339*/, v110, 8, 8
	s_set_vgpr_msb 0                        ;  msbs: dst=0 src0=0 src1=0 src2=0
	v_add3_u32 v148, v148, v236, v237
	s_set_vgpr_msb 1                        ;  msbs: dst=0 src0=1 src1=0 src2=0
	v_mul_i32_i24_e32 v236, v38 /*v294*/, v211
	s_set_vgpr_msb 0                        ;  msbs: dst=0 src0=0 src1=0 src2=0
	v_mul_i32_i24_e32 v237, v122, v229
	s_set_vgpr_msb 64                       ;  msbs: dst=1 src0=0 src1=0 src2=0
	v_ashrrev_i32_e32 v84 /*v340*/, 24, v110
	v_bfe_i32 v135 /*v391*/, v128, 16, 8
	s_set_vgpr_msb 0                        ;  msbs: dst=0 src0=0 src1=0 src2=0
	v_ashrrev_i32_e32 v242, 24, v141
	v_bfe_i32 v251, v145, 0, 8
	s_set_vgpr_msb 64                       ;  msbs: dst=1 src0=0 src1=0 src2=0
	v_add3_u32 v107 /*v363*/, v235, v236, v237
	s_set_vgpr_msb 1                        ;  msbs: dst=0 src0=1 src1=0 src2=0
	v_mul_i32_i24_e32 v235, v78 /*v334*/, v203
	s_set_vgpr_msb 0                        ;  msbs: dst=0 src0=0 src1=0 src2=0
	v_mul_i32_i24_e32 v236, v232, v230
	s_set_vgpr_msb 0x45                     ;  msbs: dst=1 src0=1 src1=1 src2=0
	v_mul_i32_i24_e32 v67 /*v323*/, v67 /*v323*/, v86 /*v342*/
	v_mul_i32_i24_e32 v65 /*v321*/, v65 /*v321*/, v86 /*v342*/
	s_set_vgpr_msb 0                        ;  msbs: dst=0 src0=0 src1=0 src2=0
	v_bfe_i32 v237, v141, 0, 8
	s_set_vgpr_msb 0x41                     ;  msbs: dst=1 src0=1 src1=0 src2=0
	v_add3_u32 v108 /*v364*/, v120 /*v376*/, v235, v236
	s_set_vgpr_msb 1                        ;  msbs: dst=0 src0=1 src1=0 src2=0
	v_mul_i32_i24_e32 v235, v79 /*v335*/, v200
	s_set_vgpr_msb 0                        ;  msbs: dst=0 src0=0 src1=0 src2=0
	v_mul_i32_i24_e32 v236, v245, v225
	s_set_vgpr_msb 0x41                     ;  msbs: dst=1 src0=1 src1=0 src2=0
	s_delay_alu instid0(VALU_DEP_1) | instskip(SKIP_4) | instid1(VALU_DEP_1)
	v_add3_u32 v120 /*v376*/, v126 /*v382*/, v235, v236
	s_set_vgpr_msb 5                        ;  msbs: dst=0 src0=1 src1=1 src2=0
	v_mul_i32_i24_e32 v235, v83 /*v339*/, v110 /*v366*/
	v_mul_i32_i24_e32 v236, v84 /*v340*/, v111 /*v367*/
	s_set_vgpr_msb 0                        ;  msbs: dst=0 src0=0 src1=0 src2=0
	v_add3_u32 v246, v246, v236, v235
	s_set_vgpr_msb 5                        ;  msbs: dst=0 src0=1 src1=1 src2=0
	v_mul_i32_i24_e32 v235, v83 /*v339*/, v21 /*v277*/
	v_mul_i32_i24_e32 v236, v84 /*v340*/, v33 /*v289*/
	s_set_vgpr_msb 0x41                     ;  msbs: dst=1 src0=1 src1=0 src2=0
	s_delay_alu instid0(VALU_DEP_1)
	v_add3_u32 v126 /*v382*/, v130 /*v386*/, v236, v235
	s_set_vgpr_msb 5                        ;  msbs: dst=0 src0=1 src1=1 src2=0
	v_mul_i32_i24_e32 v235, v83 /*v339*/, v51 /*v307*/
	v_mul_i32_i24_e32 v236, v84 /*v340*/, v52 /*v308*/
	s_set_vgpr_msb 0x45                     ;  msbs: dst=1 src0=1 src1=1 src2=0
	v_mul_i32_i24_e32 v83 /*v339*/, v83 /*v339*/, v86 /*v342*/
	s_set_vgpr_msb 0x41                     ;  msbs: dst=1 src0=1 src1=0 src2=0
	s_delay_alu instid0(VALU_DEP_2)
	v_add3_u32 v130 /*v386*/, v132 /*v388*/, v236, v235
	s_set_vgpr_msb 5                        ;  msbs: dst=0 src0=1 src1=1 src2=0
	v_mul_i32_i24_e32 v235, v40 /*v296*/, v30 /*v286*/
	v_mul_i32_i24_e32 v236, v42 /*v298*/, v31 /*v287*/
	s_set_vgpr_msb 64                       ;  msbs: dst=1 src0=0 src1=0 src2=0
	v_bfe_i32 v132 /*v388*/, v128, 0, 8
	s_set_vgpr_msb 1                        ;  msbs: dst=0 src0=1 src1=0 src2=0
	v_mul_i32_i24_e32 v128, v8 /*v264*/, v80
	s_set_vgpr_msb 0x41                     ;  msbs: dst=1 src0=1 src1=0 src2=0
	v_ashrrev_i32_e32 v8 /*v264*/, 24, v145
	v_add3_u32 v112 /*v368*/, v112 /*v368*/, v235, v236
	s_set_vgpr_msb 5                        ;  msbs: dst=0 src0=1 src1=1 src2=0
	v_mul_i32_i24_e32 v235, v42 /*v298*/, v55 /*v311*/
	s_set_vgpr_msb 1                        ;  msbs: dst=0 src0=1 src1=0 src2=0
	v_add3_u32 v89, v113 /*v369*/, v89, v128
	s_set_vgpr_msb 5                        ;  msbs: dst=0 src0=1 src1=1 src2=0
	v_mul_i32_i24_e32 v128, v40 /*v296*/, v53 /*v309*/
	s_set_vgpr_msb 1                        ;  msbs: dst=0 src0=1 src1=0 src2=0
	v_mul_i32_i24_e32 v236, v50 /*v306*/, v80
	s_set_vgpr_msb 64                       ;  msbs: dst=1 src0=0 src1=0 src2=0
	v_and_b32_e32 v113 /*v369*/, 15, v135
	s_set_vgpr_msb 0x45                     ;  msbs: dst=1 src0=1 src1=1 src2=0
	v_mul_i32_i24_e32 v84 /*v340*/, v84 /*v340*/, v22 /*v278*/
	s_set_vgpr_msb 1                        ;  msbs: dst=0 src0=1 src1=0 src2=0
	v_add3_u32 v128, v118 /*v374*/, v128, v235
	s_set_vgpr_msb 5                        ;  msbs: dst=0 src0=1 src1=1 src2=0
	v_mul_i32_i24_e32 v235, v49 /*v305*/, v6 /*v262*/
	s_set_vgpr_msb 64                       ;  msbs: dst=1 src0=0 src1=0 src2=0
	v_bfe_u32 v118 /*v374*/, v135, 16, 4
	s_set_vgpr_msb 0x41                     ;  msbs: dst=1 src0=1 src1=0 src2=0
	s_delay_alu instid0(VALU_DEP_2) | instskip(SKIP_4) | instid1(VALU_DEP_1)
	v_add3_u32 v49 /*v305*/, v122 /*v378*/, v235, v236
	s_set_vgpr_msb 5                        ;  msbs: dst=0 src0=1 src1=1 src2=0
	v_mul_i32_i24_e32 v235, v129 /*v385*/, v30 /*v286*/
	v_mul_i32_i24_e32 v236, v138 /*v394*/, v31 /*v287*/
	s_set_vgpr_msb 0x41                     ;  msbs: dst=1 src0=1 src1=0 src2=0
	v_add3_u32 v50 /*v306*/, v125 /*v381*/, v235, v236
	s_set_vgpr_msb 5                        ;  msbs: dst=0 src0=1 src1=1 src2=0
	v_mul_i32_i24_e32 v235, v132 /*v388*/, v30 /*v286*/
	v_mul_i32_i24_e32 v236, v135 /*v391*/, v31 /*v287*/
	s_set_vgpr_msb 0x41                     ;  msbs: dst=1 src0=1 src1=0 src2=0
	s_delay_alu instid0(VALU_DEP_1)
	v_add3_u32 v122 /*v378*/, v128 /*v384*/, v235, v236
	s_set_vgpr_msb 5                        ;  msbs: dst=0 src0=1 src1=1 src2=0
	v_mul_i32_i24_e32 v235, v129 /*v385*/, v53 /*v309*/
	v_mul_i32_i24_e32 v236, v138 /*v394*/, v55 /*v311*/
	s_set_vgpr_msb 64                       ;  msbs: dst=1 src0=0 src1=0 src2=0
	v_bfe_u32 v128 /*v384*/, v135, 4, 4
	s_set_vgpr_msb 0x41                     ;  msbs: dst=1 src0=1 src1=0 src2=0
	s_delay_alu instid0(VALU_DEP_2) | instskip(SKIP_4) | instid1(VALU_DEP_1)
	v_add3_u32 v125 /*v381*/, v131 /*v387*/, v235, v236
	s_set_vgpr_msb 5                        ;  msbs: dst=0 src0=1 src1=1 src2=0
	v_mul_i32_i24_e32 v235, v132 /*v388*/, v53 /*v309*/
	v_mul_i32_i24_e32 v236, v135 /*v391*/, v55 /*v311*/
	s_set_vgpr_msb 0x41                     ;  msbs: dst=1 src0=1 src1=0 src2=0
	v_add3_u32 v72 /*v328*/, v72 /*v328*/, v235, v236
	s_set_vgpr_msb 5                        ;  msbs: dst=0 src0=1 src1=1 src2=0
	v_mul_i32_i24_e32 v235, v40 /*v296*/, v113 /*v369*/
	v_mul_i32_i24_e32 v236, v42 /*v298*/, v118 /*v374*/
	s_set_vgpr_msb 0x41                     ;  msbs: dst=1 src0=1 src1=0 src2=0
	s_delay_alu instid0(VALU_DEP_1)
	v_add3_u32 v115 /*v371*/, v115 /*v371*/, v235, v236
	s_set_vgpr_msb 4                        ;  msbs: dst=0 src0=0 src1=1 src2=0
	v_mul_i32_i24_e32 v235, v91, v39 /*v295*/
	s_set_vgpr_msb 5                        ;  msbs: dst=0 src0=1 src1=1 src2=0
	v_mul_i32_i24_e32 v236, v91 /*v347*/, v111 /*v367*/
	s_set_vgpr_msb 0                        ;  msbs: dst=0 src0=0 src1=0 src2=0
	s_delay_alu instid0(VALU_DEP_2) | instskip(SKIP_4) | instid1(VALU_DEP_2)
	v_add3_u32 v144, v243, v235, v144
	s_set_vgpr_msb 4                        ;  msbs: dst=0 src0=0 src1=1 src2=0
	v_mul_i32_i24_e32 v235, v130, v110 /*v366*/
	v_bfe_u32 v243, v143, 16, 4
	s_set_vgpr_msb 64                       ;  msbs: dst=1 src0=0 src1=0 src2=0
	v_add3_u32 v39 /*v295*/, v244, v236, v235
	s_set_vgpr_msb 4                        ;  msbs: dst=0 src0=0 src1=1 src2=0
	v_mul_i32_i24_e32 v235, v130, v21 /*v277*/
	s_set_vgpr_msb 5                        ;  msbs: dst=0 src0=1 src1=1 src2=0
	v_mul_i32_i24_e32 v236, v91 /*v347*/, v33 /*v289*/
	s_set_vgpr_msb 4                        ;  msbs: dst=0 src0=0 src1=1 src2=0
	v_mul_i32_i24_e32 v130, v130, v51 /*v307*/
	s_set_vgpr_msb 0                        ;  msbs: dst=0 src0=0 src1=0 src2=0
	v_and_b32_e32 v244, 15, v143
	s_set_vgpr_msb 0x41                     ;  msbs: dst=1 src0=1 src1=0 src2=0
	v_add3_u32 v100 /*v356*/, v100 /*v356*/, v236, v235
	s_set_vgpr_msb 5                        ;  msbs: dst=0 src0=1 src1=1 src2=0
	v_mul_i32_i24_e32 v236, v91 /*v347*/, v52 /*v308*/
	s_set_vgpr_msb 0                        ;  msbs: dst=0 src0=0 src1=0 src2=0
	v_bfe_i32 v235, v141, 8, 8
	s_set_vgpr_msb 0x41                     ;  msbs: dst=1 src0=1 src1=0 src2=0
	s_delay_alu instid0(VALU_DEP_2)
	v_add3_u32 v91 /*v347*/, v94 /*v350*/, v236, v130
	s_set_vgpr_msb 64                       ;  msbs: dst=1 src0=0 src1=0 src2=0
	v_bfe_i32 v94 /*v350*/, v108, 0, 8
	s_set_vgpr_msb 4                        ;  msbs: dst=0 src0=0 src1=1 src2=0
	v_bfe_i32 v108, v108, 16, 8
	v_mul_i32_i24_e32 v130, v91, v85 /*v341*/
	s_delay_alu instid0(VALU_DEP_2) | instskip(SKIP_1) | instid1(VALU_DEP_2)
	v_mul_i32_i24_e32 v236, v108, v118 /*v374*/
	s_set_vgpr_msb 0                        ;  msbs: dst=0 src0=0 src1=0 src2=0
	v_add3_u32 v92, v250, v130, v92
	s_set_vgpr_msb 5                        ;  msbs: dst=0 src0=1 src1=1 src2=0
	v_mul_i32_i24_e32 v130, v94 /*v350*/, v113 /*v369*/
	s_set_vgpr_msb 4                        ;  msbs: dst=0 src0=0 src1=1 src2=0
	v_mul_i32_i24_e32 v250, v81, v63 /*v319*/
	s_set_vgpr_msb 64                       ;  msbs: dst=1 src0=0 src1=0 src2=0
	v_bfe_i32 v63 /*v319*/, v112, 16, 8
	s_set_vgpr_msb 0x41                     ;  msbs: dst=1 src0=1 src1=0 src2=0
	v_add3_u32 v85 /*v341*/, v104 /*v360*/, v130, v236
	s_set_vgpr_msb 5                        ;  msbs: dst=0 src0=1 src1=1 src2=0
	v_mul_i32_i24_e32 v130, v94 /*v350*/, v30 /*v286*/
	s_set_vgpr_msb 4                        ;  msbs: dst=0 src0=0 src1=1 src2=0
	v_mul_i32_i24_e32 v236, v108, v31 /*v287*/
	s_set_vgpr_msb 0x41                     ;  msbs: dst=1 src0=1 src1=0 src2=0
	s_delay_alu instid0(VALU_DEP_1)
	v_add3_u32 v104 /*v360*/, v119 /*v375*/, v130, v236
	s_set_vgpr_msb 5                        ;  msbs: dst=0 src0=1 src1=1 src2=0
	v_mul_i32_i24_e32 v130, v94 /*v350*/, v53 /*v309*/
	s_set_vgpr_msb 4                        ;  msbs: dst=0 src0=0 src1=1 src2=0
	v_mul_i32_i24_e32 v236, v108, v55 /*v311*/
	s_set_vgpr_msb 0x41                     ;  msbs: dst=1 src0=1 src1=0 src2=0
	s_delay_alu instid0(VALU_DEP_1)
	v_add3_u32 v119 /*v375*/, v124 /*v380*/, v130, v236
	s_set_vgpr_msb 4                        ;  msbs: dst=0 src0=0 src1=1 src2=0
	v_mul_i32_i24_e32 v130, v91, v57 /*v313*/
	v_mul_i32_i24_e32 v236, v81, v58 /*v314*/
	s_set_vgpr_msb 0                        ;  msbs: dst=0 src0=0 src1=0 src2=0
	v_mul_i32_i24_e32 v81, v81, v80
	s_set_vgpr_msb 1                        ;  msbs: dst=0 src0=1 src1=0 src2=0
	v_mul_i32_i24_e32 v80, v82 /*v338*/, v80
	s_set_vgpr_msb 64                       ;  msbs: dst=1 src0=0 src1=0 src2=0
	v_bfe_i32 v82 /*v338*/, v110, 16, 8
	s_set_vgpr_msb 0x41                     ;  msbs: dst=1 src0=1 src1=0 src2=0
	v_add3_u32 v56 /*v312*/, v56 /*v312*/, v130, v236
	s_set_vgpr_msb 5                        ;  msbs: dst=0 src0=1 src1=1 src2=0
	v_mul_i32_i24_e32 v130, v129 /*v385*/, v113 /*v369*/
	v_mul_i32_i24_e32 v236, v138 /*v394*/, v118 /*v374*/
	s_set_vgpr_msb 0x55                     ;  msbs: dst=1 src0=1 src1=1 src2=1
	v_add3_u32 v56 /*v312*/, v56 /*v312*/, v66 /*v322*/, v65 /*v321*/
	s_set_vgpr_msb 0x41                     ;  msbs: dst=1 src0=1 src1=0 src2=0
	s_delay_alu instid0(VALU_DEP_2)
	v_add3_u32 v57 /*v313*/, v77 /*v333*/, v130, v236
	s_set_vgpr_msb 4                        ;  msbs: dst=0 src0=0 src1=1 src2=0
	v_mul_i32_i24_e32 v130, v91, v62 /*v318*/
	s_set_vgpr_msb 64                       ;  msbs: dst=1 src0=0 src1=0 src2=0
	v_bfe_i32 v62 /*v318*/, v112, 0, 8
	s_set_vgpr_msb 4                        ;  msbs: dst=0 src0=0 src1=1 src2=0
	v_mul_i32_i24_e32 v112, v91, v89 /*v345*/
	v_bfe_u32 v236, v143, 4, 4
	s_set_vgpr_msb 0x41                     ;  msbs: dst=1 src0=1 src1=0 src2=0
	v_add3_u32 v58 /*v314*/, v59 /*v315*/, v130, v250
	s_set_vgpr_msb 5                        ;  msbs: dst=0 src0=1 src1=1 src2=0
	v_mul_i32_i24_e32 v130, v132 /*v388*/, v113 /*v369*/
	v_mul_i32_i24_e32 v250, v135 /*v391*/, v118 /*v374*/
	s_set_vgpr_msb 1                        ;  msbs: dst=0 src0=1 src1=0 src2=0
	v_add3_u32 v96, v60 /*v316*/, v112, v96
	s_set_vgpr_msb 5                        ;  msbs: dst=0 src0=1 src1=1 src2=0
	v_mul_i32_i24_e32 v112, v62 /*v318*/, v113 /*v369*/
	s_set_vgpr_msb 0x55                     ;  msbs: dst=1 src0=1 src1=1 src2=1
	v_add3_u32 v58 /*v314*/, v58 /*v314*/, v68 /*v324*/, v67 /*v323*/
	s_set_vgpr_msb 0x41                     ;  msbs: dst=1 src0=1 src1=0 src2=0
	v_add3_u32 v59 /*v315*/, v116 /*v372*/, v130, v250
	s_set_vgpr_msb 5                        ;  msbs: dst=0 src0=1 src1=1 src2=0
	v_mul_i32_i24_e32 v130, v63 /*v319*/, v118 /*v374*/
	s_set_vgpr_msb 64                       ;  msbs: dst=1 src0=0 src1=0 src2=0
	v_bfe_i32 v116 /*v372*/, v126, 0, 8
	s_set_vgpr_msb 0                        ;  msbs: dst=0 src0=0 src1=0 src2=0
	v_bfe_i32 v250, v141, 16, 8
	v_bfe_i32 v141, v140, 0, 8
	s_set_vgpr_msb 0x41                     ;  msbs: dst=1 src0=1 src1=0 src2=0
	v_add3_u32 v60 /*v316*/, v123 /*v379*/, v112, v130
	s_set_vgpr_msb 5                        ;  msbs: dst=0 src0=1 src1=1 src2=0
	v_mul_i32_i24_e32 v112, v62 /*v318*/, v30 /*v286*/
	v_mul_i32_i24_e32 v130, v63 /*v319*/, v31 /*v287*/
	s_set_vgpr_msb 64                       ;  msbs: dst=1 src0=0 src1=0 src2=0
	v_and_b32_e32 v123 /*v379*/, 0xffff, v88
	s_set_vgpr_msb 0x45                     ;  msbs: dst=1 src0=1 src1=1 src2=0
	v_mul_i32_i24_e32 v65 /*v321*/, v116 /*v372*/, v128 /*v384*/
	s_set_vgpr_msb 0x41                     ;  msbs: dst=1 src0=1 src1=0 src2=0
	v_add3_u32 v77 /*v333*/, v114 /*v370*/, v112, v130
	s_set_vgpr_msb 5                        ;  msbs: dst=0 src0=1 src1=1 src2=0
	v_mul_i32_i24_e32 v112, v62 /*v318*/, v53 /*v309*/
	v_mul_i32_i24_e32 v130, v63 /*v319*/, v55 /*v311*/
	s_set_vgpr_msb 4                        ;  msbs: dst=0 src0=0 src1=1 src2=0
	v_mul_i32_i24_e32 v88, v149, v123 /*v379*/
	s_set_vgpr_msb 0x41                     ;  msbs: dst=1 src0=1 src1=0 src2=0
	v_lshrrev_b32_e32 v114 /*v370*/, 28, v139
	v_add3_u32 v89 /*v345*/, v117 /*v373*/, v112, v130
	s_set_vgpr_msb 4                        ;  msbs: dst=0 src0=0 src1=1 src2=0
	v_mul_i32_i24_e32 v112, v91, v109 /*v365*/
	s_set_vgpr_msb 64                       ;  msbs: dst=1 src0=0 src1=0 src2=0
	v_bfe_i32 v117 /*v373*/, v147, 8, 8
	v_bfe_u32 v109 /*v365*/, v139, 4, 4
	s_set_vgpr_msb 0                        ;  msbs: dst=0 src0=0 src1=0 src2=0
	v_bfe_i32 v130, v140, 16, 8
	v_add3_u32 v98, v90, v112, v98
	s_set_vgpr_msb 4                        ;  msbs: dst=0 src0=0 src1=1 src2=0
	v_mul_i32_i24_e32 v90, v91, v6 /*v262*/
	s_set_vgpr_msb 5                        ;  msbs: dst=0 src0=1 src1=1 src2=0
	v_mul_i32_i24_e32 v91, v81 /*v337*/, v6 /*v262*/
	v_lshrrev_b16 v112, 8, v19 /*v275*/
	s_set_vgpr_msb 0                        ;  msbs: dst=0 src0=0 src1=0 src2=0
	v_ashrrev_i32_e32 v147, 24, v126
	s_set_vgpr_msb 64                       ;  msbs: dst=1 src0=0 src1=0 src2=0
	v_bfe_i32 v6 /*v262*/, v124, 0, 8
	s_set_vgpr_msb 1                        ;  msbs: dst=0 src0=1 src1=0 src2=0
	v_add3_u32 v81, v71 /*v327*/, v90, v81
	s_set_vgpr_msb 0                        ;  msbs: dst=0 src0=0 src1=0 src2=0
	v_add3_u32 v80, v82, v91, v80
	v_and_b32_e32 v91, 15, v112
	v_bfe_i32 v82, v110, 0, 8
	s_set_vgpr_msb 64                       ;  msbs: dst=1 src0=0 src1=0 src2=0
	v_ashrrev_i32_e32 v81 /*v337*/, 24, v124
	v_bfe_u32 v19 /*v275*/, v143, 12, 4
	s_set_vgpr_msb 0x45                     ;  msbs: dst=1 src0=1 src1=1 src2=0
	v_mul_i32_i24_e32 v67 /*v323*/, v6 /*v262*/, v128 /*v384*/
	s_set_vgpr_msb 0                        ;  msbs: dst=0 src0=0 src1=0 src2=0
	v_and_b32_e32 v110, 0xffff, v91
	s_set_vgpr_msb 0x44                     ;  msbs: dst=1 src0=0 src1=1 src2=0
	v_mul_i32_i24_e32 v66 /*v322*/, v147, v139 /*v395*/
	s_set_vgpr_msb 0x45                     ;  msbs: dst=1 src0=1 src1=1 src2=0
	v_mul_i32_i24_e32 v68 /*v324*/, v81 /*v337*/, v139 /*v395*/
	s_set_vgpr_msb 20                       ;  msbs: dst=0 src0=0 src1=1 src2=1
	v_add3_u32 v98, v98, v84 /*v340*/, v83 /*v339*/
	s_set_vgpr_msb 64                       ;  msbs: dst=1 src0=0 src1=0 src2=0
	v_bfe_u32 v83 /*v339*/, v132, 12, 4
	s_set_vgpr_msb 1                        ;  msbs: dst=0 src0=1 src1=0 src2=0
	v_mul_i32_i24_e32 v90, v117 /*v373*/, v110
	s_set_vgpr_msb 0x55                     ;  msbs: dst=1 src0=1 src1=1 src2=1
	v_add3_u32 v57 /*v313*/, v57 /*v313*/, v66 /*v322*/, v65 /*v321*/
	v_add3_u32 v59 /*v315*/, v59 /*v315*/, v68 /*v324*/, v67 /*v323*/
	s_set_vgpr_msb 64                       ;  msbs: dst=1 src0=0 src1=0 src2=0
	v_bfe_i32 v67 /*v323*/, v104, 0, 8
	v_ashrrev_i32_e32 v68 /*v324*/, 24, v104
	s_set_vgpr_msb 0                        ;  msbs: dst=0 src0=0 src1=0 src2=0
	v_add3_u32 v148, v148, v88, v90
	s_set_vgpr_msb 4                        ;  msbs: dst=0 src0=0 src1=1 src2=0
	v_mul_i32_i24_e32 v88, v82, v113 /*v369*/
	s_set_vgpr_msb 5                        ;  msbs: dst=0 src0=1 src1=1 src2=0
	v_mul_i32_i24_e32 v90, v82 /*v338*/, v118 /*v374*/
	s_set_vgpr_msb 64                       ;  msbs: dst=1 src0=0 src1=0 src2=0
	v_and_b32_e32 v65 /*v321*/, 15, v132
	v_bfe_u32 v66 /*v322*/, v132, 16, 4
	v_bfe_u32 v84 /*v340*/, v132, 20, 4
	s_set_vgpr_msb 0                        ;  msbs: dst=0 src0=0 src1=0 src2=0
	v_bfe_i32 v112, v140, 8, 8
	s_set_vgpr_msb 64                       ;  msbs: dst=1 src0=0 src1=0 src2=0
	v_add3_u32 v71 /*v327*/, v246, v88, v90
	s_set_vgpr_msb 4                        ;  msbs: dst=0 src0=0 src1=1 src2=0
	v_mul_i32_i24_e32 v88, v82, v30 /*v286*/
	s_set_vgpr_msb 5                        ;  msbs: dst=0 src0=1 src1=1 src2=0
	v_mul_i32_i24_e32 v90, v82 /*v338*/, v31 /*v287*/
	s_set_vgpr_msb 0                        ;  msbs: dst=0 src0=0 src1=0 src2=0
	v_lshrrev_b32_e32 v246, 28, v143
	s_set_vgpr_msb 0x41                     ;  msbs: dst=1 src0=1 src1=0 src2=0
	s_delay_alu instid0(VALU_DEP_2)
	v_add3_u32 v124 /*v380*/, v126 /*v382*/, v88, v90
	s_set_vgpr_msb 4                        ;  msbs: dst=0 src0=0 src1=1 src2=0
	v_mul_i32_i24_e32 v88, v82, v53 /*v309*/
	s_set_vgpr_msb 5                        ;  msbs: dst=0 src0=1 src1=1 src2=0
	v_mul_i32_i24_e32 v90, v82 /*v338*/, v55 /*v311*/
	s_set_vgpr_msb 4                        ;  msbs: dst=0 src0=0 src1=1 src2=0
	v_mul_i32_i24_e32 v82, v82, v24 /*v280*/
	s_set_vgpr_msb 0x41                     ;  msbs: dst=1 src0=1 src1=0 src2=0
	s_delay_alu instid0(VALU_DEP_2) | instskip(SKIP_4) | instid1(VALU_DEP_1)
	v_add3_u32 v126 /*v382*/, v130 /*v386*/, v88, v90
	s_set_vgpr_msb 5                        ;  msbs: dst=0 src0=1 src1=1 src2=0
	v_mul_i32_i24_e32 v88, v44 /*v300*/, v34 /*v290*/
	v_mul_i32_i24_e32 v90, v47 /*v303*/, v36 /*v292*/
	s_set_vgpr_msb 0x41                     ;  msbs: dst=1 src0=1 src1=0 src2=0
	v_add3_u32 v112 /*v368*/, v112 /*v368*/, v90, v88
	s_set_vgpr_msb 5                        ;  msbs: dst=0 src0=1 src1=1 src2=0
	v_mul_i32_i24_e32 v88, v9 /*v265*/, v30 /*v286*/
	v_mul_i32_i24_e32 v90, v10 /*v266*/, v21 /*v277*/
	s_set_vgpr_msb 64                       ;  msbs: dst=1 src0=0 src1=0 src2=0
	v_bfe_u32 v21 /*v277*/, v143, 20, 4
	s_set_vgpr_msb 0                        ;  msbs: dst=0 src0=0 src1=0 src2=0
	v_bfe_i32 v143, v145, 8, 8
	s_set_vgpr_msb 64                       ;  msbs: dst=1 src0=0 src1=0 src2=0
	v_add3_u32 v130 /*v386*/, v89, v90, v88
	s_set_vgpr_msb 5                        ;  msbs: dst=0 src0=1 src1=1 src2=0
	v_mul_i32_i24_e32 v88, v44 /*v300*/, v109 /*v365*/
	v_mul_i32_i24_e32 v89, v47 /*v303*/, v114 /*v370*/
	ds_load_2addr_b32 v[90:91], v3 /*v259*/ offset1:3
	s_set_vgpr_msb 0x45                     ;  msbs: dst=1 src0=1 src1=1 src2=0
	v_mul_i32_i24_e32 v3 /*v259*/, v103 /*v359*/, v55 /*v311*/
	s_set_vgpr_msb 64                       ;  msbs: dst=1 src0=0 src1=0 src2=0
	v_add3_u32 v131 /*v387*/, v128, v89, v88
	s_set_vgpr_msb 5                        ;  msbs: dst=0 src0=1 src1=1 src2=0
	v_mul_i32_i24_e32 v88, v9 /*v265*/, v53 /*v309*/
	v_mul_i32_i24_e32 v89, v10 /*v266*/, v51 /*v307*/
	s_set_vgpr_msb 0                        ;  msbs: dst=0 src0=0 src1=0 src2=0
	v_ashrrev_i32_e32 v128, 24, v140
	v_bfe_u32 v140, v139, 12, 4
	v_bfe_u32 v139, v139, 20, 4
	s_set_vgpr_msb 0x41                     ;  msbs: dst=1 src0=1 src1=0 src2=0
	v_add3_u32 v51 /*v307*/, v49 /*v305*/, v89, v88
	s_set_vgpr_msb 5                        ;  msbs: dst=0 src0=1 src1=1 src2=0
	v_mul_i32_i24_e32 v88, v116 /*v372*/, v34 /*v290*/
	s_set_vgpr_msb 4                        ;  msbs: dst=0 src0=0 src1=1 src2=0
	v_mul_i32_i24_e32 v89, v147, v36 /*v292*/
	s_set_vgpr_msb 64                       ;  msbs: dst=1 src0=0 src1=0 src2=0
	v_bfe_i32 v49 /*v305*/, v145, 16, 8
	s_set_vgpr_msb 0x41                     ;  msbs: dst=1 src0=1 src1=0 src2=0
	s_delay_alu instid0(VALU_DEP_2)
	v_add3_u32 v50 /*v306*/, v50 /*v306*/, v89, v88
	s_set_vgpr_msb 5                        ;  msbs: dst=0 src0=1 src1=1 src2=0
	v_mul_i32_i24_e32 v88, v6 /*v262*/, v34 /*v290*/
	v_mul_i32_i24_e32 v89, v81 /*v337*/, v36 /*v292*/
	s_wait_dscnt 0x0
	s_set_vgpr_msb 64                       ;  msbs: dst=1 src0=0 src1=0 src2=0
	v_bfe_i32 v165 /*v421*/, v90, 0, 8
	v_bfe_i32 v166 /*v422*/, v90, 8, 8
	;; [unrolled: 1-line block ×3, first 2 shown]
	v_ashrrev_i32_e32 v170 /*v426*/, 24, v90
	s_set_vgpr_msb 0x41                     ;  msbs: dst=1 src0=1 src1=0 src2=0
	v_add3_u32 v122 /*v378*/, v122 /*v378*/, v89, v88
	s_set_vgpr_msb 5                        ;  msbs: dst=0 src0=1 src1=1 src2=0
	v_mul_i32_i24_e32 v88, v116 /*v372*/, v109 /*v365*/
	s_set_vgpr_msb 4                        ;  msbs: dst=0 src0=0 src1=1 src2=0
	v_mul_i32_i24_e32 v89, v147, v114 /*v370*/
	v_mul_i32_i24_e32 v147, v147, v23 /*v279*/
	s_set_vgpr_msb 0x41                     ;  msbs: dst=1 src0=1 src1=0 src2=0
	s_delay_alu instid0(VALU_DEP_2)
	v_add3_u32 v125 /*v381*/, v125 /*v381*/, v89, v88
	s_set_vgpr_msb 5                        ;  msbs: dst=0 src0=1 src1=1 src2=0
	v_mul_i32_i24_e32 v88, v6 /*v262*/, v109 /*v365*/
	v_mul_i32_i24_e32 v89, v81 /*v337*/, v114 /*v370*/
	s_set_vgpr_msb 0x45                     ;  msbs: dst=1 src0=1 src1=1 src2=0
	v_mul_i32_i24_e32 v6 /*v262*/, v6 /*v262*/, v25 /*v281*/
	v_mul_i32_i24_e32 v81 /*v337*/, v81 /*v337*/, v23 /*v279*/
	s_set_vgpr_msb 0x41                     ;  msbs: dst=1 src0=1 src1=0 src2=0
	v_add3_u32 v72 /*v328*/, v72 /*v328*/, v89, v88
	s_set_vgpr_msb 5                        ;  msbs: dst=0 src0=1 src1=1 src2=0
	v_mul_i32_i24_e32 v88, v44 /*v300*/, v128 /*v384*/
	v_mul_i32_i24_e32 v89, v47 /*v303*/, v139 /*v395*/
	s_set_vgpr_msb 0x45                     ;  msbs: dst=1 src0=1 src1=1 src2=0
	v_mul_i32_i24_e32 v44 /*v300*/, v44 /*v300*/, v25 /*v281*/
	v_mul_i32_i24_e32 v47 /*v303*/, v47 /*v303*/, v23 /*v279*/
	s_set_vgpr_msb 0x41                     ;  msbs: dst=1 src0=1 src1=0 src2=0
	v_add3_u32 v115 /*v371*/, v115 /*v371*/, v89, v88
	s_set_vgpr_msb 5                        ;  msbs: dst=0 src0=1 src1=1 src2=0
	v_mul_i32_i24_e32 v88, v43 /*v299*/, v22 /*v278*/
	v_mul_i32_i24_e32 v89, v41 /*v297*/, v86 /*v342*/
	s_set_vgpr_msb 64                       ;  msbs: dst=1 src0=0 src1=0 src2=0
	v_ashrrev_i32_e32 v41 /*v297*/, 24, v102
	s_set_vgpr_msb 0x45                     ;  msbs: dst=1 src0=1 src1=1 src2=0
	v_mul_i32_i24_e32 v43 /*v299*/, v133 /*v389*/, v86 /*v342*/
	s_set_vgpr_msb 0                        ;  msbs: dst=0 src0=0 src1=0 src2=0
	v_add3_u32 v144, v144, v88, v89
	s_set_vgpr_msb 5                        ;  msbs: dst=0 src0=1 src1=1 src2=0
	v_mul_i32_i24_e32 v88, v99 /*v355*/, v113 /*v369*/
	v_mul_i32_i24_e32 v89, v103 /*v359*/, v118 /*v374*/
	s_set_vgpr_msb 1                        ;  msbs: dst=0 src0=1 src1=0 src2=0
	s_delay_alu instid0(VALU_DEP_1)
	v_add3_u32 v145, v39 /*v295*/, v88, v89
	s_set_vgpr_msb 5                        ;  msbs: dst=0 src0=1 src1=1 src2=0
	v_mul_i32_i24_e32 v88, v99 /*v355*/, v30 /*v286*/
	v_mul_i32_i24_e32 v89, v103 /*v359*/, v31 /*v287*/
	s_set_vgpr_msb 64                       ;  msbs: dst=1 src0=0 src1=0 src2=0
	v_bfe_i32 v39 /*v295*/, v102, 0, 8
	s_set_vgpr_msb 0x45                     ;  msbs: dst=1 src0=1 src1=1 src2=0
	v_mul_i32_i24_e32 v103 /*v359*/, v10 /*v266*/, v110 /*v366*/
	s_set_vgpr_msb 0x41                     ;  msbs: dst=1 src0=1 src1=0 src2=0
	v_add3_u32 v30 /*v286*/, v100 /*v356*/, v88, v89
	s_set_vgpr_msb 1                        ;  msbs: dst=0 src0=1 src1=0 src2=0
	ds_load_2addr_b32 v[88:89], v2 /*v258*/ offset1:3
	s_set_vgpr_msb 0x45                     ;  msbs: dst=1 src0=1 src1=1 src2=0
	v_mul_i32_i24_e32 v2 /*v258*/, v99 /*v355*/, v53 /*v309*/
	v_mul_i32_i24_e32 v99 /*v355*/, v137 /*v393*/, v22 /*v278*/
	;; [unrolled: 1-line block ×4, first 2 shown]
	s_set_vgpr_msb 64                       ;  msbs: dst=1 src0=0 src1=0 src2=0
	v_bfe_i32 v137 /*v393*/, v116, 8, 8
	s_set_vgpr_msb 0x55                     ;  msbs: dst=1 src0=1 src1=1 src2=1
	v_add3_u32 v2 /*v258*/, v91 /*v347*/, v2 /*v258*/, v3 /*v259*/
	v_mul_i32_i24_e32 v3 /*v259*/, v134 /*v390*/, v22 /*v278*/
	s_set_vgpr_msb 20                       ;  msbs: dst=0 src0=0 src1=1 src2=1
	v_add3_u32 v96, v96, v99 /*v355*/, v100 /*v356*/
	s_set_vgpr_msb 0x45                     ;  msbs: dst=1 src0=1 src1=1 src2=0
	v_mul_i32_i24_e32 v99 /*v355*/, v67 /*v323*/, v128 /*v384*/
	v_mul_i32_i24_e32 v100 /*v356*/, v68 /*v324*/, v139 /*v395*/
	s_set_vgpr_msb 64                       ;  msbs: dst=1 src0=0 src1=0 src2=0
	v_bfe_u32 v91 /*v347*/, v132, 24, 4
	s_set_vgpr_msb 20                       ;  msbs: dst=0 src0=0 src1=1 src2=1
	v_add3_u32 v92, v92, v3 /*v259*/, v43 /*v299*/
	s_set_vgpr_msb 0x55                     ;  msbs: dst=1 src0=1 src1=1 src2=1
	v_mul_i32_i24_e32 v3 /*v259*/, v39 /*v295*/, v128 /*v384*/
	v_mul_i32_i24_e32 v43 /*v299*/, v41 /*v297*/, v139 /*v395*/
	v_add3_u32 v60 /*v316*/, v60 /*v316*/, v100 /*v356*/, v99 /*v355*/
	v_mul_i32_i24_e32 v99 /*v355*/, v67 /*v323*/, v34 /*v290*/
	v_mul_i32_i24_e32 v100 /*v356*/, v68 /*v324*/, v36 /*v292*/
	s_set_vgpr_msb 64                       ;  msbs: dst=1 src0=0 src1=0 src2=0
	v_bfe_i32 v134 /*v390*/, v114, 8, 8
	s_set_vgpr_msb 0x55                     ;  msbs: dst=1 src0=1 src1=1 src2=1
	v_add3_u32 v3 /*v259*/, v85 /*v341*/, v43 /*v299*/, v3 /*v259*/
	v_mul_i32_i24_e32 v43 /*v299*/, v39 /*v295*/, v34 /*v290*/
	v_mul_i32_i24_e32 v85 /*v341*/, v41 /*v297*/, v114 /*v370*/
	v_add3_u32 v77 /*v333*/, v77 /*v333*/, v100 /*v356*/, v99 /*v355*/
	v_mul_i32_i24_e32 v99 /*v355*/, v67 /*v323*/, v109 /*v365*/
	v_mul_i32_i24_e32 v100 /*v356*/, v68 /*v324*/, v114 /*v370*/
	;; [unrolled: 3-line block ×3, first 2 shown]
	v_mul_i32_i24_e32 v41 /*v297*/, v41 /*v297*/, v23 /*v279*/
	v_add3_u32 v89 /*v345*/, v89 /*v345*/, v100 /*v356*/, v99 /*v355*/
	s_set_vgpr_msb 64                       ;  msbs: dst=1 src0=0 src1=0 src2=0
	v_bfe_u32 v99 /*v355*/, v132, 4, 4
	s_set_vgpr_msb 0x55                     ;  msbs: dst=1 src0=1 src1=1 src2=1
	v_add3_u32 v53 /*v309*/, v119 /*v375*/, v85 /*v341*/, v53 /*v309*/
	s_set_vgpr_msb 64                       ;  msbs: dst=1 src0=0 src1=0 src2=0
	v_bfe_u32 v85 /*v341*/, v132, 8, 4
	v_lshrrev_b32_e32 v100 /*v356*/, 28, v132
	s_set_vgpr_msb 5                        ;  msbs: dst=0 src0=1 src1=1 src2=0
	v_mul_i32_i24_e32 v132, v9 /*v265*/, v113 /*v369*/
	s_set_vgpr_msb 64                       ;  msbs: dst=1 src0=0 src1=0 src2=0
	v_bfe_i32 v113 /*v369*/, v126, 8, 8
	s_set_vgpr_msb 0                        ;  msbs: dst=0 src0=0 src1=0 src2=0
	v_bfe_i32 v126, v126, 16, 8
	s_set_vgpr_msb 64                       ;  msbs: dst=1 src0=0 src1=0 src2=0
	v_bfe_i32 v119 /*v375*/, v124, 8, 8
	s_set_vgpr_msb 0                        ;  msbs: dst=0 src0=0 src1=0 src2=0
	v_bfe_i32 v124, v124, 16, 8
	s_set_vgpr_msb 0x44                     ;  msbs: dst=1 src0=0 src1=1 src2=0
	v_add3_u32 v103 /*v359*/, v80, v103 /*v359*/, v132
	s_set_vgpr_msb 5                        ;  msbs: dst=0 src0=1 src1=1 src2=0
	v_lshrrev_b16 v132, 8, v28 /*v284*/
	v_mul_i32_i24_e32 v80, v9 /*v265*/, v24 /*v280*/
	s_set_vgpr_msb 64                       ;  msbs: dst=1 src0=0 src1=0 src2=0
	v_bfe_i32 v9 /*v265*/, v107, 8, 8
	s_set_vgpr_msb 5                        ;  msbs: dst=0 src0=1 src1=1 src2=0
	v_mul_i32_i24_e32 v107, v10 /*v266*/, v86 /*v342*/
	s_set_vgpr_msb 64                       ;  msbs: dst=1 src0=0 src1=0 src2=0
	v_bfe_i32 v10 /*v266*/, v100, 0, 8
	s_set_vgpr_msb 0                        ;  msbs: dst=0 src0=0 src1=0 src2=0
	v_and_b32_e32 v132, 0xffff, v132
	s_set_vgpr_msb 64                       ;  msbs: dst=1 src0=0 src1=0 src2=0
	v_ashrrev_i32_e32 v28 /*v284*/, 24, v100
	s_set_vgpr_msb 0x45                     ;  msbs: dst=1 src0=1 src1=1 src2=0
	v_mul_i32_i24_e32 v67 /*v323*/, v67 /*v323*/, v25 /*v281*/
	s_set_vgpr_msb 0                        ;  msbs: dst=0 src0=0 src1=0 src2=0
	v_add3_u32 v107, v81, v107, v80
	s_set_vgpr_msb 64                       ;  msbs: dst=1 src0=0 src1=0 src2=0
	v_bfe_i32 v136 /*v392*/, v101, 16, 8
	s_set_vgpr_msb 1                        ;  msbs: dst=0 src0=1 src1=0 src2=0
	v_mul_i32_i24_e32 v80, v9 /*v265*/, v132
	s_set_vgpr_msb 5                        ;  msbs: dst=0 src0=1 src1=1 src2=0
	v_mul_i32_i24_e32 v81, v28 /*v284*/, v139 /*v395*/
	s_wait_dscnt 0x0
	s_set_vgpr_msb 64                       ;  msbs: dst=1 src0=0 src1=0 src2=0
	v_bfe_i32 v161 /*v417*/, v88, 0, 8
	v_bfe_i32 v162 /*v418*/, v88, 8, 8
	;; [unrolled: 1-line block ×3, first 2 shown]
	s_set_vgpr_msb 16                       ;  msbs: dst=0 src0=0 src1=0 src2=1
	v_add3_u32 v148, v148, v80, v120 /*v376*/
	s_set_vgpr_msb 5                        ;  msbs: dst=0 src0=1 src1=1 src2=0
	v_mul_i32_i24_e32 v80, v10 /*v266*/, v128 /*v384*/
	s_set_vgpr_msb 64                       ;  msbs: dst=1 src0=0 src1=0 src2=0
	v_bfe_u32 v120 /*v376*/, v135, 12, 4
	s_set_vgpr_msb 0                        ;  msbs: dst=0 src0=0 src1=0 src2=0
	v_bfe_u32 v135, v135, 20, 4
	s_set_vgpr_msb 64                       ;  msbs: dst=1 src0=0 src1=0 src2=0
	v_ashrrev_i32_e32 v168 /*v424*/, 24, v88
	v_bfe_u32 v104 /*v360*/, v133, 8, 4
	s_set_vgpr_msb 0x41                     ;  msbs: dst=1 src0=1 src1=0 src2=0
	v_add3_u32 v71 /*v327*/, v71 /*v327*/, v81, v80
	s_set_vgpr_msb 5                        ;  msbs: dst=0 src0=1 src1=1 src2=0
	v_mul_i32_i24_e32 v80, v10 /*v266*/, v34 /*v290*/
	v_mul_i32_i24_e32 v81, v28 /*v284*/, v36 /*v292*/
	s_set_vgpr_msb 0x41                     ;  msbs: dst=1 src0=1 src1=0 src2=0
	s_delay_alu instid0(VALU_DEP_1)
	v_add3_u32 v86 /*v342*/, v124 /*v380*/, v81, v80
	s_set_vgpr_msb 5                        ;  msbs: dst=0 src0=1 src1=1 src2=0
	v_mul_i32_i24_e32 v80, v10 /*v266*/, v109 /*v365*/
	v_mul_i32_i24_e32 v81, v28 /*v284*/, v114 /*v370*/
	s_set_vgpr_msb 0x45                     ;  msbs: dst=1 src0=1 src1=1 src2=0
	v_mul_i32_i24_e32 v10 /*v266*/, v10 /*v266*/, v25 /*v281*/
	s_set_vgpr_msb 64                       ;  msbs: dst=1 src0=0 src1=0 src2=0
	v_and_b32_e32 v124 /*v380*/, 15, v133
	s_set_vgpr_msb 0x45                     ;  msbs: dst=1 src0=1 src1=1 src2=0
	v_mul_i32_i24_e32 v68 /*v324*/, v68 /*v324*/, v23 /*v279*/
	s_set_vgpr_msb 0x41                     ;  msbs: dst=1 src0=1 src1=0 src2=0
	v_add3_u32 v110 /*v366*/, v126 /*v382*/, v81, v80
	s_set_vgpr_msb 5                        ;  msbs: dst=0 src0=1 src1=1 src2=0
	v_mul_i32_i24_e32 v80, v45 /*v301*/, v35 /*v291*/
	v_mul_i32_i24_e32 v81, v46 /*v302*/, v29 /*v285*/
	s_set_vgpr_msb 64                       ;  msbs: dst=1 src0=0 src1=0 src2=0
	v_bfe_i32 v126 /*v382*/, v131, 8, 8
	s_set_vgpr_msb 0x41                     ;  msbs: dst=1 src0=1 src1=0 src2=0
	s_delay_alu instid0(VALU_DEP_2)
	v_add3_u32 v112 /*v368*/, v112 /*v368*/, v80, v81
	s_set_vgpr_msb 5                        ;  msbs: dst=0 src0=1 src1=1 src2=0
	v_mul_i32_i24_e32 v80, v11 /*v267*/, v31 /*v287*/
	s_set_vgpr_msb 4                        ;  msbs: dst=0 src0=0 src1=1 src2=0
	v_mul_i32_i24_e32 v81, v86, v33 /*v289*/
	s_set_vgpr_msb 0x41                     ;  msbs: dst=1 src0=1 src1=0 src2=0
	s_delay_alu instid0(VALU_DEP_1)
	v_add3_u32 v31 /*v287*/, v130 /*v386*/, v80, v81
	s_set_vgpr_msb 1                        ;  msbs: dst=0 src0=1 src1=0 src2=0
	v_mul_i32_i24_e32 v80, v45 /*v301*/, v140
	v_mul_i32_i24_e32 v81, v46 /*v302*/, v139
	s_set_vgpr_msb 64                       ;  msbs: dst=1 src0=0 src1=0 src2=0
	v_bfe_i32 v130 /*v386*/, v129, 8, 8
	s_set_vgpr_msb 0x41                     ;  msbs: dst=1 src0=1 src1=0 src2=0
	s_delay_alu instid0(VALU_DEP_2)
	v_add3_u32 v33 /*v289*/, v131 /*v387*/, v80, v81
	s_set_vgpr_msb 5                        ;  msbs: dst=0 src0=1 src1=1 src2=0
	v_mul_i32_i24_e32 v80, v11 /*v267*/, v55 /*v311*/
	s_set_vgpr_msb 4                        ;  msbs: dst=0 src0=0 src1=1 src2=0
	v_mul_i32_i24_e32 v81, v86, v52 /*v308*/
	s_set_vgpr_msb 64                       ;  msbs: dst=1 src0=0 src1=0 src2=0
	v_bfe_i32 v131 /*v387*/, v104, 8, 8
	s_set_vgpr_msb 0                        ;  msbs: dst=0 src0=0 src1=0 src2=0
	v_bfe_i32 v104, v104, 16, 8
	s_set_vgpr_msb 0x41                     ;  msbs: dst=1 src0=1 src1=0 src2=0
	v_add3_u32 v51 /*v307*/, v51 /*v307*/, v80, v81
	s_set_vgpr_msb 5                        ;  msbs: dst=0 src0=1 src1=1 src2=0
	v_mul_i32_i24_e32 v80, v113 /*v369*/, v35 /*v291*/
	s_set_vgpr_msb 4                        ;  msbs: dst=0 src0=0 src1=1 src2=0
	v_mul_i32_i24_e32 v81, v126, v29 /*v285*/
	s_set_vgpr_msb 0x41                     ;  msbs: dst=1 src0=1 src1=0 src2=0
	s_delay_alu instid0(VALU_DEP_1)
	v_add3_u32 v50 /*v306*/, v50 /*v306*/, v80, v81
	s_set_vgpr_msb 5                        ;  msbs: dst=0 src0=1 src1=1 src2=0
	v_mul_i32_i24_e32 v80, v119 /*v375*/, v35 /*v291*/
	s_set_vgpr_msb 4                        ;  msbs: dst=0 src0=0 src1=1 src2=0
	v_mul_i32_i24_e32 v81, v124, v29 /*v285*/
	s_set_vgpr_msb 0x41                     ;  msbs: dst=1 src0=1 src1=0 src2=0
	s_delay_alu instid0(VALU_DEP_1)
	v_add3_u32 v52 /*v308*/, v122 /*v378*/, v80, v81
	s_set_vgpr_msb 1                        ;  msbs: dst=0 src0=1 src1=0 src2=0
	v_mul_i32_i24_e32 v80, v113 /*v369*/, v140
	s_set_vgpr_msb 0                        ;  msbs: dst=0 src0=0 src1=0 src2=0
	v_mul_i32_i24_e32 v81, v126, v139
	s_set_vgpr_msb 64                       ;  msbs: dst=1 src0=0 src1=0 src2=0
	v_bfe_u32 v122 /*v378*/, v133, 24, 4
	s_set_vgpr_msb 0x41                     ;  msbs: dst=1 src0=1 src1=0 src2=0
	s_delay_alu instid0(VALU_DEP_2)
	v_add3_u32 v55 /*v311*/, v125 /*v381*/, v80, v81
	s_set_vgpr_msb 1                        ;  msbs: dst=0 src0=1 src1=0 src2=0
	v_mul_i32_i24_e32 v80, v119 /*v375*/, v140
	s_set_vgpr_msb 0                        ;  msbs: dst=0 src0=0 src1=0 src2=0
	v_mul_i32_i24_e32 v81, v124, v139
	s_set_vgpr_msb 64                       ;  msbs: dst=1 src0=0 src1=0 src2=0
	v_bfe_u32 v125 /*v381*/, v133, 12, 4
	s_set_vgpr_msb 0x41                     ;  msbs: dst=1 src0=1 src1=0 src2=0
	s_delay_alu instid0(VALU_DEP_2)
	v_add3_u32 v72 /*v328*/, v72 /*v328*/, v80, v81
	s_set_vgpr_msb 5                        ;  msbs: dst=0 src0=1 src1=1 src2=0
	v_mul_i32_i24_e32 v80, v45 /*v301*/, v120 /*v376*/
	s_set_vgpr_msb 1                        ;  msbs: dst=0 src0=1 src1=0 src2=0
	v_mul_i32_i24_e32 v81, v46 /*v302*/, v135
	s_set_vgpr_msb 0x41                     ;  msbs: dst=1 src0=1 src1=0 src2=0
	s_delay_alu instid0(VALU_DEP_1)
	v_add3_u32 v115 /*v371*/, v115 /*v371*/, v80, v81
	s_set_vgpr_msb 5                        ;  msbs: dst=0 src0=1 src1=1 src2=0
	v_mul_i32_i24_e32 v80, v40 /*v296*/, v24 /*v280*/
	v_mul_i32_i24_e32 v81, v42 /*v298*/, v26 /*v282*/
	s_set_vgpr_msb 64                       ;  msbs: dst=1 src0=0 src1=0 src2=0
	v_bfe_u32 v40 /*v296*/, v133, 16, 4
	v_bfe_u32 v42 /*v298*/, v133, 4, 4
	s_set_vgpr_msb 0                        ;  msbs: dst=0 src0=0 src1=0 src2=0
	v_add3_u32 v144, v144, v80, v81
	s_set_vgpr_msb 5                        ;  msbs: dst=0 src0=1 src1=1 src2=0
	v_mul_i32_i24_e32 v80, v101 /*v357*/, v128 /*v384*/
	v_mul_i32_i24_e32 v81, v97 /*v353*/, v139 /*v395*/
	s_set_vgpr_msb 20                       ;  msbs: dst=0 src0=0 src1=1 src2=1
	v_add3_u32 v144, v144, v47 /*v303*/, v44 /*v300*/
	s_set_vgpr_msb 0x44                     ;  msbs: dst=1 src0=0 src1=1 src2=0
	v_mul_i32_i24_e32 v44 /*v300*/, v146, v120 /*v376*/
	s_set_vgpr_msb 0                        ;  msbs: dst=0 src0=0 src1=0 src2=0
	v_add3_u32 v145, v145, v81, v80
	s_set_vgpr_msb 5                        ;  msbs: dst=0 src0=1 src1=1 src2=0
	v_mul_i32_i24_e32 v80, v101 /*v357*/, v34 /*v290*/
	v_mul_i32_i24_e32 v81, v97 /*v353*/, v36 /*v292*/
	s_set_vgpr_msb 0x45                     ;  msbs: dst=1 src0=1 src1=1 src2=0
	v_mul_i32_i24_e32 v34 /*v290*/, v12 /*v268*/, v34 /*v290*/
	s_set_vgpr_msb 0x41                     ;  msbs: dst=1 src0=1 src1=0 src2=0
	v_mul_i32_i24_e32 v47 /*v303*/, v105 /*v361*/, v135
	v_add3_u32 v30 /*v286*/, v30 /*v286*/, v81, v80
	s_set_vgpr_msb 5                        ;  msbs: dst=0 src0=1 src1=1 src2=0
	v_mul_i32_i24_e32 v80, v101 /*v357*/, v109 /*v365*/
	v_mul_i32_i24_e32 v81, v97 /*v353*/, v114 /*v370*/
	s_set_vgpr_msb 64                       ;  msbs: dst=1 src0=0 src1=0 src2=0
	v_bfe_i32 v101 /*v357*/, v102, 8, 8
	s_set_vgpr_msb 20                       ;  msbs: dst=0 src0=0 src1=1 src2=1
	v_bfe_i32 v102, v102, 16, 8
	v_add3_u32 v145, v145, v44 /*v300*/, v47 /*v303*/
	s_set_vgpr_msb 0x45                     ;  msbs: dst=1 src0=1 src1=1 src2=0
	v_mul_i32_i24_e32 v47 /*v303*/, v105 /*v361*/, v29 /*v285*/
	s_set_vgpr_msb 0x41                     ;  msbs: dst=1 src0=1 src1=0 src2=0
	v_add3_u32 v97 /*v353*/, v2 /*v258*/, v81, v80
	s_set_vgpr_msb 5                        ;  msbs: dst=0 src0=1 src1=1 src2=0
	v_mul_i32_i24_e32 v80, v94 /*v350*/, v24 /*v280*/
	s_set_vgpr_msb 4                        ;  msbs: dst=0 src0=0 src1=1 src2=0
	v_mul_i32_i24_e32 v81, v108, v26 /*v282*/
	s_set_vgpr_msb 64                       ;  msbs: dst=1 src0=0 src1=0 src2=0
	v_lshrrev_b32_e32 v94 /*v350*/, 28, v133
	v_ashrrev_i32_e32 v44 /*v300*/, 24, v117
	s_set_vgpr_msb 0                        ;  msbs: dst=0 src0=0 src1=0 src2=0
	v_bfe_u32 v133, v133, 20, 4
	v_add3_u32 v92, v92, v80, v81
	s_set_vgpr_msb 5                        ;  msbs: dst=0 src0=1 src1=1 src2=0
	v_mul_i32_i24_e32 v80, v101 /*v357*/, v120 /*v376*/
	s_set_vgpr_msb 0                        ;  msbs: dst=0 src0=0 src1=0 src2=0
	v_mul_i32_i24_e32 v81, v102, v135
	s_set_vgpr_msb 20                       ;  msbs: dst=0 src0=0 src1=1 src2=1
	v_add3_u32 v92, v92, v41 /*v297*/, v39 /*v295*/
	s_set_vgpr_msb 1                        ;  msbs: dst=0 src0=1 src1=0 src2=0
	s_delay_alu instid0(VALU_DEP_2)
	v_add3_u32 v108, v3 /*v259*/, v80, v81
	s_set_vgpr_msb 5                        ;  msbs: dst=0 src0=1 src1=1 src2=0
	v_mul_i32_i24_e32 v80, v101 /*v357*/, v35 /*v291*/
	s_set_vgpr_msb 4                        ;  msbs: dst=0 src0=0 src1=1 src2=0
	v_mul_i32_i24_e32 v81, v102, v29 /*v285*/
	s_set_vgpr_msb 0x45                     ;  msbs: dst=1 src0=1 src1=1 src2=0
	ds_load_2addr_b32 v[2:3] /*v[258:259]*/, v4 /*v260*/ offset1:3
	v_mul_i32_i24_e32 v4 /*v260*/, v11 /*v267*/, v26 /*v282*/
	v_mul_i32_i24_e32 v11 /*v267*/, v11 /*v267*/, v118 /*v374*/
	s_set_vgpr_msb 0x41                     ;  msbs: dst=1 src0=1 src1=0 src2=0
	v_lshrrev_b32_e32 v118 /*v374*/, 16, v87
	v_add3_u32 v43 /*v299*/, v43 /*v299*/, v80, v81
	s_set_vgpr_msb 1                        ;  msbs: dst=0 src0=1 src1=0 src2=0
	v_mul_i32_i24_e32 v80, v101 /*v357*/, v140
	s_set_vgpr_msb 0                        ;  msbs: dst=0 src0=0 src1=0 src2=0
	v_mul_i32_i24_e32 v81, v102, v139
	s_set_vgpr_msb 4                        ;  msbs: dst=0 src0=0 src1=1 src2=0
	v_mul_i32_i24_e32 v102, v102, v27 /*v283*/
	s_set_vgpr_msb 0x41                     ;  msbs: dst=1 src0=1 src1=0 src2=0
	s_delay_alu instid0(VALU_DEP_2)
	v_add3_u32 v53 /*v309*/, v53 /*v309*/, v80, v81
	s_set_vgpr_msb 5                        ;  msbs: dst=0 src0=1 src1=1 src2=0
	v_mul_i32_i24_e32 v80, v129 /*v385*/, v24 /*v280*/
	v_mul_i32_i24_e32 v81, v138 /*v394*/, v26 /*v282*/
	s_set_vgpr_msb 64                       ;  msbs: dst=1 src0=0 src1=0 src2=0
	v_ashrrev_i32_e32 v129 /*v385*/, 24, v131
	s_set_vgpr_msb 0x45                     ;  msbs: dst=1 src0=1 src1=1 src2=0
	v_mul_i32_i24_e32 v28 /*v284*/, v28 /*v284*/, v23 /*v279*/
	s_set_vgpr_msb 64                       ;  msbs: dst=1 src0=0 src1=0 src2=0
	v_mul_i32_i24_e32 v138 /*v394*/, v205, v239
	s_set_vgpr_msb 0x41                     ;  msbs: dst=1 src0=1 src1=0 src2=0
	v_add3_u32 v56 /*v312*/, v56 /*v312*/, v80, v81
	s_set_vgpr_msb 5                        ;  msbs: dst=0 src0=1 src1=1 src2=0
	v_mul_i32_i24_e32 v80, v113 /*v369*/, v120 /*v376*/
	s_set_vgpr_msb 0                        ;  msbs: dst=0 src0=0 src1=0 src2=0
	v_mul_i32_i24_e32 v81, v126, v135
	s_set_vgpr_msb 4                        ;  msbs: dst=0 src0=0 src1=1 src2=0
	v_mul_i32_i24_e32 v126, v126, v27 /*v283*/
	s_wait_dscnt 0x0
	s_set_vgpr_msb 0x41                     ;  msbs: dst=1 src0=1 src1=0 src2=0
	v_bfe_i32 v163 /*v419*/, v2 /*v258*/, 0, 8
	v_bfe_i32 v164 /*v420*/, v2 /*v258*/, 8, 8
	;; [unrolled: 1-line block ×3, first 2 shown]
	v_add3_u32 v57 /*v313*/, v57 /*v313*/, v80, v81
	s_set_vgpr_msb 5                        ;  msbs: dst=0 src0=1 src1=1 src2=0
	v_mul_i32_i24_e32 v80, v132 /*v388*/, v24 /*v280*/
	v_mul_i32_i24_e32 v81, v135 /*v391*/, v26 /*v282*/
	s_set_vgpr_msb 0x44                     ;  msbs: dst=1 src0=0 src1=1 src2=0
	v_bfe_i32 v132 /*v388*/, v129, 0, 8
	v_bfe_i32 v135 /*v391*/, v116, 0, 8
	v_ashrrev_i32_e32 v172 /*v428*/, 24, v2 /*v258*/
	s_set_vgpr_msb 0x41                     ;  msbs: dst=1 src0=1 src1=0 src2=0
	v_add3_u32 v58 /*v314*/, v58 /*v314*/, v80, v81
	s_set_vgpr_msb 5                        ;  msbs: dst=0 src0=1 src1=1 src2=0
	v_mul_i32_i24_e32 v80, v119 /*v375*/, v120 /*v376*/
	s_set_vgpr_msb 0                        ;  msbs: dst=0 src0=0 src1=0 src2=0
	v_mul_i32_i24_e32 v81, v124, v135
	s_set_vgpr_msb 4                        ;  msbs: dst=0 src0=0 src1=1 src2=0
	v_mul_i32_i24_e32 v124, v124, v27 /*v283*/
	s_set_vgpr_msb 0x55                     ;  msbs: dst=1 src0=1 src1=1 src2=1
	v_add3_u32 v6 /*v262*/, v58 /*v314*/, v81 /*v337*/, v6 /*v262*/
	s_set_vgpr_msb 0x41                     ;  msbs: dst=1 src0=1 src1=0 src2=0
	v_add3_u32 v59 /*v315*/, v59 /*v315*/, v80, v81
	s_set_vgpr_msb 5                        ;  msbs: dst=0 src0=1 src1=1 src2=0
	v_mul_i32_i24_e32 v80, v62 /*v318*/, v24 /*v280*/
	v_mul_i32_i24_e32 v81, v63 /*v319*/, v26 /*v282*/
	s_set_vgpr_msb 0x45                     ;  msbs: dst=1 src0=1 src1=1 src2=0
	v_mul_i32_i24_e32 v24 /*v280*/, v82 /*v338*/, v26 /*v282*/
	s_set_vgpr_msb 64                       ;  msbs: dst=1 src0=0 src1=0 src2=0
	v_dual_ashrrev_i32 v63 /*v319*/, 24, v129 :: v_dual_lshrrev_b32 v82 /*v338*/, 16, v83
	s_set_vgpr_msb 0                        ;  msbs: dst=0 src0=0 src1=0 src2=0
	v_bfe_i32 v129, v129, 16, 8
	v_add3_u32 v96, v96, v80, v81
	s_set_vgpr_msb 5                        ;  msbs: dst=0 src0=1 src1=1 src2=0
	v_mul_i32_i24_e32 v80, v131 /*v387*/, v120 /*v376*/
	s_set_vgpr_msb 0                        ;  msbs: dst=0 src0=0 src1=0 src2=0
	v_mul_i32_i24_e32 v81, v104, v135
	s_set_vgpr_msb 20                       ;  msbs: dst=0 src0=0 src1=1 src2=1
	v_add3_u32 v96, v96, v68 /*v324*/, v67 /*v323*/
	s_set_vgpr_msb 0x41                     ;  msbs: dst=1 src0=1 src1=0 src2=0
	s_delay_alu instid0(VALU_DEP_2)
	v_add3_u32 v60 /*v316*/, v60 /*v316*/, v80, v81
	s_set_vgpr_msb 5                        ;  msbs: dst=0 src0=1 src1=1 src2=0
	v_mul_i32_i24_e32 v80, v131 /*v387*/, v35 /*v291*/
	s_set_vgpr_msb 4                        ;  msbs: dst=0 src0=0 src1=1 src2=0
	v_mul_i32_i24_e32 v81, v104, v29 /*v285*/
	s_set_vgpr_msb 0x41                     ;  msbs: dst=1 src0=1 src1=0 src2=0
	s_delay_alu instid0(VALU_DEP_1)
	v_add3_u32 v62 /*v318*/, v77 /*v333*/, v80, v81
	s_set_vgpr_msb 1                        ;  msbs: dst=0 src0=1 src1=0 src2=0
	v_mul_i32_i24_e32 v80, v131 /*v387*/, v140
	s_set_vgpr_msb 0                        ;  msbs: dst=0 src0=0 src1=0 src2=0
	v_mul_i32_i24_e32 v81, v104, v139
	s_set_vgpr_msb 64                       ;  msbs: dst=1 src0=0 src1=0 src2=0
	v_bfe_i32 v77 /*v333*/, v131, 0, 8
	s_set_vgpr_msb 4                        ;  msbs: dst=0 src0=0 src1=1 src2=0
	v_bfe_i32 v131, v131, 16, 8
	v_mul_i32_i24_e32 v104, v104, v27 /*v283*/
	s_set_vgpr_msb 0x41                     ;  msbs: dst=1 src0=1 src1=0 src2=0
	v_add3_u32 v26 /*v282*/, v89 /*v345*/, v80, v81
	s_set_vgpr_msb 0                        ;  msbs: dst=0 src0=0 src1=0 src2=0
	v_cvt_f32_f16_e32 v81, v83
	v_cvt_f32_f16_e32 v80, v84
	s_set_vgpr_msb 64                       ;  msbs: dst=1 src0=0 src1=0 src2=0
	v_lshrrev_b32_e32 v89 /*v345*/, 16, v84
	s_set_vgpr_msb 16                       ;  msbs: dst=0 src0=0 src1=0 src2=1
	v_add3_u32 v84, v98, v82, v24 /*v280*/
	v_cvt_f32_f16_e32 v83, v85
	s_set_vgpr_msb 64                       ;  msbs: dst=1 src0=0 src1=0 src2=0
	v_lshrrev_b32_e32 v24 /*v280*/, 16, v85
	s_set_vgpr_msb 4                        ;  msbs: dst=0 src0=0 src1=1 src2=0
	v_mul_i32_i24_e32 v85, v86, v22 /*v278*/
	v_mul_i32_i24_e32 v86, v86, v111 /*v367*/
	v_bfe_i32 v98, v100, 8, 8
	v_bfe_i32 v100, v100, 16, 8
	v_cvt_f32_f16_e32 v82, v87
	s_set_vgpr_msb 5                        ;  msbs: dst=0 src0=1 src1=1 src2=0
	v_add3_u32 v87, v108 /*v364*/, v107 /*v363*/, v148
	v_add3_u32 v86, v103 /*v359*/, v11 /*v267*/, v86
	s_set_vgpr_msb 4                        ;  msbs: dst=0 src0=0 src1=1 src2=0
	v_mul_i32_i24_e32 v148, v98, v120 /*v376*/
	s_set_vgpr_msb 64                       ;  msbs: dst=1 src0=0 src1=0 src2=0
	v_mul_i32_i24_e32 v11 /*v267*/, v100, v135
	s_set_vgpr_msb 0x45                     ;  msbs: dst=1 src0=1 src1=1 src2=0
	v_mul_i32_i24_e32 v107 /*v363*/, v13 /*v269*/, v35 /*v291*/
	s_set_vgpr_msb 0x41                     ;  msbs: dst=1 src0=1 src1=0 src2=0
	v_mul_i32_i24_e32 v103 /*v359*/, v1 /*v257*/, v240
	v_mul_i32_i24_e32 v108 /*v364*/, v13 /*v269*/, v140
	s_set_vgpr_msb 0x54                     ;  msbs: dst=1 src0=0 src1=1 src2=1
	v_add3_u32 v10 /*v266*/, v84, v28 /*v284*/, v10 /*v266*/
	s_set_vgpr_msb 17                       ;  msbs: dst=0 src0=1 src1=0 src2=1
	v_add3_u32 v148, v71 /*v327*/, v148, v11 /*v267*/
	s_set_vgpr_msb 0x44                     ;  msbs: dst=1 src0=0 src1=1 src2=0
	v_mul_i32_i24_e32 v11 /*v267*/, v98, v35 /*v291*/
	v_mul_i32_i24_e32 v71 /*v327*/, v100, v29 /*v285*/
	s_set_vgpr_msb 0x55                     ;  msbs: dst=1 src0=1 src1=1 src2=1
	v_add3_u32 v31 /*v287*/, v31 /*v287*/, v34 /*v290*/, v107 /*v363*/
	v_mul_i32_i24_e32 v34 /*v290*/, v0 /*v256*/, v85 /*v341*/
	v_mul_i32_i24_e32 v107 /*v363*/, v1 /*v257*/, v91 /*v347*/
	s_set_vgpr_msb 0x44                     ;  msbs: dst=1 src0=0 src1=1 src2=0
	v_mul_i32_i24_e32 v35 /*v291*/, v146, v35 /*v291*/
	s_set_vgpr_msb 0x55                     ;  msbs: dst=1 src0=1 src1=1 src2=1
	v_add3_u32 v11 /*v267*/, v86 /*v342*/, v11 /*v267*/, v71 /*v327*/
	s_set_vgpr_msb 64                       ;  msbs: dst=1 src0=0 src1=0 src2=0
	v_mul_i32_i24_e32 v71 /*v327*/, v98, v140
	v_mul_i32_i24_e32 v86 /*v342*/, v100, v139
	s_set_vgpr_msb 0x55                     ;  msbs: dst=1 src0=1 src1=1 src2=1
	v_add3_u32 v33 /*v289*/, v33 /*v289*/, v107 /*v363*/, v34 /*v290*/
	v_mul_i32_i24_e32 v107 /*v363*/, v12 /*v268*/, v109 /*v365*/
	s_set_vgpr_msb 0                        ;  msbs: dst=0 src0=0 src1=0 src2=0
	v_mul_i32_i24_e32 v140, v146, v140
	s_set_vgpr_msb 1                        ;  msbs: dst=0 src0=1 src1=0 src2=0
	v_mul_i32_i24_e32 v146, v105 /*v361*/, v139
	s_set_vgpr_msb 0x55                     ;  msbs: dst=1 src0=1 src1=1 src2=1
	v_add3_u32 v71 /*v327*/, v110 /*v366*/, v71 /*v327*/, v86 /*v342*/
	v_mul_i32_i24_e32 v86 /*v342*/, v0 /*v256*/, v37 /*v293*/
	s_set_vgpr_msb 64                       ;  msbs: dst=1 src0=0 src1=0 src2=0
	v_bfe_u32 v34 /*v290*/, v94, 24, 4
	s_set_vgpr_msb 0x55                     ;  msbs: dst=1 src0=1 src1=1 src2=1
	v_add3_u32 v51 /*v307*/, v51 /*v307*/, v107 /*v363*/, v108 /*v364*/
	v_mul_i32_i24_e32 v107 /*v363*/, v126 /*v382*/, v37 /*v293*/
	s_set_vgpr_msb 0x41                     ;  msbs: dst=1 src0=1 src1=0 src2=0
	v_mul_i32_i24_e32 v108 /*v364*/, v129 /*v385*/, v240
	s_set_vgpr_msb 0x55                     ;  msbs: dst=1 src0=1 src1=1 src2=1
	v_add3_u32 v86 /*v342*/, v112 /*v368*/, v103 /*v359*/, v86 /*v342*/
	s_set_vgpr_msb 64                       ;  msbs: dst=1 src0=0 src1=0 src2=0
	v_bfe_u32 v103 /*v359*/, v94, 8, 4
	s_set_vgpr_msb 1                        ;  msbs: dst=0 src0=1 src1=0 src2=0
	v_add3_u32 v140, v97 /*v353*/, v140, v146
	s_set_vgpr_msb 0                        ;  msbs: dst=0 src0=0 src1=0 src2=0
	v_bfe_i32 v146, v109, 8, 8
	s_set_vgpr_msb 64                       ;  msbs: dst=1 src0=0 src1=0 src2=0
	v_ashrrev_i32_e32 v97 /*v353*/, 24, v109
	s_set_vgpr_msb 0x55                     ;  msbs: dst=1 src0=1 src1=1 src2=1
	v_add3_u32 v50 /*v306*/, v50 /*v306*/, v108 /*v364*/, v107 /*v363*/
	v_mul_i32_i24_e32 v107 /*v363*/, v130 /*v386*/, v37 /*v293*/
	s_set_vgpr_msb 0x41                     ;  msbs: dst=1 src0=1 src1=0 src2=0
	v_mul_i32_i24_e32 v108 /*v364*/, v63 /*v319*/, v240
	s_set_vgpr_msb 0x44                     ;  msbs: dst=1 src0=0 src1=1 src2=0
	v_mul_i32_i24_e32 v39 /*v295*/, v146, v103 /*v359*/
	s_set_vgpr_msb 0x45                     ;  msbs: dst=1 src0=1 src1=1 src2=0
	v_mul_i32_i24_e32 v41 /*v297*/, v97 /*v353*/, v34 /*v290*/
	s_set_vgpr_msb 5                        ;  msbs: dst=0 src0=1 src1=1 src2=0
	v_mul_i32_i24_e32 v84, v12 /*v268*/, v25 /*v281*/
	s_set_vgpr_msb 0x55                     ;  msbs: dst=1 src0=1 src1=1 src2=1
	v_mul_i32_i24_e32 v12 /*v268*/, v12 /*v268*/, v128 /*v384*/
	v_add3_u32 v52 /*v308*/, v52 /*v308*/, v108 /*v364*/, v107 /*v363*/
	v_mul_i32_i24_e32 v107 /*v363*/, v126 /*v382*/, v85 /*v341*/
	v_mul_i32_i24_e32 v108 /*v364*/, v129 /*v385*/, v91 /*v347*/
	s_set_vgpr_msb 20                       ;  msbs: dst=0 src0=0 src1=1 src2=1
	v_add3_u32 v108, v108, v41 /*v297*/, v39 /*v295*/
	s_set_vgpr_msb 0x44                     ;  msbs: dst=1 src0=0 src1=1 src2=0
	v_mul_i32_i24_e32 v39 /*v295*/, v146, v37 /*v293*/
	s_set_vgpr_msb 0x41                     ;  msbs: dst=1 src0=1 src1=0 src2=0
	v_mul_i32_i24_e32 v41 /*v297*/, v97 /*v353*/, v240
	s_set_vgpr_msb 4                        ;  msbs: dst=0 src0=0 src1=1 src2=0
	v_add3_u32 v85, v107, v4 /*v260*/, v85
	s_set_vgpr_msb 0x55                     ;  msbs: dst=1 src0=1 src1=1 src2=1
	v_add3_u32 v55 /*v311*/, v55 /*v311*/, v108 /*v364*/, v107 /*v363*/
	v_mul_i32_i24_e32 v107 /*v363*/, v130 /*v386*/, v85 /*v341*/
	v_mul_i32_i24_e32 v108 /*v364*/, v63 /*v319*/, v91 /*v347*/
	v_add3_u32 v39 /*v295*/, v43 /*v299*/, v41 /*v297*/, v39 /*v295*/
	s_set_vgpr_msb 0x44                     ;  msbs: dst=1 src0=0 src1=1 src2=0
	v_mul_i32_i24_e32 v41 /*v297*/, v146, v85 /*v341*/
	s_set_vgpr_msb 0x55                     ;  msbs: dst=1 src0=1 src1=1 src2=1
	v_mul_i32_i24_e32 v43 /*v299*/, v97 /*v353*/, v91 /*v347*/
	v_mul_i32_i24_e32 v58 /*v314*/, v130 /*v386*/, v103 /*v359*/
	v_add3_u32 v72 /*v328*/, v72 /*v328*/, v108 /*v364*/, v107 /*v363*/
	v_mul_i32_i24_e32 v107 /*v363*/, v0 /*v256*/, v103 /*v359*/
	v_mul_i32_i24_e32 v108 /*v364*/, v1 /*v257*/, v34 /*v290*/
	v_add3_u32 v41 /*v297*/, v53 /*v309*/, v43 /*v299*/, v41 /*v297*/
	v_mul_i32_i24_e32 v53 /*v309*/, v116 /*v372*/, v25 /*v281*/
	v_mul_i32_i24_e32 v25 /*v281*/, v13 /*v269*/, v120 /*v376*/
	;; [unrolled: 1-line block ×3, first 2 shown]
	v_add3_u32 v107 /*v363*/, v115 /*v371*/, v108 /*v364*/, v107 /*v363*/
	s_set_vgpr_msb 0x54                     ;  msbs: dst=1 src0=0 src1=1 src2=1
	v_bfe_i32 v115 /*v371*/, v123, 8, 8
	v_bfe_i32 v28 /*v284*/, v123, 0, 8
	v_add3_u32 v12 /*v268*/, v86, v12 /*v268*/, v25 /*v281*/
	s_set_vgpr_msb 5                        ;  msbs: dst=0 src0=1 src1=1 src2=0
	v_mul_i32_i24_e32 v86, v13 /*v269*/, v87 /*v343*/
	s_set_vgpr_msb 0                        ;  msbs: dst=0 src0=0 src1=0 src2=0
	v_ashrrev_i32_e32 v123, 24, v123
	s_set_vgpr_msb 0x55                     ;  msbs: dst=1 src0=1 src1=1 src2=1
	v_add3_u32 v58 /*v314*/, v59 /*v315*/, v81 /*v337*/, v58 /*v314*/
	s_set_vgpr_msb 64                       ;  msbs: dst=1 src0=0 src1=0 src2=0
	v_dual_ashrrev_i32 v81 /*v337*/, 24, v113 :: v_dual_ashrrev_i32 v120 /*v376*/, 24, v111
	v_add3_u32 v13 /*v269*/, v85, v84, v86
	s_set_vgpr_msb 5                        ;  msbs: dst=0 src0=1 src1=1 src2=0
	v_mul_i32_i24_e32 v84, v115 /*v371*/, v75 /*v331*/
	s_set_vgpr_msb 64                       ;  msbs: dst=1 src0=0 src1=0 src2=0
	v_bfe_i32 v25 /*v281*/, v111, 8, 8
	s_set_vgpr_msb 4                        ;  msbs: dst=0 src0=0 src1=1 src2=0
	v_mul_i32_i24_e32 v85, v123, v5 /*v261*/
	s_set_vgpr_msb 64                       ;  msbs: dst=1 src0=0 src1=0 src2=0
	v_bfe_i32 v59 /*v315*/, v113, 8, 8
	s_set_vgpr_msb 0x45                     ;  msbs: dst=1 src0=1 src1=1 src2=0
	v_mul_i32_i24_e32 v68 /*v324*/, v81 /*v337*/, v34 /*v290*/
	s_set_vgpr_msb 5                        ;  msbs: dst=0 src0=1 src1=1 src2=0
	v_mad_i32_i24 v84, v28 /*v284*/, v7 /*v263*/, v84
	v_mul_i32_i24_e32 v86, v45 /*v301*/, v87 /*v343*/
	s_set_vgpr_msb 64                       ;  msbs: dst=1 src0=0 src1=0 src2=0
	v_bfe_i32 v128 /*v384*/, v114, 0, 8
	s_set_vgpr_msb 0x55                     ;  msbs: dst=1 src0=1 src1=1 src2=1
	v_mul_i32_i24_e32 v67 /*v323*/, v59 /*v315*/, v103 /*v359*/
	v_add3_u32 v30 /*v286*/, v30 /*v286*/, v35 /*v291*/, v47 /*v303*/
	s_set_vgpr_msb 64                       ;  msbs: dst=1 src0=0 src1=0 src2=0
	v_add3_u32 v133 /*v389*/, v87, v85, v84
	s_set_vgpr_msb 5                        ;  msbs: dst=0 src0=1 src1=1 src2=0
	v_mul_i32_i24_e32 v84, v25 /*v281*/, v103 /*v359*/
	v_mul_i32_i24_e32 v85, v120 /*v376*/, v34 /*v290*/
	s_set_vgpr_msb 0x55                     ;  msbs: dst=1 src0=1 src1=1 src2=1
	v_add3_u32 v60 /*v316*/, v60 /*v316*/, v68 /*v324*/, v67 /*v323*/
	v_mul_i32_i24_e32 v67 /*v323*/, v59 /*v315*/, v37 /*v293*/
	s_set_vgpr_msb 0x41                     ;  msbs: dst=1 src0=1 src1=0 src2=0
	v_mul_i32_i24_e32 v68 /*v324*/, v81 /*v337*/, v240
	s_set_vgpr_msb 64                       ;  msbs: dst=1 src0=0 src1=0 src2=0
	v_bfe_i32 v45 /*v301*/, v113, 0, 8
	s_set_vgpr_msb 0                        ;  msbs: dst=0 src0=0 src1=0 src2=0
	v_add3_u32 v148, v148, v85, v84
	s_set_vgpr_msb 5                        ;  msbs: dst=0 src0=1 src1=1 src2=0
	v_mul_i32_i24_e32 v84, v25 /*v281*/, v37 /*v293*/
	s_set_vgpr_msb 1                        ;  msbs: dst=0 src0=1 src1=0 src2=0
	v_mul_i32_i24_e32 v85, v120 /*v376*/, v240
	s_set_vgpr_msb 0x55                     ;  msbs: dst=1 src0=1 src1=1 src2=1
	v_add3_u32 v62 /*v318*/, v62 /*v318*/, v68 /*v324*/, v67 /*v323*/
	v_mul_i32_i24_e32 v67 /*v323*/, v59 /*v315*/, v85 /*v341*/
	v_mul_i32_i24_e32 v68 /*v324*/, v81 /*v337*/, v91 /*v347*/
	s_set_vgpr_msb 0                        ;  msbs: dst=0 src0=0 src1=0 src2=0
	v_bfe_i32 v113, v113, 16, 8
	s_set_vgpr_msb 0x41                     ;  msbs: dst=1 src0=1 src1=0 src2=0
	v_add3_u32 v11 /*v267*/, v11 /*v267*/, v85, v84
	s_set_vgpr_msb 5                        ;  msbs: dst=0 src0=1 src1=1 src2=0
	v_mul_i32_i24_e32 v84, v25 /*v281*/, v85 /*v341*/
	v_mul_i32_i24_e32 v85, v120 /*v376*/, v91 /*v347*/
	s_set_vgpr_msb 0x55                     ;  msbs: dst=1 src0=1 src1=1 src2=1
	v_add3_u32 v26 /*v282*/, v26 /*v282*/, v68 /*v324*/, v67 /*v323*/
	s_set_vgpr_msb 64                       ;  msbs: dst=1 src0=0 src1=0 src2=0
	v_ashrrev_i32_e32 v67 /*v323*/, 24, v121
	s_set_vgpr_msb 17                       ;  msbs: dst=0 src0=1 src1=0 src2=1
	v_add3_u32 v147, v56 /*v312*/, v147, v53 /*v309*/
	s_set_vgpr_msb 0x45                     ;  msbs: dst=1 src0=1 src1=1 src2=0
	v_mul_i32_i24_e32 v53 /*v309*/, v126 /*v382*/, v103 /*v359*/
	s_set_vgpr_msb 0x41                     ;  msbs: dst=1 src0=1 src1=0 src2=0
	v_add3_u32 v71 /*v327*/, v71 /*v327*/, v85, v84
	s_set_vgpr_msb 0                        ;  msbs: dst=0 src0=0 src1=0 src2=0
	v_mul_i32_i24_e32 v84, v150, v253
	v_mul_i32_i24_e32 v85, v238, v241
	s_set_vgpr_msb 0x45                     ;  msbs: dst=1 src0=1 src1=1 src2=0
	v_mul_i32_i24_e32 v56 /*v312*/, v129 /*v385*/, v34 /*v290*/
	s_set_vgpr_msb 5                        ;  msbs: dst=0 src0=1 src1=1 src2=0
	v_mul_i32_i24_e32 v87, v98 /*v354*/, v91 /*v347*/
	s_set_vgpr_msb 4                        ;  msbs: dst=0 src0=0 src1=1 src2=0
	v_mul_i32_i24_e32 v100, v100, v27 /*v283*/
	v_mul_i32_i24_e32 v98, v98, v87 /*v343*/
	s_set_vgpr_msb 0x41                     ;  msbs: dst=1 src0=1 src1=0 src2=0
	v_add3_u32 v86 /*v342*/, v86 /*v342*/, v84, v85
	s_set_vgpr_msb 4                        ;  msbs: dst=0 src0=0 src1=1 src2=0
	v_mul_i32_i24_e32 v84, v249, v29 /*v285*/
	v_mul_i32_i24_e32 v85, v247, v36 /*v292*/
	s_set_vgpr_msb 64                       ;  msbs: dst=1 src0=0 src1=0 src2=0
	v_bfe_u32 v36 /*v292*/, v94, 16, 4
	s_set_vgpr_msb 0x55                     ;  msbs: dst=1 src0=1 src1=1 src2=1
	v_add3_u32 v53 /*v309*/, v57 /*v313*/, v56 /*v312*/, v53 /*v309*/
	s_set_vgpr_msb 0                        ;  msbs: dst=0 src0=0 src1=0 src2=0
	v_bfe_i32 v111, v111, 16, 8
	s_set_vgpr_msb 64                       ;  msbs: dst=1 src0=0 src1=0 src2=0
	v_bfe_i32 v22 /*v278*/, v127, 0, 8
	s_set_vgpr_msb 0x41                     ;  msbs: dst=1 src0=1 src1=0 src2=0
	v_add3_u32 v29 /*v285*/, v31 /*v287*/, v84, v85
	s_set_vgpr_msb 4                        ;  msbs: dst=0 src0=0 src1=1 src2=0
	v_mul_i32_i24_e32 v84, v150, v65 /*v321*/
	v_mul_i32_i24_e32 v85, v238, v66 /*v322*/
	s_set_vgpr_msb 0                        ;  msbs: dst=0 src0=0 src1=0 src2=0
	v_ashrrev_i32_e32 v107, 24, v127
	s_set_vgpr_msb 64                       ;  msbs: dst=1 src0=0 src1=0 src2=0
	v_bfe_i32 v4 /*v260*/, v125, 0, 8
	v_ashrrev_i32_e32 v108 /*v364*/, 24, v125
	s_set_vgpr_msb 0x45                     ;  msbs: dst=1 src0=1 src1=1 src2=0
	v_mul_i32_i24_e32 v0 /*v256*/, v0 /*v256*/, v123 /*v379*/
	s_set_vgpr_msb 0x41                     ;  msbs: dst=1 src0=1 src1=0 src2=0
	v_add3_u32 v31 /*v287*/, v33 /*v289*/, v84, v85
	s_set_vgpr_msb 0                        ;  msbs: dst=0 src0=0 src1=0 src2=0
	v_mul_i32_i24_e32 v84, v249, v139
	s_set_vgpr_msb 4                        ;  msbs: dst=0 src0=0 src1=1 src2=0
	v_mul_i32_i24_e32 v85, v247, v114 /*v370*/
	s_set_vgpr_msb 64                       ;  msbs: dst=1 src0=0 src1=0 src2=0
	v_dual_ashrrev_i32 v56 /*v312*/, 24, v119 :: v_dual_bitop2_b32 v33 /*v289*/, 15, v94 bitop3:0x40
	v_bfe_i32 v109 /*v365*/, v127, 8, 8
	s_set_vgpr_msb 0                        ;  msbs: dst=0 src0=0 src1=0 src2=0
	v_bfe_i32 v127, v127, 16, 8
	s_set_vgpr_msb 1                        ;  msbs: dst=0 src0=1 src1=0 src2=0
	v_add3_u32 v139, v51 /*v307*/, v84, v85
	v_mul_i32_i24_e32 v84, v77 /*v333*/, v253
	s_set_vgpr_msb 0                        ;  msbs: dst=0 src0=0 src1=0 src2=0
	v_mul_i32_i24_e32 v85, v131, v241
	s_set_vgpr_msb 64                       ;  msbs: dst=1 src0=0 src1=0 src2=0
	v_bfe_i32 v110 /*v366*/, v125, 8, 8
	s_set_vgpr_msb 0                        ;  msbs: dst=0 src0=0 src1=0 src2=0
	v_bfe_i32 v125, v125, 16, 8
	s_set_vgpr_msb 64                       ;  msbs: dst=1 src0=0 src1=0 src2=0
	v_bfe_i32 v114 /*v370*/, v105, 8, 8
	v_bfe_i32 v111 /*v367*/, v117, 8, 8
	s_set_vgpr_msb 0x41                     ;  msbs: dst=1 src0=1 src1=0 src2=0
	v_add3_u32 v50 /*v306*/, v50 /*v306*/, v84, v85
	s_set_vgpr_msb 1                        ;  msbs: dst=0 src0=1 src1=0 src2=0
	v_mul_i32_i24_e32 v84, v132 /*v388*/, v253
	s_set_vgpr_msb 0                        ;  msbs: dst=0 src0=0 src1=0 src2=0
	v_mul_i32_i24_e32 v85, v129, v241
	s_set_vgpr_msb 64                       ;  msbs: dst=1 src0=0 src1=0 src2=0
	v_bfe_i32 v35 /*v291*/, v115, 8, 8
	v_ashrrev_i32_e32 v47 /*v303*/, 24, v115
	s_set_vgpr_msb 1                        ;  msbs: dst=0 src0=1 src1=0 src2=0
	v_mul_i32_i24_e32 v90, v77 /*v333*/, v199
	s_set_vgpr_msb 64                       ;  msbs: dst=1 src0=0 src1=0 src2=0
	v_bfe_i32 v112 /*v368*/, v117, 0, 8
	s_set_vgpr_msb 0x41                     ;  msbs: dst=1 src0=1 src1=0 src2=0
	v_add3_u32 v51 /*v307*/, v52 /*v308*/, v84, v85
	s_set_vgpr_msb 5                        ;  msbs: dst=0 src0=1 src1=1 src2=0
	v_mul_i32_i24_e32 v84, v77 /*v333*/, v65 /*v321*/
	s_set_vgpr_msb 4                        ;  msbs: dst=0 src0=0 src1=1 src2=0
	v_mul_i32_i24_e32 v85, v131, v66 /*v322*/
	v_bfe_i32 v117, v117, 16, 8
	s_set_vgpr_msb 64                       ;  msbs: dst=1 src0=0 src1=0 src2=0
	v_bfe_i32 v68 /*v324*/, v115, 0, 8
	s_set_vgpr_msb 0                        ;  msbs: dst=0 src0=0 src1=0 src2=0
	v_bfe_i32 v115, v115, 16, 8
	s_set_vgpr_msb 0x41                     ;  msbs: dst=1 src0=1 src1=0 src2=0
	v_mul_i32_i24_e32 v190 /*v446*/, v112 /*v368*/, v230
	v_add3_u32 v52 /*v308*/, v55 /*v311*/, v84, v85
	s_set_vgpr_msb 5                        ;  msbs: dst=0 src0=1 src1=1 src2=0
	v_mul_i32_i24_e32 v84, v132 /*v388*/, v65 /*v321*/
	s_set_vgpr_msb 4                        ;  msbs: dst=0 src0=0 src1=1 src2=0
	v_mul_i32_i24_e32 v85, v129, v66 /*v322*/
	s_set_vgpr_msb 0x41                     ;  msbs: dst=1 src0=1 src1=0 src2=0
	v_mul_i32_i24_e32 v191 /*v447*/, v68 /*v324*/, v230
	s_set_vgpr_msb 64                       ;  msbs: dst=1 src0=0 src1=0 src2=0
	v_bfe_i32 v43 /*v299*/, v119, 0, 8
	v_bfe_i32 v57 /*v313*/, v121, 0, 8
	;; [unrolled: 1-line block ×3, first 2 shown]
	s_set_vgpr_msb 0x41                     ;  msbs: dst=1 src0=1 src1=0 src2=0
	v_add3_u32 v55 /*v311*/, v72 /*v328*/, v84, v85
	s_set_vgpr_msb 4                        ;  msbs: dst=0 src0=0 src1=1 src2=0
	v_mul_i32_i24_e32 v84, v150, v33 /*v289*/
	v_mul_i32_i24_e32 v85, v238, v36 /*v292*/
	v_bfe_i32 v119, v119, 16, 8
	s_set_vgpr_msb 64                       ;  msbs: dst=1 src0=0 src1=0 src2=0
	v_bfe_i32 v105 /*v361*/, v121, 8, 8
	s_set_vgpr_msb 0                        ;  msbs: dst=0 src0=0 src1=0 src2=0
	v_bfe_i32 v121, v121, 16, 8
	s_set_vgpr_msb 64                       ;  msbs: dst=1 src0=0 src1=0 src2=0
	v_mul_i32_i24_e32 v193 /*v449*/, v117, v229
	s_set_vgpr_msb 0x41                     ;  msbs: dst=1 src0=1 src1=0 src2=0
	v_add3_u32 v72 /*v328*/, v107 /*v363*/, v84, v85
	s_set_vgpr_msb 5                        ;  msbs: dst=0 src0=1 src1=1 src2=0
	v_mul_i32_i24_e32 v84, v46 /*v302*/, v27 /*v283*/
	s_set_vgpr_msb 4                        ;  msbs: dst=0 src0=0 src1=1 src2=0
	v_mul_i32_i24_e32 v85, v149, v103 /*v359*/
	s_set_vgpr_msb 0x45                     ;  msbs: dst=1 src0=1 src1=1 src2=0
	v_mul_i32_i24_e32 v46 /*v302*/, v101 /*v357*/, v87 /*v343*/
	v_mul_i32_i24_e32 v107 /*v363*/, v131 /*v387*/, v87 /*v343*/
	;; [unrolled: 1-line block ×3, first 2 shown]
	s_set_vgpr_msb 0                        ;  msbs: dst=0 src0=0 src1=0 src2=0
	v_add3_u32 v114, v144, v86, v84
	s_set_vgpr_msb 5                        ;  msbs: dst=0 src0=1 src1=1 src2=0
	v_mul_i32_i24_e32 v84, v98 /*v354*/, v34 /*v290*/
	s_set_vgpr_msb 4                        ;  msbs: dst=0 src0=0 src1=1 src2=0
	v_mul_i32_i24_e32 v86, v149, v37 /*v293*/
	v_add3_u32 v92, v92, v46 /*v302*/, v102
	v_add3_u32 v96, v96, v107 /*v363*/, v104
	s_set_vgpr_msb 5                        ;  msbs: dst=0 src0=1 src1=1 src2=0
	v_mul_i32_i24_e32 v104, v45 /*v301*/, v33 /*v289*/
	s_set_vgpr_msb 0                        ;  msbs: dst=0 src0=0 src1=0 src2=0
	v_add3_u32 v116, v145, v84, v85
	s_set_vgpr_msb 1                        ;  msbs: dst=0 src0=1 src1=0 src2=0
	v_mul_i32_i24_e32 v84, v98 /*v354*/, v240
	s_set_vgpr_msb 0x44                     ;  msbs: dst=1 src0=0 src1=1 src2=0
	v_mul_i32_i24_e32 v107 /*v363*/, v113, v36 /*v292*/
	s_set_vgpr_msb 0x45                     ;  msbs: dst=1 src0=1 src1=1 src2=0
	v_mul_i32_i24_e32 v98 /*v354*/, v113 /*v369*/, v87 /*v343*/
	s_set_vgpr_msb 4                        ;  msbs: dst=0 src0=0 src1=1 src2=0
	v_mul_i32_i24_e32 v144, v249, v27 /*v283*/
	s_set_vgpr_msb 64                       ;  msbs: dst=1 src0=0 src1=0 src2=0
	v_ashrrev_i32_e32 v131 /*v387*/, 24, v101
	s_set_vgpr_msb 1                        ;  msbs: dst=0 src0=1 src1=0 src2=0
	v_add3_u32 v145, v30 /*v286*/, v84, v86
	s_set_vgpr_msb 64                       ;  msbs: dst=1 src0=0 src1=0 src2=0
	v_bfe_i32 v30 /*v286*/, v109, 0, 8
	s_set_vgpr_msb 0                        ;  msbs: dst=0 src0=0 src1=0 src2=0
	v_bfe_i32 v109, v109, 16, 8
	s_set_vgpr_msb 17                       ;  msbs: dst=0 src0=1 src1=0 src2=1
	v_add3_u32 v104, v60 /*v316*/, v104, v107 /*v363*/
	s_set_vgpr_msb 0x41                     ;  msbs: dst=1 src0=1 src1=0 src2=0
	v_mul_i32_i24_e32 v60 /*v316*/, v45 /*v301*/, v253
	s_set_vgpr_msb 64                       ;  msbs: dst=1 src0=0 src1=0 src2=0
	v_mul_i32_i24_e32 v107 /*v363*/, v113, v241
	s_set_vgpr_msb 5                        ;  msbs: dst=0 src0=1 src1=1 src2=0
	v_mul_i32_i24_e32 v102, v30 /*v286*/, v33 /*v289*/
	s_set_vgpr_msb 0x44                     ;  msbs: dst=1 src0=0 src1=1 src2=0
	v_mul_i32_i24_e32 v46 /*v302*/, v109, v36 /*v292*/
	s_set_vgpr_msb 4                        ;  msbs: dst=0 src0=0 src1=1 src2=0
	v_add3_u32 v126, v147, v98 /*v354*/, v126
	s_set_vgpr_msb 5                        ;  msbs: dst=0 src0=1 src1=1 src2=0
	v_mul_i32_i24_e32 v147, v77 /*v333*/, v33 /*v289*/
	s_set_vgpr_msb 0x44                     ;  msbs: dst=1 src0=0 src1=1 src2=0
	v_mul_i32_i24_e32 v98 /*v354*/, v131, v36 /*v292*/
	s_set_vgpr_msb 0x55                     ;  msbs: dst=1 src0=1 src1=1 src2=1
	v_add3_u32 v60 /*v316*/, v62 /*v318*/, v60 /*v316*/, v107 /*v363*/
	s_set_vgpr_msb 16                       ;  msbs: dst=0 src0=0 src1=0 src2=1
	v_add3_u32 v102, v108, v102, v46 /*v302*/
	s_set_vgpr_msb 1                        ;  msbs: dst=0 src0=1 src1=0 src2=0
	v_mul_i32_i24_e32 v108, v30 /*v286*/, v253
	s_set_vgpr_msb 64                       ;  msbs: dst=1 src0=0 src1=0 src2=0
	v_mul_i32_i24_e32 v46 /*v302*/, v109, v241
	s_set_vgpr_msb 0x45                     ;  msbs: dst=1 src0=1 src1=1 src2=0
	v_mul_i32_i24_e32 v62 /*v318*/, v45 /*v301*/, v65 /*v321*/
	s_set_vgpr_msb 0x44                     ;  msbs: dst=1 src0=0 src1=1 src2=0
	v_mul_i32_i24_e32 v107 /*v363*/, v113, v66 /*v322*/
	s_set_vgpr_msb 4                        ;  msbs: dst=0 src0=0 src1=1 src2=0
	v_mul_i32_i24_e32 v86, v149, v85 /*v341*/
	v_mul_i32_i24_e32 v149, v247, v23 /*v279*/
	s_set_vgpr_msb 17                       ;  msbs: dst=0 src0=1 src1=0 src2=1
	v_add3_u32 v108, v39 /*v295*/, v108, v46 /*v302*/
	s_set_vgpr_msb 0x45                     ;  msbs: dst=1 src0=1 src1=1 src2=0
	v_mul_i32_i24_e32 v39 /*v295*/, v30 /*v286*/, v65 /*v321*/
	s_set_vgpr_msb 0x44                     ;  msbs: dst=1 src0=0 src1=1 src2=0
	v_mul_i32_i24_e32 v46 /*v302*/, v109, v66 /*v322*/
	v_bfe_u32 v23 /*v279*/, v94, 4, 4
	s_set_vgpr_msb 17                       ;  msbs: dst=0 src0=1 src1=0 src2=1
	v_add3_u32 v147, v53 /*v309*/, v147, v98 /*v354*/
	s_set_vgpr_msb 64                       ;  msbs: dst=1 src0=0 src1=0 src2=0
	v_ashrrev_i32_e32 v53 /*v309*/, 24, v103
	s_set_vgpr_msb 0x55                     ;  msbs: dst=1 src0=1 src1=1 src2=1
	v_add3_u32 v26 /*v282*/, v26 /*v282*/, v62 /*v318*/, v107 /*v363*/
	v_add3_u32 v39 /*v295*/, v41 /*v297*/, v39 /*v295*/, v46 /*v302*/
	s_set_vgpr_msb 64                       ;  msbs: dst=1 src0=0 src1=0 src2=0
	v_lshrrev_b32_e32 v41 /*v297*/, 28, v94
	v_bfe_i32 v62 /*v318*/, v101, 0, 8
	v_bfe_u32 v27 /*v283*/, v94, 12, 4
	v_bfe_u32 v87 /*v343*/, v94, 20, 4
	s_set_vgpr_msb 1                        ;  msbs: dst=0 src0=1 src1=0 src2=0
	v_add3_u32 v94, v10 /*v266*/, v98, v100
	s_set_vgpr_msb 64                       ;  msbs: dst=1 src0=0 src1=0 src2=0
	v_bfe_i32 v10 /*v266*/, v101, 8, 8
	s_set_vgpr_msb 0                        ;  msbs: dst=0 src0=0 src1=0 src2=0
	v_mul_i32_i24_e32 v98, v249, v135
	s_set_vgpr_msb 4                        ;  msbs: dst=0 src0=0 src1=1 src2=0
	v_mul_i32_i24_e32 v100, v247, v139 /*v395*/
	s_set_vgpr_msb 5                        ;  msbs: dst=0 src0=1 src1=1 src2=0
	v_mul_i32_i24_e32 v101, v155 /*v411*/, v121 /*v377*/
	s_set_vgpr_msb 64                       ;  msbs: dst=1 src0=0 src1=0 src2=0
	v_bfe_i32 v46 /*v302*/, v103, 0, 8
	v_bfe_i32 v107 /*v363*/, v103, 8, 8
	;; [unrolled: 1-line block ×3, first 2 shown]
	s_set_vgpr_msb 1                        ;  msbs: dst=0 src0=1 src1=0 src2=0
	v_add3_u32 v98, v12 /*v268*/, v98, v100
	v_add3_u32 v100, v13 /*v269*/, v144, v149
	s_set_vgpr_msb 5                        ;  msbs: dst=0 src0=1 src1=1 src2=0
	v_add3_u32 v144, v133 /*v389*/, v127 /*v383*/, v101
	s_set_vgpr_msb 4                        ;  msbs: dst=0 src0=0 src1=1 src2=0
	v_mul_i32_i24_e32 v101, v106, v33 /*v289*/
	v_mul_i32_i24_e32 v103, v111, v36 /*v292*/
	;; [unrolled: 1-line block ×3, first 2 shown]
	s_set_vgpr_msb 0x44                     ;  msbs: dst=1 src0=0 src1=1 src2=0
	v_mul_i32_i24_e32 v37 /*v293*/, v233, v37 /*v293*/
	v_mul_i32_i24_e32 v85 /*v341*/, v233, v85 /*v341*/
	s_set_vgpr_msb 5                        ;  msbs: dst=0 src0=1 src1=1 src2=0
	v_add3_u32 v124, v6 /*v262*/, v101 /*v357*/, v124
	s_set_vgpr_msb 0                        ;  msbs: dst=0 src0=0 src1=0 src2=0
	v_add3_u32 v101, v148, v101, v103
	v_mul_i32_i24_e32 v103, v106, v253
	v_mul_i32_i24_e32 v148, v111, v241
	s_set_vgpr_msb 0x45                     ;  msbs: dst=1 src0=1 src1=1 src2=0
	v_mul_i32_i24_e32 v6 /*v262*/, v132 /*v388*/, v33 /*v289*/
	s_set_vgpr_msb 0x44                     ;  msbs: dst=1 src0=0 src1=1 src2=0
	v_mul_i32_i24_e32 v101 /*v357*/, v129, v36 /*v292*/
	s_set_vgpr_msb 0                        ;  msbs: dst=0 src0=0 src1=0 src2=0
	v_add3_u32 v140, v140, v87, v86
	v_bfe_i32 v249, v89, 8, 8
	s_set_vgpr_msb 1                        ;  msbs: dst=0 src0=1 src1=0 src2=0
	v_add3_u32 v103, v11 /*v267*/, v103, v148
	s_set_vgpr_msb 4                        ;  msbs: dst=0 src0=0 src1=1 src2=0
	v_mul_i32_i24_e32 v148, v106, v65 /*v321*/
	s_set_vgpr_msb 64                       ;  msbs: dst=1 src0=0 src1=0 src2=0
	v_mul_i32_i24_e32 v11 /*v267*/, v155, v197
	s_set_vgpr_msb 0x55                     ;  msbs: dst=1 src0=1 src1=1 src2=1
	v_add3_u32 v6 /*v262*/, v58 /*v314*/, v6 /*v262*/, v101 /*v357*/
	s_set_vgpr_msb 64                       ;  msbs: dst=1 src0=0 src1=0 src2=0
	v_ashrrev_i32_e32 v58 /*v314*/, 24, v105
	v_ashrrev_i32_e32 v12 /*v268*/, 24, v89
	s_set_vgpr_msb 1                        ;  msbs: dst=0 src0=1 src1=0 src2=0
	v_add3_u32 v149, v71 /*v327*/, v148, v149
	s_set_vgpr_msb 0                        ;  msbs: dst=0 src0=0 src1=0 src2=0
	v_mul_i32_i24_e32 v148, v154, v198
	s_set_vgpr_msb 64                       ;  msbs: dst=1 src0=0 src1=0 src2=0
	v_bfe_i32 v127 /*v383*/, v89, 0, 8
	v_bfe_i32 v13 /*v269*/, v91, 8, 8
	v_ashrrev_i32_e32 v71 /*v327*/, 24, v91
	v_bfe_i32 v98 /*v354*/, v105, 0, 8
	s_set_vgpr_msb 0x45                     ;  msbs: dst=1 src0=1 src1=1 src2=0
	v_add3_u32 v11 /*v267*/, v86 /*v342*/, v11 /*v267*/, v148
	s_set_vgpr_msb 0                        ;  msbs: dst=0 src0=0 src1=0 src2=0
	v_mul_i32_i24_e32 v148, v234, v253
	s_set_vgpr_msb 64                       ;  msbs: dst=1 src0=0 src1=0 src2=0
	v_mul_i32_i24_e32 v101 /*v357*/, v234, v199
	s_set_vgpr_msb 1                        ;  msbs: dst=0 src0=1 src1=0 src2=0
	v_mul_i32_i24_e32 v88, v30 /*v286*/, v199
	s_set_vgpr_msb 0x44                     ;  msbs: dst=1 src0=0 src1=1 src2=0
	v_ashrrev_i32_e32 v86 /*v342*/, 24, v3 /*v259*/
	v_bfe_i32 v119 /*v375*/, v105, 16, 8
	s_set_vgpr_msb 0x45                     ;  msbs: dst=1 src0=1 src1=1 src2=0
	v_add3_u32 v29 /*v285*/, v29 /*v285*/, v37 /*v293*/, v148
	s_set_vgpr_msb 4                        ;  msbs: dst=0 src0=0 src1=1 src2=0
	v_mul_i32_i24_e32 v148, v154, v99 /*v355*/
	s_set_vgpr_msb 0x44                     ;  msbs: dst=1 src0=0 src1=1 src2=0
	v_mul_i32_i24_e32 v37 /*v293*/, v155, v100 /*v356*/
	s_set_vgpr_msb 0                        ;  msbs: dst=0 src0=0 src1=0 src2=0
	v_mul_i32_i24_e32 v105, v204, v231
	s_set_vgpr_msb 64                       ;  msbs: dst=1 src0=0 src1=0 src2=0
	v_bfe_i32 v133 /*v389*/, v99, 0, 8
	s_set_vgpr_msb 0                        ;  msbs: dst=0 src0=0 src1=0 src2=0
	v_bfe_u32 v135, v95, 8, 4
	v_bfe_u32 v247, v95, 24, 4
	s_set_vgpr_msb 0x45                     ;  msbs: dst=1 src0=1 src1=1 src2=0
	v_add3_u32 v31 /*v287*/, v31 /*v287*/, v37 /*v293*/, v148
	s_set_vgpr_msb 4                        ;  msbs: dst=0 src0=0 src1=1 src2=0
	v_mul_i32_i24_e32 v148, v234, v65 /*v321*/
	s_set_vgpr_msb 64                       ;  msbs: dst=1 src0=0 src1=0 src2=0
	v_bfe_u32 v139 /*v395*/, v95, 12, 4
	v_mul_i32_i24_e32 v37 /*v293*/, v202, v203
	s_set_vgpr_msb 0x41                     ;  msbs: dst=1 src0=1 src1=0 src2=0
	v_mul_i32_i24_e32 v189 /*v445*/, v127 /*v383*/, v230
	s_set_vgpr_msb 1                        ;  msbs: dst=0 src0=1 src1=0 src2=0
	v_cvt_f32_f16_e64 v85, v14 /*v270*/
	s_set_vgpr_msb 4                        ;  msbs: dst=0 src0=0 src1=1 src2=0
	v_add3_u32 v139, v139, v85 /*v341*/, v148
	s_set_vgpr_msb 1                        ;  msbs: dst=0 src0=1 src1=0 src2=0
	v_mul_i32_i24_e32 v148, v22 /*v278*/, v198
	s_set_vgpr_msb 64                       ;  msbs: dst=1 src0=0 src1=0 src2=0
	v_mul_i32_i24_e32 v85 /*v341*/, v107, v197
	s_set_vgpr_msb 0x44                     ;  msbs: dst=1 src0=0 src1=1 src2=0
	v_lshrrev_b32_e32 v14 /*v270*/, 16, v14 /*v270*/
	s_set_vgpr_msb 1                        ;  msbs: dst=0 src0=1 src1=0 src2=0
	v_cvt_f32_f16_e64 v84, v16 /*v272*/
	s_set_vgpr_msb 0x44                     ;  msbs: dst=1 src0=0 src1=1 src2=0
	v_lshrrev_b32_e32 v16 /*v272*/, 16, v16 /*v272*/
	s_set_vgpr_msb 1                        ;  msbs: dst=0 src0=1 src1=0 src2=0
	v_cvt_f32_f16_e64 v87, v17 /*v273*/
	s_set_vgpr_msb 0x45                     ;  msbs: dst=1 src0=1 src1=1 src2=0
	v_add3_u32 v50 /*v306*/, v50 /*v306*/, v85 /*v341*/, v148
	s_set_vgpr_msb 1                        ;  msbs: dst=0 src0=1 src1=0 src2=0
	v_mul_i32_i24_e32 v148, v4 /*v260*/, v198
	s_set_vgpr_msb 0x41                     ;  msbs: dst=1 src0=1 src1=0 src2=0
	v_mul_i32_i24_e32 v85 /*v341*/, v108 /*v364*/, v197
	s_set_vgpr_msb 1                        ;  msbs: dst=0 src0=1 src1=0 src2=0
	v_cvt_f32_f16_e64 v86, v20 /*v276*/
	s_set_vgpr_msb 0x44                     ;  msbs: dst=1 src0=0 src1=1 src2=0
	v_dual_lshrrev_b32 v17 /*v273*/, 16, v17 /*v273*/ :: v_dual_lshrrev_b32 v20 /*v276*/, 16, v20 /*v276*/
	s_set_vgpr_msb 0x41                     ;  msbs: dst=1 src0=1 src1=0 src2=0
	v_mul_i32_i24_e32 v77 /*v333*/, v49 /*v305*/, v133
	s_set_vgpr_msb 0x45                     ;  msbs: dst=1 src0=1 src1=1 src2=0
	v_add3_u32 v51 /*v307*/, v51 /*v307*/, v85 /*v341*/, v148
	s_set_vgpr_msb 5                        ;  msbs: dst=0 src0=1 src1=1 src2=0
	v_mul_i32_i24_e32 v148, v22 /*v278*/, v99 /*v355*/
	s_set_vgpr_msb 0x44                     ;  msbs: dst=1 src0=0 src1=1 src2=0
	v_mul_i32_i24_e32 v85 /*v341*/, v107, v100 /*v356*/
	s_set_vgpr_msb 64                       ;  msbs: dst=1 src0=0 src1=0 src2=0
	v_mul_i32_i24_e32 v194 /*v450*/, v115, v229
	s_set_vgpr_msb 0                        ;  msbs: dst=0 src0=0 src1=0 src2=0
	v_cvt_f32_i32_e32 v144, v144
	s_set_vgpr_msb 0x45                     ;  msbs: dst=1 src0=1 src1=1 src2=0
	v_add3_u32 v52 /*v308*/, v52 /*v308*/, v85 /*v341*/, v148
	s_set_vgpr_msb 5                        ;  msbs: dst=0 src0=1 src1=1 src2=0
	v_mul_i32_i24_e32 v148, v4 /*v260*/, v99 /*v355*/
	s_set_vgpr_msb 0x45                     ;  msbs: dst=1 src0=1 src1=1 src2=0
	v_mul_i32_i24_e32 v85 /*v341*/, v108 /*v364*/, v100 /*v356*/
	s_delay_alu instid0(VALU_DEP_1)
	v_add3_u32 v55 /*v311*/, v55 /*v311*/, v85 /*v341*/, v148
	s_set_vgpr_msb 4                        ;  msbs: dst=0 src0=0 src1=1 src2=0
	v_mul_i32_i24_e32 v148, v154, v23 /*v279*/
	s_set_vgpr_msb 0x44                     ;  msbs: dst=1 src0=0 src1=1 src2=0
	v_mul_i32_i24_e32 v85 /*v341*/, v155, v41 /*v297*/
	s_set_vgpr_msb 0x45                     ;  msbs: dst=1 src0=1 src1=1 src2=0
	s_delay_alu instid0(VALU_DEP_1)
	v_add3_u32 v72 /*v328*/, v72 /*v328*/, v85 /*v341*/, v148
	s_set_vgpr_msb 1                        ;  msbs: dst=0 src0=1 src1=0 src2=0
	v_mul_i32_i24_e32 v148, v1 /*v257*/, v239
	s_set_vgpr_msb 64                       ;  msbs: dst=1 src0=0 src1=0 src2=0
	v_bfe_u32 v1 /*v257*/, v95, 16, 4
	s_set_vgpr_msb 0x41                     ;  msbs: dst=1 src0=1 src1=0 src2=0
	v_bfe_i32 v85 /*v341*/, v3 /*v259*/, 8, 8
	s_set_vgpr_msb 16                       ;  msbs: dst=0 src0=0 src1=0 src2=1
	v_add3_u32 v114, v114, v148, v0 /*v256*/
	s_set_vgpr_msb 5                        ;  msbs: dst=0 src0=1 src1=1 src2=0
	v_mul_i32_i24_e32 v148, v102 /*v358*/, v33 /*v289*/
	s_set_vgpr_msb 0x45                     ;  msbs: dst=1 src0=1 src1=1 src2=0
	v_mul_i32_i24_e32 v0 /*v256*/, v106 /*v362*/, v36 /*v292*/
	s_set_vgpr_msb 16                       ;  msbs: dst=0 src0=0 src1=0 src2=1
	s_delay_alu instid0(VALU_DEP_1)
	v_add3_u32 v116, v116, v148, v0 /*v256*/
	s_set_vgpr_msb 1                        ;  msbs: dst=0 src0=1 src1=0 src2=0
	v_mul_i32_i24_e32 v148, v102 /*v358*/, v253
	v_mul_i32_i24_e32 v253, v106 /*v362*/, v241
	s_set_vgpr_msb 64                       ;  msbs: dst=1 src0=0 src1=0 src2=0
	v_and_b32_e32 v0 /*v256*/, 15, v95
	s_set_vgpr_msb 0                        ;  msbs: dst=0 src0=0 src1=0 src2=0
	s_delay_alu instid0(VALU_DEP_2)
	v_add3_u32 v253, v145, v148, v253
	s_set_vgpr_msb 5                        ;  msbs: dst=0 src0=1 src1=1 src2=0
	v_mul_i32_i24_e32 v145, v102 /*v358*/, v65 /*v321*/
	s_set_vgpr_msb 64                       ;  msbs: dst=1 src0=0 src1=0 src2=0
	v_bfe_i32 v65 /*v321*/, v89, 16, 8
	s_set_vgpr_msb 5                        ;  msbs: dst=0 src0=1 src1=1 src2=0
	v_mul_i32_i24_e32 v89, v106 /*v362*/, v66 /*v322*/
	s_set_vgpr_msb 64                       ;  msbs: dst=1 src0=0 src1=0 src2=0
	v_bfe_i32 v102 /*v358*/, v91, 16, 8
	s_set_vgpr_msb 0                        ;  msbs: dst=0 src0=0 src1=0 src2=0
	v_mul_i32_i24_e32 v148, v227, v225
	s_set_vgpr_msb 0x41                     ;  msbs: dst=1 src0=1 src1=0 src2=0
	v_mul_i32_i24_e32 v192 /*v448*/, v65 /*v321*/, v229
	s_set_vgpr_msb 0                        ;  msbs: dst=0 src0=0 src1=0 src2=0
	v_add3_u32 v89, v140, v145, v89
	v_bfe_i32 v140, v91, 0, 8
	s_set_vgpr_msb 1                        ;  msbs: dst=0 src0=1 src1=0 src2=0
	v_mul_i32_i24_e32 v91, v97 /*v353*/, v239
	s_set_vgpr_msb 4                        ;  msbs: dst=0 src0=0 src1=1 src2=0
	v_mul_i32_i24_e32 v145, v146, v123 /*v379*/
	s_set_vgpr_msb 5                        ;  msbs: dst=0 src0=1 src1=1 src2=0
	v_mul_i32_i24_e32 v146, v126 /*v382*/, v123 /*v379*/
	s_set_vgpr_msb 64                       ;  msbs: dst=1 src0=0 src1=0 src2=0
	v_mul_i32_i24_e32 v97 /*v353*/, v217, v200
	s_set_vgpr_msb 0x41                     ;  msbs: dst=1 src0=1 src1=0 src2=0
	v_bfe_i32 v126 /*v382*/, v3 /*v259*/, 0, 8
	v_bfe_i32 v3 /*v259*/, v3 /*v259*/, 16, 8
	s_set_vgpr_msb 0                        ;  msbs: dst=0 src0=0 src1=0 src2=0
	v_add3_u32 v91, v92, v91, v145
	s_set_vgpr_msb 5                        ;  msbs: dst=0 src0=1 src1=1 src2=0
	v_mul_i32_i24_e32 v92, v46 /*v302*/, v23 /*v279*/
	v_mul_i32_i24_e32 v145, v53 /*v309*/, v41 /*v297*/
	s_set_vgpr_msb 0x41                     ;  msbs: dst=1 src0=1 src1=0 src2=0
	v_mul_i32_i24_e32 v148 /*v404*/, v126 /*v382*/, v230
	v_mul_i32_i24_e32 v195 /*v451*/, v102 /*v358*/, v229
	;; [unrolled: 1-line block ×3, first 2 shown]
	s_set_vgpr_msb 0                        ;  msbs: dst=0 src0=0 src1=0 src2=0
	v_add3_u32 v92, v102, v145, v92
	s_set_vgpr_msb 1                        ;  msbs: dst=0 src0=1 src1=0 src2=0
	v_mul_i32_i24_e32 v102, v46 /*v302*/, v198
	v_mul_i32_i24_e32 v145, v53 /*v309*/, v197
	s_set_vgpr_msb 0                        ;  msbs: dst=0 src0=0 src1=0 src2=0
	s_delay_alu instid0(VALU_DEP_1) | instskip(SKIP_4) | instid1(VALU_DEP_1)
	v_add3_u32 v102, v108, v145, v102
	s_set_vgpr_msb 5                        ;  msbs: dst=0 src0=1 src1=1 src2=0
	v_mul_i32_i24_e32 v108, v46 /*v302*/, v99 /*v355*/
	v_mul_i32_i24_e32 v145, v53 /*v309*/, v100 /*v356*/
	s_set_vgpr_msb 1                        ;  msbs: dst=0 src0=1 src1=0 src2=0
	v_add3_u32 v108, v39 /*v295*/, v145, v108
	v_mul_i32_i24_e32 v145, v129 /*v385*/, v239
	s_set_vgpr_msb 64                       ;  msbs: dst=1 src0=0 src1=0 src2=0
	v_ashrrev_i32_e32 v129 /*v385*/, 24, v97
	v_mul_i32_i24_e32 v39 /*v295*/, v216, v211
	s_set_vgpr_msb 0                        ;  msbs: dst=0 src0=0 src1=0 src2=0
	v_add3_u32 v126, v126, v145, v146
	s_set_vgpr_msb 5                        ;  msbs: dst=0 src0=1 src1=1 src2=0
	v_mul_i32_i24_e32 v145, v22 /*v278*/, v23 /*v279*/
	s_set_vgpr_msb 4                        ;  msbs: dst=0 src0=0 src1=1 src2=0
	v_mul_i32_i24_e32 v146, v107, v41 /*v297*/
	s_set_vgpr_msb 0                        ;  msbs: dst=0 src0=0 src1=0 src2=0
	v_mul_i32_i24_e32 v107, v107, v200
	s_set_vgpr_msb 64                       ;  msbs: dst=1 src0=0 src1=0 src2=0
	s_delay_alu instid0(VALU_DEP_2)
	v_add3_u32 v106 /*v362*/, v147, v146, v145
	s_set_vgpr_msb 1                        ;  msbs: dst=0 src0=1 src1=0 src2=0
	v_mul_i32_i24_e32 v145, v63 /*v319*/, v239
	s_set_vgpr_msb 5                        ;  msbs: dst=0 src0=1 src1=1 src2=0
	v_mul_i32_i24_e32 v146, v130 /*v386*/, v123 /*v379*/
	s_set_vgpr_msb 64                       ;  msbs: dst=1 src0=0 src1=0 src2=0
	v_ashrrev_i32_e32 v130 /*v386*/, 24, v93
	v_bfe_i32 v63 /*v319*/, v97, 0, 8
	s_set_vgpr_msb 1                        ;  msbs: dst=0 src0=1 src1=0 src2=0
	v_mul_i32_i24_e32 v97, v119 /*v375*/, v153
	s_set_vgpr_msb 0                        ;  msbs: dst=0 src0=0 src1=0 src2=0
	v_mul_i32_i24_e32 v147, v228, v229
	v_add3_u32 v124, v124, v145, v146
	s_set_vgpr_msb 5                        ;  msbs: dst=0 src0=1 src1=1 src2=0
	v_mul_i32_i24_e32 v145, v4 /*v260*/, v23 /*v279*/
	v_mul_i32_i24_e32 v146, v108 /*v364*/, v41 /*v297*/
	s_set_vgpr_msb 0x41                     ;  msbs: dst=1 src0=1 src1=0 src2=0
	s_delay_alu instid0(VALU_DEP_1)
	v_add3_u32 v6 /*v262*/, v6 /*v262*/, v146, v145
	s_set_vgpr_msb 1                        ;  msbs: dst=0 src0=1 src1=0 src2=0
	v_mul_i32_i24_e32 v145, v81 /*v337*/, v239
	s_set_vgpr_msb 5                        ;  msbs: dst=0 src0=1 src1=1 src2=0
	v_mul_i32_i24_e32 v146, v59 /*v315*/, v123 /*v379*/
	s_set_vgpr_msb 64                       ;  msbs: dst=1 src0=0 src1=0 src2=0
	v_bfe_u32 v81 /*v337*/, v95, 4, 4
	s_set_vgpr_msb 0                        ;  msbs: dst=0 src0=0 src1=0 src2=0
	s_delay_alu instid0(VALU_DEP_2) | instskip(SKIP_4) | instid1(VALU_DEP_1)
	v_add3_u32 v96, v96, v145, v146
	s_set_vgpr_msb 5                        ;  msbs: dst=0 src0=1 src1=1 src2=0
	v_mul_i32_i24_e32 v145, v98 /*v354*/, v23 /*v279*/
	v_mul_i32_i24_e32 v146, v58 /*v314*/, v41 /*v297*/
	s_set_vgpr_msb 0                        ;  msbs: dst=0 src0=0 src1=0 src2=0
	v_add3_u32 v104, v104, v146, v145
	s_set_vgpr_msb 1                        ;  msbs: dst=0 src0=1 src1=0 src2=0
	v_mul_i32_i24_e32 v145, v98 /*v354*/, v198
	v_mul_i32_i24_e32 v146, v58 /*v314*/, v197
	s_set_vgpr_msb 0x41                     ;  msbs: dst=1 src0=1 src1=0 src2=0
	s_delay_alu instid0(VALU_DEP_1)
	v_add3_u32 v59 /*v315*/, v60 /*v316*/, v146, v145
	s_set_vgpr_msb 5                        ;  msbs: dst=0 src0=1 src1=1 src2=0
	v_mul_i32_i24_e32 v145, v98 /*v354*/, v99 /*v355*/
	v_mul_i32_i24_e32 v146, v58 /*v314*/, v100 /*v356*/
	s_set_vgpr_msb 64                       ;  msbs: dst=1 src0=0 src1=0 src2=0
	v_mul_i32_i24_e32 v60 /*v316*/, v224, v230
	s_set_vgpr_msb 0x41                     ;  msbs: dst=1 src0=1 src1=0 src2=0
	s_delay_alu instid0(VALU_DEP_2)
	v_add3_u32 v26 /*v282*/, v26 /*v282*/, v146, v145
	s_set_vgpr_msb 1                        ;  msbs: dst=0 src0=1 src1=0 src2=0
	v_mul_i32_i24_e32 v145, v120 /*v376*/, v239
	s_set_vgpr_msb 5                        ;  msbs: dst=0 src0=1 src1=1 src2=0
	v_mul_i32_i24_e32 v146, v25 /*v281*/, v123 /*v379*/
	s_set_vgpr_msb 64                       ;  msbs: dst=1 src0=0 src1=0 src2=0
	v_bfe_i32 v25 /*v281*/, v93, 0, 8
	s_set_vgpr_msb 4                        ;  msbs: dst=0 src0=0 src1=1 src2=0
	v_mul_i32_i24_e32 v93, v233, v123 /*v379*/
	s_set_vgpr_msb 64                       ;  msbs: dst=1 src0=0 src1=0 src2=0
	v_lshrrev_b32_e32 v120 /*v376*/, 28, v95
	s_set_vgpr_msb 0                        ;  msbs: dst=0 src0=0 src1=0 src2=0
	v_mul_i32_i24_e32 v95, v113, v231
	v_add3_u32 v239, v94, v145, v146
	s_set_vgpr_msb 4                        ;  msbs: dst=0 src0=0 src1=1 src2=0
	v_mul_i32_i24_e32 v94, v234, v33 /*v289*/
	v_mul_i32_i24_e32 v145, v233, v103 /*v359*/
	s_set_vgpr_msb 16                       ;  msbs: dst=0 src0=0 src1=0 src2=1
	v_add3_u32 v233, v100, v93, v101 /*v357*/
	s_set_vgpr_msb 5                        ;  msbs: dst=0 src0=1 src1=1 src2=0
	v_mul_i32_i24_e32 v93, v62 /*v318*/, v23 /*v279*/
	s_set_vgpr_msb 0                        ;  msbs: dst=0 src0=0 src1=0 src2=0
	v_mul_i32_i24_e32 v100, v106, v199
	s_set_vgpr_msb 64                       ;  msbs: dst=1 src0=0 src1=0 src2=0
	v_ashrrev_i32_e32 v103 /*v359*/, 24, v99
	s_set_vgpr_msb 0                        ;  msbs: dst=0 src0=0 src1=0 src2=0
	v_add3_u32 v234, v98, v145, v94
	s_set_vgpr_msb 5                        ;  msbs: dst=0 src0=1 src1=1 src2=0
	v_mul_i32_i24_e32 v94, v131 /*v387*/, v41 /*v297*/
	v_mul_i32_i24_e32 v98, v114 /*v370*/, v83 /*v339*/
	v_mul_i32_i24_e32 v99, v119 /*v375*/, v84 /*v340*/
	v_mul_i32_i24_e32 v145, v15 /*v271*/, v7 /*v263*/
	v_mul_i32_i24_e32 v146, v18 /*v274*/, v75 /*v331*/
	s_set_vgpr_msb 64                       ;  msbs: dst=1 src0=0 src1=0 src2=0
	v_add3_u32 v33 /*v289*/, v101, v94, v93
	s_set_vgpr_msb 1                        ;  msbs: dst=0 src0=1 src1=0 src2=0
	v_mul_i32_i24_e32 v93, v62 /*v318*/, v198
	v_mul_i32_i24_e32 v94, v131 /*v387*/, v197
	s_set_vgpr_msb 0                        ;  msbs: dst=0 src0=0 src1=0 src2=0
	v_mul_i32_i24_e32 v101, v111, v231
	s_set_vgpr_msb 1                        ;  msbs: dst=0 src0=1 src1=0 src2=0
	v_add3_u32 v111, v26 /*v282*/, v98, v99
	s_set_vgpr_msb 0                        ;  msbs: dst=0 src0=0 src1=0 src2=0
	v_cvt_f32_f16_e64 v98, v209
	v_cvt_f32_f16_e64 v99, v212
	s_set_vgpr_msb 64                       ;  msbs: dst=1 src0=0 src1=0 src2=0
	v_add3_u32 v101 /*v357*/, v103, v94, v93
	s_set_vgpr_msb 5                        ;  msbs: dst=0 src0=1 src1=1 src2=0
	v_mul_i32_i24_e32 v93, v62 /*v318*/, v99 /*v355*/
	v_mul_i32_i24_e32 v94, v131 /*v387*/, v100 /*v356*/
	s_set_vgpr_msb 4                        ;  msbs: dst=0 src0=0 src1=1 src2=0
	v_mul_i32_i24_e32 v103, v204, v36 /*v292*/
	s_set_vgpr_msb 0x44                     ;  msbs: dst=1 src0=0 src1=1 src2=0
	v_mul_i32_i24_e32 v26 /*v282*/, v201, v27 /*v283*/
	s_set_vgpr_msb 0x45                     ;  msbs: dst=1 src0=1 src1=1 src2=0
	v_mul_i32_i24_e32 v36 /*v292*/, v8 /*v264*/, v94 /*v350*/
	s_set_vgpr_msb 64                       ;  msbs: dst=1 src0=0 src1=0 src2=0
	v_add3_u32 v123 /*v379*/, v149, v94, v93
	s_set_vgpr_msb 0                        ;  msbs: dst=0 src0=0 src1=0 src2=0
	v_mul_i32_i24_e32 v93, v254, v152
	v_mul_i32_i24_e32 v94, v255, v153
	s_set_vgpr_msb 5                        ;  msbs: dst=0 src0=1 src1=1 src2=0
	v_mul_i32_i24_e32 v149, v54 /*v310*/, v5 /*v261*/
	s_set_vgpr_msb 0x41                     ;  msbs: dst=1 src0=1 src1=0 src2=0
	s_delay_alu instid0(VALU_DEP_2) | instskip(SKIP_4) | instid1(VALU_DEP_1)
	v_add3_u32 v11 /*v267*/, v11 /*v267*/, v93, v94
	s_set_vgpr_msb 0                        ;  msbs: dst=0 src0=0 src1=0 src2=0
	v_mul_i32_i24_e32 v93, v205, v240
	v_mul_i32_i24_e32 v94, v204, v241
	s_set_vgpr_msb 1                        ;  msbs: dst=0 src0=1 src1=0 src2=0
	v_add3_u32 v240, v29 /*v285*/, v94, v93
	s_set_vgpr_msb 4                        ;  msbs: dst=0 src0=0 src1=1 src2=0
	v_mul_i32_i24_e32 v93, v254, v83 /*v339*/
	v_mul_i32_i24_e32 v94, v255, v84 /*v340*/
	s_set_vgpr_msb 1                        ;  msbs: dst=0 src0=1 src1=0 src2=0
	s_delay_alu instid0(VALU_DEP_1)
	v_add3_u32 v241, v31 /*v287*/, v93, v94
	s_set_vgpr_msb 4                        ;  msbs: dst=0 src0=0 src1=1 src2=0
	v_mul_i32_i24_e32 v93, v205, v91 /*v347*/
	v_mul_i32_i24_e32 v94, v204, v66 /*v322*/
	s_set_vgpr_msb 0                        ;  msbs: dst=0 src0=0 src1=0 src2=0
	v_add3_u32 v204, v239, v100, v101
	v_cvt_f32_f16_e64 v100, v207
	v_cvt_f32_f16_e64 v101, v210
	v_mul_i32_i24_e32 v239, v251, v236
	v_add3_u32 v139, v139, v94, v93
	s_set_vgpr_msb 1                        ;  msbs: dst=0 src0=1 src1=0 src2=0
	v_mul_i32_i24_e32 v93, v109 /*v365*/, v152
	s_set_vgpr_msb 0                        ;  msbs: dst=0 src0=0 src1=0 src2=0
	v_mul_i32_i24_e32 v94, v127, v153
	s_set_vgpr_msb 0x44                     ;  msbs: dst=1 src0=0 src1=1 src2=0
	v_mul_i32_i24_e32 v66 /*v322*/, v228, v40 /*v296*/
	s_set_vgpr_msb 0x41                     ;  msbs: dst=1 src0=1 src1=0 src2=0
	s_delay_alu instid0(VALU_DEP_2)
	v_add3_u32 v29 /*v285*/, v50 /*v306*/, v93, v94
	s_set_vgpr_msb 1                        ;  msbs: dst=0 src0=1 src1=0 src2=0
	v_mul_i32_i24_e32 v93, v110 /*v366*/, v152
	s_set_vgpr_msb 0                        ;  msbs: dst=0 src0=0 src1=0 src2=0
	v_mul_i32_i24_e32 v94, v125, v153
	s_set_vgpr_msb 0x41                     ;  msbs: dst=1 src0=1 src1=0 src2=0
	s_delay_alu instid0(VALU_DEP_1)
	v_add3_u32 v31 /*v287*/, v51 /*v307*/, v93, v94
	s_set_vgpr_msb 5                        ;  msbs: dst=0 src0=1 src1=1 src2=0
	v_mul_i32_i24_e32 v93, v109 /*v365*/, v83 /*v339*/
	s_set_vgpr_msb 4                        ;  msbs: dst=0 src0=0 src1=1 src2=0
	v_mul_i32_i24_e32 v94, v127, v84 /*v340*/
	s_set_vgpr_msb 0x41                     ;  msbs: dst=1 src0=1 src1=0 src2=0
	s_delay_alu instid0(VALU_DEP_1)
	v_add3_u32 v50 /*v306*/, v52 /*v308*/, v93, v94
	s_set_vgpr_msb 5                        ;  msbs: dst=0 src0=1 src1=1 src2=0
	v_mul_i32_i24_e32 v93, v110 /*v366*/, v83 /*v339*/
	s_set_vgpr_msb 4                        ;  msbs: dst=0 src0=0 src1=1 src2=0
	v_mul_i32_i24_e32 v94, v125, v84 /*v340*/
	s_set_vgpr_msb 0x41                     ;  msbs: dst=1 src0=1 src1=0 src2=0
	s_delay_alu instid0(VALU_DEP_1)
	v_add3_u32 v51 /*v307*/, v55 /*v311*/, v93, v94
	s_set_vgpr_msb 4                        ;  msbs: dst=0 src0=0 src1=1 src2=0
	v_mul_i32_i24_e32 v93, v254, v27 /*v283*/
	v_mul_i32_i24_e32 v94, v255, v87 /*v343*/
	s_set_vgpr_msb 0x45                     ;  msbs: dst=1 src0=1 src1=1 src2=0
	v_mul_i32_i24_e32 v55 /*v311*/, v49 /*v305*/, v21 /*v277*/
	s_set_vgpr_msb 0x41                     ;  msbs: dst=1 src0=1 src1=0 src2=0
	s_delay_alu instid0(VALU_DEP_2)
	v_add3_u32 v52 /*v308*/, v72 /*v328*/, v93, v94
	s_set_vgpr_msb 0                        ;  msbs: dst=0 src0=0 src1=0 src2=0
	v_mul_i32_i24_e32 v93, v150, v199
	v_mul_i32_i24_e32 v94, v238, v231
	s_set_vgpr_msb 0x44                     ;  msbs: dst=1 src0=0 src1=1 src2=0
	v_mul_i32_i24_e32 v72 /*v328*/, v143, v125 /*v381*/
	s_set_vgpr_msb 5                        ;  msbs: dst=0 src0=1 src1=1 src2=0
	v_mul_i32_i24_e32 v150, v48 /*v304*/, v73 /*v329*/
	s_set_vgpr_msb 0                        ;  msbs: dst=0 src0=0 src1=0 src2=0
	v_add3_u32 v114, v114, v93, v94
	s_set_vgpr_msb 5                        ;  msbs: dst=0 src0=1 src1=1 src2=0
	v_mul_i32_i24_e32 v93, v78 /*v334*/, v23 /*v279*/
	v_mul_i32_i24_e32 v94, v79 /*v335*/, v41 /*v297*/
	s_set_vgpr_msb 0                        ;  msbs: dst=0 src0=0 src1=0 src2=0
	s_delay_alu instid0(VALU_DEP_1) | instskip(SKIP_4) | instid1(VALU_DEP_1)
	v_add3_u32 v116, v116, v94, v93
	s_set_vgpr_msb 1                        ;  msbs: dst=0 src0=1 src1=0 src2=0
	v_mul_i32_i24_e32 v93, v78 /*v334*/, v198
	v_mul_i32_i24_e32 v94, v79 /*v335*/, v197
	s_set_vgpr_msb 0                        ;  msbs: dst=0 src0=0 src1=0 src2=0
	v_add3_u32 v238, v253, v94, v93
	s_set_vgpr_msb 5                        ;  msbs: dst=0 src0=1 src1=1 src2=0
	v_mul_i32_i24_e32 v93, v78 /*v334*/, v99 /*v355*/
	v_mul_i32_i24_e32 v94, v79 /*v335*/, v100 /*v356*/
	s_set_vgpr_msb 0x45                     ;  msbs: dst=1 src0=1 src1=1 src2=0
	v_mul_i32_i24_e32 v78 /*v334*/, v105 /*v361*/, v19 /*v275*/
	s_set_vgpr_msb 0                        ;  msbs: dst=0 src0=0 src1=0 src2=0
	s_delay_alu instid0(VALU_DEP_2)
	v_add3_u32 v253, v89, v94, v93
	v_mul_i32_i24_e32 v89, v109, v231
	s_set_vgpr_msb 1                        ;  msbs: dst=0 src0=1 src1=0 src2=0
	v_mul_i32_i24_e32 v94, v45 /*v301*/, v199
	s_set_vgpr_msb 0                        ;  msbs: dst=0 src0=0 src1=0 src2=0
	v_mul_i32_i24_e32 v93, v129, v231
	v_add3_u32 v109, v91, v88, v89
	s_set_vgpr_msb 5                        ;  msbs: dst=0 src0=1 src1=1 src2=0
	v_mul_i32_i24_e32 v88, v107 /*v363*/, v27 /*v283*/
	v_mul_i32_i24_e32 v89, v113 /*v369*/, v87 /*v343*/
	s_set_vgpr_msb 0                        ;  msbs: dst=0 src0=0 src1=0 src2=0
	v_add3_u32 v113, v96, v94, v95
	s_set_vgpr_msb 1                        ;  msbs: dst=0 src0=1 src1=0 src2=0
	v_mul_i32_i24_e32 v96, v114 /*v370*/, v152
	s_set_vgpr_msb 5                        ;  msbs: dst=0 src0=1 src1=1 src2=0
	v_mul_i32_i24_e32 v94, v114 /*v370*/, v27 /*v283*/
	v_mul_i32_i24_e32 v95, v119 /*v375*/, v87 /*v343*/
	s_set_vgpr_msb 64                       ;  msbs: dst=1 src0=0 src1=0 src2=0
	v_add3_u32 v2 /*v258*/, v92, v88, v89
	s_set_vgpr_msb 1                        ;  msbs: dst=0 src0=1 src1=0 src2=0
	v_mul_i32_i24_e32 v88, v107 /*v363*/, v152
	v_mul_i32_i24_e32 v89, v113 /*v369*/, v153
	v_add3_u32 v106, v59 /*v315*/, v96, v97
	s_set_vgpr_msb 0                        ;  msbs: dst=0 src0=0 src1=0 src2=0
	v_cvt_f32_f16_e64 v97, v213
	s_set_vgpr_msb 1                        ;  msbs: dst=0 src0=1 src1=0 src2=0
	v_mul_i32_i24_e32 v92, v132 /*v388*/, v199
	s_set_vgpr_msb 0                        ;  msbs: dst=0 src0=0 src1=0 src2=0
	v_add3_u32 v104, v104, v94, v95
	s_set_vgpr_msb 64                       ;  msbs: dst=1 src0=0 src1=0 src2=0
	v_add3_u32 v30 /*v286*/, v102, v88, v89
	s_set_vgpr_msb 4                        ;  msbs: dst=0 src0=0 src1=1 src2=0
	v_mul_i32_i24_e32 v102, v205, v34 /*v290*/
	v_cvt_f32_f16_e64 v94, v214
	v_mul_i32_i24_e32 v199, v202, v99 /*v355*/
	s_set_vgpr_msb 0                        ;  msbs: dst=0 src0=0 src1=0 src2=0
	v_add3_u32 v124, v124, v92, v93
	s_set_vgpr_msb 5                        ;  msbs: dst=0 src0=1 src1=1 src2=0
	v_mul_i32_i24_e32 v92, v110 /*v366*/, v27 /*v283*/
	s_set_vgpr_msb 0                        ;  msbs: dst=0 src0=0 src1=0 src2=0
	v_add3_u32 v205, v234, v103, v102
	v_cvt_f32_f16_e64 v103, v151
	v_cvt_f32_f16_e64 v102, v206
	s_set_vgpr_msb 16                       ;  msbs: dst=0 src0=0 src1=0 src2=1
	v_add3_u32 v206, v233, v105, v138 /*v394*/
	s_set_vgpr_msb 5                        ;  msbs: dst=0 src0=1 src1=1 src2=0
	v_mul_i32_i24_e32 v105, v10 /*v266*/, v27 /*v283*/
	v_mul_i32_i24_e32 v151, v136 /*v392*/, v87 /*v343*/
	s_set_vgpr_msb 4                        ;  msbs: dst=0 src0=0 src1=1 src2=0
	v_mul_i32_i24_e32 v93, v125, v87 /*v343*/
	v_cvt_f32_f16_e64 v96, v215
	s_set_vgpr_msb 5                        ;  msbs: dst=0 src0=1 src1=1 src2=0
	v_mul_i32_i24_e32 v88, v107 /*v363*/, v83 /*v339*/
	v_mul_i32_i24_e32 v89, v113 /*v369*/, v84 /*v340*/
	s_set_vgpr_msb 1                        ;  msbs: dst=0 src0=1 src1=0 src2=0
	v_add3_u32 v207, v33 /*v289*/, v105, v151
	v_mul_i32_i24_e32 v105, v10 /*v266*/, v152
	v_mul_i32_i24_e32 v151, v136 /*v392*/, v153
	v_add3_u32 v129, v6 /*v262*/, v92, v93
	s_set_vgpr_msb 0                        ;  msbs: dst=0 src0=0 src1=0 src2=0
	v_cvt_f32_f16_e64 v92, v219
	s_set_vgpr_msb 64                       ;  msbs: dst=1 src0=0 src1=0 src2=0
	v_lshrrev_b32_e32 v132 /*v388*/, 16, v219
	s_set_vgpr_msb 0                        ;  msbs: dst=0 src0=0 src1=0 src2=0
	v_cvt_f32_f16_e64 v95, v218
	s_set_vgpr_msb 1                        ;  msbs: dst=0 src0=1 src1=0 src2=0
	v_add3_u32 v209, v101 /*v357*/, v105, v151
	s_set_vgpr_msb 5                        ;  msbs: dst=0 src0=1 src1=1 src2=0
	v_mul_i32_i24_e32 v105, v10 /*v266*/, v83 /*v339*/
	v_mul_i32_i24_e32 v151, v136 /*v392*/, v84 /*v340*/
	s_set_vgpr_msb 0                        ;  msbs: dst=0 src0=0 src1=0 src2=0
	v_add3_u32 v108, v108, v88, v89
	v_cvt_f32_f16_e64 v88, v223
	v_cvt_f32_f16_e64 v93, v220
	v_mul_i32_i24_e32 v91, v131, v231
	s_set_vgpr_msb 1                        ;  msbs: dst=0 src0=1 src1=0 src2=0
	v_add3_u32 v210, v123 /*v379*/, v105, v151
	s_set_vgpr_msb 0                        ;  msbs: dst=0 src0=0 src1=0 src2=0
	v_mul_i32_i24_e32 v105, v235, v208
	v_mul_i32_i24_e32 v151, v242, v252
	;; [unrolled: 1-line block ×3, first 2 shown]
	v_add3_u32 v126, v126, v90, v91
	s_set_vgpr_msb 5                        ;  msbs: dst=0 src0=1 src1=1 src2=0
	v_mul_i32_i24_e32 v90, v109 /*v365*/, v27 /*v283*/
	s_set_vgpr_msb 4                        ;  msbs: dst=0 src0=0 src1=1 src2=0
	v_mul_i32_i24_e32 v91, v127, v87 /*v343*/
	s_set_vgpr_msb 1                        ;  msbs: dst=0 src0=1 src1=0 src2=0
	v_add3_u32 v212, v11 /*v267*/, v151, v105
	s_set_vgpr_msb 0                        ;  msbs: dst=0 src0=0 src1=0 src2=0
	v_mul_i32_i24_e32 v105, v201, v152
	v_mul_i32_i24_e32 v151, v202, v198
	s_set_vgpr_msb 4                        ;  msbs: dst=0 src0=0 src1=1 src2=0
	v_mul_i32_i24_e32 v198, v235, v104 /*v360*/
	s_set_vgpr_msb 1                        ;  msbs: dst=0 src0=1 src1=0 src2=0
	v_add3_u32 v131, v106 /*v362*/, v90, v91
	s_set_vgpr_msb 0                        ;  msbs: dst=0 src0=0 src1=0 src2=0
	v_cvt_f32_f16_e64 v89, v226
	v_cvt_f32_f16_e64 v90, v221
	v_add3_u32 v213, v240, v151, v105
	s_set_vgpr_msb 4                        ;  msbs: dst=0 src0=0 src1=1 src2=0
	v_mul_i32_i24_e32 v105, v242, v122 /*v378*/
	v_mul_i32_i24_e32 v151, v201, v83 /*v339*/
	v_cvt_f32_f16_e64 v91, v222
	s_set_vgpr_msb 0                        ;  msbs: dst=0 src0=0 src1=0 src2=0
	v_mul_i32_i24_e32 v221, v237, v244
	v_mul_i32_i24_e32 v222, v250, v243
	v_add3_u32 v214, v241, v105, v198
	s_set_vgpr_msb 1                        ;  msbs: dst=0 src0=1 src1=0 src2=0
	v_mul_i32_i24_e32 v105, v111 /*v367*/, v208
	v_mul_i32_i24_e32 v198, v44 /*v300*/, v252
	s_set_vgpr_msb 0                        ;  msbs: dst=0 src0=0 src1=0 src2=0
	v_add3_u32 v139, v139, v199, v151
	s_set_vgpr_msb 1                        ;  msbs: dst=0 src0=1 src1=0 src2=0
	v_mul_i32_i24_e32 v151, v35 /*v291*/, v208
	v_mul_i32_i24_e32 v199, v47 /*v303*/, v252
	s_set_vgpr_msb 0                        ;  msbs: dst=0 src0=0 src1=0 src2=0
	v_mul_i32_i24_e32 v226, v217, v197
	s_set_vgpr_msb 1                        ;  msbs: dst=0 src0=1 src1=0 src2=0
	v_add3_u32 v215, v29 /*v285*/, v198, v105
	s_set_vgpr_msb 5                        ;  msbs: dst=0 src0=1 src1=1 src2=0
	v_mul_i32_i24_e32 v105, v111 /*v367*/, v104 /*v360*/
	v_mul_i32_i24_e32 v198, v44 /*v300*/, v122 /*v378*/
	s_set_vgpr_msb 1                        ;  msbs: dst=0 src0=1 src1=0 src2=0
	v_add3_u32 v218, v31 /*v287*/, v199, v151
	s_set_vgpr_msb 5                        ;  msbs: dst=0 src0=1 src1=1 src2=0
	v_mul_i32_i24_e32 v151, v35 /*v291*/, v104 /*v360*/
	v_mul_i32_i24_e32 v199, v47 /*v303*/, v122 /*v378*/
	s_set_vgpr_msb 4                        ;  msbs: dst=0 src0=0 src1=1 src2=0
	v_mul_i32_i24_e32 v202, v202, v23 /*v279*/
	s_set_vgpr_msb 1                        ;  msbs: dst=0 src0=1 src1=0 src2=0
	v_add3_u32 v219, v50 /*v306*/, v198, v105
	s_set_vgpr_msb 0                        ;  msbs: dst=0 src0=0 src1=0 src2=0
	v_mul_i32_i24_e32 v105, v235, v135
	v_mul_i32_i24_e32 v198, v242, v247
	s_set_vgpr_msb 1                        ;  msbs: dst=0 src0=1 src1=0 src2=0
	v_add3_u32 v220, v51 /*v307*/, v199, v151
	s_set_vgpr_msb 0                        ;  msbs: dst=0 src0=0 src1=0 src2=0
	v_mul_i32_i24_e32 v151, v154, v203
	v_mul_i32_i24_e32 v154, v155, v200
	s_set_vgpr_msb 5                        ;  msbs: dst=0 src0=1 src1=1 src2=0
	v_mul_i32_i24_e32 v155, v38 /*v294*/, v87 /*v343*/
	s_set_vgpr_msb 1                        ;  msbs: dst=0 src0=1 src1=0 src2=0
	v_add3_u32 v223, v52 /*v308*/, v198, v105
	s_set_vgpr_msb 5                        ;  msbs: dst=0 src0=1 src1=1 src2=0
	v_mul_i32_i24_e32 v105, v117 /*v373*/, v27 /*v283*/
	s_set_vgpr_msb 0                        ;  msbs: dst=0 src0=0 src1=0 src2=0
	v_mul_i32_i24_e32 v201, v201, v110
	v_add3_u32 v114, v114, v154, v151
	s_set_vgpr_msb 1                        ;  msbs: dst=0 src0=1 src1=0 src2=0
	v_mul_i32_i24_e32 v151, v38 /*v294*/, v153
	s_set_vgpr_msb 5                        ;  msbs: dst=0 src0=1 src1=1 src2=0
	v_mul_i32_i24_e32 v153, v38 /*v294*/, v84 /*v340*/
	s_set_vgpr_msb 0                        ;  msbs: dst=0 src0=0 src1=0 src2=0
	v_add3_u32 v116, v116, v105, v155
	s_set_vgpr_msb 1                        ;  msbs: dst=0 src0=1 src1=0 src2=0
	v_mul_i32_i24_e32 v105, v117 /*v373*/, v152
	s_set_vgpr_msb 5                        ;  msbs: dst=0 src0=1 src1=1 src2=0
	v_mul_i32_i24_e32 v152, v117 /*v373*/, v83 /*v339*/
	s_set_vgpr_msb 0                        ;  msbs: dst=0 src0=0 src1=0 src2=0
	v_mul_i32_i24_e32 v154, v249, v135
	s_set_vgpr_msb 0x50                     ;  msbs: dst=1 src0=0 src1=0 src2=1
	v_add3_u32 v26 /*v282*/, v205, v202, v26 /*v282*/
	s_set_vgpr_msb 1                        ;  msbs: dst=0 src0=1 src1=0 src2=0
	v_mul_i32_i24_e32 v202, v85 /*v341*/, v208
	s_set_vgpr_msb 0                        ;  msbs: dst=0 src0=0 src1=0 src2=0
	v_add3_u32 v238, v238, v105, v151
	s_set_vgpr_msb 1                        ;  msbs: dst=0 src0=1 src1=0 src2=0
	v_mul_i32_i24_e32 v105, v46 /*v302*/, v203
	v_mul_i32_i24_e32 v151, v53 /*v309*/, v200
	s_set_vgpr_msb 0                        ;  msbs: dst=0 src0=0 src1=0 src2=0
	v_add3_u32 v241, v253, v152, v153
	s_set_vgpr_msb 1                        ;  msbs: dst=0 src0=1 src1=0 src2=0
	v_mul_i32_i24_e32 v152, v12 /*v268*/, v247
	s_set_vgpr_msb 0                        ;  msbs: dst=0 src0=0 src1=0 src2=0
	v_mul_i32_i24_e32 v153, v249, v208
	s_set_vgpr_msb 64                       ;  msbs: dst=1 src0=0 src1=0 src2=0
	v_add3_u32 v38 /*v294*/, v212, v221, v222
	s_set_vgpr_msb 0                        ;  msbs: dst=0 src0=0 src1=0 src2=0
	v_add3_u32 v109, v109, v151, v105
	s_set_vgpr_msb 1                        ;  msbs: dst=0 src0=1 src1=0 src2=0
	v_mul_i32_i24_e32 v105, v12 /*v268*/, v252
	v_add3_u32 v253, v2 /*v258*/, v152, v154
	s_set_vgpr_msb 4                        ;  msbs: dst=0 src0=0 src1=1 src2=0
	v_mul_i32_i24_e32 v151, v249, v104 /*v360*/
	s_set_vgpr_msb 5                        ;  msbs: dst=0 src0=1 src1=1 src2=0
	v_mul_i32_i24_e32 v152, v12 /*v268*/, v122 /*v378*/
	s_set_vgpr_msb 0                        ;  msbs: dst=0 src0=0 src1=0 src2=0
	v_add3_u32 v221, v213, v231, v226
	s_set_vgpr_msb 0x41                     ;  msbs: dst=1 src0=1 src1=0 src2=0
	v_add3_u32 v2 /*v258*/, v30 /*v286*/, v105, v153
	s_set_vgpr_msb 1                        ;  msbs: dst=0 src0=1 src1=0 src2=0
	v_mul_i32_i24_e32 v105, v22 /*v278*/, v203
	v_mul_i32_i24_e32 v153, v13 /*v269*/, v135
	s_set_vgpr_msb 0                        ;  msbs: dst=0 src0=0 src1=0 src2=0
	v_add3_u32 v108, v108, v152, v151
	s_set_vgpr_msb 1                        ;  msbs: dst=0 src0=1 src1=0 src2=0
	v_mul_i32_i24_e32 v151, v111 /*v367*/, v135
	v_mul_i32_i24_e32 v152, v44 /*v300*/, v247
	s_set_vgpr_msb 0                        ;  msbs: dst=0 src0=0 src1=0 src2=0
	v_add3_u32 v126, v126, v107, v105
	s_set_vgpr_msb 1                        ;  msbs: dst=0 src0=1 src1=0 src2=0
	v_mul_i32_i24_e32 v105, v4 /*v260*/, v203
	v_mul_i32_i24_e32 v107, v108 /*v364*/, v200
	s_set_vgpr_msb 0x44                     ;  msbs: dst=1 src0=0 src1=1 src2=0
	v_add3_u32 v30 /*v286*/, v206, v37 /*v293*/, v201
	s_set_vgpr_msb 0                        ;  msbs: dst=0 src0=0 src1=0 src2=0
	v_add3_u32 v131, v131, v152, v151
	s_set_vgpr_msb 1                        ;  msbs: dst=0 src0=1 src1=0 src2=0
	v_mul_i32_i24_e32 v151, v35 /*v291*/, v135
	v_mul_i32_i24_e32 v152, v47 /*v303*/, v247
	s_set_vgpr_msb 0                        ;  msbs: dst=0 src0=0 src1=0 src2=0
	v_add3_u32 v124, v124, v107, v105
	s_set_vgpr_msb 1                        ;  msbs: dst=0 src0=1 src1=0 src2=0
	v_mul_i32_i24_e32 v105, v98 /*v354*/, v203
	v_mul_i32_i24_e32 v107, v58 /*v314*/, v200
	;; [unrolled: 1-line block ×3, first 2 shown]
	s_set_vgpr_msb 0                        ;  msbs: dst=0 src0=0 src1=0 src2=0
	v_add3_u32 v129, v129, v152, v151
	s_set_vgpr_msb 1                        ;  msbs: dst=0 src0=1 src1=0 src2=0
	v_mul_i32_i24_e32 v152, v13 /*v269*/, v208
	v_mul_i32_i24_e32 v151, v71 /*v327*/, v247
	s_set_vgpr_msb 0                        ;  msbs: dst=0 src0=0 src1=0 src2=0
	v_add3_u32 v113, v113, v107, v105
	s_set_vgpr_msb 1                        ;  msbs: dst=0 src0=1 src1=0 src2=0
	v_mul_i32_i24_e32 v105, v71 /*v327*/, v252
	s_set_vgpr_msb 5                        ;  msbs: dst=0 src0=1 src1=1 src2=0
	v_mul_i32_i24_e32 v107, v13 /*v269*/, v104 /*v360*/
	s_set_vgpr_msb 1                        ;  msbs: dst=0 src0=1 src1=0 src2=0
	v_mul_i32_i24_e32 v201, v86 /*v342*/, v252
	s_set_vgpr_msb 64                       ;  msbs: dst=1 src0=0 src1=0 src2=0
	v_add3_u32 v4 /*v260*/, v104, v151, v153
	s_set_vgpr_msb 5                        ;  msbs: dst=0 src0=1 src1=1 src2=0
	v_mul_i32_i24_e32 v104, v71 /*v327*/, v122 /*v378*/
	s_set_vgpr_msb 64                       ;  msbs: dst=1 src0=0 src1=0 src2=0
	v_add3_u32 v6 /*v262*/, v106, v105, v152
	s_set_vgpr_msb 1                        ;  msbs: dst=0 src0=1 src1=0 src2=0
	v_mul_i32_i24_e32 v106, v62 /*v318*/, v203
	s_set_vgpr_msb 4                        ;  msbs: dst=0 src0=0 src1=1 src2=0
	v_mul_i32_i24_e32 v203, v250, v40 /*v296*/
	s_set_vgpr_msb 0x44                     ;  msbs: dst=1 src0=0 src1=1 src2=0
	v_mul_i32_i24_e32 v11 /*v267*/, v217, v100 /*v356*/
	s_set_vgpr_msb 0                        ;  msbs: dst=0 src0=0 src1=0 src2=0
	v_add3_u32 v111, v111, v104, v107
	s_set_vgpr_msb 4                        ;  msbs: dst=0 src0=0 src1=1 src2=0
	v_mul_i32_i24_e32 v107, v237, v124 /*v380*/
	s_set_vgpr_msb 64                       ;  msbs: dst=1 src0=0 src1=0 src2=0
	v_add3_u32 v27 /*v283*/, v204, v200, v106
	s_set_vgpr_msb 1                        ;  msbs: dst=0 src0=1 src1=0 src2=0
	v_mul_i32_i24_e32 v106, v85 /*v341*/, v135
	v_mul_i32_i24_e32 v200, v86 /*v342*/, v247
	s_set_vgpr_msb 5                        ;  msbs: dst=0 src0=1 src1=1 src2=0
	v_mul_i32_i24_e32 v204, v85 /*v341*/, v104 /*v360*/
	s_set_vgpr_msb 0                        ;  msbs: dst=0 src0=0 src1=0 src2=0
	v_add3_u32 v226, v214, v107, v203
	v_mul_i32_i24_e32 v107, v117, v243
	s_set_vgpr_msb 0x44                     ;  msbs: dst=1 src0=0 src1=1 src2=0
	v_mul_i32_i24_e32 v22 /*v278*/, v216, v84 /*v340*/
	s_set_vgpr_msb 64                       ;  msbs: dst=1 src0=0 src1=0 src2=0
	v_add3_u32 v31 /*v287*/, v207, v200, v106
	s_set_vgpr_msb 5                        ;  msbs: dst=0 src0=1 src1=1 src2=0
	v_mul_i32_i24_e32 v106, v86 /*v342*/, v122 /*v378*/
	s_set_vgpr_msb 64                       ;  msbs: dst=1 src0=0 src1=0 src2=0
	v_add3_u32 v34 /*v290*/, v209, v201, v202
	s_set_vgpr_msb 1                        ;  msbs: dst=0 src0=1 src1=0 src2=0
	v_mul_i32_i24_e32 v200, v68 /*v324*/, v244
	s_set_vgpr_msb 0                        ;  msbs: dst=0 src0=0 src1=0 src2=0
	v_mul_i32_i24_e32 v201, v115, v243
	s_set_vgpr_msb 5                        ;  msbs: dst=0 src0=1 src1=1 src2=0
	v_mul_i32_i24_e32 v202, v112 /*v368*/, v124 /*v380*/
	s_set_vgpr_msb 64                       ;  msbs: dst=1 src0=0 src1=0 src2=0
	v_add3_u32 v37 /*v293*/, v210, v106, v204
	s_set_vgpr_msb 1                        ;  msbs: dst=0 src0=1 src1=0 src2=0
	v_mul_i32_i24_e32 v106, v112 /*v368*/, v244
	s_set_vgpr_msb 0                        ;  msbs: dst=0 src0=0 src1=0 src2=0
	v_mul_i32_i24_e32 v234, v248, v208
	s_set_vgpr_msb 20                       ;  msbs: dst=0 src0=0 src1=1 src2=1
	v_add3_u32 v139, v139, v22 /*v278*/, v11 /*v267*/
	s_set_vgpr_msb 64                       ;  msbs: dst=1 src0=0 src1=0 src2=0
	v_add3_u32 v11 /*v267*/, v218, v200, v201
	s_set_vgpr_msb 4                        ;  msbs: dst=0 src0=0 src1=1 src2=0
	v_mul_i32_i24_e32 v200, v115, v40 /*v296*/
	s_set_vgpr_msb 0                        ;  msbs: dst=0 src0=0 src1=0 src2=0
	v_add3_u32 v231, v215, v106, v107
	s_set_vgpr_msb 4                        ;  msbs: dst=0 src0=0 src1=1 src2=0
	v_mul_i32_i24_e32 v106, v117, v40 /*v296*/
	s_set_vgpr_msb 5                        ;  msbs: dst=0 src0=1 src1=1 src2=0
	v_mul_i32_i24_e32 v107, v68 /*v324*/, v124 /*v380*/
	s_set_vgpr_msb 4                        ;  msbs: dst=0 src0=0 src1=1 src2=0
	v_mul_i32_i24_e32 v201, v250, v1 /*v257*/
	s_set_vgpr_msb 1                        ;  msbs: dst=0 src0=1 src1=0 src2=0
	v_mul_i32_i24_e32 v208, v9 /*v265*/, v208
	s_set_vgpr_msb 0                        ;  msbs: dst=0 src0=0 src1=0 src2=0
	v_mul_i32_i24_e32 v209, v245, v252
	s_set_vgpr_msb 64                       ;  msbs: dst=1 src0=0 src1=0 src2=0
	v_add3_u32 v22 /*v278*/, v219, v202, v106
	s_set_vgpr_msb 4                        ;  msbs: dst=0 src0=0 src1=1 src2=0
	v_mul_i32_i24_e32 v106, v237, v0 /*v256*/
	s_set_vgpr_msb 5                        ;  msbs: dst=0 src0=1 src1=1 src2=0
	v_mul_i32_i24_e32 v210, v9 /*v265*/, v104 /*v360*/
	s_set_vgpr_msb 4                        ;  msbs: dst=0 src0=0 src1=1 src2=0
	v_mul_i32_i24_e32 v212, v245, v122 /*v378*/
	s_set_vgpr_msb 64                       ;  msbs: dst=1 src0=0 src1=0 src2=0
	v_add3_u32 v45 /*v301*/, v220, v107, v200
	s_set_vgpr_msb 0                        ;  msbs: dst=0 src0=0 src1=0 src2=0
	v_mul_i32_i24_e32 v107, v255, v211
	v_add3_u32 v255, v223, v106, v201
	v_mul_i32_i24_e32 v201, v254, v110
	v_add3_u32 v238, v238, v209, v208
	s_set_vgpr_msb 1                        ;  msbs: dst=0 src0=1 src1=0 src2=0
	v_mul_i32_i24_e32 v208, v113 /*v369*/, v211
	s_set_vgpr_msb 5                        ;  msbs: dst=0 src0=1 src1=1 src2=0
	v_mul_i32_i24_e32 v209, v127 /*v383*/, v0 /*v256*/
	s_set_vgpr_msb 0                        ;  msbs: dst=0 src0=0 src1=0 src2=0
	v_add3_u32 v241, v241, v212, v210
	s_set_vgpr_msb 5                        ;  msbs: dst=0 src0=1 src1=1 src2=0
	v_mul_i32_i24_e32 v210, v65 /*v321*/, v1 /*v257*/
	s_set_vgpr_msb 1                        ;  msbs: dst=0 src0=1 src1=0 src2=0
	v_mul_i32_i24_e32 v213, v107 /*v363*/, v110
	s_set_vgpr_msb 0                        ;  msbs: dst=0 src0=0 src1=0 src2=0
	v_add3_u32 v114, v114, v201, v107
	s_set_vgpr_msb 1                        ;  msbs: dst=0 src0=1 src1=0 src2=0
	v_cvt_f32_f16_e64 v107, v24 /*v280*/
	v_mul_i32_i24_e32 v212, v127 /*v383*/, v244
	s_set_vgpr_msb 64                       ;  msbs: dst=1 src0=0 src1=0 src2=0
	v_add3_u32 v50 /*v306*/, v253, v209, v210
	v_add3_u32 v24 /*v280*/, v109, v213, v208
	s_set_vgpr_msb 1                        ;  msbs: dst=0 src0=1 src1=0 src2=0
	v_mul_i32_i24_e32 v109, v65 /*v321*/, v243
	s_set_vgpr_msb 5                        ;  msbs: dst=0 src0=1 src1=1 src2=0
	v_mul_i32_i24_e32 v208, v127 /*v383*/, v124 /*v380*/
	v_mul_i32_i24_e32 v209, v65 /*v321*/, v40 /*v296*/
	s_set_vgpr_msb 1                        ;  msbs: dst=0 src0=1 src1=0 src2=0
	v_mul_i32_i24_e32 v240, v8 /*v264*/, v246
	s_set_vgpr_msb 4                        ;  msbs: dst=0 src0=0 src1=1 src2=0
	v_mul_i32_i24_e32 v217, v217, v41 /*v297*/
	s_set_vgpr_msb 1                        ;  msbs: dst=0 src0=1 src1=0 src2=0
	v_add3_u32 v253, v2 /*v258*/, v212, v109
	s_set_vgpr_msb 0                        ;  msbs: dst=0 src0=0 src1=0 src2=0
	v_mul_i32_i24_e32 v109, v127, v211
	v_add3_u32 v127, v108, v208, v209
	s_set_vgpr_msb 5                        ;  msbs: dst=0 src0=1 src1=1 src2=0
	v_mul_i32_i24_e32 v108, v112 /*v368*/, v0 /*v256*/
	s_set_vgpr_msb 4                        ;  msbs: dst=0 src0=0 src1=1 src2=0
	v_mul_i32_i24_e32 v208, v117, v1 /*v257*/
	s_set_vgpr_msb 1                        ;  msbs: dst=0 src0=1 src1=0 src2=0
	v_mul_i32_i24_e32 v209, v109 /*v365*/, v110
	s_set_vgpr_msb 4                        ;  msbs: dst=0 src0=0 src1=1 src2=0
	v_mul_i32_i24_e32 v216, v216, v87 /*v343*/
	s_set_vgpr_msb 0                        ;  msbs: dst=0 src0=0 src1=0 src2=0
	v_mul_i32_i24_e32 v233, v224, v244
	s_set_vgpr_msb 64                       ;  msbs: dst=1 src0=0 src1=0 src2=0
	v_mul_i32_i24_e32 v46 /*v302*/, v228, v243
	s_set_vgpr_msb 0x41                     ;  msbs: dst=1 src0=1 src1=0 src2=0
	v_add3_u32 v91 /*v347*/, v38 /*v294*/, v240, v239
	s_set_vgpr_msb 0                        ;  msbs: dst=0 src0=0 src1=0 src2=0
	v_add3_u32 v126, v126, v209, v109
	v_mul_i32_i24_e32 v109, v125, v211
	v_add3_u32 v125, v131, v108, v208
	s_set_vgpr_msb 5                        ;  msbs: dst=0 src0=1 src1=1 src2=0
	v_mul_i32_i24_e32 v108, v68 /*v324*/, v0 /*v256*/
	s_set_vgpr_msb 4                        ;  msbs: dst=0 src0=0 src1=1 src2=0
	v_mul_i32_i24_e32 v131, v115, v1 /*v257*/
	s_set_vgpr_msb 1                        ;  msbs: dst=0 src0=1 src1=0 src2=0
	v_mul_i32_i24_e32 v208, v110 /*v366*/, v110
	v_mul_i32_i24_e32 v209, v114 /*v370*/, v110
	s_set_vgpr_msb 0x41                     ;  msbs: dst=1 src0=1 src1=0 src2=0
	v_add3_u32 v26 /*v282*/, v26 /*v282*/, v216, v217
	s_set_vgpr_msb 1                        ;  msbs: dst=0 src0=1 src1=0 src2=0
	v_mul_i32_i24_e32 v217, v3 /*v259*/, v243
	s_set_vgpr_msb 0                        ;  msbs: dst=0 src0=0 src1=0 src2=0
	v_add3_u32 v129, v129, v108, v131
	v_add3_u32 v124, v124, v208, v109
	s_set_vgpr_msb 1                        ;  msbs: dst=0 src0=1 src1=0 src2=0
	v_mul_i32_i24_e32 v109, v119 /*v375*/, v211
	s_set_vgpr_msb 4                        ;  msbs: dst=0 src0=0 src1=1 src2=0
	v_mul_i32_i24_e32 v208, v140, v0 /*v256*/
	s_set_vgpr_msb 5                        ;  msbs: dst=0 src0=1 src1=1 src2=0
	v_mul_i32_i24_e32 v108, v102 /*v358*/, v1 /*v257*/
	s_set_vgpr_msb 0                        ;  msbs: dst=0 src0=0 src1=0 src2=0
	v_mul_i32_i24_e32 v131, v140, v244
	v_mul_i32_i24_e32 v240, v122, v243
	v_add3_u32 v113, v113, v209, v109
	s_set_vgpr_msb 1                        ;  msbs: dst=0 src0=1 src1=0 src2=0
	v_mul_i32_i24_e32 v109, v102 /*v358*/, v243
	s_set_vgpr_msb 4                        ;  msbs: dst=0 src0=0 src1=1 src2=0
	v_mul_i32_i24_e32 v209, v140, v124 /*v380*/
	s_set_vgpr_msb 0x41                     ;  msbs: dst=1 src0=1 src1=0 src2=0
	v_add3_u32 v53 /*v309*/, v4 /*v260*/, v208, v108
	s_set_vgpr_msb 5                        ;  msbs: dst=0 src0=1 src1=1 src2=0
	v_mul_i32_i24_e32 v108, v102 /*v358*/, v40 /*v296*/
	s_set_vgpr_msb 1                        ;  msbs: dst=0 src0=1 src1=0 src2=0
	v_mul_i32_i24_e32 v243, v44 /*v300*/, v225
	s_set_vgpr_msb 64                       ;  msbs: dst=1 src0=0 src1=0 src2=0
	v_mul_i32_i24_e32 v117 /*v373*/, v237, v230
	s_set_vgpr_msb 0                        ;  msbs: dst=0 src0=0 src1=0 src2=0
	v_mul_i32_i24_e32 v140, v140, v230
	s_set_vgpr_msb 1                        ;  msbs: dst=0 src0=1 src1=0 src2=0
	v_mul_i32_i24_e32 v230, v111 /*v367*/, v132
	v_cvt_f32_f16_e64 v104, v89 /*v345*/
	s_set_vgpr_msb 0x44                     ;  msbs: dst=1 src0=0 src1=1 src2=0
	v_mul_i32_i24_e32 v33 /*v289*/, v251, v42 /*v298*/
	s_set_vgpr_msb 64                       ;  msbs: dst=1 src0=0 src1=0 src2=0
	v_add3_u32 v2 /*v258*/, v111, v209, v108
	s_set_vgpr_msb 1                        ;  msbs: dst=0 src0=1 src1=0 src2=0
	v_mul_i32_i24_e32 v111, v136 /*v392*/, v211
	v_mul_i32_i24_e32 v110, v10 /*v266*/, v110
	;; [unrolled: 1-line block ×3, first 2 shown]
	s_set_vgpr_msb 64                       ;  msbs: dst=1 src0=0 src1=0 src2=0
	v_add3_u32 v89 /*v345*/, v221, v234, v233
	s_set_vgpr_msb 0                        ;  msbs: dst=0 src0=0 src1=0 src2=0
	v_mul_i32_i24_e32 v234, v232, v244
	s_set_vgpr_msb 1                        ;  msbs: dst=0 src0=1 src1=0 src2=0
	v_mul_i32_i24_e32 v244, v47 /*v303*/, v225
	s_set_vgpr_msb 64                       ;  msbs: dst=1 src0=0 src1=0 src2=0
	v_add3_u32 v196 /*v452*/, v126, v243, v230
	s_set_vgpr_msb 1                        ;  msbs: dst=0 src0=1 src1=0 src2=0
	v_mul_i32_i24_e32 v126, v35 /*v291*/, v132
	s_set_vgpr_msb 64                       ;  msbs: dst=1 src0=0 src1=0 src2=0
	v_mul_i32_i24_e32 v51 /*v307*/, v227, v252
	s_set_vgpr_msb 1                        ;  msbs: dst=0 src0=1 src1=0 src2=0
	v_mul_i32_i24_e32 v254, v43 /*v299*/, v236
	v_mul_i32_i24_e32 v252, v56 /*v312*/, v246
	v_add3_u32 v131, v6 /*v262*/, v131, v109
	v_cvt_f32_f16_e64 v109, v14 /*v270*/
	s_set_vgpr_msb 0x41                     ;  msbs: dst=1 src0=1 src1=0 src2=0
	v_add3_u32 v14 /*v270*/, v27 /*v283*/, v110, v111
	s_set_vgpr_msb 5                        ;  msbs: dst=0 src0=1 src1=1 src2=0
	v_mul_i32_i24_e32 v110, v126 /*v382*/, v0 /*v256*/
	v_mul_i32_i24_e32 v111, v3 /*v259*/, v1 /*v257*/
	s_set_vgpr_msb 0x55                     ;  msbs: dst=1 src0=1 src1=1 src2=1
	v_add3_u32 v27 /*v283*/, v30 /*v286*/, v39 /*v295*/, v97 /*v353*/
	s_set_vgpr_msb 0x54                     ;  msbs: dst=1 src0=0 src1=1 src2=1
	v_add3_u32 v97 /*v353*/, v226, v36 /*v292*/, v33 /*v289*/
	s_set_vgpr_msb 0                        ;  msbs: dst=0 src0=0 src1=0 src2=0
	v_mul_i32_i24_e32 v226, v242, v225
	s_set_vgpr_msb 1                        ;  msbs: dst=0 src0=1 src1=0 src2=0
	v_mul_i32_i24_e32 v242, v12 /*v268*/, v225
	s_set_vgpr_msb 0x41                     ;  msbs: dst=1 src0=1 src1=0 src2=0
	v_mul_i32_i24_e32 v12 /*v268*/, v71 /*v327*/, v225
	s_set_vgpr_msb 64                       ;  msbs: dst=1 src0=0 src1=0 src2=0
	v_add3_u32 v197 /*v453*/, v124, v244, v126
	s_set_vgpr_msb 1                        ;  msbs: dst=0 src0=1 src1=0 src2=0
	v_mul_i32_i24_e32 v124, v13 /*v269*/, v132
	v_mul_i32_i24_e32 v106, v9 /*v265*/, v135
	s_set_vgpr_msb 0                        ;  msbs: dst=0 src0=0 src1=0 src2=0
	v_mul_i32_i24_e32 v203, v245, v247
	s_set_vgpr_msb 1                        ;  msbs: dst=0 src0=1 src1=0 src2=0
	v_mul_i32_i24_e32 v245, v57 /*v313*/, v236
	s_set_vgpr_msb 0x41                     ;  msbs: dst=1 src0=1 src1=0 src2=0
	v_mul_i32_i24_e32 v9 /*v265*/, v67 /*v323*/, v246
	s_set_vgpr_msb 0x45                     ;  msbs: dst=1 src0=1 src1=1 src2=0
	v_mul_i32_i24_e32 v4 /*v260*/, v43 /*v299*/, v42 /*v298*/
	v_mul_i32_i24_e32 v6 /*v262*/, v56 /*v312*/, v94 /*v350*/
	s_set_vgpr_msb 5                        ;  msbs: dst=0 src0=1 src1=1 src2=0
	v_mul_i32_i24_e32 v218, v126 /*v382*/, v124 /*v380*/
	s_set_vgpr_msb 0x41                     ;  msbs: dst=1 src0=1 src1=0 src2=0
	v_add3_u32 v41 /*v297*/, v31 /*v287*/, v110, v111
	s_set_vgpr_msb 5                        ;  msbs: dst=0 src0=1 src1=1 src2=0
	v_mul_i32_i24_e32 v110, v3 /*v259*/, v40 /*v296*/
	s_set_vgpr_msb 0x41                     ;  msbs: dst=1 src0=1 src1=0 src2=0
	v_add3_u32 v106 /*v362*/, v11 /*v267*/, v252, v254
	v_mul_i32_i24_e32 v11 /*v267*/, v86 /*v342*/, v225
	s_set_vgpr_msb 0x44                     ;  msbs: dst=1 src0=0 src1=1 src2=0
	v_add3_u32 v198 /*v454*/, v113, v12 /*v268*/, v124
	s_set_vgpr_msb 1                        ;  msbs: dst=0 src0=1 src1=0 src2=0
	v_mul_i32_i24_e32 v113, v85 /*v341*/, v132
	s_set_vgpr_msb 0x44                     ;  msbs: dst=1 src0=0 src1=1 src2=0
	v_mul_i32_i24_e32 v52 /*v308*/, v143, v19 /*v275*/
	v_mul_i32_i24_e32 v23 /*v279*/, v224, v124 /*v380*/
	;; [unrolled: 1-line block ×3, first 2 shown]
	s_set_vgpr_msb 1                        ;  msbs: dst=0 src0=1 src1=0 src2=0
	v_cvt_f32_f16_e64 v108, v16 /*v272*/
	s_set_vgpr_msb 0x45                     ;  msbs: dst=1 src0=1 src1=1 src2=0
	v_mul_i32_i24_e32 v10 /*v266*/, v57 /*v313*/, v42 /*v298*/
	v_mul_i32_i24_e32 v16 /*v272*/, v67 /*v323*/, v94 /*v350*/
	;; [unrolled: 1-line block ×3, first 2 shown]
	s_set_vgpr_msb 0x41                     ;  msbs: dst=1 src0=1 src1=0 src2=0
	v_add3_u32 v87 /*v343*/, v37 /*v293*/, v218, v110
	s_set_vgpr_msb 64                       ;  msbs: dst=1 src0=0 src1=0 src2=0
	v_mul_i32_i24_e32 v104 /*v360*/, v119, v133
	s_set_vgpr_msb 5                        ;  msbs: dst=0 src0=1 src1=1 src2=0
	v_cvt_f32_f16_e64 v110, v20 /*v276*/
	v_mul_i32_i24_e32 v254, v63 /*v319*/, v42 /*v298*/
	s_set_vgpr_msb 0x45                     ;  msbs: dst=1 src0=1 src1=1 src2=0
	v_mul_i32_i24_e32 v20 /*v276*/, v129 /*v385*/, v94 /*v350*/
	s_set_vgpr_msb 0x44                     ;  msbs: dst=1 src0=0 src1=1 src2=0
	v_add3_u32 v107 /*v363*/, v231, v9 /*v265*/, v245
	s_set_vgpr_msb 0x55                     ;  msbs: dst=1 src0=1 src1=1 src2=1
	v_add3_u32 v109 /*v365*/, v45 /*v301*/, v6 /*v262*/, v4 /*v260*/
	s_set_vgpr_msb 0                        ;  msbs: dst=0 src0=0 src1=0 src2=0
	v_mul_i32_i24_e32 v231, v249, v132
	s_set_vgpr_msb 0x45                     ;  msbs: dst=1 src0=1 src1=1 src2=0
	v_add3_u32 v150 /*v406*/, v14 /*v270*/, v11 /*v267*/, v113
	s_set_vgpr_msb 0                        ;  msbs: dst=0 src0=0 src1=0 src2=0
	v_mul_i32_i24_e32 v113, v248, v132
	s_set_vgpr_msb 5                        ;  msbs: dst=0 src0=1 src1=1 src2=0
	v_mul_i32_i24_e32 v151, v48 /*v304*/, v21 /*v277*/
	s_set_vgpr_msb 4                        ;  msbs: dst=0 src0=0 src1=1 src2=0
	v_mul_i32_i24_e32 v153, v130, v90 /*v346*/
	s_set_vgpr_msb 1                        ;  msbs: dst=0 src0=1 src1=0 src2=0
	v_cvt_f32_f16_e64 v105, v82 /*v338*/
	s_set_vgpr_msb 0x44                     ;  msbs: dst=1 src0=0 src1=1 src2=0
	v_mul_i32_i24_e32 v59 /*v315*/, v227, v122 /*v378*/
	s_set_vgpr_msb 1                        ;  msbs: dst=0 src0=1 src1=0 src2=0
	v_mul_i32_i24_e32 v200, v48 /*v304*/, v133
	s_set_vgpr_msb 4                        ;  msbs: dst=0 src0=0 src1=1 src2=0
	v_mul_i32_i24_e32 v201, v130, v92 /*v348*/
	s_set_vgpr_msb 0                        ;  msbs: dst=0 src0=0 src1=0 src2=0
	v_add3_u32 v116, v116, v203, v106
	s_set_vgpr_msb 0x44                     ;  msbs: dst=1 src0=0 src1=1 src2=0
	v_mul_i32_i24_e32 v82 /*v338*/, v121, v21 /*v277*/
	s_set_vgpr_msb 20                       ;  msbs: dst=0 src0=0 src1=1 src2=1
	v_add3_u32 v139, v139, v29 /*v285*/, v23 /*v279*/
	s_set_vgpr_msb 1                        ;  msbs: dst=0 src0=1 src1=0 src2=0
	v_cvt_f32_f16_e64 v111, v17 /*v273*/
	s_set_vgpr_msb 4                        ;  msbs: dst=0 src0=0 src1=1 src2=0
	v_mul_i32_i24_e32 v233, v232, v0 /*v256*/
	v_mul_i32_i24_e32 v232, v232, v124 /*v380*/
	;; [unrolled: 1-line block ×4, first 2 shown]
	s_set_vgpr_msb 0x41                     ;  msbs: dst=1 src0=1 src1=0 src2=0
	v_mul_i32_i24_e32 v17 /*v273*/, v63 /*v319*/, v236
	s_set_vgpr_msb 1                        ;  msbs: dst=0 src0=1 src1=0 src2=0
	v_mul_i32_i24_e32 v252, v129 /*v385*/, v246
	s_set_vgpr_msb 0x44                     ;  msbs: dst=1 src0=0 src1=1 src2=0
	v_mul_i32_i24_e32 v0 /*v256*/, v224, v0 /*v256*/
	v_mul_i32_i24_e32 v23 /*v279*/, v251, v81 /*v337*/
	s_set_vgpr_msb 0x45                     ;  msbs: dst=1 src0=1 src1=1 src2=0
	v_mul_i32_i24_e32 v9 /*v265*/, v8 /*v264*/, v120 /*v376*/
	s_set_vgpr_msb 0x41                     ;  msbs: dst=1 src0=1 src1=0 src2=0
	v_mul_i32_i24_e32 v29 /*v285*/, v25 /*v281*/, v236
	v_mul_i32_i24_e32 v30 /*v286*/, v130 /*v386*/, v246
	s_set_vgpr_msb 0x55                     ;  msbs: dst=1 src0=1 src1=1 src2=1
	v_add3_u32 v114 /*v370*/, v22 /*v278*/, v16 /*v272*/, v10 /*v266*/
	s_set_vgpr_msb 0                        ;  msbs: dst=0 src0=0 src1=0 src2=0
	v_mul_i32_i24_e32 v224, v235, v132
	v_add3_u32 v225, v238, v234, v240
	s_set_vgpr_msb 0x41                     ;  msbs: dst=1 src0=1 src1=0 src2=0
	v_add3_u32 v188 /*v444*/, v24 /*v280*/, v242, v231
	s_set_vgpr_msb 0x45                     ;  msbs: dst=1 src0=1 src1=1 src2=0
	v_mul_i32_i24_e32 v47 /*v303*/, v103 /*v359*/, v120 /*v376*/
	s_set_vgpr_msb 0x41                     ;  msbs: dst=1 src0=1 src1=0 src2=0
	v_mul_i32_i24_e32 v68 /*v324*/, v103 /*v359*/, v246
	s_set_vgpr_msb 64                       ;  msbs: dst=1 src0=0 src1=0 src2=0
	v_mul_i32_i24_e32 v112 /*v368*/, v250, v229
	s_set_vgpr_msb 0                        ;  msbs: dst=0 src0=0 src1=0 src2=0
	v_mul_i32_i24_e32 v227, v227, v247
	s_set_vgpr_msb 5                        ;  msbs: dst=0 src0=1 src1=1 src2=0
	v_mul_i32_i24_e32 v117, v103 /*v359*/, v94 /*v350*/
	s_set_vgpr_msb 4                        ;  msbs: dst=0 src0=0 src1=1 src2=0
	v_mul_i32_i24_e32 v229, v228, v1 /*v257*/
	s_set_vgpr_msb 5                        ;  msbs: dst=0 src0=1 src1=1 src2=0
	v_mul_i32_i24_e32 v231, v49 /*v305*/, v142 /*v398*/
	s_set_vgpr_msb 1                        ;  msbs: dst=0 src0=1 src1=0 src2=0
	v_mul_i32_i24_e32 v234, v28 /*v284*/, v236
	s_set_vgpr_msb 5                        ;  msbs: dst=0 src0=1 src1=1 src2=0
	v_mul_i32_i24_e32 v238, v28 /*v284*/, v42 /*v298*/
	v_add3_u32 v247, v2 /*v258*/, v20 /*v276*/, v254
	v_mul_i32_i24_e32 v243, v28 /*v284*/, v81 /*v337*/
	v_mul_i32_i24_e32 v249, v158 /*v414*/, v142 /*v398*/
	s_set_vgpr_msb 0x44                     ;  msbs: dst=1 src0=0 src1=1 src2=0
	v_mul_i32_i24_e32 v1 /*v257*/, v121, v142 /*v398*/
	v_mul_i32_i24_e32 v2 /*v258*/, v119, v142 /*v398*/
	s_set_vgpr_msb 0x51                     ;  msbs: dst=1 src0=1 src1=0 src2=1
	v_add3_u32 v28 /*v284*/, v27 /*v283*/, v113, v60 /*v316*/
	s_set_vgpr_msb 0x45                     ;  msbs: dst=1 src0=1 src1=1 src2=0
	v_mul_i32_i24_e32 v4 /*v260*/, v156 /*v412*/, v142 /*v398*/
	v_mul_i32_i24_e32 v12 /*v268*/, v160 /*v416*/, v142 /*v398*/
	;; [unrolled: 1-line block ×4, first 2 shown]
	s_set_vgpr_msb 0x41                     ;  msbs: dst=1 src0=1 src1=0 src2=0
	v_mul_i32_i24_e32 v27 /*v283*/, v32 /*v288*/, v133
	s_set_vgpr_msb 0x55                     ;  msbs: dst=1 src0=1 src1=1 src2=1
	v_mul_i32_i24_e32 v32 /*v288*/, v32 /*v288*/, v142 /*v398*/
	v_add3_u32 v123 /*v379*/, v89 /*v345*/, v46 /*v302*/, v51 /*v307*/
	v_add3_u32 v126 /*v382*/, v91 /*v347*/, v52 /*v308*/, v55 /*v311*/
	v_mul_i32_i24_e32 v48 /*v304*/, v48 /*v304*/, v142 /*v398*/
	s_set_vgpr_msb 0x41                     ;  msbs: dst=1 src0=1 src1=0 src2=0
	v_mul_i32_i24_e32 v55 /*v311*/, v95 /*v351*/, v130
	s_set_vgpr_msb 0x55                     ;  msbs: dst=1 src0=1 src1=1 src2=1
	v_add3_u32 v131 /*v387*/, v97 /*v353*/, v72 /*v328*/, v77 /*v333*/
	v_mul_i32_i24_e32 v85 /*v341*/, v95 /*v351*/, v167 /*v423*/
	v_mul_i32_i24_e32 v89 /*v345*/, v95 /*v351*/, v140 /*v396*/
	;; [unrolled: 1-line block ×4, first 2 shown]
	v_add3_u32 v142 /*v398*/, v109 /*v365*/, v101 /*v357*/, v104 /*v360*/
	v_mul_i32_i24_e32 v109 /*v365*/, v171 /*v427*/, v95 /*v351*/
	v_mul_i32_i24_e32 v127 /*v383*/, v95 /*v351*/, v96 /*v352*/
	s_set_vgpr_msb 0x44                     ;  msbs: dst=1 src0=0 src1=1 src2=0
	v_mul_i32_i24_e32 v95 /*v351*/, v130, v93 /*v349*/
	s_set_vgpr_msb 4                        ;  msbs: dst=0 src0=0 src1=1 src2=0
	v_dual_lshrrev_b32 v130, 16, v146 /*v402*/ :: v_dual_lshrrev_b32 v132, 16, v145 /*v401*/
	s_set_vgpr_msb 1                        ;  msbs: dst=0 src0=1 src1=0 src2=0
	v_mul_i32_i24_e32 v198, v15 /*v271*/, v236
	s_set_vgpr_msb 5                        ;  msbs: dst=0 src0=1 src1=1 src2=0
	v_mul_i32_i24_e32 v207, v18 /*v274*/, v125 /*v381*/
	v_mul_i32_i24_e32 v202, v54 /*v310*/, v94 /*v350*/
	s_set_vgpr_msb 0x45                     ;  msbs: dst=1 src0=1 src1=1 src2=0
	v_mul_i32_i24_e32 v83 /*v339*/, v116 /*v372*/, v19 /*v275*/
	s_set_vgpr_msb 0x44                     ;  msbs: dst=1 src0=0 src1=1 src2=0
	v_mul_i32_i24_e32 v84 /*v340*/, v119, v21 /*v277*/
	s_set_vgpr_msb 0x45                     ;  msbs: dst=1 src0=1 src1=1 src2=0
	v_mul_i32_i24_e32 v98 /*v354*/, v105 /*v361*/, v125 /*v381*/
	s_set_vgpr_msb 0x41                     ;  msbs: dst=1 src0=1 src1=0 src2=0
	v_add3_u32 v58 /*v314*/, v34 /*v290*/, v216, v217
	s_set_vgpr_msb 64                       ;  msbs: dst=1 src0=0 src1=0 src2=0
	v_mul_i32_i24_e32 v99 /*v355*/, v121, v133
	s_set_vgpr_msb 0                        ;  msbs: dst=0 src0=0 src1=0 src2=0
	v_mul_i32_i24_e32 v135, v248, v135
	s_set_vgpr_msb 0x45                     ;  msbs: dst=1 src0=1 src1=1 src2=0
	v_mul_i32_i24_e32 v31 /*v287*/, v25 /*v281*/, v42 /*v298*/
	v_mul_i32_i24_e32 v16 /*v272*/, v130 /*v386*/, v94 /*v350*/
	;; [unrolled: 1-line block ×3, first 2 shown]
	s_set_vgpr_msb 0                        ;  msbs: dst=0 src0=0 src1=0 src2=0
	v_add3_u32 v114, v114, v226, v224
	s_set_vgpr_msb 0x45                     ;  msbs: dst=1 src0=1 src1=1 src2=0
	v_mul_i32_i24_e32 v36 /*v292*/, v130 /*v386*/, v120 /*v376*/
	v_mul_i32_i24_e32 v37 /*v293*/, v43 /*v299*/, v81 /*v337*/
	s_set_vgpr_msb 0                        ;  msbs: dst=0 src0=0 src1=0 src2=0
	v_add3_u32 v224, v116, v233, v239
	s_set_vgpr_msb 5                        ;  msbs: dst=0 src0=1 src1=1 src2=0
	v_mul_i32_i24_e32 v116, v56 /*v312*/, v120 /*v376*/
	s_set_vgpr_msb 0x45                     ;  msbs: dst=1 src0=1 src1=1 src2=0
	v_mul_i32_i24_e32 v38 /*v294*/, v57 /*v313*/, v81 /*v337*/
	v_mul_i32_i24_e32 v39 /*v295*/, v67 /*v323*/, v120 /*v376*/
	;; [unrolled: 1-line block ×3, first 2 shown]
	s_set_vgpr_msb 0                        ;  msbs: dst=0 src0=0 src1=0 src2=0
	v_add3_u32 v226, v241, v232, v122
	s_set_vgpr_msb 5                        ;  msbs: dst=0 src0=1 src1=1 src2=0
	v_mul_i32_i24_e32 v122, v129 /*v385*/, v120 /*v376*/
	s_set_vgpr_msb 0x45                     ;  msbs: dst=1 src0=1 src1=1 src2=0
	v_mul_i32_i24_e32 v45 /*v301*/, v133 /*v389*/, v81 /*v337*/
	s_set_vgpr_msb 0x41                     ;  msbs: dst=1 src0=1 src1=0 src2=0
	v_mul_i32_i24_e32 v71 /*v327*/, v133 /*v389*/, v236
	s_set_vgpr_msb 5                        ;  msbs: dst=0 src0=1 src1=1 src2=0
	v_mul_i32_i24_e32 v115, v133 /*v389*/, v42 /*v298*/
	v_mul_i32_i24_e32 v232, v143 /*v399*/, v125 /*v381*/
	s_set_vgpr_msb 16                       ;  msbs: dst=0 src0=0 src1=0 src2=1
	v_add3_u32 v242, v131, v252, v17 /*v273*/
	s_set_vgpr_msb 5                        ;  msbs: dst=0 src0=1 src1=1 src2=0
	v_mul_i32_i24_e32 v241, v157 /*v413*/, v125 /*v381*/
	s_set_vgpr_msb 0x54                     ;  msbs: dst=1 src0=0 src1=1 src2=1
	v_add3_u32 v33 /*v289*/, v255, v9 /*v265*/, v23 /*v279*/
	v_add3_u32 v30 /*v286*/, v253, v30 /*v286*/, v29 /*v285*/
	s_set_vgpr_msb 4                        ;  msbs: dst=0 src0=0 src1=1 src2=0
	v_mul_i32_i24_e32 v251, v251, v7 /*v263*/
	s_set_vgpr_msb 5                        ;  msbs: dst=0 src0=1 src1=1 src2=0
	v_mul_i32_i24_e32 v252, v25 /*v281*/, v7 /*v263*/
	v_mul_i32_i24_e32 v253, v57 /*v313*/, v7 /*v263*/
	v_mul_i32_i24_e32 v254, v43 /*v299*/, v7 /*v263*/
	v_mul_i32_i24_e32 v255, v133 /*v389*/, v7 /*v263*/
	v_mul_i32_i24_e32 v248, v63 /*v319*/, v7 /*v263*/
	s_set_vgpr_msb 0x45                     ;  msbs: dst=1 src0=1 src1=1 src2=0
	v_mul_i32_i24_e32 v29 /*v285*/, v159 /*v415*/, v125 /*v381*/
	v_mul_i32_i24_e32 v7 /*v263*/, v8 /*v264*/, v5 /*v261*/
	;; [unrolled: 1-line block ×4, first 2 shown]
	s_set_vgpr_msb 0x54                     ;  msbs: dst=1 src0=0 src1=1 src2=1
	v_add3_u32 v125 /*v381*/, v139, v66 /*v322*/, v59 /*v315*/
	s_set_vgpr_msb 64                       ;  msbs: dst=1 src0=0 src1=0 src2=0
	v_mul_i32_i24_e32 v59 /*v315*/, v134, v128
	s_set_vgpr_msb 0x44                     ;  msbs: dst=1 src0=0 src1=1 src2=0
	v_mul_i32_i24_e32 v91 /*v347*/, v134, v168 /*v424*/
	s_set_vgpr_msb 0x55                     ;  msbs: dst=1 src0=1 src1=1 src2=1
	v_add3_u32 v136 /*v392*/, v107 /*v363*/, v78 /*v334*/, v82 /*v338*/
	s_set_vgpr_msb 0x44                     ;  msbs: dst=1 src0=0 src1=1 src2=0
	v_mul_i32_i24_e32 v102 /*v358*/, v134, v154 /*v410*/
	s_set_vgpr_msb 0x41                     ;  msbs: dst=1 src0=1 src1=0 src2=0
	v_mul_i32_i24_e32 v107 /*v363*/, v170 /*v426*/, v134
	v_mul_i32_i24_e32 v111 /*v367*/, v172 /*v428*/, v134
	s_set_vgpr_msb 0x44                     ;  msbs: dst=1 src0=0 src1=1 src2=0
	v_mul_i32_i24_e32 v130 /*v386*/, v134, v155 /*v411*/
	s_set_vgpr_msb 0                        ;  msbs: dst=0 src0=0 src1=0 src2=0
	v_cvt_f32_f16_e64 v131, v130
	v_cvt_f32_f16_e64 v130, v132
	;; [unrolled: 1-line block ×3, first 2 shown]
	v_lshrrev_b32_e32 v136, 16, v136
	v_mul_i32_i24_e32 v236, v123, v246
	s_set_vgpr_msb 4                        ;  msbs: dst=0 src0=0 src1=1 src2=0
	v_mul_i32_i24_e32 v240, v123, v94 /*v350*/
	s_set_vgpr_msb 0x44                     ;  msbs: dst=1 src0=0 src1=1 src2=0
	v_mul_i32_i24_e32 v94 /*v350*/, v134, v144 /*v400*/
	s_set_vgpr_msb 0                        ;  msbs: dst=0 src0=0 src1=0 src2=0
	v_lshrrev_b32_e32 v134, 16, v137
	s_set_vgpr_msb 4                        ;  msbs: dst=0 src0=0 src1=1 src2=0
	v_mul_i32_i24_e32 v155, v141, v61 /*v317*/
	v_mul_i32_i24_e32 v197, v112, v64 /*v320*/
	s_set_vgpr_msb 5                        ;  msbs: dst=0 src0=1 src1=1 src2=0
	v_mul_i32_i24_e32 v199, v18 /*v274*/, v19 /*v275*/
	s_set_vgpr_msb 1                        ;  msbs: dst=0 src0=1 src1=0 src2=0
	v_mul_i32_i24_e32 v152, v54 /*v310*/, v246
	s_set_vgpr_msb 0                        ;  msbs: dst=0 src0=0 src1=0 src2=0
	v_mul_i32_i24_e32 v154, v128, v142
	s_set_vgpr_msb 4                        ;  msbs: dst=0 src0=0 src1=1 src2=0
	v_mul_i32_i24_e32 v204, v141, v69 /*v325*/
	v_mul_i32_i24_e32 v205, v112, v70 /*v326*/
	s_set_vgpr_msb 5                        ;  msbs: dst=0 src0=1 src1=1 src2=0
	v_mul_i32_i24_e32 v206, v15 /*v271*/, v42 /*v298*/
	s_set_vgpr_msb 0                        ;  msbs: dst=0 src0=0 src1=0 src2=0
	v_mul_i32_i24_e32 v203, v128, v138
	s_set_vgpr_msb 5                        ;  msbs: dst=0 src0=1 src1=1 src2=0
	v_mul_i32_i24_e32 v212, v61 /*v317*/, v128 /*v384*/
	v_mul_i32_i24_e32 v213, v64 /*v320*/, v134 /*v390*/
	v_mul_i32_i24_e32 v214, v61 /*v317*/, v135 /*v391*/
	v_mul_i32_i24_e32 v215, v64 /*v320*/, v137 /*v393*/
	v_mul_i32_i24_e32 v208, v90 /*v346*/, v140 /*v396*/
	s_set_vgpr_msb 4                        ;  msbs: dst=0 src0=0 src1=1 src2=0
	v_mul_i32_i24_e32 v209, v142, v144 /*v400*/
	s_set_vgpr_msb 5                        ;  msbs: dst=0 src0=1 src1=1 src2=0
	v_mul_i32_i24_e32 v210, v90 /*v346*/, v141 /*v397*/
	v_mul_i32_i24_e32 v220, v69 /*v325*/, v128 /*v384*/
	;; [unrolled: 1-line block ×6, first 2 shown]
	s_set_vgpr_msb 4                        ;  msbs: dst=0 src0=0 src1=1 src2=0
	v_mul_i32_i24_e32 v218, v138, v144 /*v400*/
	s_set_vgpr_msb 5                        ;  msbs: dst=0 src0=1 src1=1 src2=0
	v_mul_i32_i24_e32 v217, v92 /*v348*/, v141 /*v397*/
	s_set_vgpr_msb 4                        ;  msbs: dst=0 src0=0 src1=1 src2=0
	v_mul_i32_i24_e32 v219, v138, v154 /*v410*/
	v_mul_i32_i24_e32 v228, v143, v139 /*v395*/
	s_set_vgpr_msb 5                        ;  msbs: dst=0 src0=1 src1=1 src2=0
	v_mul_i32_i24_e32 v230, v143 /*v399*/, v19 /*v275*/
	v_mul_i32_i24_e32 v233, v156 /*v412*/, v21 /*v277*/
	s_set_vgpr_msb 1                        ;  msbs: dst=0 src0=1 src1=0 src2=0
	v_mul_i32_i24_e32 v235, v156 /*v412*/, v133
	s_set_vgpr_msb 5                        ;  msbs: dst=0 src0=1 src1=1 src2=0
	v_mul_i32_i24_e32 v237, v157 /*v413*/, v19 /*v275*/
	v_mul_i32_i24_e32 v239, v158 /*v414*/, v21 /*v277*/
	s_set_vgpr_msb 1                        ;  msbs: dst=0 src0=1 src1=0 src2=0
	v_mul_i32_i24_e32 v244, v158 /*v414*/, v133
	s_set_vgpr_msb 4                        ;  msbs: dst=0 src0=0 src1=1 src2=0
	v_mul_i32_i24_e32 v245, v123, v120 /*v376*/
	s_set_vgpr_msb 5                        ;  msbs: dst=0 src0=1 src1=1 src2=0
	v_mul_i32_i24_e32 v246, v157 /*v413*/, v139 /*v395*/
	v_mul_i32_i24_e32 v250, v105 /*v361*/, v139 /*v395*/
	s_set_vgpr_msb 0x51                     ;  msbs: dst=1 src0=1 src1=0 src2=1
	v_add3_u32 v20 /*v276*/, v26 /*v282*/, v135, v0 /*v256*/
	s_set_vgpr_msb 0x45                     ;  msbs: dst=1 src0=1 src1=1 src2=0
	v_mul_i32_i24_e32 v0 /*v256*/, v116 /*v372*/, v139 /*v395*/
	v_mul_i32_i24_e32 v3 /*v259*/, v143 /*v399*/, v139 /*v395*/
	v_mul_i32_i24_e32 v6 /*v262*/, v159 /*v415*/, v139 /*v395*/
	v_mul_i32_i24_e32 v14 /*v270*/, v159 /*v415*/, v19 /*v275*/
	v_mul_i32_i24_e32 v17 /*v273*/, v160 /*v416*/, v21 /*v277*/
	v_mul_i32_i24_e32 v9 /*v265*/, v67 /*v323*/, v5 /*v261*/
	v_mul_i32_i24_e32 v10 /*v266*/, v56 /*v312*/, v5 /*v261*/
	v_mul_i32_i24_e32 v5 /*v261*/, v129 /*v385*/, v5 /*v261*/
	s_set_vgpr_msb 0x54                     ;  msbs: dst=1 src0=0 src1=1 src2=1
	v_add3_u32 v62 /*v318*/, v127, v16 /*v272*/, v31 /*v287*/
	s_set_vgpr_msb 64                       ;  msbs: dst=1 src0=0 src1=0 src2=0
	v_mul_i32_i24_e32 v13 /*v269*/, v141, v120
	s_set_vgpr_msb 0x55                     ;  msbs: dst=1 src0=1 src1=1 src2=1
	v_mul_i32_i24_e32 v15 /*v271*/, v15 /*v271*/, v81 /*v337*/
	v_mul_i32_i24_e32 v18 /*v274*/, v18 /*v274*/, v139 /*v395*/
	v_mul_i32_i24_e32 v19 /*v275*/, v115 /*v371*/, v19 /*v275*/
	v_mul_i32_i24_e32 v21 /*v277*/, v61 /*v317*/, v161 /*v417*/
	v_add3_u32 v79 /*v335*/, v50 /*v306*/, v36 /*v292*/, v34 /*v290*/
	v_mul_i32_i24_e32 v23 /*v279*/, v64 /*v320*/, v162 /*v418*/
	v_mul_i32_i24_e32 v26 /*v282*/, v69 /*v325*/, v161 /*v417*/
	;; [unrolled: 1-line block ×4, first 2 shown]
	s_set_vgpr_msb 0x50                     ;  msbs: dst=1 src0=0 src1=0 src2=1
	v_add3_u32 v100 /*v356*/, v129, v116, v37 /*v293*/
	s_set_vgpr_msb 0x54                     ;  msbs: dst=1 src0=0 src1=1 src2=1
	v_add3_u32 v108 /*v364*/, v125, v39 /*v295*/, v38 /*v294*/
	v_mul_i32_i24_e32 v36 /*v292*/, v120, v128 /*v384*/
	v_mul_i32_i24_e32 v37 /*v293*/, v118, v134 /*v390*/
	s_set_vgpr_msb 0x51                     ;  msbs: dst=1 src0=1 src1=0 src2=1
	v_add3_u32 v110 /*v366*/, v53 /*v309*/, v122, v44 /*v300*/
	s_set_vgpr_msb 0x44                     ;  msbs: dst=1 src0=0 src1=1 src2=0
	v_mul_i32_i24_e32 v38 /*v294*/, v120, v135 /*v391*/
	s_set_vgpr_msb 0x55                     ;  msbs: dst=1 src0=1 src1=1 src2=1
	v_add3_u32 v113 /*v369*/, v41 /*v297*/, v47 /*v303*/, v45 /*v301*/
	v_add3_u32 v115 /*v371*/, v58 /*v314*/, v68 /*v324*/, v71 /*v327*/
	s_set_vgpr_msb 0x41                     ;  msbs: dst=1 src0=1 src1=0 src2=0
	v_add3_u32 v122 /*v378*/, v87 /*v343*/, v117, v115
	s_set_vgpr_msb 0x45                     ;  msbs: dst=1 src0=1 src1=1 src2=0
	v_mul_i32_i24_e32 v50 /*v306*/, v163 /*v419*/, v61 /*v317*/
	v_mul_i32_i24_e32 v53 /*v309*/, v164 /*v420*/, v64 /*v320*/
	;; [unrolled: 1-line block ×19, first 2 shown]
	s_set_vgpr_msb 0x44                     ;  msbs: dst=1 src0=0 src1=1 src2=0
	v_mul_i32_i24_e32 v70 /*v326*/, v120, v76 /*v332*/
	s_set_vgpr_msb 0x45                     ;  msbs: dst=1 src0=1 src1=1 src2=0
	v_mul_i32_i24_e32 v76 /*v332*/, v92 /*v348*/, v167 /*v423*/
	s_set_vgpr_msb 0x44                     ;  msbs: dst=1 src0=0 src1=1 src2=0
	v_mul_i32_i24_e32 v77 /*v333*/, v118, v74 /*v330*/
	v_mul_i32_i24_e32 v81 /*v337*/, v138, v168 /*v424*/
	s_set_vgpr_msb 0x45                     ;  msbs: dst=1 src0=1 src1=1 src2=0
	v_mul_i32_i24_e32 v74 /*v330*/, v105 /*v361*/, v75 /*v331*/
	s_set_vgpr_msb 0x44                     ;  msbs: dst=1 src0=0 src1=1 src2=0
	v_mul_i32_i24_e32 v86 /*v342*/, v121, v73 /*v329*/
	v_mul_i32_i24_e32 v87 /*v343*/, v119, v73 /*v329*/
	s_set_vgpr_msb 0x55                     ;  msbs: dst=1 src0=1 src1=1 src2=1
	v_add3_u32 v138 /*v394*/, v106 /*v362*/, v83 /*v339*/, v84 /*v340*/
	v_add3_u32 v139 /*v395*/, v114 /*v370*/, v98 /*v354*/, v99 /*v355*/
	s_set_vgpr_msb 0x54                     ;  msbs: dst=1 src0=0 src1=1 src2=1
	v_add3_u32 v143 /*v399*/, v114, v117 /*v373*/, v112 /*v368*/
	s_set_vgpr_msb 0x45                     ;  msbs: dst=1 src0=1 src1=1 src2=0
	v_mul_i32_i24_e32 v112 /*v368*/, v169 /*v425*/, v90 /*v346*/
	s_set_vgpr_msb 0x44                     ;  msbs: dst=1 src0=0 src1=1 src2=0
	v_mul_i32_i24_e32 v82 /*v338*/, v141, v80 /*v336*/
	s_set_vgpr_msb 0x45                     ;  msbs: dst=1 src0=1 src1=1 src2=0
	v_mul_i32_i24_e32 v83 /*v339*/, v165 /*v421*/, v80 /*v336*/
	v_mul_i32_i24_e32 v84 /*v340*/, v80 /*v336*/, v163 /*v419*/
	;; [unrolled: 1-line block ×6, first 2 shown]
	s_set_vgpr_msb 0x44                     ;  msbs: dst=1 src0=0 src1=1 src2=0
	v_mul_i32_i24_e32 v104 /*v360*/, v112, v88 /*v344*/
	s_set_vgpr_msb 0x45                     ;  msbs: dst=1 src0=1 src1=1 src2=0
	v_mul_i32_i24_e32 v105 /*v361*/, v166 /*v422*/, v88 /*v344*/
	v_mul_i32_i24_e32 v106 /*v362*/, v164 /*v420*/, v88 /*v344*/
	;; [unrolled: 1-line block ×14, first 2 shown]
	s_set_vgpr_msb 0x44                     ;  msbs: dst=1 src0=0 src1=1 src2=0
	v_mul_i32_i24_e32 v133 /*v389*/, v138, v155 /*v411*/
	s_set_vgpr_msb 0x41                     ;  msbs: dst=1 src0=1 src1=0 src2=0
	v_mul_i32_i24_e32 v140 /*v396*/, v170 /*v426*/, v138
	v_mul_i32_i24_e32 v141 /*v397*/, v172 /*v428*/, v138
	s_set_vgpr_msb 0x44                     ;  msbs: dst=1 src0=0 src1=1 src2=0
	v_mul_i32_i24_e32 v117 /*v373*/, v128, v121 /*v377*/
	s_set_vgpr_msb 0x55                     ;  msbs: dst=1 src0=1 src1=1 src2=1
	v_mul_i32_i24_e32 v120 /*v376*/, v144 /*v400*/, v121 /*v377*/
	v_add3_u32 v144 /*v400*/, v188 /*v444*/, v189 /*v445*/, v192 /*v448*/
	s_set_vgpr_msb 1                        ;  msbs: dst=0 src0=1 src1=0 src2=0
	v_cvt_f32_f16_e64 v129, v146 /*v402*/
	v_cvt_f32_f16_e64 v128, v145 /*v401*/
	s_set_vgpr_msb 0x55                     ;  msbs: dst=1 src0=1 src1=1 src2=1
	v_add3_u32 v145 /*v401*/, v196 /*v452*/, v190 /*v446*/, v193 /*v449*/
	s_set_vgpr_msb 0                        ;  msbs: dst=0 src0=0 src1=0 src2=0
	v_cvt_f32_f16_e64 v135, v134
	v_cvt_f32_f16_e64 v134, v136
	s_set_vgpr_msb 0x55                     ;  msbs: dst=1 src0=1 src1=1 src2=1
	v_add3_u32 v146 /*v402*/, v197 /*v453*/, v191 /*v447*/, v194 /*v450*/
	s_set_vgpr_msb 1                        ;  msbs: dst=0 src0=1 src1=0 src2=0
	v_cvt_f32_f16_e64 v136, v147 /*v403*/
	s_set_vgpr_msb 4                        ;  msbs: dst=0 src0=0 src1=1 src2=0
	v_dual_lshrrev_b32 v138, 16, v153 /*v409*/ :: v_dual_lshrrev_b32 v141, 16, v147 /*v403*/
	s_set_vgpr_msb 0x51                     ;  msbs: dst=1 src0=1 src1=0 src2=1
	v_add3_u32 v147 /*v403*/, v198 /*v454*/, v140, v195 /*v451*/
	s_set_vgpr_msb 0x55                     ;  msbs: dst=1 src0=1 src1=1 src2=1
	v_add3_u32 v148 /*v404*/, v150 /*v406*/, v148 /*v404*/, v149 /*v405*/
	s_set_vgpr_msb 1                        ;  msbs: dst=0 src0=1 src1=0 src2=0
	v_add3_u32 v147, v28 /*v284*/, v147, v148
	s_set_vgpr_msb 0                        ;  msbs: dst=0 src0=0 src1=0 src2=0
	v_add3_u32 v225, v225, v236, v234
	v_add3_u32 v226, v226, v240, v238
	s_set_vgpr_msb 4                        ;  msbs: dst=0 src0=0 src1=1 src2=0
	v_mul_i32_i24_e32 v211, v142, v154 /*v410*/
	s_set_vgpr_msb 0x41                     ;  msbs: dst=1 src0=1 src1=0 src2=0
	v_mul_i32_i24_e32 v40 /*v296*/, v160 /*v416*/, v133
	s_set_vgpr_msb 64                       ;  msbs: dst=1 src0=0 src1=0 src2=0
	v_mul_i32_i24_e32 v16 /*v272*/, v112, v118
	s_set_vgpr_msb 0x44                     ;  msbs: dst=1 src0=0 src1=1 src2=0
	v_mul_i32_i24_e32 v34 /*v290*/, v120, v161 /*v417*/
	v_mul_i32_i24_e32 v35 /*v291*/, v118, v162 /*v418*/
	;; [unrolled: 1-line block ×3, first 2 shown]
	s_set_vgpr_msb 0x45                     ;  msbs: dst=1 src0=1 src1=1 src2=0
	v_mul_i32_i24_e32 v44 /*v300*/, v159 /*v415*/, v75 /*v331*/
	s_set_vgpr_msb 0x44                     ;  msbs: dst=1 src0=0 src1=1 src2=0
	v_mul_i32_i24_e32 v46 /*v302*/, v143, v75 /*v331*/
	s_set_vgpr_msb 0x45                     ;  msbs: dst=1 src0=1 src1=1 src2=0
	v_mul_i32_i24_e32 v57 /*v313*/, v157 /*v413*/, v75 /*v331*/
	v_mul_i32_i24_e32 v75 /*v331*/, v116 /*v372*/, v75 /*v331*/
	s_set_vgpr_msb 1                        ;  msbs: dst=0 src0=1 src1=0 src2=0
	v_add3_u32 v227, v20 /*v276*/, v229, v227
	v_add3_u32 v148, v33 /*v289*/, v228, v231
	s_set_vgpr_msb 0                        ;  msbs: dst=0 src0=0 src1=0 src2=0
	v_add3_u32 v228, v242, v230, v233
	v_add3_u32 v229, v247, v232, v235
	s_set_vgpr_msb 1                        ;  msbs: dst=0 src0=1 src1=0 src2=0
	v_add3_u32 v230, v30 /*v286*/, v237, v239
	v_add3_u32 v231, v62 /*v318*/, v241, v244
	s_set_vgpr_msb 0                        ;  msbs: dst=0 src0=0 src1=0 src2=0
	v_add3_u32 v224, v224, v245, v243
	s_set_vgpr_msb 1                        ;  msbs: dst=0 src0=1 src1=0 src2=0
	v_add3_u32 v232, v79 /*v335*/, v246, v249
	s_set_vgpr_msb 17                       ;  msbs: dst=0 src0=1 src1=0 src2=1
	v_add3_u32 v233, v108 /*v364*/, v250, v1 /*v257*/
	s_set_vgpr_msb 1                        ;  msbs: dst=0 src0=1 src1=0 src2=0
	v_add3_u32 v155, v126 /*v382*/, v155, v197
	v_add3_u32 v197, v123 /*v379*/, v198, v199
	;; [unrolled: 1-line block ×8, first 2 shown]
	s_set_vgpr_msb 5                        ;  msbs: dst=0 src0=1 src1=1 src2=0
	v_add3_u32 v212, v143 /*v399*/, v7 /*v263*/, v251
	v_add3_u32 v213, v144 /*v400*/, v8 /*v264*/, v252
	;; [unrolled: 1-line block ×5, first 2 shown]
	s_set_vgpr_msb 0                        ;  msbs: dst=0 src0=0 src1=0 src2=0
	v_add3_u32 v145, v147, v145, v146
	s_set_vgpr_msb 5                        ;  msbs: dst=0 src0=1 src1=1 src2=0
	v_add3_u32 v146, v147 /*v403*/, v5 /*v261*/, v248
	s_set_vgpr_msb 20                       ;  msbs: dst=0 src0=0 src1=1 src2=1
	v_add3_u32 v221, v225, v19 /*v275*/, v22 /*v278*/
	v_add3_u32 v223, v226, v24 /*v280*/, v27 /*v283*/
	s_set_vgpr_msb 0x44                     ;  msbs: dst=1 src0=0 src1=1 src2=0
	v_mul_i32_i24_e32 v41 /*v297*/, v120, v163 /*v419*/
	s_set_vgpr_msb 0x41                     ;  msbs: dst=1 src0=1 src1=0 src2=0
	v_mul_i32_i24_e32 v42 /*v298*/, v164 /*v420*/, v118
	v_mul_i32_i24_e32 v43 /*v299*/, v165 /*v421*/, v120
	v_mul_i32_i24_e32 v45 /*v301*/, v166 /*v422*/, v118
	s_set_vgpr_msb 0x44                     ;  msbs: dst=1 src0=0 src1=1 src2=0
	v_mul_i32_i24_e32 v68 /*v324*/, v142, v168 /*v424*/
	s_set_vgpr_msb 1                        ;  msbs: dst=0 src0=1 src1=0 src2=0
	v_cvt_f32_f16_e64 v114, v132 /*v388*/
	s_set_vgpr_msb 0x44                     ;  msbs: dst=1 src0=0 src1=1 src2=0
	v_mul_i32_i24_e32 v132 /*v388*/, v142, v155 /*v411*/
	s_set_vgpr_msb 21                       ;  msbs: dst=0 src0=1 src1=1 src2=1
	v_add3_u32 v234, v100 /*v356*/, v0 /*v256*/, v2 /*v258*/
	v_add3_u32 v235, v110 /*v366*/, v3 /*v259*/, v4 /*v260*/
	;; [unrolled: 1-line block ×5, first 2 shown]
	s_set_vgpr_msb 20                       ;  msbs: dst=0 src0=0 src1=1 src2=1
	v_add3_u32 v147, v148, v13 /*v269*/, v16 /*v272*/
	v_add3_u32 v148, v227, v15 /*v271*/, v18 /*v274*/
	;; [unrolled: 1-line block ×7, first 2 shown]
	s_set_vgpr_msb 0                        ;  msbs: dst=0 src0=0 src1=0 src2=0
	v_add3_u32 v151, v197, v151, v152
	v_add3_u32 v152, v155, v153, v154
	;; [unrolled: 1-line block ×8, first 2 shown]
	s_set_vgpr_msb 20                       ;  msbs: dst=0 src0=0 src1=1 src2=1
	v_add3_u32 v200, v220, v44 /*v300*/, v47 /*v303*/
	v_add3_u32 v201, v212, v46 /*v302*/, v51 /*v307*/
	;; [unrolled: 1-line block ×8, first 2 shown]
	s_set_vgpr_msb 1                        ;  msbs: dst=0 src0=1 src1=0 src2=0
	v_cvt_f32_f16_e64 v106, v118 /*v374*/
	s_set_vgpr_msb 0x41                     ;  msbs: dst=1 src0=1 src1=0 src2=0
	v_mul_i32_i24_e32 v114 /*v370*/, v170 /*v426*/, v142
	v_mul_i32_i24_e32 v137 /*v393*/, v172 /*v428*/, v142
	s_set_vgpr_msb 0x45                     ;  msbs: dst=1 src0=1 src1=1 src2=0
	v_mul_i32_i24_e32 v118 /*v374*/, v121 /*v377*/, v170 /*v426*/
	v_mul_i32_i24_e32 v116 /*v372*/, v121 /*v377*/, v172 /*v428*/
	;; [unrolled: 1-line block ×4, first 2 shown]
	s_set_vgpr_msb 20                       ;  msbs: dst=0 src0=0 src1=1 src2=1
	v_add3_u32 v227, v234, v36 /*v292*/, v37 /*v293*/
	v_add3_u32 v231, v236, v41 /*v297*/, v42 /*v298*/
	;; [unrolled: 1-line block ×7, first 2 shown]
	s_set_vgpr_msb 0                        ;  msbs: dst=0 src0=0 src1=0 src2=0
	v_add3_u32 v145, v145, v150, v149
	s_set_vgpr_msb 20                       ;  msbs: dst=0 src0=0 src1=1 src2=1
	v_add3_u32 v203, v147, v55 /*v311*/, v59 /*v315*/
	v_add3_u32 v204, v148, v48 /*v304*/, v54 /*v310*/
	;; [unrolled: 1-line block ×7, first 2 shown]
	v_cvt_f32_i32_e32 v147, v152
	v_cvt_f32_i32_e32 v146, v151
	;; [unrolled: 1-line block ×7, first 2 shown]
	v_add3_u32 v155, v201, v82 /*v338*/, v104 /*v360*/
	v_add3_u32 v197, v202, v83 /*v339*/, v105 /*v361*/
	;; [unrolled: 1-line block ×8, first 2 shown]
	s_set_vgpr_msb 1                        ;  msbs: dst=0 src0=1 src1=0 src2=0
	v_cvt_f32_f16_e64 v125, v184 /*v440*/
	v_cvt_f32_f16_e64 v124, v185 /*v441*/
	;; [unrolled: 1-line block ×5, first 2 shown]
	s_set_vgpr_msb 4                        ;  msbs: dst=0 src0=0 src1=1 src2=0
	v_lshrrev_b32_e32 v142, 16, v152 /*v408*/
	s_set_vgpr_msb 0x44                     ;  msbs: dst=1 src0=0 src1=1 src2=0
	v_lshrrev_b32_e32 v151 /*v407*/, 16, v151 /*v407*/
	s_set_vgpr_msb 20                       ;  msbs: dst=0 src0=0 src1=1 src2=1
	v_add3_u32 v214, v227, v97 /*v353*/, v102 /*v358*/
	v_add3_u32 v215, v232, v103 /*v359*/, v107 /*v363*/
	;; [unrolled: 1-line block ×7, first 2 shown]
	v_cvt_f32_i32_e32 v153, v199
	v_add3_u32 v224, v208, v127 /*v383*/, v130 /*v386*/
	v_cvt_f32_i32_e32 v154, v145
	v_cvt_f32_i32_e32 v202, v213
	;; [unrolled: 1-line block ×4, first 2 shown]
	s_set_vgpr_msb 0                        ;  msbs: dst=0 src0=0 src1=0 src2=0
	v_pk_fma_f32 v[80:81], v[80:81], v[146:147], v[104:105]
	v_pk_fma_f32 v[82:83], v[82:83], v[148:149], v[106:107]
	v_pk_fma_f32 v[84:85], v[84:85], v[150:151], v[108:109]
	s_set_vgpr_msb 20                       ;  msbs: dst=0 src0=0 src1=1 src2=1
	v_add3_u32 v145, v155, v95 /*v351*/, v117 /*v373*/
	v_add3_u32 v146, v197, v96 /*v352*/, v118 /*v374*/
	;; [unrolled: 1-line block ×6, first 2 shown]
	v_cvt_f32_i32_e32 v210, v201
	v_cvt_f32_i32_e32 v212, v222
	s_set_vgpr_msb 1                        ;  msbs: dst=0 src0=1 src1=0 src2=0
	v_cvt_f32_f16_e64 v117, v173 /*v429*/
	v_cvt_f32_f16_e64 v116, v174 /*v430*/
	;; [unrolled: 1-line block ×11, first 2 shown]
	s_set_vgpr_msb 0                        ;  msbs: dst=0 src0=0 src1=0 src2=0
	v_cvt_f32_f16_e64 v133, v137
	s_set_vgpr_msb 1                        ;  msbs: dst=0 src0=1 src1=0 src2=0
	v_cvt_f32_f16_e64 v137, v153 /*v409*/
	s_set_vgpr_msb 0                        ;  msbs: dst=0 src0=0 src1=0 src2=0
	v_cvt_f32_f16_e64 v139, v138
	v_cvt_f32_f16_e64 v138, v141
	s_set_vgpr_msb 1                        ;  msbs: dst=0 src0=1 src1=0 src2=0
	v_cvt_f32_f16_e64 v141, v152 /*v408*/
	s_set_vgpr_msb 0                        ;  msbs: dst=0 src0=0 src1=0 src2=0
	v_cvt_f32_f16_e64 v143, v142
	s_set_vgpr_msb 1                        ;  msbs: dst=0 src0=1 src1=0 src2=0
	v_cvt_f32_f16_e64 v142, v151 /*v407*/
	s_set_vgpr_msb 0                        ;  msbs: dst=0 src0=0 src1=0 src2=0
	v_cvt_f32_i32_e32 v199, v203
	v_cvt_f32_i32_e32 v200, v204
	;; [unrolled: 1-line block ×10, first 2 shown]
	v_pk_fma_f32 v[86:87], v[86:87], v[152:153], v[110:111]
	v_cvt_f32_i32_e32 v214, v224
	v_cvt_f32_i32_e32 v155, v145
	v_pk_add_f32 v[34:35], v[34:35], v[80:81]
	v_pk_add_f32 v[32:33], v[32:33], v[82:83]
	v_cvt_f32_i32_e32 v198, v146
	v_cvt_f32_i32_e32 v201, v147
	v_pk_fma_f32 v[80:81], v[100:101], v[210:211], v[124:125]
	v_pk_fma_f32 v[82:83], v[102:103], v[212:213], v[126:127]
	v_cvt_f32_i32_e32 v145, v148
	v_pk_add_f32 v[12:13], v[12:13], v[84:85]
	v_cvt_f32_i32_e32 v85, v150
	v_cvt_f32_i32_e32 v84, v149
	v_pk_fma_f32 v[104:105], v[128:129], v[202:203], v[130:131]
	v_pk_fma_f32 v[106:107], v[132:133], v[204:205], v[134:135]
	;; [unrolled: 1-line block ×5, first 2 shown]
	v_pk_add_f32 v[10:11], v[10:11], v[86:87]
	v_pk_fma_f32 v[86:87], v[88:89], v[154:155], v[116:117]
	v_pk_fma_f32 v[88:89], v[96:97], v[198:199], v[120:121]
	;; [unrolled: 1-line block ×3, first 2 shown]
	v_pk_add_f32 v[20:21], v[20:21], v[80:81]
	v_pk_add_f32 v[18:19], v[18:19], v[82:83]
	v_pk_fma_f32 v[80:81], v[90:91], v[144:145], v[112:113]
	v_pk_fma_f32 v[82:83], v[92:93], v[84:85], v[114:115]
	v_pk_add_f32 v[14:15], v[14:15], v[104:105]
	v_pk_add_f32 v[4:5], v[4:5], v[106:107]
	;; [unrolled: 1-line block ×10, first 2 shown]
	s_cbranch_scc1 .LBB159_9
; %bb.10:                               ;   in Loop: Header=BB159_7 Depth=1
	s_and_b32 s12, s15, -4
	s_delay_alu instid0(SALU_CYCLE_1)
	s_cmp_eq_u32 s12, 4
	s_barrier_signal -1
	s_barrier_wait -1
	s_cbranch_scc1 .LBB159_6
; %bb.11:                               ;   in Loop: Header=BB159_7 Depth=1
	v_dual_add_nc_u32 v80, s10, v163 :: v_dual_add_nc_u32 v96, 4, v189
	v_dual_mov_b32 v98, v184 :: v_dual_mov_b32 v99, v183
	v_dual_mov_b32 v100, v182 :: v_dual_mov_b32 v101, v181
	s_delay_alu instid0(VALU_DEP_3) | instskip(SKIP_3) | instid1(VALU_DEP_4)
	v_dual_add_nc_u32 v86, v80, v157 :: v_dual_add_nc_u32 v81, v80, v162
	v_dual_add_nc_u32 v82, v80, v79 :: v_dual_add_nc_u32 v84, v80, v156
	;; [unrolled: 1-line block ×4, first 2 shown]
	v_mad_nc_i64_i32 v[80:81], v81, 36, v[54:55]
	s_delay_alu instid0(VALU_DEP_4)
	v_mad_nc_i64_i32 v[82:83], v82, 36, v[54:55]
	v_mad_nc_i64_i32 v[84:85], v84, 36, v[54:55]
	;; [unrolled: 1-line block ×7, first 2 shown]
	v_mad_nc_u64_u32 v[96:97], v96, 36, s[2:3]
	s_clause 0x8
	global_load_b32 v103, v[80:81], off offset:4
	global_load_b32 v104, v[82:83], off offset:4
	;; [unrolled: 1-line block ×8, first 2 shown]
	global_load_b32 v111, v[96:97], off
	s_wait_xcnt 0x0
	v_dual_mov_b32 v96, v187 :: v_dual_mov_b32 v97, v180
	v_mov_b32_e32 v102, v188
	s_mov_b32 s12, 12
	s_wait_loadcnt 0x8
	ds_store_b32 v178, v103
	s_wait_loadcnt 0x7
	ds_store_b32 v179, v104
	;; [unrolled: 2-line block ×9, first 2 shown]
	s_wait_dscnt 0x0
	s_barrier_signal -1
	s_barrier_wait -1
.LBB159_12:                             ;   Parent Loop BB159_7 Depth=1
                                        ; =>  This Inner Loop Header: Depth=2
	ds_load_2addr_b32 v[80:81], v97 offset0:1 offset1:2
	ds_load_2addr_b32 v[82:83], v97 offset0:5 offset1:6
	ds_load_2addr_b32 v[84:85], v97 offset1:3
	ds_load_2addr_b32 v[88:89], v97 offset0:4 offset1:7
	ds_load_2addr_b32 v[86:87], v96 offset1:32
	s_add_co_i32 s12, s12, 4
	s_delay_alu instid0(SALU_CYCLE_1)
	s_cmp_lt_u32 s12, 28
	s_wait_dscnt 0x4
	s_set_vgpr_msb 64                       ;  msbs: dst=1 src0=0 src1=0 src2=0
	v_bfe_i32 v18 /*v274*/, v80, 0, 8
	v_bfe_i32 v19 /*v275*/, v80, 8, 8
	s_wait_dscnt 0x2
	s_set_vgpr_msb 0                        ;  msbs: dst=0 src0=0 src1=0 src2=0
	v_bfe_i32 v238, v84, 0, 8
	s_set_vgpr_msb 64                       ;  msbs: dst=1 src0=0 src1=0 src2=0
	v_bfe_i32 v8 /*v264*/, v84, 8, 8
	v_bfe_i32 v9 /*v265*/, v84, 16, 8
	v_dual_ashrrev_i32 v10 /*v266*/, 24, v84 :: v_dual_ashrrev_i32 v35 /*v291*/, 24, v82
	s_set_vgpr_msb 0                        ;  msbs: dst=0 src0=0 src1=0 src2=0
	v_bfe_i32 v94, v85, 0, 8
	v_bfe_i32 v95, v85, 8, 8
	s_set_vgpr_msb 64                       ;  msbs: dst=1 src0=0 src1=0 src2=0
	v_bfe_i32 v24 /*v280*/, v85, 16, 8
	s_set_vgpr_msb 0                        ;  msbs: dst=0 src0=0 src1=0 src2=0
	v_ashrrev_i32_e32 v103, 24, v85
	ds_load_b32 v108, v98
	ds_load_2addr_b32 v[84:85], v102 offset1:1
	s_set_vgpr_msb 64                       ;  msbs: dst=1 src0=0 src1=0 src2=0
	v_bfe_i32 v20 /*v276*/, v80, 16, 8
	v_dual_ashrrev_i32 v37 /*v293*/, 24, v80 :: v_dual_ashrrev_i32 v31 /*v287*/, 24, v83
	v_bfe_i32 v21 /*v277*/, v82, 0, 8
	v_bfe_i32 v22 /*v278*/, v82, 8, 8
	;; [unrolled: 1-line block ×6, first 2 shown]
	s_set_vgpr_msb 0                        ;  msbs: dst=0 src0=0 src1=0 src2=0
	ds_load_2addr_b32 v[82:83], v102 offset0:2 offset1:3
	s_wait_dscnt 0x4
	s_set_vgpr_msb 64                       ;  msbs: dst=1 src0=0 src1=0 src2=0
	v_dual_ashrrev_i32 v38 /*v294*/, 24, v88 :: v_dual_ashrrev_i32 v33 /*v289*/, 24, v81
	v_bfe_i32 v25 /*v281*/, v81, 0, 8
	v_bfe_i32 v26 /*v282*/, v81, 8, 8
	;; [unrolled: 1-line block ×6, first 2 shown]
	s_set_vgpr_msb 0                        ;  msbs: dst=0 src0=0 src1=0 src2=0
	v_bfe_i32 v107, v89, 0, 8
	s_wait_dscnt 0x1
	v_lshrrev_b32_e32 v80, 4, v84
	v_bfe_i32 v105, v89, 8, 8
	v_bfe_i32 v106, v89, 16, 8
	v_dual_ashrrev_i32 v104, 24, v89 :: v_dual_lshrrev_b32 v111, 28, v84
	s_delay_alu instid0(VALU_DEP_4)
	v_lshrrev_b16 v80, 8, v80
	v_lshrrev_b32_e32 v109, 28, v85
	v_pk_mul_f16 v234, v86, v108
	s_set_vgpr_msb 64                       ;  msbs: dst=1 src0=0 src1=0 src2=0
	v_bfe_u32 v1 /*v257*/, v84, 8, 4
	s_set_vgpr_msb 0                        ;  msbs: dst=0 src0=0 src1=0 src2=0
	v_bfe_u32 v251, v84, 24, 4
	s_set_vgpr_msb 64                       ;  msbs: dst=1 src0=0 src1=0 src2=0
	v_and_b32_e32 v12 /*v268*/, 15, v80
	s_set_vgpr_msb 0                        ;  msbs: dst=0 src0=0 src1=0 src2=0
	v_and_b32_e32 v80, 0xf0f0f0f, v85
	s_set_vgpr_msb 64                       ;  msbs: dst=1 src0=0 src1=0 src2=0
	v_bfe_u32 v2 /*v258*/, v84, 16, 4
	s_wait_dscnt 0x0
	v_lshrrev_b32_e32 v5 /*v261*/, 28, v83
	s_set_vgpr_msb 0                        ;  msbs: dst=0 src0=0 src1=0 src2=0
	v_bfe_u32 v113, v85, 24, 4
	v_bfe_u32 v114, v82, 24, 4
	s_set_vgpr_msb 64                       ;  msbs: dst=1 src0=0 src1=0 src2=0
	v_lshrrev_b16 v40 /*v296*/, 8, v80
	s_set_vgpr_msb 0                        ;  msbs: dst=0 src0=0 src1=0 src2=0
	v_lshrrev_b32_e32 v80, 4, v85
	v_bfe_u32 v112, v83, 24, 4
	s_set_vgpr_msb 64                       ;  msbs: dst=1 src0=0 src1=0 src2=0
	v_bfe_u32 v3 /*v259*/, v83, 4, 4
	v_bfe_u32 v4 /*v260*/, v83, 12, 4
	s_set_vgpr_msb 0                        ;  msbs: dst=0 src0=0 src1=0 src2=0
	v_lshrrev_b32_e32 v110, 28, v82
	v_lshrrev_b16 v80, 8, v80
	v_bfe_u32 v250, v83, 20, 4
	s_set_vgpr_msb 0x44                     ;  msbs: dst=1 src0=0 src1=1 src2=0
	v_mul_i32_i24_e32 v44 /*v300*/, v107, v3 /*v259*/
	v_mul_i32_i24_e32 v47 /*v303*/, v105, v4 /*v260*/
	s_set_vgpr_msb 0                        ;  msbs: dst=0 src0=0 src1=0 src2=0
	v_add_nc_u32_e32 v98, 4, v98
	s_set_vgpr_msb 64                       ;  msbs: dst=1 src0=0 src1=0 src2=0
	v_and_b32_e32 v39 /*v295*/, 15, v80
	s_set_vgpr_msb 0                        ;  msbs: dst=0 src0=0 src1=0 src2=0
	v_and_b32_e32 v80, 0xf0f0f0f, v82
	s_set_vgpr_msb 64                       ;  msbs: dst=1 src0=0 src1=0 src2=0
	v_mul_i32_i24_e32 v46 /*v302*/, v106, v250
	s_set_vgpr_msb 0                        ;  msbs: dst=0 src0=0 src1=0 src2=0
	v_and_b32_e32 v253, 15, v84
	s_set_vgpr_msb 64                       ;  msbs: dst=1 src0=0 src1=0 src2=0
	v_lshrrev_b16 v36 /*v292*/, 8, v80
	s_set_vgpr_msb 0                        ;  msbs: dst=0 src0=0 src1=0 src2=0
	v_lshrrev_b32_e32 v80, 4, v82
	s_delay_alu instid0(VALU_DEP_1) | instskip(SKIP_1) | instid1(VALU_DEP_1)
	v_lshrrev_b16 v80, 8, v80
	s_set_vgpr_msb 64                       ;  msbs: dst=1 src0=0 src1=0 src2=0
	v_and_b32_e32 v34 /*v290*/, 15, v80
	s_set_vgpr_msb 0                        ;  msbs: dst=0 src0=0 src1=0 src2=0
	v_and_b32_e32 v80, 0xf0f0f0f, v83
	s_set_vgpr_msb 64                       ;  msbs: dst=1 src0=0 src1=0 src2=0
	s_delay_alu instid0(VALU_DEP_1)
	v_lshrrev_b16 v32 /*v288*/, 8, v80
	s_set_vgpr_msb 0                        ;  msbs: dst=0 src0=0 src1=0 src2=0
	v_add_nc_u32_e32 v80, 0x1080, v102
	ds_load_b32 v115, v99
	ds_load_2addr_b32 v[80:81], v80 offset1:1
	v_add_nc_u32_e32 v99, 4, v99
	s_wait_dscnt 0x1
	v_pk_mul_f16 v191, v86, v115
	s_wait_dscnt 0x0
	v_dual_lshrrev_b32 v123, 28, v80 :: v_dual_bitop2_b32 v118, 15, v80 bitop3:0x40
	v_bfe_u32 v119, v80, 8, 4
	v_bfe_u32 v116, v80, 16, 4
	;; [unrolled: 1-line block ×3, first 2 shown]
	s_delay_alu instid0(VALU_DEP_4)
	v_mul_i32_i24_e32 v88, v118, v238
	v_bfe_u32 v120, v80, 4, 4
	v_bfe_u32 v122, v80, 12, 4
	s_set_vgpr_msb 4                        ;  msbs: dst=0 src0=0 src1=1 src2=0
	v_mul_i32_i24_e32 v89, v116, v9 /*v265*/
	v_mul_i32_i24_e32 v90, v117, v10 /*v266*/
	v_mad_i32_i24 v88, v119, v8 /*v264*/, v88
	v_bfe_u32 v121, v80, 20, 4
	v_mul_i32_i24_e32 v80, v123, v38 /*v294*/
	s_set_vgpr_msb 0                        ;  msbs: dst=0 src0=0 src1=0 src2=0
	v_dual_lshrrev_b32 v130, 28, v81 :: v_dual_bitop2_b32 v124, 15, v81 bitop3:0x40
	v_add3_u32 v88, v88, v89, v90
	s_set_vgpr_msb 4                        ;  msbs: dst=0 src0=0 src1=1 src2=0
	v_mul_i32_i24_e32 v89, v120, v15 /*v271*/
	v_mul_i32_i24_e32 v90, v122, v16 /*v272*/
	;; [unrolled: 1-line block ×3, first 2 shown]
	v_bfe_u32 v125, v81, 8, 4
	v_bfe_u32 v126, v81, 16, 4
	;; [unrolled: 1-line block ×3, first 2 shown]
	s_set_vgpr_msb 0                        ;  msbs: dst=0 src0=0 src1=0 src2=0
	v_add3_u32 v88, v88, v90, v89
	v_bfe_u32 v128, v81, 4, 4
	s_set_vgpr_msb 1                        ;  msbs: dst=0 src0=1 src1=0 src2=0
	v_mul_i32_i24_e32 v89, v19 /*v275*/, v125
	v_mul_i32_i24_e32 v90, v20 /*v276*/, v126
	s_set_vgpr_msb 0                        ;  msbs: dst=0 src0=0 src1=0 src2=0
	v_bfe_u32 v129, v81, 12, 4
	v_add3_u32 v80, v88, v91, v80
	s_set_vgpr_msb 1                        ;  msbs: dst=0 src0=1 src1=0 src2=0
	v_mul_i32_i24_e32 v88, v18 /*v274*/, v124
	v_mul_i32_i24_e32 v91, v37 /*v293*/, v127
	s_set_vgpr_msb 0                        ;  msbs: dst=0 src0=0 src1=0 src2=0
	v_bfe_u32 v131, v81, 20, 4
	s_delay_alu instid0(VALU_DEP_3) | instskip(SKIP_2) | instid1(VALU_DEP_3)
	v_add3_u32 v80, v80, v89, v88
	s_set_vgpr_msb 1                        ;  msbs: dst=0 src0=1 src1=0 src2=0
	v_mul_i32_i24_e32 v89, v21 /*v277*/, v128
	v_mul_i32_i24_e32 v92, v23 /*v279*/, v131
	s_set_vgpr_msb 0                        ;  msbs: dst=0 src0=0 src1=0 src2=0
	v_add3_u32 v88, v80, v90, v91
	v_add_nc_u32_e32 v80, 0x1088, v102
	s_set_vgpr_msb 1                        ;  msbs: dst=0 src0=1 src1=0 src2=0
	v_mul_i32_i24_e32 v90, v22 /*v278*/, v129
	v_mul_i32_i24_e32 v91, v35 /*v291*/, v130
	s_set_vgpr_msb 0                        ;  msbs: dst=0 src0=0 src1=0 src2=0
	ds_load_2addr_b32 v[80:81], v80 offset1:1
	v_add3_u32 v88, v88, v89, v90
	s_delay_alu instid0(VALU_DEP_1)
	v_add3_u32 v88, v88, v92, v91
	s_wait_dscnt 0x0
	v_bfe_u32 v132, v80, 8, 4
	v_dual_lshrrev_b32 v138, 28, v80 :: v_dual_bitop2_b32 v133, 15, v80 bitop3:0x40
	v_bfe_u32 v134, v80, 24, 4
	v_bfe_u32 v135, v80, 16, 4
	s_set_vgpr_msb 1                        ;  msbs: dst=0 src0=1 src1=0 src2=0
	v_mul_i32_i24_e32 v144, v26 /*v282*/, v132
	v_mul_i32_i24_e32 v93, v25 /*v281*/, v133
	s_set_vgpr_msb 0                        ;  msbs: dst=0 src0=0 src1=0 src2=0
	v_bfe_u32 v136, v80, 4, 4
	s_set_vgpr_msb 1                        ;  msbs: dst=0 src0=1 src1=0 src2=0
	v_mul_i32_i24_e32 v145, v33 /*v289*/, v134
	v_mul_i32_i24_e32 v146, v30 /*v286*/, v135
	s_set_vgpr_msb 0                        ;  msbs: dst=0 src0=0 src1=0 src2=0
	v_bfe_u32 v137, v80, 12, 4
	v_add3_u32 v88, v88, v144, v93
	s_set_vgpr_msb 1                        ;  msbs: dst=0 src0=1 src1=0 src2=0
	v_mul_i32_i24_e32 v148, v27 /*v283*/, v136
	s_set_vgpr_msb 0                        ;  msbs: dst=0 src0=0 src1=0 src2=0
	v_bfe_u32 v139, v80, 20, 4
	s_set_vgpr_msb 1                        ;  msbs: dst=0 src0=1 src1=0 src2=0
	v_mul_i32_i24_e32 v80, v31 /*v287*/, v138
	v_mul_i32_i24_e32 v147, v28 /*v284*/, v137
	s_set_vgpr_msb 0                        ;  msbs: dst=0 src0=0 src1=0 src2=0
	v_add3_u32 v88, v88, v146, v145
	v_bfe_u32 v140, v81, 8, 4
	s_set_vgpr_msb 1                        ;  msbs: dst=0 src0=1 src1=0 src2=0
	v_mul_i32_i24_e32 v149, v29 /*v285*/, v139
	v_and_b32_e32 v141, 15, v81
	s_set_vgpr_msb 0                        ;  msbs: dst=0 src0=0 src1=0 src2=0
	v_bfe_u32 v143, v81, 24, 4
	v_add3_u32 v88, v88, v148, v147
	v_mul_i32_i24_e32 v151, v95, v140
	v_bfe_u32 v142, v81, 16, 4
	v_mul_i32_i24_e32 v150, v94, v141
	s_delay_alu instid0(VALU_DEP_4) | instskip(SKIP_1) | instid1(VALU_DEP_3)
	v_add3_u32 v80, v88, v149, v80
	s_set_vgpr_msb 1                        ;  msbs: dst=0 src0=1 src1=0 src2=0
	v_mul_i32_i24_e32 v190, v24 /*v280*/, v142
	s_set_vgpr_msb 0                        ;  msbs: dst=0 src0=0 src1=0 src2=0
	s_delay_alu instid0(VALU_DEP_2)
	v_add3_u32 v192, v80, v151, v150
	v_add_nc_u32_e32 v80, 0x2100, v102
	ds_load_b32 v144, v100
	ds_load_2addr_b32 v[92:93], v80 offset1:1
	v_add_nc_u32_e32 v80, 0x2108, v102
	v_add_nc_u32_e32 v100, 4, v100
	ds_load_2addr_b32 v[240:241], v80 offset1:1
	v_add_nc_u32_e32 v80, 0x3180, v102
	ds_load_b32 v205, v101
	ds_load_2addr_b32 v[242:243], v80 offset1:1
	v_add_nc_u32_e32 v80, 0x3188, v102
	v_dual_add_nc_u32 v101, 4, v101 :: v_dual_add_nc_u32 v102, 16, v102
	s_set_vgpr_msb 64                       ;  msbs: dst=1 src0=0 src1=0 src2=0
	ds_load_2addr_b32 v[74:75] /*v[330:331]*/, v80 offset1:1
	s_wait_dscnt 0x5
	v_pk_mul_f16 v92 /*v348*/, v86, v144
	s_wait_dscnt 0x4
	s_set_vgpr_msb 0                        ;  msbs: dst=0 src0=0 src1=0 src2=0
	v_dual_lshrrev_b32 v155, 28, v93 :: v_dual_bitop2_b32 v149, 15, v93 bitop3:0x40
	v_bfe_u32 v150, v93, 8, 4
	v_bfe_u32 v151, v93, 16, 4
	v_bfe_u32 v152, v93, 24, 4
	v_bfe_u32 v153, v93, 4, 4
	v_bfe_u32 v154, v93, 12, 4
	v_bfe_u32 v189, v93, 20, 4
	v_bfe_u32 v147, v92, 12, 4
	v_lshrrev_b32_e32 v148, 28, v92
	s_wait_dscnt 0x2
	s_set_vgpr_msb 64                       ;  msbs: dst=1 src0=0 src1=0 src2=0
	v_pk_mul_f16 v116 /*v372*/, v86, v205
	s_set_vgpr_msb 0                        ;  msbs: dst=0 src0=0 src1=0 src2=0
	v_add_nc_u32_e32 v86, 0x404, v97
	s_wait_dscnt 0x1
	v_dual_lshrrev_b32 v216, 28, v243 :: v_dual_bitop2_b32 v210, 15, v243 bitop3:0x40
	v_bfe_u32 v211, v243, 8, 4
	v_bfe_u32 v212, v243, 16, 4
	ds_load_2addr_b32 v[90:91], v86 offset1:1
	v_add_nc_u32_e32 v80, 0x400, v97
	v_add_nc_u32_e32 v86, 0x414, v97
	s_wait_dscnt 0x1
	s_set_vgpr_msb 1                        ;  msbs: dst=0 src0=1 src1=0 src2=0
	v_bfe_u32 v218, v74 /*v330*/, 8, 4
	s_set_vgpr_msb 4                        ;  msbs: dst=0 src0=0 src1=1 src2=0
	v_dual_lshrrev_b32 v224, 28, v74 /*v330*/ :: v_dual_bitop2_b32 v219, 15, v74 /*v330*/ bitop3:0x40
	ds_load_2addr_b32 v[88:89], v80 offset0:4 offset1:7
	ds_load_2addr_b32 v[230:231], v86 offset1:1
	ds_load_2addr_b32 v[232:233], v80 offset1:3
	s_set_vgpr_msb 1                        ;  msbs: dst=0 src0=1 src1=0 src2=0
	v_bfe_u32 v220, v74 /*v330*/, 24, 4
	v_bfe_u32 v221, v74 /*v330*/, 16, 4
	;; [unrolled: 1-line block ×5, first 2 shown]
	s_set_vgpr_msb 0                        ;  msbs: dst=0 src0=0 src1=0 src2=0
	v_bfe_u32 v213, v243, 24, 4
	v_bfe_u32 v214, v243, 4, 4
	;; [unrolled: 1-line block ×7, first 2 shown]
	s_wait_dscnt 0x3
	s_set_vgpr_msb 64                       ;  msbs: dst=1 src0=0 src1=0 src2=0
	v_bfe_i32 v66 /*v322*/, v90, 0, 8
	v_bfe_i32 v67 /*v323*/, v90, 8, 8
	v_bfe_i32 v68 /*v324*/, v90, 16, 8
	v_ashrrev_i32_e32 v69 /*v325*/, 24, v90
	v_bfe_i32 v58 /*v314*/, v91, 0, 8
	v_bfe_i32 v59 /*v315*/, v91, 8, 8
	s_wait_dscnt 0x2
	s_set_vgpr_msb 0                        ;  msbs: dst=0 src0=0 src1=0 src2=0
	v_ashrrev_i32_e32 v249, 24, v89
	s_set_vgpr_msb 64                       ;  msbs: dst=1 src0=0 src1=0 src2=0
	v_bfe_i32 v70 /*v326*/, v88, 0, 8
	v_bfe_i32 v71 /*v327*/, v88, 8, 8
	;; [unrolled: 1-line block ×3, first 2 shown]
	s_wait_dscnt 0x0
	v_dual_ashrrev_i32 v73 /*v329*/, 24, v88 :: v_dual_ashrrev_i32 v42 /*v298*/, 24, v233
	s_set_vgpr_msb 0                        ;  msbs: dst=0 src0=0 src1=0 src2=0
	v_mul_i32_i24_e32 v88, v253, v238
	s_set_vgpr_msb 64                       ;  msbs: dst=1 src0=0 src1=0 src2=0
	v_bfe_i32 v62 /*v318*/, v230, 0, 8
	v_bfe_i32 v63 /*v319*/, v230, 8, 8
	;; [unrolled: 1-line block ×3, first 2 shown]
	v_ashrrev_i32_e32 v65 /*v321*/, 24, v230
	v_bfe_i32 v60 /*v316*/, v91, 16, 8
	v_ashrrev_i32_e32 v61 /*v317*/, 24, v91
	s_set_vgpr_msb 0                        ;  msbs: dst=0 src0=0 src1=0 src2=0
	v_bfe_i32 v246, v89, 0, 8
	v_bfe_i32 v247, v89, 8, 8
	v_bfe_i32 v248, v89, 16, 8
	v_pk_mul_f16 v90, v108, v87
	s_set_vgpr_msb 5                        ;  msbs: dst=0 src0=1 src1=1 src2=0
	v_mul_i32_i24_e32 v89, v2 /*v258*/, v9 /*v265*/
	s_set_vgpr_msb 4                        ;  msbs: dst=0 src0=0 src1=1 src2=0
	v_mul_i32_i24_e32 v91, v251, v10 /*v266*/
	s_set_vgpr_msb 5                        ;  msbs: dst=0 src0=1 src1=1 src2=0
	v_mad_i32_i24 v88, v1 /*v257*/, v8 /*v264*/, v88
	s_set_vgpr_msb 1                        ;  msbs: dst=0 src0=1 src1=0 src2=0
	v_mul_i32_i24_e32 v230, v71 /*v327*/, v122
	s_set_vgpr_msb 0                        ;  msbs: dst=0 src0=0 src1=0 src2=0
	v_bfe_i32 v86, v232, 0, 8
	s_set_vgpr_msb 64                       ;  msbs: dst=1 src0=0 src1=0 src2=0
	v_bfe_i32 v117 /*v373*/, v232, 8, 8
	v_bfe_i32 v118 /*v374*/, v232, 16, 8
	v_dual_ashrrev_i32 v119 /*v375*/, 24, v232 :: v_dual_ashrrev_i32 v56 /*v312*/, 24, v231
	v_bfe_i32 v53 /*v309*/, v231, 0, 8
	v_bfe_i32 v54 /*v310*/, v231, 8, 8
	;; [unrolled: 1-line block ×3, first 2 shown]
	v_add3_u32 v74 /*v330*/, v88, v89, v91
	s_set_vgpr_msb 0                        ;  msbs: dst=0 src0=0 src1=0 src2=0
	v_cvt_f32_f16_e32 v89, v90
	v_lshrrev_b32_e32 v90, 16, v90
	s_set_vgpr_msb 1                        ;  msbs: dst=0 src0=1 src1=0 src2=0
	v_mul_i32_i24_e32 v231, v72 /*v328*/, v121
	v_mul_i32_i24_e32 v232, v73 /*v329*/, v123
	v_mad_i32_i24 v230, v70 /*v326*/, v120, v230
	s_set_vgpr_msb 0                        ;  msbs: dst=0 src0=0 src1=0 src2=0
	v_cvt_f32_f16_e64 v88, v234
	v_cvt_f32_f16_e32 v91, v90
	v_lshrrev_b32_e32 v90, 16, v234
	s_set_vgpr_msb 1                        ;  msbs: dst=0 src0=1 src1=0 src2=0
	v_mul_i32_i24_e32 v234, v67 /*v323*/, v125
	v_mul_i32_i24_e32 v236, v69 /*v325*/, v127
	s_set_vgpr_msb 0                        ;  msbs: dst=0 src0=0 src1=0 src2=0
	v_add3_u32 v230, v230, v231, v232
	v_bfe_i32 v80, v233, 0, 8
	v_bfe_i32 v93, v233, 8, 8
	s_set_vgpr_msb 64                       ;  msbs: dst=1 src0=0 src1=0 src2=0
	v_bfe_i32 v41 /*v297*/, v233, 16, 8
	s_set_vgpr_msb 1                        ;  msbs: dst=0 src0=1 src1=0 src2=0
	v_mul_i32_i24_e32 v233, v66 /*v322*/, v124
	v_mul_i32_i24_e32 v235, v68 /*v324*/, v126
	s_set_vgpr_msb 0                        ;  msbs: dst=0 src0=0 src1=0 src2=0
	v_add3_u32 v230, v230, v236, v234
	s_set_vgpr_msb 1                        ;  msbs: dst=0 src0=1 src1=0 src2=0
	v_mul_i32_i24_e32 v237, v62 /*v318*/, v128
	s_set_vgpr_msb 0x41                     ;  msbs: dst=1 src0=1 src1=0 src2=0
	v_mul_i32_i24_e32 v7 /*v263*/, v65 /*v321*/, v130
	s_set_vgpr_msb 1                        ;  msbs: dst=0 src0=1 src1=0 src2=0
	v_mul_i32_i24_e32 v243, v63 /*v319*/, v129
	s_set_vgpr_msb 0x41                     ;  msbs: dst=1 src0=1 src1=0 src2=0
	v_mul_i32_i24_e32 v6 /*v262*/, v64 /*v320*/, v131
	s_set_vgpr_msb 0                        ;  msbs: dst=0 src0=0 src1=0 src2=0
	v_add3_u32 v230, v230, v233, v235
	s_set_vgpr_msb 0x41                     ;  msbs: dst=1 src0=1 src1=0 src2=0
	v_mul_i32_i24_e32 v121 /*v377*/, v59 /*v315*/, v132
	v_mul_i32_i24_e32 v123 /*v379*/, v61 /*v317*/, v134
	;; [unrolled: 1-line block ×4, first 2 shown]
	s_set_vgpr_msb 4                        ;  msbs: dst=0 src0=0 src1=1 src2=0
	v_add3_u32 v230, v230, v7 /*v263*/, v237
	s_set_vgpr_msb 0x41                     ;  msbs: dst=1 src0=1 src1=0 src2=0
	v_mul_i32_i24_e32 v124 /*v380*/, v53 /*v309*/, v136
	v_mul_i32_i24_e32 v127 /*v383*/, v56 /*v312*/, v138
	;; [unrolled: 1-line block ×4, first 2 shown]
	s_set_vgpr_msb 16                       ;  msbs: dst=0 src0=0 src1=0 src2=1
	v_add3_u32 v230, v230, v243, v6 /*v262*/
	s_set_vgpr_msb 64                       ;  msbs: dst=1 src0=0 src1=0 src2=0
	v_mul_i32_i24_e32 v129 /*v385*/, v93, v140
	s_set_vgpr_msb 0x41                     ;  msbs: dst=1 src0=1 src1=0 src2=0
	v_mul_i32_i24_e32 v131 /*v387*/, v42 /*v298*/, v143
	s_set_vgpr_msb 64                       ;  msbs: dst=1 src0=0 src1=0 src2=0
	v_mul_i32_i24_e32 v128 /*v384*/, v80, v141
	s_set_vgpr_msb 0x41                     ;  msbs: dst=1 src0=1 src1=0 src2=0
	v_mul_i32_i24_e32 v130 /*v386*/, v41 /*v297*/, v142
	s_set_vgpr_msb 20                       ;  msbs: dst=0 src0=0 src1=1 src2=1
	v_add3_u32 v230, v230, v123 /*v379*/, v121 /*v377*/
	s_set_vgpr_msb 1                        ;  msbs: dst=0 src0=1 src1=0 src2=0
	v_mul_i32_i24_e32 v231, v72 /*v328*/, v146
	v_mul_i32_i24_e32 v232, v73 /*v329*/, v148
	;; [unrolled: 1-line block ×4, first 2 shown]
	s_set_vgpr_msb 20                       ;  msbs: dst=0 src0=0 src1=1 src2=1
	v_add3_u32 v230, v230, v120 /*v376*/, v122 /*v378*/
	s_set_vgpr_msb 1                        ;  msbs: dst=0 src0=1 src1=0 src2=0
	v_mul_i32_i24_e32 v233, v66 /*v322*/, v149
	v_mul_i32_i24_e32 v235, v68 /*v324*/, v151
	;; [unrolled: 1-line block ×3, first 2 shown]
	s_set_vgpr_msb 0x41                     ;  msbs: dst=1 src0=1 src1=0 src2=0
	v_mul_i32_i24_e32 v121 /*v377*/, v65 /*v321*/, v155
	s_set_vgpr_msb 20                       ;  msbs: dst=0 src0=0 src1=1 src2=1
	v_add3_u32 v230, v230, v127 /*v383*/, v124 /*v380*/
	v_bfe_u32 v195, v240, 24, 4
	s_set_vgpr_msb 1                        ;  msbs: dst=0 src0=1 src1=0 src2=0
	v_mul_i32_i24_e32 v243, v63 /*v319*/, v154
	s_set_vgpr_msb 0x41                     ;  msbs: dst=1 src0=1 src1=0 src2=0
	v_mul_i32_i24_e32 v120 /*v376*/, v64 /*v320*/, v189
	s_set_vgpr_msb 0                        ;  msbs: dst=0 src0=0 src1=0 src2=0
	v_dual_lshrrev_b32 v199, 28, v240 :: v_dual_bitop2_b32 v194, 15, v240 bitop3:0x40
	s_set_vgpr_msb 20                       ;  msbs: dst=0 src0=0 src1=1 src2=1
	v_add3_u32 v230, v230, v125 /*v381*/, v126 /*v382*/
	v_bfe_u32 v196, v240, 16, 4
	s_set_vgpr_msb 0x41                     ;  msbs: dst=1 src0=1 src1=0 src2=0
	v_mul_i32_i24_e32 v123 /*v379*/, v59 /*v315*/, v193
	v_mul_i32_i24_e32 v125 /*v381*/, v61 /*v317*/, v195
	s_set_vgpr_msb 20                       ;  msbs: dst=0 src0=0 src1=1 src2=1
	v_bfe_u32 v197, v240, 4, 4
	v_add3_u32 v230, v230, v131 /*v387*/, v129 /*v385*/
	s_set_vgpr_msb 0x41                     ;  msbs: dst=1 src0=1 src1=0 src2=0
	v_mul_i32_i24_e32 v122 /*v378*/, v58 /*v314*/, v194
	v_mul_i32_i24_e32 v124 /*v380*/, v60 /*v316*/, v196
	s_set_vgpr_msb 0                        ;  msbs: dst=0 src0=0 src1=0 src2=0
	v_bfe_u32 v198, v240, 12, 4
	v_bfe_u32 v200, v240, 20, 4
	s_set_vgpr_msb 0x54                     ;  msbs: dst=1 src0=0 src1=1 src2=1
	v_add3_u32 v7 /*v263*/, v230, v128 /*v384*/, v130 /*v386*/
	s_set_vgpr_msb 1                        ;  msbs: dst=0 src0=1 src1=0 src2=0
	v_mul_i32_i24_e32 v230, v71 /*v327*/, v147
	s_set_vgpr_msb 0x41                     ;  msbs: dst=1 src0=1 src1=0 src2=0
	v_mul_i32_i24_e32 v126 /*v382*/, v53 /*v309*/, v197
	v_mul_i32_i24_e32 v129 /*v385*/, v56 /*v312*/, v199
	s_set_vgpr_msb 0                        ;  msbs: dst=0 src0=0 src1=0 src2=0
	v_bfe_u32 v201, v241, 8, 4
	v_bfe_u32 v204, v241, 24, 4
	s_set_vgpr_msb 1                        ;  msbs: dst=0 src0=1 src1=0 src2=0
	v_mad_i32_i24 v230, v70 /*v326*/, v145, v230
	s_set_vgpr_msb 0x41                     ;  msbs: dst=1 src0=1 src1=0 src2=0
	v_mul_i32_i24_e32 v127 /*v383*/, v54 /*v310*/, v198
	v_mul_i32_i24_e32 v128 /*v384*/, v55 /*v311*/, v200
	s_set_vgpr_msb 0                        ;  msbs: dst=0 src0=0 src1=0 src2=0
	v_dual_lshrrev_b32 v209, 28, v242 :: v_dual_bitop2_b32 v202, 15, v241 bitop3:0x40
	v_add3_u32 v230, v230, v231, v232
	v_bfe_u32 v203, v241, 16, 4
	s_set_vgpr_msb 64                       ;  msbs: dst=1 src0=0 src1=0 src2=0
	v_mul_i32_i24_e32 v131 /*v387*/, v93, v201
	s_set_vgpr_msb 0x41                     ;  msbs: dst=1 src0=1 src1=0 src2=0
	v_mul_i32_i24_e32 v133 /*v389*/, v42 /*v298*/, v204
	s_set_vgpr_msb 0                        ;  msbs: dst=0 src0=0 src1=0 src2=0
	v_and_b32_e32 v232, 15, v92
	v_add3_u32 v230, v230, v236, v234
	s_set_vgpr_msb 64                       ;  msbs: dst=1 src0=0 src1=0 src2=0
	v_mul_i32_i24_e32 v130 /*v386*/, v80, v202
	s_set_vgpr_msb 0x41                     ;  msbs: dst=1 src0=1 src1=0 src2=0
	v_mul_i32_i24_e32 v132 /*v388*/, v41 /*v297*/, v203
	s_set_vgpr_msb 0                        ;  msbs: dst=0 src0=0 src1=0 src2=0
	v_bfe_u32 v231, v92, 24, 4
	v_bfe_u32 v234, v92, 16, 4
	v_add3_u32 v230, v230, v233, v235
	v_bfe_u32 v233, v92, 8, 4
	v_bfe_u32 v235, v241, 4, 4
	;; [unrolled: 1-line block ×3, first 2 shown]
	s_set_vgpr_msb 4                        ;  msbs: dst=0 src0=0 src1=1 src2=0
	v_mul_i32_i24_e32 v92, v234, v9 /*v265*/
	v_add3_u32 v230, v230, v121 /*v377*/, v237
	s_set_vgpr_msb 64                       ;  msbs: dst=1 src0=0 src1=0 src2=0
	v_mul_i32_i24_e32 v121 /*v377*/, v232, v238
	s_set_vgpr_msb 0                        ;  msbs: dst=0 src0=0 src1=0 src2=0
	v_lshrrev_b32_e32 v237, 28, v241
	s_set_vgpr_msb 4                        ;  msbs: dst=0 src0=0 src1=1 src2=0
	v_mul_i32_i24_e32 v239, v145, v15 /*v271*/
	v_mul_i32_i24_e32 v244, v147, v16 /*v272*/
	s_set_vgpr_msb 16                       ;  msbs: dst=0 src0=0 src1=0 src2=1
	v_add3_u32 v230, v230, v243, v120 /*v376*/
	s_set_vgpr_msb 0x54                     ;  msbs: dst=1 src0=0 src1=1 src2=1
	v_mad_i32_i24 v121 /*v377*/, v233, v8 /*v264*/, v121 /*v377*/
	s_set_vgpr_msb 4                        ;  msbs: dst=0 src0=0 src1=1 src2=0
	v_mul_i32_i24_e32 v245, v146, v17 /*v273*/
	s_set_vgpr_msb 0x44                     ;  msbs: dst=1 src0=0 src1=1 src2=0
	v_mul_i32_i24_e32 v11 /*v267*/, v148, v38 /*v294*/
	s_set_vgpr_msb 0x41                     ;  msbs: dst=1 src0=1 src1=0 src2=0
	v_mul_i32_i24_e32 v13 /*v269*/, v18 /*v274*/, v149
	s_set_vgpr_msb 20                       ;  msbs: dst=0 src0=0 src1=1 src2=1
	v_add3_u32 v230, v230, v125 /*v381*/, v123 /*v379*/
	s_set_vgpr_msb 0x41                     ;  msbs: dst=1 src0=1 src1=0 src2=0
	v_mul_i32_i24_e32 v14 /*v270*/, v19 /*v275*/, v150
	v_mul_i32_i24_e32 v76 /*v332*/, v20 /*v276*/, v151
	v_mul_i32_i24_e32 v77 /*v333*/, v37 /*v293*/, v152
	v_mul_i32_i24_e32 v78 /*v334*/, v21 /*v277*/, v153
	s_set_vgpr_msb 20                       ;  msbs: dst=0 src0=0 src1=1 src2=1
	v_add3_u32 v230, v230, v122 /*v378*/, v124 /*v380*/
	s_set_vgpr_msb 0x41                     ;  msbs: dst=1 src0=1 src1=0 src2=0
	v_mul_i32_i24_e32 v79 /*v335*/, v22 /*v278*/, v154
	v_mul_i32_i24_e32 v80 /*v336*/, v35 /*v291*/, v155
	v_mul_i32_i24_e32 v81 /*v337*/, v23 /*v279*/, v189
	;; [unrolled: 7-line block ×3, first 2 shown]
	v_mul_i32_i24_e32 v86 /*v342*/, v28 /*v284*/, v198
	s_set_vgpr_msb 20                       ;  msbs: dst=0 src0=0 src1=1 src2=1
	v_add3_u32 v230, v230, v127 /*v383*/, v128 /*v384*/
	s_set_vgpr_msb 0x41                     ;  msbs: dst=1 src0=1 src1=0 src2=0
	v_mul_i32_i24_e32 v87 /*v343*/, v27 /*v283*/, v197
	s_set_vgpr_msb 1                        ;  msbs: dst=0 src0=1 src1=0 src2=0
	v_mul_i32_i24_e32 v240, v31 /*v287*/, v199
	s_set_vgpr_msb 0x41                     ;  msbs: dst=1 src0=1 src1=0 src2=0
	v_mul_i32_i24_e32 v88 /*v344*/, v29 /*v285*/, v200
	s_set_vgpr_msb 64                       ;  msbs: dst=1 src0=0 src1=0 src2=0
	v_mul_i32_i24_e32 v89 /*v345*/, v94, v202
	s_set_vgpr_msb 20                       ;  msbs: dst=0 src0=0 src1=1 src2=1
	v_add3_u32 v230, v230, v133 /*v389*/, v131 /*v387*/
	s_set_vgpr_msb 64                       ;  msbs: dst=1 src0=0 src1=0 src2=0
	v_mul_i32_i24_e32 v90 /*v346*/, v95, v201
	s_set_vgpr_msb 0x41                     ;  msbs: dst=1 src0=1 src1=0 src2=0
	v_mul_i32_i24_e32 v91 /*v347*/, v24 /*v280*/, v203
	s_set_vgpr_msb 64                       ;  msbs: dst=1 src0=0 src1=0 src2=0
	v_pk_mul_f16 v120 /*v376*/, v144, v87
	s_set_vgpr_msb 20                       ;  msbs: dst=0 src0=0 src1=1 src2=1
	v_and_b32_e32 v227, 15, v75 /*v331*/
	v_add3_u32 v243, v230, v130 /*v386*/, v132 /*v388*/
	v_bfe_u32 v230, v241, 20, 4
	v_mul_i32_i24_e32 v241, v231, v10 /*v266*/
	v_bfe_u32 v208, v242, 12, 4
	v_bfe_u32 v207, v242, 20, 4
	;; [unrolled: 1-line block ×3, first 2 shown]
	s_set_vgpr_msb 64                       ;  msbs: dst=1 src0=0 src1=0 src2=0
	v_pk_mul_f16 v6 /*v262*/, v115, v87
	s_set_vgpr_msb 1                        ;  msbs: dst=0 src0=1 src1=0 src2=0
	v_add3_u32 v92, v121 /*v377*/, v92, v241
	s_set_vgpr_msb 0                        ;  msbs: dst=0 src0=0 src1=0 src2=0
	v_mul_i32_i24_e32 v241, v105, v236
	s_set_vgpr_msb 0x44                     ;  msbs: dst=1 src0=0 src1=1 src2=0
	v_mul_i32_i24_e32 v94 /*v350*/, v208, v16 /*v272*/
	v_mul_i32_i24_e32 v93 /*v349*/, v206, v15 /*v271*/
	;; [unrolled: 1-line block ×3, first 2 shown]
	s_set_vgpr_msb 0                        ;  msbs: dst=0 src0=0 src1=0 src2=0
	v_add3_u32 v92, v92, v244, v239
	v_mul_i32_i24_e32 v239, v107, v235
	s_set_vgpr_msb 1                        ;  msbs: dst=0 src0=1 src1=0 src2=0
	v_mul_i32_i24_e32 v244, v117 /*v373*/, v233
	s_set_vgpr_msb 0x44                     ;  msbs: dst=1 src0=0 src1=1 src2=0
	v_mul_i32_i24_e32 v96 /*v352*/, v209, v38 /*v294*/
	s_set_vgpr_msb 0x41                     ;  msbs: dst=1 src0=1 src1=0 src2=0
	v_mul_i32_i24_e32 v97 /*v353*/, v18 /*v274*/, v210
	s_set_vgpr_msb 16                       ;  msbs: dst=0 src0=0 src1=0 src2=1
	v_add3_u32 v92, v92, v245, v11 /*v267*/
	s_set_vgpr_msb 1                        ;  msbs: dst=0 src0=1 src1=0 src2=0
	v_mul_i32_i24_e32 v245, v118 /*v374*/, v234
	s_set_vgpr_msb 64                       ;  msbs: dst=1 src0=0 src1=0 src2=0
	v_mul_i32_i24_e32 v11 /*v267*/, v106, v230
	s_set_vgpr_msb 0x41                     ;  msbs: dst=1 src0=1 src1=0 src2=0
	v_mul_i32_i24_e32 v98 /*v354*/, v19 /*v275*/, v211
	v_mul_i32_i24_e32 v99 /*v355*/, v20 /*v276*/, v212
	s_set_vgpr_msb 20                       ;  msbs: dst=0 src0=0 src1=1 src2=1
	v_add3_u32 v92, v92, v14 /*v270*/, v13 /*v269*/
	s_set_vgpr_msb 0x41                     ;  msbs: dst=1 src0=1 src1=0 src2=0
	v_mul_i32_i24_e32 v13 /*v269*/, v119 /*v375*/, v231
	s_set_vgpr_msb 64                       ;  msbs: dst=1 src0=0 src1=0 src2=0
	v_mul_i32_i24_e32 v14 /*v270*/, v104, v237
	s_set_vgpr_msb 0x41                     ;  msbs: dst=1 src0=1 src1=0 src2=0
	v_mul_i32_i24_e32 v100 /*v356*/, v37 /*v293*/, v213
	v_mul_i32_i24_e32 v101 /*v357*/, v21 /*v277*/, v214
	s_set_vgpr_msb 20                       ;  msbs: dst=0 src0=0 src1=1 src2=1
	v_add3_u32 v92, v92, v76 /*v332*/, v77 /*v333*/
	s_set_vgpr_msb 64                       ;  msbs: dst=1 src0=0 src1=0 src2=0
	v_mul_i32_i24_e32 v76 /*v332*/, v246, v235
	v_mul_i32_i24_e32 v77 /*v333*/, v247, v236
	s_set_vgpr_msb 0x41                     ;  msbs: dst=1 src0=1 src1=0 src2=0
	v_mul_i32_i24_e32 v102 /*v358*/, v22 /*v278*/, v215
	v_mul_i32_i24_e32 v103 /*v359*/, v35 /*v291*/, v216
	s_set_vgpr_msb 20                       ;  msbs: dst=0 src0=0 src1=1 src2=1
	v_add3_u32 v92, v92, v78 /*v334*/, v79 /*v335*/
	s_set_vgpr_msb 64                       ;  msbs: dst=1 src0=0 src1=0 src2=0
	v_mul_i32_i24_e32 v78 /*v334*/, v103, v204
	;; [unrolled: 8-line block ×3, first 2 shown]
	s_set_vgpr_msb 0x41                     ;  msbs: dst=1 src0=1 src1=0 src2=0
	v_mul_i32_i24_e32 v106 /*v362*/, v26 /*v282*/, v218
	v_mul_i32_i24_e32 v81 /*v337*/, v53 /*v309*/, v222
	;; [unrolled: 1-line block ×3, first 2 shown]
	s_set_vgpr_msb 20                       ;  msbs: dst=0 src0=0 src1=1 src2=1
	v_add3_u32 v92, v92, v83 /*v339*/, v82 /*v338*/
	v_add3_u32 v243, v243, v80 /*v336*/, v76 /*v332*/
	s_set_vgpr_msb 0x41                     ;  msbs: dst=1 src0=1 src1=0 src2=0
	v_mul_i32_i24_e32 v80 /*v336*/, v61 /*v317*/, v220
	v_mul_i32_i24_e32 v108 /*v364*/, v30 /*v286*/, v221
	s_set_vgpr_msb 1                        ;  msbs: dst=0 src0=1 src1=0 src2=0
	v_bfe_u32 v226, v75 /*v331*/, 8, 4
	s_set_vgpr_msb 20                       ;  msbs: dst=0 src0=0 src1=1 src2=1
	v_add3_u32 v92, v92, v85 /*v341*/, v84 /*v340*/
	v_add3_u32 v243, v243, v77 /*v333*/, v79 /*v335*/
	s_set_vgpr_msb 0x41                     ;  msbs: dst=1 src0=1 src1=0 src2=0
	v_mul_i32_i24_e32 v79 /*v335*/, v60 /*v316*/, v221
	v_mul_i32_i24_e32 v84 /*v340*/, v56 /*v312*/, v224
	s_set_vgpr_msb 1                        ;  msbs: dst=0 src0=1 src1=0 src2=0
	v_bfe_u32 v229, v75 /*v331*/, 24, 4
	s_set_vgpr_msb 20                       ;  msbs: dst=0 src0=0 src1=1 src2=1
	v_add3_u32 v92, v92, v87 /*v343*/, v86 /*v342*/
	s_set_vgpr_msb 0x41                     ;  msbs: dst=1 src0=1 src1=0 src2=0
	v_mul_i32_i24_e32 v82 /*v338*/, v54 /*v310*/, v223
	v_mul_i32_i24_e32 v83 /*v339*/, v55 /*v311*/, v225
	;; [unrolled: 1-line block ×4, first 2 shown]
	s_set_vgpr_msb 4                        ;  msbs: dst=0 src0=0 src1=1 src2=0
	v_add3_u32 v92, v92, v88 /*v344*/, v240
	s_set_vgpr_msb 0                        ;  msbs: dst=0 src0=0 src1=0 src2=0
	v_mul_i32_i24_e32 v240, v86, v232
	s_set_vgpr_msb 1                        ;  msbs: dst=0 src0=1 src1=0 src2=0
	v_bfe_u32 v228, v75 /*v331*/, 16, 4
	s_set_vgpr_msb 64                       ;  msbs: dst=1 src0=0 src1=0 src2=0
	v_mul_i32_i24_e32 v86 /*v342*/, v93, v226
	s_set_vgpr_msb 0x41                     ;  msbs: dst=1 src0=1 src1=0 src2=0
	v_mul_i32_i24_e32 v88 /*v344*/, v42 /*v298*/, v229
	s_set_vgpr_msb 20                       ;  msbs: dst=0 src0=0 src1=1 src2=1
	v_add3_u32 v92, v92, v90 /*v346*/, v89 /*v345*/
	s_set_vgpr_msb 0                        ;  msbs: dst=0 src0=0 src1=0 src2=0
	v_add3_u32 v240, v243, v240, v244
	s_set_vgpr_msb 4                        ;  msbs: dst=0 src0=0 src1=1 src2=0
	v_lshrrev_b32_e32 v243, 16, v120 /*v376*/
	s_set_vgpr_msb 0x41                     ;  msbs: dst=1 src0=1 src1=0 src2=0
	v_mul_i32_i24_e32 v111 /*v367*/, v31 /*v287*/, v224
	v_mul_i32_i24_e32 v112 /*v368*/, v29 /*v285*/, v225
	s_set_vgpr_msb 20                       ;  msbs: dst=0 src0=0 src1=1 src2=1
	v_add3_u32 v92, v92, v91 /*v347*/, v78 /*v334*/
	s_set_vgpr_msb 0x41                     ;  msbs: dst=1 src0=1 src1=0 src2=0
	v_mul_i32_i24_e32 v78 /*v334*/, v59 /*v315*/, v218
	s_set_vgpr_msb 64                       ;  msbs: dst=1 src0=0 src1=0 src2=0
	v_mul_i32_i24_e32 v85 /*v341*/, v80, v227
	s_set_vgpr_msb 0x41                     ;  msbs: dst=1 src0=1 src1=0 src2=0
	v_mul_i32_i24_e32 v87 /*v343*/, v41 /*v297*/, v228
	s_set_vgpr_msb 64                       ;  msbs: dst=1 src0=0 src1=0 src2=0
	v_mul_i32_i24_e32 v113 /*v369*/, v94, v227
	s_set_vgpr_msb 0                        ;  msbs: dst=0 src0=0 src1=0 src2=0
	v_add3_u32 v92, v92, v239, v241
	s_set_vgpr_msb 16                       ;  msbs: dst=0 src0=0 src1=0 src2=1
	v_add3_u32 v239, v240, v245, v13 /*v269*/
	v_cvt_f32_f16_e64 v245, v243
	s_set_vgpr_msb 4                        ;  msbs: dst=0 src0=0 src1=1 src2=0
	v_lshrrev_b32_e32 v243, 16, v92 /*v348*/
	s_set_vgpr_msb 1                        ;  msbs: dst=0 src0=1 src1=0 src2=0
	v_cvt_f32_f16_e64 v241, v120 /*v376*/
	s_set_vgpr_msb 20                       ;  msbs: dst=0 src0=0 src1=1 src2=1
	v_add3_u32 v92, v92, v11 /*v267*/, v14 /*v270*/
	s_set_vgpr_msb 1                        ;  msbs: dst=0 src0=1 src1=0 src2=0
	v_cvt_f32_f16_e64 v240, v92 /*v348*/
	s_set_vgpr_msb 64                       ;  msbs: dst=1 src0=0 src1=0 src2=0
	v_cvt_f32_i32_e32 v77 /*v333*/, v239
	s_set_vgpr_msb 0                        ;  msbs: dst=0 src0=0 src1=0 src2=0
	v_cvt_f32_f16_e64 v244, v243
	s_set_vgpr_msb 1                        ;  msbs: dst=0 src0=1 src1=0 src2=0
	v_mul_i32_i24_e32 v239, v72 /*v328*/, v207
	s_set_vgpr_msb 64                       ;  msbs: dst=1 src0=0 src1=0 src2=0
	v_cvt_f32_i32_e32 v76 /*v332*/, v92
	s_set_vgpr_msb 1                        ;  msbs: dst=0 src0=1 src1=0 src2=0
	v_mul_i32_i24_e32 v92, v71 /*v327*/, v208
	v_mul_i32_i24_e32 v243, v67 /*v323*/, v211
	s_set_vgpr_msb 0x41                     ;  msbs: dst=1 src0=1 src1=0 src2=0
	v_mul_i32_i24_e32 v11 /*v267*/, v62 /*v318*/, v214
	v_mul_i32_i24_e32 v13 /*v269*/, v63 /*v319*/, v215
	s_set_vgpr_msb 4                        ;  msbs: dst=0 src0=0 src1=1 src2=0
	v_pk_fma_f32 v[240:241], v[240:241], v[76:77] /*v[332:333]*/, v[244:245]
	s_set_vgpr_msb 1                        ;  msbs: dst=0 src0=1 src1=0 src2=0
	v_mad_i32_i24 v92, v70 /*v326*/, v206, v92
	v_mul_i32_i24_e32 v245, v69 /*v325*/, v213
	v_mul_i32_i24_e32 v244, v68 /*v324*/, v212
	s_set_vgpr_msb 0x41                     ;  msbs: dst=1 src0=1 src1=0 src2=0
	v_mul_i32_i24_e32 v76 /*v332*/, v65 /*v321*/, v216
	s_set_vgpr_msb 0                        ;  msbs: dst=0 src0=0 src1=0 src2=0
	v_pk_add_f32 v[34:35], v[34:35], v[240:241]
	s_set_vgpr_msb 1                        ;  msbs: dst=0 src0=1 src1=0 src2=0
	v_mul_i32_i24_e32 v240, v73 /*v329*/, v209
	v_mul_i32_i24_e32 v241, v66 /*v322*/, v210
	s_set_vgpr_msb 0x41                     ;  msbs: dst=1 src0=1 src1=0 src2=0
	v_mul_i32_i24_e32 v14 /*v270*/, v64 /*v320*/, v217
	v_mul_i32_i24_e32 v77 /*v333*/, v58 /*v314*/, v219
	s_set_vgpr_msb 64                       ;  msbs: dst=1 src0=0 src1=0 src2=0
	v_mul_i32_i24_e32 v114 /*v370*/, v95, v226
	s_set_vgpr_msb 0                        ;  msbs: dst=0 src0=0 src1=0 src2=0
	v_add3_u32 v92, v92, v239, v240
	v_and_b32_e32 v240, 15, v242
	v_bfe_u32 v239, v242, 24, 4
	s_set_vgpr_msb 0x41                     ;  msbs: dst=1 src0=1 src1=0 src2=0
	v_mul_i32_i24_e32 v115 /*v371*/, v24 /*v280*/, v228
	s_set_vgpr_msb 64                       ;  msbs: dst=1 src0=0 src1=0 src2=0
	v_mul_i32_i24_e32 v43 /*v299*/, v86, v253
	s_set_vgpr_msb 0                        ;  msbs: dst=0 src0=0 src1=0 src2=0
	v_add3_u32 v92, v92, v245, v243
	s_set_vgpr_msb 1                        ;  msbs: dst=0 src0=1 src1=0 src2=0
	v_bfe_u32 v243, v75 /*v331*/, 4, 4
	s_set_vgpr_msb 0x44                     ;  msbs: dst=1 src0=0 src1=1 src2=0
	v_mul_i32_i24_e32 v10 /*v266*/, v239, v10 /*v266*/
	s_set_vgpr_msb 4                        ;  msbs: dst=0 src0=0 src1=1 src2=0
	v_lshrrev_b32_e32 v245, 28, v75 /*v331*/
	s_set_vgpr_msb 0                        ;  msbs: dst=0 src0=0 src1=0 src2=0
	v_mul_i32_i24_e32 v252, v86, v118
	v_add3_u32 v92, v92, v241, v244
	v_bfe_u32 v241, v242, 8, 4
	v_bfe_u32 v242, v242, 16, 4
	s_set_vgpr_msb 1                        ;  msbs: dst=0 src0=1 src1=0 src2=0
	v_bfe_u32 v244, v75 /*v331*/, 12, 4
	s_set_vgpr_msb 0                        ;  msbs: dst=0 src0=0 src1=0 src2=0
	v_mul_i32_i24_e32 v86, v86, v240
	s_set_vgpr_msb 20                       ;  msbs: dst=0 src0=0 src1=1 src2=1
	v_add3_u32 v92, v92, v76 /*v332*/, v11 /*v267*/
	s_set_vgpr_msb 64                       ;  msbs: dst=1 src0=0 src1=0 src2=0
	v_pk_mul_f16 v11 /*v267*/, v205, v87
	s_set_vgpr_msb 0                        ;  msbs: dst=0 src0=0 src1=0 src2=0
	v_mul_i32_i24_e32 v87, v240, v238
	s_set_vgpr_msb 0x44                     ;  msbs: dst=1 src0=0 src1=1 src2=0
	v_mul_i32_i24_e32 v9 /*v265*/, v242, v9 /*v265*/
	s_set_vgpr_msb 1                        ;  msbs: dst=0 src0=1 src1=0 src2=0
	v_bfe_u32 v238, v75 /*v331*/, 20, 4
	s_set_vgpr_msb 20                       ;  msbs: dst=0 src0=0 src1=1 src2=1
	v_add3_u32 v92, v92, v13 /*v269*/, v14 /*v270*/
	s_set_vgpr_msb 0x41                     ;  msbs: dst=1 src0=1 src1=0 src2=0
	v_mul_i32_i24_e32 v13 /*v269*/, v118 /*v374*/, v242
	s_set_vgpr_msb 4                        ;  msbs: dst=0 src0=0 src1=1 src2=0
	v_mad_i32_i24 v87, v241, v8 /*v264*/, v87
	s_set_vgpr_msb 64                       ;  msbs: dst=1 src0=0 src1=0 src2=0
	v_mul_i32_i24_e32 v8 /*v264*/, v107, v243
	v_mul_i32_i24_e32 v14 /*v270*/, v106, v238
	s_set_vgpr_msb 20                       ;  msbs: dst=0 src0=0 src1=1 src2=1
	v_add3_u32 v92, v92, v80 /*v336*/, v78 /*v334*/
	s_set_vgpr_msb 64                       ;  msbs: dst=1 src0=0 src1=0 src2=0
	v_mul_i32_i24_e32 v78 /*v334*/, v247, v244
	s_set_vgpr_msb 20                       ;  msbs: dst=0 src0=0 src1=1 src2=1
	v_add3_u32 v87, v87, v9 /*v265*/, v10 /*v266*/
	s_set_vgpr_msb 64                       ;  msbs: dst=1 src0=0 src1=0 src2=0
	v_mul_i32_i24_e32 v80 /*v336*/, v248, v238
	v_mul_i32_i24_e32 v9 /*v265*/, v105, v244
	s_set_vgpr_msb 20                       ;  msbs: dst=0 src0=0 src1=1 src2=1
	v_add3_u32 v92, v92, v77 /*v333*/, v79 /*v335*/
	s_set_vgpr_msb 64                       ;  msbs: dst=1 src0=0 src1=0 src2=0
	v_mul_i32_i24_e32 v77 /*v333*/, v246, v243
	s_set_vgpr_msb 20                       ;  msbs: dst=0 src0=0 src1=1 src2=1
	v_add3_u32 v87, v87, v94 /*v350*/, v93 /*v349*/
	s_set_vgpr_msb 64                       ;  msbs: dst=1 src0=0 src1=0 src2=0
	v_mul_i32_i24_e32 v79 /*v335*/, v103, v229
	s_set_vgpr_msb 0x41                     ;  msbs: dst=1 src0=1 src1=0 src2=0
	v_mul_i32_i24_e32 v10 /*v266*/, v117 /*v373*/, v241
	s_set_vgpr_msb 20                       ;  msbs: dst=0 src0=0 src1=1 src2=1
	v_add3_u32 v92, v92, v84 /*v340*/, v81 /*v337*/
	s_set_vgpr_msb 64                       ;  msbs: dst=1 src0=0 src1=0 src2=0
	v_mul_i32_i24_e32 v81 /*v337*/, v249, v245
	s_set_vgpr_msb 20                       ;  msbs: dst=0 src0=0 src1=1 src2=1
	v_add3_u32 v87, v87, v95 /*v351*/, v96 /*v352*/
	s_set_vgpr_msb 0x41                     ;  msbs: dst=1 src0=1 src1=0 src2=0
	v_mul_i32_i24_e32 v75 /*v331*/, v119 /*v375*/, v239
	s_set_vgpr_msb 64                       ;  msbs: dst=1 src0=0 src1=0 src2=0
	v_mul_i32_i24_e32 v76 /*v332*/, v104, v245
	s_set_vgpr_msb 20                       ;  msbs: dst=0 src0=0 src1=1 src2=1
	v_add3_u32 v92, v92, v82 /*v338*/, v83 /*v339*/
	s_set_vgpr_msb 0x41                     ;  msbs: dst=1 src0=1 src1=0 src2=0
	v_mul_i32_i24_e32 v37 /*v293*/, v37 /*v293*/, v113
	s_set_vgpr_msb 20                       ;  msbs: dst=0 src0=0 src1=1 src2=1
	v_add3_u32 v87, v87, v98 /*v354*/, v97 /*v353*/
	s_set_vgpr_msb 0x41                     ;  msbs: dst=1 src0=1 src1=0 src2=0
	v_mul_i32_i24_e32 v33 /*v289*/, v33 /*v289*/, v114
	s_set_vgpr_msb 0x44                     ;  msbs: dst=1 src0=0 src1=1 src2=0
	v_mul_i32_i24_e32 v51 /*v307*/, v246, v3 /*v259*/
	s_set_vgpr_msb 20                       ;  msbs: dst=0 src0=0 src1=1 src2=1
	v_add3_u32 v92, v92, v88 /*v344*/, v86 /*v342*/
	s_set_vgpr_msb 0x44                     ;  msbs: dst=1 src0=0 src1=1 src2=0
	v_mul_i32_i24_e32 v52 /*v308*/, v247, v4 /*v260*/
	s_set_vgpr_msb 20                       ;  msbs: dst=0 src0=0 src1=1 src2=1
	v_add3_u32 v87, v87, v99 /*v355*/, v100 /*v356*/
	s_set_vgpr_msb 0x45                     ;  msbs: dst=1 src0=1 src1=1 src2=0
	v_mul_i32_i24_e32 v45 /*v301*/, v117 /*v373*/, v1 /*v257*/
	v_mul_i32_i24_e32 v48 /*v304*/, v118 /*v374*/, v2 /*v258*/
	s_set_vgpr_msb 20                       ;  msbs: dst=0 src0=0 src1=1 src2=1
	v_add3_u32 v92, v92, v85 /*v341*/, v87 /*v343*/
	s_set_vgpr_msb 0x41                     ;  msbs: dst=1 src0=1 src1=0 src2=0
	v_mul_i32_i24_e32 v50 /*v306*/, v119 /*v375*/, v251
	s_set_vgpr_msb 20                       ;  msbs: dst=0 src0=0 src1=1 src2=1
	v_add3_u32 v87, v87, v101 /*v357*/, v102 /*v358*/
	v_cvt_f32_f16_e32 v90, v90
	s_set_vgpr_msb 0x41                     ;  msbs: dst=1 src0=1 src1=0 src2=0
	v_mul_i32_i24_e32 v0 /*v256*/, v119 /*v375*/, v117
	s_set_vgpr_msb 20                       ;  msbs: dst=0 src0=0 src1=1 src2=1
	v_add3_u32 v92, v92, v81 /*v337*/, v77 /*v333*/
	s_set_vgpr_msb 1                        ;  msbs: dst=0 src0=1 src1=0 src2=0
	v_mul_i32_i24_e32 v254, v117 /*v373*/, v119
	s_set_vgpr_msb 20                       ;  msbs: dst=0 src0=0 src1=1 src2=1
	v_add3_u32 v87, v87, v104 /*v360*/, v103 /*v359*/
	s_set_vgpr_msb 1                        ;  msbs: dst=0 src0=1 src1=0 src2=0
	v_mul_i32_i24_e32 v255, v118 /*v374*/, v116
	s_set_vgpr_msb 20                       ;  msbs: dst=0 src0=0 src1=1 src2=1
	v_add3_u32 v92, v92, v78 /*v334*/, v80 /*v336*/
	v_add3_u32 v87, v87, v106 /*v362*/, v105 /*v361*/
	s_set_vgpr_msb 16                       ;  msbs: dst=0 src0=0 src1=0 src2=1
	s_delay_alu instid0(VALU_DEP_2) | instskip(SKIP_1) | instid1(VALU_DEP_2)
	v_add3_u32 v86, v92, v86, v10 /*v266*/
	s_set_vgpr_msb 20                       ;  msbs: dst=0 src0=0 src1=1 src2=1
	v_add3_u32 v87, v87, v108 /*v364*/, v107 /*v363*/
	s_set_vgpr_msb 0x54                     ;  msbs: dst=1 src0=0 src1=1 src2=1
	s_delay_alu instid0(VALU_DEP_2) | instskip(SKIP_4) | instid1(VALU_DEP_1)
	v_add3_u32 v10 /*v266*/, v86, v13 /*v269*/, v75 /*v331*/
	s_set_vgpr_msb 1                        ;  msbs: dst=0 src0=1 src1=0 src2=0
	v_cvt_f32_f16_e64 v86, v116 /*v372*/
	s_set_vgpr_msb 20                       ;  msbs: dst=0 src0=0 src1=1 src2=1
	v_add3_u32 v87, v87, v110 /*v366*/, v109 /*v365*/
	v_add3_u32 v87, v87, v112 /*v368*/, v111 /*v367*/
	s_delay_alu instid0(VALU_DEP_1) | instskip(NEXT) | instid1(VALU_DEP_1)
	v_add3_u32 v87, v87, v114 /*v370*/, v113 /*v369*/
	v_add3_u32 v87, v87, v115 /*v371*/, v79 /*v335*/
	s_delay_alu instid0(VALU_DEP_1) | instskip(SKIP_3) | instid1(VALU_DEP_2)
	v_add3_u32 v87, v87, v8 /*v264*/, v9 /*v265*/
	s_set_vgpr_msb 0x44                     ;  msbs: dst=1 src0=0 src1=1 src2=0
	v_lshrrev_b32_e32 v8 /*v264*/, 16, v11 /*v267*/
	s_set_vgpr_msb 20                       ;  msbs: dst=0 src0=0 src1=1 src2=1
	v_add3_u32 v92, v87, v14 /*v270*/, v76 /*v332*/
	s_set_vgpr_msb 0x41                     ;  msbs: dst=1 src0=1 src1=0 src2=0
	s_delay_alu instid0(VALU_DEP_2)
	v_cvt_f32_f16_e64 v9 /*v265*/, v8 /*v264*/
	s_set_vgpr_msb 0x44                     ;  msbs: dst=1 src0=0 src1=1 src2=0
	v_lshrrev_b32_e32 v8 /*v264*/, 16, v116 /*v372*/
	s_set_vgpr_msb 1                        ;  msbs: dst=0 src0=1 src1=0 src2=0
	v_cvt_f32_f16_e64 v87, v11 /*v267*/
	s_set_vgpr_msb 0x41                     ;  msbs: dst=1 src0=1 src1=0 src2=0
	v_cvt_f32_i32_e32 v11 /*v267*/, v10 /*v266*/
	s_set_vgpr_msb 64                       ;  msbs: dst=1 src0=0 src1=0 src2=0
	v_cvt_f32_i32_e32 v10 /*v266*/, v92
	v_bfe_u32 v14 /*v270*/, v84, 20, 4
	s_set_vgpr_msb 0x41                     ;  msbs: dst=1 src0=1 src1=0 src2=0
	v_cvt_f32_f16_e64 v8 /*v264*/, v8 /*v264*/
	s_set_vgpr_msb 20                       ;  msbs: dst=0 src0=0 src1=1 src2=1
	s_delay_alu instid0(VALU_DEP_1) | instskip(SKIP_1) | instid1(VALU_DEP_1)
	v_pk_fma_f32 v[86:87], v[86:87], v[10:11] /*v[266:267]*/, v[8:9] /*v[264:265]*/
	s_set_vgpr_msb 0                        ;  msbs: dst=0 src0=0 src1=0 src2=0
	v_pk_add_f32 v[32:33], v[32:33], v[86:87]
	v_add_nc_u32_e32 v87, 0x804, v97
	v_add_nc_u32_e32 v86, 0x800, v97
	s_set_vgpr_msb 64                       ;  msbs: dst=1 src0=0 src1=0 src2=0
	ds_load_2addr_b32 v[78:79] /*v[334:335]*/, v87 offset1:1
	s_set_vgpr_msb 0                        ;  msbs: dst=0 src0=0 src1=0 src2=0
	v_add_nc_u32_e32 v87, 0x814, v97
	s_set_vgpr_msb 64                       ;  msbs: dst=1 src0=0 src1=0 src2=0
	ds_load_2addr_b32 v[76:77] /*v[332:333]*/, v86 offset0:4 offset1:7
	ds_load_2addr_b32 v[80:81] /*v[336:337]*/, v87 offset1:1
	ds_load_2addr_b32 v[82:83] /*v[338:339]*/, v86 offset1:3
	s_set_vgpr_msb 0                        ;  msbs: dst=0 src0=0 src1=0 src2=0
	ds_load_2addr_b32 v[86:87], v96 offset0:64 offset1:96
	s_wait_dscnt 0x4
	s_set_vgpr_msb 0x41                     ;  msbs: dst=1 src0=1 src1=0 src2=0
	v_bfe_i32 v89 /*v345*/, v78 /*v334*/, 8, 8
	v_bfe_i32 v90 /*v346*/, v79 /*v335*/, 8, 8
	s_wait_dscnt 0x3
	v_bfe_i32 v8 /*v264*/, v77 /*v333*/, 0, 8
	v_bfe_i32 v9 /*v265*/, v77 /*v333*/, 8, 8
	;; [unrolled: 1-line block ×3, first 2 shown]
	s_wait_dscnt 0x1
	s_set_vgpr_msb 0x44                     ;  msbs: dst=1 src0=0 src1=1 src2=0
	v_lshrrev_b16 v13 /*v269*/, 8, v82 /*v338*/
	v_ashrrev_i32_e32 v11 /*v267*/, 24, v77 /*v333*/
	s_set_vgpr_msb 4                        ;  msbs: dst=0 src0=0 src1=1 src2=0
	v_lshrrev_b16 v92, 8, v76 /*v332*/
	s_set_vgpr_msb 0x44                     ;  msbs: dst=1 src0=0 src1=1 src2=0
	v_ashrrev_i32_e32 v75 /*v331*/, 24, v82 /*v338*/
	s_set_vgpr_msb 0x41                     ;  msbs: dst=1 src0=1 src1=0 src2=0
	v_bfe_i32 v84 /*v340*/, v82 /*v338*/, 16, 8
	v_bfe_i32 v77 /*v333*/, v13 /*v269*/, 0, 8
	s_set_vgpr_msb 0x44                     ;  msbs: dst=1 src0=0 src1=1 src2=0
	v_and_b32_e32 v13 /*v269*/, 0xffff, v12 /*v268*/
	v_bfe_u32 v12 /*v268*/, v84, 4, 4
	s_set_vgpr_msb 0                        ;  msbs: dst=0 src0=0 src1=0 src2=0
	v_bfe_i32 v92, v92, 0, 8
	s_set_vgpr_msb 0x41                     ;  msbs: dst=1 src0=1 src1=0 src2=0
	v_bfe_i32 v91 /*v347*/, v83 /*v339*/, 16, 8
	v_bfe_i32 v92 /*v348*/, v83 /*v339*/, 8, 8
	;; [unrolled: 1-line block ×3, first 2 shown]
	s_set_vgpr_msb 5                        ;  msbs: dst=0 src0=1 src1=1 src2=0
	v_mul_i32_i24_e32 v84, v12 /*v268*/, v15 /*v271*/
	s_set_vgpr_msb 0x45                     ;  msbs: dst=1 src0=1 src1=1 src2=0
	v_mul_i32_i24_e32 v15 /*v271*/, v13 /*v269*/, v16 /*v272*/
	v_mul_i32_i24_e32 v16 /*v272*/, v14 /*v270*/, v17 /*v273*/
	s_set_vgpr_msb 0x44                     ;  msbs: dst=1 src0=0 src1=1 src2=0
	v_mul_i32_i24_e32 v17 /*v273*/, v111, v38 /*v294*/
	s_set_vgpr_msb 0x45                     ;  msbs: dst=1 src0=1 src1=1 src2=0
	v_mul_i32_i24_e32 v38 /*v294*/, v13 /*v269*/, v71 /*v327*/
	v_mul_i32_i24_e32 v71 /*v327*/, v14 /*v270*/, v72 /*v328*/
	s_set_vgpr_msb 5                        ;  msbs: dst=0 src0=1 src1=1 src2=0
	v_add3_u32 v84, v74 /*v330*/, v15 /*v271*/, v84
	s_set_vgpr_msb 0x44                     ;  msbs: dst=1 src0=0 src1=1 src2=0
	v_and_b32_e32 v15 /*v271*/, 0xffff, v40 /*v296*/
	v_mul_i32_i24_e32 v72 /*v328*/, v111, v73 /*v329*/
	s_set_vgpr_msb 0x55                     ;  msbs: dst=1 src0=1 src1=1 src2=1
	v_mad_i32_i24 v38 /*v294*/, v12 /*v268*/, v70 /*v326*/, v38 /*v294*/
	v_ashrrev_i32_e32 v70 /*v326*/, 24, v76 /*v332*/
	s_set_vgpr_msb 20                       ;  msbs: dst=0 src0=0 src1=1 src2=1
	v_add3_u32 v84, v84, v16 /*v272*/, v17 /*v273*/
	s_set_vgpr_msb 64                       ;  msbs: dst=1 src0=0 src1=0 src2=0
	v_and_b32_e32 v17 /*v273*/, 15, v85
	v_bfe_u32 v16 /*v272*/, v85, 16, 4
	s_set_vgpr_msb 0x55                     ;  msbs: dst=1 src0=1 src1=1 src2=1
	v_mul_i32_i24_e32 v19 /*v275*/, v19 /*v275*/, v15 /*v271*/
	v_add3_u32 v38 /*v294*/, v38 /*v294*/, v71 /*v327*/, v72 /*v328*/
	s_set_vgpr_msb 0x44                     ;  msbs: dst=1 src0=0 src1=1 src2=0
	v_mul_i32_i24_e32 v57 /*v313*/, v249, v5 /*v261*/
	s_set_vgpr_msb 0x45                     ;  msbs: dst=1 src0=1 src1=1 src2=0
	v_mul_i32_i24_e32 v18 /*v274*/, v18 /*v274*/, v17 /*v273*/
	v_mul_i32_i24_e32 v20 /*v276*/, v20 /*v276*/, v16 /*v272*/
	;; [unrolled: 1-line block ×5, first 2 shown]
	s_set_vgpr_msb 20                       ;  msbs: dst=0 src0=0 src1=1 src2=1
	v_add3_u32 v84, v84, v19 /*v275*/, v18 /*v274*/
	s_set_vgpr_msb 0x44                     ;  msbs: dst=1 src0=0 src1=1 src2=0
	v_and_b32_e32 v18 /*v274*/, 0xffff, v39 /*v295*/
	s_set_vgpr_msb 0x41                     ;  msbs: dst=1 src0=1 src1=0 src2=0
	v_mul_i32_i24_e32 v68 /*v324*/, v69 /*v325*/, v113
	s_set_vgpr_msb 0x44                     ;  msbs: dst=1 src0=0 src1=1 src2=0
	v_bfe_u32 v19 /*v275*/, v85, 20, 4
	v_mul_i32_i24_e32 v49 /*v305*/, v104, v5 /*v261*/
	s_set_vgpr_msb 20                       ;  msbs: dst=0 src0=0 src1=1 src2=1
	v_add3_u32 v84, v84, v20 /*v276*/, v37 /*v293*/
	s_set_vgpr_msb 64                       ;  msbs: dst=1 src0=0 src1=0 src2=0
	v_bfe_u32 v20 /*v276*/, v85, 4, 4
	s_set_vgpr_msb 0x55                     ;  msbs: dst=1 src0=1 src1=1 src2=1
	v_add3_u32 v38 /*v294*/, v38 /*v294*/, v68 /*v324*/, v66 /*v322*/
	v_mul_i32_i24_e32 v39 /*v295*/, v63 /*v319*/, v18 /*v274*/
	s_set_vgpr_msb 0x41                     ;  msbs: dst=1 src0=1 src1=0 src2=0
	v_mul_i32_i24_e32 v63 /*v319*/, v65 /*v321*/, v109
	v_bfe_i32 v71 /*v327*/, v76 /*v332*/, 0, 8
	s_set_vgpr_msb 5                        ;  msbs: dst=0 src0=1 src1=1 src2=0
	v_mul_i32_i24_e32 v85, v21 /*v277*/, v20 /*v276*/
	s_set_vgpr_msb 0x45                     ;  msbs: dst=1 src0=1 src1=1 src2=0
	v_mul_i32_i24_e32 v21 /*v277*/, v22 /*v278*/, v18 /*v274*/
	v_mul_i32_i24_e32 v22 /*v278*/, v23 /*v279*/, v19 /*v275*/
	s_set_vgpr_msb 0x41                     ;  msbs: dst=1 src0=1 src1=0 src2=0
	v_mul_i32_i24_e32 v23 /*v279*/, v35 /*v291*/, v109
	s_set_vgpr_msb 0x55                     ;  msbs: dst=1 src0=1 src1=1 src2=1
	v_add3_u32 v38 /*v294*/, v38 /*v294*/, v40 /*v296*/, v67 /*v323*/
	v_mul_i32_i24_e32 v35 /*v291*/, v62 /*v318*/, v20 /*v276*/
	s_set_vgpr_msb 16                       ;  msbs: dst=0 src0=0 src1=0 src2=1
	v_add3_u32 v84, v84, v85, v21 /*v277*/
	s_set_vgpr_msb 0x55                     ;  msbs: dst=1 src0=1 src1=1 src2=1
	v_and_b32_e32 v21 /*v277*/, 0xffff, v36 /*v292*/
	v_mul_i32_i24_e32 v62 /*v318*/, v64 /*v320*/, v19 /*v275*/
	v_bfe_i32 v72 /*v328*/, v76 /*v332*/, 16, 8
	v_add3_u32 v35 /*v291*/, v38 /*v294*/, v63 /*v319*/, v35 /*v291*/
	s_set_vgpr_msb 20                       ;  msbs: dst=0 src0=0 src1=1 src2=1
	v_add3_u32 v84, v84, v22 /*v278*/, v23 /*v279*/
	s_set_vgpr_msb 64                       ;  msbs: dst=1 src0=0 src1=0 src2=0
	v_and_b32_e32 v23 /*v279*/, 15, v82
	v_bfe_u32 v22 /*v278*/, v82, 16, 4
	s_set_vgpr_msb 0x55                     ;  msbs: dst=1 src0=1 src1=1 src2=1
	v_mul_i32_i24_e32 v26 /*v282*/, v26 /*v282*/, v21 /*v277*/
	v_add3_u32 v35 /*v291*/, v35 /*v291*/, v39 /*v295*/, v62 /*v318*/
	v_ashrrev_i32_e32 v69 /*v325*/, 24, v78 /*v334*/
	v_mul_i32_i24_e32 v25 /*v281*/, v25 /*v281*/, v23 /*v279*/
	v_mul_i32_i24_e32 v30 /*v286*/, v30 /*v286*/, v22 /*v278*/
	;; [unrolled: 1-line block ×5, first 2 shown]
	s_set_vgpr_msb 0x41                     ;  msbs: dst=1 src0=1 src1=0 src2=0
	v_mul_i32_i24_e32 v60 /*v316*/, v61 /*v317*/, v114
	s_set_vgpr_msb 20                       ;  msbs: dst=0 src0=0 src1=1 src2=1
	v_add3_u32 v84, v84, v26 /*v282*/, v25 /*v281*/
	s_set_vgpr_msb 0x44                     ;  msbs: dst=1 src0=0 src1=1 src2=0
	v_and_b32_e32 v25 /*v281*/, 0xffff, v34 /*v290*/
	v_bfe_u32 v26 /*v282*/, v82, 20, 4
	s_set_vgpr_msb 0x55                     ;  msbs: dst=1 src0=1 src1=1 src2=1
	v_bfe_i32 v76 /*v332*/, v78 /*v334*/, 16, 8
	v_add3_u32 v35 /*v291*/, v35 /*v291*/, v60 /*v316*/, v58 /*v314*/
	s_set_vgpr_msb 20                       ;  msbs: dst=0 src0=0 src1=1 src2=1
	v_add3_u32 v84, v84, v30 /*v286*/, v33 /*v289*/
	s_set_vgpr_msb 64                       ;  msbs: dst=1 src0=0 src1=0 src2=0
	v_bfe_u32 v30 /*v286*/, v82, 4, 4
	s_set_vgpr_msb 0x55                     ;  msbs: dst=1 src0=1 src1=1 src2=1
	v_mul_i32_i24_e32 v33 /*v289*/, v54 /*v310*/, v25 /*v281*/
	v_mul_i32_i24_e32 v34 /*v290*/, v55 /*v311*/, v26 /*v282*/
	v_add3_u32 v35 /*v291*/, v35 /*v291*/, v36 /*v292*/, v59 /*v315*/
	v_bfe_i32 v78 /*v334*/, v78 /*v334*/, 0, 8
	s_set_vgpr_msb 5                        ;  msbs: dst=0 src0=1 src1=1 src2=0
	v_mul_i32_i24_e32 v82, v27 /*v283*/, v30 /*v286*/
	s_set_vgpr_msb 0x45                     ;  msbs: dst=1 src0=1 src1=1 src2=0
	v_mul_i32_i24_e32 v27 /*v283*/, v28 /*v284*/, v25 /*v281*/
	v_mul_i32_i24_e32 v28 /*v284*/, v29 /*v285*/, v26 /*v282*/
	s_set_vgpr_msb 0x41                     ;  msbs: dst=1 src0=1 src1=0 src2=0
	v_mul_i32_i24_e32 v29 /*v285*/, v31 /*v287*/, v110
	s_set_vgpr_msb 0x45                     ;  msbs: dst=1 src0=1 src1=1 src2=0
	v_mul_i32_i24_e32 v31 /*v287*/, v53 /*v309*/, v30 /*v286*/
	s_set_vgpr_msb 0x41                     ;  msbs: dst=1 src0=1 src1=0 src2=0
	v_mul_i32_i24_e32 v53 /*v309*/, v56 /*v312*/, v110
	s_set_vgpr_msb 16                       ;  msbs: dst=0 src0=0 src1=0 src2=1
	v_add3_u32 v82, v84, v82, v27 /*v283*/
	s_set_vgpr_msb 0x44                     ;  msbs: dst=1 src0=0 src1=1 src2=0
	v_dual_ashrrev_i32 v64 /*v320*/, 24, v80 /*v336*/ :: v_dual_ashrrev_i32 v61 /*v317*/, 24, v79 /*v335*/
	s_set_vgpr_msb 0x55                     ;  msbs: dst=1 src0=1 src1=1 src2=1
	v_bfe_i32 v65 /*v321*/, v80 /*v336*/, 16, 8
	v_add3_u32 v31 /*v287*/, v35 /*v291*/, v53 /*v309*/, v31 /*v287*/
	s_set_vgpr_msb 0x41                     ;  msbs: dst=1 src0=1 src1=0 src2=0
	v_mul_i32_i24_e32 v35 /*v291*/, v42 /*v298*/, v112
	s_set_vgpr_msb 20                       ;  msbs: dst=0 src0=0 src1=1 src2=1
	v_add3_u32 v82, v82, v28 /*v284*/, v29 /*v285*/
	s_set_vgpr_msb 64                       ;  msbs: dst=1 src0=0 src1=0 src2=0
	v_mul_i32_i24_e32 v42 /*v298*/, v248, v250
	s_set_vgpr_msb 0x55                     ;  msbs: dst=1 src0=1 src1=1 src2=1
	v_mul_i32_i24_e32 v73 /*v329*/, v72 /*v328*/, v14 /*v270*/
	v_add3_u32 v34 /*v290*/, v31 /*v287*/, v33 /*v289*/, v34 /*v290*/
	v_and_b32_e32 v31 /*v287*/, 0xffff, v32 /*v288*/
	s_set_vgpr_msb 64                       ;  msbs: dst=1 src0=0 src1=0 src2=0
	v_and_b32_e32 v33 /*v289*/, 15, v83
	v_bfe_u32 v32 /*v288*/, v83, 16, 4
	s_set_vgpr_msb 0x41                     ;  msbs: dst=1 src0=1 src1=0 src2=0
	v_mul_i32_i24_e32 v74 /*v330*/, v70 /*v326*/, v111
	s_set_vgpr_msb 0x45                     ;  msbs: dst=1 src0=1 src1=1 src2=0
	v_mul_i32_i24_e32 v37 /*v293*/, v78 /*v334*/, v17 /*v273*/
	s_set_vgpr_msb 4                        ;  msbs: dst=0 src0=0 src1=1 src2=0
	v_mul_i32_i24_e32 v93, v93, v31 /*v287*/
	v_mul_i32_i24_e32 v83, v94, v33 /*v289*/
	v_mul_i32_i24_e32 v94, v95, v31 /*v287*/
	s_set_vgpr_msb 5                        ;  msbs: dst=0 src0=1 src1=1 src2=0
	v_mul_i32_i24_e32 v95, v24 /*v280*/, v32 /*v288*/
	s_set_vgpr_msb 4                        ;  msbs: dst=0 src0=0 src1=1 src2=0
	v_mul_i32_i24_e32 v80, v80, v33 /*v289*/
	s_set_vgpr_msb 0x45                     ;  msbs: dst=1 src0=1 src1=1 src2=0
	v_mul_i32_i24_e32 v24 /*v280*/, v41 /*v297*/, v32 /*v288*/
	s_set_vgpr_msb 5                        ;  msbs: dst=0 src0=1 src1=1 src2=0
	v_add3_u32 v93, v34 /*v290*/, v35 /*v291*/, v93
	s_set_vgpr_msb 64                       ;  msbs: dst=1 src0=0 src1=0 src2=0
	v_mul_i32_i24_e32 v41 /*v297*/, v103, v112
	s_set_vgpr_msb 0                        ;  msbs: dst=0 src0=0 src1=0 src2=0
	v_add3_u32 v82, v82, v94, v83
	s_set_vgpr_msb 0x45                     ;  msbs: dst=1 src0=1 src1=1 src2=0
	v_mul_i32_i24_e32 v40 /*v296*/, v89 /*v345*/, v15 /*v271*/
	v_mul_i32_i24_e32 v66 /*v322*/, v76 /*v332*/, v16 /*v272*/
	s_set_vgpr_msb 16                       ;  msbs: dst=0 src0=0 src1=0 src2=1
	v_add3_u32 v80, v93, v80, v24 /*v280*/
	s_set_vgpr_msb 0x41                     ;  msbs: dst=1 src0=1 src1=0 src2=0
	v_mul_i32_i24_e32 v67 /*v323*/, v69 /*v325*/, v113
	s_set_vgpr_msb 16                       ;  msbs: dst=0 src0=0 src1=0 src2=1
	v_add3_u32 v82, v82, v95, v41 /*v297*/
	s_set_vgpr_msb 0x41                     ;  msbs: dst=1 src0=1 src1=0 src2=0
	v_bfe_i32 v68 /*v324*/, v80 /*v336*/, 8, 8
	v_bfe_i32 v80 /*v336*/, v80 /*v336*/, 0, 8
	s_set_vgpr_msb 20                       ;  msbs: dst=0 src0=0 src1=1 src2=1
	v_add3_u32 v80, v80, v57 /*v313*/, v51 /*v307*/
	s_set_vgpr_msb 0x45                     ;  msbs: dst=1 src0=1 src1=1 src2=0
	v_mul_i32_i24_e32 v39 /*v295*/, v65 /*v321*/, v19 /*v275*/
	s_set_vgpr_msb 20                       ;  msbs: dst=0 src0=0 src1=1 src2=1
	v_add3_u32 v82, v82, v44 /*v300*/, v47 /*v303*/
	s_set_vgpr_msb 0x41                     ;  msbs: dst=1 src0=1 src1=0 src2=0
	v_mul_i32_i24_e32 v62 /*v318*/, v64 /*v320*/, v109
	v_bfe_i32 v63 /*v319*/, v79 /*v335*/, 16, 8
	s_set_vgpr_msb 20                       ;  msbs: dst=0 src0=0 src1=1 src2=1
	v_add3_u32 v80, v80, v52 /*v308*/, v42 /*v298*/
	s_set_vgpr_msb 0x41                     ;  msbs: dst=1 src0=1 src1=0 src2=0
	v_bfe_i32 v79 /*v335*/, v79 /*v335*/, 0, 8
	s_set_vgpr_msb 20                       ;  msbs: dst=0 src0=0 src1=1 src2=1
	v_add3_u32 v82, v82, v46 /*v302*/, v49 /*v305*/
	s_set_vgpr_msb 0x44                     ;  msbs: dst=1 src0=0 src1=1 src2=0
	v_dual_ashrrev_i32 v54 /*v310*/, 24, v81 /*v337*/ :: v_dual_ashrrev_i32 v53 /*v309*/, 24, v83 /*v339*/
	s_set_vgpr_msb 20                       ;  msbs: dst=0 src0=0 src1=1 src2=1
	v_add3_u32 v80, v80, v43 /*v299*/, v45 /*v301*/
	s_set_vgpr_msb 0x41                     ;  msbs: dst=1 src0=1 src1=0 src2=0
	v_bfe_i32 v55 /*v311*/, v81 /*v337*/, 16, 8
	s_set_vgpr_msb 0                        ;  msbs: dst=0 src0=0 src1=0 src2=0
	v_cvt_f32_i32_e32 v82, v82
	s_set_vgpr_msb 5                        ;  msbs: dst=0 src0=1 src1=1 src2=0
	v_mul_i32_i24_e32 v85, v80 /*v336*/, v20 /*v276*/
	s_set_vgpr_msb 0x45                     ;  msbs: dst=1 src0=1 src1=1 src2=0
	v_mul_i32_i24_e32 v38 /*v294*/, v68 /*v324*/, v18 /*v274*/
	s_set_vgpr_msb 20                       ;  msbs: dst=0 src0=0 src1=1 src2=1
	v_add3_u32 v80, v80, v48 /*v304*/, v50 /*v306*/
	s_set_vgpr_msb 0x45                     ;  msbs: dst=1 src0=1 src1=1 src2=0
	v_mul_i32_i24_e32 v36 /*v292*/, v79 /*v335*/, v23 /*v279*/
	v_mul_i32_i24_e32 v58 /*v314*/, v90 /*v346*/, v21 /*v277*/
	;; [unrolled: 1-line block ×3, first 2 shown]
	s_set_vgpr_msb 0x41                     ;  msbs: dst=1 src0=1 src1=0 src2=0
	v_mul_i32_i24_e32 v60 /*v316*/, v61 /*v317*/, v114
	s_set_vgpr_msb 0                        ;  msbs: dst=0 src0=0 src1=0 src2=0
	v_cvt_f32_i32_e32 v83, v80
	s_set_vgpr_msb 0x45                     ;  msbs: dst=1 src0=1 src1=1 src2=0
	v_bfe_i32 v56 /*v312*/, v81 /*v337*/, 8, 8
	v_bfe_i32 v81 /*v337*/, v81 /*v337*/, 0, 8
	v_mul_i32_i24_e32 v28 /*v284*/, v55 /*v311*/, v26 /*v282*/
	s_set_vgpr_msb 0x41                     ;  msbs: dst=1 src0=1 src1=0 src2=0
	v_mul_i32_i24_e32 v29 /*v285*/, v54 /*v310*/, v110
	v_bfe_i32 v83 /*v339*/, v83 /*v339*/, 0, 8
	s_set_vgpr_msb 0                        ;  msbs: dst=0 src0=0 src1=0 src2=0
	v_pk_fma_f32 v[82:83], v[88:89], v[82:83], v[90:91]
	s_set_vgpr_msb 21                       ;  msbs: dst=0 src0=1 src1=1 src2=1
	v_mad_i32_i24 v93, v71 /*v327*/, v12 /*v268*/, v37 /*v293*/
	s_set_vgpr_msb 20                       ;  msbs: dst=0 src0=0 src1=1 src2=1
	v_mad_i32_i24 v94, v92, v13 /*v269*/, v40 /*v296*/
	s_set_vgpr_msb 21                       ;  msbs: dst=0 src0=1 src1=1 src2=1
	v_add3_u32 v95, v74 /*v330*/, v67 /*v323*/, v62 /*v318*/
	s_set_vgpr_msb 0x55                     ;  msbs: dst=1 src0=1 src1=1 src2=1
	v_add3_u32 v24 /*v280*/, v73 /*v329*/, v66 /*v322*/, v39 /*v295*/
	v_mul_i32_i24_e32 v87 /*v343*/, v2 /*v258*/, v84 /*v340*/
	s_set_vgpr_msb 0x44                     ;  msbs: dst=1 src0=0 src1=1 src2=0
	v_mul_i32_i24_e32 v88 /*v344*/, v251, v75 /*v331*/
	s_set_vgpr_msb 5                        ;  msbs: dst=0 src0=1 src1=1 src2=0
	v_mul_i32_i24_e32 v84, v81 /*v337*/, v30 /*v286*/
	s_set_vgpr_msb 0x45                     ;  msbs: dst=1 src0=1 src1=1 src2=0
	v_mul_i32_i24_e32 v27 /*v283*/, v56 /*v312*/, v25 /*v281*/
	s_set_vgpr_msb 0                        ;  msbs: dst=0 src0=0 src1=0 src2=0
	v_pk_add_f32 v[36:37], v[36:37], v[82:83]
	s_set_vgpr_msb 5                        ;  msbs: dst=0 src0=1 src1=1 src2=0
	v_mul_i32_i24_e32 v80, v83 /*v339*/, v33 /*v289*/
	v_mul_i32_i24_e32 v82, v92 /*v348*/, v31 /*v287*/
	;; [unrolled: 1-line block ×3, first 2 shown]
	s_set_vgpr_msb 1                        ;  msbs: dst=0 src0=1 src1=0 src2=0
	v_mul_i32_i24_e32 v88, v53 /*v309*/, v112
	s_set_vgpr_msb 20                       ;  msbs: dst=0 src0=0 src1=1 src2=1
	v_add3_u32 v94, v94, v38 /*v294*/, v58 /*v314*/
	s_set_vgpr_msb 16                       ;  msbs: dst=0 src0=0 src1=0 src2=1
	v_add3_u32 v85, v93, v85, v36 /*v292*/
	s_set_vgpr_msb 21                       ;  msbs: dst=0 src0=1 src1=1 src2=1
	v_add3_u32 v93, v24 /*v280*/, v59 /*v315*/, v28 /*v284*/
	s_set_vgpr_msb 20                       ;  msbs: dst=0 src0=0 src1=1 src2=1
	v_add3_u32 v95, v95, v60 /*v316*/, v29 /*v285*/
	s_set_vgpr_msb 0x44                     ;  msbs: dst=1 src0=0 src1=1 src2=0
	v_mul_i32_i24_e32 v85 /*v341*/, v253, v82 /*v338*/
	s_set_vgpr_msb 0x45                     ;  msbs: dst=1 src0=1 src1=1 src2=0
	v_mul_i32_i24_e32 v86 /*v342*/, v1 /*v257*/, v77 /*v333*/
	s_set_vgpr_msb 4                        ;  msbs: dst=0 src0=0 src1=1 src2=0
	v_add3_u32 v82, v94, v27 /*v283*/, v82
	s_set_vgpr_msb 0                        ;  msbs: dst=0 src0=0 src1=0 src2=0
	v_add3_u32 v80, v85, v84, v80
	s_set_vgpr_msb 16                       ;  msbs: dst=0 src0=0 src1=0 src2=1
	v_add3_u32 v84, v95, v88, v88 /*v344*/
	v_add3_u32 v83, v93, v83, v87 /*v343*/
	s_set_vgpr_msb 5                        ;  msbs: dst=0 src0=1 src1=1 src2=0
	v_mul_i32_i24_e32 v89, v9 /*v265*/, v4 /*v260*/
	v_mul_i32_i24_e32 v91, v11 /*v267*/, v5 /*v261*/
	s_set_vgpr_msb 1                        ;  msbs: dst=0 src0=1 src1=0 src2=0
	v_mul_i32_i24_e32 v90, v10 /*v266*/, v250
	s_set_vgpr_msb 4                        ;  msbs: dst=0 src0=0 src1=1 src2=0
	v_add3_u32 v82, v82, v86 /*v342*/, v84
	v_add3_u32 v80, v80, v85 /*v341*/, v83
	s_set_vgpr_msb 1                        ;  msbs: dst=0 src0=1 src1=0 src2=0
	v_mul_i32_i24_e32 v83, v70 /*v326*/, v123
	v_mul_i32_i24_e32 v85, v89 /*v345*/, v125
	;; [unrolled: 1-line block ×4, first 2 shown]
	s_set_vgpr_msb 0                        ;  msbs: dst=0 src0=0 src1=0 src2=0
	v_add3_u32 v80, v80, v82, v91
	s_set_vgpr_msb 5                        ;  msbs: dst=0 src0=1 src1=1 src2=0
	v_mad_i32_i24 v82, v8 /*v264*/, v3 /*v259*/, v89
	s_set_vgpr_msb 1                        ;  msbs: dst=0 src0=1 src1=0 src2=0
	v_mul_i32_i24_e32 v89, v69 /*v325*/, v127
	v_mul_i32_i24_e32 v91, v80 /*v336*/, v128
	;; [unrolled: 1-line block ×4, first 2 shown]
	s_set_vgpr_msb 0                        ;  msbs: dst=0 src0=0 src1=0 src2=0
	v_add3_u32 v80, v80, v82, v90
	s_wait_dscnt 0x0
	v_pk_mul_f16 v82, v108, v86
	s_set_vgpr_msb 1                        ;  msbs: dst=0 src0=1 src1=0 src2=0
	v_mul_i32_i24_e32 v94, v65 /*v321*/, v131
	s_set_vgpr_msb 0x41                     ;  msbs: dst=1 src0=1 src1=0 src2=0
	v_mul_i32_i24_e32 v35 /*v291*/, v90 /*v346*/, v132
	v_mul_i32_i24_e32 v37 /*v293*/, v61 /*v317*/, v134
	s_set_vgpr_msb 0                        ;  msbs: dst=0 src0=0 src1=0 src2=0
	v_cvt_f32_i32_e32 v80, v80
	s_set_vgpr_msb 0x41                     ;  msbs: dst=1 src0=1 src1=0 src2=0
	v_mul_i32_i24_e32 v34 /*v290*/, v79 /*v335*/, v133
	v_mul_i32_i24_e32 v36 /*v292*/, v63 /*v319*/, v135
	;; [unrolled: 1-line block ×4, first 2 shown]
	s_set_vgpr_msb 0                        ;  msbs: dst=0 src0=0 src1=0 src2=0
	v_fma_mix_f32 v90, v82, v80, v82 op_sel:[0,0,1] op_sel_hi:[1,0,1]
	v_mul_i32_i24_e32 v80, v92, v122
	s_set_vgpr_msb 1                        ;  msbs: dst=0 src0=1 src1=0 src2=0
	v_mul_i32_i24_e32 v82, v72 /*v328*/, v121
	s_set_vgpr_msb 0x41                     ;  msbs: dst=1 src0=1 src1=0 src2=0
	v_mul_i32_i24_e32 v39 /*v295*/, v56 /*v312*/, v137
	v_mul_i32_i24_e32 v40 /*v296*/, v55 /*v311*/, v139
	;; [unrolled: 1-line block ×3, first 2 shown]
	s_set_vgpr_msb 1                        ;  msbs: dst=0 src0=1 src1=0 src2=0
	v_mad_i32_i24 v80, v71 /*v327*/, v120, v80
	s_set_vgpr_msb 0x41                     ;  msbs: dst=1 src0=1 src1=0 src2=0
	v_mul_i32_i24_e32 v45 /*v301*/, v53 /*v309*/, v143
	v_mul_i32_i24_e32 v42 /*v298*/, v83 /*v339*/, v141
	;; [unrolled: 1-line block ×4, first 2 shown]
	s_set_vgpr_msb 0                        ;  msbs: dst=0 src0=0 src1=0 src2=0
	v_add3_u32 v80, v80, v82, v83
	s_set_vgpr_msb 0x41                     ;  msbs: dst=1 src0=1 src1=0 src2=0
	v_mul_i32_i24_e32 v46 /*v302*/, v56 /*v312*/, v198
	v_mul_i32_i24_e32 v47 /*v303*/, v55 /*v311*/, v200
	;; [unrolled: 1-line block ×4, first 2 shown]
	s_set_vgpr_msb 0                        ;  msbs: dst=0 src0=0 src1=0 src2=0
	v_add3_u32 v80, v80, v89, v85
	v_mul_i32_i24_e32 v89, v92, v147
	s_set_vgpr_msb 0x41                     ;  msbs: dst=1 src0=1 src1=0 src2=0
	v_mul_i32_i24_e32 v49 /*v305*/, v83 /*v339*/, v202
	v_mul_i32_i24_e32 v51 /*v307*/, v91 /*v347*/, v203
	v_mul_i32_i24_e32 v57 /*v313*/, v8 /*v264*/, v235
	s_set_vgpr_msb 0                        ;  msbs: dst=0 src0=0 src1=0 src2=0
	v_add3_u32 v80, v80, v84, v88
	s_set_vgpr_msb 1                        ;  msbs: dst=0 src0=1 src1=0 src2=0
	v_mad_i32_i24 v89, v71 /*v327*/, v145, v89
	s_set_vgpr_msb 0x41                     ;  msbs: dst=1 src0=1 src1=0 src2=0
	v_mul_i32_i24_e32 v60 /*v316*/, v11 /*v267*/, v237
	v_mul_i32_i24_e32 v58 /*v314*/, v9 /*v265*/, v236
	;; [unrolled: 1-line block ×3, first 2 shown]
	s_set_vgpr_msb 0                        ;  msbs: dst=0 src0=0 src1=0 src2=0
	v_add3_u32 v80, v80, v95, v91
	s_set_vgpr_msb 1                        ;  msbs: dst=0 src0=1 src1=0 src2=0
	v_mul_i32_i24_e32 v91, v72 /*v328*/, v146
	v_mul_i32_i24_e32 v95, v89 /*v345*/, v150
	;; [unrolled: 1-line block ×4, first 2 shown]
	s_set_vgpr_msb 0                        ;  msbs: dst=0 src0=0 src1=0 src2=0
	v_add3_u32 v80, v80, v93, v94
	s_set_vgpr_msb 1                        ;  msbs: dst=0 src0=1 src1=0 src2=0
	v_mul_i32_i24_e32 v93, v70 /*v326*/, v148
	v_mul_i32_i24_e32 v94, v78 /*v334*/, v149
	;; [unrolled: 1-line block ×3, first 2 shown]
	s_set_vgpr_msb 0x41                     ;  msbs: dst=1 src0=1 src1=0 src2=0
	v_mul_i32_i24_e32 v29 /*v285*/, v75 /*v331*/, v117
	s_set_vgpr_msb 20                       ;  msbs: dst=0 src0=0 src1=1 src2=1
	v_add3_u32 v80, v80, v37 /*v293*/, v35 /*v291*/
	s_set_vgpr_msb 0                        ;  msbs: dst=0 src0=0 src1=0 src2=0
	v_add3_u32 v89, v89, v91, v93
	s_set_vgpr_msb 0x41                     ;  msbs: dst=1 src0=1 src1=0 src2=0
	v_mul_i32_i24_e32 v35 /*v291*/, v76 /*v332*/, v151
	v_mul_i32_i24_e32 v37 /*v293*/, v80 /*v336*/, v153
	s_set_vgpr_msb 0                        ;  msbs: dst=0 src0=0 src1=0 src2=0
	v_mul_i32_i24_e32 v91, v92, v208
	s_set_vgpr_msb 20                       ;  msbs: dst=0 src0=0 src1=1 src2=1
	v_add3_u32 v80, v80, v34 /*v290*/, v36 /*v292*/
	s_set_vgpr_msb 0x41                     ;  msbs: dst=1 src0=1 src1=0 src2=0
	v_mul_i32_i24_e32 v36 /*v292*/, v69 /*v325*/, v152
	s_set_vgpr_msb 1                        ;  msbs: dst=0 src0=1 src1=0 src2=0
	v_mul_i32_i24_e32 v92, v72 /*v328*/, v207
	v_mul_i32_i24_e32 v93, v70 /*v326*/, v209
	v_mad_i32_i24 v91, v71 /*v327*/, v206, v91
	s_set_vgpr_msb 20                       ;  msbs: dst=0 src0=0 src1=1 src2=1
	v_add3_u32 v80, v80, v41 /*v297*/, v38 /*v294*/
	s_set_vgpr_msb 4                        ;  msbs: dst=0 src0=0 src1=1 src2=0
	v_add3_u32 v89, v89, v36 /*v292*/, v95
	s_set_vgpr_msb 0x41                     ;  msbs: dst=1 src0=1 src1=0 src2=0
	v_mul_i32_i24_e32 v38 /*v294*/, v68 /*v324*/, v154
	s_set_vgpr_msb 1                        ;  msbs: dst=0 src0=1 src1=0 src2=0
	v_mul_i32_i24_e32 v95, v89 /*v345*/, v211
	s_set_vgpr_msb 0x41                     ;  msbs: dst=1 src0=1 src1=0 src2=0
	v_mul_i32_i24_e32 v36 /*v292*/, v69 /*v325*/, v213
	s_set_vgpr_msb 20                       ;  msbs: dst=0 src0=0 src1=1 src2=1
	v_add3_u32 v80, v80, v39 /*v295*/, v40 /*v296*/
	s_set_vgpr_msb 0x41                     ;  msbs: dst=1 src0=1 src1=0 src2=0
	v_mul_i32_i24_e32 v40 /*v296*/, v64 /*v320*/, v155
	s_set_vgpr_msb 16                       ;  msbs: dst=0 src0=0 src1=0 src2=1
	v_add3_u32 v89, v89, v94, v35 /*v291*/
	s_set_vgpr_msb 0x41                     ;  msbs: dst=1 src0=1 src1=0 src2=0
	v_mul_i32_i24_e32 v39 /*v295*/, v65 /*v321*/, v189
	s_set_vgpr_msb 0                        ;  msbs: dst=0 src0=0 src1=0 src2=0
	v_add3_u32 v91, v91, v92, v93
	s_set_vgpr_msb 20                       ;  msbs: dst=0 src0=0 src1=1 src2=1
	v_add3_u32 v80, v80, v45 /*v301*/, v43 /*v299*/
	s_set_vgpr_msb 0x41                     ;  msbs: dst=1 src0=1 src1=0 src2=0
	v_mul_i32_i24_e32 v41 /*v297*/, v79 /*v335*/, v194
	s_set_vgpr_msb 20                       ;  msbs: dst=0 src0=0 src1=1 src2=1
	v_add3_u32 v89, v89, v40 /*v296*/, v37 /*v293*/
	s_set_vgpr_msb 0x41                     ;  msbs: dst=1 src0=1 src1=0 src2=0
	v_mul_i32_i24_e32 v43 /*v299*/, v63 /*v319*/, v196
	s_set_vgpr_msb 1                        ;  msbs: dst=0 src0=1 src1=0 src2=0
	v_mul_i32_i24_e32 v94, v78 /*v334*/, v210
	s_set_vgpr_msb 0x54                     ;  msbs: dst=1 src0=0 src1=1 src2=1
	v_add3_u32 v34 /*v290*/, v80, v42 /*v298*/, v44 /*v300*/
	s_set_vgpr_msb 0x41                     ;  msbs: dst=1 src0=1 src1=0 src2=0
	v_mul_i32_i24_e32 v42 /*v298*/, v90 /*v346*/, v193
	v_mul_i32_i24_e32 v44 /*v300*/, v61 /*v317*/, v195
	s_set_vgpr_msb 20                       ;  msbs: dst=0 src0=0 src1=1 src2=1
	v_add3_u32 v89, v89, v38 /*v294*/, v39 /*v295*/
	s_set_vgpr_msb 0x41                     ;  msbs: dst=1 src0=1 src1=0 src2=0
	v_mul_i32_i24_e32 v35 /*v291*/, v76 /*v332*/, v212
	s_set_vgpr_msb 4                        ;  msbs: dst=0 src0=0 src1=1 src2=0
	v_add3_u32 v91, v91, v36 /*v292*/, v95
	s_set_vgpr_msb 0x41                     ;  msbs: dst=1 src0=1 src1=0 src2=0
	v_mul_i32_i24_e32 v45 /*v301*/, v81 /*v337*/, v197
	v_mul_i32_i24_e32 v37 /*v293*/, v80 /*v336*/, v214
	s_set_vgpr_msb 20                       ;  msbs: dst=0 src0=0 src1=1 src2=1
	v_add3_u32 v89, v89, v44 /*v300*/, v42 /*v298*/
	s_set_vgpr_msb 0x41                     ;  msbs: dst=1 src0=1 src1=0 src2=0
	v_mul_i32_i24_e32 v40 /*v296*/, v64 /*v320*/, v216
	s_set_vgpr_msb 16                       ;  msbs: dst=0 src0=0 src1=0 src2=1
	v_add3_u32 v91, v91, v94, v35 /*v291*/
	s_set_vgpr_msb 0x41                     ;  msbs: dst=1 src0=1 src1=0 src2=0
	v_mul_i32_i24_e32 v38 /*v294*/, v68 /*v324*/, v215
	v_mul_i32_i24_e32 v39 /*v295*/, v65 /*v321*/, v217
	s_set_vgpr_msb 20                       ;  msbs: dst=0 src0=0 src1=1 src2=1
	v_add3_u32 v89, v89, v41 /*v297*/, v43 /*v299*/
	s_set_vgpr_msb 0x41                     ;  msbs: dst=1 src0=1 src1=0 src2=0
	v_mul_i32_i24_e32 v42 /*v298*/, v90 /*v346*/, v218
	s_set_vgpr_msb 20                       ;  msbs: dst=0 src0=0 src1=1 src2=1
	v_add3_u32 v91, v91, v40 /*v296*/, v37 /*v293*/
	s_set_vgpr_msb 0x41                     ;  msbs: dst=1 src0=1 src1=0 src2=0
	v_mul_i32_i24_e32 v44 /*v300*/, v61 /*v317*/, v220
	v_mul_i32_i24_e32 v41 /*v297*/, v79 /*v335*/, v219
	s_set_vgpr_msb 20                       ;  msbs: dst=0 src0=0 src1=1 src2=1
	v_add3_u32 v89, v89, v48 /*v304*/, v45 /*v301*/
	s_set_vgpr_msb 0x41                     ;  msbs: dst=1 src0=1 src1=0 src2=0
	v_mul_i32_i24_e32 v43 /*v299*/, v63 /*v319*/, v221
	s_set_vgpr_msb 20                       ;  msbs: dst=0 src0=0 src1=1 src2=1
	v_add3_u32 v91, v91, v38 /*v294*/, v39 /*v295*/
	s_set_vgpr_msb 0                        ;  msbs: dst=0 src0=0 src1=0 src2=0
	v_pk_mul_f16 v80, v115, v86
	s_set_vgpr_msb 0x41                     ;  msbs: dst=1 src0=1 src1=0 src2=0
	v_mul_i32_i24_e32 v45 /*v301*/, v81 /*v337*/, v222
	s_set_vgpr_msb 20                       ;  msbs: dst=0 src0=0 src1=1 src2=1
	v_add3_u32 v89, v89, v46 /*v302*/, v47 /*v303*/
	s_set_vgpr_msb 0x41                     ;  msbs: dst=1 src0=1 src1=0 src2=0
	v_mul_i32_i24_e32 v48 /*v304*/, v54 /*v310*/, v224
	s_set_vgpr_msb 20                       ;  msbs: dst=0 src0=0 src1=1 src2=1
	v_add3_u32 v91, v91, v44 /*v300*/, v42 /*v298*/
	v_cvt_f32_f16_e32 v82, v80
	s_set_vgpr_msb 0                        ;  msbs: dst=0 src0=0 src1=0 src2=0
	v_lshrrev_b32_e32 v80, 16, v80
	s_set_vgpr_msb 20                       ;  msbs: dst=0 src0=0 src1=1 src2=1
	v_add3_u32 v89, v89, v52 /*v308*/, v50 /*v306*/
	s_set_vgpr_msb 0x41                     ;  msbs: dst=1 src0=1 src1=0 src2=0
	v_mul_i32_i24_e32 v46 /*v302*/, v56 /*v312*/, v223
	s_set_vgpr_msb 20                       ;  msbs: dst=0 src0=0 src1=1 src2=1
	v_add3_u32 v91, v91, v41 /*v297*/, v43 /*v299*/
	s_set_vgpr_msb 0x41                     ;  msbs: dst=1 src0=1 src1=0 src2=0
	v_mul_i32_i24_e32 v47 /*v303*/, v55 /*v311*/, v225
	s_set_vgpr_msb 20                       ;  msbs: dst=0 src0=0 src1=1 src2=1
	v_cvt_f32_f16_e32 v84, v80
	v_add3_u32 v89, v89, v49 /*v305*/, v51 /*v307*/
	s_set_vgpr_msb 1                        ;  msbs: dst=0 src0=1 src1=0 src2=0
	v_mul_i32_i24_e32 v80, v82 /*v338*/, v232
	s_set_vgpr_msb 20                       ;  msbs: dst=0 src0=0 src1=1 src2=1
	v_add3_u32 v91, v91, v48 /*v304*/, v45 /*v301*/
	s_set_vgpr_msb 0x41                     ;  msbs: dst=1 src0=1 src1=0 src2=0
	v_mul_i32_i24_e32 v50 /*v306*/, v92 /*v348*/, v226
	v_mul_i32_i24_e32 v52 /*v308*/, v53 /*v309*/, v229
	s_set_vgpr_msb 20                       ;  msbs: dst=0 src0=0 src1=1 src2=1
	v_add3_u32 v89, v89, v60 /*v316*/, v57 /*v313*/
	s_set_vgpr_msb 0x41                     ;  msbs: dst=1 src0=1 src1=0 src2=0
	v_mul_i32_i24_e32 v49 /*v305*/, v83 /*v339*/, v227
	s_set_vgpr_msb 20                       ;  msbs: dst=0 src0=0 src1=1 src2=1
	v_add3_u32 v91, v91, v46 /*v302*/, v47 /*v303*/
	s_set_vgpr_msb 0x41                     ;  msbs: dst=1 src0=1 src1=0 src2=0
	v_mul_i32_i24_e32 v51 /*v307*/, v91 /*v347*/, v228
	v_mul_i32_i24_e32 v53 /*v309*/, v8 /*v264*/, v243
	s_set_vgpr_msb 20                       ;  msbs: dst=0 src0=0 src1=1 src2=1
	v_add3_u32 v89, v89, v58 /*v314*/, v59 /*v315*/
	s_set_vgpr_msb 0x41                     ;  msbs: dst=1 src0=1 src1=0 src2=0
	v_mul_i32_i24_e32 v56 /*v312*/, v11 /*v267*/, v245
	s_set_vgpr_msb 20                       ;  msbs: dst=0 src0=0 src1=1 src2=1
	v_add3_u32 v91, v91, v52 /*v308*/, v50 /*v306*/
	s_set_vgpr_msb 0x41                     ;  msbs: dst=1 src0=1 src1=0 src2=0
	v_mul_i32_i24_e32 v54 /*v310*/, v9 /*v265*/, v244
	v_mul_i32_i24_e32 v55 /*v311*/, v10 /*v266*/, v238
	s_set_vgpr_msb 0                        ;  msbs: dst=0 src0=0 src1=0 src2=0
	v_add3_u32 v80, v89, v80, v83
	v_pk_mul_f16 v83, v144, v86
	s_set_vgpr_msb 20                       ;  msbs: dst=0 src0=0 src1=1 src2=1
	v_add3_u32 v91, v91, v49 /*v305*/, v51 /*v307*/
	s_set_vgpr_msb 1                        ;  msbs: dst=0 src0=1 src1=0 src2=0
	v_mul_i32_i24_e32 v89, v75 /*v331*/, v239
	s_set_vgpr_msb 0x41                     ;  msbs: dst=1 src0=1 src1=0 src2=0
	v_mul_i32_i24_e32 v27 /*v283*/, v77 /*v333*/, v119
	s_set_vgpr_msb 0                        ;  msbs: dst=0 src0=0 src1=0 src2=0
	v_add3_u32 v80, v80, v85, v88
	s_set_vgpr_msb 1                        ;  msbs: dst=0 src0=1 src1=0 src2=0
	v_mul_i32_i24_e32 v85, v84 /*v340*/, v242
	s_set_vgpr_msb 20                       ;  msbs: dst=0 src0=0 src1=1 src2=1
	v_add3_u32 v91, v91, v56 /*v312*/, v53 /*v309*/
	s_set_vgpr_msb 0x41                     ;  msbs: dst=1 src0=1 src1=0 src2=0
	v_mul_i32_i24_e32 v24 /*v280*/, v82 /*v338*/, v118
	v_mul_i32_i24_e32 v28 /*v284*/, v84 /*v340*/, v116
	s_set_vgpr_msb 0                        ;  msbs: dst=0 src0=0 src1=0 src2=0
	v_cvt_f32_i32_e32 v80, v80
	v_mul_i32_i24_e32 v103, v103, v143
	s_set_vgpr_msb 20                       ;  msbs: dst=0 src0=0 src1=1 src2=1
	v_add3_u32 v91, v91, v54 /*v310*/, v55 /*v311*/
	s_set_vgpr_msb 0                        ;  msbs: dst=0 src0=0 src1=0 src2=0
	v_fma_mix_f32 v88, v83, v80, v83 op_sel:[0,0,1] op_sel_hi:[1,0,1]
	s_set_vgpr_msb 1                        ;  msbs: dst=0 src0=1 src1=0 src2=0
	v_mul_i32_i24_e32 v80, v82 /*v338*/, v240
	v_mul_i32_i24_e32 v83, v77 /*v333*/, v241
	s_set_vgpr_msb 0                        ;  msbs: dst=0 src0=0 src1=0 src2=0
	v_add3_u32 v103, v192, v190, v103
	s_delay_alu instid0(VALU_DEP_2) | instskip(SKIP_1) | instid1(VALU_DEP_2)
	v_add3_u32 v80, v91, v80, v83
	v_pk_mul_f16 v83, v205, v86
	v_add3_u32 v80, v80, v85, v89
	s_delay_alu instid0(VALU_DEP_1) | instskip(NEXT) | instid1(VALU_DEP_1)
	v_cvt_f32_i32_e32 v80, v80
	v_fma_mix_f32 v86, v83, v80, v83 op_sel:[0,0,1] op_sel_hi:[1,0,1]
	v_add_nc_u32_e32 v80, 0xc04, v97
	ds_load_2addr_b32 v[92:93], v80 offset1:1
	v_add_nc_u32_e32 v80, 0xc14, v97
	ds_load_2addr_b32 v[94:95], v80 offset1:1
	v_add_nc_u32_e32 v80, 0xc00, v97
	s_set_vgpr_msb 64                       ;  msbs: dst=1 src0=0 src1=0 src2=0
	ds_load_2addr_b32 v[40:41] /*v[296:297]*/, v80 offset1:3
	ds_load_2addr_b32 v[38:39] /*v[294:295]*/, v80 offset0:4 offset1:7
	s_wait_dscnt 0x3
	v_bfe_i32 v47 /*v303*/, v92, 0, 8
	v_bfe_i32 v48 /*v304*/, v92, 8, 8
	;; [unrolled: 1-line block ×3, first 2 shown]
	s_set_vgpr_msb 0                        ;  msbs: dst=0 src0=0 src1=0 src2=0
	v_ashrrev_i32_e32 v92, 24, v92
	s_set_vgpr_msb 64                       ;  msbs: dst=1 src0=0 src1=0 src2=0
	v_bfe_i32 v53 /*v309*/, v93, 0, 8
	s_set_vgpr_msb 0x45                     ;  msbs: dst=1 src0=1 src1=1 src2=0
	v_mul_i32_i24_e32 v42 /*v298*/, v47 /*v303*/, v17 /*v273*/
	s_wait_dscnt 0x2
	s_set_vgpr_msb 64                       ;  msbs: dst=1 src0=0 src1=0 src2=0
	v_bfe_i32 v50 /*v306*/, v94, 0, 8
	v_bfe_i32 v51 /*v307*/, v94, 8, 8
	;; [unrolled: 1-line block ×3, first 2 shown]
	s_set_vgpr_msb 0                        ;  msbs: dst=0 src0=0 src1=0 src2=0
	v_ashrrev_i32_e32 v94, 24, v94
	s_set_vgpr_msb 0x45                     ;  msbs: dst=1 src0=1 src1=1 src2=0
	v_mul_i32_i24_e32 v43 /*v299*/, v48 /*v304*/, v15 /*v271*/
	s_wait_dscnt 0x1
	v_bfe_i32 v59 /*v315*/, v41 /*v297*/, 0, 8
	s_wait_dscnt 0x0
	v_bfe_i32 v44 /*v300*/, v38 /*v294*/, 8, 8
	s_set_vgpr_msb 1                        ;  msbs: dst=0 src0=1 src1=0 src2=0
	v_bfe_i32 v80, v38 /*v294*/, 0, 8
	s_set_vgpr_msb 0x41                     ;  msbs: dst=1 src0=1 src1=0 src2=0
	v_bfe_i32 v45 /*v301*/, v38 /*v294*/, 16, 8
	s_set_vgpr_msb 0x44                     ;  msbs: dst=1 src0=0 src1=1 src2=0
	v_dual_ashrrev_i32 v46 /*v302*/, 24, v38 /*v294*/ :: v_dual_ashrrev_i32 v62 /*v318*/, 24, v41 /*v297*/
	s_set_vgpr_msb 0x41                     ;  msbs: dst=1 src0=1 src1=0 src2=0
	v_bfe_i32 v35 /*v291*/, v39 /*v295*/, 0, 8
	v_bfe_i32 v36 /*v292*/, v39 /*v295*/, 8, 8
	v_bfe_i32 v37 /*v293*/, v39 /*v295*/, 16, 8
	s_set_vgpr_msb 0x45                     ;  msbs: dst=1 src0=1 src1=1 src2=0
	v_dual_ashrrev_i32 v38 /*v294*/, 24, v39 /*v295*/ :: v_dual_ashrrev_i32 v65 /*v321*/, 24, v40 /*v296*/
	v_mul_i32_i24_e32 v39 /*v295*/, v13 /*v269*/, v44 /*v300*/
	v_bfe_i32 v60 /*v316*/, v41 /*v297*/, 8, 8
	v_bfe_i32 v61 /*v317*/, v41 /*v297*/, 16, 8
	;; [unrolled: 1-line block ×5, first 2 shown]
	v_mul_i32_i24_e32 v40 /*v296*/, v14 /*v270*/, v45 /*v301*/
	s_set_vgpr_msb 0x44                     ;  msbs: dst=1 src0=0 src1=1 src2=0
	v_mul_i32_i24_e32 v41 /*v297*/, v111, v46 /*v302*/
	s_set_vgpr_msb 0x51                     ;  msbs: dst=1 src0=1 src1=0 src2=1
	v_mad_i32_i24 v39 /*v295*/, v12 /*v268*/, v80, v39 /*v295*/
	s_set_vgpr_msb 64                       ;  msbs: dst=1 src0=0 src1=0 src2=0
	v_mul_i32_i24_e32 v68 /*v324*/, v92, v113
	s_set_vgpr_msb 0x45                     ;  msbs: dst=1 src0=1 src1=1 src2=0
	v_mul_i32_i24_e32 v67 /*v323*/, v49 /*v305*/, v16 /*v272*/
	v_mul_i32_i24_e32 v69 /*v325*/, v50 /*v306*/, v20 /*v276*/
	s_set_vgpr_msb 64                       ;  msbs: dst=1 src0=0 src1=0 src2=0
	v_mul_i32_i24_e32 v72 /*v328*/, v94, v109
	s_set_vgpr_msb 0x55                     ;  msbs: dst=1 src0=1 src1=1 src2=1
	v_add3_u32 v39 /*v295*/, v39 /*v295*/, v40 /*v296*/, v41 /*v297*/
	s_set_vgpr_msb 64                       ;  msbs: dst=1 src0=0 src1=0 src2=0
	v_bfe_i32 v54 /*v310*/, v93, 8, 8
	v_bfe_i32 v55 /*v311*/, v93, 16, 8
	s_set_vgpr_msb 0                        ;  msbs: dst=0 src0=0 src1=0 src2=0
	v_ashrrev_i32_e32 v93, 24, v93
	s_set_vgpr_msb 0x55                     ;  msbs: dst=1 src0=1 src1=1 src2=1
	v_mul_i32_i24_e32 v70 /*v326*/, v51 /*v307*/, v18 /*v274*/
	v_add3_u32 v39 /*v295*/, v39 /*v295*/, v68 /*v324*/, v43 /*v299*/
	v_mul_i32_i24_e32 v71 /*v327*/, v52 /*v308*/, v19 /*v275*/
	s_set_vgpr_msb 64                       ;  msbs: dst=1 src0=0 src1=0 src2=0
	v_bfe_i32 v56 /*v312*/, v95, 0, 8
	v_bfe_i32 v57 /*v313*/, v95, 8, 8
	;; [unrolled: 1-line block ×3, first 2 shown]
	s_set_vgpr_msb 0x55                     ;  msbs: dst=1 src0=1 src1=1 src2=1
	v_add3_u32 v39 /*v295*/, v39 /*v295*/, v42 /*v298*/, v67 /*v323*/
	s_set_vgpr_msb 0                        ;  msbs: dst=0 src0=0 src1=0 src2=0
	v_ashrrev_i32_e32 v95, 24, v95
	s_set_vgpr_msb 0x45                     ;  msbs: dst=1 src0=1 src1=1 src2=0
	v_mul_i32_i24_e32 v74 /*v330*/, v54 /*v310*/, v21 /*v277*/
	s_set_vgpr_msb 64                       ;  msbs: dst=1 src0=0 src1=0 src2=0
	v_mul_i32_i24_e32 v76 /*v332*/, v93, v114
	s_set_vgpr_msb 0x55                     ;  msbs: dst=1 src0=1 src1=1 src2=1
	v_mul_i32_i24_e32 v73 /*v329*/, v53 /*v309*/, v23 /*v279*/
	v_add3_u32 v39 /*v295*/, v39 /*v295*/, v72 /*v328*/, v69 /*v325*/
	v_mul_i32_i24_e32 v75 /*v331*/, v55 /*v311*/, v22 /*v278*/
	v_mul_i32_i24_e32 v77 /*v333*/, v56 /*v312*/, v30 /*v286*/
	s_set_vgpr_msb 64                       ;  msbs: dst=1 src0=0 src1=0 src2=0
	v_mul_i32_i24_e32 v80 /*v336*/, v95, v110
	s_set_vgpr_msb 0x55                     ;  msbs: dst=1 src0=1 src1=1 src2=1
	v_mul_i32_i24_e32 v78 /*v334*/, v57 /*v313*/, v25 /*v281*/
	v_add3_u32 v39 /*v295*/, v39 /*v295*/, v70 /*v326*/, v71 /*v327*/
	v_mul_i32_i24_e32 v79 /*v335*/, v58 /*v314*/, v26 /*v282*/
	v_mul_i32_i24_e32 v82 /*v338*/, v60 /*v316*/, v31 /*v287*/
	s_set_vgpr_msb 0x41                     ;  msbs: dst=1 src0=1 src1=0 src2=0
	v_mul_i32_i24_e32 v84 /*v340*/, v62 /*v318*/, v112
	s_set_vgpr_msb 0x55                     ;  msbs: dst=1 src0=1 src1=1 src2=1
	v_mul_i32_i24_e32 v81 /*v337*/, v59 /*v315*/, v33 /*v289*/
	v_add3_u32 v39 /*v295*/, v39 /*v295*/, v76 /*v332*/, v74 /*v330*/
	v_mul_i32_i24_e32 v83 /*v339*/, v61 /*v317*/, v32 /*v288*/
	v_mul_i32_i24_e32 v85 /*v341*/, v35 /*v291*/, v3 /*v259*/
	;; [unrolled: 1-line block ×4, first 2 shown]
	v_add3_u32 v39 /*v295*/, v39 /*v295*/, v73 /*v329*/, v75 /*v331*/
	s_set_vgpr_msb 0x41                     ;  msbs: dst=1 src0=1 src1=0 src2=0
	v_mul_i32_i24_e32 v87 /*v343*/, v37 /*v293*/, v250
	s_set_vgpr_msb 4                        ;  msbs: dst=0 src0=0 src1=1 src2=0
	v_mul_i32_i24_e32 v83, v253, v64 /*v320*/
	s_set_vgpr_msb 5                        ;  msbs: dst=0 src0=1 src1=1 src2=0
	v_mul_i32_i24_e32 v85, v1 /*v257*/, v63 /*v319*/
	v_mul_i32_i24_e32 v89, v2 /*v258*/, v66 /*v322*/
	s_set_vgpr_msb 0x55                     ;  msbs: dst=1 src0=1 src1=1 src2=1
	v_add3_u32 v39 /*v295*/, v39 /*v295*/, v80 /*v336*/, v77 /*v333*/
	s_set_vgpr_msb 4                        ;  msbs: dst=0 src0=0 src1=1 src2=0
	v_mul_i32_i24_e32 v91, v251, v65 /*v321*/
	s_set_vgpr_msb 64                       ;  msbs: dst=1 src0=0 src1=0 src2=0
	v_mul_i32_i24_e32 v67 /*v323*/, v92, v127
	s_set_vgpr_msb 0x41                     ;  msbs: dst=1 src0=1 src1=0 src2=0
	v_mul_i32_i24_e32 v43 /*v299*/, v49 /*v305*/, v126
	v_mul_i32_i24_e32 v68 /*v324*/, v50 /*v306*/, v128
	s_set_vgpr_msb 0x55                     ;  msbs: dst=1 src0=1 src1=1 src2=1
	v_add3_u32 v39 /*v295*/, v39 /*v295*/, v78 /*v334*/, v79 /*v335*/
	s_set_vgpr_msb 64                       ;  msbs: dst=1 src0=0 src1=0 src2=0
	v_mul_i32_i24_e32 v71 /*v327*/, v94, v130
	s_set_vgpr_msb 0x41                     ;  msbs: dst=1 src0=1 src1=0 src2=0
	v_mul_i32_i24_e32 v69 /*v325*/, v51 /*v307*/, v129
	v_mul_i32_i24_e32 v70 /*v326*/, v52 /*v308*/, v131
	v_mul_i32_i24_e32 v73 /*v329*/, v54 /*v310*/, v132
	s_set_vgpr_msb 0x55                     ;  msbs: dst=1 src0=1 src1=1 src2=1
	v_add3_u32 v39 /*v295*/, v39 /*v295*/, v84 /*v340*/, v82 /*v338*/
	s_set_vgpr_msb 64                       ;  msbs: dst=1 src0=0 src1=0 src2=0
	v_mul_i32_i24_e32 v75 /*v331*/, v93, v134
	s_set_vgpr_msb 0x41                     ;  msbs: dst=1 src0=1 src1=0 src2=0
	v_mul_i32_i24_e32 v72 /*v328*/, v53 /*v309*/, v133
	;; [unrolled: 8-line block ×3, first 2 shown]
	v_mul_i32_i24_e32 v78 /*v334*/, v58 /*v314*/, v139
	v_mul_i32_i24_e32 v81 /*v337*/, v60 /*v316*/, v140
	s_set_vgpr_msb 0x55                     ;  msbs: dst=1 src0=1 src1=1 src2=1
	v_add3_u32 v39 /*v295*/, v39 /*v295*/, v88 /*v344*/, v85 /*v341*/
	s_set_vgpr_msb 0x41                     ;  msbs: dst=1 src0=1 src1=0 src2=0
	v_mul_i32_i24_e32 v83 /*v339*/, v62 /*v318*/, v143
	v_mul_i32_i24_e32 v80 /*v336*/, v59 /*v315*/, v141
	;; [unrolled: 1-line block ×4, first 2 shown]
	s_set_vgpr_msb 0x55                     ;  msbs: dst=1 src0=1 src1=1 src2=1
	v_add3_u32 v39 /*v295*/, v39 /*v295*/, v86 /*v342*/, v87 /*v343*/
	s_set_vgpr_msb 64                       ;  msbs: dst=1 src0=0 src1=0 src2=0
	v_mul_i32_i24_e32 v86 /*v342*/, v95, v199
	s_set_vgpr_msb 0x41                     ;  msbs: dst=1 src0=1 src1=0 src2=0
	v_mul_i32_i24_e32 v85 /*v341*/, v58 /*v314*/, v200
	v_mul_i32_i24_e32 v88 /*v344*/, v60 /*v316*/, v201
	v_mul_i32_i24_e32 v90 /*v346*/, v62 /*v318*/, v204
	s_set_vgpr_msb 1                        ;  msbs: dst=0 src0=1 src1=0 src2=0
	v_add3_u32 v83, v39 /*v295*/, v83, v85
	s_set_vgpr_msb 0                        ;  msbs: dst=0 src0=0 src1=0 src2=0
	v_pk_mul_f16 v85, v108, v87
	s_set_vgpr_msb 0x41                     ;  msbs: dst=1 src0=1 src1=0 src2=0
	v_mul_i32_i24_e32 v87 /*v343*/, v59 /*v315*/, v202
	v_mul_i32_i24_e32 v89 /*v345*/, v61 /*v317*/, v203
	v_mul_i32_i24_e32 v91 /*v347*/, v35 /*v291*/, v235
	s_set_vgpr_msb 0                        ;  msbs: dst=0 src0=0 src1=0 src2=0
	v_add3_u32 v83, v83, v89, v91
	s_set_vgpr_msb 1                        ;  msbs: dst=0 src0=1 src1=0 src2=0
	v_mul_i32_i24_e32 v89, v46 /*v302*/, v123
	s_set_vgpr_msb 0x41                     ;  msbs: dst=1 src0=1 src1=0 src2=0
	v_mul_i32_i24_e32 v94 /*v350*/, v38 /*v294*/, v237
	v_mul_i32_i24_e32 v92 /*v348*/, v36 /*v292*/, v236
	v_mul_i32_i24_e32 v93 /*v349*/, v37 /*v293*/, v230
	s_set_vgpr_msb 0                        ;  msbs: dst=0 src0=0 src1=0 src2=0
	v_cvt_f32_i32_e32 v83, v83
	v_mul_i32_i24_e32 v95, v95, v224
	s_set_vgpr_msb 0x41                     ;  msbs: dst=1 src0=1 src1=0 src2=0
	v_mul_i32_i24_e32 v57 /*v313*/, v57 /*v313*/, v223
	v_mul_i32_i24_e32 v58 /*v314*/, v58 /*v314*/, v225
	;; [unrolled: 1-line block ×3, first 2 shown]
	s_set_vgpr_msb 0                        ;  msbs: dst=0 src0=0 src1=0 src2=0
	v_fma_mix_f32 v91, v85, v83, v85 op_sel:[0,0,1] op_sel_hi:[1,0,1]
	s_set_vgpr_msb 1                        ;  msbs: dst=0 src0=1 src1=0 src2=0
	v_mul_i32_i24_e32 v83, v44 /*v300*/, v122
	v_mul_i32_i24_e32 v85, v45 /*v301*/, v121
	s_set_vgpr_msb 0x41                     ;  msbs: dst=1 src0=1 src1=0 src2=0
	v_mul_i32_i24_e32 v62 /*v318*/, v62 /*v318*/, v229
	v_mul_i32_i24_e32 v59 /*v315*/, v59 /*v315*/, v227
	s_set_vgpr_msb 0                        ;  msbs: dst=0 src0=0 src1=0 src2=0
	v_pk_add_f32 v[24:25], v[24:25], v[90:91]
	v_mad_i32_i24 v83, v80, v120, v83
	s_set_vgpr_msb 1                        ;  msbs: dst=0 src0=1 src1=0 src2=0
	v_mul_i32_i24_e32 v91, v48 /*v304*/, v125
	v_mul_i32_i24_e32 v90, v47 /*v303*/, v124
	s_set_vgpr_msb 0x41                     ;  msbs: dst=1 src0=1 src1=0 src2=0
	v_mul_i32_i24_e32 v61 /*v317*/, v61 /*v317*/, v228
	v_mul_i32_i24_e32 v42 /*v298*/, v63 /*v319*/, v119
	s_set_vgpr_msb 0                        ;  msbs: dst=0 src0=0 src1=0 src2=0
	v_add3_u32 v83, v83, v85, v89
	s_set_vgpr_msb 1                        ;  msbs: dst=0 src0=1 src1=0 src2=0
	v_mul_i32_i24_e32 v89, v64 /*v320*/, v232
	s_set_vgpr_msb 0x41                     ;  msbs: dst=1 src0=1 src1=0 src2=0
	v_mul_i32_i24_e32 v39 /*v295*/, v66 /*v322*/, v116
	v_mul_i32_i24_e32 v40 /*v296*/, v64 /*v320*/, v118
	;; [unrolled: 1-line block ×3, first 2 shown]
	s_set_vgpr_msb 4                        ;  msbs: dst=0 src0=0 src1=1 src2=0
	v_add3_u32 v83, v83, v67 /*v323*/, v91
	s_set_vgpr_msb 1                        ;  msbs: dst=0 src0=1 src1=0 src2=0
	v_mul_i32_i24_e32 v91, v66 /*v322*/, v234
	s_set_vgpr_msb 0x41                     ;  msbs: dst=1 src0=1 src1=0 src2=0
	v_mul_i32_i24_e32 v67 /*v323*/, v65 /*v321*/, v231
	s_set_vgpr_msb 16                       ;  msbs: dst=0 src0=0 src1=0 src2=1
	v_pk_mul_f16 v85, v115, v87
	v_add3_u32 v83, v83, v90, v43 /*v299*/
	s_set_vgpr_msb 1                        ;  msbs: dst=0 src0=1 src1=0 src2=0
	v_mul_i32_i24_e32 v90, v63 /*v319*/, v233
	s_set_vgpr_msb 20                       ;  msbs: dst=0 src0=0 src1=1 src2=1
	s_delay_alu instid0(VALU_DEP_2)
	v_add3_u32 v83, v83, v71 /*v327*/, v68 /*v324*/
	s_set_vgpr_msb 0x41                     ;  msbs: dst=1 src0=1 src1=0 src2=0
	v_mul_i32_i24_e32 v68 /*v324*/, v44 /*v300*/, v147
	v_mul_i32_i24_e32 v71 /*v327*/, v47 /*v303*/, v149
	;; [unrolled: 1-line block ×4, first 2 shown]
	s_set_vgpr_msb 20                       ;  msbs: dst=0 src0=0 src1=1 src2=1
	v_add3_u32 v83, v83, v69 /*v325*/, v70 /*v326*/
	s_set_vgpr_msb 0x41                     ;  msbs: dst=1 src0=1 src1=0 src2=0
	v_mul_i32_i24_e32 v69 /*v325*/, v45 /*v301*/, v146
	v_mul_i32_i24_e32 v70 /*v326*/, v46 /*v302*/, v148
	s_set_vgpr_msb 0x50                     ;  msbs: dst=1 src0=0 src1=0 src2=1
	v_mad_i32_i24 v68 /*v324*/, v80, v145, v68 /*v324*/
	s_set_vgpr_msb 0x41                     ;  msbs: dst=1 src0=1 src1=0 src2=0
	v_mul_i32_i24_e32 v45 /*v301*/, v45 /*v301*/, v207
	s_set_vgpr_msb 20                       ;  msbs: dst=0 src0=0 src1=1 src2=1
	v_add3_u32 v83, v83, v75 /*v331*/, v73 /*v329*/
	s_set_vgpr_msb 0x41                     ;  msbs: dst=1 src0=1 src1=0 src2=0
	v_mul_i32_i24_e32 v73 /*v329*/, v49 /*v305*/, v151
	v_mul_i32_i24_e32 v75 /*v331*/, v50 /*v306*/, v153
	s_set_vgpr_msb 0x55                     ;  msbs: dst=1 src0=1 src1=1 src2=1
	v_add3_u32 v68 /*v324*/, v68 /*v324*/, v69 /*v325*/, v70 /*v326*/
	s_set_vgpr_msb 0x41                     ;  msbs: dst=1 src0=1 src1=0 src2=0
	v_mul_i32_i24_e32 v46 /*v302*/, v46 /*v302*/, v209
	s_set_vgpr_msb 20                       ;  msbs: dst=0 src0=0 src1=1 src2=1
	v_add3_u32 v83, v83, v72 /*v328*/, v74 /*v330*/
	s_set_vgpr_msb 0x41                     ;  msbs: dst=1 src0=1 src1=0 src2=0
	v_mul_i32_i24_e32 v72 /*v328*/, v48 /*v304*/, v150
	s_set_vgpr_msb 64                       ;  msbs: dst=1 src0=0 src1=0 src2=0
	v_mul_i32_i24_e32 v74 /*v330*/, v92, v152
	s_set_vgpr_msb 16                       ;  msbs: dst=0 src0=0 src1=0 src2=1
	v_mad_i32_i24 v80, v80, v206, v44 /*v300*/
	s_set_vgpr_msb 0x41                     ;  msbs: dst=1 src0=1 src1=0 src2=0
	v_mul_i32_i24_e32 v48 /*v304*/, v48 /*v304*/, v211
	s_set_vgpr_msb 20                       ;  msbs: dst=0 src0=0 src1=1 src2=1
	v_add3_u32 v83, v83, v79 /*v335*/, v76 /*v332*/
	s_set_vgpr_msb 0x41                     ;  msbs: dst=1 src0=1 src1=0 src2=0
	v_mul_i32_i24_e32 v76 /*v332*/, v51 /*v307*/, v154
	s_set_vgpr_msb 0x55                     ;  msbs: dst=1 src0=1 src1=1 src2=1
	v_add3_u32 v68 /*v324*/, v68 /*v324*/, v74 /*v330*/, v72 /*v328*/
	s_set_vgpr_msb 0x41                     ;  msbs: dst=1 src0=1 src1=0 src2=0
	v_mul_i32_i24_e32 v79 /*v335*/, v53 /*v309*/, v194
	s_set_vgpr_msb 0                        ;  msbs: dst=0 src0=0 src1=0 src2=0
	v_mul_i32_i24_e32 v92, v92, v213
	s_set_vgpr_msb 20                       ;  msbs: dst=0 src0=0 src1=1 src2=1
	v_add3_u32 v83, v83, v77 /*v333*/, v78 /*v334*/
	s_set_vgpr_msb 64                       ;  msbs: dst=1 src0=0 src1=0 src2=0
	v_mul_i32_i24_e32 v78 /*v334*/, v94, v155
	s_set_vgpr_msb 0x55                     ;  msbs: dst=1 src0=1 src1=1 src2=1
	v_add3_u32 v68 /*v324*/, v68 /*v324*/, v71 /*v327*/, v73 /*v329*/
	s_set_vgpr_msb 0x41                     ;  msbs: dst=1 src0=1 src1=0 src2=0
	v_mul_i32_i24_e32 v77 /*v333*/, v52 /*v308*/, v189
	s_set_vgpr_msb 20                       ;  msbs: dst=0 src0=0 src1=1 src2=1
	v_add3_u32 v80, v80, v45 /*v301*/, v46 /*v302*/
	v_add3_u32 v83, v83, v83 /*v339*/, v81 /*v337*/
	s_set_vgpr_msb 0x41                     ;  msbs: dst=1 src0=1 src1=0 src2=0
	v_mul_i32_i24_e32 v81 /*v337*/, v55 /*v311*/, v196
	s_set_vgpr_msb 0x55                     ;  msbs: dst=1 src0=1 src1=1 src2=1
	v_add3_u32 v68 /*v324*/, v68 /*v324*/, v78 /*v334*/, v75 /*v331*/
	s_set_vgpr_msb 0x41                     ;  msbs: dst=1 src0=1 src1=0 src2=0
	v_mul_i32_i24_e32 v83 /*v339*/, v56 /*v312*/, v197
	v_mul_i32_i24_e32 v49 /*v305*/, v49 /*v305*/, v212
	s_set_vgpr_msb 0x54                     ;  msbs: dst=1 src0=0 src1=1 src2=1
	v_add3_u32 v43 /*v299*/, v83, v80 /*v336*/, v82 /*v338*/
	s_set_vgpr_msb 0x41                     ;  msbs: dst=1 src0=1 src1=0 src2=0
	v_mul_i32_i24_e32 v80 /*v336*/, v54 /*v310*/, v193
	s_set_vgpr_msb 64                       ;  msbs: dst=1 src0=0 src1=0 src2=0
	v_mul_i32_i24_e32 v82 /*v338*/, v93, v195
	s_set_vgpr_msb 0x55                     ;  msbs: dst=1 src0=1 src1=1 src2=1
	v_add3_u32 v68 /*v324*/, v68 /*v324*/, v76 /*v332*/, v77 /*v333*/
	s_set_vgpr_msb 16                       ;  msbs: dst=0 src0=0 src1=0 src2=1
	v_add3_u32 v80, v80, v92, v48 /*v304*/
	s_set_vgpr_msb 0x41                     ;  msbs: dst=1 src0=1 src1=0 src2=0
	v_mul_i32_i24_e32 v50 /*v306*/, v50 /*v306*/, v214
	s_set_vgpr_msb 0                        ;  msbs: dst=0 src0=0 src1=0 src2=0
	v_mul_i32_i24_e32 v94, v94, v216
	s_set_vgpr_msb 0x41                     ;  msbs: dst=1 src0=1 src1=0 src2=0
	v_mul_i32_i24_e32 v51 /*v307*/, v51 /*v307*/, v215
	s_set_vgpr_msb 0x55                     ;  msbs: dst=1 src0=1 src1=1 src2=1
	v_add3_u32 v68 /*v324*/, v68 /*v324*/, v82 /*v338*/, v80 /*v336*/
	s_set_vgpr_msb 20                       ;  msbs: dst=0 src0=0 src1=1 src2=1
	v_add3_u32 v80, v80, v47 /*v303*/, v49 /*v305*/
	s_set_vgpr_msb 0x41                     ;  msbs: dst=1 src0=1 src1=0 src2=0
	v_mul_i32_i24_e32 v52 /*v308*/, v52 /*v308*/, v217
	v_mul_i32_i24_e32 v54 /*v310*/, v54 /*v310*/, v218
	s_set_vgpr_msb 0                        ;  msbs: dst=0 src0=0 src1=0 src2=0
	v_mul_i32_i24_e32 v93, v93, v220
	s_set_vgpr_msb 0x55                     ;  msbs: dst=1 src0=1 src1=1 src2=1
	v_add3_u32 v68 /*v324*/, v68 /*v324*/, v79 /*v335*/, v81 /*v337*/
	s_set_vgpr_msb 16                       ;  msbs: dst=0 src0=0 src1=0 src2=1
	v_add3_u32 v80, v80, v94, v50 /*v306*/
	s_set_vgpr_msb 0x41                     ;  msbs: dst=1 src0=1 src1=0 src2=0
	v_mul_i32_i24_e32 v53 /*v309*/, v53 /*v309*/, v219
	v_mul_i32_i24_e32 v55 /*v311*/, v55 /*v311*/, v221
	;; [unrolled: 1-line block ×3, first 2 shown]
	s_set_vgpr_msb 0x55                     ;  msbs: dst=1 src0=1 src1=1 src2=1
	v_add3_u32 v68 /*v324*/, v68 /*v324*/, v86 /*v342*/, v83 /*v339*/
	s_set_vgpr_msb 20                       ;  msbs: dst=0 src0=0 src1=1 src2=1
	v_add3_u32 v80, v80, v51 /*v307*/, v52 /*v308*/
	v_cvt_f32_f16_e32 v83, v85
	s_set_vgpr_msb 0x55                     ;  msbs: dst=1 src0=1 src1=1 src2=1
	v_add3_u32 v68 /*v324*/, v68 /*v324*/, v84 /*v340*/, v85 /*v341*/
	s_set_vgpr_msb 16                       ;  msbs: dst=0 src0=0 src1=0 src2=1
	v_add3_u32 v80, v80, v93, v54 /*v310*/
	s_set_vgpr_msb 0x55                     ;  msbs: dst=1 src0=1 src1=1 src2=1
	s_delay_alu instid0(VALU_DEP_2) | instskip(SKIP_1) | instid1(VALU_DEP_2)
	v_add3_u32 v68 /*v324*/, v68 /*v324*/, v90 /*v346*/, v88 /*v344*/
	s_set_vgpr_msb 20                       ;  msbs: dst=0 src0=0 src1=1 src2=1
	v_add3_u32 v80, v80, v53 /*v309*/, v55 /*v311*/
	s_set_vgpr_msb 0x55                     ;  msbs: dst=1 src0=1 src1=1 src2=1
	s_delay_alu instid0(VALU_DEP_2) | instskip(SKIP_1) | instid1(VALU_DEP_2)
	v_add3_u32 v68 /*v324*/, v68 /*v324*/, v87 /*v343*/, v89 /*v345*/
	s_set_vgpr_msb 16                       ;  msbs: dst=0 src0=0 src1=0 src2=1
	v_add3_u32 v80, v80, v95, v56 /*v312*/
	s_set_vgpr_msb 0x55                     ;  msbs: dst=1 src0=1 src1=1 src2=1
	s_delay_alu instid0(VALU_DEP_2) | instskip(SKIP_1) | instid1(VALU_DEP_2)
	v_add3_u32 v68 /*v324*/, v68 /*v324*/, v94 /*v350*/, v91 /*v347*/
	s_set_vgpr_msb 20                       ;  msbs: dst=0 src0=0 src1=1 src2=1
	v_add3_u32 v80, v80, v57 /*v313*/, v58 /*v314*/
	s_set_vgpr_msb 0x55                     ;  msbs: dst=1 src0=1 src1=1 src2=1
	s_delay_alu instid0(VALU_DEP_2) | instskip(SKIP_1) | instid1(VALU_DEP_2)
	v_add3_u32 v68 /*v324*/, v68 /*v324*/, v92 /*v348*/, v93 /*v349*/
	s_set_vgpr_msb 20                       ;  msbs: dst=0 src0=0 src1=1 src2=1
	v_add3_u32 v80, v80, v62 /*v318*/, v60 /*v316*/
	s_set_vgpr_msb 1                        ;  msbs: dst=0 src0=1 src1=0 src2=0
	s_delay_alu instid0(VALU_DEP_2)
	v_add3_u32 v89, v68 /*v324*/, v89, v90
	s_set_vgpr_msb 0                        ;  msbs: dst=0 src0=0 src1=0 src2=0
	v_pk_mul_f16 v90, v144, v87
	s_set_vgpr_msb 20                       ;  msbs: dst=0 src0=0 src1=1 src2=1
	v_add3_u32 v80, v80, v59 /*v315*/, v61 /*v317*/
	s_set_vgpr_msb 16                       ;  msbs: dst=0 src0=0 src1=0 src2=1
	v_pk_mul_f16 v87, v205, v87
	v_add3_u32 v89, v89, v91, v67 /*v323*/
	s_set_vgpr_msb 1                        ;  msbs: dst=0 src0=1 src1=0 src2=0
	v_mul_i32_i24_e32 v91, v65 /*v321*/, v239
	s_set_vgpr_msb 0x41                     ;  msbs: dst=1 src0=1 src1=0 src2=0
	v_mul_i32_i24_e32 v65 /*v321*/, v37 /*v293*/, v238
	s_set_vgpr_msb 0                        ;  msbs: dst=0 src0=0 src1=0 src2=0
	v_cvt_f32_i32_e32 v89, v89
	s_delay_alu instid0(VALU_DEP_1)
	v_fma_mix_f32 v89, v90, v89, v90 op_sel:[0,0,1] op_sel_hi:[1,0,1]
	s_set_vgpr_msb 1                        ;  msbs: dst=0 src0=1 src1=0 src2=0
	v_mul_i32_i24_e32 v90, v66 /*v322*/, v242
	s_set_vgpr_msb 0x41                     ;  msbs: dst=1 src0=1 src1=0 src2=0
	v_mul_i32_i24_e32 v66 /*v322*/, v38 /*v294*/, v245
	s_set_vgpr_msb 0                        ;  msbs: dst=0 src0=0 src1=0 src2=0
	v_pk_add_f32 v[20:21], v[20:21], v[88:89]
	s_set_vgpr_msb 1                        ;  msbs: dst=0 src0=1 src1=0 src2=0
	v_mul_i32_i24_e32 v89, v63 /*v319*/, v241
	s_set_vgpr_msb 0x41                     ;  msbs: dst=1 src0=1 src1=0 src2=0
	v_mul_i32_i24_e32 v63 /*v319*/, v35 /*v291*/, v243
	s_set_vgpr_msb 1                        ;  msbs: dst=0 src0=1 src1=0 src2=0
	v_mul_i32_i24_e32 v88, v64 /*v320*/, v240
	s_set_vgpr_msb 0x41                     ;  msbs: dst=1 src0=1 src1=0 src2=0
	v_mul_i32_i24_e32 v64 /*v320*/, v36 /*v292*/, v244
	s_set_vgpr_msb 20                       ;  msbs: dst=0 src0=0 src1=1 src2=1
	v_add3_u32 v80, v80, v66 /*v322*/, v63 /*v319*/
	s_delay_alu instid0(VALU_DEP_1) | instskip(SKIP_1) | instid1(VALU_DEP_1)
	v_add3_u32 v80, v80, v64 /*v320*/, v65 /*v321*/
	s_set_vgpr_msb 0                        ;  msbs: dst=0 src0=0 src1=0 src2=0
	v_add3_u32 v80, v80, v88, v89
	s_delay_alu instid0(VALU_DEP_1) | instskip(NEXT) | instid1(VALU_DEP_1)
	v_add3_u32 v80, v80, v90, v91
	v_cvt_f32_i32_e32 v80, v80
	s_delay_alu instid0(VALU_DEP_1) | instskip(SKIP_1) | instid1(VALU_DEP_2)
	v_fma_mix_f32 v87, v87, v80, v87 op_sel:[0,0,1] op_sel_hi:[1,0,1]
	v_add_nc_u32_e32 v80, 0x1004, v97
	v_pk_add_f32 v[18:19], v[18:19], v[86:87]
	ds_load_2addr_b32 v[86:87], v80 offset1:1
	v_add_nc_u32_e32 v80, 0x1014, v97
	v_lshrrev_b32_e32 v85, 16, v85
	ds_load_2addr_b32 v[88:89], v80 offset1:1
	v_add_nc_u32_e32 v80, 0x1000, v97
	ds_load_2addr_b32 v[92:93], v80 offset1:3
	ds_load_2addr_b32 v[94:95], v80 offset0:4 offset1:7
	ds_load_2addr_b32 v[90:91], v96 offset0:128 offset1:160
	s_wait_dscnt 0x4
	s_set_vgpr_msb 64                       ;  msbs: dst=1 src0=0 src1=0 src2=0
	v_bfe_i32 v57 /*v313*/, v86, 8, 8
	v_ashrrev_i32_e32 v59 /*v315*/, 24, v86
	v_bfe_i32 v56 /*v312*/, v86, 0, 8
	v_bfe_i32 v58 /*v314*/, v86, 16, 8
	;; [unrolled: 1-line block ×3, first 2 shown]
	s_set_vgpr_msb 0x45                     ;  msbs: dst=1 src0=1 src1=1 src2=0
	v_mul_i32_i24_e32 v52 /*v308*/, v57 /*v313*/, v15 /*v271*/
	s_wait_dscnt 0x3
	s_set_vgpr_msb 64                       ;  msbs: dst=1 src0=0 src1=0 src2=0
	v_bfe_i32 v60 /*v316*/, v88, 0, 8
	v_ashrrev_i32_e32 v63 /*v319*/, 24, v88
	s_set_vgpr_msb 0x45                     ;  msbs: dst=1 src0=1 src1=1 src2=0
	v_mul_i32_i24_e32 v51 /*v307*/, v56 /*v312*/, v17 /*v273*/
	v_mul_i32_i24_e32 v76 /*v332*/, v58 /*v314*/, v16 /*v272*/
	s_set_vgpr_msb 64                       ;  msbs: dst=1 src0=0 src1=0 src2=0
	v_bfe_i32 v61 /*v317*/, v88, 8, 8
	s_wait_dscnt 0x1
	v_bfe_i32 v53 /*v309*/, v94, 8, 8
	s_set_vgpr_msb 0                        ;  msbs: dst=0 src0=0 src1=0 src2=0
	v_bfe_i32 v80, v94, 0, 8
	s_set_vgpr_msb 64                       ;  msbs: dst=1 src0=0 src1=0 src2=0
	v_bfe_i32 v54 /*v310*/, v94, 16, 8
	v_dual_ashrrev_i32 v55 /*v311*/, 24, v94 :: v_dual_ashrrev_i32 v47 /*v303*/, 24, v95
	s_set_vgpr_msb 0x45                     ;  msbs: dst=1 src0=1 src1=1 src2=0
	v_mul_i32_i24_e32 v48 /*v304*/, v13 /*v269*/, v53 /*v309*/
	s_set_vgpr_msb 0x41                     ;  msbs: dst=1 src0=1 src1=0 src2=0
	v_mul_i32_i24_e32 v77 /*v333*/, v59 /*v315*/, v113
	s_set_vgpr_msb 0x45                     ;  msbs: dst=1 src0=1 src1=1 src2=0
	v_mul_i32_i24_e32 v49 /*v305*/, v14 /*v270*/, v54 /*v310*/
	s_set_vgpr_msb 0x44                     ;  msbs: dst=1 src0=0 src1=1 src2=0
	v_mul_i32_i24_e32 v50 /*v306*/, v111, v55 /*v311*/
	v_bfe_i32 v62 /*v318*/, v88, 16, 8
	s_set_vgpr_msb 0x51                     ;  msbs: dst=1 src0=1 src1=0 src2=1
	v_mad_i32_i24 v48 /*v304*/, v12 /*v268*/, v80, v48 /*v304*/
	s_set_vgpr_msb 0x45                     ;  msbs: dst=1 src0=1 src1=1 src2=0
	v_mul_i32_i24_e32 v78 /*v334*/, v60 /*v316*/, v20 /*v276*/
	s_set_vgpr_msb 0x41                     ;  msbs: dst=1 src0=1 src1=0 src2=0
	v_mul_i32_i24_e32 v81 /*v337*/, v63 /*v319*/, v109
	s_set_vgpr_msb 64                       ;  msbs: dst=1 src0=0 src1=0 src2=0
	v_bfe_i32 v65 /*v321*/, v87, 8, 8
	v_bfe_i32 v66 /*v322*/, v87, 16, 8
	s_set_vgpr_msb 0x55                     ;  msbs: dst=1 src0=1 src1=1 src2=1
	v_add3_u32 v48 /*v304*/, v48 /*v304*/, v49 /*v305*/, v50 /*v306*/
	s_set_vgpr_msb 0                        ;  msbs: dst=0 src0=0 src1=0 src2=0
	v_ashrrev_i32_e32 v87, 24, v87
	s_set_vgpr_msb 0x55                     ;  msbs: dst=1 src0=1 src1=1 src2=1
	v_mul_i32_i24_e32 v79 /*v335*/, v61 /*v317*/, v18 /*v274*/
	v_mul_i32_i24_e32 v80 /*v336*/, v62 /*v318*/, v19 /*v275*/
	v_mul_i32_i24_e32 v83 /*v339*/, v65 /*v321*/, v21 /*v277*/
	v_add3_u32 v48 /*v304*/, v48 /*v304*/, v77 /*v333*/, v52 /*v308*/
	s_set_vgpr_msb 64                       ;  msbs: dst=1 src0=0 src1=0 src2=0
	v_mul_i32_i24_e32 v85 /*v341*/, v87, v114
	v_bfe_i32 v67 /*v323*/, v89, 0, 8
	v_bfe_i32 v68 /*v324*/, v89, 8, 8
	v_bfe_i32 v69 /*v325*/, v89, 16, 8
	s_set_vgpr_msb 0x55                     ;  msbs: dst=1 src0=1 src1=1 src2=1
	v_add3_u32 v48 /*v304*/, v48 /*v304*/, v51 /*v307*/, v76 /*v332*/
	s_set_vgpr_msb 0                        ;  msbs: dst=0 src0=0 src1=0 src2=0
	v_ashrrev_i32_e32 v89, 24, v89
	s_set_vgpr_msb 0x55                     ;  msbs: dst=1 src0=1 src1=1 src2=1
	v_mul_i32_i24_e32 v82 /*v338*/, v64 /*v320*/, v23 /*v279*/
	v_mul_i32_i24_e32 v84 /*v340*/, v66 /*v322*/, v22 /*v278*/
	v_mul_i32_i24_e32 v86 /*v342*/, v67 /*v323*/, v30 /*v286*/
	v_add3_u32 v48 /*v304*/, v48 /*v304*/, v81 /*v337*/, v78 /*v334*/
	s_set_vgpr_msb 64                       ;  msbs: dst=1 src0=0 src1=0 src2=0
	v_mul_i32_i24_e32 v89 /*v345*/, v89, v110
	v_bfe_i32 v70 /*v326*/, v93, 0, 8
	;; [unrolled: 14-line block ×3, first 2 shown]
	s_set_vgpr_msb 0x55                     ;  msbs: dst=1 src0=1 src1=1 src2=1
	v_mul_i32_i24_e32 v90 /*v346*/, v70 /*v326*/, v33 /*v289*/
	v_mul_i32_i24_e32 v92 /*v348*/, v72 /*v328*/, v32 /*v288*/
	v_add3_u32 v48 /*v304*/, v48 /*v304*/, v82 /*v338*/, v84 /*v340*/
	s_set_vgpr_msb 64                       ;  msbs: dst=1 src0=0 src1=0 src2=0
	v_bfe_i32 v45 /*v301*/, v95, 8, 8
	v_bfe_i32 v46 /*v302*/, v95, 16, 8
	s_set_vgpr_msb 0x55                     ;  msbs: dst=1 src0=1 src1=1 src2=1
	v_mul_i32_i24_e32 v94 /*v350*/, v44 /*v300*/, v3 /*v259*/
	v_mul_i32_i24_e32 v97 /*v353*/, v47 /*v303*/, v5 /*v261*/
	v_add3_u32 v48 /*v304*/, v48 /*v304*/, v89 /*v345*/, v86 /*v342*/
	s_set_vgpr_msb 0                        ;  msbs: dst=0 src0=0 src1=0 src2=0
	v_bfe_i32 v95, v92, 8, 8
	s_set_vgpr_msb 64                       ;  msbs: dst=1 src0=0 src1=0 src2=0
	v_bfe_i32 v73 /*v329*/, v92, 0, 8
	s_set_vgpr_msb 0x45                     ;  msbs: dst=1 src0=1 src1=1 src2=0
	v_mul_i32_i24_e32 v95 /*v351*/, v45 /*v301*/, v4 /*v260*/
	s_set_vgpr_msb 0x41                     ;  msbs: dst=1 src0=1 src1=0 src2=0
	v_mul_i32_i24_e32 v96 /*v352*/, v46 /*v302*/, v250
	s_set_vgpr_msb 0x55                     ;  msbs: dst=1 src0=1 src1=1 src2=1
	v_add3_u32 v48 /*v304*/, v48 /*v304*/, v87 /*v343*/, v88 /*v344*/
	s_set_vgpr_msb 1                        ;  msbs: dst=0 src0=1 src1=0 src2=0
	v_mul_i32_i24_e32 v88, v1 /*v257*/, v95
	s_set_vgpr_msb 4                        ;  msbs: dst=0 src0=0 src1=1 src2=0
	v_mul_i32_i24_e32 v86, v253, v73 /*v329*/
	s_set_vgpr_msb 64                       ;  msbs: dst=1 src0=0 src1=0 src2=0
	v_ashrrev_i32_e32 v74 /*v330*/, 24, v92
	v_bfe_i32 v75 /*v331*/, v92, 16, 8
	s_set_vgpr_msb 0x55                     ;  msbs: dst=1 src0=1 src1=1 src2=1
	v_add3_u32 v48 /*v304*/, v48 /*v304*/, v93 /*v349*/, v91 /*v347*/
	s_set_vgpr_msb 0x41                     ;  msbs: dst=1 src0=1 src1=0 src2=0
	v_mul_i32_i24_e32 v76 /*v332*/, v57 /*v313*/, v125
	v_mul_i32_i24_e32 v78 /*v334*/, v59 /*v315*/, v127
	s_set_vgpr_msb 4                        ;  msbs: dst=0 src0=0 src1=1 src2=0
	v_mul_i32_i24_e32 v94, v251, v74 /*v330*/
	s_set_vgpr_msb 5                        ;  msbs: dst=0 src0=1 src1=1 src2=0
	v_mul_i32_i24_e32 v92, v2 /*v258*/, v75 /*v331*/
	s_set_vgpr_msb 0x55                     ;  msbs: dst=1 src0=1 src1=1 src2=1
	v_add3_u32 v48 /*v304*/, v48 /*v304*/, v90 /*v346*/, v92 /*v348*/
	s_set_vgpr_msb 0x41                     ;  msbs: dst=1 src0=1 src1=0 src2=0
	v_mul_i32_i24_e32 v52 /*v308*/, v56 /*v312*/, v124
	v_mul_i32_i24_e32 v77 /*v333*/, v58 /*v314*/, v126
	;; [unrolled: 1-line block ×4, first 2 shown]
	s_set_vgpr_msb 0x55                     ;  msbs: dst=1 src0=1 src1=1 src2=1
	v_add3_u32 v48 /*v304*/, v48 /*v304*/, v97 /*v353*/, v94 /*v350*/
	s_set_vgpr_msb 0x41                     ;  msbs: dst=1 src0=1 src1=0 src2=0
	v_mul_i32_i24_e32 v80 /*v336*/, v61 /*v317*/, v129
	v_mul_i32_i24_e32 v81 /*v337*/, v62 /*v318*/, v131
	;; [unrolled: 1-line block ×3, first 2 shown]
	s_set_vgpr_msb 64                       ;  msbs: dst=1 src0=0 src1=0 src2=0
	v_mul_i32_i24_e32 v86 /*v342*/, v87, v134
	s_set_vgpr_msb 0x55                     ;  msbs: dst=1 src0=1 src1=1 src2=1
	v_add3_u32 v48 /*v304*/, v48 /*v304*/, v95 /*v351*/, v96 /*v352*/
	s_set_vgpr_msb 0x41                     ;  msbs: dst=1 src0=1 src1=0 src2=0
	v_mul_i32_i24_e32 v83 /*v339*/, v64 /*v320*/, v133
	v_mul_i32_i24_e32 v85 /*v341*/, v66 /*v322*/, v135
	;; [unrolled: 1-line block ×3, first 2 shown]
	s_set_vgpr_msb 64                       ;  msbs: dst=1 src0=0 src1=0 src2=0
	v_mul_i32_i24_e32 v90 /*v346*/, v89, v138
	s_set_vgpr_msb 1                        ;  msbs: dst=0 src0=1 src1=0 src2=0
	v_add3_u32 v86, v48 /*v304*/, v86, v88
	s_wait_dscnt 0x0
	s_set_vgpr_msb 0                        ;  msbs: dst=0 src0=0 src1=0 src2=0
	v_pk_mul_f16 v88, v108, v90
	s_set_vgpr_msb 0x41                     ;  msbs: dst=1 src0=1 src1=0 src2=0
	v_mul_i32_i24_e32 v88 /*v344*/, v68 /*v324*/, v137
	v_mul_i32_i24_e32 v89 /*v345*/, v69 /*v325*/, v139
	;; [unrolled: 1-line block ×3, first 2 shown]
	s_set_vgpr_msb 0                        ;  msbs: dst=0 src0=0 src1=0 src2=0
	v_add3_u32 v86, v86, v92, v94
	s_set_vgpr_msb 1                        ;  msbs: dst=0 src0=1 src1=0 src2=0
	v_mul_i32_i24_e32 v92, v55 /*v311*/, v123
	s_set_vgpr_msb 64                       ;  msbs: dst=1 src0=0 src1=0 src2=0
	v_mul_i32_i24_e32 v94 /*v350*/, v93, v143
	s_set_vgpr_msb 0x41                     ;  msbs: dst=1 src0=1 src1=0 src2=0
	v_mul_i32_i24_e32 v91 /*v347*/, v70 /*v326*/, v141
	v_mul_i32_i24_e32 v93 /*v349*/, v72 /*v328*/, v142
	s_set_vgpr_msb 0                        ;  msbs: dst=0 src0=0 src1=0 src2=0
	v_cvt_f32_i32_e32 v86, v86
	s_set_vgpr_msb 0x41                     ;  msbs: dst=1 src0=1 src1=0 src2=0
	v_mul_i32_i24_e32 v95 /*v351*/, v68 /*v324*/, v198
	v_mul_i32_i24_e32 v96 /*v352*/, v69 /*v325*/, v200
	;; [unrolled: 1-line block ×3, first 2 shown]
	s_set_vgpr_msb 64                       ;  msbs: dst=1 src0=0 src1=0 src2=0
	v_mul_i32_i24_e32 v101 /*v357*/, v93, v204
	s_set_vgpr_msb 0                        ;  msbs: dst=0 src0=0 src1=0 src2=0
	v_fma_mix_f32 v94, v88, v86, v88 op_sel:[0,0,1] op_sel_hi:[1,0,1]
	s_set_vgpr_msb 1                        ;  msbs: dst=0 src0=1 src1=0 src2=0
	v_mul_i32_i24_e32 v86, v53 /*v309*/, v122
	v_mul_i32_i24_e32 v88, v54 /*v310*/, v121
	s_set_vgpr_msb 0x41                     ;  msbs: dst=1 src0=1 src1=0 src2=0
	v_mul_i32_i24_e32 v98 /*v354*/, v70 /*v326*/, v202
	v_mul_i32_i24_e32 v100 /*v356*/, v72 /*v328*/, v203
	;; [unrolled: 1-line block ×3, first 2 shown]
	s_set_vgpr_msb 0                        ;  msbs: dst=0 src0=0 src1=0 src2=0
	v_mad_i32_i24 v86, v80, v120, v86
	s_set_vgpr_msb 0x41                     ;  msbs: dst=1 src0=1 src1=0 src2=0
	v_mul_i32_i24_e32 v105 /*v361*/, v47 /*v303*/, v237
	v_mul_i32_i24_e32 v103 /*v359*/, v45 /*v301*/, v236
	;; [unrolled: 1-line block ×4, first 2 shown]
	s_set_vgpr_msb 0                        ;  msbs: dst=0 src0=0 src1=0 src2=0
	v_add3_u32 v86, v86, v88, v92
	v_pk_mul_f16 v88, v115, v90
	s_set_vgpr_msb 1                        ;  msbs: dst=0 src0=1 src1=0 src2=0
	v_mul_i32_i24_e32 v92, v73 /*v329*/, v232
	s_set_vgpr_msb 0x41                     ;  msbs: dst=1 src0=1 src1=0 src2=0
	v_mul_i32_i24_e32 v69 /*v325*/, v69 /*v325*/, v225
	v_mul_i32_i24_e32 v71 /*v327*/, v71 /*v327*/, v226
	s_set_vgpr_msb 20                       ;  msbs: dst=0 src0=0 src1=1 src2=1
	v_add3_u32 v86, v86, v78 /*v334*/, v76 /*v332*/
	s_set_vgpr_msb 64                       ;  msbs: dst=1 src0=0 src1=0 src2=0
	v_mul_i32_i24_e32 v76 /*v332*/, v95, v233
	s_set_vgpr_msb 0x41                     ;  msbs: dst=1 src0=1 src1=0 src2=0
	v_mul_i32_i24_e32 v78 /*v334*/, v74 /*v330*/, v231
	s_set_vgpr_msb 0                        ;  msbs: dst=0 src0=0 src1=0 src2=0
	v_mul_i32_i24_e32 v93, v93, v229
	s_set_vgpr_msb 0x41                     ;  msbs: dst=1 src0=1 src1=0 src2=0
	v_mul_i32_i24_e32 v70 /*v326*/, v70 /*v326*/, v227
	s_set_vgpr_msb 20                       ;  msbs: dst=0 src0=0 src1=1 src2=1
	v_add3_u32 v86, v86, v52 /*v308*/, v77 /*v333*/
	s_set_vgpr_msb 0x41                     ;  msbs: dst=1 src0=1 src1=0 src2=0
	v_mul_i32_i24_e32 v77 /*v333*/, v75 /*v331*/, v234
	v_mul_i32_i24_e32 v72 /*v328*/, v72 /*v328*/, v228
	;; [unrolled: 1-line block ×3, first 2 shown]
	s_set_vgpr_msb 64                       ;  msbs: dst=1 src0=0 src1=0 src2=0
	v_mul_i32_i24_e32 v49 /*v305*/, v95, v119
	s_set_vgpr_msb 20                       ;  msbs: dst=0 src0=0 src1=1 src2=1
	v_add3_u32 v86, v86, v82 /*v338*/, v79 /*v335*/
	s_set_vgpr_msb 0x41                     ;  msbs: dst=1 src0=1 src1=0 src2=0
	v_mul_i32_i24_e32 v79 /*v335*/, v53 /*v309*/, v147
	v_mul_i32_i24_e32 v82 /*v338*/, v56 /*v312*/, v149
	;; [unrolled: 1-line block ×4, first 2 shown]
	s_set_vgpr_msb 20                       ;  msbs: dst=0 src0=0 src1=1 src2=1
	v_add3_u32 v86, v86, v80 /*v336*/, v81 /*v337*/
	s_set_vgpr_msb 0x41                     ;  msbs: dst=1 src0=1 src1=0 src2=0
	v_mul_i32_i24_e32 v80 /*v336*/, v54 /*v310*/, v146
	v_mul_i32_i24_e32 v81 /*v337*/, v55 /*v311*/, v148
	s_set_vgpr_msb 0x50                     ;  msbs: dst=1 src0=0 src1=0 src2=1
	v_mad_i32_i24 v79 /*v335*/, v80, v145, v79 /*v335*/
	s_set_vgpr_msb 0x41                     ;  msbs: dst=1 src0=1 src1=0 src2=0
	v_mul_i32_i24_e32 v54 /*v310*/, v54 /*v310*/, v207
	s_set_vgpr_msb 20                       ;  msbs: dst=0 src0=0 src1=1 src2=1
	v_add3_u32 v86, v86, v86 /*v342*/, v84 /*v340*/
	s_set_vgpr_msb 0x41                     ;  msbs: dst=1 src0=1 src1=0 src2=0
	v_mul_i32_i24_e32 v84 /*v340*/, v58 /*v314*/, v151
	v_mul_i32_i24_e32 v86 /*v342*/, v60 /*v316*/, v153
	s_set_vgpr_msb 0x55                     ;  msbs: dst=1 src0=1 src1=1 src2=1
	v_add3_u32 v79 /*v335*/, v79 /*v335*/, v80 /*v336*/, v81 /*v337*/
	s_set_vgpr_msb 0x41                     ;  msbs: dst=1 src0=1 src1=0 src2=0
	v_mul_i32_i24_e32 v55 /*v311*/, v55 /*v311*/, v209
	s_set_vgpr_msb 20                       ;  msbs: dst=0 src0=0 src1=1 src2=1
	v_add3_u32 v86, v86, v83 /*v339*/, v85 /*v341*/
	s_set_vgpr_msb 0x41                     ;  msbs: dst=1 src0=1 src1=0 src2=0
	v_mul_i32_i24_e32 v83 /*v339*/, v57 /*v313*/, v150
	v_mul_i32_i24_e32 v85 /*v341*/, v59 /*v315*/, v152
	s_set_vgpr_msb 16                       ;  msbs: dst=0 src0=0 src1=0 src2=1
	v_mad_i32_i24 v80, v80, v206, v53 /*v309*/
	s_set_vgpr_msb 0x41                     ;  msbs: dst=1 src0=1 src1=0 src2=0
	v_mul_i32_i24_e32 v57 /*v313*/, v57 /*v313*/, v211
	s_set_vgpr_msb 20                       ;  msbs: dst=0 src0=0 src1=1 src2=1
	v_add3_u32 v86, v86, v90 /*v346*/, v87 /*v343*/
	s_set_vgpr_msb 0x41                     ;  msbs: dst=1 src0=1 src1=0 src2=0
	v_mul_i32_i24_e32 v87 /*v343*/, v61 /*v317*/, v154
	s_set_vgpr_msb 0x55                     ;  msbs: dst=1 src0=1 src1=1 src2=1
	v_add3_u32 v79 /*v335*/, v79 /*v335*/, v85 /*v341*/, v83 /*v339*/
	s_set_vgpr_msb 0x41                     ;  msbs: dst=1 src0=1 src1=0 src2=0
	v_mul_i32_i24_e32 v90 /*v346*/, v64 /*v320*/, v194
	v_mul_i32_i24_e32 v59 /*v315*/, v59 /*v315*/, v213
	s_set_vgpr_msb 20                       ;  msbs: dst=0 src0=0 src1=1 src2=1
	v_add3_u32 v86, v86, v88 /*v344*/, v89 /*v345*/
	s_set_vgpr_msb 0x41                     ;  msbs: dst=1 src0=1 src1=0 src2=0
	v_mul_i32_i24_e32 v89 /*v345*/, v63 /*v319*/, v155
	s_set_vgpr_msb 0x55                     ;  msbs: dst=1 src0=1 src1=1 src2=1
	v_add3_u32 v79 /*v335*/, v79 /*v335*/, v82 /*v338*/, v84 /*v340*/
	s_set_vgpr_msb 0x41                     ;  msbs: dst=1 src0=1 src1=0 src2=0
	v_mul_i32_i24_e32 v88 /*v344*/, v62 /*v318*/, v189
	s_set_vgpr_msb 20                       ;  msbs: dst=0 src0=0 src1=1 src2=1
	v_add3_u32 v80, v80, v54 /*v310*/, v55 /*v311*/
	v_add3_u32 v86, v86, v94 /*v350*/, v92 /*v348*/
	s_set_vgpr_msb 0x41                     ;  msbs: dst=1 src0=1 src1=0 src2=0
	v_mul_i32_i24_e32 v92 /*v348*/, v66 /*v322*/, v196
	s_set_vgpr_msb 0x55                     ;  msbs: dst=1 src0=1 src1=1 src2=1
	v_add3_u32 v79 /*v335*/, v79 /*v335*/, v89 /*v345*/, v86 /*v342*/
	s_set_vgpr_msb 0x41                     ;  msbs: dst=1 src0=1 src1=0 src2=0
	v_mul_i32_i24_e32 v94 /*v350*/, v67 /*v323*/, v197
	v_mul_i32_i24_e32 v58 /*v314*/, v58 /*v314*/, v212
	s_set_vgpr_msb 0x54                     ;  msbs: dst=1 src0=0 src1=1 src2=1
	v_add3_u32 v52 /*v308*/, v86, v91 /*v347*/, v93 /*v349*/
	s_set_vgpr_msb 0x41                     ;  msbs: dst=1 src0=1 src1=0 src2=0
	v_mul_i32_i24_e32 v91 /*v347*/, v65 /*v321*/, v193
	s_set_vgpr_msb 64                       ;  msbs: dst=1 src0=0 src1=0 src2=0
	v_mul_i32_i24_e32 v93 /*v349*/, v87, v195
	s_set_vgpr_msb 0x55                     ;  msbs: dst=1 src0=1 src1=1 src2=1
	v_add3_u32 v79 /*v335*/, v79 /*v335*/, v87 /*v343*/, v88 /*v344*/
	s_set_vgpr_msb 0                        ;  msbs: dst=0 src0=0 src1=0 src2=0
	v_cvt_f32_f16_e32 v86, v88
	v_lshrrev_b32_e32 v88, 16, v88
	s_set_vgpr_msb 64                       ;  msbs: dst=1 src0=0 src1=0 src2=0
	v_mul_i32_i24_e32 v97 /*v353*/, v89, v199
	s_set_vgpr_msb 20                       ;  msbs: dst=0 src0=0 src1=1 src2=1
	v_add3_u32 v80, v80, v59 /*v315*/, v57 /*v313*/
	s_set_vgpr_msb 0x55                     ;  msbs: dst=1 src0=1 src1=1 src2=1
	v_add3_u32 v79 /*v335*/, v79 /*v335*/, v93 /*v349*/, v91 /*v347*/
	s_set_vgpr_msb 0x41                     ;  msbs: dst=1 src0=1 src1=0 src2=0
	v_mul_i32_i24_e32 v60 /*v316*/, v60 /*v316*/, v214
	v_mul_i32_i24_e32 v63 /*v319*/, v63 /*v319*/, v216
	;; [unrolled: 1-line block ×3, first 2 shown]
	s_set_vgpr_msb 20                       ;  msbs: dst=0 src0=0 src1=1 src2=1
	v_add3_u32 v80, v80, v56 /*v312*/, v58 /*v314*/
	s_set_vgpr_msb 0x55                     ;  msbs: dst=1 src0=1 src1=1 src2=1
	v_add3_u32 v79 /*v335*/, v79 /*v335*/, v90 /*v346*/, v92 /*v348*/
	s_set_vgpr_msb 0x41                     ;  msbs: dst=1 src0=1 src1=0 src2=0
	v_mul_i32_i24_e32 v62 /*v318*/, v62 /*v318*/, v217
	v_mul_i32_i24_e32 v65 /*v321*/, v65 /*v321*/, v218
	s_set_vgpr_msb 0                        ;  msbs: dst=0 src0=0 src1=0 src2=0
	v_mul_i32_i24_e32 v87, v87, v220
	s_set_vgpr_msb 20                       ;  msbs: dst=0 src0=0 src1=1 src2=1
	v_add3_u32 v80, v80, v63 /*v319*/, v60 /*v316*/
	s_set_vgpr_msb 0x55                     ;  msbs: dst=1 src0=1 src1=1 src2=1
	v_add3_u32 v79 /*v335*/, v79 /*v335*/, v97 /*v353*/, v94 /*v350*/
	s_set_vgpr_msb 0x41                     ;  msbs: dst=1 src0=1 src1=0 src2=0
	v_mul_i32_i24_e32 v64 /*v320*/, v64 /*v320*/, v219
	v_mul_i32_i24_e32 v66 /*v322*/, v66 /*v322*/, v221
	;; [unrolled: 1-line block ×3, first 2 shown]
	s_set_vgpr_msb 20                       ;  msbs: dst=0 src0=0 src1=1 src2=1
	v_add3_u32 v80, v80, v61 /*v317*/, v62 /*v318*/
	s_set_vgpr_msb 0x55                     ;  msbs: dst=1 src0=1 src1=1 src2=1
	v_add3_u32 v79 /*v335*/, v79 /*v335*/, v95 /*v351*/, v96 /*v352*/
	s_set_vgpr_msb 0                        ;  msbs: dst=0 src0=0 src1=0 src2=0
	v_mul_i32_i24_e32 v89, v89, v224
	s_set_vgpr_msb 0x41                     ;  msbs: dst=1 src0=1 src1=0 src2=0
	v_mul_i32_i24_e32 v73 /*v329*/, v73 /*v329*/, v240
	s_set_vgpr_msb 16                       ;  msbs: dst=0 src0=0 src1=0 src2=1
	v_mul_i32_i24_e32 v95, v95, v241
	v_add3_u32 v80, v80, v87, v65 /*v321*/
	s_set_vgpr_msb 0x55                     ;  msbs: dst=1 src0=1 src1=1 src2=1
	v_add3_u32 v79 /*v335*/, v79 /*v335*/, v101 /*v357*/, v99 /*v355*/
	s_set_vgpr_msb 0x41                     ;  msbs: dst=1 src0=1 src1=0 src2=0
	v_mul_i32_i24_e32 v50 /*v306*/, v75 /*v331*/, v116
	v_mul_i32_i24_e32 v51 /*v307*/, v74 /*v330*/, v117
	;; [unrolled: 1-line block ×3, first 2 shown]
	s_set_vgpr_msb 20                       ;  msbs: dst=0 src0=0 src1=1 src2=1
	v_add3_u32 v80, v80, v64 /*v320*/, v66 /*v322*/
	s_set_vgpr_msb 0x55                     ;  msbs: dst=1 src0=1 src1=1 src2=1
	v_add3_u32 v79 /*v335*/, v79 /*v335*/, v98 /*v354*/, v100 /*v356*/
	s_set_vgpr_msb 0x41                     ;  msbs: dst=1 src0=1 src1=0 src2=0
	v_mul_i32_i24_e32 v74 /*v330*/, v74 /*v330*/, v239
	s_set_vgpr_msb 16                       ;  msbs: dst=0 src0=0 src1=0 src2=1
	v_pk_mul_f16 v87, v205, v90
	v_cvt_f32_f16_e32 v85, v85
	v_add3_u32 v80, v80, v89, v67 /*v323*/
	s_set_vgpr_msb 0x55                     ;  msbs: dst=1 src0=1 src1=1 src2=1
	v_add3_u32 v79 /*v335*/, v79 /*v335*/, v105 /*v361*/, v102 /*v358*/
	s_set_vgpr_msb 20                       ;  msbs: dst=0 src0=0 src1=1 src2=1
	v_cvt_f32_f16_e32 v88, v88
	v_add3_u32 v80, v80, v68 /*v324*/, v69 /*v325*/
	s_set_vgpr_msb 0x55                     ;  msbs: dst=1 src0=1 src1=1 src2=1
	v_add3_u32 v79 /*v335*/, v79 /*v335*/, v103 /*v359*/, v104 /*v360*/
	s_set_vgpr_msb 16                       ;  msbs: dst=0 src0=0 src1=0 src2=1
	s_delay_alu instid0(VALU_DEP_2) | instskip(SKIP_1) | instid1(VALU_DEP_2)
	v_add3_u32 v80, v80, v93, v71 /*v327*/
	s_set_vgpr_msb 17                       ;  msbs: dst=0 src0=1 src1=0 src2=1
	v_add3_u32 v92, v79 /*v335*/, v92, v76 /*v332*/
	s_set_vgpr_msb 64                       ;  msbs: dst=1 src0=0 src1=0 src2=0
	v_pk_mul_f16 v76 /*v332*/, v144, v90
	s_set_vgpr_msb 0x41                     ;  msbs: dst=1 src0=1 src1=0 src2=0
	v_mul_i32_i24_e32 v79 /*v335*/, v47 /*v303*/, v245
	s_set_vgpr_msb 20                       ;  msbs: dst=0 src0=0 src1=1 src2=1
	v_add3_u32 v80, v80, v70 /*v326*/, v72 /*v328*/
	v_add3_u32 v92, v92, v77 /*v333*/, v78 /*v334*/
	s_set_vgpr_msb 0x41                     ;  msbs: dst=1 src0=1 src1=0 src2=0
	v_mul_i32_i24_e32 v77 /*v333*/, v45 /*v301*/, v244
	v_mul_i32_i24_e32 v78 /*v334*/, v46 /*v302*/, v238
	s_set_vgpr_msb 0                        ;  msbs: dst=0 src0=0 src1=0 src2=0
	v_cvt_f32_i32_e32 v92, v92
	s_set_vgpr_msb 17                       ;  msbs: dst=0 src0=1 src1=0 src2=1
	s_delay_alu instid0(VALU_DEP_1) | instskip(SKIP_3) | instid1(VALU_DEP_1)
	v_fma_mix_f32 v92, v76 /*v332*/, v92, v76 /*v332*/ op_sel:[0,0,1] op_sel_hi:[1,0,1]
	s_set_vgpr_msb 0x41                     ;  msbs: dst=1 src0=1 src1=0 src2=0
	v_mul_i32_i24_e32 v76 /*v332*/, v44 /*v300*/, v243
	s_set_vgpr_msb 20                       ;  msbs: dst=0 src0=0 src1=1 src2=1
	v_add3_u32 v80, v80, v79 /*v335*/, v76 /*v332*/
	s_delay_alu instid0(VALU_DEP_1) | instskip(SKIP_1) | instid1(VALU_DEP_1)
	v_add3_u32 v80, v80, v77 /*v333*/, v78 /*v334*/
	s_set_vgpr_msb 4                        ;  msbs: dst=0 src0=0 src1=1 src2=0
	v_add3_u32 v80, v80, v73 /*v329*/, v95
	s_set_vgpr_msb 20                       ;  msbs: dst=0 src0=0 src1=1 src2=1
	s_delay_alu instid0(VALU_DEP_1) | instskip(NEXT) | instid1(VALU_DEP_1)
	v_add3_u32 v80, v80, v75 /*v331*/, v74 /*v330*/
	v_cvt_f32_i32_e32 v80, v80
	s_set_vgpr_msb 0                        ;  msbs: dst=0 src0=0 src1=0 src2=0
	s_delay_alu instid0(VALU_DEP_1)
	v_fma_mix_f32 v90, v87, v80, v87 op_sel:[0,0,1] op_sel_hi:[1,0,1]
	v_add_nc_u32_e32 v80, 0x1404, v97
	s_set_vgpr_msb 64                       ;  msbs: dst=1 src0=0 src1=0 src2=0
	ds_load_2addr_b32 v[54:55] /*v[310:311]*/, v80 offset1:1
	s_set_vgpr_msb 0                        ;  msbs: dst=0 src0=0 src1=0 src2=0
	v_add_nc_u32_e32 v80, 0x1414, v97
	s_set_vgpr_msb 64                       ;  msbs: dst=1 src0=0 src1=0 src2=0
	ds_load_2addr_b32 v[56:57] /*v[312:313]*/, v80 offset1:1
	s_set_vgpr_msb 0                        ;  msbs: dst=0 src0=0 src1=0 src2=0
	v_add_nc_u32_e32 v80, 0x1400, v97
	s_set_vgpr_msb 64                       ;  msbs: dst=1 src0=0 src1=0 src2=0
	ds_load_2addr_b32 v[58:59] /*v[314:315]*/, v80 offset1:3
	ds_load_2addr_b32 v[60:61] /*v[316:317]*/, v80 offset0:4 offset1:7
	s_wait_dscnt 0x3
	s_set_vgpr_msb 0x41                     ;  msbs: dst=1 src0=1 src1=0 src2=0
	v_bfe_i32 v64 /*v320*/, v54 /*v310*/, 0, 8
	v_bfe_i32 v65 /*v321*/, v54 /*v310*/, 8, 8
	;; [unrolled: 1-line block ×3, first 2 shown]
	s_set_vgpr_msb 0x44                     ;  msbs: dst=1 src0=0 src1=1 src2=0
	v_ashrrev_i32_e32 v67 /*v323*/, 24, v54 /*v310*/
	s_set_vgpr_msb 0x41                     ;  msbs: dst=1 src0=1 src1=0 src2=0
	v_bfe_i32 v72 /*v328*/, v55 /*v311*/, 0, 8
	v_bfe_i32 v73 /*v329*/, v55 /*v311*/, 8, 8
	s_wait_dscnt 0x2
	v_bfe_i32 v76 /*v332*/, v57 /*v313*/, 0, 8
	v_bfe_i32 v77 /*v333*/, v57 /*v313*/, 8, 8
	;; [unrolled: 1-line block ×3, first 2 shown]
	s_set_vgpr_msb 0x44                     ;  msbs: dst=1 src0=0 src1=1 src2=0
	v_ashrrev_i32_e32 v79 /*v335*/, 24, v57 /*v313*/
	s_set_vgpr_msb 0x41                     ;  msbs: dst=1 src0=1 src1=0 src2=0
	v_bfe_i32 v68 /*v324*/, v56 /*v312*/, 0, 8
	v_bfe_i32 v69 /*v325*/, v56 /*v312*/, 8, 8
	s_wait_dscnt 0x0
	v_bfe_i32 v62 /*v318*/, v60 /*v316*/, 8, 8
	s_set_vgpr_msb 1                        ;  msbs: dst=0 src0=1 src1=0 src2=0
	v_bfe_i32 v80, v60 /*v316*/, 0, 8
	s_set_vgpr_msb 0x41                     ;  msbs: dst=1 src0=1 src1=0 src2=0
	v_bfe_i32 v63 /*v319*/, v60 /*v316*/, 16, 8
	s_set_vgpr_msb 0x44                     ;  msbs: dst=1 src0=0 src1=1 src2=0
	v_ashrrev_i32_e32 v60 /*v316*/, 24, v60 /*v316*/
	s_set_vgpr_msb 0x45                     ;  msbs: dst=1 src0=1 src1=1 src2=0
	v_bfe_i32 v70 /*v326*/, v56 /*v312*/, 16, 8
	v_mul_i32_i24_e32 v57 /*v313*/, v13 /*v269*/, v62 /*v318*/
	v_dual_ashrrev_i32 v71 /*v327*/, 24, v56 /*v312*/ :: v_dual_ashrrev_i32 v75 /*v331*/, 24, v55 /*v311*/
	v_bfe_i32 v74 /*v330*/, v55 /*v311*/, 16, 8
	v_bfe_i32 v80 /*v336*/, v59 /*v315*/, 0, 8
	;; [unrolled: 1-line block ×4, first 2 shown]
	v_ashrrev_i32_e32 v83 /*v339*/, 24, v59 /*v315*/
	v_bfe_i32 v53 /*v309*/, v61 /*v317*/, 0, 8
	v_bfe_i32 v54 /*v310*/, v61 /*v317*/, 8, 8
	;; [unrolled: 1-line block ×3, first 2 shown]
	v_dual_ashrrev_i32 v56 /*v312*/, 24, v61 /*v317*/ :: v_dual_ashrrev_i32 v85 /*v341*/, 24, v58 /*v314*/
	v_bfe_i32 v61 /*v317*/, v58 /*v314*/, 8, 8
	v_bfe_i32 v84 /*v340*/, v58 /*v314*/, 0, 8
	;; [unrolled: 1-line block ×3, first 2 shown]
	v_mul_i32_i24_e32 v58 /*v314*/, v14 /*v270*/, v63 /*v319*/
	s_set_vgpr_msb 0x44                     ;  msbs: dst=1 src0=0 src1=1 src2=0
	v_mul_i32_i24_e32 v59 /*v315*/, v111, v60 /*v316*/
	s_set_vgpr_msb 0x51                     ;  msbs: dst=1 src0=1 src1=0 src2=1
	v_mad_i32_i24 v57 /*v313*/, v12 /*v268*/, v80, v57 /*v313*/
	s_set_vgpr_msb 0x45                     ;  msbs: dst=1 src0=1 src1=1 src2=0
	v_mul_i32_i24_e32 v88 /*v344*/, v65 /*v321*/, v15 /*v271*/
	s_set_vgpr_msb 0x41                     ;  msbs: dst=1 src0=1 src1=0 src2=0
	v_mul_i32_i24_e32 v90 /*v346*/, v67 /*v323*/, v113
	s_set_vgpr_msb 0x55                     ;  msbs: dst=1 src0=1 src1=1 src2=1
	v_mul_i32_i24_e32 v87 /*v343*/, v64 /*v320*/, v17 /*v273*/
	v_mul_i32_i24_e32 v89 /*v345*/, v66 /*v322*/, v16 /*v272*/
	v_add3_u32 v57 /*v313*/, v57 /*v313*/, v58 /*v314*/, v59 /*v315*/
	v_mul_i32_i24_e32 v91 /*v347*/, v68 /*v324*/, v20 /*v276*/
	s_set_vgpr_msb 0x41                     ;  msbs: dst=1 src0=1 src1=0 src2=0
	v_mul_i32_i24_e32 v94 /*v350*/, v71 /*v327*/, v109
	s_set_vgpr_msb 0x55                     ;  msbs: dst=1 src0=1 src1=1 src2=1
	v_mul_i32_i24_e32 v92 /*v348*/, v69 /*v325*/, v18 /*v274*/
	v_mul_i32_i24_e32 v93 /*v349*/, v70 /*v326*/, v19 /*v275*/
	v_add3_u32 v57 /*v313*/, v57 /*v313*/, v90 /*v346*/, v88 /*v344*/
	;; [unrolled: 7-line block ×5, first 2 shown]
	v_mul_i32_i24_e32 v107 /*v363*/, v53 /*v309*/, v3 /*v259*/
	v_mul_i32_i24_e32 v110 /*v366*/, v56 /*v312*/, v5 /*v261*/
	;; [unrolled: 1-line block ×3, first 2 shown]
	s_set_vgpr_msb 0x41                     ;  msbs: dst=1 src0=1 src1=0 src2=0
	v_mul_i32_i24_e32 v109 /*v365*/, v55 /*v311*/, v250
	s_set_vgpr_msb 0x55                     ;  msbs: dst=1 src0=1 src1=1 src2=1
	v_add3_u32 v57 /*v313*/, v57 /*v313*/, v98 /*v354*/, v96 /*v352*/
	s_set_vgpr_msb 4                        ;  msbs: dst=0 src0=0 src1=1 src2=0
	v_mul_i32_i24_e32 v87, v253, v84 /*v340*/
	s_set_vgpr_msb 5                        ;  msbs: dst=0 src0=1 src1=1 src2=0
	v_mul_i32_i24_e32 v89, v1 /*v257*/, v61 /*v317*/
	v_mul_i32_i24_e32 v93, v2 /*v258*/, v86 /*v342*/
	s_set_vgpr_msb 4                        ;  msbs: dst=0 src0=0 src1=1 src2=0
	v_mul_i32_i24_e32 v95, v251, v85 /*v341*/
	s_set_vgpr_msb 0x55                     ;  msbs: dst=1 src0=1 src1=1 src2=1
	v_add3_u32 v57 /*v313*/, v57 /*v313*/, v95 /*v351*/, v97 /*v353*/
	s_set_vgpr_msb 0x41                     ;  msbs: dst=1 src0=1 src1=0 src2=0
	v_mul_i32_i24_e32 v87 /*v343*/, v65 /*v321*/, v125
	v_mul_i32_i24_e32 v89 /*v345*/, v67 /*v323*/, v127
	v_mul_i32_i24_e32 v59 /*v315*/, v64 /*v320*/, v124
	v_mul_i32_i24_e32 v88 /*v344*/, v66 /*v322*/, v126
	s_set_vgpr_msb 0x55                     ;  msbs: dst=1 src0=1 src1=1 src2=1
	v_add3_u32 v57 /*v313*/, v57 /*v313*/, v102 /*v358*/, v99 /*v355*/
	s_set_vgpr_msb 0x41                     ;  msbs: dst=1 src0=1 src1=0 src2=0
	v_mul_i32_i24_e32 v90 /*v346*/, v68 /*v324*/, v128
	v_mul_i32_i24_e32 v93 /*v349*/, v71 /*v327*/, v130
	v_mul_i32_i24_e32 v91 /*v347*/, v69 /*v325*/, v129
	v_mul_i32_i24_e32 v92 /*v348*/, v70 /*v326*/, v131
	;; [unrolled: 7-line block ×7, first 2 shown]
	s_set_vgpr_msb 1                        ;  msbs: dst=0 src0=1 src1=0 src2=0
	v_add3_u32 v87, v57 /*v313*/, v87, v89
	s_set_vgpr_msb 0                        ;  msbs: dst=0 src0=0 src1=0 src2=0
	v_pk_mul_f16 v89, v108, v91
	s_set_vgpr_msb 0x41                     ;  msbs: dst=1 src0=1 src1=0 src2=0
	v_mul_i32_i24_e32 v116 /*v372*/, v56 /*v312*/, v237
	v_mul_i32_i24_e32 v114 /*v370*/, v54 /*v310*/, v236
	;; [unrolled: 1-line block ×3, first 2 shown]
	s_set_vgpr_msb 0                        ;  msbs: dst=0 src0=0 src1=0 src2=0
	v_add3_u32 v87, v87, v93, v95
	s_set_vgpr_msb 1                        ;  msbs: dst=0 src0=1 src1=0 src2=0
	v_mul_i32_i24_e32 v93, v60 /*v316*/, v123
	s_set_vgpr_msb 0x41                     ;  msbs: dst=1 src0=1 src1=0 src2=0
	v_mul_i32_i24_e32 v79 /*v335*/, v79 /*v335*/, v224
	v_mul_i32_i24_e32 v77 /*v333*/, v77 /*v333*/, v223
	;; [unrolled: 1-line block ×3, first 2 shown]
	s_set_vgpr_msb 0                        ;  msbs: dst=0 src0=0 src1=0 src2=0
	v_cvt_f32_i32_e32 v87, v87
	s_set_vgpr_msb 0x41                     ;  msbs: dst=1 src0=1 src1=0 src2=0
	v_mul_i32_i24_e32 v81 /*v337*/, v81 /*v337*/, v226
	v_mul_i32_i24_e32 v83 /*v339*/, v83 /*v339*/, v229
	v_mul_i32_i24_e32 v80 /*v336*/, v80 /*v336*/, v227
	v_mul_i32_i24_e32 v82 /*v338*/, v82 /*v338*/, v228
	s_set_vgpr_msb 0                        ;  msbs: dst=0 src0=0 src1=0 src2=0
	v_fma_mix_f32 v95, v89, v87, v89 op_sel:[0,0,1] op_sel_hi:[1,0,1]
	s_set_vgpr_msb 1                        ;  msbs: dst=0 src0=1 src1=0 src2=0
	v_mul_i32_i24_e32 v87, v62 /*v318*/, v122
	v_mul_i32_i24_e32 v89, v63 /*v319*/, v121
	s_set_vgpr_msb 0x41                     ;  msbs: dst=1 src0=1 src1=0 src2=0
	v_mul_i32_i24_e32 v57 /*v313*/, v85 /*v341*/, v117
	v_mul_i32_i24_e32 v58 /*v314*/, v61 /*v317*/, v119
	s_set_vgpr_msb 0                        ;  msbs: dst=0 src0=0 src1=0 src2=0
	v_pk_add_f32 v[16:17], v[16:17], v[94:95]
	v_mad_i32_i24 v87, v80, v120, v87
	s_set_vgpr_msb 1                        ;  msbs: dst=0 src0=1 src1=0 src2=0
	v_mul_i32_i24_e32 v95, v84 /*v340*/, v118
	v_mul_i32_i24_e32 v94, v86 /*v342*/, v116
	s_set_vgpr_msb 0                        ;  msbs: dst=0 src0=0 src1=0 src2=0
	v_add3_u32 v87, v87, v89, v93
	s_set_vgpr_msb 1                        ;  msbs: dst=0 src0=1 src1=0 src2=0
	v_mul_i32_i24_e32 v93, v84 /*v340*/, v232
	s_set_vgpr_msb 0                        ;  msbs: dst=0 src0=0 src1=0 src2=0
	v_pk_mul_f16 v89, v115, v91
	s_set_vgpr_msb 20                       ;  msbs: dst=0 src0=0 src1=1 src2=1
	v_add3_u32 v87, v87, v89 /*v345*/, v87 /*v343*/
	s_set_vgpr_msb 0x41                     ;  msbs: dst=1 src0=1 src1=0 src2=0
	v_mul_i32_i24_e32 v87 /*v343*/, v61 /*v317*/, v233
	v_mul_i32_i24_e32 v89 /*v345*/, v85 /*v341*/, v231
	s_set_vgpr_msb 20                       ;  msbs: dst=0 src0=0 src1=1 src2=1
	v_add3_u32 v87, v87, v59 /*v315*/, v88 /*v344*/
	s_set_vgpr_msb 0x41                     ;  msbs: dst=1 src0=1 src1=0 src2=0
	v_mul_i32_i24_e32 v88 /*v344*/, v86 /*v342*/, v234
	s_set_vgpr_msb 20                       ;  msbs: dst=0 src0=0 src1=1 src2=1
	s_delay_alu instid0(VALU_DEP_2)
	v_add3_u32 v87, v87, v93 /*v349*/, v90 /*v346*/
	s_set_vgpr_msb 0x41                     ;  msbs: dst=1 src0=1 src1=0 src2=0
	v_mul_i32_i24_e32 v90 /*v346*/, v62 /*v318*/, v147
	v_mul_i32_i24_e32 v93 /*v349*/, v64 /*v320*/, v149
	v_mul_i32_i24_e32 v62 /*v318*/, v62 /*v318*/, v208
	v_mul_i32_i24_e32 v64 /*v320*/, v64 /*v320*/, v210
	s_set_vgpr_msb 20                       ;  msbs: dst=0 src0=0 src1=1 src2=1
	v_add3_u32 v87, v87, v91 /*v347*/, v92 /*v348*/
	s_set_vgpr_msb 0x41                     ;  msbs: dst=1 src0=1 src1=0 src2=0
	v_mul_i32_i24_e32 v91 /*v347*/, v63 /*v319*/, v146
	v_mul_i32_i24_e32 v92 /*v348*/, v60 /*v316*/, v148
	s_set_vgpr_msb 0x50                     ;  msbs: dst=1 src0=0 src1=0 src2=1
	v_mad_i32_i24 v90 /*v346*/, v80, v145, v90 /*v346*/
	s_set_vgpr_msb 0x41                     ;  msbs: dst=1 src0=1 src1=0 src2=0
	v_mul_i32_i24_e32 v63 /*v319*/, v63 /*v319*/, v207
	s_set_vgpr_msb 20                       ;  msbs: dst=0 src0=0 src1=1 src2=1
	v_add3_u32 v87, v87, v97 /*v353*/, v95 /*v351*/
	s_set_vgpr_msb 0x41                     ;  msbs: dst=1 src0=1 src1=0 src2=0
	v_mul_i32_i24_e32 v95 /*v351*/, v66 /*v322*/, v151
	v_mul_i32_i24_e32 v97 /*v353*/, v68 /*v324*/, v153
	s_set_vgpr_msb 0x55                     ;  msbs: dst=1 src0=1 src1=1 src2=1
	v_add3_u32 v90 /*v346*/, v90 /*v346*/, v91 /*v347*/, v92 /*v348*/
	s_set_vgpr_msb 0x41                     ;  msbs: dst=1 src0=1 src1=0 src2=0
	v_mul_i32_i24_e32 v60 /*v316*/, v60 /*v316*/, v209
	s_set_vgpr_msb 20                       ;  msbs: dst=0 src0=0 src1=1 src2=1
	v_add3_u32 v87, v87, v94 /*v350*/, v96 /*v352*/
	s_set_vgpr_msb 0x41                     ;  msbs: dst=1 src0=1 src1=0 src2=0
	v_mul_i32_i24_e32 v94 /*v350*/, v65 /*v321*/, v150
	v_mul_i32_i24_e32 v96 /*v352*/, v67 /*v323*/, v152
	s_set_vgpr_msb 16                       ;  msbs: dst=0 src0=0 src1=0 src2=1
	v_mad_i32_i24 v80, v80, v206, v62 /*v318*/
	s_set_vgpr_msb 0x41                     ;  msbs: dst=1 src0=1 src1=0 src2=0
	v_mul_i32_i24_e32 v65 /*v321*/, v65 /*v321*/, v211
	s_set_vgpr_msb 20                       ;  msbs: dst=0 src0=0 src1=1 src2=1
	v_add3_u32 v87, v87, v101 /*v357*/, v98 /*v354*/
	s_set_vgpr_msb 0x41                     ;  msbs: dst=1 src0=1 src1=0 src2=0
	v_mul_i32_i24_e32 v98 /*v354*/, v69 /*v325*/, v154
	s_set_vgpr_msb 0x55                     ;  msbs: dst=1 src0=1 src1=1 src2=1
	v_add3_u32 v90 /*v346*/, v90 /*v346*/, v96 /*v352*/, v94 /*v350*/
	s_set_vgpr_msb 0x41                     ;  msbs: dst=1 src0=1 src1=0 src2=0
	v_mul_i32_i24_e32 v101 /*v357*/, v72 /*v328*/, v194
	v_mul_i32_i24_e32 v67 /*v323*/, v67 /*v323*/, v213
	s_set_vgpr_msb 20                       ;  msbs: dst=0 src0=0 src1=1 src2=1
	v_add3_u32 v87, v87, v99 /*v355*/, v100 /*v356*/
	s_set_vgpr_msb 0x41                     ;  msbs: dst=1 src0=1 src1=0 src2=0
	v_mul_i32_i24_e32 v100 /*v356*/, v71 /*v327*/, v155
	s_set_vgpr_msb 0x55                     ;  msbs: dst=1 src0=1 src1=1 src2=1
	v_add3_u32 v90 /*v346*/, v90 /*v346*/, v93 /*v349*/, v95 /*v351*/
	s_set_vgpr_msb 0x41                     ;  msbs: dst=1 src0=1 src1=0 src2=0
	v_mul_i32_i24_e32 v99 /*v355*/, v70 /*v326*/, v189
	s_set_vgpr_msb 20                       ;  msbs: dst=0 src0=0 src1=1 src2=1
	v_add3_u32 v80, v80, v63 /*v319*/, v60 /*v316*/
	v_add3_u32 v87, v87, v105 /*v361*/, v103 /*v359*/
	s_set_vgpr_msb 0x41                     ;  msbs: dst=1 src0=1 src1=0 src2=0
	v_mul_i32_i24_e32 v103 /*v359*/, v74 /*v330*/, v196
	s_set_vgpr_msb 0x55                     ;  msbs: dst=1 src0=1 src1=1 src2=1
	v_add3_u32 v90 /*v346*/, v90 /*v346*/, v100 /*v356*/, v97 /*v353*/
	s_set_vgpr_msb 0x41                     ;  msbs: dst=1 src0=1 src1=0 src2=0
	v_mul_i32_i24_e32 v105 /*v361*/, v76 /*v332*/, v197
	v_mul_i32_i24_e32 v66 /*v322*/, v66 /*v322*/, v212
	s_set_vgpr_msb 0x54                     ;  msbs: dst=1 src0=0 src1=1 src2=1
	v_add3_u32 v59 /*v315*/, v87, v102 /*v358*/, v104 /*v360*/
	s_set_vgpr_msb 0x41                     ;  msbs: dst=1 src0=1 src1=0 src2=0
	v_mul_i32_i24_e32 v102 /*v358*/, v73 /*v329*/, v193
	v_mul_i32_i24_e32 v104 /*v360*/, v75 /*v331*/, v195
	s_set_vgpr_msb 0x55                     ;  msbs: dst=1 src0=1 src1=1 src2=1
	v_add3_u32 v90 /*v346*/, v90 /*v346*/, v98 /*v354*/, v99 /*v355*/
	s_set_vgpr_msb 20                       ;  msbs: dst=0 src0=0 src1=1 src2=1
	v_add3_u32 v80, v80, v67 /*v323*/, v65 /*v321*/
	s_set_vgpr_msb 0x41                     ;  msbs: dst=1 src0=1 src1=0 src2=0
	v_mul_i32_i24_e32 v68 /*v324*/, v68 /*v324*/, v214
	v_mul_i32_i24_e32 v71 /*v327*/, v71 /*v327*/, v216
	v_mul_i32_i24_e32 v69 /*v325*/, v69 /*v325*/, v215
	s_set_vgpr_msb 0x55                     ;  msbs: dst=1 src0=1 src1=1 src2=1
	v_add3_u32 v90 /*v346*/, v90 /*v346*/, v104 /*v360*/, v102 /*v358*/
	s_set_vgpr_msb 20                       ;  msbs: dst=0 src0=0 src1=1 src2=1
	v_add3_u32 v80, v80, v64 /*v320*/, v66 /*v322*/
	s_set_vgpr_msb 0x41                     ;  msbs: dst=1 src0=1 src1=0 src2=0
	v_mul_i32_i24_e32 v70 /*v326*/, v70 /*v326*/, v217
	;; [unrolled: 8-line block ×3, first 2 shown]
	v_mul_i32_i24_e32 v74 /*v330*/, v74 /*v330*/, v221
	v_mul_i32_i24_e32 v76 /*v332*/, v76 /*v332*/, v222
	s_set_vgpr_msb 0x55                     ;  msbs: dst=1 src0=1 src1=1 src2=1
	v_add3_u32 v90 /*v346*/, v90 /*v346*/, v108 /*v364*/, v105 /*v361*/
	s_set_vgpr_msb 20                       ;  msbs: dst=0 src0=0 src1=1 src2=1
	v_add3_u32 v80, v80, v69 /*v325*/, v70 /*v326*/
	v_cvt_f32_f16_e32 v87, v89
	s_set_vgpr_msb 0                        ;  msbs: dst=0 src0=0 src1=0 src2=0
	v_lshrrev_b32_e32 v89, 16, v89
	s_set_vgpr_msb 0x55                     ;  msbs: dst=1 src0=1 src1=1 src2=1
	v_add3_u32 v90 /*v346*/, v90 /*v346*/, v106 /*v362*/, v107 /*v363*/
	s_set_vgpr_msb 20                       ;  msbs: dst=0 src0=0 src1=1 src2=1
	v_add3_u32 v80, v80, v75 /*v331*/, v73 /*v329*/
	s_set_vgpr_msb 0x55                     ;  msbs: dst=1 src0=1 src1=1 src2=1
	s_delay_alu instid0(VALU_DEP_2) | instskip(SKIP_1) | instid1(VALU_DEP_2)
	v_add3_u32 v90 /*v346*/, v90 /*v346*/, v112 /*v368*/, v110 /*v366*/
	s_set_vgpr_msb 20                       ;  msbs: dst=0 src0=0 src1=1 src2=1
	v_add3_u32 v80, v80, v72 /*v328*/, v74 /*v330*/
	s_set_vgpr_msb 0x55                     ;  msbs: dst=1 src0=1 src1=1 src2=1
	s_delay_alu instid0(VALU_DEP_2) | instskip(SKIP_1) | instid1(VALU_DEP_2)
	;; [unrolled: 5-line block ×4, first 2 shown]
	v_add3_u32 v90 /*v346*/, v90 /*v346*/, v114 /*v370*/, v115 /*v371*/
	s_set_vgpr_msb 20                       ;  msbs: dst=0 src0=0 src1=1 src2=1
	v_add3_u32 v80, v80, v83 /*v339*/, v81 /*v337*/
	s_set_vgpr_msb 17                       ;  msbs: dst=0 src0=1 src1=0 src2=1
	s_delay_alu instid0(VALU_DEP_2)
	v_add3_u32 v93, v90 /*v346*/, v93, v87 /*v343*/
	s_set_vgpr_msb 64                       ;  msbs: dst=1 src0=0 src1=0 src2=0
	v_pk_mul_f16 v87 /*v343*/, v144, v91
	s_set_vgpr_msb 20                       ;  msbs: dst=0 src0=0 src1=1 src2=1
	v_add3_u32 v80, v80, v80 /*v336*/, v82 /*v338*/
	s_set_vgpr_msb 0                        ;  msbs: dst=0 src0=0 src1=0 src2=0
	v_pk_mul_f16 v91, v205, v91
	s_set_vgpr_msb 20                       ;  msbs: dst=0 src0=0 src1=1 src2=1
	v_add3_u32 v93, v93, v88 /*v344*/, v89 /*v345*/
	s_set_vgpr_msb 0x41                     ;  msbs: dst=1 src0=1 src1=0 src2=0
	v_mul_i32_i24_e32 v88 /*v344*/, v56 /*v312*/, v245
	s_set_vgpr_msb 0                        ;  msbs: dst=0 src0=0 src1=0 src2=0
	s_delay_alu instid0(VALU_DEP_2) | instskip(SKIP_1) | instid1(VALU_DEP_1)
	v_cvt_f32_i32_e32 v93, v93
	s_set_vgpr_msb 17                       ;  msbs: dst=0 src0=1 src1=0 src2=1
	v_fma_mix_f32 v93, v87 /*v343*/, v93, v87 /*v343*/ op_sel:[0,0,1] op_sel_hi:[1,0,1]
	s_set_vgpr_msb 0x41                     ;  msbs: dst=1 src0=1 src1=0 src2=0
	v_mul_i32_i24_e32 v87 /*v343*/, v55 /*v311*/, v238
	s_set_vgpr_msb 0                        ;  msbs: dst=0 src0=0 src1=0 src2=0
	s_delay_alu instid0(VALU_DEP_2)
	v_pk_add_f32 v[12:13], v[12:13], v[92:93]
	s_set_vgpr_msb 1                        ;  msbs: dst=0 src0=1 src1=0 src2=0
	v_mul_i32_i24_e32 v92, v84 /*v340*/, v240
	s_set_vgpr_msb 0x41                     ;  msbs: dst=1 src0=1 src1=0 src2=0
	v_mul_i32_i24_e32 v84 /*v340*/, v85 /*v341*/, v239
	v_mul_i32_i24_e32 v85 /*v341*/, v53 /*v309*/, v243
	s_set_vgpr_msb 1                        ;  msbs: dst=0 src0=1 src1=0 src2=0
	v_mul_i32_i24_e32 v93, v61 /*v317*/, v241
	s_set_vgpr_msb 0x41                     ;  msbs: dst=1 src0=1 src1=0 src2=0
	v_mul_i32_i24_e32 v61 /*v317*/, v86 /*v342*/, v242
	v_mul_i32_i24_e32 v86 /*v342*/, v54 /*v310*/, v244
	s_set_vgpr_msb 20                       ;  msbs: dst=0 src0=0 src1=1 src2=1
	v_add3_u32 v80, v80, v88 /*v344*/, v85 /*v341*/
	s_delay_alu instid0(VALU_DEP_1) | instskip(SKIP_1) | instid1(VALU_DEP_1)
	v_add3_u32 v80, v80, v86 /*v342*/, v87 /*v343*/
	s_set_vgpr_msb 0                        ;  msbs: dst=0 src0=0 src1=0 src2=0
	v_add3_u32 v80, v80, v92, v93
	s_set_vgpr_msb 20                       ;  msbs: dst=0 src0=0 src1=1 src2=1
	s_delay_alu instid0(VALU_DEP_1) | instskip(NEXT) | instid1(VALU_DEP_1)
	v_add3_u32 v80, v80, v61 /*v317*/, v84 /*v340*/
	v_cvt_f32_i32_e32 v80, v80
	s_set_vgpr_msb 0                        ;  msbs: dst=0 src0=0 src1=0 src2=0
	s_delay_alu instid0(VALU_DEP_1) | instskip(SKIP_1) | instid1(VALU_DEP_2)
	v_fma_mix_f32 v91, v91, v80, v91 op_sel:[0,0,1] op_sel_hi:[1,0,1]
	v_add_nc_u32_e32 v80, 0x1800, v97
	v_pk_add_f32 v[10:11], v[10:11], v[90:91]
	v_add_nc_u32_e32 v90, 0x1804, v97
	s_set_vgpr_msb 64                       ;  msbs: dst=1 src0=0 src1=0 src2=0
	ds_load_2addr_b32 v[62:63] /*v[318:319]*/, v80 offset0:4 offset1:7
	ds_load_2addr_b32 v[64:65] /*v[320:321]*/, v90 offset1:1
	s_set_vgpr_msb 0                        ;  msbs: dst=0 src0=0 src1=0 src2=0
	v_add_nc_u32_e32 v90, 0x1814, v97
	s_set_vgpr_msb 64                       ;  msbs: dst=1 src0=0 src1=0 src2=0
	ds_load_2addr_b32 v[66:67] /*v[322:323]*/, v90 offset1:1
	ds_load_2addr_b32 v[68:69] /*v[324:325]*/, v80 offset1:3
	s_set_vgpr_msb 0                        ;  msbs: dst=0 src0=0 src1=0 src2=0
	ds_load_2addr_b32 v[90:91], v96 offset0:192 offset1:224
	v_add_nc_u32_e32 v96, 4, v96
	s_wait_dscnt 0x4
	s_set_vgpr_msb 0x41                     ;  msbs: dst=1 src0=1 src1=0 src2=0
	v_bfe_i32 v70 /*v326*/, v62 /*v318*/, 8, 8
	v_bfe_i32 v71 /*v327*/, v62 /*v318*/, 16, 8
	s_set_vgpr_msb 0x44                     ;  msbs: dst=1 src0=0 src1=1 src2=0
	v_ashrrev_i32_e32 v72 /*v328*/, 24, v62 /*v318*/
	s_set_vgpr_msb 0x45                     ;  msbs: dst=1 src0=1 src1=1 src2=0
	v_bfe_i32 v88 /*v344*/, v63 /*v319*/, 0, 8
	s_wait_dscnt 0x3
	v_bfe_i32 v73 /*v329*/, v64 /*v320*/, 0, 8
	v_mul_i32_i24_e32 v93 /*v349*/, v13 /*v269*/, v70 /*v326*/
	v_bfe_i32 v74 /*v330*/, v64 /*v320*/, 8, 8
	v_bfe_i32 v75 /*v331*/, v64 /*v320*/, 16, 8
	v_ashrrev_i32_e32 v64 /*v320*/, 24, v64 /*v320*/
	s_wait_dscnt 0x1
	v_bfe_i32 v61 /*v317*/, v68 /*v324*/, 0, 8
	v_bfe_i32 v60 /*v316*/, v68 /*v324*/, 8, 8
	s_set_vgpr_msb 1                        ;  msbs: dst=0 src0=1 src1=0 src2=0
	v_bfe_i32 v93, v68 /*v324*/, 16, 8
	s_set_vgpr_msb 4                        ;  msbs: dst=0 src0=0 src1=1 src2=0
	v_ashrrev_i32_e32 v92, 24, v68 /*v324*/
	s_set_vgpr_msb 0x45                     ;  msbs: dst=1 src0=1 src1=1 src2=0
	v_bfe_i32 v68 /*v324*/, v62 /*v318*/, 0, 8
	v_mul_i32_i24_e32 v94 /*v350*/, v14 /*v270*/, v71 /*v327*/
	s_set_vgpr_msb 0x44                     ;  msbs: dst=1 src0=0 src1=1 src2=0
	v_mul_i32_i24_e32 v95 /*v351*/, v111, v72 /*v328*/
	s_set_vgpr_msb 0x45                     ;  msbs: dst=1 src0=1 src1=1 src2=0
	v_mul_i32_i24_e32 v97 /*v353*/, v74 /*v330*/, v15 /*v271*/
	s_set_vgpr_msb 0x41                     ;  msbs: dst=1 src0=1 src1=0 src2=0
	v_mul_i32_i24_e32 v99 /*v355*/, v64 /*v320*/, v113
	s_set_vgpr_msb 0x55                     ;  msbs: dst=1 src0=1 src1=1 src2=1
	v_mad_i32_i24 v93 /*v349*/, v12 /*v268*/, v68 /*v324*/, v93 /*v349*/
	v_bfe_i32 v76 /*v332*/, v66 /*v322*/, 0, 8
	v_bfe_i32 v77 /*v333*/, v66 /*v322*/, 8, 8
	;; [unrolled: 1-line block ×3, first 2 shown]
	v_ashrrev_i32_e32 v66 /*v322*/, 24, v66 /*v322*/
	v_add3_u32 v93 /*v349*/, v93 /*v349*/, v94 /*v350*/, v95 /*v351*/
	v_mul_i32_i24_e32 v96 /*v352*/, v73 /*v329*/, v17 /*v273*/
	v_mul_i32_i24_e32 v98 /*v354*/, v75 /*v331*/, v16 /*v272*/
	v_bfe_i32 v79 /*v335*/, v65 /*v321*/, 0, 8
	v_bfe_i32 v80 /*v336*/, v65 /*v321*/, 8, 8
	v_add3_u32 v93 /*v349*/, v93 /*v349*/, v99 /*v355*/, v97 /*v353*/
	v_bfe_i32 v81 /*v337*/, v65 /*v321*/, 16, 8
	v_ashrrev_i32_e32 v65 /*v321*/, 24, v65 /*v321*/
	v_mul_i32_i24_e32 v100 /*v356*/, v76 /*v332*/, v20 /*v276*/
	s_set_vgpr_msb 0x41                     ;  msbs: dst=1 src0=1 src1=0 src2=0
	v_mul_i32_i24_e32 v103 /*v359*/, v66 /*v322*/, v109
	s_set_vgpr_msb 0x55                     ;  msbs: dst=1 src0=1 src1=1 src2=1
	v_add3_u32 v93 /*v349*/, v93 /*v349*/, v96 /*v352*/, v98 /*v354*/
	v_mul_i32_i24_e32 v101 /*v357*/, v77 /*v333*/, v18 /*v274*/
	v_mul_i32_i24_e32 v102 /*v358*/, v78 /*v334*/, v19 /*v275*/
	;; [unrolled: 1-line block ×3, first 2 shown]
	s_set_vgpr_msb 0x41                     ;  msbs: dst=1 src0=1 src1=0 src2=0
	v_mul_i32_i24_e32 v107 /*v363*/, v65 /*v321*/, v114
	s_set_vgpr_msb 0x55                     ;  msbs: dst=1 src0=1 src1=1 src2=1
	v_add3_u32 v93 /*v349*/, v93 /*v349*/, v103 /*v359*/, v100 /*v356*/
	v_bfe_i32 v82 /*v338*/, v67 /*v323*/, 0, 8
	v_bfe_i32 v83 /*v339*/, v67 /*v323*/, 8, 8
	v_bfe_i32 v84 /*v340*/, v67 /*v323*/, 16, 8
	v_ashrrev_i32_e32 v67 /*v323*/, 24, v67 /*v323*/
	v_add3_u32 v93 /*v349*/, v93 /*v349*/, v101 /*v357*/, v102 /*v358*/
	v_mul_i32_i24_e32 v104 /*v360*/, v79 /*v335*/, v23 /*v279*/
	v_mul_i32_i24_e32 v106 /*v362*/, v81 /*v337*/, v22 /*v278*/
	v_bfe_i32 v85 /*v341*/, v69 /*v325*/, 0, 8
	v_bfe_i32 v86 /*v342*/, v69 /*v325*/, 8, 8
	v_add3_u32 v93 /*v349*/, v93 /*v349*/, v107 /*v363*/, v105 /*v361*/
	v_bfe_i32 v87 /*v343*/, v69 /*v325*/, 16, 8
	v_ashrrev_i32_e32 v69 /*v325*/, 24, v69 /*v325*/
	v_mul_i32_i24_e32 v108 /*v364*/, v82 /*v338*/, v30 /*v286*/
	s_set_vgpr_msb 0x41                     ;  msbs: dst=1 src0=1 src1=0 src2=0
	v_mul_i32_i24_e32 v111 /*v367*/, v67 /*v323*/, v110
	s_set_vgpr_msb 0x55                     ;  msbs: dst=1 src0=1 src1=1 src2=1
	v_add3_u32 v93 /*v349*/, v93 /*v349*/, v104 /*v360*/, v106 /*v362*/
	v_mul_i32_i24_e32 v109 /*v365*/, v83 /*v339*/, v25 /*v281*/
	v_mul_i32_i24_e32 v110 /*v366*/, v84 /*v340*/, v26 /*v282*/
	;; [unrolled: 1-line block ×3, first 2 shown]
	s_set_vgpr_msb 0x41                     ;  msbs: dst=1 src0=1 src1=0 src2=0
	v_mul_i32_i24_e32 v115 /*v371*/, v69 /*v325*/, v112
	s_set_vgpr_msb 0x55                     ;  msbs: dst=1 src0=1 src1=1 src2=1
	v_add3_u32 v93 /*v349*/, v93 /*v349*/, v111 /*v367*/, v108 /*v364*/
	v_bfe_i32 v89 /*v345*/, v63 /*v319*/, 8, 8
	v_bfe_i32 v62 /*v318*/, v63 /*v319*/, 16, 8
	v_ashrrev_i32_e32 v63 /*v319*/, 24, v63 /*v319*/
	v_mul_i32_i24_e32 v112 /*v368*/, v85 /*v341*/, v33 /*v289*/
	v_add3_u32 v93 /*v349*/, v93 /*v349*/, v109 /*v365*/, v110 /*v366*/
	v_mul_i32_i24_e32 v114 /*v370*/, v87 /*v343*/, v32 /*v288*/
	v_mul_i32_i24_e32 v116 /*v372*/, v88 /*v344*/, v3 /*v259*/
	;; [unrolled: 1-line block ×4, first 2 shown]
	v_add3_u32 v93 /*v349*/, v93 /*v349*/, v115 /*v371*/, v113 /*v369*/
	s_set_vgpr_msb 0x41                     ;  msbs: dst=1 src0=1 src1=0 src2=0
	v_mul_i32_i24_e32 v118 /*v374*/, v62 /*v318*/, v250
	s_set_vgpr_msb 4                        ;  msbs: dst=0 src0=0 src1=1 src2=0
	v_mul_i32_i24_e32 v80, v253, v61 /*v317*/
	s_set_vgpr_msb 0x45                     ;  msbs: dst=1 src0=1 src1=1 src2=0
	v_mul_i32_i24_e32 v90 /*v346*/, v1 /*v257*/, v60 /*v316*/
	s_set_vgpr_msb 0x41                     ;  msbs: dst=1 src0=1 src1=0 src2=0
	v_mul_i32_i24_e32 v91 /*v347*/, v2 /*v258*/, v93
	s_set_vgpr_msb 0x55                     ;  msbs: dst=1 src0=1 src1=1 src2=1
	v_add3_u32 v93 /*v349*/, v93 /*v349*/, v112 /*v368*/, v114 /*v370*/
	s_set_vgpr_msb 64                       ;  msbs: dst=1 src0=0 src1=0 src2=0
	v_mul_i32_i24_e32 v92 /*v348*/, v251, v92
	s_set_vgpr_msb 0x41                     ;  msbs: dst=1 src0=1 src1=0 src2=0
	v_mul_i32_i24_e32 v94 /*v350*/, v74 /*v330*/, v125
	v_mul_i32_i24_e32 v96 /*v352*/, v64 /*v320*/, v127
	;; [unrolled: 1-line block ×3, first 2 shown]
	s_set_vgpr_msb 0x55                     ;  msbs: dst=1 src0=1 src1=1 src2=1
	v_add3_u32 v93 /*v349*/, v93 /*v349*/, v119 /*v375*/, v116 /*v372*/
	s_set_vgpr_msb 0x41                     ;  msbs: dst=1 src0=1 src1=0 src2=0
	v_mul_i32_i24_e32 v97 /*v353*/, v76 /*v332*/, v128
	v_mul_i32_i24_e32 v100 /*v356*/, v66 /*v322*/, v130
	;; [unrolled: 1-line block ×4, first 2 shown]
	s_set_vgpr_msb 0x55                     ;  msbs: dst=1 src0=1 src1=1 src2=1
	v_add3_u32 v93 /*v349*/, v93 /*v349*/, v117 /*v373*/, v118 /*v374*/
	s_set_vgpr_msb 0x41                     ;  msbs: dst=1 src0=1 src1=0 src2=0
	v_mul_i32_i24_e32 v102 /*v358*/, v80 /*v336*/, v132
	v_mul_i32_i24_e32 v104 /*v360*/, v65 /*v321*/, v134
	;; [unrolled: 1-line block ×4, first 2 shown]
	s_set_vgpr_msb 17                       ;  msbs: dst=0 src0=1 src1=0 src2=1
	v_add3_u32 v80, v93 /*v349*/, v80, v90 /*v346*/
	s_wait_dscnt 0x0
	s_set_vgpr_msb 64                       ;  msbs: dst=1 src0=0 src1=0 src2=0
	v_pk_mul_f16 v90 /*v346*/, v108, v90
	s_set_vgpr_msb 0x41                     ;  msbs: dst=1 src0=1 src1=0 src2=0
	v_mul_i32_i24_e32 v93 /*v349*/, v73 /*v329*/, v124
	v_mul_i32_i24_e32 v105 /*v361*/, v82 /*v338*/, v136
	;; [unrolled: 1-line block ×3, first 2 shown]
	s_set_vgpr_msb 20                       ;  msbs: dst=0 src0=0 src1=1 src2=1
	v_add3_u32 v80, v80, v91 /*v347*/, v92 /*v348*/
	s_set_vgpr_msb 0x41                     ;  msbs: dst=1 src0=1 src1=0 src2=0
	v_mul_i32_i24_e32 v91 /*v347*/, v71 /*v327*/, v121
	v_mul_i32_i24_e32 v92 /*v348*/, v72 /*v328*/, v123
	;; [unrolled: 1-line block ×4, first 2 shown]
	s_set_vgpr_msb 0                        ;  msbs: dst=0 src0=0 src1=0 src2=0
	v_cvt_f32_i32_e32 v80, v80
	s_set_vgpr_msb 0x41                     ;  msbs: dst=1 src0=1 src1=0 src2=0
	v_mul_i32_i24_e32 v110 /*v366*/, v86 /*v342*/, v140
	v_mul_i32_i24_e32 v112 /*v368*/, v69 /*v325*/, v143
	;; [unrolled: 1-line block ×4, first 2 shown]
	s_set_vgpr_msb 17                       ;  msbs: dst=0 src0=1 src1=0 src2=1
	v_fma_mix_f32 v80, v90 /*v346*/, v80, v90 /*v346*/ op_sel:[0,0,1] op_sel_hi:[1,0,1]
	s_set_vgpr_msb 0x51                     ;  msbs: dst=1 src0=1 src1=0 src2=1
	v_mul_i32_i24_e32 v90 /*v346*/, v70 /*v326*/, v122
	v_mul_i32_i24_e32 v114 /*v370*/, v69 /*v325*/, v204
	;; [unrolled: 1-line block ×5, first 2 shown]
	v_mad_i32_i24 v90 /*v346*/, v68 /*v324*/, v120, v90 /*v346*/
	s_set_vgpr_msb 0                        ;  msbs: dst=0 src0=0 src1=0 src2=0
	v_pk_mul_f16 v108, v108, v91
	s_set_vgpr_msb 0x41                     ;  msbs: dst=1 src0=1 src1=0 src2=0
	v_mul_i32_i24_e32 v115 /*v371*/, v88 /*v344*/, v235
	v_mul_i32_i24_e32 v116 /*v372*/, v89 /*v345*/, v236
	s_set_vgpr_msb 0x55                     ;  msbs: dst=1 src0=1 src1=1 src2=1
	v_add3_u32 v90 /*v346*/, v90 /*v346*/, v91 /*v347*/, v92 /*v348*/
	s_set_vgpr_msb 0x41                     ;  msbs: dst=1 src0=1 src1=0 src2=0
	v_mul_i32_i24_e32 v92 /*v348*/, v70 /*v326*/, v147
	v_mul_i32_i24_e32 v70 /*v326*/, v70 /*v326*/, v208
	s_set_vgpr_msb 64                       ;  msbs: dst=1 src0=0 src1=0 src2=0
	v_pk_mul_f16 v91 /*v347*/, v115, v90
	s_set_vgpr_msb 0x55                     ;  msbs: dst=1 src0=1 src1=1 src2=1
	v_add3_u32 v90 /*v346*/, v90 /*v346*/, v96 /*v352*/, v94 /*v350*/
	s_set_vgpr_msb 0x51                     ;  msbs: dst=1 src0=1 src1=0 src2=1
	v_mul_i32_i24_e32 v94 /*v350*/, v72 /*v328*/, v148
	v_mad_i32_i24 v92 /*v348*/, v68 /*v324*/, v145, v92 /*v348*/
	v_mul_i32_i24_e32 v72 /*v328*/, v72 /*v328*/, v209
	v_mad_i32_i24 v68 /*v324*/, v68 /*v324*/, v206, v70 /*v326*/
	s_set_vgpr_msb 0x55                     ;  msbs: dst=1 src0=1 src1=1 src2=1
	v_add3_u32 v90 /*v346*/, v90 /*v346*/, v93 /*v349*/, v95 /*v351*/
	s_set_vgpr_msb 0x41                     ;  msbs: dst=1 src0=1 src1=0 src2=0
	v_mul_i32_i24_e32 v93 /*v349*/, v71 /*v327*/, v146
	v_mul_i32_i24_e32 v71 /*v327*/, v71 /*v327*/, v207
	;; [unrolled: 1-line block ×4, first 2 shown]
	s_set_vgpr_msb 0x55                     ;  msbs: dst=1 src0=1 src1=1 src2=1
	v_add3_u32 v90 /*v346*/, v90 /*v346*/, v100 /*v356*/, v97 /*v353*/
	s_set_vgpr_msb 0x41                     ;  msbs: dst=1 src0=1 src1=0 src2=0
	v_mul_i32_i24_e32 v95 /*v351*/, v73 /*v329*/, v149
	s_set_vgpr_msb 0x55                     ;  msbs: dst=1 src0=1 src1=1 src2=1
	v_add3_u32 v68 /*v324*/, v68 /*v324*/, v71 /*v327*/, v72 /*v328*/
	s_set_vgpr_msb 0x41                     ;  msbs: dst=1 src0=1 src1=0 src2=0
	v_mul_i32_i24_e32 v97 /*v353*/, v75 /*v331*/, v151
	v_mul_i32_i24_e32 v73 /*v329*/, v73 /*v329*/, v210
	s_set_vgpr_msb 0x55                     ;  msbs: dst=1 src0=1 src1=1 src2=1
	v_add3_u32 v90 /*v346*/, v90 /*v346*/, v98 /*v354*/, v99 /*v355*/
	s_set_vgpr_msb 0x41                     ;  msbs: dst=1 src0=1 src1=0 src2=0
	v_mul_i32_i24_e32 v98 /*v354*/, v64 /*v320*/, v152
	v_mul_i32_i24_e32 v64 /*v320*/, v64 /*v320*/, v213
	;; [unrolled: 1-line block ×4, first 2 shown]
	s_set_vgpr_msb 0x55                     ;  msbs: dst=1 src0=1 src1=1 src2=1
	v_add3_u32 v90 /*v346*/, v90 /*v346*/, v104 /*v360*/, v102 /*v358*/
	s_set_vgpr_msb 0x41                     ;  msbs: dst=1 src0=1 src1=0 src2=0
	v_mul_i32_i24_e32 v102 /*v358*/, v66 /*v322*/, v155
	s_set_vgpr_msb 0x55                     ;  msbs: dst=1 src0=1 src1=1 src2=1
	v_add3_u32 v64 /*v320*/, v68 /*v324*/, v64 /*v320*/, v74 /*v330*/
	s_set_vgpr_msb 0x41                     ;  msbs: dst=1 src0=1 src1=0 src2=0
	v_mul_i32_i24_e32 v76 /*v332*/, v76 /*v332*/, v214
	v_mul_i32_i24_e32 v66 /*v322*/, v66 /*v322*/, v216
	s_set_vgpr_msb 0x55                     ;  msbs: dst=1 src0=1 src1=1 src2=1
	v_add3_u32 v90 /*v346*/, v90 /*v346*/, v101 /*v357*/, v103 /*v359*/
	s_set_vgpr_msb 0x41                     ;  msbs: dst=1 src0=1 src1=0 src2=0
	v_mul_i32_i24_e32 v100 /*v356*/, v77 /*v333*/, v154
	s_set_vgpr_msb 0x55                     ;  msbs: dst=1 src0=1 src1=1 src2=1
	v_add3_u32 v64 /*v320*/, v64 /*v320*/, v73 /*v329*/, v75 /*v331*/
	s_set_vgpr_msb 0x41                     ;  msbs: dst=1 src0=1 src1=0 src2=0
	v_mul_i32_i24_e32 v101 /*v357*/, v78 /*v334*/, v189
	v_mul_i32_i24_e32 v77 /*v333*/, v77 /*v333*/, v215
	;; [unrolled: 9-line block ×3, first 2 shown]
	s_set_vgpr_msb 0x55                     ;  msbs: dst=1 src0=1 src1=1 src2=1
	v_add3_u32 v90 /*v346*/, v90 /*v346*/, v106 /*v362*/, v107 /*v363*/
	s_set_vgpr_msb 0x41                     ;  msbs: dst=1 src0=1 src1=0 src2=0
	v_mul_i32_i24_e32 v106 /*v362*/, v65 /*v321*/, v195
	v_mul_i32_i24_e32 v65 /*v321*/, v65 /*v321*/, v220
	s_set_vgpr_msb 0x55                     ;  msbs: dst=1 src0=1 src1=1 src2=1
	v_add3_u32 v64 /*v320*/, v64 /*v320*/, v77 /*v333*/, v78 /*v334*/
	s_set_vgpr_msb 0x41                     ;  msbs: dst=1 src0=1 src1=0 src2=0
	v_mul_i32_i24_e32 v103 /*v359*/, v79 /*v335*/, v194
	v_mul_i32_i24_e32 v105 /*v361*/, v81 /*v337*/, v196
	v_mul_i32_i24_e32 v79 /*v335*/, v79 /*v335*/, v219
	v_mul_i32_i24_e32 v81 /*v337*/, v81 /*v337*/, v221
	s_set_vgpr_msb 0x55                     ;  msbs: dst=1 src0=1 src1=1 src2=1
	v_add3_u32 v64 /*v320*/, v64 /*v320*/, v65 /*v321*/, v80 /*v336*/
	v_add3_u32 v90 /*v346*/, v90 /*v346*/, v112 /*v368*/, v110 /*v366*/
	s_set_vgpr_msb 0x41                     ;  msbs: dst=1 src0=1 src1=0 src2=0
	v_mul_i32_i24_e32 v107 /*v363*/, v82 /*v338*/, v197
	v_mul_i32_i24_e32 v110 /*v366*/, v67 /*v323*/, v199
	v_mul_i32_i24_e32 v82 /*v338*/, v82 /*v338*/, v222
	v_mul_i32_i24_e32 v67 /*v323*/, v67 /*v323*/, v224
	s_set_vgpr_msb 0x55                     ;  msbs: dst=1 src0=1 src1=1 src2=1
	v_add3_u32 v64 /*v320*/, v64 /*v320*/, v79 /*v335*/, v81 /*v337*/
	;; [unrolled: 8-line block ×3, first 2 shown]
	s_set_vgpr_msb 0x41                     ;  msbs: dst=1 src0=1 src1=0 src2=0
	v_mul_i32_i24_e32 v112 /*v368*/, v86 /*v342*/, v201
	v_mul_i32_i24_e32 v86 /*v342*/, v86 /*v342*/, v226
	;; [unrolled: 1-line block ×3, first 2 shown]
	s_set_vgpr_msb 0x55                     ;  msbs: dst=1 src0=1 src1=1 src2=1
	v_add3_u32 v92 /*v348*/, v92 /*v348*/, v93 /*v349*/, v94 /*v350*/
	v_add3_u32 v64 /*v320*/, v64 /*v320*/, v83 /*v339*/, v84 /*v340*/
	s_set_vgpr_msb 0x41                     ;  msbs: dst=1 src0=1 src1=0 src2=0
	v_mul_i32_i24_e32 v85 /*v341*/, v85 /*v341*/, v227
	v_mul_i32_i24_e32 v94 /*v350*/, v88 /*v344*/, v243
	v_add_nc_u32_e32 v66 /*v322*/, 0x1c14, v97
	s_set_vgpr_msb 0x55                     ;  msbs: dst=1 src0=1 src1=1 src2=1
	v_add3_u32 v92 /*v348*/, v92 /*v348*/, v98 /*v354*/, v96 /*v352*/
	v_add3_u32 v64 /*v320*/, v64 /*v320*/, v69 /*v325*/, v86 /*v342*/
	s_set_vgpr_msb 0x41                     ;  msbs: dst=1 src0=1 src1=0 src2=0
	v_mul_i32_i24_e32 v96 /*v352*/, v63 /*v319*/, v245
	v_add_nc_u32_e32 v70 /*v326*/, 0x1c00, v97
	ds_load_2addr_b32 v[66:67] /*v[322:323]*/, v66 /*v322*/ offset1:1
	s_set_vgpr_msb 0x55                     ;  msbs: dst=1 src0=1 src1=1 src2=1
	v_add3_u32 v92 /*v348*/, v92 /*v348*/, v95 /*v351*/, v97 /*v353*/
	v_add3_u32 v64 /*v320*/, v64 /*v320*/, v85 /*v341*/, v87 /*v343*/
	s_set_vgpr_msb 64                       ;  msbs: dst=1 src0=0 src1=0 src2=0
	v_pk_mul_f16 v93 /*v349*/, v144, v90
	s_set_vgpr_msb 0x41                     ;  msbs: dst=1 src0=1 src1=0 src2=0
	v_mul_i32_i24_e32 v95 /*v351*/, v89 /*v345*/, v244
	s_set_vgpr_msb 0                        ;  msbs: dst=0 src0=0 src1=0 src2=0
	v_pk_mul_f16 v90, v205, v90
	s_set_vgpr_msb 0x55                     ;  msbs: dst=1 src0=1 src1=1 src2=1
	v_add3_u32 v92 /*v348*/, v92 /*v348*/, v102 /*v358*/, v99 /*v355*/
	v_add3_u32 v72 /*v328*/, v64 /*v320*/, v96 /*v352*/, v94 /*v350*/
	s_set_vgpr_msb 64                       ;  msbs: dst=1 src0=0 src1=0 src2=0
	v_add_nc_u32_e32 v64 /*v320*/, 0x1c04, v97
	s_set_vgpr_msb 0                        ;  msbs: dst=0 src0=0 src1=0 src2=0
	v_add_nc_u32_e32 v97, 32, v97
	s_set_vgpr_msb 0x55                     ;  msbs: dst=1 src0=1 src1=1 src2=1
	v_add3_u32 v92 /*v348*/, v92 /*v348*/, v100 /*v356*/, v101 /*v357*/
	ds_load_2addr_b32 v[64:65] /*v[320:321]*/, v64 /*v320*/ offset1:1
	ds_load_2addr_b32 v[68:69] /*v[324:325]*/, v70 /*v326*/ offset1:3
	ds_load_2addr_b32 v[70:71] /*v[326:327]*/, v70 /*v326*/ offset0:4 offset1:7
	v_add3_u32 v92 /*v348*/, v92 /*v348*/, v106 /*v362*/, v104 /*v360*/
	s_wait_dscnt 0x3
	v_bfe_i32 v79 /*v335*/, v66 /*v322*/, 0, 8
	v_bfe_i32 v80 /*v336*/, v66 /*v322*/, 8, 8
	;; [unrolled: 1-line block ×3, first 2 shown]
	v_ashrrev_i32_e32 v66 /*v322*/, 24, v66 /*v322*/
	v_bfe_i32 v85 /*v341*/, v67 /*v323*/, 0, 8
	v_mul_i32_i24_e32 v20 /*v276*/, v79 /*v335*/, v20 /*v276*/
	v_mul_i32_i24_e32 v18 /*v274*/, v80 /*v336*/, v18 /*v274*/
	;; [unrolled: 1-line block ×3, first 2 shown]
	s_set_vgpr_msb 1                        ;  msbs: dst=0 src0=1 src1=0 src2=0
	v_mul_i32_i24_e32 v109, v66 /*v322*/, v109
	s_set_vgpr_msb 0x41                     ;  msbs: dst=1 src0=1 src1=0 src2=0
	v_bfe_i32 v86 /*v342*/, v67 /*v323*/, 8, 8
	v_bfe_i32 v87 /*v343*/, v67 /*v323*/, 16, 8
	s_set_vgpr_msb 0x45                     ;  msbs: dst=1 src0=1 src1=1 src2=0
	v_ashrrev_i32_e32 v67 /*v323*/, 24, v67 /*v323*/
	v_mul_i32_i24_e32 v30 /*v286*/, v85 /*v341*/, v30 /*v286*/
	s_wait_dscnt 0x2
	v_bfe_i32 v76 /*v332*/, v64 /*v320*/, 0, 8
	s_wait_dscnt 0x0
	v_bfe_i32 v74 /*v330*/, v70 /*v326*/, 8, 8
	v_bfe_i32 v73 /*v329*/, v70 /*v326*/, 0, 8
	;; [unrolled: 1-line block ×3, first 2 shown]
	v_ashrrev_i32_e32 v70 /*v326*/, 24, v70 /*v326*/
	v_bfe_i32 v77 /*v333*/, v64 /*v320*/, 8, 8
	v_mul_i32_i24_e32 v13 /*v269*/, v13 /*v269*/, v74 /*v330*/
	v_bfe_i32 v78 /*v334*/, v64 /*v320*/, 16, 8
	v_ashrrev_i32_e32 v64 /*v320*/, 24, v64 /*v320*/
	v_mul_i32_i24_e32 v14 /*v270*/, v14 /*v270*/, v75 /*v331*/
	s_set_vgpr_msb 4                        ;  msbs: dst=0 src0=0 src1=1 src2=0
	v_mul_i32_i24_e32 v111, v111, v70 /*v326*/
	s_set_vgpr_msb 0x55                     ;  msbs: dst=1 src0=1 src1=1 src2=1
	v_mad_i32_i24 v12 /*v268*/, v12 /*v268*/, v73 /*v329*/, v13 /*v269*/
	v_mul_i32_i24_e32 v15 /*v271*/, v77 /*v333*/, v15 /*v271*/
	s_set_vgpr_msb 1                        ;  msbs: dst=0 src0=1 src1=0 src2=0
	v_mul_i32_i24_e32 v113, v64 /*v320*/, v113
	s_set_vgpr_msb 0x45                     ;  msbs: dst=1 src0=1 src1=1 src2=0
	v_mul_i32_i24_e32 v17 /*v273*/, v76 /*v332*/, v17 /*v273*/
	v_mul_i32_i24_e32 v16 /*v272*/, v78 /*v334*/, v16 /*v272*/
	s_set_vgpr_msb 5                        ;  msbs: dst=0 src0=1 src1=1 src2=0
	v_add3_u32 v111, v12 /*v268*/, v14 /*v270*/, v111
	s_set_vgpr_msb 0x41                     ;  msbs: dst=1 src0=1 src1=0 src2=0
	v_bfe_i32 v82 /*v338*/, v65 /*v321*/, 0, 8
	v_bfe_i32 v83 /*v339*/, v65 /*v321*/, 8, 8
	;; [unrolled: 1-line block ×3, first 2 shown]
	s_set_vgpr_msb 0x44                     ;  msbs: dst=1 src0=0 src1=1 src2=0
	v_ashrrev_i32_e32 v65 /*v321*/, 24, v65 /*v321*/
	s_set_vgpr_msb 16                       ;  msbs: dst=0 src0=0 src1=0 src2=1
	v_add3_u32 v111, v111, v113, v15 /*v271*/
	s_set_vgpr_msb 0x45                     ;  msbs: dst=1 src0=1 src1=1 src2=0
	v_mul_i32_i24_e32 v23 /*v279*/, v82 /*v338*/, v23 /*v279*/
	v_mul_i32_i24_e32 v21 /*v277*/, v83 /*v339*/, v21 /*v277*/
	;; [unrolled: 1-line block ×3, first 2 shown]
	s_set_vgpr_msb 1                        ;  msbs: dst=0 src0=1 src1=0 src2=0
	v_mul_i32_i24_e32 v114, v65 /*v321*/, v114
	s_set_vgpr_msb 20                       ;  msbs: dst=0 src0=0 src1=1 src2=1
	v_add3_u32 v111, v111, v17 /*v273*/, v16 /*v272*/
	s_set_vgpr_msb 1                        ;  msbs: dst=0 src0=1 src1=0 src2=0
	v_mul_i32_i24_e32 v110, v67 /*v323*/, v110
	s_set_vgpr_msb 0x41                     ;  msbs: dst=1 src0=1 src1=0 src2=0
	v_bfe_i32 v94 /*v350*/, v69 /*v325*/, 0, 8
	v_bfe_i32 v96 /*v352*/, v69 /*v325*/, 8, 8
	;; [unrolled: 1-line block ×3, first 2 shown]
	s_set_vgpr_msb 16                       ;  msbs: dst=0 src0=0 src1=0 src2=1
	v_add3_u32 v109, v111, v109, v20 /*v276*/
	s_set_vgpr_msb 0x45                     ;  msbs: dst=1 src0=1 src1=1 src2=0
	v_ashrrev_i32_e32 v69 /*v325*/, 24, v69 /*v325*/
	v_mul_i32_i24_e32 v25 /*v281*/, v86 /*v342*/, v25 /*v281*/
	v_mul_i32_i24_e32 v26 /*v282*/, v87 /*v343*/, v26 /*v282*/
	v_bfe_i32 v98 /*v354*/, v71 /*v327*/, 0, 8
	s_set_vgpr_msb 20                       ;  msbs: dst=0 src0=0 src1=1 src2=1
	v_add3_u32 v109, v109, v18 /*v274*/, v19 /*v275*/
	s_set_vgpr_msb 0x41                     ;  msbs: dst=1 src0=1 src1=0 src2=0
	v_bfe_i32 v99 /*v355*/, v71 /*v327*/, 8, 8
	v_bfe_i32 v100 /*v356*/, v71 /*v327*/, 16, 8
	s_set_vgpr_msb 0x45                     ;  msbs: dst=1 src0=1 src1=1 src2=0
	v_ashrrev_i32_e32 v71 /*v327*/, 24, v71 /*v327*/
	v_mul_i32_i24_e32 v31 /*v287*/, v96 /*v352*/, v31 /*v287*/
	s_set_vgpr_msb 16                       ;  msbs: dst=0 src0=0 src1=0 src2=1
	v_add3_u32 v109, v109, v114, v21 /*v277*/
	s_set_vgpr_msb 1                        ;  msbs: dst=0 src0=1 src1=0 src2=0
	v_mul_i32_i24_e32 v112, v69 /*v325*/, v112
	s_set_vgpr_msb 0x45                     ;  msbs: dst=1 src0=1 src1=1 src2=0
	v_mul_i32_i24_e32 v33 /*v289*/, v94 /*v350*/, v33 /*v289*/
	v_mul_i32_i24_e32 v32 /*v288*/, v97 /*v353*/, v32 /*v288*/
	v_mul_i32_i24_e32 v3 /*v259*/, v98 /*v354*/, v3 /*v259*/
	s_set_vgpr_msb 20                       ;  msbs: dst=0 src0=0 src1=1 src2=1
	v_add3_u32 v109, v109, v23 /*v279*/, v22 /*v278*/
	s_set_vgpr_msb 0x45                     ;  msbs: dst=1 src0=1 src1=1 src2=0
	v_mul_i32_i24_e32 v5 /*v261*/, v71 /*v327*/, v5 /*v261*/
	v_mul_i32_i24_e32 v4 /*v260*/, v99 /*v355*/, v4 /*v260*/
	s_set_vgpr_msb 1                        ;  msbs: dst=0 src0=1 src1=0 src2=0
	v_bfe_i32 v111, v68 /*v324*/, 0, 8
	v_bfe_i32 v113, v68 /*v324*/, 8, 8
	s_set_vgpr_msb 16                       ;  msbs: dst=0 src0=0 src1=0 src2=1
	v_add3_u32 v109, v109, v110, v30 /*v286*/
	v_bfe_u32 v110, v81, 4, 4
	v_lshrrev_b32_e32 v114, 28, v81
	s_set_vgpr_msb 1                        ;  msbs: dst=0 src0=1 src1=0 src2=0
	v_mul_i32_i24_e32 v250, v100 /*v356*/, v250
	s_set_vgpr_msb 0x44                     ;  msbs: dst=1 src0=0 src1=1 src2=0
	v_ashrrev_i32_e32 v12 /*v268*/, 24, v68 /*v324*/
	s_set_vgpr_msb 20                       ;  msbs: dst=0 src0=0 src1=1 src2=1
	v_add3_u32 v109, v109, v25 /*v281*/, v26 /*v282*/
	s_set_vgpr_msb 0                        ;  msbs: dst=0 src0=0 src1=0 src2=0
	v_mul_i32_i24_e32 v107, v107, v110
	v_mul_i32_i24_e32 v104, v104, v114
	s_set_vgpr_msb 0x55                     ;  msbs: dst=1 src0=1 src1=1 src2=1
	v_add3_u32 v92 /*v348*/, v92 /*v348*/, v103 /*v359*/, v105 /*v361*/
	s_set_vgpr_msb 4                        ;  msbs: dst=0 src0=0 src1=1 src2=0
	v_mul_i32_i24_e32 v251, v251, v12 /*v268*/
	s_set_vgpr_msb 16                       ;  msbs: dst=0 src0=0 src1=0 src2=1
	v_add3_u32 v109, v109, v112, v31 /*v287*/
	v_bfe_u32 v112, v81, 12, 4
	s_set_vgpr_msb 0x41                     ;  msbs: dst=1 src0=1 src1=0 src2=0
	v_mul_i32_i24_e32 v117 /*v373*/, v63 /*v319*/, v237
	s_set_vgpr_msb 0x55                     ;  msbs: dst=1 src0=1 src1=1 src2=1
	v_add3_u32 v92 /*v348*/, v92 /*v348*/, v110 /*v366*/, v107 /*v363*/
	s_set_vgpr_msb 20                       ;  msbs: dst=0 src0=0 src1=1 src2=1
	v_add3_u32 v109, v109, v33 /*v289*/, v32 /*v288*/
	s_set_vgpr_msb 0                        ;  msbs: dst=0 src0=0 src1=0 src2=0
	v_mul_i32_i24_e32 v105, v105, v112
	s_set_vgpr_msb 0x55                     ;  msbs: dst=1 src0=1 src1=1 src2=1
	v_add3_u32 v92 /*v348*/, v92 /*v348*/, v108 /*v364*/, v109 /*v365*/
	s_set_vgpr_msb 20                       ;  msbs: dst=0 src0=0 src1=1 src2=1
	v_add3_u32 v109, v109, v5 /*v261*/, v3 /*v259*/
	s_set_vgpr_msb 64                       ;  msbs: dst=1 src0=0 src1=0 src2=0
	v_bfe_u32 v3 /*v259*/, v81, 20, 4
	s_set_vgpr_msb 0x41                     ;  msbs: dst=1 src0=1 src1=0 src2=0
	v_bfe_i32 v5 /*v261*/, v68 /*v324*/, 16, 8
	s_set_vgpr_msb 0                        ;  msbs: dst=0 src0=0 src1=0 src2=0
	v_mul_i32_i24_e32 v81, v253, v111
	s_set_vgpr_msb 1                        ;  msbs: dst=0 src0=1 src1=0 src2=0
	v_mul_i32_i24_e32 v253, v1 /*v257*/, v113
	s_set_vgpr_msb 4                        ;  msbs: dst=0 src0=0 src1=1 src2=0
	v_add3_u32 v109, v109, v4 /*v260*/, v250
	v_mul_i32_i24_e32 v106, v106, v3 /*v259*/
	s_set_vgpr_msb 0                        ;  msbs: dst=0 src0=0 src1=0 src2=0
	v_add3_u32 v103, v103, v107, v105
	s_set_vgpr_msb 0x45                     ;  msbs: dst=1 src0=1 src1=1 src2=0
	v_mul_i32_i24_e32 v1 /*v257*/, v2 /*v258*/, v5 /*v261*/
	s_set_vgpr_msb 0                        ;  msbs: dst=0 src0=0 src1=0 src2=0
	v_cvt_f32_f16_e32 v105, v108
	v_add3_u32 v81, v109, v81, v253
	s_set_vgpr_msb 0x55                     ;  msbs: dst=1 src0=1 src1=1 src2=1
	v_add3_u32 v92 /*v348*/, v92 /*v348*/, v114 /*v370*/, v112 /*v368*/
	s_set_vgpr_msb 0                        ;  msbs: dst=0 src0=0 src1=0 src2=0
	v_add3_u32 v103, v103, v106, v104
	v_lshrrev_b32_e32 v106, 16, v108
	v_cvt_f32_f16_e64 v104, v191
	s_set_vgpr_msb 4                        ;  msbs: dst=0 src0=0 src1=1 src2=0
	v_add3_u32 v81, v81, v1 /*v257*/, v251
	s_set_vgpr_msb 0x55                     ;  msbs: dst=1 src0=1 src1=1 src2=1
	v_add3_u32 v92 /*v348*/, v92 /*v348*/, v111 /*v367*/, v113 /*v369*/
	s_set_vgpr_msb 0                        ;  msbs: dst=0 src0=0 src1=0 src2=0
	v_cvt_f32_i32_e32 v108, v103
	v_cvt_f32_f16_e32 v107, v106
	v_lshrrev_b32_e32 v106, 16, v191
	v_cvt_f32_i32_e32 v109, v81
	v_mul_i32_i24_e32 v81, v246, v110
	v_mul_i32_i24_e32 v103, v247, v112
	v_cvt_f32_f16_e32 v89, v89
	v_cvt_f32_f16_e32 v106, v106
	s_set_vgpr_msb 0x55                     ;  msbs: dst=1 src0=1 src1=1 src2=1
	v_add3_u32 v92 /*v348*/, v92 /*v348*/, v117 /*v373*/, v115 /*v371*/
	s_set_vgpr_msb 0                        ;  msbs: dst=0 src0=0 src1=0 src2=0
	s_delay_alu instid0(VALU_DEP_2)
	v_pk_fma_f32 v[104:105], v[104:105], v[108:109], v[106:107]
	v_mul_i32_i24_e32 v107, v249, v114
	s_set_vgpr_msb 4                        ;  msbs: dst=0 src0=0 src1=1 src2=0
	v_mul_i32_i24_e32 v106, v248, v3 /*v259*/
	s_set_vgpr_msb 1                        ;  msbs: dst=0 src0=1 src1=0 src2=0
	v_mul_i32_i24_e32 v109, v38 /*v294*/, v114
	s_set_vgpr_msb 5                        ;  msbs: dst=0 src0=1 src1=1 src2=0
	v_mul_i32_i24_e32 v108, v37 /*v293*/, v3 /*v259*/
	s_set_vgpr_msb 0                        ;  msbs: dst=0 src0=0 src1=0 src2=0
	v_pk_add_f32 v[6:7], v[6:7], v[104:105]
	s_set_vgpr_msb 1                        ;  msbs: dst=0 src0=1 src1=0 src2=0
	v_add3_u32 v81, v7 /*v263*/, v107, v81
	v_mul_i32_i24_e32 v107, v36 /*v292*/, v112
	v_mul_i32_i24_e32 v105, v83 /*v339*/, v132
	;; [unrolled: 1-line block ×3, first 2 shown]
	s_set_vgpr_msb 0                        ;  msbs: dst=0 src0=0 src1=0 src2=0
	v_add3_u32 v81, v81, v103, v106
	s_set_vgpr_msb 1                        ;  msbs: dst=0 src0=1 src1=0 src2=0
	v_mul_i32_i24_e32 v106, v11 /*v267*/, v114
	s_set_vgpr_msb 5                        ;  msbs: dst=0 src0=1 src1=1 src2=0
	v_mul_i32_i24_e32 v103, v10 /*v266*/, v3 /*v259*/
	s_set_vgpr_msb 0                        ;  msbs: dst=0 src0=0 src1=0 src2=0
	v_add3_u32 v81, v81, v252, v254
	s_set_vgpr_msb 16                       ;  msbs: dst=0 src0=0 src1=0 src2=1
	s_delay_alu instid0(VALU_DEP_1) | instskip(NEXT) | instid1(VALU_DEP_1)
	v_add3_u32 v81, v81, v255, v0 /*v256*/
	v_cvt_f32_i32_e32 v81, v81
	s_set_vgpr_msb 17                       ;  msbs: dst=0 src0=1 src1=0 src2=1
	s_delay_alu instid0(VALU_DEP_1) | instskip(SKIP_1) | instid1(VALU_DEP_1)
	v_fma_mix_f32 v81, v6 /*v262*/, v81, v6 /*v262*/ op_sel:[0,0,1] op_sel_hi:[1,0,1]
	s_set_vgpr_msb 0                        ;  msbs: dst=0 src0=0 src1=0 src2=0
	v_pk_add_f32 v[8:9], v[8:9], v[80:81]
	s_set_vgpr_msb 1                        ;  msbs: dst=0 src0=1 src1=0 src2=0
	v_mul_i32_i24_e32 v80, v8 /*v264*/, v110
	v_mul_i32_i24_e32 v81, v9 /*v265*/, v112
	s_delay_alu instid0(VALU_DEP_2) | instskip(SKIP_2) | instid1(VALU_DEP_2)
	v_add3_u32 v80, v34 /*v290*/, v106, v80
	v_mul_i32_i24_e32 v106, v35 /*v291*/, v110
	s_set_vgpr_msb 0                        ;  msbs: dst=0 src0=0 src1=0 src2=0
	v_add3_u32 v80, v80, v81, v103
	s_set_vgpr_msb 1                        ;  msbs: dst=0 src0=1 src1=0 src2=0
	s_delay_alu instid0(VALU_DEP_2)
	v_add3_u32 v106, v43 /*v299*/, v109, v106
	v_mul_i32_i24_e32 v103, v56 /*v312*/, v114
	v_mul_i32_i24_e32 v109, v86 /*v342*/, v137
	s_set_vgpr_msb 20                       ;  msbs: dst=0 src0=0 src1=1 src2=1
	v_add3_u32 v80, v80, v24 /*v280*/, v27 /*v283*/
	s_set_vgpr_msb 0                        ;  msbs: dst=0 src0=0 src1=0 src2=0
	v_add3_u32 v81, v106, v107, v108
	s_set_vgpr_msb 1                        ;  msbs: dst=0 src0=1 src1=0 src2=0
	v_mul_i32_i24_e32 v107, v65 /*v321*/, v134
	v_mul_i32_i24_e32 v106, v84 /*v340*/, v135
	;; [unrolled: 1-line block ×3, first 2 shown]
	s_set_vgpr_msb 20                       ;  msbs: dst=0 src0=0 src1=1 src2=1
	v_add3_u32 v80, v80, v28 /*v284*/, v29 /*v285*/
	v_add3_u32 v81, v81, v40 /*v296*/, v42 /*v298*/
	s_delay_alu instid0(VALU_DEP_2) | instskip(NEXT) | instid1(VALU_DEP_2)
	v_cvt_f32_i32_e32 v80, v80
	v_add3_u32 v81, v81, v39 /*v295*/, v41 /*v297*/
	s_delay_alu instid0(VALU_DEP_1) | instskip(SKIP_1) | instid1(VALU_DEP_1)
	v_cvt_f32_i32_e32 v81, v81
	s_set_vgpr_msb 0                        ;  msbs: dst=0 src0=0 src1=0 src2=0
	v_pk_fma_f32 v[80:81], v[82:83], v[80:81], v[84:85]
	s_set_vgpr_msb 1                        ;  msbs: dst=0 src0=1 src1=0 src2=0
	v_mul_i32_i24_e32 v83, v47 /*v303*/, v114
	s_set_vgpr_msb 5                        ;  msbs: dst=0 src0=1 src1=1 src2=0
	v_mul_i32_i24_e32 v82, v46 /*v302*/, v3 /*v259*/
	s_set_vgpr_msb 1                        ;  msbs: dst=0 src0=1 src1=0 src2=0
	v_mul_i32_i24_e32 v84, v54 /*v310*/, v112
	s_set_vgpr_msb 5                        ;  msbs: dst=0 src0=1 src1=1 src2=0
	v_mul_i32_i24_e32 v85, v55 /*v311*/, v3 /*v259*/
	s_set_vgpr_msb 0                        ;  msbs: dst=0 src0=0 src1=0 src2=0
	v_pk_add_f32 v[22:23], v[22:23], v[80:81]
	s_set_vgpr_msb 1                        ;  msbs: dst=0 src0=1 src1=0 src2=0
	v_mul_i32_i24_e32 v80, v44 /*v300*/, v110
	v_mul_i32_i24_e32 v81, v45 /*v301*/, v112
	s_delay_alu instid0(VALU_DEP_2) | instskip(SKIP_2) | instid1(VALU_DEP_2)
	v_add3_u32 v80, v52 /*v308*/, v83, v80
	v_mul_i32_i24_e32 v83, v53 /*v309*/, v110
	s_set_vgpr_msb 0                        ;  msbs: dst=0 src0=0 src1=0 src2=0
	v_add3_u32 v80, v80, v81, v82
	s_set_vgpr_msb 1                        ;  msbs: dst=0 src0=1 src1=0 src2=0
	s_delay_alu instid0(VALU_DEP_2)
	v_add3_u32 v83, v59 /*v315*/, v103, v83
	v_mul_i32_i24_e32 v82, v63 /*v319*/, v114
	v_mul_i32_i24_e32 v103, v66 /*v322*/, v130
	;; [unrolled: 1-line block ×3, first 2 shown]
	s_set_vgpr_msb 20                       ;  msbs: dst=0 src0=0 src1=1 src2=1
	v_add3_u32 v80, v80, v48 /*v304*/, v49 /*v305*/
	s_set_vgpr_msb 0                        ;  msbs: dst=0 src0=0 src1=0 src2=0
	v_add3_u32 v81, v83, v84, v85
	s_set_vgpr_msb 1                        ;  msbs: dst=0 src0=1 src1=0 src2=0
	v_mul_i32_i24_e32 v83, v75 /*v331*/, v121
	v_mul_i32_i24_e32 v84, v70 /*v326*/, v123
	;; [unrolled: 1-line block ×3, first 2 shown]
	s_set_vgpr_msb 20                       ;  msbs: dst=0 src0=0 src1=1 src2=1
	v_add3_u32 v80, v80, v50 /*v306*/, v51 /*v307*/
	s_set_vgpr_msb 16                       ;  msbs: dst=0 src0=0 src1=0 src2=1
	v_add3_u32 v81, v81, v95, v58 /*v314*/
	s_set_vgpr_msb 1                        ;  msbs: dst=0 src0=1 src1=0 src2=0
	v_mul_i32_i24_e32 v95, v81 /*v337*/, v131
	v_mul_i32_i24_e32 v121, v87 /*v343*/, v139
	;; [unrolled: 1-line block ×3, first 2 shown]
	s_set_vgpr_msb 16                       ;  msbs: dst=0 src0=0 src1=0 src2=1
	v_cvt_f32_i32_e32 v80, v80
	v_add3_u32 v81, v81, v94, v57 /*v313*/
	s_set_vgpr_msb 1                        ;  msbs: dst=0 src0=1 src1=0 src2=0
	v_mul_i32_i24_e32 v94, v80 /*v336*/, v129
	v_mul_i32_i24_e32 v123, v94 /*v350*/, v141
	s_set_vgpr_msb 0                        ;  msbs: dst=0 src0=0 src1=0 src2=0
	v_cvt_f32_i32_e32 v81, v81
	s_delay_alu instid0(VALU_DEP_1)
	v_pk_fma_f32 v[80:81], v[86:87], v[80:81], v[88:89]
	s_set_vgpr_msb 1                        ;  msbs: dst=0 src0=1 src1=0 src2=0
	v_mul_i32_i24_e32 v86, v77 /*v333*/, v125
	v_mul_i32_i24_e32 v88, v64 /*v320*/, v127
	;; [unrolled: 1-line block ×4, first 2 shown]
	s_set_vgpr_msb 0                        ;  msbs: dst=0 src0=0 src1=0 src2=0
	v_pk_add_f32 v[14:15], v[14:15], v[80:81]
	s_set_vgpr_msb 1                        ;  msbs: dst=0 src0=1 src1=0 src2=0
	v_mul_i32_i24_e32 v80, v88 /*v344*/, v110
	v_mul_i32_i24_e32 v126, v69 /*v325*/, v143
	;; [unrolled: 1-line block ×5, first 2 shown]
	v_add3_u32 v80, v90 /*v346*/, v82, v80
	v_mul_i32_i24_e32 v82, v74 /*v330*/, v122
	v_mul_i32_i24_e32 v122, v67 /*v323*/, v138
	;; [unrolled: 1-line block ×3, first 2 shown]
	s_delay_alu instid0(VALU_DEP_3) | instskip(SKIP_1) | instid1(VALU_DEP_1)
	v_mad_i32_i24 v82, v73 /*v329*/, v120, v82
	s_set_vgpr_msb 0                        ;  msbs: dst=0 src0=0 src1=0 src2=0
	v_add3_u32 v82, v82, v83, v84
	v_pk_mul_f16 v83, v115, v91
	s_set_vgpr_msb 1                        ;  msbs: dst=0 src0=1 src1=0 src2=0
	v_mul_i32_i24_e32 v84, v61 /*v317*/, v118
	v_mul_i32_i24_e32 v115, v69 /*v325*/, v204
	s_set_vgpr_msb 0                        ;  msbs: dst=0 src0=0 src1=0 src2=0
	v_add3_u32 v82, v82, v88, v86
	s_set_vgpr_msb 1                        ;  msbs: dst=0 src0=1 src1=0 src2=0
	v_mul_i32_i24_e32 v86, v60 /*v316*/, v119
	v_mul_i32_i24_e32 v88, v5 /*v261*/, v116
	s_set_vgpr_msb 0                        ;  msbs: dst=0 src0=0 src1=0 src2=0
	v_add3_u32 v82, v82, v85, v87
	v_mul_i32_i24_e32 v85, v111, v118
	v_mul_i32_i24_e32 v87, v113, v119
	s_set_vgpr_msb 1                        ;  msbs: dst=0 src0=1 src1=0 src2=0
	v_mul_i32_i24_e32 v118, v71 /*v327*/, v237
	s_set_vgpr_msb 0                        ;  msbs: dst=0 src0=0 src1=0 src2=0
	v_add3_u32 v82, v82, v103, v89
	s_set_vgpr_msb 5                        ;  msbs: dst=0 src0=1 src1=1 src2=0
	v_mul_i32_i24_e32 v103, v100 /*v356*/, v3 /*v259*/
	s_set_vgpr_msb 0                        ;  msbs: dst=0 src0=0 src1=0 src2=0
	v_mul_i32_i24_e32 v89, v93, v116
	s_set_vgpr_msb 1                        ;  msbs: dst=0 src0=1 src1=0 src2=0
	v_mul_i32_i24_e32 v116, v98 /*v354*/, v235
	s_set_vgpr_msb 0                        ;  msbs: dst=0 src0=0 src1=0 src2=0
	v_add3_u32 v82, v82, v94, v95
	s_set_vgpr_msb 1                        ;  msbs: dst=0 src0=1 src1=0 src2=0
	v_mul_i32_i24_e32 v94, v12 /*v268*/, v117
	s_set_vgpr_msb 0                        ;  msbs: dst=0 src0=0 src1=0 src2=0
	s_delay_alu instid0(VALU_DEP_2)
	v_add3_u32 v82, v82, v107, v105
	s_set_vgpr_msb 1                        ;  msbs: dst=0 src0=1 src1=0 src2=0
	v_mul_i32_i24_e32 v105, v65 /*v321*/, v195
	v_mul_i32_i24_e32 v107, v86 /*v342*/, v198
	s_set_vgpr_msb 0                        ;  msbs: dst=0 src0=0 src1=0 src2=0
	v_add3_u32 v82, v82, v104, v106
	s_set_vgpr_msb 5                        ;  msbs: dst=0 src0=1 src1=1 src2=0
	v_mul_i32_i24_e32 v104, v62 /*v318*/, v3 /*v259*/
	s_set_vgpr_msb 1                        ;  msbs: dst=0 src0=1 src1=0 src2=0
	v_mul_i32_i24_e32 v106, v85 /*v341*/, v197
	s_set_vgpr_msb 0                        ;  msbs: dst=0 src0=0 src1=0 src2=0
	v_add3_u32 v82, v82, v122, v108
	v_add3_u32 v80, v80, v81, v104
	s_set_vgpr_msb 1                        ;  msbs: dst=0 src0=1 src1=0 src2=0
	v_mul_i32_i24_e32 v104, v84 /*v340*/, v196
	v_mul_i32_i24_e32 v108, v87 /*v343*/, v200
	s_set_vgpr_msb 0                        ;  msbs: dst=0 src0=0 src1=0 src2=0
	v_add3_u32 v82, v82, v109, v121
	v_add3_u32 v80, v80, v84, v86
	s_set_vgpr_msb 1                        ;  msbs: dst=0 src0=1 src1=0 src2=0
	v_mul_i32_i24_e32 v86, v64 /*v320*/, v152
	v_mul_i32_i24_e32 v109, v67 /*v323*/, v199
	s_set_vgpr_msb 0                        ;  msbs: dst=0 src0=0 src1=0 src2=0
	v_add3_u32 v82, v82, v126, v124
	s_delay_alu instid0(VALU_DEP_1) | instskip(NEXT) | instid1(VALU_DEP_1)
	v_add3_u32 v82, v82, v123, v125
	v_add3_u32 v82, v82, v114, v110
	s_set_vgpr_msb 1                        ;  msbs: dst=0 src0=1 src1=0 src2=0
	v_mul_i32_i24_e32 v110, v94 /*v350*/, v202
	v_mul_i32_i24_e32 v114, v97 /*v353*/, v203
	s_set_vgpr_msb 0                        ;  msbs: dst=0 src0=0 src1=0 src2=0
	v_add3_u32 v81, v82, v112, v103
	v_lshrrev_b32_e32 v82, 16, v83
	s_set_vgpr_msb 1                        ;  msbs: dst=0 src0=1 src1=0 src2=0
	v_mul_i32_i24_e32 v103, v83 /*v339*/, v193
	v_mul_i32_i24_e32 v112, v96 /*v352*/, v201
	s_set_vgpr_msb 0                        ;  msbs: dst=0 src0=0 src1=0 src2=0
	v_add3_u32 v81, v81, v85, v87
	s_set_vgpr_msb 1                        ;  msbs: dst=0 src0=1 src1=0 src2=0
	v_mul_i32_i24_e32 v87, v79 /*v335*/, v153
	s_set_vgpr_msb 0                        ;  msbs: dst=0 src0=0 src1=0 src2=0
	s_delay_alu instid0(VALU_DEP_2)
	v_add3_u32 v85, v81, v88, v94
	v_cvt_f32_f16_e32 v81, v83
	v_cvt_f32_f16_e32 v83, v82
	s_set_vgpr_msb 4                        ;  msbs: dst=0 src0=0 src1=1 src2=0
	v_lshrrev_b32_e32 v82, 16, v91 /*v347*/
	s_set_vgpr_msb 0                        ;  msbs: dst=0 src0=0 src1=0 src2=0
	v_mul_i32_i24_e32 v95, v92, v117
	v_cvt_f32_i32_e32 v85, v85
	s_set_vgpr_msb 1                        ;  msbs: dst=0 src0=1 src1=0 src2=0
	v_mul_i32_i24_e32 v94, v66 /*v322*/, v155
	v_mul_i32_i24_e32 v88, v80 /*v336*/, v154
	s_set_vgpr_msb 0                        ;  msbs: dst=0 src0=0 src1=0 src2=0
	v_cvt_f32_f16_e32 v82, v82
	v_add3_u32 v84, v80, v89, v95
	s_set_vgpr_msb 1                        ;  msbs: dst=0 src0=1 src1=0 src2=0
	v_cvt_f32_f16_e64 v80, v91 /*v347*/
	v_mul_i32_i24_e32 v89, v81 /*v337*/, v189
	v_mul_i32_i24_e32 v95, v82 /*v338*/, v194
	;; [unrolled: 1-line block ×3, first 2 shown]
	s_set_vgpr_msb 0                        ;  msbs: dst=0 src0=0 src1=0 src2=0
	v_cvt_f32_i32_e32 v84, v84
	s_delay_alu instid0(VALU_DEP_1)
	v_pk_fma_f32 v[80:81], v[80:81], v[84:85], v[82:83]
	s_set_vgpr_msb 1                        ;  msbs: dst=0 src0=1 src1=0 src2=0
	v_mul_i32_i24_e32 v82, v70 /*v326*/, v148
	v_mul_i32_i24_e32 v84, v77 /*v333*/, v150
	;; [unrolled: 1-line block ×4, first 2 shown]
	s_set_vgpr_msb 0                        ;  msbs: dst=0 src0=0 src1=0 src2=0
	v_pk_add_f32 v[4:5], v[4:5], v[80:81]
	s_set_vgpr_msb 1                        ;  msbs: dst=0 src0=1 src1=0 src2=0
	v_mul_i32_i24_e32 v80, v74 /*v330*/, v147
	v_mul_i32_i24_e32 v81, v75 /*v331*/, v146
	s_delay_alu instid0(VALU_DEP_2) | instskip(SKIP_1) | instid1(VALU_DEP_1)
	v_mad_i32_i24 v80, v73 /*v329*/, v145, v80
	s_set_vgpr_msb 0                        ;  msbs: dst=0 src0=0 src1=0 src2=0
	v_add3_u32 v80, v80, v81, v82
	s_set_vgpr_msb 1                        ;  msbs: dst=0 src0=1 src1=0 src2=0
	v_mul_i32_i24_e32 v81, v61 /*v317*/, v232
	s_set_vgpr_msb 0                        ;  msbs: dst=0 src0=0 src1=0 src2=0
	v_pk_mul_f16 v82, v144, v91
	v_add3_u32 v80, v80, v86, v84
	s_set_vgpr_msb 1                        ;  msbs: dst=0 src0=1 src1=0 src2=0
	v_mul_i32_i24_e32 v84, v60 /*v316*/, v233
	v_mul_i32_i24_e32 v86, v5 /*v261*/, v234
	s_set_vgpr_msb 0                        ;  msbs: dst=0 src0=0 src1=0 src2=0
	v_add3_u32 v80, v80, v83, v85
	v_mul_i32_i24_e32 v83, v111, v232
	v_mul_i32_i24_e32 v85, v113, v233
	s_delay_alu instid0(VALU_DEP_3)
	v_add3_u32 v80, v80, v94, v87
	s_set_vgpr_msb 1                        ;  msbs: dst=0 src0=1 src1=0 src2=0
	v_mul_i32_i24_e32 v94, v100 /*v356*/, v230
	s_set_vgpr_msb 0                        ;  msbs: dst=0 src0=0 src1=0 src2=0
	v_mul_i32_i24_e32 v87, v93, v234
	v_add3_u32 v80, v80, v88, v89
	v_mul_i32_i24_e32 v89, v92, v231
	s_set_vgpr_msb 1                        ;  msbs: dst=0 src0=1 src1=0 src2=0
	v_mul_i32_i24_e32 v88, v12 /*v268*/, v231
	s_set_vgpr_msb 0                        ;  msbs: dst=0 src0=0 src1=0 src2=0
	v_add3_u32 v80, v80, v105, v103
	s_set_vgpr_msb 1                        ;  msbs: dst=0 src0=1 src1=0 src2=0
	v_mul_i32_i24_e32 v103, v83 /*v339*/, v218
	v_mul_i32_i24_e32 v105, v65 /*v321*/, v220
	s_set_vgpr_msb 0                        ;  msbs: dst=0 src0=0 src1=0 src2=0
	v_add3_u32 v80, v80, v95, v104
	s_set_vgpr_msb 1                        ;  msbs: dst=0 src0=1 src1=0 src2=0
	v_mul_i32_i24_e32 v95, v62 /*v318*/, v230
	v_mul_i32_i24_e32 v104, v84 /*v340*/, v221
	s_set_vgpr_msb 0                        ;  msbs: dst=0 src0=0 src1=0 src2=0
	v_add3_u32 v80, v80, v109, v106
	s_set_vgpr_msb 5                        ;  msbs: dst=0 src0=1 src1=1 src2=0
	v_add3_u32 v95, v92 /*v348*/, v116 /*v372*/, v95
	s_set_vgpr_msb 1                        ;  msbs: dst=0 src0=1 src1=0 src2=0
	v_mul_i32_i24_e32 v106, v85 /*v341*/, v222
	v_mul_i32_i24_e32 v109, v67 /*v323*/, v224
	s_set_vgpr_msb 0                        ;  msbs: dst=0 src0=0 src1=0 src2=0
	v_add3_u32 v80, v80, v107, v108
	v_add3_u32 v81, v95, v81, v84
	s_set_vgpr_msb 1                        ;  msbs: dst=0 src0=1 src1=0 src2=0
	v_mul_i32_i24_e32 v95, v82 /*v338*/, v219
	v_mul_i32_i24_e32 v107, v86 /*v342*/, v223
	;; [unrolled: 1-line block ×3, first 2 shown]
	s_set_vgpr_msb 0                        ;  msbs: dst=0 src0=0 src1=0 src2=0
	v_add3_u32 v80, v80, v115, v112
	v_add3_u32 v84, v81, v87, v89
	v_cvt_f32_f16_e32 v81, v82
	v_lshrrev_b32_e32 v82, 16, v82
	s_set_vgpr_msb 1                        ;  msbs: dst=0 src0=1 src1=0 src2=0
	v_mul_i32_i24_e32 v87, v79 /*v335*/, v214
	s_set_vgpr_msb 0                        ;  msbs: dst=0 src0=0 src1=0 src2=0
	v_add3_u32 v80, v80, v110, v114
	v_cvt_f32_i32_e32 v84, v84
	s_set_vgpr_msb 1                        ;  msbs: dst=0 src0=1 src1=0 src2=0
	v_mul_i32_i24_e32 v89, v81 /*v337*/, v217
	v_mul_i32_i24_e32 v112, v96 /*v352*/, v226
	;; [unrolled: 1-line block ×3, first 2 shown]
	s_set_vgpr_msb 0                        ;  msbs: dst=0 src0=0 src1=0 src2=0
	v_add3_u32 v80, v80, v118, v116
	s_set_vgpr_msb 1                        ;  msbs: dst=0 src0=1 src1=0 src2=0
	v_mul_i32_i24_e32 v110, v94 /*v350*/, v227
	v_mul_i32_i24_e32 v114, v97 /*v353*/, v228
	;; [unrolled: 1-line block ×4, first 2 shown]
	s_set_vgpr_msb 0                        ;  msbs: dst=0 src0=0 src1=0 src2=0
	v_add3_u32 v80, v80, v117, v94
	s_set_vgpr_msb 1                        ;  msbs: dst=0 src0=1 src1=0 src2=0
	v_mul_i32_i24_e32 v94, v66 /*v322*/, v216
	v_mul_i32_i24_e32 v117, v99 /*v355*/, v244
	s_set_vgpr_msb 0                        ;  msbs: dst=0 src0=0 src1=0 src2=0
	v_add3_u32 v80, v80, v83, v85
	v_cvt_f32_f16_e32 v83, v82
	s_set_vgpr_msb 4                        ;  msbs: dst=0 src0=0 src1=1 src2=0
	v_lshrrev_b32_e32 v82, 16, v93 /*v349*/
	s_set_vgpr_msb 0                        ;  msbs: dst=0 src0=0 src1=0 src2=0
	v_add3_u32 v85, v80, v86, v88
	s_set_vgpr_msb 1                        ;  msbs: dst=0 src0=1 src1=0 src2=0
	v_cvt_f32_f16_e64 v80, v93 /*v349*/
	s_set_vgpr_msb 0                        ;  msbs: dst=0 src0=0 src1=0 src2=0
	v_cvt_f32_f16_e32 v82, v82
	s_set_vgpr_msb 1                        ;  msbs: dst=0 src0=1 src1=0 src2=0
	v_mul_i32_i24_e32 v86, v64 /*v320*/, v213
	v_mul_i32_i24_e32 v88, v80 /*v336*/, v215
	s_set_vgpr_msb 0                        ;  msbs: dst=0 src0=0 src1=0 src2=0
	v_cvt_f32_i32_e32 v85, v85
	s_delay_alu instid0(VALU_DEP_1)
	v_pk_fma_f32 v[80:81], v[80:81], v[84:85], v[82:83]
	s_set_vgpr_msb 1                        ;  msbs: dst=0 src0=1 src1=0 src2=0
	v_mul_i32_i24_e32 v82, v70 /*v326*/, v209
	v_mul_i32_i24_e32 v84, v77 /*v333*/, v211
	;; [unrolled: 1-line block ×4, first 2 shown]
	s_set_vgpr_msb 0                        ;  msbs: dst=0 src0=0 src1=0 src2=0
	v_pk_add_f32 v[2:3], v[2:3], v[80:81]
	s_set_vgpr_msb 1                        ;  msbs: dst=0 src0=1 src1=0 src2=0
	v_mul_i32_i24_e32 v80, v74 /*v330*/, v208
	v_mul_i32_i24_e32 v81, v75 /*v331*/, v207
	s_delay_alu instid0(VALU_DEP_2) | instskip(SKIP_1) | instid1(VALU_DEP_1)
	v_mad_i32_i24 v80, v73 /*v329*/, v206, v80
	s_set_vgpr_msb 0                        ;  msbs: dst=0 src0=0 src1=0 src2=0
	v_add3_u32 v80, v80, v81, v82
	v_pk_mul_f16 v82, v205, v91
	s_set_vgpr_msb 1                        ;  msbs: dst=0 src0=1 src1=0 src2=0
	v_mul_i32_i24_e32 v81, v61 /*v317*/, v240
	v_mul_i32_i24_e32 v91, v100 /*v356*/, v238
	s_set_vgpr_msb 0                        ;  msbs: dst=0 src0=0 src1=0 src2=0
	v_add3_u32 v80, v80, v86, v84
	s_set_vgpr_msb 1                        ;  msbs: dst=0 src0=1 src1=0 src2=0
	v_mul_i32_i24_e32 v84, v60 /*v316*/, v241
	v_mul_i32_i24_e32 v86, v5 /*v261*/, v242
	s_set_vgpr_msb 0                        ;  msbs: dst=0 src0=0 src1=0 src2=0
	v_add3_u32 v80, v80, v83, v85
	v_mul_i32_i24_e32 v83, v111, v240
	v_mul_i32_i24_e32 v85, v113, v241
	s_delay_alu instid0(VALU_DEP_3) | instskip(SKIP_1) | instid1(VALU_DEP_2)
	v_add3_u32 v80, v80, v94, v87
	v_mul_i32_i24_e32 v87, v93, v242
	v_add3_u32 v80, v80, v88, v89
	v_mul_i32_i24_e32 v89, v92, v239
	s_set_vgpr_msb 1                        ;  msbs: dst=0 src0=1 src1=0 src2=0
	v_mul_i32_i24_e32 v92, v62 /*v318*/, v238
	v_mul_i32_i24_e32 v88, v12 /*v268*/, v239
	s_set_vgpr_msb 0                        ;  msbs: dst=0 src0=0 src1=0 src2=0
	v_add3_u32 v80, v80, v105, v103
	s_set_vgpr_msb 5                        ;  msbs: dst=0 src0=1 src1=1 src2=0
	v_add3_u32 v92, v72 /*v328*/, v95 /*v351*/, v92
	s_set_vgpr_msb 0                        ;  msbs: dst=0 src0=0 src1=0 src2=0
	s_delay_alu instid0(VALU_DEP_2) | instskip(NEXT) | instid1(VALU_DEP_2)
	v_add3_u32 v80, v80, v95, v104
	v_add3_u32 v81, v92, v81, v84
	s_delay_alu instid0(VALU_DEP_2) | instskip(NEXT) | instid1(VALU_DEP_2)
	v_add3_u32 v80, v80, v109, v106
	v_add3_u32 v84, v81, v87, v89
	v_cvt_f32_f16_e32 v81, v82
	v_lshrrev_b32_e32 v82, 16, v82
	s_delay_alu instid0(VALU_DEP_4) | instskip(NEXT) | instid1(VALU_DEP_4)
	v_add3_u32 v80, v80, v107, v108
	v_cvt_f32_i32_e32 v84, v84
	s_delay_alu instid0(VALU_DEP_2) | instskip(NEXT) | instid1(VALU_DEP_1)
	v_add3_u32 v80, v80, v115, v112
	v_add3_u32 v80, v80, v110, v114
	s_delay_alu instid0(VALU_DEP_1) | instskip(NEXT) | instid1(VALU_DEP_1)
	v_add3_u32 v80, v80, v118, v116
	v_add3_u32 v80, v80, v117, v91
	s_delay_alu instid0(VALU_DEP_1) | instskip(SKIP_2) | instid1(VALU_DEP_3)
	v_add3_u32 v80, v80, v83, v85
	v_cvt_f32_f16_e32 v83, v82
	v_lshrrev_b32_e32 v82, 16, v90
	v_add3_u32 v85, v80, v86, v88
	v_cvt_f32_f16_e32 v80, v90
	s_delay_alu instid0(VALU_DEP_3) | instskip(NEXT) | instid1(VALU_DEP_3)
	v_cvt_f32_f16_e32 v82, v82
	v_cvt_f32_i32_e32 v85, v85
	s_delay_alu instid0(VALU_DEP_1) | instskip(NEXT) | instid1(VALU_DEP_1)
	v_pk_fma_f32 v[80:81], v[80:81], v[84:85], v[82:83]
	v_pk_add_f32 v[0:1], v[0:1], v[80:81]
	s_cbranch_scc1 .LBB159_12
; %bb.13:                               ;   in Loop: Header=BB159_7 Depth=1
	s_barrier_signal -1
	s_barrier_wait -1
	s_branch .LBB159_6
.LBB159_14:
	v_dual_mov_b32 v26, v27 :: v_dual_mov_b32 v28, v31
	s_mov_b32 s0, exec_lo
	s_wait_xcnt 0x0
	v_cmpx_gt_u32_e64 s4, v39
	s_cbranch_execz .LBB159_3
.LBB159_15:
	v_mul_lo_u32 v30, v39, s6
	v_add_nc_u32_e32 v27, s14, v28
	s_delay_alu instid0(VALU_DEP_1)
	v_cmp_gt_u32_e32 vcc_lo, s6, v27
	s_and_saveexec_b32 s1, vcc_lo
	s_cbranch_execz .LBB159_17
; %bb.16:
	v_bfe_u32 v28, v36, 16, 1
	v_cmp_o_f32_e64 s0, v36, v36
	v_add_nc_u32_e32 v29, v27, v30
	s_delay_alu instid0(VALU_DEP_3) | instskip(NEXT) | instid1(VALU_DEP_1)
	v_add3_u32 v28, v36, v28, 0x7fff
	v_lshrrev_b32_e32 v28, 16, v28
	s_delay_alu instid0(VALU_DEP_1)
	v_cndmask_b32_e64 v28, 0x7fc0, v28, s0
	s_wait_kmcnt 0x0
	global_store_b16 v29, v28, s[8:9] scale_offset
.LBB159_17:
	s_wait_xcnt 0x0
	s_or_b32 exec_lo, exec_lo, s1
	v_add_nc_u32_e32 v28, 32, v27
	s_delay_alu instid0(VALU_DEP_1)
	v_cmp_gt_u32_e64 s0, s6, v28
	s_and_saveexec_b32 s2, s0
	s_cbranch_execz .LBB159_19
; %bb.18:
	v_bfe_u32 v29, v6, 16, 1
	v_cmp_o_f32_e64 s1, v6, v6
	s_delay_alu instid0(VALU_DEP_2) | instskip(NEXT) | instid1(VALU_DEP_1)
	v_add3_u32 v29, v6, v29, 0x7fff
	v_lshrrev_b32_e32 v29, 16, v29
	s_delay_alu instid0(VALU_DEP_1)
	v_cndmask_b32_e64 v6, 0x7fc0, v29, s1
	v_add_nc_u32_e32 v29, v28, v30
	s_wait_kmcnt 0x0
	global_store_b16 v29, v6, s[8:9] scale_offset
.LBB159_19:
	s_wait_xcnt 0x0
	s_or_b32 exec_lo, exec_lo, s2
	v_add_nc_u32_e32 v6, 64, v27
	s_delay_alu instid0(VALU_DEP_1)
	v_cmp_gt_u32_e64 s1, s6, v6
	s_and_saveexec_b32 s3, s1
	s_cbranch_execz .LBB159_21
; %bb.20:
	v_bfe_u32 v29, v34, 16, 1
	v_cmp_o_f32_e64 s2, v34, v34
	v_add_nc_u32_e32 v31, v6, v30
	s_delay_alu instid0(VALU_DEP_3) | instskip(NEXT) | instid1(VALU_DEP_1)
	v_add3_u32 v29, v34, v29, 0x7fff
	v_lshrrev_b32_e32 v29, 16, v29
	s_delay_alu instid0(VALU_DEP_1)
	v_cndmask_b32_e64 v29, 0x7fc0, v29, s2
	s_wait_kmcnt 0x0
	global_store_b16 v31, v29, s[8:9] scale_offset
.LBB159_21:
	s_wait_xcnt 0x0
	s_or_b32 exec_lo, exec_lo, s3
	v_add_nc_u32_e32 v29, 0x60, v27
	s_delay_alu instid0(VALU_DEP_1)
	v_cmp_gt_u32_e64 s2, s6, v29
	s_and_saveexec_b32 s5, s2
	s_cbranch_execz .LBB159_23
; %bb.22:
	v_bfe_u32 v31, v32, 16, 1
	v_cmp_o_f32_e64 s3, v32, v32
	v_add_nc_u32_e32 v30, v29, v30
	s_delay_alu instid0(VALU_DEP_3) | instskip(NEXT) | instid1(VALU_DEP_1)
	v_add3_u32 v31, v32, v31, 0x7fff
	v_lshrrev_b32_e32 v31, 16, v31
	s_delay_alu instid0(VALU_DEP_1)
	v_cndmask_b32_e64 v31, 0x7fc0, v31, s3
	s_wait_kmcnt 0x0
	global_store_b16 v30, v31, s[8:9] scale_offset
.LBB159_23:
	s_wait_xcnt 0x0
	s_or_b32 exec_lo, exec_lo, s5
	v_add3_u32 v30, v26, s7, 8
	s_delay_alu instid0(VALU_DEP_1)
	v_cmp_gt_u32_e64 s3, s4, v30
	s_and_b32 exec_lo, exec_lo, s3
	s_cbranch_execz .LBB159_3
; %bb.24:
	v_mul_lo_u32 v30, v30, s6
	s_and_saveexec_b32 s5, vcc_lo
	s_cbranch_execnz .LBB159_64
; %bb.25:
	s_or_b32 exec_lo, exec_lo, s5
	s_and_saveexec_b32 s5, s0
	s_cbranch_execnz .LBB159_65
.LBB159_26:
	s_or_b32 exec_lo, exec_lo, s5
	s_and_saveexec_b32 s5, s1
	s_cbranch_execnz .LBB159_66
.LBB159_27:
	s_or_b32 exec_lo, exec_lo, s5
	s_and_saveexec_b32 s5, s2
	s_cbranch_execz .LBB159_29
.LBB159_28:
	v_bfe_u32 v9, v33, 16, 1
	v_cmp_o_f32_e64 s3, v33, v33
	v_add_nc_u32_e32 v30, v30, v29
	s_delay_alu instid0(VALU_DEP_3) | instskip(NEXT) | instid1(VALU_DEP_1)
	v_add3_u32 v9, v33, v9, 0x7fff
	v_lshrrev_b32_e32 v9, 16, v9
	s_delay_alu instid0(VALU_DEP_1)
	v_cndmask_b32_e64 v9, 0x7fc0, v9, s3
	s_wait_kmcnt 0x0
	global_store_b16 v30, v9, s[8:9] scale_offset
.LBB159_29:
	s_wait_xcnt 0x0
	s_or_b32 exec_lo, exec_lo, s5
	v_add3_u32 v9, v26, s7, 16
	s_delay_alu instid0(VALU_DEP_1)
	v_cmp_gt_u32_e64 s3, s4, v9
	s_and_b32 exec_lo, exec_lo, s3
	s_cbranch_execz .LBB159_3
; %bb.30:
	v_mul_lo_u32 v9, v9, s6
	s_and_saveexec_b32 s5, vcc_lo
	s_cbranch_execnz .LBB159_67
; %bb.31:
	s_or_b32 exec_lo, exec_lo, s5
	s_and_saveexec_b32 s5, s0
	s_cbranch_execnz .LBB159_68
.LBB159_32:
	s_or_b32 exec_lo, exec_lo, s5
	s_and_saveexec_b32 s5, s1
	s_cbranch_execnz .LBB159_69
.LBB159_33:
	s_or_b32 exec_lo, exec_lo, s5
	s_and_saveexec_b32 s5, s2
	s_cbranch_execz .LBB159_35
.LBB159_34:
	v_bfe_u32 v20, v18, 16, 1
	v_cmp_o_f32_e64 s3, v18, v18
	v_add_nc_u32_e32 v9, v9, v29
	s_delay_alu instid0(VALU_DEP_3) | instskip(NEXT) | instid1(VALU_DEP_1)
	v_add3_u32 v20, v18, v20, 0x7fff
	v_lshrrev_b32_e32 v20, 16, v20
	s_delay_alu instid0(VALU_DEP_1)
	v_cndmask_b32_e64 v18, 0x7fc0, v20, s3
	s_wait_kmcnt 0x0
	global_store_b16 v9, v18, s[8:9] scale_offset
.LBB159_35:
	s_wait_xcnt 0x0
	s_or_b32 exec_lo, exec_lo, s5
	v_add3_u32 v9, v26, s7, 24
	s_delay_alu instid0(VALU_DEP_1)
	v_cmp_gt_u32_e64 s3, s4, v9
	s_and_b32 exec_lo, exec_lo, s3
	s_cbranch_execz .LBB159_3
; %bb.36:
	v_mul_lo_u32 v9, v9, s6
	s_and_saveexec_b32 s5, vcc_lo
	s_cbranch_execnz .LBB159_70
; %bb.37:
	s_or_b32 exec_lo, exec_lo, s5
	s_and_saveexec_b32 s5, s0
	s_cbranch_execnz .LBB159_71
.LBB159_38:
	s_or_b32 exec_lo, exec_lo, s5
	s_and_saveexec_b32 s5, s1
	s_cbranch_execnz .LBB159_72
.LBB159_39:
	s_or_b32 exec_lo, exec_lo, s5
	s_and_saveexec_b32 s5, s2
	s_cbranch_execz .LBB159_41
.LBB159_40:
	v_bfe_u32 v18, v19, 16, 1
	v_cmp_o_f32_e64 s3, v19, v19
	v_add_nc_u32_e32 v9, v9, v29
	s_delay_alu instid0(VALU_DEP_3) | instskip(NEXT) | instid1(VALU_DEP_1)
	v_add3_u32 v18, v19, v18, 0x7fff
	v_lshrrev_b32_e32 v18, 16, v18
	s_delay_alu instid0(VALU_DEP_1)
	v_cndmask_b32_e64 v18, 0x7fc0, v18, s3
	s_wait_kmcnt 0x0
	global_store_b16 v9, v18, s[8:9] scale_offset
.LBB159_41:
	s_wait_xcnt 0x0
	s_or_b32 exec_lo, exec_lo, s5
	v_add3_u32 v9, v26, s7, 32
	s_delay_alu instid0(VALU_DEP_1)
	v_cmp_gt_u32_e64 s3, s4, v9
	s_and_b32 exec_lo, exec_lo, s3
	s_cbranch_execz .LBB159_3
; %bb.42:
	v_mul_lo_u32 v9, v9, s6
	s_and_saveexec_b32 s5, vcc_lo
	s_cbranch_execnz .LBB159_73
; %bb.43:
	s_or_b32 exec_lo, exec_lo, s5
	s_and_saveexec_b32 s5, s0
	s_cbranch_execnz .LBB159_74
.LBB159_44:
	s_or_b32 exec_lo, exec_lo, s5
	s_and_saveexec_b32 s5, s1
	s_cbranch_execnz .LBB159_75
.LBB159_45:
	s_or_b32 exec_lo, exec_lo, s5
	s_and_saveexec_b32 s5, s2
	s_cbranch_execz .LBB159_47
.LBB159_46:
	v_bfe_u32 v12, v10, 16, 1
	v_cmp_o_f32_e64 s3, v10, v10
	v_add_nc_u32_e32 v9, v9, v29
	s_delay_alu instid0(VALU_DEP_3) | instskip(NEXT) | instid1(VALU_DEP_1)
	v_add3_u32 v12, v10, v12, 0x7fff
	v_lshrrev_b32_e32 v12, 16, v12
	s_delay_alu instid0(VALU_DEP_1)
	v_cndmask_b32_e64 v10, 0x7fc0, v12, s3
	s_wait_kmcnt 0x0
	global_store_b16 v9, v10, s[8:9] scale_offset
.LBB159_47:
	s_wait_xcnt 0x0
	s_or_b32 exec_lo, exec_lo, s5
	v_add3_u32 v9, v26, s7, 40
	s_delay_alu instid0(VALU_DEP_1)
	v_cmp_gt_u32_e64 s3, s4, v9
	s_and_b32 exec_lo, exec_lo, s3
	s_cbranch_execz .LBB159_3
; %bb.48:
	v_mul_lo_u32 v9, v9, s6
	s_and_saveexec_b32 s5, vcc_lo
	s_cbranch_execnz .LBB159_76
; %bb.49:
	s_or_b32 exec_lo, exec_lo, s5
	s_and_saveexec_b32 s5, s0
	s_cbranch_execnz .LBB159_77
.LBB159_50:
	s_or_b32 exec_lo, exec_lo, s5
	s_and_saveexec_b32 s5, s1
	s_cbranch_execnz .LBB159_78
.LBB159_51:
	s_or_b32 exec_lo, exec_lo, s5
	s_and_saveexec_b32 s5, s2
	s_cbranch_execz .LBB159_53
.LBB159_52:
	v_bfe_u32 v10, v11, 16, 1
	v_cmp_o_f32_e64 s3, v11, v11
	v_add_nc_u32_e32 v9, v9, v29
	s_delay_alu instid0(VALU_DEP_3) | instskip(NEXT) | instid1(VALU_DEP_1)
	v_add3_u32 v10, v11, v10, 0x7fff
	v_lshrrev_b32_e32 v10, 16, v10
	s_delay_alu instid0(VALU_DEP_1)
	v_cndmask_b32_e64 v10, 0x7fc0, v10, s3
	s_wait_kmcnt 0x0
	global_store_b16 v9, v10, s[8:9] scale_offset
.LBB159_53:
	s_wait_xcnt 0x0
	s_or_b32 exec_lo, exec_lo, s5
	v_add3_u32 v9, v26, s7, 48
	s_delay_alu instid0(VALU_DEP_1)
	v_cmp_gt_u32_e64 s3, s4, v9
	s_and_b32 exec_lo, exec_lo, s3
	s_cbranch_execz .LBB159_3
; %bb.54:
	v_mul_lo_u32 v9, v9, s6
	s_and_saveexec_b32 s5, vcc_lo
	s_cbranch_execnz .LBB159_79
; %bb.55:
	s_or_b32 exec_lo, exec_lo, s5
	s_and_saveexec_b32 s5, s0
	s_cbranch_execnz .LBB159_80
.LBB159_56:
	s_or_b32 exec_lo, exec_lo, s5
	s_and_saveexec_b32 s5, s1
	s_cbranch_execnz .LBB159_81
.LBB159_57:
	s_or_b32 exec_lo, exec_lo, s5
	s_and_saveexec_b32 s5, s2
	s_cbranch_execz .LBB159_59
.LBB159_58:
	v_bfe_u32 v2, v0, 16, 1
	v_cmp_o_f32_e64 s3, v0, v0
	s_delay_alu instid0(VALU_DEP_2) | instskip(NEXT) | instid1(VALU_DEP_1)
	v_add3_u32 v2, v0, v2, 0x7fff
	v_lshrrev_b32_e32 v2, 16, v2
	s_delay_alu instid0(VALU_DEP_1)
	v_cndmask_b32_e64 v0, 0x7fc0, v2, s3
	v_add_nc_u32_e32 v2, v9, v29
	s_wait_kmcnt 0x0
	global_store_b16 v2, v0, s[8:9] scale_offset
.LBB159_59:
	s_wait_xcnt 0x0
	s_or_b32 exec_lo, exec_lo, s5
	v_add3_u32 v0, v26, s7, 56
	s_delay_alu instid0(VALU_DEP_1)
	v_cmp_gt_u32_e64 s3, s4, v0
	s_and_b32 exec_lo, exec_lo, s3
	s_cbranch_execz .LBB159_3
; %bb.60:
	v_mul_lo_u32 v0, v0, s6
	s_and_saveexec_b32 s3, vcc_lo
	s_cbranch_execnz .LBB159_82
; %bb.61:
	s_or_b32 exec_lo, exec_lo, s3
	s_and_saveexec_b32 s3, s0
	s_cbranch_execnz .LBB159_83
.LBB159_62:
	s_or_b32 exec_lo, exec_lo, s3
	s_and_saveexec_b32 s0, s1
	s_cbranch_execnz .LBB159_84
.LBB159_63:
	s_or_b32 exec_lo, exec_lo, s0
	s_delay_alu instid0(SALU_CYCLE_1)
	s_and_b32 exec_lo, exec_lo, s2
	s_cbranch_execz .LBB159_3
	s_branch .LBB159_85
.LBB159_64:
	v_bfe_u32 v31, v37, 16, 1
	v_cmp_o_f32_e64 s3, v37, v37
	s_delay_alu instid0(VALU_DEP_3) | instskip(NEXT) | instid1(VALU_DEP_3)
	v_add_nc_u32_e32 v32, v30, v27
	v_add3_u32 v31, v37, v31, 0x7fff
	s_delay_alu instid0(VALU_DEP_1) | instskip(NEXT) | instid1(VALU_DEP_1)
	v_lshrrev_b32_e32 v31, 16, v31
	v_cndmask_b32_e64 v31, 0x7fc0, v31, s3
	s_wait_kmcnt 0x0
	global_store_b16 v32, v31, s[8:9] scale_offset
	s_wait_xcnt 0x0
	s_or_b32 exec_lo, exec_lo, s5
	s_and_saveexec_b32 s5, s0
	s_cbranch_execz .LBB159_26
.LBB159_65:
	v_bfe_u32 v31, v9, 16, 1
	v_cmp_o_f32_e64 s3, v9, v9
	s_delay_alu instid0(VALU_DEP_2) | instskip(NEXT) | instid1(VALU_DEP_1)
	v_add3_u32 v31, v9, v31, 0x7fff
	v_lshrrev_b32_e32 v31, 16, v31
	s_delay_alu instid0(VALU_DEP_1)
	v_cndmask_b32_e64 v9, 0x7fc0, v31, s3
	v_add_nc_u32_e32 v31, v30, v28
	s_wait_kmcnt 0x0
	global_store_b16 v31, v9, s[8:9] scale_offset
	s_wait_xcnt 0x0
	s_or_b32 exec_lo, exec_lo, s5
	s_and_saveexec_b32 s5, s1
	s_cbranch_execz .LBB159_27
.LBB159_66:
	v_bfe_u32 v9, v35, 16, 1
	v_cmp_o_f32_e64 s3, v35, v35
	v_add_nc_u32_e32 v31, v30, v6
	s_delay_alu instid0(VALU_DEP_3) | instskip(NEXT) | instid1(VALU_DEP_1)
	v_add3_u32 v9, v35, v9, 0x7fff
	v_lshrrev_b32_e32 v9, 16, v9
	s_delay_alu instid0(VALU_DEP_1)
	v_cndmask_b32_e64 v9, 0x7fc0, v9, s3
	s_wait_kmcnt 0x0
	global_store_b16 v31, v9, s[8:9] scale_offset
	s_wait_xcnt 0x0
	s_or_b32 exec_lo, exec_lo, s5
	s_and_saveexec_b32 s5, s2
	s_cbranch_execnz .LBB159_28
	s_branch .LBB159_29
.LBB159_67:
	v_bfe_u32 v30, v24, 16, 1
	v_cmp_o_f32_e64 s3, v24, v24
	s_delay_alu instid0(VALU_DEP_2) | instskip(NEXT) | instid1(VALU_DEP_1)
	v_add3_u32 v30, v24, v30, 0x7fff
	v_lshrrev_b32_e32 v30, 16, v30
	s_delay_alu instid0(VALU_DEP_1)
	v_cndmask_b32_e64 v24, 0x7fc0, v30, s3
	v_add_nc_u32_e32 v30, v9, v27
	s_wait_kmcnt 0x0
	global_store_b16 v30, v24, s[8:9] scale_offset
	s_wait_xcnt 0x0
	s_or_b32 exec_lo, exec_lo, s5
	s_and_saveexec_b32 s5, s0
	s_cbranch_execz .LBB159_32
.LBB159_68:
	v_bfe_u32 v24, v22, 16, 1
	v_cmp_o_f32_e64 s3, v22, v22
	s_delay_alu instid0(VALU_DEP_2) | instskip(NEXT) | instid1(VALU_DEP_1)
	v_add3_u32 v24, v22, v24, 0x7fff
	v_lshrrev_b32_e32 v24, 16, v24
	s_delay_alu instid0(VALU_DEP_1)
	v_cndmask_b32_e64 v22, 0x7fc0, v24, s3
	v_add_nc_u32_e32 v24, v9, v28
	s_wait_kmcnt 0x0
	global_store_b16 v24, v22, s[8:9] scale_offset
	s_wait_xcnt 0x0
	s_or_b32 exec_lo, exec_lo, s5
	s_and_saveexec_b32 s5, s1
	s_cbranch_execz .LBB159_33
.LBB159_69:
	v_bfe_u32 v22, v20, 16, 1
	v_cmp_o_f32_e64 s3, v20, v20
	s_delay_alu instid0(VALU_DEP_2) | instskip(NEXT) | instid1(VALU_DEP_1)
	v_add3_u32 v22, v20, v22, 0x7fff
	v_lshrrev_b32_e32 v22, 16, v22
	s_delay_alu instid0(VALU_DEP_1)
	v_cndmask_b32_e64 v20, 0x7fc0, v22, s3
	v_add_nc_u32_e32 v22, v9, v6
	s_wait_kmcnt 0x0
	global_store_b16 v22, v20, s[8:9] scale_offset
	s_wait_xcnt 0x0
	s_or_b32 exec_lo, exec_lo, s5
	s_and_saveexec_b32 s5, s2
	s_cbranch_execnz .LBB159_34
	s_branch .LBB159_35
.LBB159_70:
	v_bfe_u32 v18, v25, 16, 1
	v_cmp_o_f32_e64 s3, v25, v25
	s_delay_alu instid0(VALU_DEP_3) | instskip(NEXT) | instid1(VALU_DEP_3)
	v_add_nc_u32_e32 v20, v9, v27
	v_add3_u32 v18, v25, v18, 0x7fff
	s_delay_alu instid0(VALU_DEP_1) | instskip(NEXT) | instid1(VALU_DEP_1)
	v_lshrrev_b32_e32 v18, 16, v18
	v_cndmask_b32_e64 v18, 0x7fc0, v18, s3
	s_wait_kmcnt 0x0
	global_store_b16 v20, v18, s[8:9] scale_offset
	s_wait_xcnt 0x0
	s_or_b32 exec_lo, exec_lo, s5
	s_and_saveexec_b32 s5, s0
	s_cbranch_execz .LBB159_38
.LBB159_71:
	v_bfe_u32 v18, v23, 16, 1
	v_cmp_o_f32_e64 s3, v23, v23
	s_delay_alu instid0(VALU_DEP_3) | instskip(NEXT) | instid1(VALU_DEP_3)
	v_add_nc_u32_e32 v20, v9, v28
	v_add3_u32 v18, v23, v18, 0x7fff
	s_delay_alu instid0(VALU_DEP_1) | instskip(NEXT) | instid1(VALU_DEP_1)
	v_lshrrev_b32_e32 v18, 16, v18
	v_cndmask_b32_e64 v18, 0x7fc0, v18, s3
	s_wait_kmcnt 0x0
	global_store_b16 v20, v18, s[8:9] scale_offset
	s_wait_xcnt 0x0
	s_or_b32 exec_lo, exec_lo, s5
	s_and_saveexec_b32 s5, s1
	s_cbranch_execz .LBB159_39
.LBB159_72:
	v_bfe_u32 v18, v21, 16, 1
	v_cmp_o_f32_e64 s3, v21, v21
	v_add_nc_u32_e32 v20, v9, v6
	s_delay_alu instid0(VALU_DEP_3) | instskip(NEXT) | instid1(VALU_DEP_1)
	v_add3_u32 v18, v21, v18, 0x7fff
	v_lshrrev_b32_e32 v18, 16, v18
	s_delay_alu instid0(VALU_DEP_1)
	v_cndmask_b32_e64 v18, 0x7fc0, v18, s3
	s_wait_kmcnt 0x0
	global_store_b16 v20, v18, s[8:9] scale_offset
	s_wait_xcnt 0x0
	s_or_b32 exec_lo, exec_lo, s5
	s_and_saveexec_b32 s5, s2
	s_cbranch_execnz .LBB159_40
	s_branch .LBB159_41
.LBB159_73:
	v_bfe_u32 v18, v16, 16, 1
	v_cmp_o_f32_e64 s3, v16, v16
	s_delay_alu instid0(VALU_DEP_2) | instskip(NEXT) | instid1(VALU_DEP_1)
	v_add3_u32 v18, v16, v18, 0x7fff
	v_lshrrev_b32_e32 v18, 16, v18
	s_delay_alu instid0(VALU_DEP_1)
	v_cndmask_b32_e64 v16, 0x7fc0, v18, s3
	v_add_nc_u32_e32 v18, v9, v27
	s_wait_kmcnt 0x0
	global_store_b16 v18, v16, s[8:9] scale_offset
	s_wait_xcnt 0x0
	s_or_b32 exec_lo, exec_lo, s5
	s_and_saveexec_b32 s5, s0
	s_cbranch_execz .LBB159_44
.LBB159_74:
	v_bfe_u32 v16, v14, 16, 1
	v_cmp_o_f32_e64 s3, v14, v14
	s_delay_alu instid0(VALU_DEP_2) | instskip(NEXT) | instid1(VALU_DEP_1)
	v_add3_u32 v16, v14, v16, 0x7fff
	v_lshrrev_b32_e32 v16, 16, v16
	s_delay_alu instid0(VALU_DEP_1)
	v_cndmask_b32_e64 v14, 0x7fc0, v16, s3
	v_add_nc_u32_e32 v16, v9, v28
	s_wait_kmcnt 0x0
	global_store_b16 v16, v14, s[8:9] scale_offset
	s_wait_xcnt 0x0
	s_or_b32 exec_lo, exec_lo, s5
	s_and_saveexec_b32 s5, s1
	s_cbranch_execz .LBB159_45
.LBB159_75:
	v_bfe_u32 v14, v12, 16, 1
	v_cmp_o_f32_e64 s3, v12, v12
	s_delay_alu instid0(VALU_DEP_2) | instskip(NEXT) | instid1(VALU_DEP_1)
	v_add3_u32 v14, v12, v14, 0x7fff
	v_lshrrev_b32_e32 v14, 16, v14
	s_delay_alu instid0(VALU_DEP_1)
	v_cndmask_b32_e64 v12, 0x7fc0, v14, s3
	v_add_nc_u32_e32 v14, v9, v6
	s_wait_kmcnt 0x0
	global_store_b16 v14, v12, s[8:9] scale_offset
	s_wait_xcnt 0x0
	s_or_b32 exec_lo, exec_lo, s5
	s_and_saveexec_b32 s5, s2
	s_cbranch_execnz .LBB159_46
	s_branch .LBB159_47
.LBB159_76:
	v_bfe_u32 v10, v17, 16, 1
	v_cmp_o_f32_e64 s3, v17, v17
	s_delay_alu instid0(VALU_DEP_3) | instskip(NEXT) | instid1(VALU_DEP_3)
	v_add_nc_u32_e32 v12, v9, v27
	v_add3_u32 v10, v17, v10, 0x7fff
	s_delay_alu instid0(VALU_DEP_1) | instskip(NEXT) | instid1(VALU_DEP_1)
	v_lshrrev_b32_e32 v10, 16, v10
	v_cndmask_b32_e64 v10, 0x7fc0, v10, s3
	s_wait_kmcnt 0x0
	global_store_b16 v12, v10, s[8:9] scale_offset
	s_wait_xcnt 0x0
	s_or_b32 exec_lo, exec_lo, s5
	s_and_saveexec_b32 s5, s0
	s_cbranch_execz .LBB159_50
.LBB159_77:
	v_bfe_u32 v10, v15, 16, 1
	v_cmp_o_f32_e64 s3, v15, v15
	s_delay_alu instid0(VALU_DEP_3) | instskip(NEXT) | instid1(VALU_DEP_3)
	v_add_nc_u32_e32 v12, v9, v28
	v_add3_u32 v10, v15, v10, 0x7fff
	s_delay_alu instid0(VALU_DEP_1) | instskip(NEXT) | instid1(VALU_DEP_1)
	v_lshrrev_b32_e32 v10, 16, v10
	v_cndmask_b32_e64 v10, 0x7fc0, v10, s3
	s_wait_kmcnt 0x0
	global_store_b16 v12, v10, s[8:9] scale_offset
	s_wait_xcnt 0x0
	s_or_b32 exec_lo, exec_lo, s5
	s_and_saveexec_b32 s5, s1
	s_cbranch_execz .LBB159_51
.LBB159_78:
	v_bfe_u32 v10, v13, 16, 1
	v_cmp_o_f32_e64 s3, v13, v13
	v_add_nc_u32_e32 v12, v9, v6
	s_delay_alu instid0(VALU_DEP_3) | instskip(NEXT) | instid1(VALU_DEP_1)
	v_add3_u32 v10, v13, v10, 0x7fff
	v_lshrrev_b32_e32 v10, 16, v10
	s_delay_alu instid0(VALU_DEP_1)
	v_cndmask_b32_e64 v10, 0x7fc0, v10, s3
	s_wait_kmcnt 0x0
	global_store_b16 v12, v10, s[8:9] scale_offset
	s_wait_xcnt 0x0
	s_or_b32 exec_lo, exec_lo, s5
	s_and_saveexec_b32 s5, s2
	s_cbranch_execnz .LBB159_52
	s_branch .LBB159_53
.LBB159_79:
	v_bfe_u32 v10, v8, 16, 1
	v_cmp_o_f32_e64 s3, v8, v8
	s_delay_alu instid0(VALU_DEP_2) | instskip(NEXT) | instid1(VALU_DEP_1)
	v_add3_u32 v10, v8, v10, 0x7fff
	v_lshrrev_b32_e32 v10, 16, v10
	s_delay_alu instid0(VALU_DEP_1)
	v_cndmask_b32_e64 v8, 0x7fc0, v10, s3
	v_add_nc_u32_e32 v10, v9, v27
	s_wait_kmcnt 0x0
	global_store_b16 v10, v8, s[8:9] scale_offset
	s_wait_xcnt 0x0
	s_or_b32 exec_lo, exec_lo, s5
	s_and_saveexec_b32 s5, s0
	s_cbranch_execz .LBB159_56
.LBB159_80:
	v_bfe_u32 v8, v4, 16, 1
	v_cmp_o_f32_e64 s3, v4, v4
	s_delay_alu instid0(VALU_DEP_2) | instskip(NEXT) | instid1(VALU_DEP_1)
	v_add3_u32 v8, v4, v8, 0x7fff
	v_lshrrev_b32_e32 v8, 16, v8
	s_delay_alu instid0(VALU_DEP_1)
	v_cndmask_b32_e64 v4, 0x7fc0, v8, s3
	v_add_nc_u32_e32 v8, v9, v28
	s_wait_kmcnt 0x0
	global_store_b16 v8, v4, s[8:9] scale_offset
	s_wait_xcnt 0x0
	s_or_b32 exec_lo, exec_lo, s5
	s_and_saveexec_b32 s5, s1
	s_cbranch_execz .LBB159_57
.LBB159_81:
	v_bfe_u32 v4, v2, 16, 1
	v_cmp_o_f32_e64 s3, v2, v2
	s_delay_alu instid0(VALU_DEP_2) | instskip(NEXT) | instid1(VALU_DEP_1)
	v_add3_u32 v4, v2, v4, 0x7fff
	v_lshrrev_b32_e32 v4, 16, v4
	s_delay_alu instid0(VALU_DEP_1)
	v_cndmask_b32_e64 v2, 0x7fc0, v4, s3
	v_add_nc_u32_e32 v4, v9, v6
	s_wait_kmcnt 0x0
	global_store_b16 v4, v2, s[8:9] scale_offset
	s_wait_xcnt 0x0
	s_or_b32 exec_lo, exec_lo, s5
	s_and_saveexec_b32 s5, s2
	s_cbranch_execnz .LBB159_58
	s_branch .LBB159_59
.LBB159_82:
	v_bfe_u32 v2, v7, 16, 1
	v_cmp_o_f32_e32 vcc_lo, v7, v7
	s_delay_alu instid0(VALU_DEP_3) | instskip(NEXT) | instid1(VALU_DEP_3)
	v_add_nc_u32_e32 v4, v0, v27
	v_add3_u32 v2, v7, v2, 0x7fff
	s_delay_alu instid0(VALU_DEP_1) | instskip(NEXT) | instid1(VALU_DEP_1)
	v_lshrrev_b32_e32 v2, 16, v2
	v_cndmask_b32_e32 v2, 0x7fc0, v2, vcc_lo
	s_wait_kmcnt 0x0
	global_store_b16 v4, v2, s[8:9] scale_offset
	s_wait_xcnt 0x0
	s_or_b32 exec_lo, exec_lo, s3
	s_and_saveexec_b32 s3, s0
	s_cbranch_execz .LBB159_62
.LBB159_83:
	v_bfe_u32 v2, v5, 16, 1
	v_cmp_o_f32_e32 vcc_lo, v5, v5
	s_delay_alu instid0(VALU_DEP_3) | instskip(NEXT) | instid1(VALU_DEP_3)
	v_add_nc_u32_e32 v4, v0, v28
	v_add3_u32 v2, v5, v2, 0x7fff
	s_delay_alu instid0(VALU_DEP_1) | instskip(NEXT) | instid1(VALU_DEP_1)
	v_lshrrev_b32_e32 v2, 16, v2
	v_cndmask_b32_e32 v2, 0x7fc0, v2, vcc_lo
	s_wait_kmcnt 0x0
	global_store_b16 v4, v2, s[8:9] scale_offset
	s_wait_xcnt 0x0
	s_or_b32 exec_lo, exec_lo, s3
	s_and_saveexec_b32 s0, s1
	s_cbranch_execz .LBB159_63
.LBB159_84:
	v_bfe_u32 v2, v3, 16, 1
	v_cmp_o_f32_e32 vcc_lo, v3, v3
	s_delay_alu instid0(VALU_DEP_2) | instskip(SKIP_1) | instid1(VALU_DEP_2)
	v_add3_u32 v2, v3, v2, 0x7fff
	v_add_nc_u32_e32 v3, v0, v6
	v_lshrrev_b32_e32 v2, 16, v2
	s_delay_alu instid0(VALU_DEP_1) | instskip(SKIP_4) | instid1(SALU_CYCLE_1)
	v_cndmask_b32_e32 v2, 0x7fc0, v2, vcc_lo
	s_wait_kmcnt 0x0
	global_store_b16 v3, v2, s[8:9] scale_offset
	s_wait_xcnt 0x0
	s_or_b32 exec_lo, exec_lo, s0
	s_and_b32 exec_lo, exec_lo, s2
	s_cbranch_execz .LBB159_3
.LBB159_85:
	v_bfe_u32 v2, v1, 16, 1
	v_cmp_o_f32_e32 vcc_lo, v1, v1
	v_add_nc_u32_e32 v0, v0, v29
	s_delay_alu instid0(VALU_DEP_3) | instskip(NEXT) | instid1(VALU_DEP_1)
	v_add3_u32 v2, v1, v2, 0x7fff
	v_lshrrev_b32_e32 v2, 16, v2
	s_delay_alu instid0(VALU_DEP_1)
	v_cndmask_b32_e32 v1, 0x7fc0, v2, vcc_lo
	s_wait_kmcnt 0x0
	global_store_b16 v0, v1, s[8:9] scale_offset
	s_sendmsg sendmsg(MSG_DEALLOC_VGPRS)
	s_endpgm
	.section	.rodata,"a",@progbits
	.p2align	6, 0x0
	.amdhsa_kernel _ZL12mul_mat_q4_1IN3c108BFloat16ELb0EEvPKvS3_PT_iiiii
		.amdhsa_group_segment_fixed_size 30336
		.amdhsa_private_segment_fixed_size 0
		.amdhsa_kernarg_size 44
		.amdhsa_user_sgpr_count 2
		.amdhsa_user_sgpr_dispatch_ptr 0
		.amdhsa_user_sgpr_queue_ptr 0
		.amdhsa_user_sgpr_kernarg_segment_ptr 1
		.amdhsa_user_sgpr_dispatch_id 0
		.amdhsa_user_sgpr_kernarg_preload_length 0
		.amdhsa_user_sgpr_kernarg_preload_offset 0
		.amdhsa_user_sgpr_private_segment_size 0
		.amdhsa_wavefront_size32 1
		.amdhsa_uses_dynamic_stack 0
		.amdhsa_enable_private_segment 0
		.amdhsa_system_sgpr_workgroup_id_x 1
		.amdhsa_system_sgpr_workgroup_id_y 1
		.amdhsa_system_sgpr_workgroup_id_z 0
		.amdhsa_system_sgpr_workgroup_info 0
		.amdhsa_system_vgpr_workitem_id 1
		.amdhsa_next_free_vgpr 455
		.amdhsa_next_free_sgpr 20
		.amdhsa_named_barrier_count 0
		.amdhsa_reserve_vcc 1
		.amdhsa_float_round_mode_32 0
		.amdhsa_float_round_mode_16_64 0
		.amdhsa_float_denorm_mode_32 3
		.amdhsa_float_denorm_mode_16_64 3
		.amdhsa_fp16_overflow 0
		.amdhsa_memory_ordered 1
		.amdhsa_forward_progress 1
		.amdhsa_inst_pref_size 255
		.amdhsa_round_robin_scheduling 0
		.amdhsa_exception_fp_ieee_invalid_op 0
		.amdhsa_exception_fp_denorm_src 0
		.amdhsa_exception_fp_ieee_div_zero 0
		.amdhsa_exception_fp_ieee_overflow 0
		.amdhsa_exception_fp_ieee_underflow 0
		.amdhsa_exception_fp_ieee_inexact 0
		.amdhsa_exception_int_div_zero 0
	.end_amdhsa_kernel
	.section	.text._ZL12mul_mat_q4_1IN3c108BFloat16ELb0EEvPKvS3_PT_iiiii,"axG",@progbits,_ZL12mul_mat_q4_1IN3c108BFloat16ELb0EEvPKvS3_PT_iiiii,comdat
.Lfunc_end159:
	.size	_ZL12mul_mat_q4_1IN3c108BFloat16ELb0EEvPKvS3_PT_iiiii, .Lfunc_end159-_ZL12mul_mat_q4_1IN3c108BFloat16ELb0EEvPKvS3_PT_iiiii
                                        ; -- End function
	.set _ZL12mul_mat_q4_1IN3c108BFloat16ELb0EEvPKvS3_PT_iiiii.num_vgpr, 455
	.set _ZL12mul_mat_q4_1IN3c108BFloat16ELb0EEvPKvS3_PT_iiiii.num_agpr, 0
	.set _ZL12mul_mat_q4_1IN3c108BFloat16ELb0EEvPKvS3_PT_iiiii.numbered_sgpr, 20
	.set _ZL12mul_mat_q4_1IN3c108BFloat16ELb0EEvPKvS3_PT_iiiii.num_named_barrier, 0
	.set _ZL12mul_mat_q4_1IN3c108BFloat16ELb0EEvPKvS3_PT_iiiii.private_seg_size, 0
	.set _ZL12mul_mat_q4_1IN3c108BFloat16ELb0EEvPKvS3_PT_iiiii.uses_vcc, 1
	.set _ZL12mul_mat_q4_1IN3c108BFloat16ELb0EEvPKvS3_PT_iiiii.uses_flat_scratch, 0
	.set _ZL12mul_mat_q4_1IN3c108BFloat16ELb0EEvPKvS3_PT_iiiii.has_dyn_sized_stack, 0
	.set _ZL12mul_mat_q4_1IN3c108BFloat16ELb0EEvPKvS3_PT_iiiii.has_recursion, 0
	.set _ZL12mul_mat_q4_1IN3c108BFloat16ELb0EEvPKvS3_PT_iiiii.has_indirect_call, 0
	.section	.AMDGPU.csdata,"",@progbits
; Kernel info:
; codeLenInByte = 42872
; TotalNumSgprs: 22
; NumVgprs: 455
; ScratchSize: 0
; MemoryBound: 0
; FloatMode: 240
; IeeeMode: 1
; LDSByteSize: 30336 bytes/workgroup (compile time only)
; SGPRBlocks: 0
; VGPRBlocks: 28
; NumSGPRsForWavesPerEU: 22
; NumVGPRsForWavesPerEU: 455
; NamedBarCnt: 0
; Occupancy: 2
; WaveLimiterHint : 0
; COMPUTE_PGM_RSRC2:SCRATCH_EN: 0
; COMPUTE_PGM_RSRC2:USER_SGPR: 2
; COMPUTE_PGM_RSRC2:TRAP_HANDLER: 0
; COMPUTE_PGM_RSRC2:TGID_X_EN: 1
; COMPUTE_PGM_RSRC2:TGID_Y_EN: 1
; COMPUTE_PGM_RSRC2:TGID_Z_EN: 0
; COMPUTE_PGM_RSRC2:TIDIG_COMP_CNT: 1
	.section	.text._ZL12mul_mat_q4_1IN3c108BFloat16ELb1EEvPKvS3_PT_iiiii,"axG",@progbits,_ZL12mul_mat_q4_1IN3c108BFloat16ELb1EEvPKvS3_PT_iiiii,comdat
	.globl	_ZL12mul_mat_q4_1IN3c108BFloat16ELb1EEvPKvS3_PT_iiiii ; -- Begin function _ZL12mul_mat_q4_1IN3c108BFloat16ELb1EEvPKvS3_PT_iiiii
	.p2align	8
	.type	_ZL12mul_mat_q4_1IN3c108BFloat16ELb1EEvPKvS3_PT_iiiii,@function
_ZL12mul_mat_q4_1IN3c108BFloat16ELb1EEvPKvS3_PT_iiiii: ; @_ZL12mul_mat_q4_1IN3c108BFloat16ELb1EEvPKvS3_PT_iiiii
; %bb.0:
	s_clause 0x1
	s_load_b128 s[4:7], s[0:1], 0x18
	s_load_b32 s12, s[0:1], 0x28
	s_bfe_u32 s2, ttmp6, 0x4000c
	s_bfe_u32 s8, ttmp6, 0x40010
	s_add_co_i32 s2, s2, 1
	s_and_b32 s3, ttmp6, 15
	s_mul_i32 s2, ttmp9, s2
	s_add_co_i32 s8, s8, 1
	s_add_co_i32 s3, s3, s2
	s_mul_i32 s2, ttmp7, s8
	s_bfe_u32 s8, ttmp6, 0x40004
	s_getreg_b32 s9, hwreg(HW_REG_IB_STS2, 6, 4)
	s_add_co_i32 s8, s8, s2
	s_cmp_eq_u32 s9, 0
	v_bfe_u32 v19, v0, 10, 10
	s_cselect_b32 s8, ttmp7, s8
	v_and_b32_e32 v37, 0x3ff, v0
	s_cselect_b32 s2, ttmp9, s3
	s_lshl_b32 s13, s8, 6
	s_mov_b32 s3, 0
	s_wait_kmcnt 0x0
	s_cmp_gt_i32 s4, 31
	s_cbranch_scc1 .LBB160_4
; %bb.1:
	v_bfe_u32 v18, v0, 10, 10
	v_and_b32_e32 v20, 0x3ff, v0
	s_delay_alu instid0(VALU_DEP_2)
	v_add_nc_u32_e32 v41, s13, v18
	s_load_b64 s[8:9], s[0:1], 0x10
	s_and_not1_b32 vcc_lo, exec_lo, s3
	s_lshl_b32 s14, s2, 7
	s_cbranch_vccz .LBB160_5
; %bb.2:
	v_dual_mov_b32 v11, 0 :: v_dual_mov_b32 v10, 0
	v_mov_b64_e32 v[0:1], 0
	v_mov_b64_e32 v[30:31], 0
	;; [unrolled: 1-line block ×7, first 2 shown]
	v_dual_mov_b32 v23, 0 :: v_dual_mov_b32 v22, 0
	v_dual_mov_b32 v13, 0 :: v_dual_mov_b32 v12, 0
	;; [unrolled: 1-line block ×8, first 2 shown]
	s_wait_xcnt 0x0
	s_mov_b32 s0, exec_lo
	v_cmpx_gt_u32_e64 s6, v41
	s_cbranch_execnz .LBB160_15
.LBB160_3:
	s_sendmsg sendmsg(MSG_DEALLOC_VGPRS)
	s_endpgm
.LBB160_4:
                                        ; implicit-def: $vgpr18
                                        ; implicit-def: $vgpr20
                                        ; implicit-def: $vgpr41
	s_load_b64 s[8:9], s[0:1], 0x10
	s_lshl_b32 s14, s2, 7
.LBB160_5:
	s_delay_alu instid0(SALU_CYCLE_1) | instskip(SKIP_2) | instid1(SALU_CYCLE_1)
	s_not_b32 s15, s14
	v_dual_mov_b32 v21, 0 :: v_dual_lshlrev_b32 v1, 2, v37
	s_add_co_i32 s5, s5, s15
	v_dual_add_nc_u32 v24, 8, v19 :: v_dual_min_i32 v25, s5, v19
	s_delay_alu instid0(VALU_DEP_2) | instskip(NEXT) | instid1(VALU_DEP_2)
	v_dual_add_nc_u32 v41, s13, v19 :: v_dual_bitop2_b32 v20, 12, v1 bitop3:0x40
	v_dual_add_nc_u32 v27, 16, v19 :: v_dual_min_i32 v26, s5, v24
	s_ashr_i32 s10, s4, 31
	s_ashr_i32 s11, s7, 31
	s_lshr_b32 s10, s10, 27
	s_delay_alu instid0(VALU_DEP_1)
	v_dual_add_nc_u32 v6, 8, v41 :: v_dual_min_i32 v29, s5, v27
	v_dual_add_nc_u32 v8, 16, v41 :: v_dual_add_nc_u32 v10, 24, v41
	v_dual_add_nc_u32 v12, 32, v41 :: v_dual_add_nc_u32 v14, 40, v41
	;; [unrolled: 1-line block ×3, first 2 shown]
	s_lshr_b32 s11, s11, 27
	s_add_co_i32 s4, s4, s10
	v_bfe_u32 v43, v0, 3, 7
	s_ashr_i32 s15, s4, 5
	s_add_co_i32 s4, s7, s11
	s_add_co_i32 s7, s6, -1
	v_cvt_f64_u32_e32 v[4:5], v41
	v_cvt_f64_i32_e32 v[2:3], s7
	v_cvt_f64_u32_e32 v[6:7], v6
	v_cvt_f64_u32_e32 v[8:9], v8
	;; [unrolled: 1-line block ×7, first 2 shown]
	v_lshl_add_u32 v28, v19, 2, v43
	v_dual_add_nc_u32 v30, 24, v19 :: v_dual_add_nc_u32 v38, 40, v19
	v_dual_add_nc_u32 v39, 48, v19 :: v_dual_bitop2_b32 v36, 7, v0 bitop3:0x40
	s_delay_alu instid0(VALU_DEP_3) | instskip(NEXT) | instid1(VALU_DEP_3)
	v_dual_add_nc_u32 v32, 32, v19 :: v_dual_min_i32 v31, s5, v28
	v_min_i32_e32 v33, s5, v30
	v_add_min_i32_e64 v74, v28, 32, s5
	s_delay_alu instid0(VALU_DEP_4) | instskip(NEXT) | instid1(VALU_DEP_4)
	v_min_i32_e32 v52, s5, v39
	v_dual_ashrrev_i32 v34, 31, v31 :: v_dual_min_i32 v35, s5, v32
	v_add_min_i32_e64 v76, v28, 64, s5
	s_delay_alu instid0(VALU_DEP_4) | instskip(NEXT) | instid1(VALU_DEP_3)
	v_dual_ashrrev_i32 v42, 31, v74 :: v_dual_lshlrev_b32 v44, 2, v36
	v_lshrrev_b32_e32 v34, 30, v34
	v_add_min_i32_e64 v28, 0x60, v28, s5
	v_dual_add_nc_u32 v40, 56, v19 :: v_dual_min_i32 v50, s5, v38
	s_delay_alu instid0(VALU_DEP_4) | instskip(NEXT) | instid1(VALU_DEP_3)
	v_lshrrev_b32_e32 v42, 30, v42
	v_dual_add_nc_u32 v34, v31, v34 :: v_dual_ashrrev_i32 v48, 31, v28
	v_bfe_u32 v18, v0, 2, 8
	v_dual_min_num_f64 v[4:5], v[4:5], v[2:3] :: v_dual_ashrrev_i32 v46, 31, v76
	s_delay_alu instid0(VALU_DEP_3)
	v_and_b32_e32 v34, -4, v34
	v_min_num_f64_e32 v[8:9], v[8:9], v[2:3]
	v_min_num_f64_e32 v[10:11], v[10:11], v[2:3]
	;; [unrolled: 1-line block ×4, first 2 shown]
	v_dual_min_num_f64 v[16:17], v[16:17], v[2:3] :: v_dual_lshrrev_b32 v48, 30, v48
	v_min_num_f64_e32 v[6:7], v[6:7], v[2:3]
	v_min_num_f64_e32 v[2:3], v[22:23], v[2:3]
	v_lshl_add_u32 v54, v19, 3, v18
	v_add_nc_u32_e32 v22, v74, v42
	s_ashr_i32 s4, s4, 5
	s_wait_xcnt 0x0
	s_load_b128 s[0:3], s[0:1], 0x0
	v_add3_u32 v34, v34, v44, 0x6200
	v_and_b32_e32 v23, 63, v54
	v_and_b32_e32 v54, 3, v0
	v_add_min_i32_e64 v64, 0x60, v19, s5
	v_add_min_i32_e64 v66, 0x68, v19, s5
	;; [unrolled: 1-line block ×4, first 2 shown]
	v_lshlrev_b32_e32 v56, 2, v54
	v_lshrrev_b32_e32 v46, 30, v46
	v_mad_u32 v45, 0x84, v25, v1
	v_mad_u32 v47, 0x84, v26, v1
	;; [unrolled: 1-line block ×4, first 2 shown]
	v_add_nc_u32_e32 v42, v76, v46
	v_dual_add_nc_u32 v46, v28, v48 :: v_dual_bitop2_b32 v48, s13, v23 bitop3:0x54
	v_mad_u32 v53, 0x84, v35, v1
	v_mad_u32 v55, 0x84, v50, v1
	v_cvt_i32_f64_e32 v4, v[4:5]
	s_delay_alu instid0(VALU_DEP_4) | instskip(SKIP_4) | instid1(VALU_DEP_4)
	v_and_b32_e32 v46, -4, v46
	v_min_i32_e32 v48, s7, v48
	v_and_b32_e32 v42, -4, v42
	v_dual_lshlrev_b32 v5, 5, v31 :: v_dual_bitop2_b32 v22, -4, v22 bitop3:0x40
	v_mad_u32 v59, 0x84, v52, v1
	v_mad_u32 v57, v48, s4, v54
	v_min_i32_e32 v54, s5, v40
	v_cvt_i32_f64_e32 v6, v[6:7]
	v_cvt_i32_f64_e32 v7, v[8:9]
	v_cvt_i32_f64_e32 v8, v[10:11]
	v_cvt_i32_f64_e32 v9, v[12:13]
	v_add_nc_u32_e32 v13, 64, v37
	v_cvt_i32_f64_e32 v10, v[14:15]
	v_cvt_i32_f64_e32 v2, v[2:3]
	v_add_nc_u32_e32 v14, 32, v37
	v_cvt_i32_f64_e32 v11, v[16:17]
	v_add_nc_u32_e32 v12, 0x60, v37
	v_dual_lshlrev_b32 v3, 5, v37 :: v_dual_lshlrev_b32 v17, 5, v74
	v_and_b32_e32 v13, 0x1fc, v13
	v_and_b32_e32 v15, 0x1fc, v14
	s_delay_alu instid0(VALU_DEP_4)
	v_and_b32_e32 v12, 0x1fc, v12
	v_and_b32_e32 v16, 0xfc, v0
	v_add3_u32 v22, v22, v44, 0x6200
	v_add3_u32 v42, v42, v44, 0x6200
	;; [unrolled: 1-line block ×3, first 2 shown]
	v_dual_add_nc_u32 v12, v3, v12 :: v_dual_add_nc_u32 v13, v3, v13
	v_dual_add_nc_u32 v15, v3, v15 :: v_dual_add_nc_u32 v3, v3, v16
	v_dual_lshlrev_b32 v16, 5, v76 :: v_dual_add_nc_u32 v61, v34, v5
	v_dual_lshlrev_b32 v5, 5, v28 :: v_dual_add_nc_u32 v63, v22, v17
	v_and_b32_e32 v22, 31, v0
	v_add_min_i32_e64 v17, v19, 64, s5
	s_delay_alu instid0(VALU_DEP_3)
	v_dual_add_nc_u32 v65, v42, v16 :: v_dual_add_nc_u32 v67, v44, v5
	v_add_min_i32_e64 v16, 0x48, v19, s5
	v_add_min_i32_e64 v5, 0x50, v19, s5
	v_add_min_i32_e64 v34, 0x58, v19, s5
	v_mad_u32 v69, 0x84, v54, v1
	v_mad_u32 v71, 0x84, v17, v1
	;; [unrolled: 1-line block ×9, first 2 shown]
	v_dual_mov_b32 v1, v21 :: v_dual_bitop2_b32 v0, 28, v1 bitop3:0x40
	v_lshl_or_b32 v23, v23, 4, v56
	v_lshl_or_b32 v22, v22, 2, 0x4200
	v_mul_lo_u32 v160, s4, v4
	v_mul_lo_u32 v161, s4, v6
	v_lshlrev_b32_e32 v4, 7, v24
	v_mul_lo_u32 v162, s4, v7
	v_dual_lshlrev_b32 v6, 7, v27 :: v_dual_lshlrev_b32 v7, 7, v30
	v_mul_lo_u32 v163, s4, v8
	v_mul_lo_u32 v164, s4, v9
	v_dual_lshlrev_b32 v8, 7, v32 :: v_dual_lshlrev_b32 v9, 7, v38
	v_mul_lo_u32 v165, s4, v10
	v_lshlrev_b32_e32 v10, 7, v39
	v_mul_lo_u32 v167, s4, v2
	v_lshlrev_b32_e32 v2, 7, v40
	s_wait_kmcnt 0x0
	v_add_nc_u64_e32 v[38:39], s[2:3], v[0:1]
	v_dual_lshlrev_b32 v0, 7, v19 :: v_dual_add_nc_u32 v172, v22, v8
	v_mul_lo_u32 v166, s4, v11
	v_mul_lo_u32 v40, v25, s15
	;; [unrolled: 1-line block ×21, first 2 shown]
	s_mul_i32 s10, s15, s14
	v_add_nc_u32_e32 v159, 0x7280, v23
	v_dual_lshrrev_b32 v168, 3, v14 :: v_dual_add_nc_u32 v169, v22, v4
	v_dual_add_nc_u32 v170, v22, v6 :: v_dual_add_nc_u32 v171, v22, v7
	v_dual_add_nc_u32 v173, v22, v9 :: v_dual_add_nc_u32 v174, v22, v10
	;; [unrolled: 1-line block ×3, first 2 shown]
	v_add_nc_u32_e32 v177, 0x4200, v0
	v_add_nc_u32_e32 v178, 0x6e00, v12
	;; [unrolled: 1-line block ×9, first 2 shown]
	v_mov_b64_e32 v[34:35], 0
	v_mov_b64_e32 v[6:7], 0
	;; [unrolled: 1-line block ×16, first 2 shown]
	s_ashr_i32 s11, s10, 31
	v_mul_u32_u24_e32 v186, 0x84, v37
	v_lshl_add_u32 v187, v19, 4, 0x7280
	v_mad_u32_u24 v188, 0x84, v37, 64
	s_mul_u64 s[10:11], s[10:11], 20
	s_mov_b32 s5, 0
	s_add_nc_u64 s[0:1], s[0:1], s[10:11]
	s_add_co_i32 s7, s15, 3
	s_mov_b32 s4, s5
	s_branch .LBB160_7
.LBB160_6:                              ;   in Loop: Header=BB160_7 Depth=1
	s_add_co_i32 s4, s4, 8
	s_add_co_i32 s7, s7, -8
	s_cmp_ge_i32 s4, s15
	s_cbranch_scc1 .LBB160_14
.LBB160_7:                              ; =>This Loop Header: Depth=1
                                        ;     Child Loop BB160_9 Depth 2
                                        ;     Child Loop BB160_12 Depth 2
	s_mul_u64 s[10:11], s[4:5], 20
	s_cmp_gt_u32 s7, 3
	s_add_nc_u64 s[10:11], s[0:1], s[10:11]
	s_wait_xcnt 0x0
	v_mad_nc_u64_u32 v[80:81], v18, 20, s[10:11]
	s_delay_alu instid0(VALU_DEP_1) | instskip(NEXT) | instid1(VALU_DEP_1)
	v_mad_nc_i64_i32 v[82:83], v40, 20, v[80:81]
	v_add_nc_u64_e32 v[82:83], v[82:83], v[20:21]
	global_load_b32 v82, v[82:83], off offset:4
	s_wait_loadcnt 0x0
	ds_store_b32 v45, v82
	s_wait_xcnt 0x0
	v_mad_nc_i64_i32 v[82:83], v42, 20, v[80:81]
	s_delay_alu instid0(VALU_DEP_1)
	v_add_nc_u64_e32 v[82:83], v[82:83], v[20:21]
	global_load_b32 v82, v[82:83], off offset:4
	s_wait_loadcnt 0x0
	ds_store_b32 v47, v82
	s_wait_xcnt 0x0
	v_mad_nc_i64_i32 v[82:83], v44, 20, v[80:81]
	s_delay_alu instid0(VALU_DEP_1)
	v_add_nc_u64_e32 v[82:83], v[82:83], v[20:21]
	global_load_b32 v82, v[82:83], off offset:4
	s_wait_loadcnt 0x0
	ds_store_b32 v49, v82
	s_wait_xcnt 0x0
	v_mad_nc_i64_i32 v[82:83], v46, 20, v[80:81]
	s_delay_alu instid0(VALU_DEP_1)
	v_add_nc_u64_e32 v[82:83], v[82:83], v[20:21]
	global_load_b32 v82, v[82:83], off offset:4
	s_wait_loadcnt 0x0
	ds_store_b32 v51, v82
	s_wait_xcnt 0x0
	v_mad_nc_i64_i32 v[82:83], v48, 20, v[80:81]
	s_delay_alu instid0(VALU_DEP_1)
	v_add_nc_u64_e32 v[82:83], v[82:83], v[20:21]
	global_load_b32 v82, v[82:83], off offset:4
	s_wait_loadcnt 0x0
	ds_store_b32 v53, v82
	s_wait_xcnt 0x0
	v_mad_nc_i64_i32 v[82:83], v50, 20, v[80:81]
	s_delay_alu instid0(VALU_DEP_1)
	v_add_nc_u64_e32 v[82:83], v[82:83], v[20:21]
	global_load_b32 v82, v[82:83], off offset:4
	s_wait_loadcnt 0x0
	ds_store_b32 v55, v82
	s_wait_xcnt 0x0
	v_mad_nc_i64_i32 v[82:83], v52, 20, v[80:81]
	s_delay_alu instid0(VALU_DEP_1)
	v_add_nc_u64_e32 v[82:83], v[82:83], v[20:21]
	global_load_b32 v82, v[82:83], off offset:4
	s_wait_loadcnt 0x0
	ds_store_b32 v59, v82
	s_wait_xcnt 0x0
	v_mad_nc_i64_i32 v[82:83], v54, 20, v[80:81]
	s_delay_alu instid0(VALU_DEP_1)
	v_add_nc_u64_e32 v[82:83], v[82:83], v[20:21]
	global_load_b32 v82, v[82:83], off offset:4
	s_wait_loadcnt 0x0
	ds_store_b32 v69, v82
	s_wait_xcnt 0x0
	v_mad_nc_i64_i32 v[82:83], v56, 20, v[80:81]
	s_delay_alu instid0(VALU_DEP_1)
	v_add_nc_u64_e32 v[82:83], v[82:83], v[20:21]
	global_load_b32 v82, v[82:83], off offset:4
	s_wait_loadcnt 0x0
	ds_store_b32 v71, v82
	s_wait_xcnt 0x0
	v_mad_nc_i64_i32 v[82:83], v58, 20, v[80:81]
	s_delay_alu instid0(VALU_DEP_1)
	v_add_nc_u64_e32 v[82:83], v[82:83], v[20:21]
	global_load_b32 v82, v[82:83], off offset:4
	s_wait_loadcnt 0x0
	ds_store_b32 v73, v82
	s_wait_xcnt 0x0
	v_mad_nc_i64_i32 v[82:83], v60, 20, v[80:81]
	s_delay_alu instid0(VALU_DEP_1)
	v_add_nc_u64_e32 v[82:83], v[82:83], v[20:21]
	global_load_b32 v82, v[82:83], off offset:4
	s_wait_loadcnt 0x0
	ds_store_b32 v75, v82
	s_wait_xcnt 0x0
	v_mad_nc_i64_i32 v[82:83], v62, 20, v[80:81]
	s_delay_alu instid0(VALU_DEP_1)
	v_add_nc_u64_e32 v[82:83], v[82:83], v[20:21]
	global_load_b32 v82, v[82:83], off offset:4
	s_wait_loadcnt 0x0
	ds_store_b32 v77, v82
	s_wait_xcnt 0x0
	v_mad_nc_i64_i32 v[82:83], v64, 20, v[80:81]
	s_delay_alu instid0(VALU_DEP_1)
	v_add_nc_u64_e32 v[82:83], v[82:83], v[20:21]
	global_load_b32 v82, v[82:83], off offset:4
	s_wait_loadcnt 0x0
	ds_store_b32 v79, v82
	s_wait_xcnt 0x0
	v_mad_nc_i64_i32 v[82:83], v66, 20, v[80:81]
	s_delay_alu instid0(VALU_DEP_1)
	v_add_nc_u64_e32 v[82:83], v[82:83], v[20:21]
	global_load_b32 v82, v[82:83], off offset:4
	s_wait_loadcnt 0x0
	ds_store_b32 v156, v82
	s_wait_xcnt 0x0
	v_mad_nc_i64_i32 v[82:83], v68, 20, v[80:81]
	v_mad_nc_i64_i32 v[80:81], v70, 20, v[80:81]
	s_delay_alu instid0(VALU_DEP_2) | instskip(NEXT) | instid1(VALU_DEP_2)
	v_add_nc_u64_e32 v[82:83], v[82:83], v[20:21]
	v_add_nc_u64_e32 v[80:81], v[80:81], v[20:21]
	s_clause 0x1
	global_load_b32 v82, v[82:83], off offset:4
	global_load_b32 v80, v[80:81], off offset:4
	s_wait_loadcnt 0x1
	ds_store_b32 v157, v82
	s_wait_loadcnt 0x0
	ds_store_b32 v158, v80
	s_wait_xcnt 0x0
	v_mad_nc_u64_u32 v[80:81], v36, 20, s[10:11]
	s_delay_alu instid0(VALU_DEP_1)
	v_mad_nc_i64_i32 v[82:83], v72, 20, v[80:81]
	global_load_b32 v82, v[82:83], off
	s_wait_loadcnt 0x0
	ds_store_b32 v61, v82
	s_wait_xcnt 0x0
	v_mad_nc_i64_i32 v[82:83], v74, 20, v[80:81]
	global_load_b32 v82, v[82:83], off
	s_wait_loadcnt 0x0
	ds_store_b32 v63, v82
	s_wait_xcnt 0x0
	v_mad_nc_i64_i32 v[82:83], v76, 20, v[80:81]
	v_mad_nc_i64_i32 v[80:81], v78, 20, v[80:81]
	s_clause 0x1
	global_load_b32 v82, v[82:83], off
	global_load_b32 v80, v[80:81], off
	s_wait_loadcnt 0x1
	ds_store_b32 v65, v82
	s_wait_loadcnt 0x0
	ds_store_b32 v67, v80
	s_cbranch_scc0 .LBB160_6
; %bb.8:                                ;   in Loop: Header=BB160_7 Depth=1
	s_wait_xcnt 0x1
	v_dual_add_nc_u32 v189, s4, v57 :: v_dual_add_nc_u32 v82, s4, v43
	v_dual_mov_b32 v193, v182 :: v_dual_mov_b32 v195, v178
	v_dual_mov_b32 v196, v186 :: v_dual_mov_b32 v190, v177
	s_wait_xcnt 0x0
	s_delay_alu instid0(VALU_DEP_3) | instskip(SKIP_3) | instid1(VALU_DEP_3)
	v_add_nc_u32_e32 v80, v82, v160
	s_mov_b32 s10, -4
	v_dual_mov_b32 v191, v187 :: v_dual_mov_b32 v192, v184
	v_mov_b32_e32 v194, v180
	v_mad_nc_i64_i32 v[80:81], v80, 36, v[38:39]
	global_load_b32 v80, v[80:81], off offset:4
	s_wait_loadcnt 0x0
	ds_store_b32 v176, v80
	s_wait_xcnt 0x0
	v_add_nc_u32_e32 v80, v82, v161
	s_delay_alu instid0(VALU_DEP_1)
	v_mad_nc_i64_i32 v[80:81], v80, 36, v[38:39]
	global_load_b32 v80, v[80:81], off offset:4
	s_wait_loadcnt 0x0
	ds_store_b32 v169, v80
	s_wait_xcnt 0x0
	v_add_nc_u32_e32 v80, v82, v162
	s_delay_alu instid0(VALU_DEP_1)
	;; [unrolled: 7-line block ×7, first 2 shown]
	v_mad_nc_i64_i32 v[80:81], v80, 36, v[38:39]
	global_load_b32 v80, v[80:81], off offset:4
	s_wait_loadcnt 0x0
	ds_store_b32 v175, v80
	s_wait_xcnt 0x0
	v_mad_nc_u64_u32 v[80:81], v189, 36, s[2:3]
	global_load_b32 v80, v[80:81], off
	s_wait_loadcnt 0x0
	ds_store_b32 v159, v80
	s_wait_dscnt 0x0
	s_barrier_signal -1
	s_barrier_wait -1
.LBB160_9:                              ;   Parent Loop BB160_7 Depth=1
                                        ; =>  This Inner Loop Header: Depth=2
	ds_load_2addr_b32 v[82:83], v190 offset1:3
	s_wait_xcnt 0x0
	ds_load_2addr_b32 v[80:81], v190 offset0:4 offset1:7
	ds_load_2addr_b32 v[86:87], v190 offset0:1 offset1:2
	;; [unrolled: 1-line block ×3, first 2 shown]
	ds_load_b32 v197, v192
	ds_load_b32 v198, v193
	;; [unrolled: 1-line block ×3, first 2 shown]
	ds_load_2addr_b32 v[88:89], v196 offset0:2 offset1:3
	ds_load_b32 v200, v195
	ds_load_2addr_b32 v[90:91], v191 offset1:32
	ds_load_2addr_b32 v[136:137], v191 offset0:128 offset1:160
	ds_load_2addr_b32 v[150:151], v191 offset0:64 offset1:96
	;; [unrolled: 1-line block ×3, first 2 shown]
	ds_load_2addr_b32 v[236:237], v196 offset1:1
	v_add_nc_u32_e32 v92, 0x2100, v196
	v_add_nc_u32_e32 v93, 0x2108, v196
	;; [unrolled: 1-line block ×21, first 2 shown]
	s_set_vgpr_msb 64                       ;  msbs: dst=1 src0=0 src1=0 src2=0
	v_add_nc_u32_e32 v2 /*v258*/, 0xc00, v190
	v_add_nc_u32_e32 v3 /*v259*/, 0x1800, v190
	;; [unrolled: 1-line block ×3, first 2 shown]
	s_set_vgpr_msb 0                        ;  msbs: dst=0 src0=0 src1=0 src2=0
	v_add_nc_u32_e32 v201, 0x1814, v190
	v_add_nc_u32_e32 v202, 0x1c04, v190
	;; [unrolled: 1-line block ×3, first 2 shown]
	ds_load_2addr_b32 v[242:243], v92 offset1:1
	ds_load_2addr_b32 v[142:143], v93 offset1:1
	;; [unrolled: 1-line block ×5, first 2 shown]
	ds_load_2addr_b32 v[144:145], v96 offset0:4 offset1:7
	ds_load_2addr_b32 v[138:139], v97 offset1:1
	ds_load_2addr_b32 v[132:133], v98 offset1:1
	ds_load_2addr_b32 v[120:121], v99 offset0:4 offset1:7
	ds_load_2addr_b32 v[118:119], v100 offset0:4 offset1:7
	ds_load_2addr_b32 v[130:131], v102 offset1:1
	ds_load_2addr_b32 v[128:129], v104 offset1:1
	;; [unrolled: 1-line block ×8, first 2 shown]
	s_set_vgpr_msb 1                        ;  msbs: dst=0 src0=1 src1=0 src2=0
	ds_load_2addr_b32 v[92:93], v2 /*v258*/ offset0:4 offset1:7
	ds_load_2addr_b32 v[96:97], v3 /*v259*/ offset0:4 offset1:7
	s_set_vgpr_msb 0                        ;  msbs: dst=0 src0=0 src1=0 src2=0
	ds_load_2addr_b32 v[148:149], v107 offset1:1
	ds_load_2addr_b32 v[146:147], v108 offset1:1
	;; [unrolled: 1-line block ×4, first 2 shown]
	ds_load_2addr_b32 v[122:123], v110 offset0:4 offset1:7
	ds_load_2addr_b32 v[106:107], v110 offset1:3
	s_set_vgpr_msb 1                        ;  msbs: dst=0 src0=1 src1=0 src2=0
	ds_load_2addr_b32 v[98:99], v4 /*v260*/ offset0:4 offset1:7
	s_set_vgpr_msb 0                        ;  msbs: dst=0 src0=0 src1=0 src2=0
	ds_load_2addr_b32 v[112:113], v112 offset1:1
	ds_load_2addr_b32 v[104:105], v201 offset1:1
	;; [unrolled: 1-line block ×4, first 2 shown]
	s_wait_dscnt 0x2a
	s_set_vgpr_msb 64                       ;  msbs: dst=1 src0=0 src1=0 src2=0
	v_bfe_i32 v9 /*v265*/, v86, 0, 8
	v_bfe_i32 v10 /*v266*/, v86, 8, 8
	;; [unrolled: 1-line block ×3, first 2 shown]
	s_wait_dscnt 0x29
	s_set_vgpr_msb 0                        ;  msbs: dst=0 src0=0 src1=0 src2=0
	v_dual_ashrrev_i32 v86, 24, v86 :: v_dual_ashrrev_i32 v247, 24, v84
	s_set_vgpr_msb 64                       ;  msbs: dst=1 src0=0 src1=0 src2=0
	v_bfe_i32 v12 /*v268*/, v84, 0, 8
	v_bfe_i32 v13 /*v269*/, v84, 8, 8
	s_set_vgpr_msb 0                        ;  msbs: dst=0 src0=0 src1=0 src2=0
	v_bfe_i32 v249, v84, 16, 8
	v_bfe_i32 v234, v87, 0, 8
	;; [unrolled: 1-line block ×4, first 2 shown]
	v_dual_ashrrev_i32 v205, 24, v87 :: v_dual_ashrrev_i32 v217, 24, v85
	v_bfe_i32 v201, v85, 8, 8
	v_bfe_i32 v202, v85, 0, 8
	;; [unrolled: 1-line block ×5, first 2 shown]
	v_ashrrev_i32_e32 v227, 24, v83
	v_bfe_i32 v228, v83, 16, 8
	s_set_vgpr_msb 64                       ;  msbs: dst=1 src0=0 src1=0 src2=0
	v_bfe_i32 v15 /*v271*/, v81, 0, 8
	v_bfe_i32 v18 /*v274*/, v81, 8, 8
	;; [unrolled: 1-line block ×3, first 2 shown]
	s_wait_dscnt 0x1f
	v_dual_ashrrev_i32 v54 /*v310*/, 24, v81 :: v_dual_bitop2_b32 v80 /*v336*/, 15, v236 bitop3:0x40
	s_set_vgpr_msb 0                        ;  msbs: dst=0 src0=0 src1=0 src2=0
	v_pk_mul_f16 v83, v199, v91
	v_pk_mul_f16 v84, v90, v199
	;; [unrolled: 1-line block ×4, first 2 shown]
	s_set_vgpr_msb 64                       ;  msbs: dst=1 src0=0 src1=0 src2=0
	v_pk_mul_f16 v14 /*v270*/, v199, v137
	v_pk_mul_f16 v16 /*v272*/, v199, v136
	;; [unrolled: 1-line block ×4, first 2 shown]
	s_set_vgpr_msb 0                        ;  msbs: dst=0 src0=0 src1=0 src2=0
	v_pk_mul_f16 v223, v90, v197
	v_pk_mul_f16 v214, v90, v198
	;; [unrolled: 1-line block ×12, first 2 shown]
	s_set_vgpr_msb 64                       ;  msbs: dst=1 src0=0 src1=0 src2=0
	v_pk_mul_f16 v145 /*v401*/, v198, v136
	s_set_vgpr_msb 0                        ;  msbs: dst=0 src0=0 src1=0 src2=0
	v_pk_mul_f16 v220, v197, v137
	s_set_vgpr_msb 64                       ;  msbs: dst=1 src0=0 src1=0 src2=0
	v_pk_mul_f16 v146 /*v402*/, v198, v137
	s_set_vgpr_msb 0                        ;  msbs: dst=0 src0=0 src1=0 src2=0
	v_pk_mul_f16 v215, v197, v152
	v_pk_mul_f16 v218, v197, v153
	;; [unrolled: 1-line block ×4, first 2 shown]
	s_set_vgpr_msb 64                       ;  msbs: dst=1 src0=0 src1=0 src2=0
	v_pk_mul_f16 v147 /*v403*/, v199, v152
	v_pk_mul_f16 v153 /*v409*/, v199, v153
	;; [unrolled: 1-line block ×4, first 2 shown]
	v_bfe_u32 v88 /*v344*/, v236, 8, 4
	v_bfe_u32 v93 /*v349*/, v236, 16, 4
	;; [unrolled: 1-line block ×3, first 2 shown]
	s_set_vgpr_msb 0                        ;  msbs: dst=0 src0=0 src1=0 src2=0
	v_lshrrev_b32_e32 v81, 28, v236
	v_bfe_u32 v90, v236, 4, 4
	v_bfe_u32 v91, v236, 20, 4
	s_set_vgpr_msb 64                       ;  msbs: dst=1 src0=0 src1=0 src2=0
	v_bfe_u32 v73 /*v329*/, v89, 20, 4
	s_set_vgpr_msb 0                        ;  msbs: dst=0 src0=0 src1=0 src2=0
	v_dual_lshrrev_b32 v236, 4, v236 :: v_dual_bitop2_b32 v230, 15, v89 bitop3:0x40
	v_bfe_u32 v229, v89, 16, 4
	s_wait_dscnt 0x1d
	v_dual_lshrrev_b32 v200, 28, v88 :: v_dual_bitop2_b32 v253, 15, v142 bitop3:0x40
	v_bfe_u32 v225, v89, 24, 4
	s_set_vgpr_msb 64                       ;  msbs: dst=1 src0=0 src1=0 src2=0
	v_dual_lshrrev_b32 v19 /*v275*/, 4, v88 :: v_dual_lshrrev_b32 v5 /*v261*/, 28, v89
	v_and_b32_e32 v28 /*v284*/, 0xf0f0f0f, v89
	v_bfe_u32 v7 /*v263*/, v89, 4, 4
	v_bfe_u32 v75 /*v331*/, v89, 12, 4
	s_set_vgpr_msb 0                        ;  msbs: dst=0 src0=0 src1=0 src2=0
	v_bfe_u32 v89, v242, 20, 4
	s_set_vgpr_msb 64                       ;  msbs: dst=1 src0=0 src1=0 src2=0
	v_dual_lshrrev_b32 v8 /*v264*/, 28, v242 :: v_dual_bitop2_b32 v61 /*v317*/, 15, v242 bitop3:0x40
	v_bfe_u32 v64 /*v320*/, v242, 8, 4
	s_set_vgpr_msb 0                        ;  msbs: dst=0 src0=0 src1=0 src2=0
	v_bfe_u32 v254, v242, 4, 4
	v_bfe_u32 v255, v242, 12, 4
	s_set_vgpr_msb 64                       ;  msbs: dst=1 src0=0 src1=0 src2=0
	v_bfe_u32 v37 /*v293*/, v142, 8, 4
	s_set_vgpr_msb 0                        ;  msbs: dst=0 src0=0 src1=0 src2=0
	v_bfe_u32 v240, v142, 24, 4
	v_bfe_u32 v241, v142, 16, 4
	;; [unrolled: 1-line block ×4, first 2 shown]
	v_lshrrev_b32_e32 v197, 28, v142
	v_bfe_u32 v153, v142, 20, 4
	s_wait_dscnt 0x19
	s_set_vgpr_msb 64                       ;  msbs: dst=1 src0=0 src1=0 src2=0
	v_bfe_i32 v38 /*v294*/, v144, 8, 8
	s_set_vgpr_msb 0                        ;  msbs: dst=0 src0=0 src1=0 src2=0
	v_bfe_u32 v142, v242, 24, 4
	s_set_vgpr_msb 64                       ;  msbs: dst=1 src0=0 src1=0 src2=0
	v_bfe_u32 v90 /*v346*/, v242, 16, 4
	s_wait_dscnt 0x18
	s_set_vgpr_msb 0                        ;  msbs: dst=0 src0=0 src1=0 src2=0
	v_bfe_u32 v242, v138, 12, 4
	v_bfe_i32 v232, v82, 0, 8
	s_set_vgpr_msb 64                       ;  msbs: dst=1 src0=0 src1=0 src2=0
	v_bfe_u32 v29 /*v285*/, v243, 20, 4
	v_dual_lshrrev_b32 v36 /*v292*/, 28, v243 :: v_dual_bitop2_b32 v30 /*v286*/, 15, v243 bitop3:0x40
	v_bfe_u32 v21 /*v277*/, v243, 8, 4
	v_bfe_u32 v31 /*v287*/, v243, 16, 4
	;; [unrolled: 1-line block ×5, first 2 shown]
	s_set_vgpr_msb 0                        ;  msbs: dst=0 src0=0 src1=0 src2=0
	v_bfe_i32 v243, v144, 0, 8
	s_set_vgpr_msb 64                       ;  msbs: dst=1 src0=0 src1=0 src2=0
	v_bfe_i32 v39 /*v295*/, v144, 16, 8
	s_set_vgpr_msb 0                        ;  msbs: dst=0 src0=0 src1=0 src2=0
	v_ashrrev_i32_e32 v144, 24, v144
	s_set_vgpr_msb 64                       ;  msbs: dst=1 src0=0 src1=0 src2=0
	v_bfe_i32 v40 /*v296*/, v244, 0, 8
	v_bfe_i32 v41 /*v297*/, v244, 8, 8
	;; [unrolled: 1-line block ×3, first 2 shown]
	v_dual_ashrrev_i32 v43 /*v299*/, 24, v244 :: v_dual_ashrrev_i32 v47 /*v303*/, 24, v154
	v_dual_ashrrev_i32 v1 /*v257*/, 24, v245 :: v_dual_lshrrev_b32 v50 /*v306*/, 28, v138
	s_set_vgpr_msb 0                        ;  msbs: dst=0 src0=0 src1=0 src2=0
	v_bfe_u32 v244, v138, 4, 4
	s_set_vgpr_msb 64                       ;  msbs: dst=1 src0=0 src1=0 src2=0
	v_bfe_u32 v49 /*v305*/, v138, 20, 4
	s_wait_dscnt 0x16
	v_dual_ashrrev_i32 v58 /*v314*/, 24, v120 :: v_dual_bitop2_b32 v69 /*v325*/, 15, v138 bitop3:0x40
	s_wait_dscnt 0x15
	v_bfe_i32 v59 /*v315*/, v118, 8, 8
	s_set_vgpr_msb 0x41                     ;  msbs: dst=1 src0=1 src1=0 src2=0
	v_mul_i32_i24_e32 v118 /*v374*/, v38 /*v294*/, v242
	s_set_vgpr_msb 0                        ;  msbs: dst=0 src0=0 src1=0 src2=0
	v_bfe_i32 v235, v82, 8, 8
	v_bfe_i32 v246, v82, 16, 8
	v_ashrrev_i32_e32 v82, 24, v82
	v_pk_mul_f16 v207, v199, v150
	v_bfe_i32 v150, v245, 0, 8
	s_set_vgpr_msb 64                       ;  msbs: dst=1 src0=0 src1=0 src2=0
	v_bfe_i32 v0 /*v256*/, v245, 8, 8
	s_set_vgpr_msb 0                        ;  msbs: dst=0 src0=0 src1=0 src2=0
	v_bfe_i32 v238, v245, 16, 8
	s_set_vgpr_msb 64                       ;  msbs: dst=1 src0=0 src1=0 src2=0
	v_bfe_u32 v70 /*v326*/, v138, 8, 4
	v_bfe_u32 v92 /*v348*/, v138, 16, 4
	s_set_vgpr_msb 0                        ;  msbs: dst=0 src0=0 src1=0 src2=0
	v_bfe_u32 v138, v138, 24, 4
	s_set_vgpr_msb 64                       ;  msbs: dst=1 src0=0 src1=0 src2=0
	v_dual_ashrrev_i32 v63 /*v319*/, 24, v118 :: v_dual_bitop2_b32 v53 /*v309*/, 15, v139 bitop3:0x40
	s_set_vgpr_msb 0                        ;  msbs: dst=0 src0=0 src1=0 src2=0
	v_bfe_i32 v245, v120, 8, 8
	s_set_vgpr_msb 64                       ;  msbs: dst=1 src0=0 src1=0 src2=0
	v_bfe_i32 v60 /*v316*/, v118, 0, 8
	v_bfe_i32 v62 /*v318*/, v118, 16, 8
	s_set_vgpr_msb 0x41                     ;  msbs: dst=1 src0=1 src1=0 src2=0
	v_mul_i32_i24_e32 v71 /*v327*/, v80 /*v336*/, v232
	s_wait_dscnt 0xe
	s_set_vgpr_msb 64                       ;  msbs: dst=1 src0=0 src1=0 src2=0
	v_bfe_u32 v78 /*v334*/, v134, 12, 4
	s_wait_dscnt 0xc
	v_bfe_i32 v83 /*v339*/, v92, 8, 8
	s_set_vgpr_msb 0x41                     ;  msbs: dst=1 src0=1 src1=0 src2=0
	v_mul_i32_i24_e32 v112 /*v368*/, v38 /*v294*/, v255
	s_set_vgpr_msb 0x45                     ;  msbs: dst=1 src0=1 src1=1 src2=0
	v_mul_i32_i24_e32 v119 /*v375*/, v39 /*v295*/, v49 /*v305*/
	s_set_vgpr_msb 0x44                     ;  msbs: dst=1 src0=0 src1=1 src2=0
	v_mul_i32_i24_e32 v120 /*v376*/, v144, v50 /*v306*/
	s_set_vgpr_msb 0x41                     ;  msbs: dst=1 src0=1 src1=0 src2=0
	v_mul_i32_i24_e32 v122 /*v378*/, v69 /*v325*/, v232
	v_mul_i32_i24_e32 v128 /*v384*/, v59 /*v315*/, v255
	s_set_vgpr_msb 0x50                     ;  msbs: dst=1 src0=0 src1=0 src2=1
	v_mad_i32_i24 v118 /*v374*/, v243, v244, v118 /*v374*/
	s_set_vgpr_msb 0                        ;  msbs: dst=0 src0=0 src1=0 src2=0
	v_bfe_i32 v250, v80, 0, 8
	v_bfe_i32 v251, v80, 8, 8
	s_set_vgpr_msb 64                       ;  msbs: dst=1 src0=0 src1=0 src2=0
	v_bfe_i32 v6 /*v262*/, v80, 16, 8
	s_set_vgpr_msb 0                        ;  msbs: dst=0 src0=0 src1=0 src2=0
	v_ashrrev_i32_e32 v80, 24, v80
	s_set_vgpr_msb 64                       ;  msbs: dst=1 src0=0 src1=0 src2=0
	v_bfe_i32 v56 /*v312*/, v120, 0, 8
	v_bfe_i32 v57 /*v313*/, v120, 16, 8
	s_set_vgpr_msb 0x41                     ;  msbs: dst=1 src0=1 src1=0 src2=0
	v_mul_i32_i24_e32 v72 /*v328*/, v93 /*v349*/, v246
	v_mul_i32_i24_e32 v77 /*v333*/, v121 /*v377*/, v82
	s_set_vgpr_msb 64                       ;  msbs: dst=1 src0=0 src1=0 src2=0
	v_bfe_u32 v79 /*v335*/, v134, 4, 4
	v_bfe_u32 v81 /*v337*/, v134, 20, 4
	s_wait_dscnt 0xa
	v_dual_lshrrev_b32 v82 /*v338*/, 28, v134 :: v_dual_ashrrev_i32 v91 /*v347*/, 24, v148
	v_bfe_i32 v84 /*v340*/, v92, 0, 8
	v_bfe_i32 v85 /*v341*/, v92, 16, 8
	s_set_vgpr_msb 0                        ;  msbs: dst=0 src0=0 src1=0 src2=0
	v_dual_ashrrev_i32 v92, 24, v92 :: v_dual_bitop2_b32 v120, 15, v134 bitop3:0x40
	s_set_vgpr_msb 0x41                     ;  msbs: dst=1 src0=1 src1=0 src2=0
	v_mul_i32_i24_e32 v113 /*v369*/, v61 /*v317*/, v232
	v_mul_i32_i24_e32 v114 /*v370*/, v39 /*v295*/, v89
	s_set_vgpr_msb 0x44                     ;  msbs: dst=1 src0=0 src1=1 src2=0
	v_mul_i32_i24_e32 v115 /*v371*/, v144, v8 /*v264*/
	s_set_vgpr_msb 0x41                     ;  msbs: dst=1 src0=1 src1=0 src2=0
	v_mul_i32_i24_e32 v123 /*v379*/, v92 /*v348*/, v246
	s_set_vgpr_msb 64                       ;  msbs: dst=1 src0=0 src1=0 src2=0
	v_mul_i32_i24_e32 v124 /*v380*/, v138, v82
	v_mul_i32_i24_e32 v125 /*v381*/, v245, v255
	s_set_vgpr_msb 0x51                     ;  msbs: dst=1 src0=1 src1=0 src2=1
	v_mul_i32_i24_e32 v129 /*v385*/, v62 /*v318*/, v89
	v_mad_i32_i24 v71 /*v327*/, v88 /*v344*/, v235, v71 /*v327*/
	s_set_vgpr_msb 0x45                     ;  msbs: dst=1 src0=1 src1=1 src2=0
	v_mul_i32_i24_e32 v130 /*v386*/, v63 /*v319*/, v8 /*v264*/
	s_set_vgpr_msb 0x50                     ;  msbs: dst=1 src0=0 src1=0 src2=1
	v_mul_i32_i24_e32 v131 /*v387*/, v245, v242
	v_mad_i32_i24 v112 /*v368*/, v243, v254, v112 /*v368*/
	s_set_vgpr_msb 0x55                     ;  msbs: dst=1 src0=1 src1=1 src2=1
	v_add3_u32 v118 /*v374*/, v118 /*v374*/, v119 /*v375*/, v120 /*v376*/
	v_mul_i32_i24_e32 v119 /*v375*/, v83 /*v339*/, v78 /*v334*/
	s_set_vgpr_msb 0x51                     ;  msbs: dst=1 src0=1 src1=0 src2=1
	v_mad_i32_i24 v122 /*v378*/, v70 /*v326*/, v235, v122 /*v378*/
	v_mad_i32_i24 v128 /*v384*/, v60 /*v316*/, v254, v128 /*v384*/
	s_set_vgpr_msb 64                       ;  msbs: dst=1 src0=0 src1=0 src2=0
	v_bfe_i32 v86 /*v342*/, v96, 8, 8
	s_set_vgpr_msb 0x41                     ;  msbs: dst=1 src0=1 src1=0 src2=0
	v_mul_i32_i24_e32 v116 /*v372*/, v90 /*v346*/, v246
	s_set_vgpr_msb 64                       ;  msbs: dst=1 src0=0 src1=0 src2=0
	v_mul_i32_i24_e32 v117 /*v373*/, v142, v82
	s_set_vgpr_msb 0x41                     ;  msbs: dst=1 src0=1 src1=0 src2=0
	v_mul_i32_i24_e32 v126 /*v382*/, v57 /*v313*/, v89
	s_set_vgpr_msb 0x55                     ;  msbs: dst=1 src0=1 src1=1 src2=1
	v_mul_i32_i24_e32 v127 /*v383*/, v58 /*v314*/, v8 /*v264*/
	v_mul_i32_i24_e32 v132 /*v388*/, v57 /*v313*/, v49 /*v305*/
	;; [unrolled: 1-line block ×3, first 2 shown]
	v_add3_u32 v71 /*v327*/, v71 /*v327*/, v72 /*v328*/, v77 /*v333*/
	s_set_vgpr_msb 0x41                     ;  msbs: dst=1 src0=1 src1=0 src2=0
	v_mul_i32_i24_e32 v72 /*v328*/, v59 /*v315*/, v242
	s_set_vgpr_msb 0x55                     ;  msbs: dst=1 src0=1 src1=1 src2=1
	v_add3_u32 v112 /*v368*/, v112 /*v368*/, v114 /*v370*/, v115 /*v371*/
	v_mul_i32_i24_e32 v115 /*v371*/, v38 /*v294*/, v78 /*v334*/
	s_set_vgpr_msb 0x51                     ;  msbs: dst=1 src0=1 src1=0 src2=1
	v_mad_i32_i24 v113 /*v369*/, v64 /*v320*/, v235, v113 /*v369*/
	s_set_vgpr_msb 0x55                     ;  msbs: dst=1 src0=1 src1=1 src2=1
	v_mul_i32_i24_e32 v120 /*v376*/, v85 /*v341*/, v81 /*v337*/
	v_add3_u32 v122 /*v378*/, v122 /*v378*/, v123 /*v379*/, v124 /*v380*/
	s_set_vgpr_msb 0x44                     ;  msbs: dst=1 src0=0 src1=1 src2=0
	v_mul_i32_i24_e32 v123 /*v379*/, v92, v82 /*v338*/
	s_set_vgpr_msb 0x51                     ;  msbs: dst=1 src0=1 src1=0 src2=1
	v_mul_i32_i24_e32 v124 /*v380*/, v83 /*v339*/, v255
	v_mad_i32_i24 v125 /*v381*/, v56 /*v312*/, v254, v125 /*v381*/
	s_set_vgpr_msb 0x55                     ;  msbs: dst=1 src0=1 src1=1 src2=1
	v_add3_u32 v128 /*v384*/, v128 /*v384*/, v129 /*v385*/, v130 /*v386*/
	s_set_vgpr_msb 0x51                     ;  msbs: dst=1 src0=1 src1=0 src2=1
	v_mul_i32_i24_e32 v129 /*v385*/, v83 /*v339*/, v242
	v_mad_i32_i24 v131 /*v387*/, v56 /*v312*/, v244, v131 /*v387*/
	s_set_vgpr_msb 0x55                     ;  msbs: dst=1 src0=1 src1=1 src2=1
	v_mad_i32_i24 v119 /*v375*/, v84 /*v340*/, v79 /*v335*/, v119 /*v375*/
	s_set_vgpr_msb 64                       ;  msbs: dst=1 src0=0 src1=0 src2=0
	v_bfe_i32 v87 /*v343*/, v96, 0, 8
	v_bfe_i32 v89 /*v345*/, v96, 16, 8
	s_set_vgpr_msb 0                        ;  msbs: dst=0 src0=0 src1=0 src2=0
	v_ashrrev_i32_e32 v96, 24, v96
	s_set_vgpr_msb 0x55                     ;  msbs: dst=1 src0=1 src1=1 src2=1
	v_mul_i32_i24_e32 v77 /*v333*/, v62 /*v318*/, v49 /*v305*/
	v_mul_i32_i24_e32 v114 /*v370*/, v63 /*v319*/, v50 /*v306*/
	v_add3_u32 v113 /*v369*/, v113 /*v369*/, v116 /*v372*/, v117 /*v373*/
	v_mul_i32_i24_e32 v116 /*v372*/, v39 /*v295*/, v81 /*v337*/
	s_set_vgpr_msb 0x44                     ;  msbs: dst=1 src0=0 src1=1 src2=0
	v_mul_i32_i24_e32 v117 /*v373*/, v144, v82 /*v338*/
	s_set_vgpr_msb 0x55                     ;  msbs: dst=1 src0=1 src1=1 src2=1
	v_add3_u32 v125 /*v381*/, v125 /*v381*/, v126 /*v382*/, v127 /*v383*/
	s_set_vgpr_msb 0x41                     ;  msbs: dst=1 src0=1 src1=0 src2=0
	v_mul_i32_i24_e32 v126 /*v382*/, v85 /*v341*/, v89
	s_set_vgpr_msb 0x44                     ;  msbs: dst=1 src0=0 src1=1 src2=0
	v_mul_i32_i24_e32 v127 /*v383*/, v92, v8 /*v264*/
	s_set_vgpr_msb 0x55                     ;  msbs: dst=1 src0=1 src1=1 src2=1
	v_mul_i32_i24_e32 v130 /*v386*/, v85 /*v341*/, v49 /*v305*/
	v_add3_u32 v131 /*v387*/, v131 /*v387*/, v132 /*v388*/, v133 /*v389*/
	s_set_vgpr_msb 0x44                     ;  msbs: dst=1 src0=0 src1=1 src2=0
	v_mul_i32_i24_e32 v132 /*v388*/, v92, v50 /*v306*/
	v_mul_i32_i24_e32 v133 /*v389*/, v245, v78 /*v334*/
	s_set_vgpr_msb 0x51                     ;  msbs: dst=1 src0=1 src1=0 src2=1
	v_mad_i32_i24 v72 /*v328*/, v60 /*v316*/, v244, v72 /*v328*/
	s_set_vgpr_msb 0x54                     ;  msbs: dst=1 src0=0 src1=1 src2=1
	v_mad_i32_i24 v115 /*v371*/, v243, v79 /*v335*/, v115 /*v371*/
	s_set_vgpr_msb 0x55                     ;  msbs: dst=1 src0=1 src1=1 src2=1
	v_add3_u32 v119 /*v375*/, v119 /*v375*/, v120 /*v376*/, v123 /*v379*/
	v_mul_i32_i24_e32 v123 /*v379*/, v86 /*v342*/, v78 /*v334*/
	s_set_vgpr_msb 0x51                     ;  msbs: dst=1 src0=1 src1=0 src2=1
	v_mad_i32_i24 v124 /*v380*/, v84 /*v340*/, v254, v124 /*v380*/
	v_mad_i32_i24 v129 /*v385*/, v84 /*v340*/, v244, v129 /*v385*/
	s_set_vgpr_msb 64                       ;  msbs: dst=1 src0=0 src1=0 src2=0
	v_bfe_u32 v22 /*v278*/, v237, 24, 4
	s_wait_dscnt 0x4
	v_bfe_i32 v107 /*v363*/, v98, 8, 8
	v_bfe_i32 v108 /*v364*/, v98, 0, 8
	;; [unrolled: 1-line block ×3, first 2 shown]
	s_set_vgpr_msb 0                        ;  msbs: dst=0 src0=0 src1=0 src2=0
	v_ashrrev_i32_e32 v98, 24, v98
	s_set_vgpr_msb 0x55                     ;  msbs: dst=1 src0=1 src1=1 src2=1
	v_add3_u32 v72 /*v328*/, v72 /*v328*/, v77 /*v333*/, v114 /*v370*/
	v_mul_i32_i24_e32 v77 /*v333*/, v57 /*v313*/, v81 /*v337*/
	v_mul_i32_i24_e32 v114 /*v370*/, v58 /*v314*/, v82 /*v338*/
	v_add3_u32 v115 /*v371*/, v115 /*v371*/, v116 /*v372*/, v117 /*v373*/
	v_mul_i32_i24_e32 v116 /*v372*/, v59 /*v315*/, v78 /*v334*/
	v_add3_u32 v124 /*v380*/, v124 /*v380*/, v126 /*v382*/, v127 /*v383*/
	v_mul_i32_i24_e32 v126 /*v382*/, v89 /*v345*/, v81 /*v337*/
	s_set_vgpr_msb 0x44                     ;  msbs: dst=1 src0=0 src1=1 src2=0
	v_mul_i32_i24_e32 v127 /*v383*/, v96, v82 /*v338*/
	s_set_vgpr_msb 0x55                     ;  msbs: dst=1 src0=1 src1=1 src2=1
	v_add3_u32 v129 /*v385*/, v129 /*v385*/, v130 /*v386*/, v132 /*v388*/
	s_set_vgpr_msb 0x41                     ;  msbs: dst=1 src0=1 src1=0 src2=0
	v_mul_i32_i24_e32 v130 /*v386*/, v86 /*v342*/, v255
	s_set_vgpr_msb 0x55                     ;  msbs: dst=1 src0=1 src1=1 src2=1
	v_mad_i32_i24 v133 /*v389*/, v56 /*v312*/, v79 /*v335*/, v133 /*v389*/
	v_mad_i32_i24 v123 /*v379*/, v87 /*v343*/, v79 /*v335*/, v123 /*v379*/
	s_set_vgpr_msb 64                       ;  msbs: dst=1 src0=0 src1=0 src2=0
	v_dual_lshrrev_b32 v23 /*v279*/, 28, v237 :: v_dual_bitop2_b32 v24 /*v280*/, 15, v237 bitop3:0x40
	s_set_vgpr_msb 0                        ;  msbs: dst=0 src0=0 src1=0 src2=0
	v_bfe_u32 v239, v88, 24, 4
	s_set_vgpr_msb 64                       ;  msbs: dst=1 src0=0 src1=0 src2=0
	v_dual_ashrrev_i32 v94 /*v350*/, 24, v122 :: v_dual_ashrrev_i32 v98 /*v354*/, 24, v149
	v_dual_ashrrev_i32 v97 /*v353*/, 24, v146 :: v_dual_ashrrev_i32 v134 /*v390*/, 24, v108
	v_bfe_i32 v99 /*v355*/, v148, 0, 8
	s_set_vgpr_msb 0x45                     ;  msbs: dst=1 src0=1 src1=1 src2=0
	v_mul_i32_i24_e32 v117 /*v373*/, v62 /*v318*/, v81 /*v337*/
	v_mul_i32_i24_e32 v120 /*v376*/, v63 /*v319*/, v82 /*v338*/
	s_set_vgpr_msb 0x41                     ;  msbs: dst=1 src0=1 src1=0 src2=0
	v_mul_i32_i24_e32 v132 /*v388*/, v89 /*v345*/, v89
	s_set_vgpr_msb 0x55                     ;  msbs: dst=1 src0=1 src1=1 src2=1
	v_add3_u32 v77 /*v333*/, v133 /*v389*/, v77 /*v333*/, v114 /*v370*/
	s_set_vgpr_msb 0x44                     ;  msbs: dst=1 src0=0 src1=1 src2=0
	v_mul_i32_i24_e32 v114 /*v370*/, v96, v8 /*v264*/
	s_set_vgpr_msb 0x41                     ;  msbs: dst=1 src0=1 src1=0 src2=0
	v_mul_i32_i24_e32 v133 /*v389*/, v86 /*v342*/, v242
	s_set_vgpr_msb 0x55                     ;  msbs: dst=1 src0=1 src1=1 src2=1
	v_mad_i32_i24 v116 /*v372*/, v60 /*v316*/, v79 /*v335*/, v116 /*v372*/
	v_add3_u32 v123 /*v379*/, v123 /*v379*/, v126 /*v382*/, v127 /*v383*/
	v_mul_i32_i24_e32 v126 /*v382*/, v91 /*v347*/, v22 /*v278*/
	s_set_vgpr_msb 0x51                     ;  msbs: dst=1 src0=1 src1=0 src2=1
	v_mad_i32_i24 v130 /*v386*/, v87 /*v343*/, v254, v130 /*v386*/
	s_set_vgpr_msb 64                       ;  msbs: dst=1 src0=0 src1=0 src2=0
	v_bfe_u32 v25 /*v281*/, v237, 4, 4
	s_set_vgpr_msb 0                        ;  msbs: dst=0 src0=0 src1=0 src2=0
	v_dual_lshrrev_b32 v252, 4, v237 :: v_dual_bitop2_b32 v199, 15, v88 bitop3:0x40
	s_set_vgpr_msb 64                       ;  msbs: dst=1 src0=0 src1=0 src2=0
	v_bfe_u32 v26 /*v282*/, v237, 16, 4
	s_set_vgpr_msb 0                        ;  msbs: dst=0 src0=0 src1=0 src2=0
	v_bfe_u32 v118, v134, 8, 4
	s_set_vgpr_msb 64                       ;  msbs: dst=1 src0=0 src1=0 src2=0
	v_bfe_u32 v95 /*v351*/, v134, 16, 4
	s_set_vgpr_msb 0                        ;  msbs: dst=0 src0=0 src1=0 src2=0
	v_bfe_u32 v134, v134, 24, 4
	s_set_vgpr_msb 64                       ;  msbs: dst=1 src0=0 src1=0 src2=0
	v_bfe_i32 v100 /*v356*/, v122, 0, 8
	v_bfe_i32 v101 /*v357*/, v146, 0, 8
	;; [unrolled: 1-line block ×5, first 2 shown]
	s_set_vgpr_msb 0x55                     ;  msbs: dst=1 src0=1 src1=1 src2=1
	v_add3_u32 v116 /*v372*/, v116 /*v372*/, v117 /*v373*/, v120 /*v376*/
	v_mul_i32_i24_e32 v117 /*v373*/, v89 /*v345*/, v49 /*v305*/
	s_set_vgpr_msb 0x44                     ;  msbs: dst=1 src0=0 src1=1 src2=0
	v_mul_i32_i24_e32 v120 /*v376*/, v96, v50 /*v306*/
	s_set_vgpr_msb 0                        ;  msbs: dst=0 src0=0 src1=0 src2=0
	v_mul_i32_i24_e32 v232, v120, v232
	s_set_vgpr_msb 0x55                     ;  msbs: dst=1 src0=1 src1=1 src2=1
	v_mul_i32_i24_e32 v127 /*v383*/, v97 /*v353*/, v23 /*v279*/
	v_add3_u32 v114 /*v370*/, v130 /*v386*/, v132 /*v388*/, v114 /*v370*/
	s_set_vgpr_msb 0x41                     ;  msbs: dst=1 src0=1 src1=0 src2=0
	v_mul_i32_i24_e32 v130 /*v386*/, v98 /*v354*/, v239
	s_set_vgpr_msb 0x45                     ;  msbs: dst=1 src0=1 src1=1 src2=0
	v_mul_i32_i24_e32 v132 /*v388*/, v99 /*v355*/, v24 /*v280*/
	s_set_vgpr_msb 0x51                     ;  msbs: dst=1 src0=1 src1=0 src2=1
	v_mad_i32_i24 v133 /*v389*/, v87 /*v343*/, v244, v133 /*v389*/
	v_mad_i32_i24 v126 /*v382*/, v94 /*v350*/, v81, v126 /*v382*/
	s_set_vgpr_msb 64                       ;  msbs: dst=1 src0=0 src1=0 src2=0
	v_bfe_u32 v27 /*v283*/, v237, 20, 4
	s_set_vgpr_msb 0                        ;  msbs: dst=0 src0=0 src1=0 src2=0
	v_bfe_u32 v231, v88, 16, 4
	s_set_vgpr_msb 64                       ;  msbs: dst=1 src0=0 src1=0 src2=0
	v_bfe_i32 v104 /*v360*/, v122, 16, 8
	v_bfe_i32 v105 /*v361*/, v146, 16, 8
	;; [unrolled: 1-line block ×6, first 2 shown]
	s_set_vgpr_msb 1                        ;  msbs: dst=0 src0=1 src1=0 src2=0
	v_mul_i32_i24_e32 v246, v95 /*v351*/, v246
	s_set_vgpr_msb 0                        ;  msbs: dst=0 src0=0 src1=0 src2=0
	v_mul_i32_i24_e32 v82, v134, v82
	s_set_vgpr_msb 0x55                     ;  msbs: dst=1 src0=1 src1=1 src2=1
	v_add3_u32 v117 /*v373*/, v133 /*v389*/, v117 /*v373*/, v120 /*v376*/
	v_mul_i32_i24_e32 v120 /*v376*/, v101 /*v357*/, v25 /*v281*/
	s_set_vgpr_msb 0x41                     ;  msbs: dst=1 src0=1 src1=0 src2=0
	v_mul_i32_i24_e32 v133 /*v389*/, v102 /*v358*/, v199
	s_set_vgpr_msb 0                        ;  msbs: dst=0 src0=0 src1=0 src2=0
	v_mad_i32_i24 v232, v118, v235, v232
	s_set_vgpr_msb 5                        ;  msbs: dst=0 src0=1 src1=1 src2=0
	v_mul_i32_i24_e32 v235, v103 /*v359*/, v26 /*v282*/
	s_set_vgpr_msb 0x55                     ;  msbs: dst=1 src0=1 src1=1 src2=1
	v_add3_u32 v126 /*v382*/, v126 /*v382*/, v127 /*v383*/, v130 /*v386*/
	v_mul_i32_i24_e32 v127 /*v383*/, v96 /*v352*/, v93 /*v349*/
	s_set_vgpr_msb 0x51                     ;  msbs: dst=1 src0=1 src1=0 src2=1
	v_mad_i32_i24 v132 /*v388*/, v100 /*v356*/, v90, v132 /*v388*/
	s_set_vgpr_msb 0                        ;  msbs: dst=0 src0=0 src1=0 src2=0
	v_add3_u32 v82, v232, v246, v82
	s_set_vgpr_msb 5                        ;  msbs: dst=0 src0=1 src1=1 src2=0
	v_mul_i32_i24_e32 v232, v105 /*v361*/, v27 /*v283*/
	s_set_vgpr_msb 1                        ;  msbs: dst=0 src0=1 src1=0 src2=0
	v_mul_i32_i24_e32 v246, v106 /*v362*/, v231
	s_set_vgpr_msb 0x55                     ;  msbs: dst=1 src0=1 src1=1 src2=1
	v_mul_i32_i24_e32 v130 /*v386*/, v32 /*v288*/, v73 /*v329*/
	v_add3_u32 v120 /*v376*/, v132 /*v388*/, v120 /*v376*/, v133 /*v389*/
	v_mul_i32_i24_e32 v132 /*v388*/, v76 /*v332*/, v80 /*v336*/
	v_mul_i32_i24_e32 v133 /*v389*/, v107 /*v363*/, v78 /*v334*/
	s_set_vgpr_msb 1                        ;  msbs: dst=0 src0=1 src1=0 src2=0
	v_mad_i32_i24 v235, v104 /*v360*/, v91, v235
	s_set_vgpr_msb 0x55                     ;  msbs: dst=1 src0=1 src1=1 src2=1
	v_mad_i32_i24 v127 /*v383*/, v74 /*v330*/, v88 /*v344*/, v127 /*v383*/
	s_set_vgpr_msb 64                       ;  msbs: dst=1 src0=0 src1=0 src2=0
	v_bfe_u32 v51 /*v307*/, v139, 8, 4
	v_bfe_u32 v52 /*v308*/, v139, 24, 4
	s_set_vgpr_msb 0x55                     ;  msbs: dst=1 src0=1 src1=1 src2=1
	v_mad_i32_i24 v133 /*v389*/, v108 /*v364*/, v79 /*v335*/, v133 /*v389*/
	s_set_vgpr_msb 0                        ;  msbs: dst=0 src0=0 src1=0 src2=0
	v_add3_u32 v235, v235, v232, v246
	s_set_vgpr_msb 5                        ;  msbs: dst=0 src0=1 src1=1 src2=0
	v_mul_i32_i24_e32 v232, v109 /*v365*/, v81 /*v337*/
	s_set_vgpr_msb 4                        ;  msbs: dst=0 src0=0 src1=1 src2=0
	v_mul_i32_i24_e32 v246, v98, v82 /*v338*/
	s_set_vgpr_msb 0x55                     ;  msbs: dst=1 src0=1 src1=1 src2=1
	v_add3_u32 v127 /*v383*/, v130 /*v386*/, v132 /*v388*/, v127 /*v383*/
	s_set_vgpr_msb 0x41                     ;  msbs: dst=1 src0=1 src1=0 src2=0
	v_mul_i32_i24_e32 v130 /*v386*/, v107 /*v363*/, v255
	v_mul_i32_i24_e32 v132 /*v388*/, v109 /*v365*/, v89
	s_set_vgpr_msb 64                       ;  msbs: dst=1 src0=0 src1=0 src2=0
	v_bfe_i32 v65 /*v321*/, v130, 8, 8
	s_set_vgpr_msb 1                        ;  msbs: dst=0 src0=1 src1=0 src2=0
	v_add3_u32 v246, v133 /*v389*/, v232, v246
	s_set_vgpr_msb 4                        ;  msbs: dst=0 src0=0 src1=1 src2=0
	v_mul_i32_i24_e32 v232, v98, v8 /*v264*/
	s_set_vgpr_msb 0x51                     ;  msbs: dst=1 src0=1 src1=0 src2=1
	v_mul_i32_i24_e32 v133 /*v389*/, v107 /*v363*/, v242
	v_mad_i32_i24 v130 /*v386*/, v108 /*v364*/, v254, v130 /*v386*/
	v_dual_ashrrev_i32 v66 /*v322*/, 24, v130 :: v_dual_ashrrev_i32 v68 /*v324*/, 24, v128
	s_set_vgpr_msb 64                       ;  msbs: dst=1 src0=0 src1=0 src2=0
	v_bfe_i32 v67 /*v323*/, v128, 8, 8
	s_set_vgpr_msb 0x51                     ;  msbs: dst=1 src0=1 src1=0 src2=1
	v_mad_i32_i24 v133 /*v389*/, v108 /*v364*/, v244, v133 /*v389*/
	s_set_vgpr_msb 0x45                     ;  msbs: dst=1 src0=1 src1=1 src2=0
	v_add3_u32 v130 /*v386*/, v130 /*v386*/, v132 /*v388*/, v232
	s_set_vgpr_msb 5                        ;  msbs: dst=0 src0=1 src1=1 src2=0
	v_mul_i32_i24_e32 v232, v109 /*v365*/, v49 /*v305*/
	s_set_vgpr_msb 0x44                     ;  msbs: dst=1 src0=0 src1=1 src2=0
	v_mul_i32_i24_e32 v132 /*v388*/, v98, v50 /*v306*/
	s_set_vgpr_msb 0                        ;  msbs: dst=0 src0=0 src1=0 src2=0
	v_lshrrev_b16 v122, 8, v122
	s_set_vgpr_msb 64                       ;  msbs: dst=1 src0=0 src1=0 src2=0
	v_bfe_u32 v110 /*v366*/, v135, 8, 4
	v_bfe_u32 v111 /*v367*/, v135, 24, 4
	s_wait_dscnt 0x3
	v_bfe_i32 v136 /*v392*/, v112, 8, 8
	s_set_vgpr_msb 0x51                     ;  msbs: dst=1 src0=1 src1=0 src2=1
	v_add3_u32 v132 /*v388*/, v133 /*v389*/, v232, v132 /*v388*/
	s_set_vgpr_msb 5                        ;  msbs: dst=0 src0=1 src1=1 src2=0
	v_mul_i32_i24_e32 v232, v41 /*v297*/, v21 /*v277*/
	s_set_vgpr_msb 0x45                     ;  msbs: dst=1 src0=1 src1=1 src2=0
	v_mul_i32_i24_e32 v133 /*v389*/, v43 /*v299*/, v33 /*v289*/
	s_set_vgpr_msb 64                       ;  msbs: dst=1 src0=0 src1=0 src2=0
	v_bfe_i32 v135 /*v391*/, v122, 0, 8
	v_ashrrev_i32_e32 v137 /*v393*/, 24, v112
	v_bfe_i32 v138 /*v394*/, v130, 16, 8
	s_set_vgpr_msb 0                        ;  msbs: dst=0 src0=0 src1=0 src2=0
	v_and_b32_e32 v237, 0xf0f0f0f, v237
	s_set_vgpr_msb 0x45                     ;  msbs: dst=1 src0=1 src1=1 src2=0
	v_add3_u32 v112 /*v368*/, v112 /*v368*/, v133 /*v389*/, v232
	s_set_vgpr_msb 0                        ;  msbs: dst=0 src0=0 src1=0 src2=0
	v_mul_i32_i24_e32 v232, v254, v250
	s_set_vgpr_msb 64                       ;  msbs: dst=1 src0=0 src1=0 src2=0
	v_mul_i32_i24_e32 v133 /*v389*/, v255, v251
	s_set_vgpr_msb 1                        ;  msbs: dst=0 src0=1 src1=0 src2=0
	v_mul_i32_i24_e32 v122, v135 /*v391*/, v255
	v_lshrrev_b16 v237, 8, v237
	s_set_vgpr_msb 64                       ;  msbs: dst=1 src0=0 src1=0 src2=0
	v_bfe_i32 v44 /*v300*/, v154, 0, 8
	v_bfe_i32 v45 /*v301*/, v154, 8, 8
	s_set_vgpr_msb 0x45                     ;  msbs: dst=1 src0=1 src1=1 src2=0
	v_add3_u32 v113 /*v369*/, v113 /*v369*/, v133 /*v389*/, v232
	s_set_vgpr_msb 5                        ;  msbs: dst=0 src0=1 src1=1 src2=0
	v_mul_i32_i24_e32 v232, v41 /*v297*/, v51 /*v307*/
	s_set_vgpr_msb 0x45                     ;  msbs: dst=1 src0=1 src1=1 src2=0
	v_mul_i32_i24_e32 v133 /*v389*/, v43 /*v299*/, v52 /*v308*/
	s_set_vgpr_msb 1                        ;  msbs: dst=0 src0=1 src1=0 src2=0
	v_mad_i32_i24 v122, v100 /*v356*/, v254, v122
	s_set_vgpr_msb 5                        ;  msbs: dst=0 src0=1 src1=1 src2=0
	v_mul_i32_i24_e32 v254, v94 /*v350*/, v82 /*v338*/
	s_set_vgpr_msb 64                       ;  msbs: dst=1 src0=0 src1=0 src2=0
	v_bfe_i32 v46 /*v302*/, v154, 16, 8
	s_set_vgpr_msb 0                        ;  msbs: dst=0 src0=0 src1=0 src2=0
	v_bfe_i32 v154, v155, 0, 8
	s_set_vgpr_msb 0x45                     ;  msbs: dst=1 src0=1 src1=1 src2=0
	v_add3_u32 v118 /*v374*/, v118 /*v374*/, v133 /*v389*/, v232
	s_set_vgpr_msb 0                        ;  msbs: dst=0 src0=0 src1=0 src2=0
	v_mul_i32_i24_e32 v232, v244, v250
	s_set_vgpr_msb 64                       ;  msbs: dst=1 src0=0 src1=0 src2=0
	v_mul_i32_i24_e32 v133 /*v389*/, v242, v251
	s_set_vgpr_msb 1                        ;  msbs: dst=0 src0=1 src1=0 src2=0
	v_mul_i32_i24_e32 v242, v135 /*v391*/, v242
	s_set_vgpr_msb 0                        ;  msbs: dst=0 src0=0 src1=0 src2=0
	v_bfe_i32 v146, v146, 8, 8
	v_bfe_i32 v255, v155, 16, 8
	v_bfe_u32 v211, v88, 20, 4
	s_set_vgpr_msb 0x45                     ;  msbs: dst=1 src0=1 src1=1 src2=0
	v_add3_u32 v122 /*v378*/, v122 /*v378*/, v133 /*v389*/, v232
	s_set_vgpr_msb 5                        ;  msbs: dst=0 src0=1 src1=1 src2=0
	v_mul_i32_i24_e32 v232, v65 /*v321*/, v21 /*v277*/
	s_set_vgpr_msb 0x45                     ;  msbs: dst=1 src0=1 src1=1 src2=0
	v_mul_i32_i24_e32 v133 /*v389*/, v66 /*v322*/, v33 /*v289*/
	s_set_vgpr_msb 1                        ;  msbs: dst=0 src0=1 src1=0 src2=0
	v_mad_i32_i24 v242, v100 /*v356*/, v244, v242
	s_set_vgpr_msb 5                        ;  msbs: dst=0 src0=1 src1=1 src2=0
	v_mul_i32_i24_e32 v244, v135 /*v391*/, v78 /*v334*/
	s_set_vgpr_msb 0                        ;  msbs: dst=0 src0=0 src1=0 src2=0
	v_bfe_u32 v203, v88, 4, 4
	s_set_vgpr_msb 64                       ;  msbs: dst=1 src0=0 src1=0 src2=0
	v_bfe_u32 v55 /*v311*/, v139, 16, 4
	s_set_vgpr_msb 0x45                     ;  msbs: dst=1 src0=1 src1=1 src2=0
	v_add3_u32 v125 /*v381*/, v125 /*v381*/, v133 /*v389*/, v232
	s_set_vgpr_msb 5                        ;  msbs: dst=0 src0=1 src1=1 src2=0
	v_mul_i32_i24_e32 v232, v67 /*v323*/, v21 /*v277*/
	s_set_vgpr_msb 0x45                     ;  msbs: dst=1 src0=1 src1=1 src2=0
	v_mul_i32_i24_e32 v133 /*v389*/, v68 /*v324*/, v33 /*v289*/
	s_set_vgpr_msb 5                        ;  msbs: dst=0 src0=1 src1=1 src2=0
	v_mad_i32_i24 v244, v100 /*v356*/, v79 /*v335*/, v244
	s_set_vgpr_msb 0                        ;  msbs: dst=0 src0=0 src1=0 src2=0
	v_mul_i32_i24_e32 v144, v81, v144
	v_mul_i32_i24_e32 v92, v81, v92
	;; [unrolled: 1-line block ×3, first 2 shown]
	s_set_vgpr_msb 0x45                     ;  msbs: dst=1 src0=1 src1=1 src2=0
	v_add3_u32 v128 /*v384*/, v128 /*v384*/, v133 /*v389*/, v232
	s_set_vgpr_msb 5                        ;  msbs: dst=0 src0=1 src1=1 src2=0
	v_mul_i32_i24_e32 v232, v65 /*v321*/, v51 /*v307*/
	s_set_vgpr_msb 0x45                     ;  msbs: dst=1 src0=1 src1=1 src2=0
	v_mul_i32_i24_e32 v133 /*v389*/, v66 /*v322*/, v52 /*v308*/
	s_set_vgpr_msb 0                        ;  msbs: dst=0 src0=0 src1=0 src2=0
	v_mul_i32_i24_e32 v98, v81, v98
	v_and_b32_e32 v88, 0xf0f0f0f, v88
	v_bfe_i32 v149, v149, 8, 8
	s_set_vgpr_msb 64                       ;  msbs: dst=1 src0=0 src1=0 src2=0
	v_lshrrev_b32_e32 v139 /*v395*/, 28, v135
	s_set_vgpr_msb 0x45                     ;  msbs: dst=1 src0=1 src1=1 src2=0
	v_add3_u32 v131 /*v387*/, v131 /*v387*/, v133 /*v389*/, v232
	s_set_vgpr_msb 5                        ;  msbs: dst=0 src0=1 src1=1 src2=0
	v_mul_i32_i24_e32 v232, v67 /*v323*/, v51 /*v307*/
	s_set_vgpr_msb 0x45                     ;  msbs: dst=1 src0=1 src1=1 src2=0
	v_mul_i32_i24_e32 v133 /*v389*/, v68 /*v324*/, v52 /*v308*/
	s_set_vgpr_msb 0                        ;  msbs: dst=0 src0=0 src1=0 src2=0
	v_lshrrev_b16 v88, 8, v88
	v_bfe_u32 v208, v143, 8, 4
	s_set_vgpr_msb 64                       ;  msbs: dst=1 src0=0 src1=0 src2=0
	v_dual_ashrrev_i32 v144 /*v400*/, 24, v116 :: v_dual_ashrrev_i32 v154 /*v410*/, 24, v114
	s_set_vgpr_msb 0x45                     ;  msbs: dst=1 src0=1 src1=1 src2=0
	v_add3_u32 v72 /*v328*/, v72 /*v328*/, v133 /*v389*/, v232
	s_set_vgpr_msb 5                        ;  msbs: dst=0 src0=1 src1=1 src2=0
	v_mul_i32_i24_e32 v232, v41 /*v297*/, v110 /*v366*/
	s_set_vgpr_msb 0x45                     ;  msbs: dst=1 src0=1 src1=1 src2=0
	v_mul_i32_i24_e32 v133 /*v389*/, v43 /*v299*/, v111 /*v367*/
	s_set_vgpr_msb 64                       ;  msbs: dst=1 src0=0 src1=0 src2=0
	v_bfe_i32 v141 /*v397*/, v114, 16, 8
	v_bfe_i32 v140 /*v396*/, v116, 16, 8
	v_ashrrev_i32_e32 v155 /*v411*/, 24, v106
	s_wait_dscnt 0x1
	s_set_vgpr_msb 0                        ;  msbs: dst=0 src0=0 src1=0 src2=0
	v_bfe_i32 v106, v111, 0, 8
	s_set_vgpr_msb 0x45                     ;  msbs: dst=1 src0=1 src1=1 src2=0
	v_add3_u32 v115 /*v371*/, v115 /*v371*/, v133 /*v389*/, v232
	s_set_vgpr_msb 5                        ;  msbs: dst=0 src0=1 src1=1 src2=0
	v_mul_i32_i24_e32 v232, v104 /*v360*/, v81 /*v337*/
	s_set_vgpr_msb 64                       ;  msbs: dst=1 src0=0 src1=0 src2=0
	v_bfe_i32 v133 /*v389*/, v108, 8, 8
	v_bfe_i32 v157 /*v413*/, v93, 8, 8
	;; [unrolled: 1-line block ×3, first 2 shown]
	v_dual_lshrrev_b32 v186 /*v442*/, 16, v151 :: v_dual_lshrrev_b32 v187 /*v443*/, 16, v206
	s_set_vgpr_msb 0                        ;  msbs: dst=0 src0=0 src1=0 src2=0
	v_add3_u32 v244, v244, v232, v254
	s_set_vgpr_msb 1                        ;  msbs: dst=0 src0=1 src1=0 src2=0
	v_mul_i32_i24_e32 v232, v104 /*v360*/, v89
	s_set_vgpr_msb 5                        ;  msbs: dst=0 src0=1 src1=1 src2=0
	v_mul_i32_i24_e32 v254, v94 /*v350*/, v8 /*v264*/
	s_set_vgpr_msb 4                        ;  msbs: dst=0 src0=0 src1=1 src2=0
	v_mul_i32_i24_e32 v89, v89, v6 /*v262*/
	s_set_vgpr_msb 64                       ;  msbs: dst=1 src0=0 src1=0 src2=0
	v_bfe_i32 v159 /*v415*/, v99, 8, 8
	v_bfe_i32 v160 /*v416*/, v99, 16, 8
	v_dual_lshrrev_b32 v184 /*v440*/, 16, v210 :: v_dual_lshrrev_b32 v185 /*v441*/, 16, v207
	v_add3_u32 v100 /*v356*/, v122, v232, v254
	s_set_vgpr_msb 5                        ;  msbs: dst=0 src0=1 src1=1 src2=0
	v_mul_i32_i24_e32 v122, v104 /*v360*/, v49 /*v305*/
	v_mul_i32_i24_e32 v232, v94 /*v350*/, v50 /*v306*/
	s_set_vgpr_msb 0                        ;  msbs: dst=0 src0=0 src1=0 src2=0
	v_bfe_i32 v254, v155, 8, 8
	v_ashrrev_i32_e32 v155, 24, v155
	s_set_vgpr_msb 64                       ;  msbs: dst=1 src0=0 src1=0 src2=0
	v_dual_lshrrev_b32 v182 /*v438*/, 16, v212 :: v_dual_lshrrev_b32 v183 /*v439*/, 16, v209
	v_add3_u32 v94 /*v350*/, v242, v122, v232
	s_set_vgpr_msb 5                        ;  msbs: dst=0 src0=1 src1=1 src2=0
	v_mul_i32_i24_e32 v122, v133 /*v389*/, v110 /*v366*/
	v_mul_i32_i24_e32 v232, v134 /*v390*/, v111 /*v367*/
	s_set_vgpr_msb 0                        ;  msbs: dst=0 src0=0 src1=0 src2=0
	v_lshrrev_b16 v242, 8, v252
	v_bfe_u32 v252, v143, 24, 4
	s_set_vgpr_msb 64                       ;  msbs: dst=1 src0=0 src1=0 src2=0
	v_bfe_u32 v142 /*v398*/, v95, 20, 4
	v_bfe_i32 v143 /*v399*/, v97, 8, 8
	s_set_vgpr_msb 0x41                     ;  msbs: dst=1 src0=1 src1=0 src2=0
	v_add3_u32 v104 /*v360*/, v119 /*v375*/, v232, v122
	s_set_vgpr_msb 5                        ;  msbs: dst=0 src0=1 src1=1 src2=0
	v_mul_i32_i24_e32 v122, v133 /*v389*/, v21 /*v277*/
	v_mul_i32_i24_e32 v232, v134 /*v390*/, v33 /*v289*/
	s_set_vgpr_msb 64                       ;  msbs: dst=1 src0=0 src1=0 src2=0
	v_bfe_i32 v156 /*v412*/, v97, 16, 8
	v_dual_lshrrev_b32 v178 /*v434*/, 16, v218 :: v_dual_lshrrev_b32 v180 /*v436*/, 16, v213
	v_dual_lshrrev_b32 v179 /*v435*/, 16, v214 :: v_dual_lshrrev_b32 v181 /*v437*/, 16, v215
	s_set_vgpr_msb 0x41                     ;  msbs: dst=1 src0=1 src1=0 src2=0
	v_add3_u32 v119 /*v375*/, v124 /*v380*/, v232, v122
	s_set_vgpr_msb 5                        ;  msbs: dst=0 src0=1 src1=1 src2=0
	v_mul_i32_i24_e32 v122, v133 /*v389*/, v51 /*v307*/
	v_mul_i32_i24_e32 v232, v134 /*v390*/, v52 /*v308*/
	s_set_vgpr_msb 0x41                     ;  msbs: dst=1 src0=1 src1=0 src2=0
	v_dual_lshrrev_b32 v173 /*v429*/, 16, v226 :: v_dual_lshrrev_b32 v174 /*v430*/, 16, v223
	v_dual_lshrrev_b32 v175 /*v431*/, 16, v221 :: v_dual_lshrrev_b32 v176 /*v432*/, 16, v222
	s_delay_alu instid0(VALU_DEP_3)
	v_add3_u32 v124 /*v380*/, v129 /*v385*/, v232, v122
	s_set_vgpr_msb 5                        ;  msbs: dst=0 src0=1 src1=1 src2=0
	v_mul_i32_i24_e32 v122, v65 /*v321*/, v110 /*v366*/
	v_mul_i32_i24_e32 v232, v66 /*v322*/, v111 /*v367*/
	s_set_vgpr_msb 64                       ;  msbs: dst=1 src0=0 src1=0 src2=0
	v_bfe_i32 v129 /*v385*/, v130, 0, 8
	s_set_vgpr_msb 1                        ;  msbs: dst=0 src0=1 src1=0 src2=0
	v_mul_i32_i24_e32 v130, v79 /*v335*/, v250
	s_set_vgpr_msb 64                       ;  msbs: dst=1 src0=0 src1=0 src2=0
	v_ashrrev_i32_e32 v79 /*v335*/, 24, v147
	s_set_vgpr_msb 0x45                     ;  msbs: dst=1 src0=1 src1=1 src2=0
	v_mul_i32_i24_e32 v66 /*v322*/, v66 /*v322*/, v22 /*v278*/
	s_set_vgpr_msb 0x41                     ;  msbs: dst=1 src0=1 src1=0 src2=0
	v_add3_u32 v77 /*v333*/, v77 /*v333*/, v232, v122
	s_set_vgpr_msb 5                        ;  msbs: dst=0 src0=1 src1=1 src2=0
	v_mul_i32_i24_e32 v122, v67 /*v323*/, v110 /*v366*/
	v_mul_i32_i24_e32 v232, v68 /*v324*/, v111 /*v367*/
	s_set_vgpr_msb 0x45                     ;  msbs: dst=1 src0=1 src1=1 src2=0
	v_mul_i32_i24_e32 v68 /*v324*/, v68 /*v324*/, v22 /*v278*/
	s_set_vgpr_msb 0                        ;  msbs: dst=0 src0=0 src1=0 src2=0
	v_dual_add_nc_u32 v196, 16, v196 :: v_dual_add_nc_u32 v195, 4, v195
	v_dual_add_nc_u32 v194, 4, v194 :: v_dual_add_nc_u32 v193, 4, v193
	s_set_vgpr_msb 0x41                     ;  msbs: dst=1 src0=1 src1=0 src2=0
	v_add3_u32 v116 /*v372*/, v116 /*v372*/, v232, v122
	s_set_vgpr_msb 5                        ;  msbs: dst=0 src0=1 src1=1 src2=0
	v_mul_i32_i24_e32 v122, v136 /*v392*/, v110 /*v366*/
	v_mul_i32_i24_e32 v232, v137 /*v393*/, v111 /*v367*/
	s_set_vgpr_msb 0                        ;  msbs: dst=0 src0=0 src1=0 src2=0
	v_dual_add_nc_u32 v192, 4, v192 :: v_dual_add_nc_u32 v191, 4, v191
	v_add_nc_u32_e32 v190, 32, v190
	s_add_co_i32 s10, s10, 4
	s_set_vgpr_msb 0x41                     ;  msbs: dst=1 src0=1 src1=0 src2=0
	v_add3_u32 v123 /*v379*/, v123 /*v379*/, v232, v122
	s_set_vgpr_msb 5                        ;  msbs: dst=0 src0=1 src1=1 src2=0
	v_mul_i32_i24_e32 v122, v136 /*v392*/, v21 /*v277*/
	v_mul_i32_i24_e32 v232, v137 /*v393*/, v33 /*v289*/
	s_cmp_lt_u32 s10, 12
	s_set_vgpr_msb 0x41                     ;  msbs: dst=1 src0=1 src1=0 src2=0
	v_lshrrev_b32_e32 v177 /*v433*/, 16, v220
	s_delay_alu instid0(VALU_DEP_2) | instskip(SKIP_4) | instid1(VALU_DEP_1)
	v_add3_u32 v114 /*v370*/, v114 /*v370*/, v232, v122
	s_set_vgpr_msb 5                        ;  msbs: dst=0 src0=1 src1=1 src2=0
	v_mul_i32_i24_e32 v122, v136 /*v392*/, v51 /*v307*/
	v_mul_i32_i24_e32 v232, v137 /*v393*/, v52 /*v308*/
	s_set_vgpr_msb 0x41                     ;  msbs: dst=1 src0=1 src1=0 src2=0
	v_add3_u32 v117 /*v373*/, v117 /*v373*/, v232, v122
	s_set_vgpr_msb 1                        ;  msbs: dst=0 src0=1 src1=0 src2=0
	v_lshrrev_b16 v122, 8, v236
	v_mul_i32_i24_e32 v232, v78 /*v334*/, v251
	s_set_vgpr_msb 0                        ;  msbs: dst=0 src0=0 src1=0 src2=0
	v_mul_i32_i24_e32 v236, v90, v250
	s_set_vgpr_msb 64                       ;  msbs: dst=1 src0=0 src1=0 src2=0
	v_bfe_i32 v78 /*v334*/, v147, 0, 8
	s_set_vgpr_msb 0                        ;  msbs: dst=0 src0=0 src1=0 src2=0
	v_and_b32_e32 v122, 15, v122
	v_add3_u32 v82, v82, v232, v130
	v_bfe_i32 v130, v148, 8, 8
	s_delay_alu instid0(VALU_DEP_3) | instskip(NEXT) | instid1(VALU_DEP_1)
	v_and_b32_e32 v148, 0xffff, v122
	v_mul_i32_i24_e32 v232, v148, v245
	v_mul_i32_i24_e32 v251, v148, v251
	s_set_vgpr_msb 4                        ;  msbs: dst=0 src0=0 src1=1 src2=0
	v_mul_i32_i24_e32 v122, v148, v38 /*v294*/
	v_mul_i32_i24_e32 v245, v148, v86 /*v342*/
	s_set_vgpr_msb 64                       ;  msbs: dst=1 src0=0 src1=0 src2=0
	v_and_b32_e32 v86 /*v342*/, 0xffff, v237
	s_set_vgpr_msb 0x44                     ;  msbs: dst=1 src0=0 src1=1 src2=0
	v_mad_i32_i24 v56 /*v312*/, v90, v56 /*v312*/, v232
	s_set_vgpr_msb 4                        ;  msbs: dst=0 src0=0 src1=1 src2=0
	v_mul_i32_i24_e32 v232, v148, v59 /*v315*/
	s_set_vgpr_msb 0x41                     ;  msbs: dst=1 src0=1 src1=0 src2=0
	v_add3_u32 v71 /*v327*/, v71 /*v327*/, v251, v236
	s_set_vgpr_msb 0                        ;  msbs: dst=0 src0=0 src1=0 src2=0
	v_and_b32_e32 v236, 15, v242
	v_mad_i32_i24 v243, v90, v243, v122
	s_set_vgpr_msb 4                        ;  msbs: dst=0 src0=0 src1=1 src2=0
	v_mul_i32_i24_e32 v122, v148, v83 /*v339*/
	s_set_vgpr_msb 0x44                     ;  msbs: dst=1 src0=0 src1=1 src2=0
	v_mad_i32_i24 v59 /*v315*/, v90, v60 /*v316*/, v232
	v_mad_i32_i24 v60 /*v316*/, v90, v87 /*v343*/, v245
	s_set_vgpr_msb 64                       ;  msbs: dst=1 src0=0 src1=0 src2=0
	v_and_b32_e32 v87 /*v343*/, 0xffff, v236
	v_bfe_i32 v38 /*v294*/, v147, 16, 8
	s_set_vgpr_msb 4                        ;  msbs: dst=0 src0=0 src1=1 src2=0
	v_mad_i32_i24 v250, v90, v84 /*v340*/, v122
	v_bfe_i32 v122, v107, 16, 8
	v_mul_i32_i24_e32 v245, v148, v107 /*v363*/
	v_mul_i32_i24_e32 v236, v130, v86 /*v342*/
	s_set_vgpr_msb 1                        ;  msbs: dst=0 src0=1 src1=0 src2=0
	v_mul_i32_i24_e32 v148, v135 /*v391*/, v148
	s_set_vgpr_msb 4                        ;  msbs: dst=0 src0=0 src1=1 src2=0
	v_mul_i32_i24_e32 v237, v146, v87 /*v343*/
	v_bfe_i32 v232, v107, 0, 8
	v_mad_i32_i24 v90, v90, v108 /*v364*/, v245
	s_set_vgpr_msb 0                        ;  msbs: dst=0 src0=0 src1=0 src2=0
	v_ashrrev_i32_e32 v245, 24, v107
	s_set_vgpr_msb 64                       ;  msbs: dst=1 src0=0 src1=0 src2=0
	v_bfe_i32 v83 /*v339*/, v110, 8, 8
	s_set_vgpr_msb 0                        ;  msbs: dst=0 src0=0 src1=0 src2=0
	v_add3_u32 v148, v148, v236, v237
	s_set_vgpr_msb 1                        ;  msbs: dst=0 src0=1 src1=0 src2=0
	v_mul_i32_i24_e32 v236, v38 /*v294*/, v211
	s_set_vgpr_msb 0                        ;  msbs: dst=0 src0=0 src1=0 src2=0
	v_mul_i32_i24_e32 v237, v122, v229
	s_set_vgpr_msb 64                       ;  msbs: dst=1 src0=0 src1=0 src2=0
	v_ashrrev_i32_e32 v84 /*v340*/, 24, v110
	v_bfe_i32 v135 /*v391*/, v128, 16, 8
	s_set_vgpr_msb 0                        ;  msbs: dst=0 src0=0 src1=0 src2=0
	v_ashrrev_i32_e32 v242, 24, v141
	v_bfe_i32 v251, v145, 0, 8
	s_set_vgpr_msb 64                       ;  msbs: dst=1 src0=0 src1=0 src2=0
	v_add3_u32 v107 /*v363*/, v235, v236, v237
	s_set_vgpr_msb 1                        ;  msbs: dst=0 src0=1 src1=0 src2=0
	v_mul_i32_i24_e32 v235, v78 /*v334*/, v203
	s_set_vgpr_msb 0                        ;  msbs: dst=0 src0=0 src1=0 src2=0
	v_mul_i32_i24_e32 v236, v232, v230
	s_set_vgpr_msb 0x45                     ;  msbs: dst=1 src0=1 src1=1 src2=0
	v_mul_i32_i24_e32 v67 /*v323*/, v67 /*v323*/, v86 /*v342*/
	v_mul_i32_i24_e32 v65 /*v321*/, v65 /*v321*/, v86 /*v342*/
	s_set_vgpr_msb 0                        ;  msbs: dst=0 src0=0 src1=0 src2=0
	v_bfe_i32 v237, v141, 0, 8
	s_set_vgpr_msb 0x41                     ;  msbs: dst=1 src0=1 src1=0 src2=0
	v_add3_u32 v108 /*v364*/, v120 /*v376*/, v235, v236
	s_set_vgpr_msb 1                        ;  msbs: dst=0 src0=1 src1=0 src2=0
	v_mul_i32_i24_e32 v235, v79 /*v335*/, v200
	s_set_vgpr_msb 0                        ;  msbs: dst=0 src0=0 src1=0 src2=0
	v_mul_i32_i24_e32 v236, v245, v225
	s_set_vgpr_msb 0x41                     ;  msbs: dst=1 src0=1 src1=0 src2=0
	s_delay_alu instid0(VALU_DEP_1) | instskip(SKIP_4) | instid1(VALU_DEP_1)
	v_add3_u32 v120 /*v376*/, v126 /*v382*/, v235, v236
	s_set_vgpr_msb 5                        ;  msbs: dst=0 src0=1 src1=1 src2=0
	v_mul_i32_i24_e32 v235, v83 /*v339*/, v110 /*v366*/
	v_mul_i32_i24_e32 v236, v84 /*v340*/, v111 /*v367*/
	s_set_vgpr_msb 0                        ;  msbs: dst=0 src0=0 src1=0 src2=0
	v_add3_u32 v246, v246, v236, v235
	s_set_vgpr_msb 5                        ;  msbs: dst=0 src0=1 src1=1 src2=0
	v_mul_i32_i24_e32 v235, v83 /*v339*/, v21 /*v277*/
	v_mul_i32_i24_e32 v236, v84 /*v340*/, v33 /*v289*/
	s_set_vgpr_msb 0x41                     ;  msbs: dst=1 src0=1 src1=0 src2=0
	s_delay_alu instid0(VALU_DEP_1)
	v_add3_u32 v126 /*v382*/, v130 /*v386*/, v236, v235
	s_set_vgpr_msb 5                        ;  msbs: dst=0 src0=1 src1=1 src2=0
	v_mul_i32_i24_e32 v235, v83 /*v339*/, v51 /*v307*/
	v_mul_i32_i24_e32 v236, v84 /*v340*/, v52 /*v308*/
	s_set_vgpr_msb 0x45                     ;  msbs: dst=1 src0=1 src1=1 src2=0
	v_mul_i32_i24_e32 v83 /*v339*/, v83 /*v339*/, v86 /*v342*/
	s_set_vgpr_msb 0x41                     ;  msbs: dst=1 src0=1 src1=0 src2=0
	s_delay_alu instid0(VALU_DEP_2)
	v_add3_u32 v130 /*v386*/, v132 /*v388*/, v236, v235
	s_set_vgpr_msb 5                        ;  msbs: dst=0 src0=1 src1=1 src2=0
	v_mul_i32_i24_e32 v235, v40 /*v296*/, v30 /*v286*/
	v_mul_i32_i24_e32 v236, v42 /*v298*/, v31 /*v287*/
	s_set_vgpr_msb 64                       ;  msbs: dst=1 src0=0 src1=0 src2=0
	v_bfe_i32 v132 /*v388*/, v128, 0, 8
	s_set_vgpr_msb 1                        ;  msbs: dst=0 src0=1 src1=0 src2=0
	v_mul_i32_i24_e32 v128, v8 /*v264*/, v80
	s_set_vgpr_msb 0x41                     ;  msbs: dst=1 src0=1 src1=0 src2=0
	v_ashrrev_i32_e32 v8 /*v264*/, 24, v145
	v_add3_u32 v112 /*v368*/, v112 /*v368*/, v235, v236
	s_set_vgpr_msb 5                        ;  msbs: dst=0 src0=1 src1=1 src2=0
	v_mul_i32_i24_e32 v235, v42 /*v298*/, v55 /*v311*/
	s_set_vgpr_msb 1                        ;  msbs: dst=0 src0=1 src1=0 src2=0
	v_add3_u32 v89, v113 /*v369*/, v89, v128
	s_set_vgpr_msb 5                        ;  msbs: dst=0 src0=1 src1=1 src2=0
	v_mul_i32_i24_e32 v128, v40 /*v296*/, v53 /*v309*/
	s_set_vgpr_msb 1                        ;  msbs: dst=0 src0=1 src1=0 src2=0
	v_mul_i32_i24_e32 v236, v50 /*v306*/, v80
	s_set_vgpr_msb 64                       ;  msbs: dst=1 src0=0 src1=0 src2=0
	v_and_b32_e32 v113 /*v369*/, 15, v135
	s_set_vgpr_msb 0x45                     ;  msbs: dst=1 src0=1 src1=1 src2=0
	v_mul_i32_i24_e32 v84 /*v340*/, v84 /*v340*/, v22 /*v278*/
	s_set_vgpr_msb 1                        ;  msbs: dst=0 src0=1 src1=0 src2=0
	v_add3_u32 v128, v118 /*v374*/, v128, v235
	s_set_vgpr_msb 5                        ;  msbs: dst=0 src0=1 src1=1 src2=0
	v_mul_i32_i24_e32 v235, v49 /*v305*/, v6 /*v262*/
	s_set_vgpr_msb 64                       ;  msbs: dst=1 src0=0 src1=0 src2=0
	v_bfe_u32 v118 /*v374*/, v135, 16, 4
	s_set_vgpr_msb 0x41                     ;  msbs: dst=1 src0=1 src1=0 src2=0
	s_delay_alu instid0(VALU_DEP_2) | instskip(SKIP_4) | instid1(VALU_DEP_1)
	v_add3_u32 v49 /*v305*/, v122 /*v378*/, v235, v236
	s_set_vgpr_msb 5                        ;  msbs: dst=0 src0=1 src1=1 src2=0
	v_mul_i32_i24_e32 v235, v129 /*v385*/, v30 /*v286*/
	v_mul_i32_i24_e32 v236, v138 /*v394*/, v31 /*v287*/
	s_set_vgpr_msb 0x41                     ;  msbs: dst=1 src0=1 src1=0 src2=0
	v_add3_u32 v50 /*v306*/, v125 /*v381*/, v235, v236
	s_set_vgpr_msb 5                        ;  msbs: dst=0 src0=1 src1=1 src2=0
	v_mul_i32_i24_e32 v235, v132 /*v388*/, v30 /*v286*/
	v_mul_i32_i24_e32 v236, v135 /*v391*/, v31 /*v287*/
	s_set_vgpr_msb 0x41                     ;  msbs: dst=1 src0=1 src1=0 src2=0
	s_delay_alu instid0(VALU_DEP_1)
	v_add3_u32 v122 /*v378*/, v128 /*v384*/, v235, v236
	s_set_vgpr_msb 5                        ;  msbs: dst=0 src0=1 src1=1 src2=0
	v_mul_i32_i24_e32 v235, v129 /*v385*/, v53 /*v309*/
	v_mul_i32_i24_e32 v236, v138 /*v394*/, v55 /*v311*/
	s_set_vgpr_msb 64                       ;  msbs: dst=1 src0=0 src1=0 src2=0
	v_bfe_u32 v128 /*v384*/, v135, 4, 4
	s_set_vgpr_msb 0x41                     ;  msbs: dst=1 src0=1 src1=0 src2=0
	s_delay_alu instid0(VALU_DEP_2) | instskip(SKIP_4) | instid1(VALU_DEP_1)
	v_add3_u32 v125 /*v381*/, v131 /*v387*/, v235, v236
	s_set_vgpr_msb 5                        ;  msbs: dst=0 src0=1 src1=1 src2=0
	v_mul_i32_i24_e32 v235, v132 /*v388*/, v53 /*v309*/
	v_mul_i32_i24_e32 v236, v135 /*v391*/, v55 /*v311*/
	s_set_vgpr_msb 0x41                     ;  msbs: dst=1 src0=1 src1=0 src2=0
	v_add3_u32 v72 /*v328*/, v72 /*v328*/, v235, v236
	s_set_vgpr_msb 5                        ;  msbs: dst=0 src0=1 src1=1 src2=0
	v_mul_i32_i24_e32 v235, v40 /*v296*/, v113 /*v369*/
	v_mul_i32_i24_e32 v236, v42 /*v298*/, v118 /*v374*/
	s_set_vgpr_msb 0x41                     ;  msbs: dst=1 src0=1 src1=0 src2=0
	s_delay_alu instid0(VALU_DEP_1)
	v_add3_u32 v115 /*v371*/, v115 /*v371*/, v235, v236
	s_set_vgpr_msb 4                        ;  msbs: dst=0 src0=0 src1=1 src2=0
	v_mul_i32_i24_e32 v235, v91, v39 /*v295*/
	s_set_vgpr_msb 5                        ;  msbs: dst=0 src0=1 src1=1 src2=0
	v_mul_i32_i24_e32 v236, v91 /*v347*/, v111 /*v367*/
	s_set_vgpr_msb 0                        ;  msbs: dst=0 src0=0 src1=0 src2=0
	s_delay_alu instid0(VALU_DEP_2) | instskip(SKIP_4) | instid1(VALU_DEP_2)
	v_add3_u32 v144, v243, v235, v144
	s_set_vgpr_msb 4                        ;  msbs: dst=0 src0=0 src1=1 src2=0
	v_mul_i32_i24_e32 v235, v130, v110 /*v366*/
	v_bfe_u32 v243, v143, 16, 4
	s_set_vgpr_msb 64                       ;  msbs: dst=1 src0=0 src1=0 src2=0
	v_add3_u32 v39 /*v295*/, v244, v236, v235
	s_set_vgpr_msb 4                        ;  msbs: dst=0 src0=0 src1=1 src2=0
	v_mul_i32_i24_e32 v235, v130, v21 /*v277*/
	s_set_vgpr_msb 5                        ;  msbs: dst=0 src0=1 src1=1 src2=0
	v_mul_i32_i24_e32 v236, v91 /*v347*/, v33 /*v289*/
	s_set_vgpr_msb 4                        ;  msbs: dst=0 src0=0 src1=1 src2=0
	v_mul_i32_i24_e32 v130, v130, v51 /*v307*/
	s_set_vgpr_msb 0                        ;  msbs: dst=0 src0=0 src1=0 src2=0
	v_and_b32_e32 v244, 15, v143
	s_set_vgpr_msb 0x41                     ;  msbs: dst=1 src0=1 src1=0 src2=0
	v_add3_u32 v100 /*v356*/, v100 /*v356*/, v236, v235
	s_set_vgpr_msb 5                        ;  msbs: dst=0 src0=1 src1=1 src2=0
	v_mul_i32_i24_e32 v236, v91 /*v347*/, v52 /*v308*/
	s_set_vgpr_msb 0                        ;  msbs: dst=0 src0=0 src1=0 src2=0
	v_bfe_i32 v235, v141, 8, 8
	s_set_vgpr_msb 0x41                     ;  msbs: dst=1 src0=1 src1=0 src2=0
	s_delay_alu instid0(VALU_DEP_2)
	v_add3_u32 v91 /*v347*/, v94 /*v350*/, v236, v130
	s_set_vgpr_msb 64                       ;  msbs: dst=1 src0=0 src1=0 src2=0
	v_bfe_i32 v94 /*v350*/, v108, 0, 8
	s_set_vgpr_msb 4                        ;  msbs: dst=0 src0=0 src1=1 src2=0
	v_bfe_i32 v108, v108, 16, 8
	v_mul_i32_i24_e32 v130, v91, v85 /*v341*/
	s_delay_alu instid0(VALU_DEP_2) | instskip(SKIP_1) | instid1(VALU_DEP_2)
	v_mul_i32_i24_e32 v236, v108, v118 /*v374*/
	s_set_vgpr_msb 0                        ;  msbs: dst=0 src0=0 src1=0 src2=0
	v_add3_u32 v92, v250, v130, v92
	s_set_vgpr_msb 5                        ;  msbs: dst=0 src0=1 src1=1 src2=0
	v_mul_i32_i24_e32 v130, v94 /*v350*/, v113 /*v369*/
	s_set_vgpr_msb 4                        ;  msbs: dst=0 src0=0 src1=1 src2=0
	v_mul_i32_i24_e32 v250, v81, v63 /*v319*/
	s_set_vgpr_msb 64                       ;  msbs: dst=1 src0=0 src1=0 src2=0
	v_bfe_i32 v63 /*v319*/, v112, 16, 8
	s_set_vgpr_msb 0x41                     ;  msbs: dst=1 src0=1 src1=0 src2=0
	v_add3_u32 v85 /*v341*/, v104 /*v360*/, v130, v236
	s_set_vgpr_msb 5                        ;  msbs: dst=0 src0=1 src1=1 src2=0
	v_mul_i32_i24_e32 v130, v94 /*v350*/, v30 /*v286*/
	s_set_vgpr_msb 4                        ;  msbs: dst=0 src0=0 src1=1 src2=0
	v_mul_i32_i24_e32 v236, v108, v31 /*v287*/
	s_set_vgpr_msb 0x41                     ;  msbs: dst=1 src0=1 src1=0 src2=0
	s_delay_alu instid0(VALU_DEP_1)
	v_add3_u32 v104 /*v360*/, v119 /*v375*/, v130, v236
	s_set_vgpr_msb 5                        ;  msbs: dst=0 src0=1 src1=1 src2=0
	v_mul_i32_i24_e32 v130, v94 /*v350*/, v53 /*v309*/
	s_set_vgpr_msb 4                        ;  msbs: dst=0 src0=0 src1=1 src2=0
	v_mul_i32_i24_e32 v236, v108, v55 /*v311*/
	s_set_vgpr_msb 0x41                     ;  msbs: dst=1 src0=1 src1=0 src2=0
	s_delay_alu instid0(VALU_DEP_1)
	v_add3_u32 v119 /*v375*/, v124 /*v380*/, v130, v236
	s_set_vgpr_msb 4                        ;  msbs: dst=0 src0=0 src1=1 src2=0
	v_mul_i32_i24_e32 v130, v91, v57 /*v313*/
	v_mul_i32_i24_e32 v236, v81, v58 /*v314*/
	s_set_vgpr_msb 0                        ;  msbs: dst=0 src0=0 src1=0 src2=0
	v_mul_i32_i24_e32 v81, v81, v80
	s_set_vgpr_msb 1                        ;  msbs: dst=0 src0=1 src1=0 src2=0
	v_mul_i32_i24_e32 v80, v82 /*v338*/, v80
	s_set_vgpr_msb 64                       ;  msbs: dst=1 src0=0 src1=0 src2=0
	v_bfe_i32 v82 /*v338*/, v110, 16, 8
	s_set_vgpr_msb 0x41                     ;  msbs: dst=1 src0=1 src1=0 src2=0
	v_add3_u32 v56 /*v312*/, v56 /*v312*/, v130, v236
	s_set_vgpr_msb 5                        ;  msbs: dst=0 src0=1 src1=1 src2=0
	v_mul_i32_i24_e32 v130, v129 /*v385*/, v113 /*v369*/
	v_mul_i32_i24_e32 v236, v138 /*v394*/, v118 /*v374*/
	s_set_vgpr_msb 0x55                     ;  msbs: dst=1 src0=1 src1=1 src2=1
	v_add3_u32 v56 /*v312*/, v56 /*v312*/, v66 /*v322*/, v65 /*v321*/
	s_set_vgpr_msb 0x41                     ;  msbs: dst=1 src0=1 src1=0 src2=0
	s_delay_alu instid0(VALU_DEP_2)
	v_add3_u32 v57 /*v313*/, v77 /*v333*/, v130, v236
	s_set_vgpr_msb 4                        ;  msbs: dst=0 src0=0 src1=1 src2=0
	v_mul_i32_i24_e32 v130, v91, v62 /*v318*/
	s_set_vgpr_msb 64                       ;  msbs: dst=1 src0=0 src1=0 src2=0
	v_bfe_i32 v62 /*v318*/, v112, 0, 8
	s_set_vgpr_msb 4                        ;  msbs: dst=0 src0=0 src1=1 src2=0
	v_mul_i32_i24_e32 v112, v91, v89 /*v345*/
	v_bfe_u32 v236, v143, 4, 4
	s_set_vgpr_msb 0x41                     ;  msbs: dst=1 src0=1 src1=0 src2=0
	v_add3_u32 v58 /*v314*/, v59 /*v315*/, v130, v250
	s_set_vgpr_msb 5                        ;  msbs: dst=0 src0=1 src1=1 src2=0
	v_mul_i32_i24_e32 v130, v132 /*v388*/, v113 /*v369*/
	v_mul_i32_i24_e32 v250, v135 /*v391*/, v118 /*v374*/
	s_set_vgpr_msb 1                        ;  msbs: dst=0 src0=1 src1=0 src2=0
	v_add3_u32 v96, v60 /*v316*/, v112, v96
	s_set_vgpr_msb 5                        ;  msbs: dst=0 src0=1 src1=1 src2=0
	v_mul_i32_i24_e32 v112, v62 /*v318*/, v113 /*v369*/
	s_set_vgpr_msb 0x55                     ;  msbs: dst=1 src0=1 src1=1 src2=1
	v_add3_u32 v58 /*v314*/, v58 /*v314*/, v68 /*v324*/, v67 /*v323*/
	s_set_vgpr_msb 0x41                     ;  msbs: dst=1 src0=1 src1=0 src2=0
	v_add3_u32 v59 /*v315*/, v116 /*v372*/, v130, v250
	s_set_vgpr_msb 5                        ;  msbs: dst=0 src0=1 src1=1 src2=0
	v_mul_i32_i24_e32 v130, v63 /*v319*/, v118 /*v374*/
	s_set_vgpr_msb 64                       ;  msbs: dst=1 src0=0 src1=0 src2=0
	v_bfe_i32 v116 /*v372*/, v126, 0, 8
	s_set_vgpr_msb 0                        ;  msbs: dst=0 src0=0 src1=0 src2=0
	v_bfe_i32 v250, v141, 16, 8
	v_bfe_i32 v141, v140, 0, 8
	s_set_vgpr_msb 0x41                     ;  msbs: dst=1 src0=1 src1=0 src2=0
	v_add3_u32 v60 /*v316*/, v123 /*v379*/, v112, v130
	s_set_vgpr_msb 5                        ;  msbs: dst=0 src0=1 src1=1 src2=0
	v_mul_i32_i24_e32 v112, v62 /*v318*/, v30 /*v286*/
	v_mul_i32_i24_e32 v130, v63 /*v319*/, v31 /*v287*/
	s_set_vgpr_msb 64                       ;  msbs: dst=1 src0=0 src1=0 src2=0
	v_and_b32_e32 v123 /*v379*/, 0xffff, v88
	s_set_vgpr_msb 0x45                     ;  msbs: dst=1 src0=1 src1=1 src2=0
	v_mul_i32_i24_e32 v65 /*v321*/, v116 /*v372*/, v128 /*v384*/
	s_set_vgpr_msb 0x41                     ;  msbs: dst=1 src0=1 src1=0 src2=0
	v_add3_u32 v77 /*v333*/, v114 /*v370*/, v112, v130
	s_set_vgpr_msb 5                        ;  msbs: dst=0 src0=1 src1=1 src2=0
	v_mul_i32_i24_e32 v112, v62 /*v318*/, v53 /*v309*/
	v_mul_i32_i24_e32 v130, v63 /*v319*/, v55 /*v311*/
	s_set_vgpr_msb 4                        ;  msbs: dst=0 src0=0 src1=1 src2=0
	v_mul_i32_i24_e32 v88, v149, v123 /*v379*/
	s_set_vgpr_msb 0x41                     ;  msbs: dst=1 src0=1 src1=0 src2=0
	v_lshrrev_b32_e32 v114 /*v370*/, 28, v139
	v_add3_u32 v89 /*v345*/, v117 /*v373*/, v112, v130
	s_set_vgpr_msb 4                        ;  msbs: dst=0 src0=0 src1=1 src2=0
	v_mul_i32_i24_e32 v112, v91, v109 /*v365*/
	s_set_vgpr_msb 64                       ;  msbs: dst=1 src0=0 src1=0 src2=0
	v_bfe_i32 v117 /*v373*/, v147, 8, 8
	v_bfe_u32 v109 /*v365*/, v139, 4, 4
	s_set_vgpr_msb 0                        ;  msbs: dst=0 src0=0 src1=0 src2=0
	v_bfe_i32 v130, v140, 16, 8
	v_add3_u32 v98, v90, v112, v98
	s_set_vgpr_msb 4                        ;  msbs: dst=0 src0=0 src1=1 src2=0
	v_mul_i32_i24_e32 v90, v91, v6 /*v262*/
	s_set_vgpr_msb 5                        ;  msbs: dst=0 src0=1 src1=1 src2=0
	v_mul_i32_i24_e32 v91, v81 /*v337*/, v6 /*v262*/
	v_lshrrev_b16 v112, 8, v19 /*v275*/
	s_set_vgpr_msb 0                        ;  msbs: dst=0 src0=0 src1=0 src2=0
	v_ashrrev_i32_e32 v147, 24, v126
	s_set_vgpr_msb 64                       ;  msbs: dst=1 src0=0 src1=0 src2=0
	v_bfe_i32 v6 /*v262*/, v124, 0, 8
	s_set_vgpr_msb 1                        ;  msbs: dst=0 src0=1 src1=0 src2=0
	v_add3_u32 v81, v71 /*v327*/, v90, v81
	s_set_vgpr_msb 0                        ;  msbs: dst=0 src0=0 src1=0 src2=0
	v_add3_u32 v80, v82, v91, v80
	v_and_b32_e32 v91, 15, v112
	v_bfe_i32 v82, v110, 0, 8
	s_set_vgpr_msb 64                       ;  msbs: dst=1 src0=0 src1=0 src2=0
	v_ashrrev_i32_e32 v81 /*v337*/, 24, v124
	v_bfe_u32 v19 /*v275*/, v143, 12, 4
	s_set_vgpr_msb 0x45                     ;  msbs: dst=1 src0=1 src1=1 src2=0
	v_mul_i32_i24_e32 v67 /*v323*/, v6 /*v262*/, v128 /*v384*/
	s_set_vgpr_msb 0                        ;  msbs: dst=0 src0=0 src1=0 src2=0
	v_and_b32_e32 v110, 0xffff, v91
	s_set_vgpr_msb 0x44                     ;  msbs: dst=1 src0=0 src1=1 src2=0
	v_mul_i32_i24_e32 v66 /*v322*/, v147, v139 /*v395*/
	s_set_vgpr_msb 0x45                     ;  msbs: dst=1 src0=1 src1=1 src2=0
	v_mul_i32_i24_e32 v68 /*v324*/, v81 /*v337*/, v139 /*v395*/
	s_set_vgpr_msb 20                       ;  msbs: dst=0 src0=0 src1=1 src2=1
	v_add3_u32 v98, v98, v84 /*v340*/, v83 /*v339*/
	s_set_vgpr_msb 64                       ;  msbs: dst=1 src0=0 src1=0 src2=0
	v_bfe_u32 v83 /*v339*/, v132, 12, 4
	s_set_vgpr_msb 1                        ;  msbs: dst=0 src0=1 src1=0 src2=0
	v_mul_i32_i24_e32 v90, v117 /*v373*/, v110
	s_set_vgpr_msb 0x55                     ;  msbs: dst=1 src0=1 src1=1 src2=1
	v_add3_u32 v57 /*v313*/, v57 /*v313*/, v66 /*v322*/, v65 /*v321*/
	v_add3_u32 v59 /*v315*/, v59 /*v315*/, v68 /*v324*/, v67 /*v323*/
	s_set_vgpr_msb 64                       ;  msbs: dst=1 src0=0 src1=0 src2=0
	v_bfe_i32 v67 /*v323*/, v104, 0, 8
	v_ashrrev_i32_e32 v68 /*v324*/, 24, v104
	s_set_vgpr_msb 0                        ;  msbs: dst=0 src0=0 src1=0 src2=0
	v_add3_u32 v148, v148, v88, v90
	s_set_vgpr_msb 4                        ;  msbs: dst=0 src0=0 src1=1 src2=0
	v_mul_i32_i24_e32 v88, v82, v113 /*v369*/
	s_set_vgpr_msb 5                        ;  msbs: dst=0 src0=1 src1=1 src2=0
	v_mul_i32_i24_e32 v90, v82 /*v338*/, v118 /*v374*/
	s_set_vgpr_msb 64                       ;  msbs: dst=1 src0=0 src1=0 src2=0
	v_and_b32_e32 v65 /*v321*/, 15, v132
	v_bfe_u32 v66 /*v322*/, v132, 16, 4
	v_bfe_u32 v84 /*v340*/, v132, 20, 4
	s_set_vgpr_msb 0                        ;  msbs: dst=0 src0=0 src1=0 src2=0
	v_bfe_i32 v112, v140, 8, 8
	s_set_vgpr_msb 64                       ;  msbs: dst=1 src0=0 src1=0 src2=0
	v_add3_u32 v71 /*v327*/, v246, v88, v90
	s_set_vgpr_msb 4                        ;  msbs: dst=0 src0=0 src1=1 src2=0
	v_mul_i32_i24_e32 v88, v82, v30 /*v286*/
	s_set_vgpr_msb 5                        ;  msbs: dst=0 src0=1 src1=1 src2=0
	v_mul_i32_i24_e32 v90, v82 /*v338*/, v31 /*v287*/
	s_set_vgpr_msb 0                        ;  msbs: dst=0 src0=0 src1=0 src2=0
	v_lshrrev_b32_e32 v246, 28, v143
	s_set_vgpr_msb 0x41                     ;  msbs: dst=1 src0=1 src1=0 src2=0
	s_delay_alu instid0(VALU_DEP_2)
	v_add3_u32 v124 /*v380*/, v126 /*v382*/, v88, v90
	s_set_vgpr_msb 4                        ;  msbs: dst=0 src0=0 src1=1 src2=0
	v_mul_i32_i24_e32 v88, v82, v53 /*v309*/
	s_set_vgpr_msb 5                        ;  msbs: dst=0 src0=1 src1=1 src2=0
	v_mul_i32_i24_e32 v90, v82 /*v338*/, v55 /*v311*/
	s_set_vgpr_msb 4                        ;  msbs: dst=0 src0=0 src1=1 src2=0
	v_mul_i32_i24_e32 v82, v82, v24 /*v280*/
	s_set_vgpr_msb 0x41                     ;  msbs: dst=1 src0=1 src1=0 src2=0
	s_delay_alu instid0(VALU_DEP_2) | instskip(SKIP_4) | instid1(VALU_DEP_1)
	v_add3_u32 v126 /*v382*/, v130 /*v386*/, v88, v90
	s_set_vgpr_msb 5                        ;  msbs: dst=0 src0=1 src1=1 src2=0
	v_mul_i32_i24_e32 v88, v44 /*v300*/, v34 /*v290*/
	v_mul_i32_i24_e32 v90, v47 /*v303*/, v36 /*v292*/
	s_set_vgpr_msb 0x41                     ;  msbs: dst=1 src0=1 src1=0 src2=0
	v_add3_u32 v112 /*v368*/, v112 /*v368*/, v90, v88
	s_set_vgpr_msb 5                        ;  msbs: dst=0 src0=1 src1=1 src2=0
	v_mul_i32_i24_e32 v88, v9 /*v265*/, v30 /*v286*/
	v_mul_i32_i24_e32 v90, v10 /*v266*/, v21 /*v277*/
	s_set_vgpr_msb 64                       ;  msbs: dst=1 src0=0 src1=0 src2=0
	v_bfe_u32 v21 /*v277*/, v143, 20, 4
	s_set_vgpr_msb 0                        ;  msbs: dst=0 src0=0 src1=0 src2=0
	v_bfe_i32 v143, v145, 8, 8
	s_set_vgpr_msb 64                       ;  msbs: dst=1 src0=0 src1=0 src2=0
	v_add3_u32 v130 /*v386*/, v89, v90, v88
	s_set_vgpr_msb 5                        ;  msbs: dst=0 src0=1 src1=1 src2=0
	v_mul_i32_i24_e32 v88, v44 /*v300*/, v109 /*v365*/
	v_mul_i32_i24_e32 v89, v47 /*v303*/, v114 /*v370*/
	ds_load_2addr_b32 v[90:91], v3 /*v259*/ offset1:3
	s_set_vgpr_msb 0x45                     ;  msbs: dst=1 src0=1 src1=1 src2=0
	v_mul_i32_i24_e32 v3 /*v259*/, v103 /*v359*/, v55 /*v311*/
	s_set_vgpr_msb 64                       ;  msbs: dst=1 src0=0 src1=0 src2=0
	v_add3_u32 v131 /*v387*/, v128, v89, v88
	s_set_vgpr_msb 5                        ;  msbs: dst=0 src0=1 src1=1 src2=0
	v_mul_i32_i24_e32 v88, v9 /*v265*/, v53 /*v309*/
	v_mul_i32_i24_e32 v89, v10 /*v266*/, v51 /*v307*/
	s_set_vgpr_msb 0                        ;  msbs: dst=0 src0=0 src1=0 src2=0
	v_ashrrev_i32_e32 v128, 24, v140
	v_bfe_u32 v140, v139, 12, 4
	v_bfe_u32 v139, v139, 20, 4
	s_set_vgpr_msb 0x41                     ;  msbs: dst=1 src0=1 src1=0 src2=0
	v_add3_u32 v51 /*v307*/, v49 /*v305*/, v89, v88
	s_set_vgpr_msb 5                        ;  msbs: dst=0 src0=1 src1=1 src2=0
	v_mul_i32_i24_e32 v88, v116 /*v372*/, v34 /*v290*/
	s_set_vgpr_msb 4                        ;  msbs: dst=0 src0=0 src1=1 src2=0
	v_mul_i32_i24_e32 v89, v147, v36 /*v292*/
	s_set_vgpr_msb 64                       ;  msbs: dst=1 src0=0 src1=0 src2=0
	v_bfe_i32 v49 /*v305*/, v145, 16, 8
	s_set_vgpr_msb 0x41                     ;  msbs: dst=1 src0=1 src1=0 src2=0
	s_delay_alu instid0(VALU_DEP_2)
	v_add3_u32 v50 /*v306*/, v50 /*v306*/, v89, v88
	s_set_vgpr_msb 5                        ;  msbs: dst=0 src0=1 src1=1 src2=0
	v_mul_i32_i24_e32 v88, v6 /*v262*/, v34 /*v290*/
	v_mul_i32_i24_e32 v89, v81 /*v337*/, v36 /*v292*/
	s_wait_dscnt 0x0
	s_set_vgpr_msb 64                       ;  msbs: dst=1 src0=0 src1=0 src2=0
	v_bfe_i32 v165 /*v421*/, v90, 0, 8
	v_bfe_i32 v166 /*v422*/, v90, 8, 8
	;; [unrolled: 1-line block ×3, first 2 shown]
	v_ashrrev_i32_e32 v170 /*v426*/, 24, v90
	s_set_vgpr_msb 0x41                     ;  msbs: dst=1 src0=1 src1=0 src2=0
	v_add3_u32 v122 /*v378*/, v122 /*v378*/, v89, v88
	s_set_vgpr_msb 5                        ;  msbs: dst=0 src0=1 src1=1 src2=0
	v_mul_i32_i24_e32 v88, v116 /*v372*/, v109 /*v365*/
	s_set_vgpr_msb 4                        ;  msbs: dst=0 src0=0 src1=1 src2=0
	v_mul_i32_i24_e32 v89, v147, v114 /*v370*/
	v_mul_i32_i24_e32 v147, v147, v23 /*v279*/
	s_set_vgpr_msb 0x41                     ;  msbs: dst=1 src0=1 src1=0 src2=0
	s_delay_alu instid0(VALU_DEP_2)
	v_add3_u32 v125 /*v381*/, v125 /*v381*/, v89, v88
	s_set_vgpr_msb 5                        ;  msbs: dst=0 src0=1 src1=1 src2=0
	v_mul_i32_i24_e32 v88, v6 /*v262*/, v109 /*v365*/
	v_mul_i32_i24_e32 v89, v81 /*v337*/, v114 /*v370*/
	s_set_vgpr_msb 0x45                     ;  msbs: dst=1 src0=1 src1=1 src2=0
	v_mul_i32_i24_e32 v6 /*v262*/, v6 /*v262*/, v25 /*v281*/
	v_mul_i32_i24_e32 v81 /*v337*/, v81 /*v337*/, v23 /*v279*/
	s_set_vgpr_msb 0x41                     ;  msbs: dst=1 src0=1 src1=0 src2=0
	v_add3_u32 v72 /*v328*/, v72 /*v328*/, v89, v88
	s_set_vgpr_msb 5                        ;  msbs: dst=0 src0=1 src1=1 src2=0
	v_mul_i32_i24_e32 v88, v44 /*v300*/, v128 /*v384*/
	v_mul_i32_i24_e32 v89, v47 /*v303*/, v139 /*v395*/
	s_set_vgpr_msb 0x45                     ;  msbs: dst=1 src0=1 src1=1 src2=0
	v_mul_i32_i24_e32 v44 /*v300*/, v44 /*v300*/, v25 /*v281*/
	v_mul_i32_i24_e32 v47 /*v303*/, v47 /*v303*/, v23 /*v279*/
	s_set_vgpr_msb 0x41                     ;  msbs: dst=1 src0=1 src1=0 src2=0
	v_add3_u32 v115 /*v371*/, v115 /*v371*/, v89, v88
	s_set_vgpr_msb 5                        ;  msbs: dst=0 src0=1 src1=1 src2=0
	v_mul_i32_i24_e32 v88, v43 /*v299*/, v22 /*v278*/
	v_mul_i32_i24_e32 v89, v41 /*v297*/, v86 /*v342*/
	s_set_vgpr_msb 64                       ;  msbs: dst=1 src0=0 src1=0 src2=0
	v_ashrrev_i32_e32 v41 /*v297*/, 24, v102
	s_set_vgpr_msb 0x45                     ;  msbs: dst=1 src0=1 src1=1 src2=0
	v_mul_i32_i24_e32 v43 /*v299*/, v133 /*v389*/, v86 /*v342*/
	s_set_vgpr_msb 0                        ;  msbs: dst=0 src0=0 src1=0 src2=0
	v_add3_u32 v144, v144, v88, v89
	s_set_vgpr_msb 5                        ;  msbs: dst=0 src0=1 src1=1 src2=0
	v_mul_i32_i24_e32 v88, v99 /*v355*/, v113 /*v369*/
	v_mul_i32_i24_e32 v89, v103 /*v359*/, v118 /*v374*/
	s_set_vgpr_msb 1                        ;  msbs: dst=0 src0=1 src1=0 src2=0
	s_delay_alu instid0(VALU_DEP_1)
	v_add3_u32 v145, v39 /*v295*/, v88, v89
	s_set_vgpr_msb 5                        ;  msbs: dst=0 src0=1 src1=1 src2=0
	v_mul_i32_i24_e32 v88, v99 /*v355*/, v30 /*v286*/
	v_mul_i32_i24_e32 v89, v103 /*v359*/, v31 /*v287*/
	s_set_vgpr_msb 64                       ;  msbs: dst=1 src0=0 src1=0 src2=0
	v_bfe_i32 v39 /*v295*/, v102, 0, 8
	s_set_vgpr_msb 0x45                     ;  msbs: dst=1 src0=1 src1=1 src2=0
	v_mul_i32_i24_e32 v103 /*v359*/, v10 /*v266*/, v110 /*v366*/
	s_set_vgpr_msb 0x41                     ;  msbs: dst=1 src0=1 src1=0 src2=0
	v_add3_u32 v30 /*v286*/, v100 /*v356*/, v88, v89
	s_set_vgpr_msb 1                        ;  msbs: dst=0 src0=1 src1=0 src2=0
	ds_load_2addr_b32 v[88:89], v2 /*v258*/ offset1:3
	s_set_vgpr_msb 0x45                     ;  msbs: dst=1 src0=1 src1=1 src2=0
	v_mul_i32_i24_e32 v2 /*v258*/, v99 /*v355*/, v53 /*v309*/
	v_mul_i32_i24_e32 v99 /*v355*/, v137 /*v393*/, v22 /*v278*/
	;; [unrolled: 1-line block ×4, first 2 shown]
	s_set_vgpr_msb 64                       ;  msbs: dst=1 src0=0 src1=0 src2=0
	v_bfe_i32 v137 /*v393*/, v116, 8, 8
	s_set_vgpr_msb 0x55                     ;  msbs: dst=1 src0=1 src1=1 src2=1
	v_add3_u32 v2 /*v258*/, v91 /*v347*/, v2 /*v258*/, v3 /*v259*/
	v_mul_i32_i24_e32 v3 /*v259*/, v134 /*v390*/, v22 /*v278*/
	s_set_vgpr_msb 20                       ;  msbs: dst=0 src0=0 src1=1 src2=1
	v_add3_u32 v96, v96, v99 /*v355*/, v100 /*v356*/
	s_set_vgpr_msb 0x45                     ;  msbs: dst=1 src0=1 src1=1 src2=0
	v_mul_i32_i24_e32 v99 /*v355*/, v67 /*v323*/, v128 /*v384*/
	v_mul_i32_i24_e32 v100 /*v356*/, v68 /*v324*/, v139 /*v395*/
	s_set_vgpr_msb 64                       ;  msbs: dst=1 src0=0 src1=0 src2=0
	v_bfe_u32 v91 /*v347*/, v132, 24, 4
	s_set_vgpr_msb 20                       ;  msbs: dst=0 src0=0 src1=1 src2=1
	v_add3_u32 v92, v92, v3 /*v259*/, v43 /*v299*/
	s_set_vgpr_msb 0x55                     ;  msbs: dst=1 src0=1 src1=1 src2=1
	v_mul_i32_i24_e32 v3 /*v259*/, v39 /*v295*/, v128 /*v384*/
	v_mul_i32_i24_e32 v43 /*v299*/, v41 /*v297*/, v139 /*v395*/
	v_add3_u32 v60 /*v316*/, v60 /*v316*/, v100 /*v356*/, v99 /*v355*/
	v_mul_i32_i24_e32 v99 /*v355*/, v67 /*v323*/, v34 /*v290*/
	v_mul_i32_i24_e32 v100 /*v356*/, v68 /*v324*/, v36 /*v292*/
	s_set_vgpr_msb 64                       ;  msbs: dst=1 src0=0 src1=0 src2=0
	v_bfe_i32 v134 /*v390*/, v114, 8, 8
	s_set_vgpr_msb 0x55                     ;  msbs: dst=1 src0=1 src1=1 src2=1
	v_add3_u32 v3 /*v259*/, v85 /*v341*/, v43 /*v299*/, v3 /*v259*/
	v_mul_i32_i24_e32 v43 /*v299*/, v39 /*v295*/, v34 /*v290*/
	v_mul_i32_i24_e32 v85 /*v341*/, v41 /*v297*/, v114 /*v370*/
	v_add3_u32 v77 /*v333*/, v77 /*v333*/, v100 /*v356*/, v99 /*v355*/
	v_mul_i32_i24_e32 v99 /*v355*/, v67 /*v323*/, v109 /*v365*/
	v_mul_i32_i24_e32 v100 /*v356*/, v68 /*v324*/, v114 /*v370*/
	;; [unrolled: 3-line block ×3, first 2 shown]
	v_mul_i32_i24_e32 v41 /*v297*/, v41 /*v297*/, v23 /*v279*/
	v_add3_u32 v89 /*v345*/, v89 /*v345*/, v100 /*v356*/, v99 /*v355*/
	s_set_vgpr_msb 64                       ;  msbs: dst=1 src0=0 src1=0 src2=0
	v_bfe_u32 v99 /*v355*/, v132, 4, 4
	s_set_vgpr_msb 0x55                     ;  msbs: dst=1 src0=1 src1=1 src2=1
	v_add3_u32 v53 /*v309*/, v119 /*v375*/, v85 /*v341*/, v53 /*v309*/
	s_set_vgpr_msb 64                       ;  msbs: dst=1 src0=0 src1=0 src2=0
	v_bfe_u32 v85 /*v341*/, v132, 8, 4
	v_lshrrev_b32_e32 v100 /*v356*/, 28, v132
	s_set_vgpr_msb 5                        ;  msbs: dst=0 src0=1 src1=1 src2=0
	v_mul_i32_i24_e32 v132, v9 /*v265*/, v113 /*v369*/
	s_set_vgpr_msb 64                       ;  msbs: dst=1 src0=0 src1=0 src2=0
	v_bfe_i32 v113 /*v369*/, v126, 8, 8
	s_set_vgpr_msb 0                        ;  msbs: dst=0 src0=0 src1=0 src2=0
	v_bfe_i32 v126, v126, 16, 8
	s_set_vgpr_msb 64                       ;  msbs: dst=1 src0=0 src1=0 src2=0
	v_bfe_i32 v119 /*v375*/, v124, 8, 8
	s_set_vgpr_msb 0                        ;  msbs: dst=0 src0=0 src1=0 src2=0
	v_bfe_i32 v124, v124, 16, 8
	s_set_vgpr_msb 0x44                     ;  msbs: dst=1 src0=0 src1=1 src2=0
	v_add3_u32 v103 /*v359*/, v80, v103 /*v359*/, v132
	s_set_vgpr_msb 5                        ;  msbs: dst=0 src0=1 src1=1 src2=0
	v_lshrrev_b16 v132, 8, v28 /*v284*/
	v_mul_i32_i24_e32 v80, v9 /*v265*/, v24 /*v280*/
	s_set_vgpr_msb 64                       ;  msbs: dst=1 src0=0 src1=0 src2=0
	v_bfe_i32 v9 /*v265*/, v107, 8, 8
	s_set_vgpr_msb 5                        ;  msbs: dst=0 src0=1 src1=1 src2=0
	v_mul_i32_i24_e32 v107, v10 /*v266*/, v86 /*v342*/
	s_set_vgpr_msb 64                       ;  msbs: dst=1 src0=0 src1=0 src2=0
	v_bfe_i32 v10 /*v266*/, v100, 0, 8
	s_set_vgpr_msb 0                        ;  msbs: dst=0 src0=0 src1=0 src2=0
	v_and_b32_e32 v132, 0xffff, v132
	s_set_vgpr_msb 64                       ;  msbs: dst=1 src0=0 src1=0 src2=0
	v_ashrrev_i32_e32 v28 /*v284*/, 24, v100
	s_set_vgpr_msb 0x45                     ;  msbs: dst=1 src0=1 src1=1 src2=0
	v_mul_i32_i24_e32 v67 /*v323*/, v67 /*v323*/, v25 /*v281*/
	s_set_vgpr_msb 0                        ;  msbs: dst=0 src0=0 src1=0 src2=0
	v_add3_u32 v107, v81, v107, v80
	s_set_vgpr_msb 64                       ;  msbs: dst=1 src0=0 src1=0 src2=0
	v_bfe_i32 v136 /*v392*/, v101, 16, 8
	s_set_vgpr_msb 1                        ;  msbs: dst=0 src0=1 src1=0 src2=0
	v_mul_i32_i24_e32 v80, v9 /*v265*/, v132
	s_set_vgpr_msb 5                        ;  msbs: dst=0 src0=1 src1=1 src2=0
	v_mul_i32_i24_e32 v81, v28 /*v284*/, v139 /*v395*/
	s_wait_dscnt 0x0
	s_set_vgpr_msb 64                       ;  msbs: dst=1 src0=0 src1=0 src2=0
	v_bfe_i32 v161 /*v417*/, v88, 0, 8
	v_bfe_i32 v162 /*v418*/, v88, 8, 8
	;; [unrolled: 1-line block ×3, first 2 shown]
	s_set_vgpr_msb 16                       ;  msbs: dst=0 src0=0 src1=0 src2=1
	v_add3_u32 v148, v148, v80, v120 /*v376*/
	s_set_vgpr_msb 5                        ;  msbs: dst=0 src0=1 src1=1 src2=0
	v_mul_i32_i24_e32 v80, v10 /*v266*/, v128 /*v384*/
	s_set_vgpr_msb 64                       ;  msbs: dst=1 src0=0 src1=0 src2=0
	v_bfe_u32 v120 /*v376*/, v135, 12, 4
	s_set_vgpr_msb 0                        ;  msbs: dst=0 src0=0 src1=0 src2=0
	v_bfe_u32 v135, v135, 20, 4
	s_set_vgpr_msb 64                       ;  msbs: dst=1 src0=0 src1=0 src2=0
	v_ashrrev_i32_e32 v168 /*v424*/, 24, v88
	v_bfe_u32 v104 /*v360*/, v133, 8, 4
	s_set_vgpr_msb 0x41                     ;  msbs: dst=1 src0=1 src1=0 src2=0
	v_add3_u32 v71 /*v327*/, v71 /*v327*/, v81, v80
	s_set_vgpr_msb 5                        ;  msbs: dst=0 src0=1 src1=1 src2=0
	v_mul_i32_i24_e32 v80, v10 /*v266*/, v34 /*v290*/
	v_mul_i32_i24_e32 v81, v28 /*v284*/, v36 /*v292*/
	s_set_vgpr_msb 0x41                     ;  msbs: dst=1 src0=1 src1=0 src2=0
	s_delay_alu instid0(VALU_DEP_1)
	v_add3_u32 v86 /*v342*/, v124 /*v380*/, v81, v80
	s_set_vgpr_msb 5                        ;  msbs: dst=0 src0=1 src1=1 src2=0
	v_mul_i32_i24_e32 v80, v10 /*v266*/, v109 /*v365*/
	v_mul_i32_i24_e32 v81, v28 /*v284*/, v114 /*v370*/
	s_set_vgpr_msb 0x45                     ;  msbs: dst=1 src0=1 src1=1 src2=0
	v_mul_i32_i24_e32 v10 /*v266*/, v10 /*v266*/, v25 /*v281*/
	s_set_vgpr_msb 64                       ;  msbs: dst=1 src0=0 src1=0 src2=0
	v_and_b32_e32 v124 /*v380*/, 15, v133
	s_set_vgpr_msb 0x45                     ;  msbs: dst=1 src0=1 src1=1 src2=0
	v_mul_i32_i24_e32 v68 /*v324*/, v68 /*v324*/, v23 /*v279*/
	s_set_vgpr_msb 0x41                     ;  msbs: dst=1 src0=1 src1=0 src2=0
	v_add3_u32 v110 /*v366*/, v126 /*v382*/, v81, v80
	s_set_vgpr_msb 5                        ;  msbs: dst=0 src0=1 src1=1 src2=0
	v_mul_i32_i24_e32 v80, v45 /*v301*/, v35 /*v291*/
	v_mul_i32_i24_e32 v81, v46 /*v302*/, v29 /*v285*/
	s_set_vgpr_msb 64                       ;  msbs: dst=1 src0=0 src1=0 src2=0
	v_bfe_i32 v126 /*v382*/, v131, 8, 8
	s_set_vgpr_msb 0x41                     ;  msbs: dst=1 src0=1 src1=0 src2=0
	s_delay_alu instid0(VALU_DEP_2)
	v_add3_u32 v112 /*v368*/, v112 /*v368*/, v80, v81
	s_set_vgpr_msb 5                        ;  msbs: dst=0 src0=1 src1=1 src2=0
	v_mul_i32_i24_e32 v80, v11 /*v267*/, v31 /*v287*/
	s_set_vgpr_msb 4                        ;  msbs: dst=0 src0=0 src1=1 src2=0
	v_mul_i32_i24_e32 v81, v86, v33 /*v289*/
	s_set_vgpr_msb 0x41                     ;  msbs: dst=1 src0=1 src1=0 src2=0
	s_delay_alu instid0(VALU_DEP_1)
	v_add3_u32 v31 /*v287*/, v130 /*v386*/, v80, v81
	s_set_vgpr_msb 1                        ;  msbs: dst=0 src0=1 src1=0 src2=0
	v_mul_i32_i24_e32 v80, v45 /*v301*/, v140
	v_mul_i32_i24_e32 v81, v46 /*v302*/, v139
	s_set_vgpr_msb 64                       ;  msbs: dst=1 src0=0 src1=0 src2=0
	v_bfe_i32 v130 /*v386*/, v129, 8, 8
	s_set_vgpr_msb 0x41                     ;  msbs: dst=1 src0=1 src1=0 src2=0
	s_delay_alu instid0(VALU_DEP_2)
	v_add3_u32 v33 /*v289*/, v131 /*v387*/, v80, v81
	s_set_vgpr_msb 5                        ;  msbs: dst=0 src0=1 src1=1 src2=0
	v_mul_i32_i24_e32 v80, v11 /*v267*/, v55 /*v311*/
	s_set_vgpr_msb 4                        ;  msbs: dst=0 src0=0 src1=1 src2=0
	v_mul_i32_i24_e32 v81, v86, v52 /*v308*/
	s_set_vgpr_msb 64                       ;  msbs: dst=1 src0=0 src1=0 src2=0
	v_bfe_i32 v131 /*v387*/, v104, 8, 8
	s_set_vgpr_msb 0                        ;  msbs: dst=0 src0=0 src1=0 src2=0
	v_bfe_i32 v104, v104, 16, 8
	s_set_vgpr_msb 0x41                     ;  msbs: dst=1 src0=1 src1=0 src2=0
	v_add3_u32 v51 /*v307*/, v51 /*v307*/, v80, v81
	s_set_vgpr_msb 5                        ;  msbs: dst=0 src0=1 src1=1 src2=0
	v_mul_i32_i24_e32 v80, v113 /*v369*/, v35 /*v291*/
	s_set_vgpr_msb 4                        ;  msbs: dst=0 src0=0 src1=1 src2=0
	v_mul_i32_i24_e32 v81, v126, v29 /*v285*/
	s_set_vgpr_msb 0x41                     ;  msbs: dst=1 src0=1 src1=0 src2=0
	s_delay_alu instid0(VALU_DEP_1)
	v_add3_u32 v50 /*v306*/, v50 /*v306*/, v80, v81
	s_set_vgpr_msb 5                        ;  msbs: dst=0 src0=1 src1=1 src2=0
	v_mul_i32_i24_e32 v80, v119 /*v375*/, v35 /*v291*/
	s_set_vgpr_msb 4                        ;  msbs: dst=0 src0=0 src1=1 src2=0
	v_mul_i32_i24_e32 v81, v124, v29 /*v285*/
	s_set_vgpr_msb 0x41                     ;  msbs: dst=1 src0=1 src1=0 src2=0
	s_delay_alu instid0(VALU_DEP_1)
	v_add3_u32 v52 /*v308*/, v122 /*v378*/, v80, v81
	s_set_vgpr_msb 1                        ;  msbs: dst=0 src0=1 src1=0 src2=0
	v_mul_i32_i24_e32 v80, v113 /*v369*/, v140
	s_set_vgpr_msb 0                        ;  msbs: dst=0 src0=0 src1=0 src2=0
	v_mul_i32_i24_e32 v81, v126, v139
	s_set_vgpr_msb 64                       ;  msbs: dst=1 src0=0 src1=0 src2=0
	v_bfe_u32 v122 /*v378*/, v133, 24, 4
	s_set_vgpr_msb 0x41                     ;  msbs: dst=1 src0=1 src1=0 src2=0
	s_delay_alu instid0(VALU_DEP_2)
	v_add3_u32 v55 /*v311*/, v125 /*v381*/, v80, v81
	s_set_vgpr_msb 1                        ;  msbs: dst=0 src0=1 src1=0 src2=0
	v_mul_i32_i24_e32 v80, v119 /*v375*/, v140
	s_set_vgpr_msb 0                        ;  msbs: dst=0 src0=0 src1=0 src2=0
	v_mul_i32_i24_e32 v81, v124, v139
	s_set_vgpr_msb 64                       ;  msbs: dst=1 src0=0 src1=0 src2=0
	v_bfe_u32 v125 /*v381*/, v133, 12, 4
	s_set_vgpr_msb 0x41                     ;  msbs: dst=1 src0=1 src1=0 src2=0
	s_delay_alu instid0(VALU_DEP_2)
	v_add3_u32 v72 /*v328*/, v72 /*v328*/, v80, v81
	s_set_vgpr_msb 5                        ;  msbs: dst=0 src0=1 src1=1 src2=0
	v_mul_i32_i24_e32 v80, v45 /*v301*/, v120 /*v376*/
	s_set_vgpr_msb 1                        ;  msbs: dst=0 src0=1 src1=0 src2=0
	v_mul_i32_i24_e32 v81, v46 /*v302*/, v135
	s_set_vgpr_msb 0x41                     ;  msbs: dst=1 src0=1 src1=0 src2=0
	s_delay_alu instid0(VALU_DEP_1)
	v_add3_u32 v115 /*v371*/, v115 /*v371*/, v80, v81
	s_set_vgpr_msb 5                        ;  msbs: dst=0 src0=1 src1=1 src2=0
	v_mul_i32_i24_e32 v80, v40 /*v296*/, v24 /*v280*/
	v_mul_i32_i24_e32 v81, v42 /*v298*/, v26 /*v282*/
	s_set_vgpr_msb 64                       ;  msbs: dst=1 src0=0 src1=0 src2=0
	v_bfe_u32 v40 /*v296*/, v133, 16, 4
	v_bfe_u32 v42 /*v298*/, v133, 4, 4
	s_set_vgpr_msb 0                        ;  msbs: dst=0 src0=0 src1=0 src2=0
	v_add3_u32 v144, v144, v80, v81
	s_set_vgpr_msb 5                        ;  msbs: dst=0 src0=1 src1=1 src2=0
	v_mul_i32_i24_e32 v80, v101 /*v357*/, v128 /*v384*/
	v_mul_i32_i24_e32 v81, v97 /*v353*/, v139 /*v395*/
	s_set_vgpr_msb 20                       ;  msbs: dst=0 src0=0 src1=1 src2=1
	v_add3_u32 v144, v144, v47 /*v303*/, v44 /*v300*/
	s_set_vgpr_msb 0x44                     ;  msbs: dst=1 src0=0 src1=1 src2=0
	v_mul_i32_i24_e32 v44 /*v300*/, v146, v120 /*v376*/
	s_set_vgpr_msb 0                        ;  msbs: dst=0 src0=0 src1=0 src2=0
	v_add3_u32 v145, v145, v81, v80
	s_set_vgpr_msb 5                        ;  msbs: dst=0 src0=1 src1=1 src2=0
	v_mul_i32_i24_e32 v80, v101 /*v357*/, v34 /*v290*/
	v_mul_i32_i24_e32 v81, v97 /*v353*/, v36 /*v292*/
	s_set_vgpr_msb 0x45                     ;  msbs: dst=1 src0=1 src1=1 src2=0
	v_mul_i32_i24_e32 v34 /*v290*/, v12 /*v268*/, v34 /*v290*/
	s_set_vgpr_msb 0x41                     ;  msbs: dst=1 src0=1 src1=0 src2=0
	v_mul_i32_i24_e32 v47 /*v303*/, v105 /*v361*/, v135
	v_add3_u32 v30 /*v286*/, v30 /*v286*/, v81, v80
	s_set_vgpr_msb 5                        ;  msbs: dst=0 src0=1 src1=1 src2=0
	v_mul_i32_i24_e32 v80, v101 /*v357*/, v109 /*v365*/
	v_mul_i32_i24_e32 v81, v97 /*v353*/, v114 /*v370*/
	s_set_vgpr_msb 64                       ;  msbs: dst=1 src0=0 src1=0 src2=0
	v_bfe_i32 v101 /*v357*/, v102, 8, 8
	s_set_vgpr_msb 20                       ;  msbs: dst=0 src0=0 src1=1 src2=1
	v_bfe_i32 v102, v102, 16, 8
	v_add3_u32 v145, v145, v44 /*v300*/, v47 /*v303*/
	s_set_vgpr_msb 0x45                     ;  msbs: dst=1 src0=1 src1=1 src2=0
	v_mul_i32_i24_e32 v47 /*v303*/, v105 /*v361*/, v29 /*v285*/
	s_set_vgpr_msb 0x41                     ;  msbs: dst=1 src0=1 src1=0 src2=0
	v_add3_u32 v97 /*v353*/, v2 /*v258*/, v81, v80
	s_set_vgpr_msb 5                        ;  msbs: dst=0 src0=1 src1=1 src2=0
	v_mul_i32_i24_e32 v80, v94 /*v350*/, v24 /*v280*/
	s_set_vgpr_msb 4                        ;  msbs: dst=0 src0=0 src1=1 src2=0
	v_mul_i32_i24_e32 v81, v108, v26 /*v282*/
	s_set_vgpr_msb 64                       ;  msbs: dst=1 src0=0 src1=0 src2=0
	v_lshrrev_b32_e32 v94 /*v350*/, 28, v133
	v_ashrrev_i32_e32 v44 /*v300*/, 24, v117
	s_set_vgpr_msb 0                        ;  msbs: dst=0 src0=0 src1=0 src2=0
	v_bfe_u32 v133, v133, 20, 4
	v_add3_u32 v92, v92, v80, v81
	s_set_vgpr_msb 5                        ;  msbs: dst=0 src0=1 src1=1 src2=0
	v_mul_i32_i24_e32 v80, v101 /*v357*/, v120 /*v376*/
	s_set_vgpr_msb 0                        ;  msbs: dst=0 src0=0 src1=0 src2=0
	v_mul_i32_i24_e32 v81, v102, v135
	s_set_vgpr_msb 20                       ;  msbs: dst=0 src0=0 src1=1 src2=1
	v_add3_u32 v92, v92, v41 /*v297*/, v39 /*v295*/
	s_set_vgpr_msb 1                        ;  msbs: dst=0 src0=1 src1=0 src2=0
	s_delay_alu instid0(VALU_DEP_2)
	v_add3_u32 v108, v3 /*v259*/, v80, v81
	s_set_vgpr_msb 5                        ;  msbs: dst=0 src0=1 src1=1 src2=0
	v_mul_i32_i24_e32 v80, v101 /*v357*/, v35 /*v291*/
	s_set_vgpr_msb 4                        ;  msbs: dst=0 src0=0 src1=1 src2=0
	v_mul_i32_i24_e32 v81, v102, v29 /*v285*/
	s_set_vgpr_msb 0x45                     ;  msbs: dst=1 src0=1 src1=1 src2=0
	ds_load_2addr_b32 v[2:3] /*v[258:259]*/, v4 /*v260*/ offset1:3
	v_mul_i32_i24_e32 v4 /*v260*/, v11 /*v267*/, v26 /*v282*/
	v_mul_i32_i24_e32 v11 /*v267*/, v11 /*v267*/, v118 /*v374*/
	s_set_vgpr_msb 0x41                     ;  msbs: dst=1 src0=1 src1=0 src2=0
	v_lshrrev_b32_e32 v118 /*v374*/, 16, v87
	v_add3_u32 v43 /*v299*/, v43 /*v299*/, v80, v81
	s_set_vgpr_msb 1                        ;  msbs: dst=0 src0=1 src1=0 src2=0
	v_mul_i32_i24_e32 v80, v101 /*v357*/, v140
	s_set_vgpr_msb 0                        ;  msbs: dst=0 src0=0 src1=0 src2=0
	v_mul_i32_i24_e32 v81, v102, v139
	s_set_vgpr_msb 4                        ;  msbs: dst=0 src0=0 src1=1 src2=0
	v_mul_i32_i24_e32 v102, v102, v27 /*v283*/
	s_set_vgpr_msb 0x41                     ;  msbs: dst=1 src0=1 src1=0 src2=0
	s_delay_alu instid0(VALU_DEP_2)
	v_add3_u32 v53 /*v309*/, v53 /*v309*/, v80, v81
	s_set_vgpr_msb 5                        ;  msbs: dst=0 src0=1 src1=1 src2=0
	v_mul_i32_i24_e32 v80, v129 /*v385*/, v24 /*v280*/
	v_mul_i32_i24_e32 v81, v138 /*v394*/, v26 /*v282*/
	s_set_vgpr_msb 64                       ;  msbs: dst=1 src0=0 src1=0 src2=0
	v_ashrrev_i32_e32 v129 /*v385*/, 24, v131
	s_set_vgpr_msb 0x45                     ;  msbs: dst=1 src0=1 src1=1 src2=0
	v_mul_i32_i24_e32 v28 /*v284*/, v28 /*v284*/, v23 /*v279*/
	s_set_vgpr_msb 64                       ;  msbs: dst=1 src0=0 src1=0 src2=0
	v_mul_i32_i24_e32 v138 /*v394*/, v205, v239
	s_set_vgpr_msb 0x41                     ;  msbs: dst=1 src0=1 src1=0 src2=0
	v_add3_u32 v56 /*v312*/, v56 /*v312*/, v80, v81
	s_set_vgpr_msb 5                        ;  msbs: dst=0 src0=1 src1=1 src2=0
	v_mul_i32_i24_e32 v80, v113 /*v369*/, v120 /*v376*/
	s_set_vgpr_msb 0                        ;  msbs: dst=0 src0=0 src1=0 src2=0
	v_mul_i32_i24_e32 v81, v126, v135
	s_set_vgpr_msb 4                        ;  msbs: dst=0 src0=0 src1=1 src2=0
	v_mul_i32_i24_e32 v126, v126, v27 /*v283*/
	s_wait_dscnt 0x0
	s_set_vgpr_msb 0x41                     ;  msbs: dst=1 src0=1 src1=0 src2=0
	v_bfe_i32 v163 /*v419*/, v2 /*v258*/, 0, 8
	v_bfe_i32 v164 /*v420*/, v2 /*v258*/, 8, 8
	;; [unrolled: 1-line block ×3, first 2 shown]
	v_add3_u32 v57 /*v313*/, v57 /*v313*/, v80, v81
	s_set_vgpr_msb 5                        ;  msbs: dst=0 src0=1 src1=1 src2=0
	v_mul_i32_i24_e32 v80, v132 /*v388*/, v24 /*v280*/
	v_mul_i32_i24_e32 v81, v135 /*v391*/, v26 /*v282*/
	s_set_vgpr_msb 0x44                     ;  msbs: dst=1 src0=0 src1=1 src2=0
	v_bfe_i32 v132 /*v388*/, v129, 0, 8
	v_bfe_i32 v135 /*v391*/, v116, 0, 8
	v_ashrrev_i32_e32 v172 /*v428*/, 24, v2 /*v258*/
	s_set_vgpr_msb 0x41                     ;  msbs: dst=1 src0=1 src1=0 src2=0
	v_add3_u32 v58 /*v314*/, v58 /*v314*/, v80, v81
	s_set_vgpr_msb 5                        ;  msbs: dst=0 src0=1 src1=1 src2=0
	v_mul_i32_i24_e32 v80, v119 /*v375*/, v120 /*v376*/
	s_set_vgpr_msb 0                        ;  msbs: dst=0 src0=0 src1=0 src2=0
	v_mul_i32_i24_e32 v81, v124, v135
	s_set_vgpr_msb 4                        ;  msbs: dst=0 src0=0 src1=1 src2=0
	v_mul_i32_i24_e32 v124, v124, v27 /*v283*/
	s_set_vgpr_msb 0x55                     ;  msbs: dst=1 src0=1 src1=1 src2=1
	v_add3_u32 v6 /*v262*/, v58 /*v314*/, v81 /*v337*/, v6 /*v262*/
	s_set_vgpr_msb 0x41                     ;  msbs: dst=1 src0=1 src1=0 src2=0
	v_add3_u32 v59 /*v315*/, v59 /*v315*/, v80, v81
	s_set_vgpr_msb 5                        ;  msbs: dst=0 src0=1 src1=1 src2=0
	v_mul_i32_i24_e32 v80, v62 /*v318*/, v24 /*v280*/
	v_mul_i32_i24_e32 v81, v63 /*v319*/, v26 /*v282*/
	s_set_vgpr_msb 0x45                     ;  msbs: dst=1 src0=1 src1=1 src2=0
	v_mul_i32_i24_e32 v24 /*v280*/, v82 /*v338*/, v26 /*v282*/
	s_set_vgpr_msb 64                       ;  msbs: dst=1 src0=0 src1=0 src2=0
	v_dual_ashrrev_i32 v63 /*v319*/, 24, v129 :: v_dual_lshrrev_b32 v82 /*v338*/, 16, v83
	s_set_vgpr_msb 0                        ;  msbs: dst=0 src0=0 src1=0 src2=0
	v_bfe_i32 v129, v129, 16, 8
	v_add3_u32 v96, v96, v80, v81
	s_set_vgpr_msb 5                        ;  msbs: dst=0 src0=1 src1=1 src2=0
	v_mul_i32_i24_e32 v80, v131 /*v387*/, v120 /*v376*/
	s_set_vgpr_msb 0                        ;  msbs: dst=0 src0=0 src1=0 src2=0
	v_mul_i32_i24_e32 v81, v104, v135
	s_set_vgpr_msb 20                       ;  msbs: dst=0 src0=0 src1=1 src2=1
	v_add3_u32 v96, v96, v68 /*v324*/, v67 /*v323*/
	s_set_vgpr_msb 0x41                     ;  msbs: dst=1 src0=1 src1=0 src2=0
	s_delay_alu instid0(VALU_DEP_2)
	v_add3_u32 v60 /*v316*/, v60 /*v316*/, v80, v81
	s_set_vgpr_msb 5                        ;  msbs: dst=0 src0=1 src1=1 src2=0
	v_mul_i32_i24_e32 v80, v131 /*v387*/, v35 /*v291*/
	s_set_vgpr_msb 4                        ;  msbs: dst=0 src0=0 src1=1 src2=0
	v_mul_i32_i24_e32 v81, v104, v29 /*v285*/
	s_set_vgpr_msb 0x41                     ;  msbs: dst=1 src0=1 src1=0 src2=0
	s_delay_alu instid0(VALU_DEP_1)
	v_add3_u32 v62 /*v318*/, v77 /*v333*/, v80, v81
	s_set_vgpr_msb 1                        ;  msbs: dst=0 src0=1 src1=0 src2=0
	v_mul_i32_i24_e32 v80, v131 /*v387*/, v140
	s_set_vgpr_msb 0                        ;  msbs: dst=0 src0=0 src1=0 src2=0
	v_mul_i32_i24_e32 v81, v104, v139
	s_set_vgpr_msb 64                       ;  msbs: dst=1 src0=0 src1=0 src2=0
	v_bfe_i32 v77 /*v333*/, v131, 0, 8
	s_set_vgpr_msb 4                        ;  msbs: dst=0 src0=0 src1=1 src2=0
	v_bfe_i32 v131, v131, 16, 8
	v_mul_i32_i24_e32 v104, v104, v27 /*v283*/
	s_set_vgpr_msb 0x41                     ;  msbs: dst=1 src0=1 src1=0 src2=0
	v_add3_u32 v26 /*v282*/, v89 /*v345*/, v80, v81
	s_set_vgpr_msb 0                        ;  msbs: dst=0 src0=0 src1=0 src2=0
	v_cvt_f32_f16_e32 v81, v83
	v_cvt_f32_f16_e32 v80, v84
	s_set_vgpr_msb 64                       ;  msbs: dst=1 src0=0 src1=0 src2=0
	v_lshrrev_b32_e32 v89 /*v345*/, 16, v84
	s_set_vgpr_msb 16                       ;  msbs: dst=0 src0=0 src1=0 src2=1
	v_add3_u32 v84, v98, v82, v24 /*v280*/
	v_cvt_f32_f16_e32 v83, v85
	s_set_vgpr_msb 64                       ;  msbs: dst=1 src0=0 src1=0 src2=0
	v_lshrrev_b32_e32 v24 /*v280*/, 16, v85
	s_set_vgpr_msb 4                        ;  msbs: dst=0 src0=0 src1=1 src2=0
	v_mul_i32_i24_e32 v85, v86, v22 /*v278*/
	v_mul_i32_i24_e32 v86, v86, v111 /*v367*/
	v_bfe_i32 v98, v100, 8, 8
	v_bfe_i32 v100, v100, 16, 8
	v_cvt_f32_f16_e32 v82, v87
	s_set_vgpr_msb 5                        ;  msbs: dst=0 src0=1 src1=1 src2=0
	v_add3_u32 v87, v108 /*v364*/, v107 /*v363*/, v148
	v_add3_u32 v86, v103 /*v359*/, v11 /*v267*/, v86
	s_set_vgpr_msb 4                        ;  msbs: dst=0 src0=0 src1=1 src2=0
	v_mul_i32_i24_e32 v148, v98, v120 /*v376*/
	s_set_vgpr_msb 64                       ;  msbs: dst=1 src0=0 src1=0 src2=0
	v_mul_i32_i24_e32 v11 /*v267*/, v100, v135
	s_set_vgpr_msb 0x45                     ;  msbs: dst=1 src0=1 src1=1 src2=0
	v_mul_i32_i24_e32 v107 /*v363*/, v13 /*v269*/, v35 /*v291*/
	s_set_vgpr_msb 0x41                     ;  msbs: dst=1 src0=1 src1=0 src2=0
	v_mul_i32_i24_e32 v103 /*v359*/, v1 /*v257*/, v240
	v_mul_i32_i24_e32 v108 /*v364*/, v13 /*v269*/, v140
	s_set_vgpr_msb 0x54                     ;  msbs: dst=1 src0=0 src1=1 src2=1
	v_add3_u32 v10 /*v266*/, v84, v28 /*v284*/, v10 /*v266*/
	s_set_vgpr_msb 17                       ;  msbs: dst=0 src0=1 src1=0 src2=1
	v_add3_u32 v148, v71 /*v327*/, v148, v11 /*v267*/
	s_set_vgpr_msb 0x44                     ;  msbs: dst=1 src0=0 src1=1 src2=0
	v_mul_i32_i24_e32 v11 /*v267*/, v98, v35 /*v291*/
	v_mul_i32_i24_e32 v71 /*v327*/, v100, v29 /*v285*/
	s_set_vgpr_msb 0x55                     ;  msbs: dst=1 src0=1 src1=1 src2=1
	v_add3_u32 v31 /*v287*/, v31 /*v287*/, v34 /*v290*/, v107 /*v363*/
	v_mul_i32_i24_e32 v34 /*v290*/, v0 /*v256*/, v85 /*v341*/
	v_mul_i32_i24_e32 v107 /*v363*/, v1 /*v257*/, v91 /*v347*/
	s_set_vgpr_msb 0x44                     ;  msbs: dst=1 src0=0 src1=1 src2=0
	v_mul_i32_i24_e32 v35 /*v291*/, v146, v35 /*v291*/
	s_set_vgpr_msb 0x55                     ;  msbs: dst=1 src0=1 src1=1 src2=1
	v_add3_u32 v11 /*v267*/, v86 /*v342*/, v11 /*v267*/, v71 /*v327*/
	s_set_vgpr_msb 64                       ;  msbs: dst=1 src0=0 src1=0 src2=0
	v_mul_i32_i24_e32 v71 /*v327*/, v98, v140
	v_mul_i32_i24_e32 v86 /*v342*/, v100, v139
	s_set_vgpr_msb 0x55                     ;  msbs: dst=1 src0=1 src1=1 src2=1
	v_add3_u32 v33 /*v289*/, v33 /*v289*/, v107 /*v363*/, v34 /*v290*/
	v_mul_i32_i24_e32 v107 /*v363*/, v12 /*v268*/, v109 /*v365*/
	s_set_vgpr_msb 0                        ;  msbs: dst=0 src0=0 src1=0 src2=0
	v_mul_i32_i24_e32 v140, v146, v140
	s_set_vgpr_msb 1                        ;  msbs: dst=0 src0=1 src1=0 src2=0
	v_mul_i32_i24_e32 v146, v105 /*v361*/, v139
	s_set_vgpr_msb 0x55                     ;  msbs: dst=1 src0=1 src1=1 src2=1
	v_add3_u32 v71 /*v327*/, v110 /*v366*/, v71 /*v327*/, v86 /*v342*/
	v_mul_i32_i24_e32 v86 /*v342*/, v0 /*v256*/, v37 /*v293*/
	s_set_vgpr_msb 64                       ;  msbs: dst=1 src0=0 src1=0 src2=0
	v_bfe_u32 v34 /*v290*/, v94, 24, 4
	s_set_vgpr_msb 0x55                     ;  msbs: dst=1 src0=1 src1=1 src2=1
	v_add3_u32 v51 /*v307*/, v51 /*v307*/, v107 /*v363*/, v108 /*v364*/
	v_mul_i32_i24_e32 v107 /*v363*/, v126 /*v382*/, v37 /*v293*/
	s_set_vgpr_msb 0x41                     ;  msbs: dst=1 src0=1 src1=0 src2=0
	v_mul_i32_i24_e32 v108 /*v364*/, v129 /*v385*/, v240
	s_set_vgpr_msb 0x55                     ;  msbs: dst=1 src0=1 src1=1 src2=1
	v_add3_u32 v86 /*v342*/, v112 /*v368*/, v103 /*v359*/, v86 /*v342*/
	s_set_vgpr_msb 64                       ;  msbs: dst=1 src0=0 src1=0 src2=0
	v_bfe_u32 v103 /*v359*/, v94, 8, 4
	s_set_vgpr_msb 1                        ;  msbs: dst=0 src0=1 src1=0 src2=0
	v_add3_u32 v140, v97 /*v353*/, v140, v146
	s_set_vgpr_msb 0                        ;  msbs: dst=0 src0=0 src1=0 src2=0
	v_bfe_i32 v146, v109, 8, 8
	s_set_vgpr_msb 64                       ;  msbs: dst=1 src0=0 src1=0 src2=0
	v_ashrrev_i32_e32 v97 /*v353*/, 24, v109
	s_set_vgpr_msb 0x55                     ;  msbs: dst=1 src0=1 src1=1 src2=1
	v_add3_u32 v50 /*v306*/, v50 /*v306*/, v108 /*v364*/, v107 /*v363*/
	v_mul_i32_i24_e32 v107 /*v363*/, v130 /*v386*/, v37 /*v293*/
	s_set_vgpr_msb 0x41                     ;  msbs: dst=1 src0=1 src1=0 src2=0
	v_mul_i32_i24_e32 v108 /*v364*/, v63 /*v319*/, v240
	s_set_vgpr_msb 0x44                     ;  msbs: dst=1 src0=0 src1=1 src2=0
	v_mul_i32_i24_e32 v39 /*v295*/, v146, v103 /*v359*/
	s_set_vgpr_msb 0x45                     ;  msbs: dst=1 src0=1 src1=1 src2=0
	v_mul_i32_i24_e32 v41 /*v297*/, v97 /*v353*/, v34 /*v290*/
	s_set_vgpr_msb 5                        ;  msbs: dst=0 src0=1 src1=1 src2=0
	v_mul_i32_i24_e32 v84, v12 /*v268*/, v25 /*v281*/
	s_set_vgpr_msb 0x55                     ;  msbs: dst=1 src0=1 src1=1 src2=1
	v_mul_i32_i24_e32 v12 /*v268*/, v12 /*v268*/, v128 /*v384*/
	v_add3_u32 v52 /*v308*/, v52 /*v308*/, v108 /*v364*/, v107 /*v363*/
	v_mul_i32_i24_e32 v107 /*v363*/, v126 /*v382*/, v85 /*v341*/
	v_mul_i32_i24_e32 v108 /*v364*/, v129 /*v385*/, v91 /*v347*/
	s_set_vgpr_msb 20                       ;  msbs: dst=0 src0=0 src1=1 src2=1
	v_add3_u32 v108, v108, v41 /*v297*/, v39 /*v295*/
	s_set_vgpr_msb 0x44                     ;  msbs: dst=1 src0=0 src1=1 src2=0
	v_mul_i32_i24_e32 v39 /*v295*/, v146, v37 /*v293*/
	s_set_vgpr_msb 0x41                     ;  msbs: dst=1 src0=1 src1=0 src2=0
	v_mul_i32_i24_e32 v41 /*v297*/, v97 /*v353*/, v240
	s_set_vgpr_msb 4                        ;  msbs: dst=0 src0=0 src1=1 src2=0
	v_add3_u32 v85, v107, v4 /*v260*/, v85
	s_set_vgpr_msb 0x55                     ;  msbs: dst=1 src0=1 src1=1 src2=1
	v_add3_u32 v55 /*v311*/, v55 /*v311*/, v108 /*v364*/, v107 /*v363*/
	v_mul_i32_i24_e32 v107 /*v363*/, v130 /*v386*/, v85 /*v341*/
	v_mul_i32_i24_e32 v108 /*v364*/, v63 /*v319*/, v91 /*v347*/
	v_add3_u32 v39 /*v295*/, v43 /*v299*/, v41 /*v297*/, v39 /*v295*/
	s_set_vgpr_msb 0x44                     ;  msbs: dst=1 src0=0 src1=1 src2=0
	v_mul_i32_i24_e32 v41 /*v297*/, v146, v85 /*v341*/
	s_set_vgpr_msb 0x55                     ;  msbs: dst=1 src0=1 src1=1 src2=1
	v_mul_i32_i24_e32 v43 /*v299*/, v97 /*v353*/, v91 /*v347*/
	v_mul_i32_i24_e32 v58 /*v314*/, v130 /*v386*/, v103 /*v359*/
	v_add3_u32 v72 /*v328*/, v72 /*v328*/, v108 /*v364*/, v107 /*v363*/
	v_mul_i32_i24_e32 v107 /*v363*/, v0 /*v256*/, v103 /*v359*/
	v_mul_i32_i24_e32 v108 /*v364*/, v1 /*v257*/, v34 /*v290*/
	v_add3_u32 v41 /*v297*/, v53 /*v309*/, v43 /*v299*/, v41 /*v297*/
	v_mul_i32_i24_e32 v53 /*v309*/, v116 /*v372*/, v25 /*v281*/
	v_mul_i32_i24_e32 v25 /*v281*/, v13 /*v269*/, v120 /*v376*/
	;; [unrolled: 1-line block ×3, first 2 shown]
	v_add3_u32 v107 /*v363*/, v115 /*v371*/, v108 /*v364*/, v107 /*v363*/
	s_set_vgpr_msb 0x54                     ;  msbs: dst=1 src0=0 src1=1 src2=1
	v_bfe_i32 v115 /*v371*/, v123, 8, 8
	v_bfe_i32 v28 /*v284*/, v123, 0, 8
	v_add3_u32 v12 /*v268*/, v86, v12 /*v268*/, v25 /*v281*/
	s_set_vgpr_msb 5                        ;  msbs: dst=0 src0=1 src1=1 src2=0
	v_mul_i32_i24_e32 v86, v13 /*v269*/, v87 /*v343*/
	s_set_vgpr_msb 0                        ;  msbs: dst=0 src0=0 src1=0 src2=0
	v_ashrrev_i32_e32 v123, 24, v123
	s_set_vgpr_msb 0x55                     ;  msbs: dst=1 src0=1 src1=1 src2=1
	v_add3_u32 v58 /*v314*/, v59 /*v315*/, v81 /*v337*/, v58 /*v314*/
	s_set_vgpr_msb 64                       ;  msbs: dst=1 src0=0 src1=0 src2=0
	v_dual_ashrrev_i32 v81 /*v337*/, 24, v113 :: v_dual_ashrrev_i32 v120 /*v376*/, 24, v111
	v_add3_u32 v13 /*v269*/, v85, v84, v86
	s_set_vgpr_msb 5                        ;  msbs: dst=0 src0=1 src1=1 src2=0
	v_mul_i32_i24_e32 v84, v115 /*v371*/, v75 /*v331*/
	s_set_vgpr_msb 64                       ;  msbs: dst=1 src0=0 src1=0 src2=0
	v_bfe_i32 v25 /*v281*/, v111, 8, 8
	s_set_vgpr_msb 4                        ;  msbs: dst=0 src0=0 src1=1 src2=0
	v_mul_i32_i24_e32 v85, v123, v5 /*v261*/
	s_set_vgpr_msb 64                       ;  msbs: dst=1 src0=0 src1=0 src2=0
	v_bfe_i32 v59 /*v315*/, v113, 8, 8
	s_set_vgpr_msb 0x45                     ;  msbs: dst=1 src0=1 src1=1 src2=0
	v_mul_i32_i24_e32 v68 /*v324*/, v81 /*v337*/, v34 /*v290*/
	s_set_vgpr_msb 5                        ;  msbs: dst=0 src0=1 src1=1 src2=0
	v_mad_i32_i24 v84, v28 /*v284*/, v7 /*v263*/, v84
	v_mul_i32_i24_e32 v86, v45 /*v301*/, v87 /*v343*/
	s_set_vgpr_msb 64                       ;  msbs: dst=1 src0=0 src1=0 src2=0
	v_bfe_i32 v128 /*v384*/, v114, 0, 8
	s_set_vgpr_msb 0x55                     ;  msbs: dst=1 src0=1 src1=1 src2=1
	v_mul_i32_i24_e32 v67 /*v323*/, v59 /*v315*/, v103 /*v359*/
	v_add3_u32 v30 /*v286*/, v30 /*v286*/, v35 /*v291*/, v47 /*v303*/
	s_set_vgpr_msb 64                       ;  msbs: dst=1 src0=0 src1=0 src2=0
	v_add3_u32 v133 /*v389*/, v87, v85, v84
	s_set_vgpr_msb 5                        ;  msbs: dst=0 src0=1 src1=1 src2=0
	v_mul_i32_i24_e32 v84, v25 /*v281*/, v103 /*v359*/
	v_mul_i32_i24_e32 v85, v120 /*v376*/, v34 /*v290*/
	s_set_vgpr_msb 0x55                     ;  msbs: dst=1 src0=1 src1=1 src2=1
	v_add3_u32 v60 /*v316*/, v60 /*v316*/, v68 /*v324*/, v67 /*v323*/
	v_mul_i32_i24_e32 v67 /*v323*/, v59 /*v315*/, v37 /*v293*/
	s_set_vgpr_msb 0x41                     ;  msbs: dst=1 src0=1 src1=0 src2=0
	v_mul_i32_i24_e32 v68 /*v324*/, v81 /*v337*/, v240
	s_set_vgpr_msb 64                       ;  msbs: dst=1 src0=0 src1=0 src2=0
	v_bfe_i32 v45 /*v301*/, v113, 0, 8
	s_set_vgpr_msb 0                        ;  msbs: dst=0 src0=0 src1=0 src2=0
	v_add3_u32 v148, v148, v85, v84
	s_set_vgpr_msb 5                        ;  msbs: dst=0 src0=1 src1=1 src2=0
	v_mul_i32_i24_e32 v84, v25 /*v281*/, v37 /*v293*/
	s_set_vgpr_msb 1                        ;  msbs: dst=0 src0=1 src1=0 src2=0
	v_mul_i32_i24_e32 v85, v120 /*v376*/, v240
	s_set_vgpr_msb 0x55                     ;  msbs: dst=1 src0=1 src1=1 src2=1
	v_add3_u32 v62 /*v318*/, v62 /*v318*/, v68 /*v324*/, v67 /*v323*/
	v_mul_i32_i24_e32 v67 /*v323*/, v59 /*v315*/, v85 /*v341*/
	v_mul_i32_i24_e32 v68 /*v324*/, v81 /*v337*/, v91 /*v347*/
	s_set_vgpr_msb 0                        ;  msbs: dst=0 src0=0 src1=0 src2=0
	v_bfe_i32 v113, v113, 16, 8
	s_set_vgpr_msb 0x41                     ;  msbs: dst=1 src0=1 src1=0 src2=0
	v_add3_u32 v11 /*v267*/, v11 /*v267*/, v85, v84
	s_set_vgpr_msb 5                        ;  msbs: dst=0 src0=1 src1=1 src2=0
	v_mul_i32_i24_e32 v84, v25 /*v281*/, v85 /*v341*/
	v_mul_i32_i24_e32 v85, v120 /*v376*/, v91 /*v347*/
	s_set_vgpr_msb 0x55                     ;  msbs: dst=1 src0=1 src1=1 src2=1
	v_add3_u32 v26 /*v282*/, v26 /*v282*/, v68 /*v324*/, v67 /*v323*/
	s_set_vgpr_msb 64                       ;  msbs: dst=1 src0=0 src1=0 src2=0
	v_ashrrev_i32_e32 v67 /*v323*/, 24, v121
	s_set_vgpr_msb 17                       ;  msbs: dst=0 src0=1 src1=0 src2=1
	v_add3_u32 v147, v56 /*v312*/, v147, v53 /*v309*/
	s_set_vgpr_msb 0x45                     ;  msbs: dst=1 src0=1 src1=1 src2=0
	v_mul_i32_i24_e32 v53 /*v309*/, v126 /*v382*/, v103 /*v359*/
	s_set_vgpr_msb 0x41                     ;  msbs: dst=1 src0=1 src1=0 src2=0
	v_add3_u32 v71 /*v327*/, v71 /*v327*/, v85, v84
	s_set_vgpr_msb 0                        ;  msbs: dst=0 src0=0 src1=0 src2=0
	v_mul_i32_i24_e32 v84, v150, v253
	v_mul_i32_i24_e32 v85, v238, v241
	s_set_vgpr_msb 0x45                     ;  msbs: dst=1 src0=1 src1=1 src2=0
	v_mul_i32_i24_e32 v56 /*v312*/, v129 /*v385*/, v34 /*v290*/
	s_set_vgpr_msb 5                        ;  msbs: dst=0 src0=1 src1=1 src2=0
	v_mul_i32_i24_e32 v87, v98 /*v354*/, v91 /*v347*/
	s_set_vgpr_msb 4                        ;  msbs: dst=0 src0=0 src1=1 src2=0
	v_mul_i32_i24_e32 v100, v100, v27 /*v283*/
	v_mul_i32_i24_e32 v98, v98, v87 /*v343*/
	s_set_vgpr_msb 0x41                     ;  msbs: dst=1 src0=1 src1=0 src2=0
	v_add3_u32 v86 /*v342*/, v86 /*v342*/, v84, v85
	s_set_vgpr_msb 4                        ;  msbs: dst=0 src0=0 src1=1 src2=0
	v_mul_i32_i24_e32 v84, v249, v29 /*v285*/
	v_mul_i32_i24_e32 v85, v247, v36 /*v292*/
	s_set_vgpr_msb 64                       ;  msbs: dst=1 src0=0 src1=0 src2=0
	v_bfe_u32 v36 /*v292*/, v94, 16, 4
	s_set_vgpr_msb 0x55                     ;  msbs: dst=1 src0=1 src1=1 src2=1
	v_add3_u32 v53 /*v309*/, v57 /*v313*/, v56 /*v312*/, v53 /*v309*/
	s_set_vgpr_msb 0                        ;  msbs: dst=0 src0=0 src1=0 src2=0
	v_bfe_i32 v111, v111, 16, 8
	s_set_vgpr_msb 64                       ;  msbs: dst=1 src0=0 src1=0 src2=0
	v_bfe_i32 v22 /*v278*/, v127, 0, 8
	s_set_vgpr_msb 0x41                     ;  msbs: dst=1 src0=1 src1=0 src2=0
	v_add3_u32 v29 /*v285*/, v31 /*v287*/, v84, v85
	s_set_vgpr_msb 4                        ;  msbs: dst=0 src0=0 src1=1 src2=0
	v_mul_i32_i24_e32 v84, v150, v65 /*v321*/
	v_mul_i32_i24_e32 v85, v238, v66 /*v322*/
	s_set_vgpr_msb 0                        ;  msbs: dst=0 src0=0 src1=0 src2=0
	v_ashrrev_i32_e32 v107, 24, v127
	s_set_vgpr_msb 64                       ;  msbs: dst=1 src0=0 src1=0 src2=0
	v_bfe_i32 v4 /*v260*/, v125, 0, 8
	v_ashrrev_i32_e32 v108 /*v364*/, 24, v125
	s_set_vgpr_msb 0x45                     ;  msbs: dst=1 src0=1 src1=1 src2=0
	v_mul_i32_i24_e32 v0 /*v256*/, v0 /*v256*/, v123 /*v379*/
	s_set_vgpr_msb 0x41                     ;  msbs: dst=1 src0=1 src1=0 src2=0
	v_add3_u32 v31 /*v287*/, v33 /*v289*/, v84, v85
	s_set_vgpr_msb 0                        ;  msbs: dst=0 src0=0 src1=0 src2=0
	v_mul_i32_i24_e32 v84, v249, v139
	s_set_vgpr_msb 4                        ;  msbs: dst=0 src0=0 src1=1 src2=0
	v_mul_i32_i24_e32 v85, v247, v114 /*v370*/
	s_set_vgpr_msb 64                       ;  msbs: dst=1 src0=0 src1=0 src2=0
	v_dual_ashrrev_i32 v56 /*v312*/, 24, v119 :: v_dual_bitop2_b32 v33 /*v289*/, 15, v94 bitop3:0x40
	v_bfe_i32 v109 /*v365*/, v127, 8, 8
	s_set_vgpr_msb 0                        ;  msbs: dst=0 src0=0 src1=0 src2=0
	v_bfe_i32 v127, v127, 16, 8
	s_set_vgpr_msb 1                        ;  msbs: dst=0 src0=1 src1=0 src2=0
	v_add3_u32 v139, v51 /*v307*/, v84, v85
	v_mul_i32_i24_e32 v84, v77 /*v333*/, v253
	s_set_vgpr_msb 0                        ;  msbs: dst=0 src0=0 src1=0 src2=0
	v_mul_i32_i24_e32 v85, v131, v241
	s_set_vgpr_msb 64                       ;  msbs: dst=1 src0=0 src1=0 src2=0
	v_bfe_i32 v110 /*v366*/, v125, 8, 8
	s_set_vgpr_msb 0                        ;  msbs: dst=0 src0=0 src1=0 src2=0
	v_bfe_i32 v125, v125, 16, 8
	s_set_vgpr_msb 64                       ;  msbs: dst=1 src0=0 src1=0 src2=0
	v_bfe_i32 v114 /*v370*/, v105, 8, 8
	v_bfe_i32 v111 /*v367*/, v117, 8, 8
	s_set_vgpr_msb 0x41                     ;  msbs: dst=1 src0=1 src1=0 src2=0
	v_add3_u32 v50 /*v306*/, v50 /*v306*/, v84, v85
	s_set_vgpr_msb 1                        ;  msbs: dst=0 src0=1 src1=0 src2=0
	v_mul_i32_i24_e32 v84, v132 /*v388*/, v253
	s_set_vgpr_msb 0                        ;  msbs: dst=0 src0=0 src1=0 src2=0
	v_mul_i32_i24_e32 v85, v129, v241
	s_set_vgpr_msb 64                       ;  msbs: dst=1 src0=0 src1=0 src2=0
	v_bfe_i32 v35 /*v291*/, v115, 8, 8
	v_ashrrev_i32_e32 v47 /*v303*/, 24, v115
	s_set_vgpr_msb 1                        ;  msbs: dst=0 src0=1 src1=0 src2=0
	v_mul_i32_i24_e32 v90, v77 /*v333*/, v199
	s_set_vgpr_msb 64                       ;  msbs: dst=1 src0=0 src1=0 src2=0
	v_bfe_i32 v112 /*v368*/, v117, 0, 8
	s_set_vgpr_msb 0x41                     ;  msbs: dst=1 src0=1 src1=0 src2=0
	v_add3_u32 v51 /*v307*/, v52 /*v308*/, v84, v85
	s_set_vgpr_msb 5                        ;  msbs: dst=0 src0=1 src1=1 src2=0
	v_mul_i32_i24_e32 v84, v77 /*v333*/, v65 /*v321*/
	s_set_vgpr_msb 4                        ;  msbs: dst=0 src0=0 src1=1 src2=0
	v_mul_i32_i24_e32 v85, v131, v66 /*v322*/
	v_bfe_i32 v117, v117, 16, 8
	s_set_vgpr_msb 64                       ;  msbs: dst=1 src0=0 src1=0 src2=0
	v_bfe_i32 v68 /*v324*/, v115, 0, 8
	s_set_vgpr_msb 0                        ;  msbs: dst=0 src0=0 src1=0 src2=0
	v_bfe_i32 v115, v115, 16, 8
	s_set_vgpr_msb 0x41                     ;  msbs: dst=1 src0=1 src1=0 src2=0
	v_mul_i32_i24_e32 v190 /*v446*/, v112 /*v368*/, v230
	v_add3_u32 v52 /*v308*/, v55 /*v311*/, v84, v85
	s_set_vgpr_msb 5                        ;  msbs: dst=0 src0=1 src1=1 src2=0
	v_mul_i32_i24_e32 v84, v132 /*v388*/, v65 /*v321*/
	s_set_vgpr_msb 4                        ;  msbs: dst=0 src0=0 src1=1 src2=0
	v_mul_i32_i24_e32 v85, v129, v66 /*v322*/
	s_set_vgpr_msb 0x41                     ;  msbs: dst=1 src0=1 src1=0 src2=0
	v_mul_i32_i24_e32 v191 /*v447*/, v68 /*v324*/, v230
	s_set_vgpr_msb 64                       ;  msbs: dst=1 src0=0 src1=0 src2=0
	v_bfe_i32 v43 /*v299*/, v119, 0, 8
	v_bfe_i32 v57 /*v313*/, v121, 0, 8
	v_bfe_i32 v116 /*v372*/, v119, 8, 8
	s_set_vgpr_msb 0x41                     ;  msbs: dst=1 src0=1 src1=0 src2=0
	v_add3_u32 v55 /*v311*/, v72 /*v328*/, v84, v85
	s_set_vgpr_msb 4                        ;  msbs: dst=0 src0=0 src1=1 src2=0
	v_mul_i32_i24_e32 v84, v150, v33 /*v289*/
	v_mul_i32_i24_e32 v85, v238, v36 /*v292*/
	v_bfe_i32 v119, v119, 16, 8
	s_set_vgpr_msb 64                       ;  msbs: dst=1 src0=0 src1=0 src2=0
	v_bfe_i32 v105 /*v361*/, v121, 8, 8
	s_set_vgpr_msb 0                        ;  msbs: dst=0 src0=0 src1=0 src2=0
	v_bfe_i32 v121, v121, 16, 8
	s_set_vgpr_msb 64                       ;  msbs: dst=1 src0=0 src1=0 src2=0
	v_mul_i32_i24_e32 v193 /*v449*/, v117, v229
	s_set_vgpr_msb 0x41                     ;  msbs: dst=1 src0=1 src1=0 src2=0
	v_add3_u32 v72 /*v328*/, v107 /*v363*/, v84, v85
	s_set_vgpr_msb 5                        ;  msbs: dst=0 src0=1 src1=1 src2=0
	v_mul_i32_i24_e32 v84, v46 /*v302*/, v27 /*v283*/
	s_set_vgpr_msb 4                        ;  msbs: dst=0 src0=0 src1=1 src2=0
	v_mul_i32_i24_e32 v85, v149, v103 /*v359*/
	s_set_vgpr_msb 0x45                     ;  msbs: dst=1 src0=1 src1=1 src2=0
	v_mul_i32_i24_e32 v46 /*v302*/, v101 /*v357*/, v87 /*v343*/
	v_mul_i32_i24_e32 v107 /*v363*/, v131 /*v387*/, v87 /*v343*/
	;; [unrolled: 1-line block ×3, first 2 shown]
	s_set_vgpr_msb 0                        ;  msbs: dst=0 src0=0 src1=0 src2=0
	v_add3_u32 v114, v144, v86, v84
	s_set_vgpr_msb 5                        ;  msbs: dst=0 src0=1 src1=1 src2=0
	v_mul_i32_i24_e32 v84, v98 /*v354*/, v34 /*v290*/
	s_set_vgpr_msb 4                        ;  msbs: dst=0 src0=0 src1=1 src2=0
	v_mul_i32_i24_e32 v86, v149, v37 /*v293*/
	v_add3_u32 v92, v92, v46 /*v302*/, v102
	v_add3_u32 v96, v96, v107 /*v363*/, v104
	s_set_vgpr_msb 5                        ;  msbs: dst=0 src0=1 src1=1 src2=0
	v_mul_i32_i24_e32 v104, v45 /*v301*/, v33 /*v289*/
	s_set_vgpr_msb 0                        ;  msbs: dst=0 src0=0 src1=0 src2=0
	v_add3_u32 v116, v145, v84, v85
	s_set_vgpr_msb 1                        ;  msbs: dst=0 src0=1 src1=0 src2=0
	v_mul_i32_i24_e32 v84, v98 /*v354*/, v240
	s_set_vgpr_msb 0x44                     ;  msbs: dst=1 src0=0 src1=1 src2=0
	v_mul_i32_i24_e32 v107 /*v363*/, v113, v36 /*v292*/
	s_set_vgpr_msb 0x45                     ;  msbs: dst=1 src0=1 src1=1 src2=0
	v_mul_i32_i24_e32 v98 /*v354*/, v113 /*v369*/, v87 /*v343*/
	s_set_vgpr_msb 4                        ;  msbs: dst=0 src0=0 src1=1 src2=0
	v_mul_i32_i24_e32 v144, v249, v27 /*v283*/
	s_set_vgpr_msb 64                       ;  msbs: dst=1 src0=0 src1=0 src2=0
	v_ashrrev_i32_e32 v131 /*v387*/, 24, v101
	s_set_vgpr_msb 1                        ;  msbs: dst=0 src0=1 src1=0 src2=0
	v_add3_u32 v145, v30 /*v286*/, v84, v86
	s_set_vgpr_msb 64                       ;  msbs: dst=1 src0=0 src1=0 src2=0
	v_bfe_i32 v30 /*v286*/, v109, 0, 8
	s_set_vgpr_msb 0                        ;  msbs: dst=0 src0=0 src1=0 src2=0
	v_bfe_i32 v109, v109, 16, 8
	s_set_vgpr_msb 17                       ;  msbs: dst=0 src0=1 src1=0 src2=1
	v_add3_u32 v104, v60 /*v316*/, v104, v107 /*v363*/
	s_set_vgpr_msb 0x41                     ;  msbs: dst=1 src0=1 src1=0 src2=0
	v_mul_i32_i24_e32 v60 /*v316*/, v45 /*v301*/, v253
	s_set_vgpr_msb 64                       ;  msbs: dst=1 src0=0 src1=0 src2=0
	v_mul_i32_i24_e32 v107 /*v363*/, v113, v241
	s_set_vgpr_msb 5                        ;  msbs: dst=0 src0=1 src1=1 src2=0
	v_mul_i32_i24_e32 v102, v30 /*v286*/, v33 /*v289*/
	s_set_vgpr_msb 0x44                     ;  msbs: dst=1 src0=0 src1=1 src2=0
	v_mul_i32_i24_e32 v46 /*v302*/, v109, v36 /*v292*/
	s_set_vgpr_msb 4                        ;  msbs: dst=0 src0=0 src1=1 src2=0
	v_add3_u32 v126, v147, v98 /*v354*/, v126
	s_set_vgpr_msb 5                        ;  msbs: dst=0 src0=1 src1=1 src2=0
	v_mul_i32_i24_e32 v147, v77 /*v333*/, v33 /*v289*/
	s_set_vgpr_msb 0x44                     ;  msbs: dst=1 src0=0 src1=1 src2=0
	v_mul_i32_i24_e32 v98 /*v354*/, v131, v36 /*v292*/
	s_set_vgpr_msb 0x55                     ;  msbs: dst=1 src0=1 src1=1 src2=1
	v_add3_u32 v60 /*v316*/, v62 /*v318*/, v60 /*v316*/, v107 /*v363*/
	s_set_vgpr_msb 16                       ;  msbs: dst=0 src0=0 src1=0 src2=1
	v_add3_u32 v102, v108, v102, v46 /*v302*/
	s_set_vgpr_msb 1                        ;  msbs: dst=0 src0=1 src1=0 src2=0
	v_mul_i32_i24_e32 v108, v30 /*v286*/, v253
	s_set_vgpr_msb 64                       ;  msbs: dst=1 src0=0 src1=0 src2=0
	v_mul_i32_i24_e32 v46 /*v302*/, v109, v241
	s_set_vgpr_msb 0x45                     ;  msbs: dst=1 src0=1 src1=1 src2=0
	v_mul_i32_i24_e32 v62 /*v318*/, v45 /*v301*/, v65 /*v321*/
	s_set_vgpr_msb 0x44                     ;  msbs: dst=1 src0=0 src1=1 src2=0
	v_mul_i32_i24_e32 v107 /*v363*/, v113, v66 /*v322*/
	s_set_vgpr_msb 4                        ;  msbs: dst=0 src0=0 src1=1 src2=0
	v_mul_i32_i24_e32 v86, v149, v85 /*v341*/
	v_mul_i32_i24_e32 v149, v247, v23 /*v279*/
	s_set_vgpr_msb 17                       ;  msbs: dst=0 src0=1 src1=0 src2=1
	v_add3_u32 v108, v39 /*v295*/, v108, v46 /*v302*/
	s_set_vgpr_msb 0x45                     ;  msbs: dst=1 src0=1 src1=1 src2=0
	v_mul_i32_i24_e32 v39 /*v295*/, v30 /*v286*/, v65 /*v321*/
	s_set_vgpr_msb 0x44                     ;  msbs: dst=1 src0=0 src1=1 src2=0
	v_mul_i32_i24_e32 v46 /*v302*/, v109, v66 /*v322*/
	v_bfe_u32 v23 /*v279*/, v94, 4, 4
	s_set_vgpr_msb 17                       ;  msbs: dst=0 src0=1 src1=0 src2=1
	v_add3_u32 v147, v53 /*v309*/, v147, v98 /*v354*/
	s_set_vgpr_msb 64                       ;  msbs: dst=1 src0=0 src1=0 src2=0
	v_ashrrev_i32_e32 v53 /*v309*/, 24, v103
	s_set_vgpr_msb 0x55                     ;  msbs: dst=1 src0=1 src1=1 src2=1
	v_add3_u32 v26 /*v282*/, v26 /*v282*/, v62 /*v318*/, v107 /*v363*/
	v_add3_u32 v39 /*v295*/, v41 /*v297*/, v39 /*v295*/, v46 /*v302*/
	s_set_vgpr_msb 64                       ;  msbs: dst=1 src0=0 src1=0 src2=0
	v_lshrrev_b32_e32 v41 /*v297*/, 28, v94
	v_bfe_i32 v62 /*v318*/, v101, 0, 8
	v_bfe_u32 v27 /*v283*/, v94, 12, 4
	v_bfe_u32 v87 /*v343*/, v94, 20, 4
	s_set_vgpr_msb 1                        ;  msbs: dst=0 src0=1 src1=0 src2=0
	v_add3_u32 v94, v10 /*v266*/, v98, v100
	s_set_vgpr_msb 64                       ;  msbs: dst=1 src0=0 src1=0 src2=0
	v_bfe_i32 v10 /*v266*/, v101, 8, 8
	s_set_vgpr_msb 0                        ;  msbs: dst=0 src0=0 src1=0 src2=0
	v_mul_i32_i24_e32 v98, v249, v135
	s_set_vgpr_msb 4                        ;  msbs: dst=0 src0=0 src1=1 src2=0
	v_mul_i32_i24_e32 v100, v247, v139 /*v395*/
	s_set_vgpr_msb 5                        ;  msbs: dst=0 src0=1 src1=1 src2=0
	v_mul_i32_i24_e32 v101, v155 /*v411*/, v121 /*v377*/
	s_set_vgpr_msb 64                       ;  msbs: dst=1 src0=0 src1=0 src2=0
	v_bfe_i32 v46 /*v302*/, v103, 0, 8
	v_bfe_i32 v107 /*v363*/, v103, 8, 8
	;; [unrolled: 1-line block ×3, first 2 shown]
	s_set_vgpr_msb 1                        ;  msbs: dst=0 src0=1 src1=0 src2=0
	v_add3_u32 v98, v12 /*v268*/, v98, v100
	v_add3_u32 v100, v13 /*v269*/, v144, v149
	s_set_vgpr_msb 5                        ;  msbs: dst=0 src0=1 src1=1 src2=0
	v_add3_u32 v144, v133 /*v389*/, v127 /*v383*/, v101
	s_set_vgpr_msb 4                        ;  msbs: dst=0 src0=0 src1=1 src2=0
	v_mul_i32_i24_e32 v101, v106, v33 /*v289*/
	v_mul_i32_i24_e32 v103, v111, v36 /*v292*/
	;; [unrolled: 1-line block ×3, first 2 shown]
	s_set_vgpr_msb 0x44                     ;  msbs: dst=1 src0=0 src1=1 src2=0
	v_mul_i32_i24_e32 v37 /*v293*/, v233, v37 /*v293*/
	v_mul_i32_i24_e32 v85 /*v341*/, v233, v85 /*v341*/
	s_set_vgpr_msb 5                        ;  msbs: dst=0 src0=1 src1=1 src2=0
	v_add3_u32 v124, v6 /*v262*/, v101 /*v357*/, v124
	s_set_vgpr_msb 0                        ;  msbs: dst=0 src0=0 src1=0 src2=0
	v_add3_u32 v101, v148, v101, v103
	v_mul_i32_i24_e32 v103, v106, v253
	v_mul_i32_i24_e32 v148, v111, v241
	s_set_vgpr_msb 0x45                     ;  msbs: dst=1 src0=1 src1=1 src2=0
	v_mul_i32_i24_e32 v6 /*v262*/, v132 /*v388*/, v33 /*v289*/
	s_set_vgpr_msb 0x44                     ;  msbs: dst=1 src0=0 src1=1 src2=0
	v_mul_i32_i24_e32 v101 /*v357*/, v129, v36 /*v292*/
	s_set_vgpr_msb 0                        ;  msbs: dst=0 src0=0 src1=0 src2=0
	v_add3_u32 v140, v140, v87, v86
	v_bfe_i32 v249, v89, 8, 8
	s_set_vgpr_msb 1                        ;  msbs: dst=0 src0=1 src1=0 src2=0
	v_add3_u32 v103, v11 /*v267*/, v103, v148
	s_set_vgpr_msb 4                        ;  msbs: dst=0 src0=0 src1=1 src2=0
	v_mul_i32_i24_e32 v148, v106, v65 /*v321*/
	s_set_vgpr_msb 64                       ;  msbs: dst=1 src0=0 src1=0 src2=0
	v_mul_i32_i24_e32 v11 /*v267*/, v155, v197
	s_set_vgpr_msb 0x55                     ;  msbs: dst=1 src0=1 src1=1 src2=1
	v_add3_u32 v6 /*v262*/, v58 /*v314*/, v6 /*v262*/, v101 /*v357*/
	s_set_vgpr_msb 64                       ;  msbs: dst=1 src0=0 src1=0 src2=0
	v_ashrrev_i32_e32 v58 /*v314*/, 24, v105
	v_ashrrev_i32_e32 v12 /*v268*/, 24, v89
	s_set_vgpr_msb 1                        ;  msbs: dst=0 src0=1 src1=0 src2=0
	v_add3_u32 v149, v71 /*v327*/, v148, v149
	s_set_vgpr_msb 0                        ;  msbs: dst=0 src0=0 src1=0 src2=0
	v_mul_i32_i24_e32 v148, v154, v198
	s_set_vgpr_msb 64                       ;  msbs: dst=1 src0=0 src1=0 src2=0
	v_bfe_i32 v127 /*v383*/, v89, 0, 8
	v_bfe_i32 v13 /*v269*/, v91, 8, 8
	v_ashrrev_i32_e32 v71 /*v327*/, 24, v91
	v_bfe_i32 v98 /*v354*/, v105, 0, 8
	s_set_vgpr_msb 0x45                     ;  msbs: dst=1 src0=1 src1=1 src2=0
	v_add3_u32 v11 /*v267*/, v86 /*v342*/, v11 /*v267*/, v148
	s_set_vgpr_msb 0                        ;  msbs: dst=0 src0=0 src1=0 src2=0
	v_mul_i32_i24_e32 v148, v234, v253
	s_set_vgpr_msb 64                       ;  msbs: dst=1 src0=0 src1=0 src2=0
	v_mul_i32_i24_e32 v101 /*v357*/, v234, v199
	s_set_vgpr_msb 1                        ;  msbs: dst=0 src0=1 src1=0 src2=0
	v_mul_i32_i24_e32 v88, v30 /*v286*/, v199
	s_set_vgpr_msb 0x44                     ;  msbs: dst=1 src0=0 src1=1 src2=0
	v_ashrrev_i32_e32 v86 /*v342*/, 24, v3 /*v259*/
	v_bfe_i32 v119 /*v375*/, v105, 16, 8
	s_set_vgpr_msb 0x45                     ;  msbs: dst=1 src0=1 src1=1 src2=0
	v_add3_u32 v29 /*v285*/, v29 /*v285*/, v37 /*v293*/, v148
	s_set_vgpr_msb 4                        ;  msbs: dst=0 src0=0 src1=1 src2=0
	v_mul_i32_i24_e32 v148, v154, v99 /*v355*/
	s_set_vgpr_msb 0x44                     ;  msbs: dst=1 src0=0 src1=1 src2=0
	v_mul_i32_i24_e32 v37 /*v293*/, v155, v100 /*v356*/
	s_set_vgpr_msb 0                        ;  msbs: dst=0 src0=0 src1=0 src2=0
	v_mul_i32_i24_e32 v105, v204, v231
	s_set_vgpr_msb 64                       ;  msbs: dst=1 src0=0 src1=0 src2=0
	v_bfe_i32 v133 /*v389*/, v99, 0, 8
	s_set_vgpr_msb 0                        ;  msbs: dst=0 src0=0 src1=0 src2=0
	v_bfe_u32 v135, v95, 8, 4
	v_bfe_u32 v247, v95, 24, 4
	s_set_vgpr_msb 0x45                     ;  msbs: dst=1 src0=1 src1=1 src2=0
	v_add3_u32 v31 /*v287*/, v31 /*v287*/, v37 /*v293*/, v148
	s_set_vgpr_msb 4                        ;  msbs: dst=0 src0=0 src1=1 src2=0
	v_mul_i32_i24_e32 v148, v234, v65 /*v321*/
	s_set_vgpr_msb 64                       ;  msbs: dst=1 src0=0 src1=0 src2=0
	v_bfe_u32 v139 /*v395*/, v95, 12, 4
	v_mul_i32_i24_e32 v37 /*v293*/, v202, v203
	s_set_vgpr_msb 0x41                     ;  msbs: dst=1 src0=1 src1=0 src2=0
	v_mul_i32_i24_e32 v189 /*v445*/, v127 /*v383*/, v230
	s_set_vgpr_msb 1                        ;  msbs: dst=0 src0=1 src1=0 src2=0
	v_cvt_f32_f16_e64 v85, v14 /*v270*/
	s_set_vgpr_msb 4                        ;  msbs: dst=0 src0=0 src1=1 src2=0
	v_add3_u32 v139, v139, v85 /*v341*/, v148
	s_set_vgpr_msb 1                        ;  msbs: dst=0 src0=1 src1=0 src2=0
	v_mul_i32_i24_e32 v148, v22 /*v278*/, v198
	s_set_vgpr_msb 64                       ;  msbs: dst=1 src0=0 src1=0 src2=0
	v_mul_i32_i24_e32 v85 /*v341*/, v107, v197
	s_set_vgpr_msb 0x44                     ;  msbs: dst=1 src0=0 src1=1 src2=0
	v_lshrrev_b32_e32 v14 /*v270*/, 16, v14 /*v270*/
	s_set_vgpr_msb 1                        ;  msbs: dst=0 src0=1 src1=0 src2=0
	v_cvt_f32_f16_e64 v84, v16 /*v272*/
	s_set_vgpr_msb 0x44                     ;  msbs: dst=1 src0=0 src1=1 src2=0
	v_lshrrev_b32_e32 v16 /*v272*/, 16, v16 /*v272*/
	s_set_vgpr_msb 1                        ;  msbs: dst=0 src0=1 src1=0 src2=0
	v_cvt_f32_f16_e64 v87, v17 /*v273*/
	s_set_vgpr_msb 0x45                     ;  msbs: dst=1 src0=1 src1=1 src2=0
	v_add3_u32 v50 /*v306*/, v50 /*v306*/, v85 /*v341*/, v148
	s_set_vgpr_msb 1                        ;  msbs: dst=0 src0=1 src1=0 src2=0
	v_mul_i32_i24_e32 v148, v4 /*v260*/, v198
	s_set_vgpr_msb 0x41                     ;  msbs: dst=1 src0=1 src1=0 src2=0
	v_mul_i32_i24_e32 v85 /*v341*/, v108 /*v364*/, v197
	s_set_vgpr_msb 1                        ;  msbs: dst=0 src0=1 src1=0 src2=0
	v_cvt_f32_f16_e64 v86, v20 /*v276*/
	s_set_vgpr_msb 0x44                     ;  msbs: dst=1 src0=0 src1=1 src2=0
	v_dual_lshrrev_b32 v17 /*v273*/, 16, v17 /*v273*/ :: v_dual_lshrrev_b32 v20 /*v276*/, 16, v20 /*v276*/
	s_set_vgpr_msb 0x41                     ;  msbs: dst=1 src0=1 src1=0 src2=0
	v_mul_i32_i24_e32 v77 /*v333*/, v49 /*v305*/, v133
	s_set_vgpr_msb 0x45                     ;  msbs: dst=1 src0=1 src1=1 src2=0
	v_add3_u32 v51 /*v307*/, v51 /*v307*/, v85 /*v341*/, v148
	s_set_vgpr_msb 5                        ;  msbs: dst=0 src0=1 src1=1 src2=0
	v_mul_i32_i24_e32 v148, v22 /*v278*/, v99 /*v355*/
	s_set_vgpr_msb 0x44                     ;  msbs: dst=1 src0=0 src1=1 src2=0
	v_mul_i32_i24_e32 v85 /*v341*/, v107, v100 /*v356*/
	s_set_vgpr_msb 64                       ;  msbs: dst=1 src0=0 src1=0 src2=0
	v_mul_i32_i24_e32 v194 /*v450*/, v115, v229
	s_set_vgpr_msb 0                        ;  msbs: dst=0 src0=0 src1=0 src2=0
	v_cvt_f32_i32_e32 v144, v144
	s_set_vgpr_msb 0x45                     ;  msbs: dst=1 src0=1 src1=1 src2=0
	v_add3_u32 v52 /*v308*/, v52 /*v308*/, v85 /*v341*/, v148
	s_set_vgpr_msb 5                        ;  msbs: dst=0 src0=1 src1=1 src2=0
	v_mul_i32_i24_e32 v148, v4 /*v260*/, v99 /*v355*/
	s_set_vgpr_msb 0x45                     ;  msbs: dst=1 src0=1 src1=1 src2=0
	v_mul_i32_i24_e32 v85 /*v341*/, v108 /*v364*/, v100 /*v356*/
	s_delay_alu instid0(VALU_DEP_1)
	v_add3_u32 v55 /*v311*/, v55 /*v311*/, v85 /*v341*/, v148
	s_set_vgpr_msb 4                        ;  msbs: dst=0 src0=0 src1=1 src2=0
	v_mul_i32_i24_e32 v148, v154, v23 /*v279*/
	s_set_vgpr_msb 0x44                     ;  msbs: dst=1 src0=0 src1=1 src2=0
	v_mul_i32_i24_e32 v85 /*v341*/, v155, v41 /*v297*/
	s_set_vgpr_msb 0x45                     ;  msbs: dst=1 src0=1 src1=1 src2=0
	s_delay_alu instid0(VALU_DEP_1)
	v_add3_u32 v72 /*v328*/, v72 /*v328*/, v85 /*v341*/, v148
	s_set_vgpr_msb 1                        ;  msbs: dst=0 src0=1 src1=0 src2=0
	v_mul_i32_i24_e32 v148, v1 /*v257*/, v239
	s_set_vgpr_msb 64                       ;  msbs: dst=1 src0=0 src1=0 src2=0
	v_bfe_u32 v1 /*v257*/, v95, 16, 4
	s_set_vgpr_msb 0x41                     ;  msbs: dst=1 src0=1 src1=0 src2=0
	v_bfe_i32 v85 /*v341*/, v3 /*v259*/, 8, 8
	s_set_vgpr_msb 16                       ;  msbs: dst=0 src0=0 src1=0 src2=1
	v_add3_u32 v114, v114, v148, v0 /*v256*/
	s_set_vgpr_msb 5                        ;  msbs: dst=0 src0=1 src1=1 src2=0
	v_mul_i32_i24_e32 v148, v102 /*v358*/, v33 /*v289*/
	s_set_vgpr_msb 0x45                     ;  msbs: dst=1 src0=1 src1=1 src2=0
	v_mul_i32_i24_e32 v0 /*v256*/, v106 /*v362*/, v36 /*v292*/
	s_set_vgpr_msb 16                       ;  msbs: dst=0 src0=0 src1=0 src2=1
	s_delay_alu instid0(VALU_DEP_1)
	v_add3_u32 v116, v116, v148, v0 /*v256*/
	s_set_vgpr_msb 1                        ;  msbs: dst=0 src0=1 src1=0 src2=0
	v_mul_i32_i24_e32 v148, v102 /*v358*/, v253
	v_mul_i32_i24_e32 v253, v106 /*v362*/, v241
	s_set_vgpr_msb 64                       ;  msbs: dst=1 src0=0 src1=0 src2=0
	v_and_b32_e32 v0 /*v256*/, 15, v95
	s_set_vgpr_msb 0                        ;  msbs: dst=0 src0=0 src1=0 src2=0
	s_delay_alu instid0(VALU_DEP_2)
	v_add3_u32 v253, v145, v148, v253
	s_set_vgpr_msb 5                        ;  msbs: dst=0 src0=1 src1=1 src2=0
	v_mul_i32_i24_e32 v145, v102 /*v358*/, v65 /*v321*/
	s_set_vgpr_msb 64                       ;  msbs: dst=1 src0=0 src1=0 src2=0
	v_bfe_i32 v65 /*v321*/, v89, 16, 8
	s_set_vgpr_msb 5                        ;  msbs: dst=0 src0=1 src1=1 src2=0
	v_mul_i32_i24_e32 v89, v106 /*v362*/, v66 /*v322*/
	s_set_vgpr_msb 64                       ;  msbs: dst=1 src0=0 src1=0 src2=0
	v_bfe_i32 v102 /*v358*/, v91, 16, 8
	s_set_vgpr_msb 0                        ;  msbs: dst=0 src0=0 src1=0 src2=0
	v_mul_i32_i24_e32 v148, v227, v225
	s_set_vgpr_msb 0x41                     ;  msbs: dst=1 src0=1 src1=0 src2=0
	v_mul_i32_i24_e32 v192 /*v448*/, v65 /*v321*/, v229
	s_set_vgpr_msb 0                        ;  msbs: dst=0 src0=0 src1=0 src2=0
	v_add3_u32 v89, v140, v145, v89
	v_bfe_i32 v140, v91, 0, 8
	s_set_vgpr_msb 1                        ;  msbs: dst=0 src0=1 src1=0 src2=0
	v_mul_i32_i24_e32 v91, v97 /*v353*/, v239
	s_set_vgpr_msb 4                        ;  msbs: dst=0 src0=0 src1=1 src2=0
	v_mul_i32_i24_e32 v145, v146, v123 /*v379*/
	s_set_vgpr_msb 5                        ;  msbs: dst=0 src0=1 src1=1 src2=0
	v_mul_i32_i24_e32 v146, v126 /*v382*/, v123 /*v379*/
	s_set_vgpr_msb 64                       ;  msbs: dst=1 src0=0 src1=0 src2=0
	v_mul_i32_i24_e32 v97 /*v353*/, v217, v200
	s_set_vgpr_msb 0x41                     ;  msbs: dst=1 src0=1 src1=0 src2=0
	v_bfe_i32 v126 /*v382*/, v3 /*v259*/, 0, 8
	v_bfe_i32 v3 /*v259*/, v3 /*v259*/, 16, 8
	s_set_vgpr_msb 0                        ;  msbs: dst=0 src0=0 src1=0 src2=0
	v_add3_u32 v91, v92, v91, v145
	s_set_vgpr_msb 5                        ;  msbs: dst=0 src0=1 src1=1 src2=0
	v_mul_i32_i24_e32 v92, v46 /*v302*/, v23 /*v279*/
	v_mul_i32_i24_e32 v145, v53 /*v309*/, v41 /*v297*/
	s_set_vgpr_msb 0x41                     ;  msbs: dst=1 src0=1 src1=0 src2=0
	v_mul_i32_i24_e32 v148 /*v404*/, v126 /*v382*/, v230
	v_mul_i32_i24_e32 v195 /*v451*/, v102 /*v358*/, v229
	;; [unrolled: 1-line block ×3, first 2 shown]
	s_set_vgpr_msb 0                        ;  msbs: dst=0 src0=0 src1=0 src2=0
	v_add3_u32 v92, v102, v145, v92
	s_set_vgpr_msb 1                        ;  msbs: dst=0 src0=1 src1=0 src2=0
	v_mul_i32_i24_e32 v102, v46 /*v302*/, v198
	v_mul_i32_i24_e32 v145, v53 /*v309*/, v197
	s_set_vgpr_msb 0                        ;  msbs: dst=0 src0=0 src1=0 src2=0
	s_delay_alu instid0(VALU_DEP_1) | instskip(SKIP_4) | instid1(VALU_DEP_1)
	v_add3_u32 v102, v108, v145, v102
	s_set_vgpr_msb 5                        ;  msbs: dst=0 src0=1 src1=1 src2=0
	v_mul_i32_i24_e32 v108, v46 /*v302*/, v99 /*v355*/
	v_mul_i32_i24_e32 v145, v53 /*v309*/, v100 /*v356*/
	s_set_vgpr_msb 1                        ;  msbs: dst=0 src0=1 src1=0 src2=0
	v_add3_u32 v108, v39 /*v295*/, v145, v108
	v_mul_i32_i24_e32 v145, v129 /*v385*/, v239
	s_set_vgpr_msb 64                       ;  msbs: dst=1 src0=0 src1=0 src2=0
	v_ashrrev_i32_e32 v129 /*v385*/, 24, v97
	v_mul_i32_i24_e32 v39 /*v295*/, v216, v211
	s_set_vgpr_msb 0                        ;  msbs: dst=0 src0=0 src1=0 src2=0
	v_add3_u32 v126, v126, v145, v146
	s_set_vgpr_msb 5                        ;  msbs: dst=0 src0=1 src1=1 src2=0
	v_mul_i32_i24_e32 v145, v22 /*v278*/, v23 /*v279*/
	s_set_vgpr_msb 4                        ;  msbs: dst=0 src0=0 src1=1 src2=0
	v_mul_i32_i24_e32 v146, v107, v41 /*v297*/
	s_set_vgpr_msb 0                        ;  msbs: dst=0 src0=0 src1=0 src2=0
	v_mul_i32_i24_e32 v107, v107, v200
	s_set_vgpr_msb 64                       ;  msbs: dst=1 src0=0 src1=0 src2=0
	s_delay_alu instid0(VALU_DEP_2)
	v_add3_u32 v106 /*v362*/, v147, v146, v145
	s_set_vgpr_msb 1                        ;  msbs: dst=0 src0=1 src1=0 src2=0
	v_mul_i32_i24_e32 v145, v63 /*v319*/, v239
	s_set_vgpr_msb 5                        ;  msbs: dst=0 src0=1 src1=1 src2=0
	v_mul_i32_i24_e32 v146, v130 /*v386*/, v123 /*v379*/
	s_set_vgpr_msb 64                       ;  msbs: dst=1 src0=0 src1=0 src2=0
	v_ashrrev_i32_e32 v130 /*v386*/, 24, v93
	v_bfe_i32 v63 /*v319*/, v97, 0, 8
	s_set_vgpr_msb 1                        ;  msbs: dst=0 src0=1 src1=0 src2=0
	v_mul_i32_i24_e32 v97, v119 /*v375*/, v153
	s_set_vgpr_msb 0                        ;  msbs: dst=0 src0=0 src1=0 src2=0
	v_mul_i32_i24_e32 v147, v228, v229
	v_add3_u32 v124, v124, v145, v146
	s_set_vgpr_msb 5                        ;  msbs: dst=0 src0=1 src1=1 src2=0
	v_mul_i32_i24_e32 v145, v4 /*v260*/, v23 /*v279*/
	v_mul_i32_i24_e32 v146, v108 /*v364*/, v41 /*v297*/
	s_set_vgpr_msb 0x41                     ;  msbs: dst=1 src0=1 src1=0 src2=0
	s_delay_alu instid0(VALU_DEP_1)
	v_add3_u32 v6 /*v262*/, v6 /*v262*/, v146, v145
	s_set_vgpr_msb 1                        ;  msbs: dst=0 src0=1 src1=0 src2=0
	v_mul_i32_i24_e32 v145, v81 /*v337*/, v239
	s_set_vgpr_msb 5                        ;  msbs: dst=0 src0=1 src1=1 src2=0
	v_mul_i32_i24_e32 v146, v59 /*v315*/, v123 /*v379*/
	s_set_vgpr_msb 64                       ;  msbs: dst=1 src0=0 src1=0 src2=0
	v_bfe_u32 v81 /*v337*/, v95, 4, 4
	s_set_vgpr_msb 0                        ;  msbs: dst=0 src0=0 src1=0 src2=0
	s_delay_alu instid0(VALU_DEP_2) | instskip(SKIP_4) | instid1(VALU_DEP_1)
	v_add3_u32 v96, v96, v145, v146
	s_set_vgpr_msb 5                        ;  msbs: dst=0 src0=1 src1=1 src2=0
	v_mul_i32_i24_e32 v145, v98 /*v354*/, v23 /*v279*/
	v_mul_i32_i24_e32 v146, v58 /*v314*/, v41 /*v297*/
	s_set_vgpr_msb 0                        ;  msbs: dst=0 src0=0 src1=0 src2=0
	v_add3_u32 v104, v104, v146, v145
	s_set_vgpr_msb 1                        ;  msbs: dst=0 src0=1 src1=0 src2=0
	v_mul_i32_i24_e32 v145, v98 /*v354*/, v198
	v_mul_i32_i24_e32 v146, v58 /*v314*/, v197
	s_set_vgpr_msb 0x41                     ;  msbs: dst=1 src0=1 src1=0 src2=0
	s_delay_alu instid0(VALU_DEP_1)
	v_add3_u32 v59 /*v315*/, v60 /*v316*/, v146, v145
	s_set_vgpr_msb 5                        ;  msbs: dst=0 src0=1 src1=1 src2=0
	v_mul_i32_i24_e32 v145, v98 /*v354*/, v99 /*v355*/
	v_mul_i32_i24_e32 v146, v58 /*v314*/, v100 /*v356*/
	s_set_vgpr_msb 64                       ;  msbs: dst=1 src0=0 src1=0 src2=0
	v_mul_i32_i24_e32 v60 /*v316*/, v224, v230
	s_set_vgpr_msb 0x41                     ;  msbs: dst=1 src0=1 src1=0 src2=0
	s_delay_alu instid0(VALU_DEP_2)
	v_add3_u32 v26 /*v282*/, v26 /*v282*/, v146, v145
	s_set_vgpr_msb 1                        ;  msbs: dst=0 src0=1 src1=0 src2=0
	v_mul_i32_i24_e32 v145, v120 /*v376*/, v239
	s_set_vgpr_msb 5                        ;  msbs: dst=0 src0=1 src1=1 src2=0
	v_mul_i32_i24_e32 v146, v25 /*v281*/, v123 /*v379*/
	s_set_vgpr_msb 64                       ;  msbs: dst=1 src0=0 src1=0 src2=0
	v_bfe_i32 v25 /*v281*/, v93, 0, 8
	s_set_vgpr_msb 4                        ;  msbs: dst=0 src0=0 src1=1 src2=0
	v_mul_i32_i24_e32 v93, v233, v123 /*v379*/
	s_set_vgpr_msb 64                       ;  msbs: dst=1 src0=0 src1=0 src2=0
	v_lshrrev_b32_e32 v120 /*v376*/, 28, v95
	s_set_vgpr_msb 0                        ;  msbs: dst=0 src0=0 src1=0 src2=0
	v_mul_i32_i24_e32 v95, v113, v231
	v_add3_u32 v239, v94, v145, v146
	s_set_vgpr_msb 4                        ;  msbs: dst=0 src0=0 src1=1 src2=0
	v_mul_i32_i24_e32 v94, v234, v33 /*v289*/
	v_mul_i32_i24_e32 v145, v233, v103 /*v359*/
	s_set_vgpr_msb 16                       ;  msbs: dst=0 src0=0 src1=0 src2=1
	v_add3_u32 v233, v100, v93, v101 /*v357*/
	s_set_vgpr_msb 5                        ;  msbs: dst=0 src0=1 src1=1 src2=0
	v_mul_i32_i24_e32 v93, v62 /*v318*/, v23 /*v279*/
	s_set_vgpr_msb 0                        ;  msbs: dst=0 src0=0 src1=0 src2=0
	v_mul_i32_i24_e32 v100, v106, v199
	s_set_vgpr_msb 64                       ;  msbs: dst=1 src0=0 src1=0 src2=0
	v_ashrrev_i32_e32 v103 /*v359*/, 24, v99
	s_set_vgpr_msb 0                        ;  msbs: dst=0 src0=0 src1=0 src2=0
	v_add3_u32 v234, v98, v145, v94
	s_set_vgpr_msb 5                        ;  msbs: dst=0 src0=1 src1=1 src2=0
	v_mul_i32_i24_e32 v94, v131 /*v387*/, v41 /*v297*/
	v_mul_i32_i24_e32 v98, v114 /*v370*/, v83 /*v339*/
	;; [unrolled: 1-line block ×5, first 2 shown]
	s_set_vgpr_msb 64                       ;  msbs: dst=1 src0=0 src1=0 src2=0
	v_add3_u32 v33 /*v289*/, v101, v94, v93
	s_set_vgpr_msb 1                        ;  msbs: dst=0 src0=1 src1=0 src2=0
	v_mul_i32_i24_e32 v93, v62 /*v318*/, v198
	v_mul_i32_i24_e32 v94, v131 /*v387*/, v197
	s_set_vgpr_msb 0                        ;  msbs: dst=0 src0=0 src1=0 src2=0
	v_mul_i32_i24_e32 v101, v111, v231
	s_set_vgpr_msb 1                        ;  msbs: dst=0 src0=1 src1=0 src2=0
	v_add3_u32 v111, v26 /*v282*/, v98, v99
	s_set_vgpr_msb 0                        ;  msbs: dst=0 src0=0 src1=0 src2=0
	v_cvt_f32_f16_e64 v98, v209
	v_cvt_f32_f16_e64 v99, v212
	s_set_vgpr_msb 64                       ;  msbs: dst=1 src0=0 src1=0 src2=0
	v_add3_u32 v101 /*v357*/, v103, v94, v93
	s_set_vgpr_msb 5                        ;  msbs: dst=0 src0=1 src1=1 src2=0
	v_mul_i32_i24_e32 v93, v62 /*v318*/, v99 /*v355*/
	v_mul_i32_i24_e32 v94, v131 /*v387*/, v100 /*v356*/
	s_set_vgpr_msb 4                        ;  msbs: dst=0 src0=0 src1=1 src2=0
	v_mul_i32_i24_e32 v103, v204, v36 /*v292*/
	s_set_vgpr_msb 0x44                     ;  msbs: dst=1 src0=0 src1=1 src2=0
	v_mul_i32_i24_e32 v26 /*v282*/, v201, v27 /*v283*/
	s_set_vgpr_msb 0x45                     ;  msbs: dst=1 src0=1 src1=1 src2=0
	v_mul_i32_i24_e32 v36 /*v292*/, v8 /*v264*/, v94 /*v350*/
	s_set_vgpr_msb 64                       ;  msbs: dst=1 src0=0 src1=0 src2=0
	v_add3_u32 v123 /*v379*/, v149, v94, v93
	s_set_vgpr_msb 0                        ;  msbs: dst=0 src0=0 src1=0 src2=0
	v_mul_i32_i24_e32 v93, v254, v152
	v_mul_i32_i24_e32 v94, v255, v153
	s_set_vgpr_msb 5                        ;  msbs: dst=0 src0=1 src1=1 src2=0
	v_mul_i32_i24_e32 v149, v54 /*v310*/, v5 /*v261*/
	s_set_vgpr_msb 0x41                     ;  msbs: dst=1 src0=1 src1=0 src2=0
	s_delay_alu instid0(VALU_DEP_2) | instskip(SKIP_4) | instid1(VALU_DEP_1)
	v_add3_u32 v11 /*v267*/, v11 /*v267*/, v93, v94
	s_set_vgpr_msb 0                        ;  msbs: dst=0 src0=0 src1=0 src2=0
	v_mul_i32_i24_e32 v93, v205, v240
	v_mul_i32_i24_e32 v94, v204, v241
	s_set_vgpr_msb 1                        ;  msbs: dst=0 src0=1 src1=0 src2=0
	v_add3_u32 v240, v29 /*v285*/, v94, v93
	s_set_vgpr_msb 4                        ;  msbs: dst=0 src0=0 src1=1 src2=0
	v_mul_i32_i24_e32 v93, v254, v83 /*v339*/
	v_mul_i32_i24_e32 v94, v255, v84 /*v340*/
	s_set_vgpr_msb 1                        ;  msbs: dst=0 src0=1 src1=0 src2=0
	s_delay_alu instid0(VALU_DEP_1)
	v_add3_u32 v241, v31 /*v287*/, v93, v94
	s_set_vgpr_msb 4                        ;  msbs: dst=0 src0=0 src1=1 src2=0
	v_mul_i32_i24_e32 v93, v205, v91 /*v347*/
	v_mul_i32_i24_e32 v94, v204, v66 /*v322*/
	s_set_vgpr_msb 0                        ;  msbs: dst=0 src0=0 src1=0 src2=0
	v_add3_u32 v204, v239, v100, v101
	v_cvt_f32_f16_e64 v100, v207
	v_cvt_f32_f16_e64 v101, v210
	v_mul_i32_i24_e32 v239, v251, v236
	v_add3_u32 v139, v139, v94, v93
	s_set_vgpr_msb 1                        ;  msbs: dst=0 src0=1 src1=0 src2=0
	v_mul_i32_i24_e32 v93, v109 /*v365*/, v152
	s_set_vgpr_msb 0                        ;  msbs: dst=0 src0=0 src1=0 src2=0
	v_mul_i32_i24_e32 v94, v127, v153
	s_set_vgpr_msb 0x44                     ;  msbs: dst=1 src0=0 src1=1 src2=0
	v_mul_i32_i24_e32 v66 /*v322*/, v228, v40 /*v296*/
	s_set_vgpr_msb 0x41                     ;  msbs: dst=1 src0=1 src1=0 src2=0
	s_delay_alu instid0(VALU_DEP_2)
	v_add3_u32 v29 /*v285*/, v50 /*v306*/, v93, v94
	s_set_vgpr_msb 1                        ;  msbs: dst=0 src0=1 src1=0 src2=0
	v_mul_i32_i24_e32 v93, v110 /*v366*/, v152
	s_set_vgpr_msb 0                        ;  msbs: dst=0 src0=0 src1=0 src2=0
	v_mul_i32_i24_e32 v94, v125, v153
	s_set_vgpr_msb 0x41                     ;  msbs: dst=1 src0=1 src1=0 src2=0
	s_delay_alu instid0(VALU_DEP_1)
	v_add3_u32 v31 /*v287*/, v51 /*v307*/, v93, v94
	s_set_vgpr_msb 5                        ;  msbs: dst=0 src0=1 src1=1 src2=0
	v_mul_i32_i24_e32 v93, v109 /*v365*/, v83 /*v339*/
	s_set_vgpr_msb 4                        ;  msbs: dst=0 src0=0 src1=1 src2=0
	v_mul_i32_i24_e32 v94, v127, v84 /*v340*/
	s_set_vgpr_msb 0x41                     ;  msbs: dst=1 src0=1 src1=0 src2=0
	s_delay_alu instid0(VALU_DEP_1)
	v_add3_u32 v50 /*v306*/, v52 /*v308*/, v93, v94
	s_set_vgpr_msb 5                        ;  msbs: dst=0 src0=1 src1=1 src2=0
	v_mul_i32_i24_e32 v93, v110 /*v366*/, v83 /*v339*/
	s_set_vgpr_msb 4                        ;  msbs: dst=0 src0=0 src1=1 src2=0
	v_mul_i32_i24_e32 v94, v125, v84 /*v340*/
	s_set_vgpr_msb 0x41                     ;  msbs: dst=1 src0=1 src1=0 src2=0
	s_delay_alu instid0(VALU_DEP_1)
	v_add3_u32 v51 /*v307*/, v55 /*v311*/, v93, v94
	s_set_vgpr_msb 4                        ;  msbs: dst=0 src0=0 src1=1 src2=0
	v_mul_i32_i24_e32 v93, v254, v27 /*v283*/
	v_mul_i32_i24_e32 v94, v255, v87 /*v343*/
	s_set_vgpr_msb 0x45                     ;  msbs: dst=1 src0=1 src1=1 src2=0
	v_mul_i32_i24_e32 v55 /*v311*/, v49 /*v305*/, v21 /*v277*/
	s_set_vgpr_msb 0x41                     ;  msbs: dst=1 src0=1 src1=0 src2=0
	s_delay_alu instid0(VALU_DEP_2)
	v_add3_u32 v52 /*v308*/, v72 /*v328*/, v93, v94
	s_set_vgpr_msb 0                        ;  msbs: dst=0 src0=0 src1=0 src2=0
	v_mul_i32_i24_e32 v93, v150, v199
	v_mul_i32_i24_e32 v94, v238, v231
	s_set_vgpr_msb 0x44                     ;  msbs: dst=1 src0=0 src1=1 src2=0
	v_mul_i32_i24_e32 v72 /*v328*/, v143, v125 /*v381*/
	s_set_vgpr_msb 5                        ;  msbs: dst=0 src0=1 src1=1 src2=0
	v_mul_i32_i24_e32 v150, v48 /*v304*/, v73 /*v329*/
	s_set_vgpr_msb 0                        ;  msbs: dst=0 src0=0 src1=0 src2=0
	v_add3_u32 v114, v114, v93, v94
	s_set_vgpr_msb 5                        ;  msbs: dst=0 src0=1 src1=1 src2=0
	v_mul_i32_i24_e32 v93, v78 /*v334*/, v23 /*v279*/
	v_mul_i32_i24_e32 v94, v79 /*v335*/, v41 /*v297*/
	s_set_vgpr_msb 0                        ;  msbs: dst=0 src0=0 src1=0 src2=0
	s_delay_alu instid0(VALU_DEP_1) | instskip(SKIP_4) | instid1(VALU_DEP_1)
	v_add3_u32 v116, v116, v94, v93
	s_set_vgpr_msb 1                        ;  msbs: dst=0 src0=1 src1=0 src2=0
	v_mul_i32_i24_e32 v93, v78 /*v334*/, v198
	v_mul_i32_i24_e32 v94, v79 /*v335*/, v197
	s_set_vgpr_msb 0                        ;  msbs: dst=0 src0=0 src1=0 src2=0
	v_add3_u32 v238, v253, v94, v93
	s_set_vgpr_msb 5                        ;  msbs: dst=0 src0=1 src1=1 src2=0
	v_mul_i32_i24_e32 v93, v78 /*v334*/, v99 /*v355*/
	v_mul_i32_i24_e32 v94, v79 /*v335*/, v100 /*v356*/
	s_set_vgpr_msb 0x45                     ;  msbs: dst=1 src0=1 src1=1 src2=0
	v_mul_i32_i24_e32 v78 /*v334*/, v105 /*v361*/, v19 /*v275*/
	s_set_vgpr_msb 0                        ;  msbs: dst=0 src0=0 src1=0 src2=0
	s_delay_alu instid0(VALU_DEP_2)
	v_add3_u32 v253, v89, v94, v93
	v_mul_i32_i24_e32 v89, v109, v231
	s_set_vgpr_msb 1                        ;  msbs: dst=0 src0=1 src1=0 src2=0
	v_mul_i32_i24_e32 v94, v45 /*v301*/, v199
	s_set_vgpr_msb 0                        ;  msbs: dst=0 src0=0 src1=0 src2=0
	v_mul_i32_i24_e32 v93, v129, v231
	v_add3_u32 v109, v91, v88, v89
	s_set_vgpr_msb 5                        ;  msbs: dst=0 src0=1 src1=1 src2=0
	v_mul_i32_i24_e32 v88, v107 /*v363*/, v27 /*v283*/
	v_mul_i32_i24_e32 v89, v113 /*v369*/, v87 /*v343*/
	s_set_vgpr_msb 0                        ;  msbs: dst=0 src0=0 src1=0 src2=0
	v_add3_u32 v113, v96, v94, v95
	s_set_vgpr_msb 1                        ;  msbs: dst=0 src0=1 src1=0 src2=0
	v_mul_i32_i24_e32 v96, v114 /*v370*/, v152
	s_set_vgpr_msb 5                        ;  msbs: dst=0 src0=1 src1=1 src2=0
	v_mul_i32_i24_e32 v94, v114 /*v370*/, v27 /*v283*/
	v_mul_i32_i24_e32 v95, v119 /*v375*/, v87 /*v343*/
	s_set_vgpr_msb 64                       ;  msbs: dst=1 src0=0 src1=0 src2=0
	v_add3_u32 v2 /*v258*/, v92, v88, v89
	s_set_vgpr_msb 1                        ;  msbs: dst=0 src0=1 src1=0 src2=0
	v_mul_i32_i24_e32 v88, v107 /*v363*/, v152
	v_mul_i32_i24_e32 v89, v113 /*v369*/, v153
	v_add3_u32 v106, v59 /*v315*/, v96, v97
	s_set_vgpr_msb 0                        ;  msbs: dst=0 src0=0 src1=0 src2=0
	v_cvt_f32_f16_e64 v97, v213
	s_set_vgpr_msb 1                        ;  msbs: dst=0 src0=1 src1=0 src2=0
	v_mul_i32_i24_e32 v92, v132 /*v388*/, v199
	s_set_vgpr_msb 0                        ;  msbs: dst=0 src0=0 src1=0 src2=0
	v_add3_u32 v104, v104, v94, v95
	s_set_vgpr_msb 64                       ;  msbs: dst=1 src0=0 src1=0 src2=0
	v_add3_u32 v30 /*v286*/, v102, v88, v89
	s_set_vgpr_msb 4                        ;  msbs: dst=0 src0=0 src1=1 src2=0
	v_mul_i32_i24_e32 v102, v205, v34 /*v290*/
	v_cvt_f32_f16_e64 v94, v214
	v_mul_i32_i24_e32 v199, v202, v99 /*v355*/
	s_set_vgpr_msb 0                        ;  msbs: dst=0 src0=0 src1=0 src2=0
	v_add3_u32 v124, v124, v92, v93
	s_set_vgpr_msb 5                        ;  msbs: dst=0 src0=1 src1=1 src2=0
	v_mul_i32_i24_e32 v92, v110 /*v366*/, v27 /*v283*/
	s_set_vgpr_msb 0                        ;  msbs: dst=0 src0=0 src1=0 src2=0
	v_add3_u32 v205, v234, v103, v102
	v_cvt_f32_f16_e64 v103, v151
	v_cvt_f32_f16_e64 v102, v206
	s_set_vgpr_msb 16                       ;  msbs: dst=0 src0=0 src1=0 src2=1
	v_add3_u32 v206, v233, v105, v138 /*v394*/
	s_set_vgpr_msb 5                        ;  msbs: dst=0 src0=1 src1=1 src2=0
	v_mul_i32_i24_e32 v105, v10 /*v266*/, v27 /*v283*/
	v_mul_i32_i24_e32 v151, v136 /*v392*/, v87 /*v343*/
	s_set_vgpr_msb 4                        ;  msbs: dst=0 src0=0 src1=1 src2=0
	v_mul_i32_i24_e32 v93, v125, v87 /*v343*/
	v_cvt_f32_f16_e64 v96, v215
	s_set_vgpr_msb 5                        ;  msbs: dst=0 src0=1 src1=1 src2=0
	v_mul_i32_i24_e32 v88, v107 /*v363*/, v83 /*v339*/
	v_mul_i32_i24_e32 v89, v113 /*v369*/, v84 /*v340*/
	s_set_vgpr_msb 1                        ;  msbs: dst=0 src0=1 src1=0 src2=0
	v_add3_u32 v207, v33 /*v289*/, v105, v151
	v_mul_i32_i24_e32 v105, v10 /*v266*/, v152
	v_mul_i32_i24_e32 v151, v136 /*v392*/, v153
	v_add3_u32 v129, v6 /*v262*/, v92, v93
	s_set_vgpr_msb 0                        ;  msbs: dst=0 src0=0 src1=0 src2=0
	v_cvt_f32_f16_e64 v92, v219
	s_set_vgpr_msb 64                       ;  msbs: dst=1 src0=0 src1=0 src2=0
	v_lshrrev_b32_e32 v132 /*v388*/, 16, v219
	s_set_vgpr_msb 0                        ;  msbs: dst=0 src0=0 src1=0 src2=0
	v_cvt_f32_f16_e64 v95, v218
	s_set_vgpr_msb 1                        ;  msbs: dst=0 src0=1 src1=0 src2=0
	v_add3_u32 v209, v101 /*v357*/, v105, v151
	s_set_vgpr_msb 5                        ;  msbs: dst=0 src0=1 src1=1 src2=0
	v_mul_i32_i24_e32 v105, v10 /*v266*/, v83 /*v339*/
	v_mul_i32_i24_e32 v151, v136 /*v392*/, v84 /*v340*/
	s_set_vgpr_msb 0                        ;  msbs: dst=0 src0=0 src1=0 src2=0
	v_add3_u32 v108, v108, v88, v89
	v_cvt_f32_f16_e64 v88, v223
	v_cvt_f32_f16_e64 v93, v220
	v_mul_i32_i24_e32 v91, v131, v231
	s_set_vgpr_msb 1                        ;  msbs: dst=0 src0=1 src1=0 src2=0
	v_add3_u32 v210, v123 /*v379*/, v105, v151
	s_set_vgpr_msb 0                        ;  msbs: dst=0 src0=0 src1=0 src2=0
	v_mul_i32_i24_e32 v105, v235, v208
	v_mul_i32_i24_e32 v151, v242, v252
	;; [unrolled: 1-line block ×3, first 2 shown]
	v_add3_u32 v126, v126, v90, v91
	s_set_vgpr_msb 5                        ;  msbs: dst=0 src0=1 src1=1 src2=0
	v_mul_i32_i24_e32 v90, v109 /*v365*/, v27 /*v283*/
	s_set_vgpr_msb 4                        ;  msbs: dst=0 src0=0 src1=1 src2=0
	v_mul_i32_i24_e32 v91, v127, v87 /*v343*/
	s_set_vgpr_msb 1                        ;  msbs: dst=0 src0=1 src1=0 src2=0
	v_add3_u32 v212, v11 /*v267*/, v151, v105
	s_set_vgpr_msb 0                        ;  msbs: dst=0 src0=0 src1=0 src2=0
	v_mul_i32_i24_e32 v105, v201, v152
	v_mul_i32_i24_e32 v151, v202, v198
	s_set_vgpr_msb 4                        ;  msbs: dst=0 src0=0 src1=1 src2=0
	v_mul_i32_i24_e32 v198, v235, v104 /*v360*/
	s_set_vgpr_msb 1                        ;  msbs: dst=0 src0=1 src1=0 src2=0
	v_add3_u32 v131, v106 /*v362*/, v90, v91
	s_set_vgpr_msb 0                        ;  msbs: dst=0 src0=0 src1=0 src2=0
	v_cvt_f32_f16_e64 v89, v226
	v_cvt_f32_f16_e64 v90, v221
	v_add3_u32 v213, v240, v151, v105
	s_set_vgpr_msb 4                        ;  msbs: dst=0 src0=0 src1=1 src2=0
	v_mul_i32_i24_e32 v105, v242, v122 /*v378*/
	v_mul_i32_i24_e32 v151, v201, v83 /*v339*/
	v_cvt_f32_f16_e64 v91, v222
	s_set_vgpr_msb 0                        ;  msbs: dst=0 src0=0 src1=0 src2=0
	v_mul_i32_i24_e32 v221, v237, v244
	v_mul_i32_i24_e32 v222, v250, v243
	v_add3_u32 v214, v241, v105, v198
	s_set_vgpr_msb 1                        ;  msbs: dst=0 src0=1 src1=0 src2=0
	v_mul_i32_i24_e32 v105, v111 /*v367*/, v208
	v_mul_i32_i24_e32 v198, v44 /*v300*/, v252
	s_set_vgpr_msb 0                        ;  msbs: dst=0 src0=0 src1=0 src2=0
	v_add3_u32 v139, v139, v199, v151
	s_set_vgpr_msb 1                        ;  msbs: dst=0 src0=1 src1=0 src2=0
	v_mul_i32_i24_e32 v151, v35 /*v291*/, v208
	v_mul_i32_i24_e32 v199, v47 /*v303*/, v252
	s_set_vgpr_msb 0                        ;  msbs: dst=0 src0=0 src1=0 src2=0
	v_mul_i32_i24_e32 v226, v217, v197
	s_set_vgpr_msb 1                        ;  msbs: dst=0 src0=1 src1=0 src2=0
	v_add3_u32 v215, v29 /*v285*/, v198, v105
	s_set_vgpr_msb 5                        ;  msbs: dst=0 src0=1 src1=1 src2=0
	v_mul_i32_i24_e32 v105, v111 /*v367*/, v104 /*v360*/
	v_mul_i32_i24_e32 v198, v44 /*v300*/, v122 /*v378*/
	s_set_vgpr_msb 1                        ;  msbs: dst=0 src0=1 src1=0 src2=0
	v_add3_u32 v218, v31 /*v287*/, v199, v151
	s_set_vgpr_msb 5                        ;  msbs: dst=0 src0=1 src1=1 src2=0
	v_mul_i32_i24_e32 v151, v35 /*v291*/, v104 /*v360*/
	v_mul_i32_i24_e32 v199, v47 /*v303*/, v122 /*v378*/
	s_set_vgpr_msb 4                        ;  msbs: dst=0 src0=0 src1=1 src2=0
	v_mul_i32_i24_e32 v202, v202, v23 /*v279*/
	s_set_vgpr_msb 1                        ;  msbs: dst=0 src0=1 src1=0 src2=0
	v_add3_u32 v219, v50 /*v306*/, v198, v105
	s_set_vgpr_msb 0                        ;  msbs: dst=0 src0=0 src1=0 src2=0
	v_mul_i32_i24_e32 v105, v235, v135
	v_mul_i32_i24_e32 v198, v242, v247
	s_set_vgpr_msb 1                        ;  msbs: dst=0 src0=1 src1=0 src2=0
	v_add3_u32 v220, v51 /*v307*/, v199, v151
	s_set_vgpr_msb 0                        ;  msbs: dst=0 src0=0 src1=0 src2=0
	v_mul_i32_i24_e32 v151, v154, v203
	v_mul_i32_i24_e32 v154, v155, v200
	s_set_vgpr_msb 5                        ;  msbs: dst=0 src0=1 src1=1 src2=0
	v_mul_i32_i24_e32 v155, v38 /*v294*/, v87 /*v343*/
	s_set_vgpr_msb 1                        ;  msbs: dst=0 src0=1 src1=0 src2=0
	v_add3_u32 v223, v52 /*v308*/, v198, v105
	s_set_vgpr_msb 5                        ;  msbs: dst=0 src0=1 src1=1 src2=0
	v_mul_i32_i24_e32 v105, v117 /*v373*/, v27 /*v283*/
	s_set_vgpr_msb 0                        ;  msbs: dst=0 src0=0 src1=0 src2=0
	v_mul_i32_i24_e32 v201, v201, v110
	v_add3_u32 v114, v114, v154, v151
	s_set_vgpr_msb 1                        ;  msbs: dst=0 src0=1 src1=0 src2=0
	v_mul_i32_i24_e32 v151, v38 /*v294*/, v153
	s_set_vgpr_msb 5                        ;  msbs: dst=0 src0=1 src1=1 src2=0
	v_mul_i32_i24_e32 v153, v38 /*v294*/, v84 /*v340*/
	s_set_vgpr_msb 0                        ;  msbs: dst=0 src0=0 src1=0 src2=0
	v_add3_u32 v116, v116, v105, v155
	s_set_vgpr_msb 1                        ;  msbs: dst=0 src0=1 src1=0 src2=0
	v_mul_i32_i24_e32 v105, v117 /*v373*/, v152
	s_set_vgpr_msb 5                        ;  msbs: dst=0 src0=1 src1=1 src2=0
	v_mul_i32_i24_e32 v152, v117 /*v373*/, v83 /*v339*/
	s_set_vgpr_msb 0                        ;  msbs: dst=0 src0=0 src1=0 src2=0
	v_mul_i32_i24_e32 v154, v249, v135
	s_set_vgpr_msb 0x50                     ;  msbs: dst=1 src0=0 src1=0 src2=1
	v_add3_u32 v26 /*v282*/, v205, v202, v26 /*v282*/
	s_set_vgpr_msb 1                        ;  msbs: dst=0 src0=1 src1=0 src2=0
	v_mul_i32_i24_e32 v202, v85 /*v341*/, v208
	s_set_vgpr_msb 0                        ;  msbs: dst=0 src0=0 src1=0 src2=0
	v_add3_u32 v238, v238, v105, v151
	s_set_vgpr_msb 1                        ;  msbs: dst=0 src0=1 src1=0 src2=0
	v_mul_i32_i24_e32 v105, v46 /*v302*/, v203
	v_mul_i32_i24_e32 v151, v53 /*v309*/, v200
	s_set_vgpr_msb 0                        ;  msbs: dst=0 src0=0 src1=0 src2=0
	v_add3_u32 v241, v253, v152, v153
	s_set_vgpr_msb 1                        ;  msbs: dst=0 src0=1 src1=0 src2=0
	v_mul_i32_i24_e32 v152, v12 /*v268*/, v247
	s_set_vgpr_msb 0                        ;  msbs: dst=0 src0=0 src1=0 src2=0
	v_mul_i32_i24_e32 v153, v249, v208
	s_set_vgpr_msb 64                       ;  msbs: dst=1 src0=0 src1=0 src2=0
	v_add3_u32 v38 /*v294*/, v212, v221, v222
	s_set_vgpr_msb 0                        ;  msbs: dst=0 src0=0 src1=0 src2=0
	v_add3_u32 v109, v109, v151, v105
	s_set_vgpr_msb 1                        ;  msbs: dst=0 src0=1 src1=0 src2=0
	v_mul_i32_i24_e32 v105, v12 /*v268*/, v252
	v_add3_u32 v253, v2 /*v258*/, v152, v154
	s_set_vgpr_msb 4                        ;  msbs: dst=0 src0=0 src1=1 src2=0
	v_mul_i32_i24_e32 v151, v249, v104 /*v360*/
	s_set_vgpr_msb 5                        ;  msbs: dst=0 src0=1 src1=1 src2=0
	v_mul_i32_i24_e32 v152, v12 /*v268*/, v122 /*v378*/
	s_set_vgpr_msb 0                        ;  msbs: dst=0 src0=0 src1=0 src2=0
	v_add3_u32 v221, v213, v231, v226
	s_set_vgpr_msb 0x41                     ;  msbs: dst=1 src0=1 src1=0 src2=0
	v_add3_u32 v2 /*v258*/, v30 /*v286*/, v105, v153
	s_set_vgpr_msb 1                        ;  msbs: dst=0 src0=1 src1=0 src2=0
	v_mul_i32_i24_e32 v105, v22 /*v278*/, v203
	v_mul_i32_i24_e32 v153, v13 /*v269*/, v135
	s_set_vgpr_msb 0                        ;  msbs: dst=0 src0=0 src1=0 src2=0
	v_add3_u32 v108, v108, v152, v151
	s_set_vgpr_msb 1                        ;  msbs: dst=0 src0=1 src1=0 src2=0
	v_mul_i32_i24_e32 v151, v111 /*v367*/, v135
	v_mul_i32_i24_e32 v152, v44 /*v300*/, v247
	s_set_vgpr_msb 0                        ;  msbs: dst=0 src0=0 src1=0 src2=0
	v_add3_u32 v126, v126, v107, v105
	s_set_vgpr_msb 1                        ;  msbs: dst=0 src0=1 src1=0 src2=0
	v_mul_i32_i24_e32 v105, v4 /*v260*/, v203
	v_mul_i32_i24_e32 v107, v108 /*v364*/, v200
	s_set_vgpr_msb 0x44                     ;  msbs: dst=1 src0=0 src1=1 src2=0
	v_add3_u32 v30 /*v286*/, v206, v37 /*v293*/, v201
	s_set_vgpr_msb 0                        ;  msbs: dst=0 src0=0 src1=0 src2=0
	v_add3_u32 v131, v131, v152, v151
	s_set_vgpr_msb 1                        ;  msbs: dst=0 src0=1 src1=0 src2=0
	v_mul_i32_i24_e32 v151, v35 /*v291*/, v135
	v_mul_i32_i24_e32 v152, v47 /*v303*/, v247
	s_set_vgpr_msb 0                        ;  msbs: dst=0 src0=0 src1=0 src2=0
	v_add3_u32 v124, v124, v107, v105
	s_set_vgpr_msb 1                        ;  msbs: dst=0 src0=1 src1=0 src2=0
	v_mul_i32_i24_e32 v105, v98 /*v354*/, v203
	v_mul_i32_i24_e32 v107, v58 /*v314*/, v200
	;; [unrolled: 1-line block ×3, first 2 shown]
	s_set_vgpr_msb 0                        ;  msbs: dst=0 src0=0 src1=0 src2=0
	v_add3_u32 v129, v129, v152, v151
	s_set_vgpr_msb 1                        ;  msbs: dst=0 src0=1 src1=0 src2=0
	v_mul_i32_i24_e32 v152, v13 /*v269*/, v208
	v_mul_i32_i24_e32 v151, v71 /*v327*/, v247
	s_set_vgpr_msb 0                        ;  msbs: dst=0 src0=0 src1=0 src2=0
	v_add3_u32 v113, v113, v107, v105
	s_set_vgpr_msb 1                        ;  msbs: dst=0 src0=1 src1=0 src2=0
	v_mul_i32_i24_e32 v105, v71 /*v327*/, v252
	s_set_vgpr_msb 5                        ;  msbs: dst=0 src0=1 src1=1 src2=0
	v_mul_i32_i24_e32 v107, v13 /*v269*/, v104 /*v360*/
	s_set_vgpr_msb 1                        ;  msbs: dst=0 src0=1 src1=0 src2=0
	v_mul_i32_i24_e32 v201, v86 /*v342*/, v252
	s_set_vgpr_msb 64                       ;  msbs: dst=1 src0=0 src1=0 src2=0
	v_add3_u32 v4 /*v260*/, v104, v151, v153
	s_set_vgpr_msb 5                        ;  msbs: dst=0 src0=1 src1=1 src2=0
	v_mul_i32_i24_e32 v104, v71 /*v327*/, v122 /*v378*/
	s_set_vgpr_msb 64                       ;  msbs: dst=1 src0=0 src1=0 src2=0
	v_add3_u32 v6 /*v262*/, v106, v105, v152
	s_set_vgpr_msb 1                        ;  msbs: dst=0 src0=1 src1=0 src2=0
	v_mul_i32_i24_e32 v106, v62 /*v318*/, v203
	s_set_vgpr_msb 4                        ;  msbs: dst=0 src0=0 src1=1 src2=0
	v_mul_i32_i24_e32 v203, v250, v40 /*v296*/
	s_set_vgpr_msb 0x44                     ;  msbs: dst=1 src0=0 src1=1 src2=0
	v_mul_i32_i24_e32 v11 /*v267*/, v217, v100 /*v356*/
	s_set_vgpr_msb 0                        ;  msbs: dst=0 src0=0 src1=0 src2=0
	v_add3_u32 v111, v111, v104, v107
	s_set_vgpr_msb 4                        ;  msbs: dst=0 src0=0 src1=1 src2=0
	v_mul_i32_i24_e32 v107, v237, v124 /*v380*/
	s_set_vgpr_msb 64                       ;  msbs: dst=1 src0=0 src1=0 src2=0
	v_add3_u32 v27 /*v283*/, v204, v200, v106
	s_set_vgpr_msb 1                        ;  msbs: dst=0 src0=1 src1=0 src2=0
	v_mul_i32_i24_e32 v106, v85 /*v341*/, v135
	v_mul_i32_i24_e32 v200, v86 /*v342*/, v247
	s_set_vgpr_msb 5                        ;  msbs: dst=0 src0=1 src1=1 src2=0
	v_mul_i32_i24_e32 v204, v85 /*v341*/, v104 /*v360*/
	s_set_vgpr_msb 0                        ;  msbs: dst=0 src0=0 src1=0 src2=0
	v_add3_u32 v226, v214, v107, v203
	v_mul_i32_i24_e32 v107, v117, v243
	s_set_vgpr_msb 0x44                     ;  msbs: dst=1 src0=0 src1=1 src2=0
	v_mul_i32_i24_e32 v22 /*v278*/, v216, v84 /*v340*/
	s_set_vgpr_msb 64                       ;  msbs: dst=1 src0=0 src1=0 src2=0
	v_add3_u32 v31 /*v287*/, v207, v200, v106
	s_set_vgpr_msb 5                        ;  msbs: dst=0 src0=1 src1=1 src2=0
	v_mul_i32_i24_e32 v106, v86 /*v342*/, v122 /*v378*/
	s_set_vgpr_msb 64                       ;  msbs: dst=1 src0=0 src1=0 src2=0
	v_add3_u32 v34 /*v290*/, v209, v201, v202
	s_set_vgpr_msb 1                        ;  msbs: dst=0 src0=1 src1=0 src2=0
	v_mul_i32_i24_e32 v200, v68 /*v324*/, v244
	s_set_vgpr_msb 0                        ;  msbs: dst=0 src0=0 src1=0 src2=0
	v_mul_i32_i24_e32 v201, v115, v243
	s_set_vgpr_msb 5                        ;  msbs: dst=0 src0=1 src1=1 src2=0
	v_mul_i32_i24_e32 v202, v112 /*v368*/, v124 /*v380*/
	s_set_vgpr_msb 64                       ;  msbs: dst=1 src0=0 src1=0 src2=0
	v_add3_u32 v37 /*v293*/, v210, v106, v204
	s_set_vgpr_msb 1                        ;  msbs: dst=0 src0=1 src1=0 src2=0
	v_mul_i32_i24_e32 v106, v112 /*v368*/, v244
	s_set_vgpr_msb 0                        ;  msbs: dst=0 src0=0 src1=0 src2=0
	v_mul_i32_i24_e32 v234, v248, v208
	s_set_vgpr_msb 20                       ;  msbs: dst=0 src0=0 src1=1 src2=1
	v_add3_u32 v139, v139, v22 /*v278*/, v11 /*v267*/
	s_set_vgpr_msb 64                       ;  msbs: dst=1 src0=0 src1=0 src2=0
	v_add3_u32 v11 /*v267*/, v218, v200, v201
	s_set_vgpr_msb 4                        ;  msbs: dst=0 src0=0 src1=1 src2=0
	v_mul_i32_i24_e32 v200, v115, v40 /*v296*/
	s_set_vgpr_msb 0                        ;  msbs: dst=0 src0=0 src1=0 src2=0
	v_add3_u32 v231, v215, v106, v107
	s_set_vgpr_msb 4                        ;  msbs: dst=0 src0=0 src1=1 src2=0
	v_mul_i32_i24_e32 v106, v117, v40 /*v296*/
	s_set_vgpr_msb 5                        ;  msbs: dst=0 src0=1 src1=1 src2=0
	v_mul_i32_i24_e32 v107, v68 /*v324*/, v124 /*v380*/
	s_set_vgpr_msb 4                        ;  msbs: dst=0 src0=0 src1=1 src2=0
	v_mul_i32_i24_e32 v201, v250, v1 /*v257*/
	s_set_vgpr_msb 1                        ;  msbs: dst=0 src0=1 src1=0 src2=0
	v_mul_i32_i24_e32 v208, v9 /*v265*/, v208
	s_set_vgpr_msb 0                        ;  msbs: dst=0 src0=0 src1=0 src2=0
	v_mul_i32_i24_e32 v209, v245, v252
	s_set_vgpr_msb 64                       ;  msbs: dst=1 src0=0 src1=0 src2=0
	v_add3_u32 v22 /*v278*/, v219, v202, v106
	s_set_vgpr_msb 4                        ;  msbs: dst=0 src0=0 src1=1 src2=0
	v_mul_i32_i24_e32 v106, v237, v0 /*v256*/
	s_set_vgpr_msb 5                        ;  msbs: dst=0 src0=1 src1=1 src2=0
	v_mul_i32_i24_e32 v210, v9 /*v265*/, v104 /*v360*/
	s_set_vgpr_msb 4                        ;  msbs: dst=0 src0=0 src1=1 src2=0
	v_mul_i32_i24_e32 v212, v245, v122 /*v378*/
	s_set_vgpr_msb 64                       ;  msbs: dst=1 src0=0 src1=0 src2=0
	v_add3_u32 v45 /*v301*/, v220, v107, v200
	s_set_vgpr_msb 0                        ;  msbs: dst=0 src0=0 src1=0 src2=0
	v_mul_i32_i24_e32 v107, v255, v211
	v_add3_u32 v255, v223, v106, v201
	v_mul_i32_i24_e32 v201, v254, v110
	v_add3_u32 v238, v238, v209, v208
	s_set_vgpr_msb 1                        ;  msbs: dst=0 src0=1 src1=0 src2=0
	v_mul_i32_i24_e32 v208, v113 /*v369*/, v211
	s_set_vgpr_msb 5                        ;  msbs: dst=0 src0=1 src1=1 src2=0
	v_mul_i32_i24_e32 v209, v127 /*v383*/, v0 /*v256*/
	s_set_vgpr_msb 0                        ;  msbs: dst=0 src0=0 src1=0 src2=0
	v_add3_u32 v241, v241, v212, v210
	s_set_vgpr_msb 5                        ;  msbs: dst=0 src0=1 src1=1 src2=0
	v_mul_i32_i24_e32 v210, v65 /*v321*/, v1 /*v257*/
	s_set_vgpr_msb 1                        ;  msbs: dst=0 src0=1 src1=0 src2=0
	v_mul_i32_i24_e32 v213, v107 /*v363*/, v110
	s_set_vgpr_msb 0                        ;  msbs: dst=0 src0=0 src1=0 src2=0
	v_add3_u32 v114, v114, v201, v107
	s_set_vgpr_msb 1                        ;  msbs: dst=0 src0=1 src1=0 src2=0
	v_cvt_f32_f16_e64 v107, v24 /*v280*/
	v_mul_i32_i24_e32 v212, v127 /*v383*/, v244
	s_set_vgpr_msb 64                       ;  msbs: dst=1 src0=0 src1=0 src2=0
	v_add3_u32 v50 /*v306*/, v253, v209, v210
	v_add3_u32 v24 /*v280*/, v109, v213, v208
	s_set_vgpr_msb 1                        ;  msbs: dst=0 src0=1 src1=0 src2=0
	v_mul_i32_i24_e32 v109, v65 /*v321*/, v243
	s_set_vgpr_msb 5                        ;  msbs: dst=0 src0=1 src1=1 src2=0
	v_mul_i32_i24_e32 v208, v127 /*v383*/, v124 /*v380*/
	v_mul_i32_i24_e32 v209, v65 /*v321*/, v40 /*v296*/
	s_set_vgpr_msb 1                        ;  msbs: dst=0 src0=1 src1=0 src2=0
	v_mul_i32_i24_e32 v240, v8 /*v264*/, v246
	s_set_vgpr_msb 4                        ;  msbs: dst=0 src0=0 src1=1 src2=0
	v_mul_i32_i24_e32 v217, v217, v41 /*v297*/
	s_set_vgpr_msb 1                        ;  msbs: dst=0 src0=1 src1=0 src2=0
	v_add3_u32 v253, v2 /*v258*/, v212, v109
	s_set_vgpr_msb 0                        ;  msbs: dst=0 src0=0 src1=0 src2=0
	v_mul_i32_i24_e32 v109, v127, v211
	v_add3_u32 v127, v108, v208, v209
	s_set_vgpr_msb 5                        ;  msbs: dst=0 src0=1 src1=1 src2=0
	v_mul_i32_i24_e32 v108, v112 /*v368*/, v0 /*v256*/
	s_set_vgpr_msb 4                        ;  msbs: dst=0 src0=0 src1=1 src2=0
	v_mul_i32_i24_e32 v208, v117, v1 /*v257*/
	s_set_vgpr_msb 1                        ;  msbs: dst=0 src0=1 src1=0 src2=0
	v_mul_i32_i24_e32 v209, v109 /*v365*/, v110
	s_set_vgpr_msb 4                        ;  msbs: dst=0 src0=0 src1=1 src2=0
	v_mul_i32_i24_e32 v216, v216, v87 /*v343*/
	s_set_vgpr_msb 0                        ;  msbs: dst=0 src0=0 src1=0 src2=0
	v_mul_i32_i24_e32 v233, v224, v244
	s_set_vgpr_msb 64                       ;  msbs: dst=1 src0=0 src1=0 src2=0
	v_mul_i32_i24_e32 v46 /*v302*/, v228, v243
	s_set_vgpr_msb 0x41                     ;  msbs: dst=1 src0=1 src1=0 src2=0
	v_add3_u32 v91 /*v347*/, v38 /*v294*/, v240, v239
	s_set_vgpr_msb 0                        ;  msbs: dst=0 src0=0 src1=0 src2=0
	v_add3_u32 v126, v126, v209, v109
	v_mul_i32_i24_e32 v109, v125, v211
	v_add3_u32 v125, v131, v108, v208
	s_set_vgpr_msb 5                        ;  msbs: dst=0 src0=1 src1=1 src2=0
	v_mul_i32_i24_e32 v108, v68 /*v324*/, v0 /*v256*/
	s_set_vgpr_msb 4                        ;  msbs: dst=0 src0=0 src1=1 src2=0
	v_mul_i32_i24_e32 v131, v115, v1 /*v257*/
	s_set_vgpr_msb 1                        ;  msbs: dst=0 src0=1 src1=0 src2=0
	v_mul_i32_i24_e32 v208, v110 /*v366*/, v110
	v_mul_i32_i24_e32 v209, v114 /*v370*/, v110
	s_set_vgpr_msb 0x41                     ;  msbs: dst=1 src0=1 src1=0 src2=0
	v_add3_u32 v26 /*v282*/, v26 /*v282*/, v216, v217
	s_set_vgpr_msb 1                        ;  msbs: dst=0 src0=1 src1=0 src2=0
	v_mul_i32_i24_e32 v217, v3 /*v259*/, v243
	s_set_vgpr_msb 0                        ;  msbs: dst=0 src0=0 src1=0 src2=0
	v_add3_u32 v129, v129, v108, v131
	v_add3_u32 v124, v124, v208, v109
	s_set_vgpr_msb 1                        ;  msbs: dst=0 src0=1 src1=0 src2=0
	v_mul_i32_i24_e32 v109, v119 /*v375*/, v211
	s_set_vgpr_msb 4                        ;  msbs: dst=0 src0=0 src1=1 src2=0
	v_mul_i32_i24_e32 v208, v140, v0 /*v256*/
	s_set_vgpr_msb 5                        ;  msbs: dst=0 src0=1 src1=1 src2=0
	v_mul_i32_i24_e32 v108, v102 /*v358*/, v1 /*v257*/
	s_set_vgpr_msb 0                        ;  msbs: dst=0 src0=0 src1=0 src2=0
	v_mul_i32_i24_e32 v131, v140, v244
	v_mul_i32_i24_e32 v240, v122, v243
	v_add3_u32 v113, v113, v209, v109
	s_set_vgpr_msb 1                        ;  msbs: dst=0 src0=1 src1=0 src2=0
	v_mul_i32_i24_e32 v109, v102 /*v358*/, v243
	s_set_vgpr_msb 4                        ;  msbs: dst=0 src0=0 src1=1 src2=0
	v_mul_i32_i24_e32 v209, v140, v124 /*v380*/
	s_set_vgpr_msb 0x41                     ;  msbs: dst=1 src0=1 src1=0 src2=0
	v_add3_u32 v53 /*v309*/, v4 /*v260*/, v208, v108
	s_set_vgpr_msb 5                        ;  msbs: dst=0 src0=1 src1=1 src2=0
	v_mul_i32_i24_e32 v108, v102 /*v358*/, v40 /*v296*/
	s_set_vgpr_msb 1                        ;  msbs: dst=0 src0=1 src1=0 src2=0
	v_mul_i32_i24_e32 v243, v44 /*v300*/, v225
	s_set_vgpr_msb 64                       ;  msbs: dst=1 src0=0 src1=0 src2=0
	v_mul_i32_i24_e32 v117 /*v373*/, v237, v230
	s_set_vgpr_msb 0                        ;  msbs: dst=0 src0=0 src1=0 src2=0
	v_mul_i32_i24_e32 v140, v140, v230
	s_set_vgpr_msb 1                        ;  msbs: dst=0 src0=1 src1=0 src2=0
	v_mul_i32_i24_e32 v230, v111 /*v367*/, v132
	v_cvt_f32_f16_e64 v104, v89 /*v345*/
	s_set_vgpr_msb 0x44                     ;  msbs: dst=1 src0=0 src1=1 src2=0
	v_mul_i32_i24_e32 v33 /*v289*/, v251, v42 /*v298*/
	s_set_vgpr_msb 64                       ;  msbs: dst=1 src0=0 src1=0 src2=0
	v_add3_u32 v2 /*v258*/, v111, v209, v108
	s_set_vgpr_msb 1                        ;  msbs: dst=0 src0=1 src1=0 src2=0
	v_mul_i32_i24_e32 v111, v136 /*v392*/, v211
	v_mul_i32_i24_e32 v110, v10 /*v266*/, v110
	;; [unrolled: 1-line block ×3, first 2 shown]
	s_set_vgpr_msb 64                       ;  msbs: dst=1 src0=0 src1=0 src2=0
	v_add3_u32 v89 /*v345*/, v221, v234, v233
	s_set_vgpr_msb 0                        ;  msbs: dst=0 src0=0 src1=0 src2=0
	v_mul_i32_i24_e32 v234, v232, v244
	s_set_vgpr_msb 1                        ;  msbs: dst=0 src0=1 src1=0 src2=0
	v_mul_i32_i24_e32 v244, v47 /*v303*/, v225
	s_set_vgpr_msb 64                       ;  msbs: dst=1 src0=0 src1=0 src2=0
	v_add3_u32 v196 /*v452*/, v126, v243, v230
	s_set_vgpr_msb 1                        ;  msbs: dst=0 src0=1 src1=0 src2=0
	v_mul_i32_i24_e32 v126, v35 /*v291*/, v132
	s_set_vgpr_msb 64                       ;  msbs: dst=1 src0=0 src1=0 src2=0
	v_mul_i32_i24_e32 v51 /*v307*/, v227, v252
	s_set_vgpr_msb 1                        ;  msbs: dst=0 src0=1 src1=0 src2=0
	v_mul_i32_i24_e32 v254, v43 /*v299*/, v236
	v_mul_i32_i24_e32 v252, v56 /*v312*/, v246
	v_add3_u32 v131, v6 /*v262*/, v131, v109
	v_cvt_f32_f16_e64 v109, v14 /*v270*/
	s_set_vgpr_msb 0x41                     ;  msbs: dst=1 src0=1 src1=0 src2=0
	v_add3_u32 v14 /*v270*/, v27 /*v283*/, v110, v111
	s_set_vgpr_msb 5                        ;  msbs: dst=0 src0=1 src1=1 src2=0
	v_mul_i32_i24_e32 v110, v126 /*v382*/, v0 /*v256*/
	v_mul_i32_i24_e32 v111, v3 /*v259*/, v1 /*v257*/
	s_set_vgpr_msb 0x55                     ;  msbs: dst=1 src0=1 src1=1 src2=1
	v_add3_u32 v27 /*v283*/, v30 /*v286*/, v39 /*v295*/, v97 /*v353*/
	s_set_vgpr_msb 0x54                     ;  msbs: dst=1 src0=0 src1=1 src2=1
	v_add3_u32 v97 /*v353*/, v226, v36 /*v292*/, v33 /*v289*/
	s_set_vgpr_msb 0                        ;  msbs: dst=0 src0=0 src1=0 src2=0
	v_mul_i32_i24_e32 v226, v242, v225
	s_set_vgpr_msb 1                        ;  msbs: dst=0 src0=1 src1=0 src2=0
	v_mul_i32_i24_e32 v242, v12 /*v268*/, v225
	s_set_vgpr_msb 0x41                     ;  msbs: dst=1 src0=1 src1=0 src2=0
	v_mul_i32_i24_e32 v12 /*v268*/, v71 /*v327*/, v225
	s_set_vgpr_msb 64                       ;  msbs: dst=1 src0=0 src1=0 src2=0
	v_add3_u32 v197 /*v453*/, v124, v244, v126
	s_set_vgpr_msb 1                        ;  msbs: dst=0 src0=1 src1=0 src2=0
	v_mul_i32_i24_e32 v124, v13 /*v269*/, v132
	v_mul_i32_i24_e32 v106, v9 /*v265*/, v135
	s_set_vgpr_msb 0                        ;  msbs: dst=0 src0=0 src1=0 src2=0
	v_mul_i32_i24_e32 v203, v245, v247
	s_set_vgpr_msb 1                        ;  msbs: dst=0 src0=1 src1=0 src2=0
	v_mul_i32_i24_e32 v245, v57 /*v313*/, v236
	s_set_vgpr_msb 0x41                     ;  msbs: dst=1 src0=1 src1=0 src2=0
	v_mul_i32_i24_e32 v9 /*v265*/, v67 /*v323*/, v246
	s_set_vgpr_msb 0x45                     ;  msbs: dst=1 src0=1 src1=1 src2=0
	v_mul_i32_i24_e32 v4 /*v260*/, v43 /*v299*/, v42 /*v298*/
	v_mul_i32_i24_e32 v6 /*v262*/, v56 /*v312*/, v94 /*v350*/
	s_set_vgpr_msb 5                        ;  msbs: dst=0 src0=1 src1=1 src2=0
	v_mul_i32_i24_e32 v218, v126 /*v382*/, v124 /*v380*/
	s_set_vgpr_msb 0x41                     ;  msbs: dst=1 src0=1 src1=0 src2=0
	v_add3_u32 v41 /*v297*/, v31 /*v287*/, v110, v111
	s_set_vgpr_msb 5                        ;  msbs: dst=0 src0=1 src1=1 src2=0
	v_mul_i32_i24_e32 v110, v3 /*v259*/, v40 /*v296*/
	s_set_vgpr_msb 0x41                     ;  msbs: dst=1 src0=1 src1=0 src2=0
	v_add3_u32 v106 /*v362*/, v11 /*v267*/, v252, v254
	v_mul_i32_i24_e32 v11 /*v267*/, v86 /*v342*/, v225
	s_set_vgpr_msb 0x44                     ;  msbs: dst=1 src0=0 src1=1 src2=0
	v_add3_u32 v198 /*v454*/, v113, v12 /*v268*/, v124
	s_set_vgpr_msb 1                        ;  msbs: dst=0 src0=1 src1=0 src2=0
	v_mul_i32_i24_e32 v113, v85 /*v341*/, v132
	s_set_vgpr_msb 0x44                     ;  msbs: dst=1 src0=0 src1=1 src2=0
	v_mul_i32_i24_e32 v52 /*v308*/, v143, v19 /*v275*/
	v_mul_i32_i24_e32 v23 /*v279*/, v224, v124 /*v380*/
	;; [unrolled: 1-line block ×3, first 2 shown]
	s_set_vgpr_msb 1                        ;  msbs: dst=0 src0=1 src1=0 src2=0
	v_cvt_f32_f16_e64 v108, v16 /*v272*/
	s_set_vgpr_msb 0x45                     ;  msbs: dst=1 src0=1 src1=1 src2=0
	v_mul_i32_i24_e32 v10 /*v266*/, v57 /*v313*/, v42 /*v298*/
	v_mul_i32_i24_e32 v16 /*v272*/, v67 /*v323*/, v94 /*v350*/
	;; [unrolled: 1-line block ×3, first 2 shown]
	s_set_vgpr_msb 0x41                     ;  msbs: dst=1 src0=1 src1=0 src2=0
	v_add3_u32 v87 /*v343*/, v37 /*v293*/, v218, v110
	s_set_vgpr_msb 64                       ;  msbs: dst=1 src0=0 src1=0 src2=0
	v_mul_i32_i24_e32 v104 /*v360*/, v119, v133
	s_set_vgpr_msb 5                        ;  msbs: dst=0 src0=1 src1=1 src2=0
	v_cvt_f32_f16_e64 v110, v20 /*v276*/
	v_mul_i32_i24_e32 v254, v63 /*v319*/, v42 /*v298*/
	s_set_vgpr_msb 0x45                     ;  msbs: dst=1 src0=1 src1=1 src2=0
	v_mul_i32_i24_e32 v20 /*v276*/, v129 /*v385*/, v94 /*v350*/
	s_set_vgpr_msb 0x44                     ;  msbs: dst=1 src0=0 src1=1 src2=0
	v_add3_u32 v107 /*v363*/, v231, v9 /*v265*/, v245
	s_set_vgpr_msb 0x55                     ;  msbs: dst=1 src0=1 src1=1 src2=1
	v_add3_u32 v109 /*v365*/, v45 /*v301*/, v6 /*v262*/, v4 /*v260*/
	s_set_vgpr_msb 0                        ;  msbs: dst=0 src0=0 src1=0 src2=0
	v_mul_i32_i24_e32 v231, v249, v132
	s_set_vgpr_msb 0x45                     ;  msbs: dst=1 src0=1 src1=1 src2=0
	v_add3_u32 v150 /*v406*/, v14 /*v270*/, v11 /*v267*/, v113
	s_set_vgpr_msb 0                        ;  msbs: dst=0 src0=0 src1=0 src2=0
	v_mul_i32_i24_e32 v113, v248, v132
	s_set_vgpr_msb 5                        ;  msbs: dst=0 src0=1 src1=1 src2=0
	v_mul_i32_i24_e32 v151, v48 /*v304*/, v21 /*v277*/
	s_set_vgpr_msb 4                        ;  msbs: dst=0 src0=0 src1=1 src2=0
	v_mul_i32_i24_e32 v153, v130, v90 /*v346*/
	s_set_vgpr_msb 1                        ;  msbs: dst=0 src0=1 src1=0 src2=0
	v_cvt_f32_f16_e64 v105, v82 /*v338*/
	s_set_vgpr_msb 0x44                     ;  msbs: dst=1 src0=0 src1=1 src2=0
	v_mul_i32_i24_e32 v59 /*v315*/, v227, v122 /*v378*/
	s_set_vgpr_msb 1                        ;  msbs: dst=0 src0=1 src1=0 src2=0
	v_mul_i32_i24_e32 v200, v48 /*v304*/, v133
	s_set_vgpr_msb 4                        ;  msbs: dst=0 src0=0 src1=1 src2=0
	v_mul_i32_i24_e32 v201, v130, v92 /*v348*/
	s_set_vgpr_msb 0                        ;  msbs: dst=0 src0=0 src1=0 src2=0
	v_add3_u32 v116, v116, v203, v106
	s_set_vgpr_msb 0x44                     ;  msbs: dst=1 src0=0 src1=1 src2=0
	v_mul_i32_i24_e32 v82 /*v338*/, v121, v21 /*v277*/
	s_set_vgpr_msb 20                       ;  msbs: dst=0 src0=0 src1=1 src2=1
	v_add3_u32 v139, v139, v29 /*v285*/, v23 /*v279*/
	s_set_vgpr_msb 1                        ;  msbs: dst=0 src0=1 src1=0 src2=0
	v_cvt_f32_f16_e64 v111, v17 /*v273*/
	s_set_vgpr_msb 4                        ;  msbs: dst=0 src0=0 src1=1 src2=0
	v_mul_i32_i24_e32 v233, v232, v0 /*v256*/
	v_mul_i32_i24_e32 v232, v232, v124 /*v380*/
	;; [unrolled: 1-line block ×4, first 2 shown]
	s_set_vgpr_msb 0x41                     ;  msbs: dst=1 src0=1 src1=0 src2=0
	v_mul_i32_i24_e32 v17 /*v273*/, v63 /*v319*/, v236
	s_set_vgpr_msb 1                        ;  msbs: dst=0 src0=1 src1=0 src2=0
	v_mul_i32_i24_e32 v252, v129 /*v385*/, v246
	s_set_vgpr_msb 0x44                     ;  msbs: dst=1 src0=0 src1=1 src2=0
	v_mul_i32_i24_e32 v0 /*v256*/, v224, v0 /*v256*/
	v_mul_i32_i24_e32 v23 /*v279*/, v251, v81 /*v337*/
	s_set_vgpr_msb 0x45                     ;  msbs: dst=1 src0=1 src1=1 src2=0
	v_mul_i32_i24_e32 v9 /*v265*/, v8 /*v264*/, v120 /*v376*/
	s_set_vgpr_msb 0x41                     ;  msbs: dst=1 src0=1 src1=0 src2=0
	v_mul_i32_i24_e32 v29 /*v285*/, v25 /*v281*/, v236
	v_mul_i32_i24_e32 v30 /*v286*/, v130 /*v386*/, v246
	s_set_vgpr_msb 0x55                     ;  msbs: dst=1 src0=1 src1=1 src2=1
	v_add3_u32 v114 /*v370*/, v22 /*v278*/, v16 /*v272*/, v10 /*v266*/
	s_set_vgpr_msb 0                        ;  msbs: dst=0 src0=0 src1=0 src2=0
	v_mul_i32_i24_e32 v224, v235, v132
	v_add3_u32 v225, v238, v234, v240
	s_set_vgpr_msb 0x41                     ;  msbs: dst=1 src0=1 src1=0 src2=0
	v_add3_u32 v188 /*v444*/, v24 /*v280*/, v242, v231
	s_set_vgpr_msb 0x45                     ;  msbs: dst=1 src0=1 src1=1 src2=0
	v_mul_i32_i24_e32 v47 /*v303*/, v103 /*v359*/, v120 /*v376*/
	s_set_vgpr_msb 0x41                     ;  msbs: dst=1 src0=1 src1=0 src2=0
	v_mul_i32_i24_e32 v68 /*v324*/, v103 /*v359*/, v246
	s_set_vgpr_msb 64                       ;  msbs: dst=1 src0=0 src1=0 src2=0
	v_mul_i32_i24_e32 v112 /*v368*/, v250, v229
	s_set_vgpr_msb 0                        ;  msbs: dst=0 src0=0 src1=0 src2=0
	v_mul_i32_i24_e32 v227, v227, v247
	s_set_vgpr_msb 5                        ;  msbs: dst=0 src0=1 src1=1 src2=0
	v_mul_i32_i24_e32 v117, v103 /*v359*/, v94 /*v350*/
	s_set_vgpr_msb 4                        ;  msbs: dst=0 src0=0 src1=1 src2=0
	v_mul_i32_i24_e32 v229, v228, v1 /*v257*/
	s_set_vgpr_msb 5                        ;  msbs: dst=0 src0=1 src1=1 src2=0
	v_mul_i32_i24_e32 v231, v49 /*v305*/, v142 /*v398*/
	s_set_vgpr_msb 1                        ;  msbs: dst=0 src0=1 src1=0 src2=0
	v_mul_i32_i24_e32 v234, v28 /*v284*/, v236
	s_set_vgpr_msb 5                        ;  msbs: dst=0 src0=1 src1=1 src2=0
	v_mul_i32_i24_e32 v238, v28 /*v284*/, v42 /*v298*/
	v_add3_u32 v247, v2 /*v258*/, v20 /*v276*/, v254
	v_mul_i32_i24_e32 v243, v28 /*v284*/, v81 /*v337*/
	v_mul_i32_i24_e32 v249, v158 /*v414*/, v142 /*v398*/
	s_set_vgpr_msb 0x44                     ;  msbs: dst=1 src0=0 src1=1 src2=0
	v_mul_i32_i24_e32 v1 /*v257*/, v121, v142 /*v398*/
	v_mul_i32_i24_e32 v2 /*v258*/, v119, v142 /*v398*/
	s_set_vgpr_msb 0x51                     ;  msbs: dst=1 src0=1 src1=0 src2=1
	v_add3_u32 v28 /*v284*/, v27 /*v283*/, v113, v60 /*v316*/
	s_set_vgpr_msb 0x45                     ;  msbs: dst=1 src0=1 src1=1 src2=0
	v_mul_i32_i24_e32 v4 /*v260*/, v156 /*v412*/, v142 /*v398*/
	v_mul_i32_i24_e32 v12 /*v268*/, v160 /*v416*/, v142 /*v398*/
	v_mul_i32_i24_e32 v11 /*v267*/, v103 /*v359*/, v5 /*v261*/
	v_mul_i32_i24_e32 v22 /*v278*/, v32 /*v288*/, v21 /*v277*/
	s_set_vgpr_msb 0x41                     ;  msbs: dst=1 src0=1 src1=0 src2=0
	v_mul_i32_i24_e32 v27 /*v283*/, v32 /*v288*/, v133
	s_set_vgpr_msb 0x55                     ;  msbs: dst=1 src0=1 src1=1 src2=1
	v_mul_i32_i24_e32 v32 /*v288*/, v32 /*v288*/, v142 /*v398*/
	v_add3_u32 v123 /*v379*/, v89 /*v345*/, v46 /*v302*/, v51 /*v307*/
	v_add3_u32 v126 /*v382*/, v91 /*v347*/, v52 /*v308*/, v55 /*v311*/
	v_mul_i32_i24_e32 v48 /*v304*/, v48 /*v304*/, v142 /*v398*/
	s_set_vgpr_msb 0x41                     ;  msbs: dst=1 src0=1 src1=0 src2=0
	v_mul_i32_i24_e32 v55 /*v311*/, v95 /*v351*/, v130
	s_set_vgpr_msb 0x55                     ;  msbs: dst=1 src0=1 src1=1 src2=1
	v_add3_u32 v131 /*v387*/, v97 /*v353*/, v72 /*v328*/, v77 /*v333*/
	v_mul_i32_i24_e32 v85 /*v341*/, v95 /*v351*/, v167 /*v423*/
	v_mul_i32_i24_e32 v89 /*v345*/, v95 /*v351*/, v140 /*v396*/
	;; [unrolled: 1-line block ×4, first 2 shown]
	v_add3_u32 v142 /*v398*/, v109 /*v365*/, v101 /*v357*/, v104 /*v360*/
	v_mul_i32_i24_e32 v109 /*v365*/, v171 /*v427*/, v95 /*v351*/
	v_mul_i32_i24_e32 v127 /*v383*/, v95 /*v351*/, v96 /*v352*/
	s_set_vgpr_msb 0x44                     ;  msbs: dst=1 src0=0 src1=1 src2=0
	v_mul_i32_i24_e32 v95 /*v351*/, v130, v93 /*v349*/
	s_set_vgpr_msb 4                        ;  msbs: dst=0 src0=0 src1=1 src2=0
	v_dual_lshrrev_b32 v130, 16, v146 /*v402*/ :: v_dual_lshrrev_b32 v132, 16, v145 /*v401*/
	s_set_vgpr_msb 1                        ;  msbs: dst=0 src0=1 src1=0 src2=0
	v_mul_i32_i24_e32 v198, v15 /*v271*/, v236
	s_set_vgpr_msb 5                        ;  msbs: dst=0 src0=1 src1=1 src2=0
	v_mul_i32_i24_e32 v207, v18 /*v274*/, v125 /*v381*/
	v_mul_i32_i24_e32 v202, v54 /*v310*/, v94 /*v350*/
	s_set_vgpr_msb 0x45                     ;  msbs: dst=1 src0=1 src1=1 src2=0
	v_mul_i32_i24_e32 v83 /*v339*/, v116 /*v372*/, v19 /*v275*/
	s_set_vgpr_msb 0x44                     ;  msbs: dst=1 src0=0 src1=1 src2=0
	v_mul_i32_i24_e32 v84 /*v340*/, v119, v21 /*v277*/
	s_set_vgpr_msb 0x45                     ;  msbs: dst=1 src0=1 src1=1 src2=0
	v_mul_i32_i24_e32 v98 /*v354*/, v105 /*v361*/, v125 /*v381*/
	s_set_vgpr_msb 0x41                     ;  msbs: dst=1 src0=1 src1=0 src2=0
	v_add3_u32 v58 /*v314*/, v34 /*v290*/, v216, v217
	s_set_vgpr_msb 64                       ;  msbs: dst=1 src0=0 src1=0 src2=0
	v_mul_i32_i24_e32 v99 /*v355*/, v121, v133
	s_set_vgpr_msb 0                        ;  msbs: dst=0 src0=0 src1=0 src2=0
	v_mul_i32_i24_e32 v135, v248, v135
	s_set_vgpr_msb 0x45                     ;  msbs: dst=1 src0=1 src1=1 src2=0
	v_mul_i32_i24_e32 v31 /*v287*/, v25 /*v281*/, v42 /*v298*/
	v_mul_i32_i24_e32 v16 /*v272*/, v130 /*v386*/, v94 /*v350*/
	;; [unrolled: 1-line block ×3, first 2 shown]
	s_set_vgpr_msb 0                        ;  msbs: dst=0 src0=0 src1=0 src2=0
	v_add3_u32 v114, v114, v226, v224
	s_set_vgpr_msb 0x45                     ;  msbs: dst=1 src0=1 src1=1 src2=0
	v_mul_i32_i24_e32 v36 /*v292*/, v130 /*v386*/, v120 /*v376*/
	v_mul_i32_i24_e32 v37 /*v293*/, v43 /*v299*/, v81 /*v337*/
	s_set_vgpr_msb 0                        ;  msbs: dst=0 src0=0 src1=0 src2=0
	v_add3_u32 v224, v116, v233, v239
	s_set_vgpr_msb 5                        ;  msbs: dst=0 src0=1 src1=1 src2=0
	v_mul_i32_i24_e32 v116, v56 /*v312*/, v120 /*v376*/
	s_set_vgpr_msb 0x45                     ;  msbs: dst=1 src0=1 src1=1 src2=0
	v_mul_i32_i24_e32 v38 /*v294*/, v57 /*v313*/, v81 /*v337*/
	v_mul_i32_i24_e32 v39 /*v295*/, v67 /*v323*/, v120 /*v376*/
	;; [unrolled: 1-line block ×3, first 2 shown]
	s_set_vgpr_msb 0                        ;  msbs: dst=0 src0=0 src1=0 src2=0
	v_add3_u32 v226, v241, v232, v122
	s_set_vgpr_msb 5                        ;  msbs: dst=0 src0=1 src1=1 src2=0
	v_mul_i32_i24_e32 v122, v129 /*v385*/, v120 /*v376*/
	s_set_vgpr_msb 0x45                     ;  msbs: dst=1 src0=1 src1=1 src2=0
	v_mul_i32_i24_e32 v45 /*v301*/, v133 /*v389*/, v81 /*v337*/
	s_set_vgpr_msb 0x41                     ;  msbs: dst=1 src0=1 src1=0 src2=0
	v_mul_i32_i24_e32 v71 /*v327*/, v133 /*v389*/, v236
	s_set_vgpr_msb 5                        ;  msbs: dst=0 src0=1 src1=1 src2=0
	v_mul_i32_i24_e32 v115, v133 /*v389*/, v42 /*v298*/
	v_mul_i32_i24_e32 v232, v143 /*v399*/, v125 /*v381*/
	s_set_vgpr_msb 16                       ;  msbs: dst=0 src0=0 src1=0 src2=1
	v_add3_u32 v242, v131, v252, v17 /*v273*/
	s_set_vgpr_msb 5                        ;  msbs: dst=0 src0=1 src1=1 src2=0
	v_mul_i32_i24_e32 v241, v157 /*v413*/, v125 /*v381*/
	s_set_vgpr_msb 0x54                     ;  msbs: dst=1 src0=0 src1=1 src2=1
	v_add3_u32 v33 /*v289*/, v255, v9 /*v265*/, v23 /*v279*/
	v_add3_u32 v30 /*v286*/, v253, v30 /*v286*/, v29 /*v285*/
	s_set_vgpr_msb 4                        ;  msbs: dst=0 src0=0 src1=1 src2=0
	v_mul_i32_i24_e32 v251, v251, v7 /*v263*/
	s_set_vgpr_msb 5                        ;  msbs: dst=0 src0=1 src1=1 src2=0
	v_mul_i32_i24_e32 v252, v25 /*v281*/, v7 /*v263*/
	v_mul_i32_i24_e32 v253, v57 /*v313*/, v7 /*v263*/
	;; [unrolled: 1-line block ×5, first 2 shown]
	s_set_vgpr_msb 0x45                     ;  msbs: dst=1 src0=1 src1=1 src2=0
	v_mul_i32_i24_e32 v29 /*v285*/, v159 /*v415*/, v125 /*v381*/
	v_mul_i32_i24_e32 v7 /*v263*/, v8 /*v264*/, v5 /*v261*/
	;; [unrolled: 1-line block ×4, first 2 shown]
	s_set_vgpr_msb 0x54                     ;  msbs: dst=1 src0=0 src1=1 src2=1
	v_add3_u32 v125 /*v381*/, v139, v66 /*v322*/, v59 /*v315*/
	s_set_vgpr_msb 64                       ;  msbs: dst=1 src0=0 src1=0 src2=0
	v_mul_i32_i24_e32 v59 /*v315*/, v134, v128
	s_set_vgpr_msb 0x44                     ;  msbs: dst=1 src0=0 src1=1 src2=0
	v_mul_i32_i24_e32 v91 /*v347*/, v134, v168 /*v424*/
	s_set_vgpr_msb 0x55                     ;  msbs: dst=1 src0=1 src1=1 src2=1
	v_add3_u32 v136 /*v392*/, v107 /*v363*/, v78 /*v334*/, v82 /*v338*/
	s_set_vgpr_msb 0x44                     ;  msbs: dst=1 src0=0 src1=1 src2=0
	v_mul_i32_i24_e32 v102 /*v358*/, v134, v154 /*v410*/
	s_set_vgpr_msb 0x41                     ;  msbs: dst=1 src0=1 src1=0 src2=0
	v_mul_i32_i24_e32 v107 /*v363*/, v170 /*v426*/, v134
	v_mul_i32_i24_e32 v111 /*v367*/, v172 /*v428*/, v134
	s_set_vgpr_msb 0x44                     ;  msbs: dst=1 src0=0 src1=1 src2=0
	v_mul_i32_i24_e32 v130 /*v386*/, v134, v155 /*v411*/
	s_set_vgpr_msb 0                        ;  msbs: dst=0 src0=0 src1=0 src2=0
	v_cvt_f32_f16_e64 v131, v130
	v_cvt_f32_f16_e64 v130, v132
	;; [unrolled: 1-line block ×3, first 2 shown]
	v_lshrrev_b32_e32 v136, 16, v136
	v_mul_i32_i24_e32 v236, v123, v246
	s_set_vgpr_msb 4                        ;  msbs: dst=0 src0=0 src1=1 src2=0
	v_mul_i32_i24_e32 v240, v123, v94 /*v350*/
	s_set_vgpr_msb 0x44                     ;  msbs: dst=1 src0=0 src1=1 src2=0
	v_mul_i32_i24_e32 v94 /*v350*/, v134, v144 /*v400*/
	s_set_vgpr_msb 0                        ;  msbs: dst=0 src0=0 src1=0 src2=0
	v_lshrrev_b32_e32 v134, 16, v137
	s_set_vgpr_msb 4                        ;  msbs: dst=0 src0=0 src1=1 src2=0
	v_mul_i32_i24_e32 v155, v141, v61 /*v317*/
	v_mul_i32_i24_e32 v197, v112, v64 /*v320*/
	s_set_vgpr_msb 5                        ;  msbs: dst=0 src0=1 src1=1 src2=0
	v_mul_i32_i24_e32 v199, v18 /*v274*/, v19 /*v275*/
	s_set_vgpr_msb 1                        ;  msbs: dst=0 src0=1 src1=0 src2=0
	v_mul_i32_i24_e32 v152, v54 /*v310*/, v246
	s_set_vgpr_msb 0                        ;  msbs: dst=0 src0=0 src1=0 src2=0
	v_mul_i32_i24_e32 v154, v128, v142
	s_set_vgpr_msb 4                        ;  msbs: dst=0 src0=0 src1=1 src2=0
	v_mul_i32_i24_e32 v204, v141, v69 /*v325*/
	v_mul_i32_i24_e32 v205, v112, v70 /*v326*/
	s_set_vgpr_msb 5                        ;  msbs: dst=0 src0=1 src1=1 src2=0
	v_mul_i32_i24_e32 v206, v15 /*v271*/, v42 /*v298*/
	s_set_vgpr_msb 0                        ;  msbs: dst=0 src0=0 src1=0 src2=0
	v_mul_i32_i24_e32 v203, v128, v138
	s_set_vgpr_msb 5                        ;  msbs: dst=0 src0=1 src1=1 src2=0
	v_mul_i32_i24_e32 v212, v61 /*v317*/, v128 /*v384*/
	v_mul_i32_i24_e32 v213, v64 /*v320*/, v134 /*v390*/
	v_mul_i32_i24_e32 v214, v61 /*v317*/, v135 /*v391*/
	v_mul_i32_i24_e32 v215, v64 /*v320*/, v137 /*v393*/
	v_mul_i32_i24_e32 v208, v90 /*v346*/, v140 /*v396*/
	s_set_vgpr_msb 4                        ;  msbs: dst=0 src0=0 src1=1 src2=0
	v_mul_i32_i24_e32 v209, v142, v144 /*v400*/
	s_set_vgpr_msb 5                        ;  msbs: dst=0 src0=1 src1=1 src2=0
	v_mul_i32_i24_e32 v210, v90 /*v346*/, v141 /*v397*/
	v_mul_i32_i24_e32 v220, v69 /*v325*/, v128 /*v384*/
	;; [unrolled: 1-line block ×6, first 2 shown]
	s_set_vgpr_msb 4                        ;  msbs: dst=0 src0=0 src1=1 src2=0
	v_mul_i32_i24_e32 v218, v138, v144 /*v400*/
	s_set_vgpr_msb 5                        ;  msbs: dst=0 src0=1 src1=1 src2=0
	v_mul_i32_i24_e32 v217, v92 /*v348*/, v141 /*v397*/
	s_set_vgpr_msb 4                        ;  msbs: dst=0 src0=0 src1=1 src2=0
	v_mul_i32_i24_e32 v219, v138, v154 /*v410*/
	v_mul_i32_i24_e32 v228, v143, v139 /*v395*/
	s_set_vgpr_msb 5                        ;  msbs: dst=0 src0=1 src1=1 src2=0
	v_mul_i32_i24_e32 v230, v143 /*v399*/, v19 /*v275*/
	v_mul_i32_i24_e32 v233, v156 /*v412*/, v21 /*v277*/
	s_set_vgpr_msb 1                        ;  msbs: dst=0 src0=1 src1=0 src2=0
	v_mul_i32_i24_e32 v235, v156 /*v412*/, v133
	s_set_vgpr_msb 5                        ;  msbs: dst=0 src0=1 src1=1 src2=0
	v_mul_i32_i24_e32 v237, v157 /*v413*/, v19 /*v275*/
	v_mul_i32_i24_e32 v239, v158 /*v414*/, v21 /*v277*/
	s_set_vgpr_msb 1                        ;  msbs: dst=0 src0=1 src1=0 src2=0
	v_mul_i32_i24_e32 v244, v158 /*v414*/, v133
	s_set_vgpr_msb 4                        ;  msbs: dst=0 src0=0 src1=1 src2=0
	v_mul_i32_i24_e32 v245, v123, v120 /*v376*/
	s_set_vgpr_msb 5                        ;  msbs: dst=0 src0=1 src1=1 src2=0
	v_mul_i32_i24_e32 v246, v157 /*v413*/, v139 /*v395*/
	v_mul_i32_i24_e32 v250, v105 /*v361*/, v139 /*v395*/
	s_set_vgpr_msb 0x51                     ;  msbs: dst=1 src0=1 src1=0 src2=1
	v_add3_u32 v20 /*v276*/, v26 /*v282*/, v135, v0 /*v256*/
	s_set_vgpr_msb 0x45                     ;  msbs: dst=1 src0=1 src1=1 src2=0
	v_mul_i32_i24_e32 v0 /*v256*/, v116 /*v372*/, v139 /*v395*/
	v_mul_i32_i24_e32 v3 /*v259*/, v143 /*v399*/, v139 /*v395*/
	;; [unrolled: 1-line block ×8, first 2 shown]
	s_set_vgpr_msb 0x54                     ;  msbs: dst=1 src0=0 src1=1 src2=1
	v_add3_u32 v62 /*v318*/, v127, v16 /*v272*/, v31 /*v287*/
	s_set_vgpr_msb 64                       ;  msbs: dst=1 src0=0 src1=0 src2=0
	v_mul_i32_i24_e32 v13 /*v269*/, v141, v120
	s_set_vgpr_msb 0x55                     ;  msbs: dst=1 src0=1 src1=1 src2=1
	v_mul_i32_i24_e32 v15 /*v271*/, v15 /*v271*/, v81 /*v337*/
	v_mul_i32_i24_e32 v18 /*v274*/, v18 /*v274*/, v139 /*v395*/
	;; [unrolled: 1-line block ×4, first 2 shown]
	v_add3_u32 v79 /*v335*/, v50 /*v306*/, v36 /*v292*/, v34 /*v290*/
	v_mul_i32_i24_e32 v23 /*v279*/, v64 /*v320*/, v162 /*v418*/
	v_mul_i32_i24_e32 v26 /*v282*/, v69 /*v325*/, v161 /*v417*/
	;; [unrolled: 1-line block ×4, first 2 shown]
	s_set_vgpr_msb 0x50                     ;  msbs: dst=1 src0=0 src1=0 src2=1
	v_add3_u32 v100 /*v356*/, v129, v116, v37 /*v293*/
	s_set_vgpr_msb 0x54                     ;  msbs: dst=1 src0=0 src1=1 src2=1
	v_add3_u32 v108 /*v364*/, v125, v39 /*v295*/, v38 /*v294*/
	v_mul_i32_i24_e32 v36 /*v292*/, v120, v128 /*v384*/
	v_mul_i32_i24_e32 v37 /*v293*/, v118, v134 /*v390*/
	s_set_vgpr_msb 0x51                     ;  msbs: dst=1 src0=1 src1=0 src2=1
	v_add3_u32 v110 /*v366*/, v53 /*v309*/, v122, v44 /*v300*/
	s_set_vgpr_msb 0x44                     ;  msbs: dst=1 src0=0 src1=1 src2=0
	v_mul_i32_i24_e32 v38 /*v294*/, v120, v135 /*v391*/
	s_set_vgpr_msb 0x55                     ;  msbs: dst=1 src0=1 src1=1 src2=1
	v_add3_u32 v113 /*v369*/, v41 /*v297*/, v47 /*v303*/, v45 /*v301*/
	v_add3_u32 v115 /*v371*/, v58 /*v314*/, v68 /*v324*/, v71 /*v327*/
	s_set_vgpr_msb 0x41                     ;  msbs: dst=1 src0=1 src1=0 src2=0
	v_add3_u32 v122 /*v378*/, v87 /*v343*/, v117, v115
	s_set_vgpr_msb 0x45                     ;  msbs: dst=1 src0=1 src1=1 src2=0
	v_mul_i32_i24_e32 v50 /*v306*/, v163 /*v419*/, v61 /*v317*/
	v_mul_i32_i24_e32 v53 /*v309*/, v164 /*v420*/, v64 /*v320*/
	;; [unrolled: 1-line block ×19, first 2 shown]
	s_set_vgpr_msb 0x44                     ;  msbs: dst=1 src0=0 src1=1 src2=0
	v_mul_i32_i24_e32 v70 /*v326*/, v120, v76 /*v332*/
	s_set_vgpr_msb 0x45                     ;  msbs: dst=1 src0=1 src1=1 src2=0
	v_mul_i32_i24_e32 v76 /*v332*/, v92 /*v348*/, v167 /*v423*/
	s_set_vgpr_msb 0x44                     ;  msbs: dst=1 src0=0 src1=1 src2=0
	v_mul_i32_i24_e32 v77 /*v333*/, v118, v74 /*v330*/
	v_mul_i32_i24_e32 v81 /*v337*/, v138, v168 /*v424*/
	s_set_vgpr_msb 0x45                     ;  msbs: dst=1 src0=1 src1=1 src2=0
	v_mul_i32_i24_e32 v74 /*v330*/, v105 /*v361*/, v75 /*v331*/
	s_set_vgpr_msb 0x44                     ;  msbs: dst=1 src0=0 src1=1 src2=0
	v_mul_i32_i24_e32 v86 /*v342*/, v121, v73 /*v329*/
	v_mul_i32_i24_e32 v87 /*v343*/, v119, v73 /*v329*/
	s_set_vgpr_msb 0x55                     ;  msbs: dst=1 src0=1 src1=1 src2=1
	v_add3_u32 v138 /*v394*/, v106 /*v362*/, v83 /*v339*/, v84 /*v340*/
	v_add3_u32 v139 /*v395*/, v114 /*v370*/, v98 /*v354*/, v99 /*v355*/
	s_set_vgpr_msb 0x54                     ;  msbs: dst=1 src0=0 src1=1 src2=1
	v_add3_u32 v143 /*v399*/, v114, v117 /*v373*/, v112 /*v368*/
	s_set_vgpr_msb 0x45                     ;  msbs: dst=1 src0=1 src1=1 src2=0
	v_mul_i32_i24_e32 v112 /*v368*/, v169 /*v425*/, v90 /*v346*/
	s_set_vgpr_msb 0x44                     ;  msbs: dst=1 src0=0 src1=1 src2=0
	v_mul_i32_i24_e32 v82 /*v338*/, v141, v80 /*v336*/
	s_set_vgpr_msb 0x45                     ;  msbs: dst=1 src0=1 src1=1 src2=0
	v_mul_i32_i24_e32 v83 /*v339*/, v165 /*v421*/, v80 /*v336*/
	v_mul_i32_i24_e32 v84 /*v340*/, v80 /*v336*/, v163 /*v419*/
	;; [unrolled: 1-line block ×6, first 2 shown]
	s_set_vgpr_msb 0x44                     ;  msbs: dst=1 src0=0 src1=1 src2=0
	v_mul_i32_i24_e32 v104 /*v360*/, v112, v88 /*v344*/
	s_set_vgpr_msb 0x45                     ;  msbs: dst=1 src0=1 src1=1 src2=0
	v_mul_i32_i24_e32 v105 /*v361*/, v166 /*v422*/, v88 /*v344*/
	v_mul_i32_i24_e32 v106 /*v362*/, v164 /*v420*/, v88 /*v344*/
	;; [unrolled: 1-line block ×14, first 2 shown]
	s_set_vgpr_msb 0x44                     ;  msbs: dst=1 src0=0 src1=1 src2=0
	v_mul_i32_i24_e32 v133 /*v389*/, v138, v155 /*v411*/
	s_set_vgpr_msb 0x41                     ;  msbs: dst=1 src0=1 src1=0 src2=0
	v_mul_i32_i24_e32 v140 /*v396*/, v170 /*v426*/, v138
	v_mul_i32_i24_e32 v141 /*v397*/, v172 /*v428*/, v138
	s_set_vgpr_msb 0x44                     ;  msbs: dst=1 src0=0 src1=1 src2=0
	v_mul_i32_i24_e32 v117 /*v373*/, v128, v121 /*v377*/
	s_set_vgpr_msb 0x55                     ;  msbs: dst=1 src0=1 src1=1 src2=1
	v_mul_i32_i24_e32 v120 /*v376*/, v144 /*v400*/, v121 /*v377*/
	v_add3_u32 v144 /*v400*/, v188 /*v444*/, v189 /*v445*/, v192 /*v448*/
	s_set_vgpr_msb 1                        ;  msbs: dst=0 src0=1 src1=0 src2=0
	v_cvt_f32_f16_e64 v129, v146 /*v402*/
	v_cvt_f32_f16_e64 v128, v145 /*v401*/
	s_set_vgpr_msb 0x55                     ;  msbs: dst=1 src0=1 src1=1 src2=1
	v_add3_u32 v145 /*v401*/, v196 /*v452*/, v190 /*v446*/, v193 /*v449*/
	s_set_vgpr_msb 0                        ;  msbs: dst=0 src0=0 src1=0 src2=0
	v_cvt_f32_f16_e64 v135, v134
	v_cvt_f32_f16_e64 v134, v136
	s_set_vgpr_msb 0x55                     ;  msbs: dst=1 src0=1 src1=1 src2=1
	v_add3_u32 v146 /*v402*/, v197 /*v453*/, v191 /*v447*/, v194 /*v450*/
	s_set_vgpr_msb 1                        ;  msbs: dst=0 src0=1 src1=0 src2=0
	v_cvt_f32_f16_e64 v136, v147 /*v403*/
	s_set_vgpr_msb 4                        ;  msbs: dst=0 src0=0 src1=1 src2=0
	v_dual_lshrrev_b32 v138, 16, v153 /*v409*/ :: v_dual_lshrrev_b32 v141, 16, v147 /*v403*/
	s_set_vgpr_msb 0x51                     ;  msbs: dst=1 src0=1 src1=0 src2=1
	v_add3_u32 v147 /*v403*/, v198 /*v454*/, v140, v195 /*v451*/
	s_set_vgpr_msb 0x55                     ;  msbs: dst=1 src0=1 src1=1 src2=1
	v_add3_u32 v148 /*v404*/, v150 /*v406*/, v148 /*v404*/, v149 /*v405*/
	s_set_vgpr_msb 1                        ;  msbs: dst=0 src0=1 src1=0 src2=0
	v_add3_u32 v147, v28 /*v284*/, v147, v148
	s_set_vgpr_msb 0                        ;  msbs: dst=0 src0=0 src1=0 src2=0
	v_add3_u32 v225, v225, v236, v234
	v_add3_u32 v226, v226, v240, v238
	s_set_vgpr_msb 4                        ;  msbs: dst=0 src0=0 src1=1 src2=0
	v_mul_i32_i24_e32 v211, v142, v154 /*v410*/
	s_set_vgpr_msb 0x41                     ;  msbs: dst=1 src0=1 src1=0 src2=0
	v_mul_i32_i24_e32 v40 /*v296*/, v160 /*v416*/, v133
	s_set_vgpr_msb 64                       ;  msbs: dst=1 src0=0 src1=0 src2=0
	v_mul_i32_i24_e32 v16 /*v272*/, v112, v118
	s_set_vgpr_msb 0x44                     ;  msbs: dst=1 src0=0 src1=1 src2=0
	v_mul_i32_i24_e32 v34 /*v290*/, v120, v161 /*v417*/
	v_mul_i32_i24_e32 v35 /*v291*/, v118, v162 /*v418*/
	;; [unrolled: 1-line block ×3, first 2 shown]
	s_set_vgpr_msb 0x45                     ;  msbs: dst=1 src0=1 src1=1 src2=0
	v_mul_i32_i24_e32 v44 /*v300*/, v159 /*v415*/, v75 /*v331*/
	s_set_vgpr_msb 0x44                     ;  msbs: dst=1 src0=0 src1=1 src2=0
	v_mul_i32_i24_e32 v46 /*v302*/, v143, v75 /*v331*/
	s_set_vgpr_msb 0x45                     ;  msbs: dst=1 src0=1 src1=1 src2=0
	v_mul_i32_i24_e32 v57 /*v313*/, v157 /*v413*/, v75 /*v331*/
	v_mul_i32_i24_e32 v75 /*v331*/, v116 /*v372*/, v75 /*v331*/
	s_set_vgpr_msb 1                        ;  msbs: dst=0 src0=1 src1=0 src2=0
	v_add3_u32 v227, v20 /*v276*/, v229, v227
	v_add3_u32 v148, v33 /*v289*/, v228, v231
	s_set_vgpr_msb 0                        ;  msbs: dst=0 src0=0 src1=0 src2=0
	v_add3_u32 v228, v242, v230, v233
	v_add3_u32 v229, v247, v232, v235
	s_set_vgpr_msb 1                        ;  msbs: dst=0 src0=1 src1=0 src2=0
	v_add3_u32 v230, v30 /*v286*/, v237, v239
	v_add3_u32 v231, v62 /*v318*/, v241, v244
	s_set_vgpr_msb 0                        ;  msbs: dst=0 src0=0 src1=0 src2=0
	v_add3_u32 v224, v224, v245, v243
	s_set_vgpr_msb 1                        ;  msbs: dst=0 src0=1 src1=0 src2=0
	v_add3_u32 v232, v79 /*v335*/, v246, v249
	s_set_vgpr_msb 17                       ;  msbs: dst=0 src0=1 src1=0 src2=1
	v_add3_u32 v233, v108 /*v364*/, v250, v1 /*v257*/
	s_set_vgpr_msb 1                        ;  msbs: dst=0 src0=1 src1=0 src2=0
	v_add3_u32 v155, v126 /*v382*/, v155, v197
	v_add3_u32 v197, v123 /*v379*/, v198, v199
	;; [unrolled: 1-line block ×8, first 2 shown]
	s_set_vgpr_msb 5                        ;  msbs: dst=0 src0=1 src1=1 src2=0
	v_add3_u32 v212, v143 /*v399*/, v7 /*v263*/, v251
	v_add3_u32 v213, v144 /*v400*/, v8 /*v264*/, v252
	;; [unrolled: 1-line block ×5, first 2 shown]
	s_set_vgpr_msb 0                        ;  msbs: dst=0 src0=0 src1=0 src2=0
	v_add3_u32 v145, v147, v145, v146
	s_set_vgpr_msb 5                        ;  msbs: dst=0 src0=1 src1=1 src2=0
	v_add3_u32 v146, v147 /*v403*/, v5 /*v261*/, v248
	s_set_vgpr_msb 20                       ;  msbs: dst=0 src0=0 src1=1 src2=1
	v_add3_u32 v221, v225, v19 /*v275*/, v22 /*v278*/
	v_add3_u32 v223, v226, v24 /*v280*/, v27 /*v283*/
	s_set_vgpr_msb 0x44                     ;  msbs: dst=1 src0=0 src1=1 src2=0
	v_mul_i32_i24_e32 v41 /*v297*/, v120, v163 /*v419*/
	s_set_vgpr_msb 0x41                     ;  msbs: dst=1 src0=1 src1=0 src2=0
	v_mul_i32_i24_e32 v42 /*v298*/, v164 /*v420*/, v118
	v_mul_i32_i24_e32 v43 /*v299*/, v165 /*v421*/, v120
	;; [unrolled: 1-line block ×3, first 2 shown]
	s_set_vgpr_msb 0x44                     ;  msbs: dst=1 src0=0 src1=1 src2=0
	v_mul_i32_i24_e32 v68 /*v324*/, v142, v168 /*v424*/
	s_set_vgpr_msb 1                        ;  msbs: dst=0 src0=1 src1=0 src2=0
	v_cvt_f32_f16_e64 v114, v132 /*v388*/
	s_set_vgpr_msb 0x44                     ;  msbs: dst=1 src0=0 src1=1 src2=0
	v_mul_i32_i24_e32 v132 /*v388*/, v142, v155 /*v411*/
	s_set_vgpr_msb 21                       ;  msbs: dst=0 src0=1 src1=1 src2=1
	v_add3_u32 v234, v100 /*v356*/, v0 /*v256*/, v2 /*v258*/
	v_add3_u32 v235, v110 /*v366*/, v3 /*v259*/, v4 /*v260*/
	;; [unrolled: 1-line block ×5, first 2 shown]
	s_set_vgpr_msb 20                       ;  msbs: dst=0 src0=0 src1=1 src2=1
	v_add3_u32 v147, v148, v13 /*v269*/, v16 /*v272*/
	v_add3_u32 v148, v227, v15 /*v271*/, v18 /*v274*/
	;; [unrolled: 1-line block ×7, first 2 shown]
	s_set_vgpr_msb 0                        ;  msbs: dst=0 src0=0 src1=0 src2=0
	v_add3_u32 v151, v197, v151, v152
	v_add3_u32 v152, v155, v153, v154
	;; [unrolled: 1-line block ×8, first 2 shown]
	s_set_vgpr_msb 20                       ;  msbs: dst=0 src0=0 src1=1 src2=1
	v_add3_u32 v200, v220, v44 /*v300*/, v47 /*v303*/
	v_add3_u32 v201, v212, v46 /*v302*/, v51 /*v307*/
	;; [unrolled: 1-line block ×8, first 2 shown]
	s_set_vgpr_msb 1                        ;  msbs: dst=0 src0=1 src1=0 src2=0
	v_cvt_f32_f16_e64 v106, v118 /*v374*/
	s_set_vgpr_msb 0x41                     ;  msbs: dst=1 src0=1 src1=0 src2=0
	v_mul_i32_i24_e32 v114 /*v370*/, v170 /*v426*/, v142
	v_mul_i32_i24_e32 v137 /*v393*/, v172 /*v428*/, v142
	s_set_vgpr_msb 0x45                     ;  msbs: dst=1 src0=1 src1=1 src2=0
	v_mul_i32_i24_e32 v118 /*v374*/, v121 /*v377*/, v170 /*v426*/
	v_mul_i32_i24_e32 v116 /*v372*/, v121 /*v377*/, v172 /*v428*/
	;; [unrolled: 1-line block ×4, first 2 shown]
	s_set_vgpr_msb 20                       ;  msbs: dst=0 src0=0 src1=1 src2=1
	v_add3_u32 v227, v234, v36 /*v292*/, v37 /*v293*/
	v_add3_u32 v231, v236, v41 /*v297*/, v42 /*v298*/
	v_add3_u32 v232, v235, v43 /*v299*/, v45 /*v301*/
	v_add3_u32 v233, v237, v50 /*v306*/, v53 /*v309*/
	v_add3_u32 v228, v228, v56 /*v312*/, v58 /*v314*/
	v_add3_u32 v234, v238, v63 /*v319*/, v65 /*v321*/
	v_add3_u32 v229, v229, v66 /*v322*/, v71 /*v327*/
	s_set_vgpr_msb 0                        ;  msbs: dst=0 src0=0 src1=0 src2=0
	v_add3_u32 v145, v145, v150, v149
	s_set_vgpr_msb 20                       ;  msbs: dst=0 src0=0 src1=1 src2=1
	v_add3_u32 v203, v147, v55 /*v311*/, v59 /*v315*/
	v_add3_u32 v204, v148, v48 /*v304*/, v54 /*v310*/
	;; [unrolled: 1-line block ×7, first 2 shown]
	v_cvt_f32_i32_e32 v147, v152
	v_cvt_f32_i32_e32 v146, v151
	;; [unrolled: 1-line block ×7, first 2 shown]
	v_add3_u32 v155, v201, v82 /*v338*/, v104 /*v360*/
	v_add3_u32 v197, v202, v83 /*v339*/, v105 /*v361*/
	;; [unrolled: 1-line block ×8, first 2 shown]
	s_set_vgpr_msb 1                        ;  msbs: dst=0 src0=1 src1=0 src2=0
	v_cvt_f32_f16_e64 v125, v184 /*v440*/
	v_cvt_f32_f16_e64 v124, v185 /*v441*/
	;; [unrolled: 1-line block ×5, first 2 shown]
	s_set_vgpr_msb 4                        ;  msbs: dst=0 src0=0 src1=1 src2=0
	v_lshrrev_b32_e32 v142, 16, v152 /*v408*/
	s_set_vgpr_msb 0x44                     ;  msbs: dst=1 src0=0 src1=1 src2=0
	v_lshrrev_b32_e32 v151 /*v407*/, 16, v151 /*v407*/
	s_set_vgpr_msb 20                       ;  msbs: dst=0 src0=0 src1=1 src2=1
	v_add3_u32 v214, v227, v97 /*v353*/, v102 /*v358*/
	v_add3_u32 v215, v232, v103 /*v359*/, v107 /*v363*/
	;; [unrolled: 1-line block ×7, first 2 shown]
	v_cvt_f32_i32_e32 v153, v199
	v_add3_u32 v224, v208, v127 /*v383*/, v130 /*v386*/
	v_cvt_f32_i32_e32 v154, v145
	v_cvt_f32_i32_e32 v202, v213
	;; [unrolled: 1-line block ×4, first 2 shown]
	s_set_vgpr_msb 0                        ;  msbs: dst=0 src0=0 src1=0 src2=0
	v_pk_fma_f32 v[80:81], v[80:81], v[146:147], v[104:105]
	v_pk_fma_f32 v[82:83], v[82:83], v[148:149], v[106:107]
	;; [unrolled: 1-line block ×3, first 2 shown]
	s_set_vgpr_msb 20                       ;  msbs: dst=0 src0=0 src1=1 src2=1
	v_add3_u32 v145, v155, v95 /*v351*/, v117 /*v373*/
	v_add3_u32 v146, v197, v96 /*v352*/, v118 /*v374*/
	;; [unrolled: 1-line block ×6, first 2 shown]
	v_cvt_f32_i32_e32 v210, v201
	v_cvt_f32_i32_e32 v212, v222
	s_set_vgpr_msb 1                        ;  msbs: dst=0 src0=1 src1=0 src2=0
	v_cvt_f32_f16_e64 v117, v173 /*v429*/
	v_cvt_f32_f16_e64 v116, v174 /*v430*/
	;; [unrolled: 1-line block ×11, first 2 shown]
	s_set_vgpr_msb 0                        ;  msbs: dst=0 src0=0 src1=0 src2=0
	v_cvt_f32_f16_e64 v133, v137
	s_set_vgpr_msb 1                        ;  msbs: dst=0 src0=1 src1=0 src2=0
	v_cvt_f32_f16_e64 v137, v153 /*v409*/
	s_set_vgpr_msb 0                        ;  msbs: dst=0 src0=0 src1=0 src2=0
	v_cvt_f32_f16_e64 v139, v138
	v_cvt_f32_f16_e64 v138, v141
	s_set_vgpr_msb 1                        ;  msbs: dst=0 src0=1 src1=0 src2=0
	v_cvt_f32_f16_e64 v141, v152 /*v408*/
	s_set_vgpr_msb 0                        ;  msbs: dst=0 src0=0 src1=0 src2=0
	v_cvt_f32_f16_e64 v143, v142
	s_set_vgpr_msb 1                        ;  msbs: dst=0 src0=1 src1=0 src2=0
	v_cvt_f32_f16_e64 v142, v151 /*v407*/
	s_set_vgpr_msb 0                        ;  msbs: dst=0 src0=0 src1=0 src2=0
	v_cvt_f32_i32_e32 v199, v203
	v_cvt_f32_i32_e32 v200, v204
	;; [unrolled: 1-line block ×10, first 2 shown]
	v_pk_fma_f32 v[86:87], v[86:87], v[152:153], v[110:111]
	v_cvt_f32_i32_e32 v214, v224
	v_cvt_f32_i32_e32 v155, v145
	v_pk_add_f32 v[32:33], v[32:33], v[80:81]
	v_pk_add_f32 v[30:31], v[30:31], v[82:83]
	v_cvt_f32_i32_e32 v198, v146
	v_cvt_f32_i32_e32 v201, v147
	v_pk_fma_f32 v[80:81], v[100:101], v[210:211], v[124:125]
	v_pk_fma_f32 v[82:83], v[102:103], v[212:213], v[126:127]
	v_cvt_f32_i32_e32 v145, v148
	v_pk_add_f32 v[12:13], v[12:13], v[84:85]
	v_cvt_f32_i32_e32 v85, v150
	v_cvt_f32_i32_e32 v84, v149
	v_pk_fma_f32 v[104:105], v[128:129], v[202:203], v[130:131]
	v_pk_fma_f32 v[106:107], v[132:133], v[204:205], v[134:135]
	v_pk_fma_f32 v[108:109], v[136:137], v[206:207], v[138:139]
	v_pk_fma_f32 v[110:111], v[140:141], v[208:209], v[142:143]
	v_pk_fma_f32 v[98:99], v[98:99], v[214:215], v[122:123]
	v_pk_add_f32 v[10:11], v[10:11], v[86:87]
	v_pk_fma_f32 v[86:87], v[88:89], v[154:155], v[116:117]
	v_pk_fma_f32 v[88:89], v[96:97], v[198:199], v[120:121]
	;; [unrolled: 1-line block ×3, first 2 shown]
	v_pk_add_f32 v[24:25], v[24:25], v[80:81]
	v_pk_add_f32 v[22:23], v[22:23], v[82:83]
	v_pk_fma_f32 v[80:81], v[90:91], v[144:145], v[112:113]
	v_pk_fma_f32 v[82:83], v[92:93], v[84:85], v[114:115]
	v_pk_add_f32 v[14:15], v[14:15], v[104:105]
	v_pk_add_f32 v[4:5], v[4:5], v[106:107]
	;; [unrolled: 1-line block ×10, first 2 shown]
	s_cbranch_scc1 .LBB160_9
; %bb.10:                               ;   in Loop: Header=BB160_7 Depth=1
	s_and_b32 s10, s7, -4
	s_delay_alu instid0(SALU_CYCLE_1)
	s_cmp_eq_u32 s10, 4
	s_barrier_signal -1
	s_barrier_wait -1
	s_cbranch_scc1 .LBB160_6
; %bb.11:                               ;   in Loop: Header=BB160_7 Depth=1
	v_dual_add_nc_u32 v80, s4, v168 :: v_dual_add_nc_u32 v96, 4, v189
	v_dual_mov_b32 v98, v185 :: v_dual_mov_b32 v99, v183
	v_dual_mov_b32 v100, v181 :: v_dual_mov_b32 v101, v179
	s_delay_alu instid0(VALU_DEP_3) | instskip(SKIP_3) | instid1(VALU_DEP_4)
	v_dual_add_nc_u32 v86, v80, v162 :: v_dual_add_nc_u32 v81, v80, v167
	v_dual_add_nc_u32 v82, v80, v160 :: v_dual_add_nc_u32 v84, v80, v161
	;; [unrolled: 1-line block ×4, first 2 shown]
	v_mad_nc_i64_i32 v[80:81], v81, 36, v[38:39]
	s_delay_alu instid0(VALU_DEP_4)
	v_mad_nc_i64_i32 v[82:83], v82, 36, v[38:39]
	v_mad_nc_i64_i32 v[84:85], v84, 36, v[38:39]
	;; [unrolled: 1-line block ×7, first 2 shown]
	v_mad_nc_u64_u32 v[96:97], v96, 36, s[2:3]
	s_clause 0x8
	global_load_b32 v103, v[80:81], off offset:4
	global_load_b32 v104, v[82:83], off offset:4
	;; [unrolled: 1-line block ×8, first 2 shown]
	global_load_b32 v111, v[96:97], off
	s_wait_xcnt 0x0
	v_dual_mov_b32 v96, v187 :: v_dual_mov_b32 v97, v177
	v_mov_b32_e32 v102, v188
	s_mov_b32 s10, 12
	s_wait_loadcnt 0x8
	ds_store_b32 v175, v103
	s_wait_loadcnt 0x7
	ds_store_b32 v176, v104
	;; [unrolled: 2-line block ×9, first 2 shown]
	s_wait_dscnt 0x0
	s_barrier_signal -1
	s_barrier_wait -1
.LBB160_12:                             ;   Parent Loop BB160_7 Depth=1
                                        ; =>  This Inner Loop Header: Depth=2
	ds_load_2addr_b32 v[80:81], v97 offset0:1 offset1:2
	ds_load_2addr_b32 v[82:83], v97 offset0:5 offset1:6
	ds_load_2addr_b32 v[84:85], v97 offset1:3
	ds_load_2addr_b32 v[88:89], v97 offset0:4 offset1:7
	ds_load_2addr_b32 v[86:87], v96 offset1:32
	s_add_co_i32 s10, s10, 4
	s_delay_alu instid0(SALU_CYCLE_1)
	s_cmp_lt_u32 s10, 28
	s_wait_dscnt 0x4
	s_set_vgpr_msb 64                       ;  msbs: dst=1 src0=0 src1=0 src2=0
	v_bfe_i32 v18 /*v274*/, v80, 0, 8
	v_bfe_i32 v19 /*v275*/, v80, 8, 8
	s_wait_dscnt 0x2
	s_set_vgpr_msb 0                        ;  msbs: dst=0 src0=0 src1=0 src2=0
	v_bfe_i32 v238, v84, 0, 8
	s_set_vgpr_msb 64                       ;  msbs: dst=1 src0=0 src1=0 src2=0
	v_bfe_i32 v8 /*v264*/, v84, 8, 8
	v_bfe_i32 v9 /*v265*/, v84, 16, 8
	v_dual_ashrrev_i32 v10 /*v266*/, 24, v84 :: v_dual_ashrrev_i32 v35 /*v291*/, 24, v82
	s_set_vgpr_msb 0                        ;  msbs: dst=0 src0=0 src1=0 src2=0
	v_bfe_i32 v94, v85, 0, 8
	v_bfe_i32 v95, v85, 8, 8
	s_set_vgpr_msb 64                       ;  msbs: dst=1 src0=0 src1=0 src2=0
	v_bfe_i32 v24 /*v280*/, v85, 16, 8
	s_set_vgpr_msb 0                        ;  msbs: dst=0 src0=0 src1=0 src2=0
	v_ashrrev_i32_e32 v103, 24, v85
	ds_load_b32 v108, v98
	ds_load_2addr_b32 v[84:85], v102 offset1:1
	s_set_vgpr_msb 64                       ;  msbs: dst=1 src0=0 src1=0 src2=0
	v_bfe_i32 v20 /*v276*/, v80, 16, 8
	v_dual_ashrrev_i32 v37 /*v293*/, 24, v80 :: v_dual_ashrrev_i32 v31 /*v287*/, 24, v83
	v_bfe_i32 v21 /*v277*/, v82, 0, 8
	v_bfe_i32 v22 /*v278*/, v82, 8, 8
	;; [unrolled: 1-line block ×6, first 2 shown]
	s_set_vgpr_msb 0                        ;  msbs: dst=0 src0=0 src1=0 src2=0
	ds_load_2addr_b32 v[82:83], v102 offset0:2 offset1:3
	s_wait_dscnt 0x4
	s_set_vgpr_msb 64                       ;  msbs: dst=1 src0=0 src1=0 src2=0
	v_dual_ashrrev_i32 v38 /*v294*/, 24, v88 :: v_dual_ashrrev_i32 v33 /*v289*/, 24, v81
	v_bfe_i32 v25 /*v281*/, v81, 0, 8
	v_bfe_i32 v26 /*v282*/, v81, 8, 8
	;; [unrolled: 1-line block ×6, first 2 shown]
	s_set_vgpr_msb 0                        ;  msbs: dst=0 src0=0 src1=0 src2=0
	v_bfe_i32 v107, v89, 0, 8
	s_wait_dscnt 0x1
	v_lshrrev_b32_e32 v80, 4, v84
	v_bfe_i32 v105, v89, 8, 8
	v_bfe_i32 v106, v89, 16, 8
	v_dual_ashrrev_i32 v104, 24, v89 :: v_dual_lshrrev_b32 v111, 28, v84
	s_delay_alu instid0(VALU_DEP_4)
	v_lshrrev_b16 v80, 8, v80
	v_lshrrev_b32_e32 v109, 28, v85
	v_pk_mul_f16 v234, v86, v108
	s_set_vgpr_msb 64                       ;  msbs: dst=1 src0=0 src1=0 src2=0
	v_bfe_u32 v1 /*v257*/, v84, 8, 4
	s_set_vgpr_msb 0                        ;  msbs: dst=0 src0=0 src1=0 src2=0
	v_bfe_u32 v251, v84, 24, 4
	s_set_vgpr_msb 64                       ;  msbs: dst=1 src0=0 src1=0 src2=0
	v_and_b32_e32 v12 /*v268*/, 15, v80
	s_set_vgpr_msb 0                        ;  msbs: dst=0 src0=0 src1=0 src2=0
	v_and_b32_e32 v80, 0xf0f0f0f, v85
	s_set_vgpr_msb 64                       ;  msbs: dst=1 src0=0 src1=0 src2=0
	v_bfe_u32 v2 /*v258*/, v84, 16, 4
	s_wait_dscnt 0x0
	v_lshrrev_b32_e32 v5 /*v261*/, 28, v83
	s_set_vgpr_msb 0                        ;  msbs: dst=0 src0=0 src1=0 src2=0
	v_bfe_u32 v113, v85, 24, 4
	v_bfe_u32 v114, v82, 24, 4
	s_set_vgpr_msb 64                       ;  msbs: dst=1 src0=0 src1=0 src2=0
	v_lshrrev_b16 v40 /*v296*/, 8, v80
	s_set_vgpr_msb 0                        ;  msbs: dst=0 src0=0 src1=0 src2=0
	v_lshrrev_b32_e32 v80, 4, v85
	v_bfe_u32 v112, v83, 24, 4
	s_set_vgpr_msb 64                       ;  msbs: dst=1 src0=0 src1=0 src2=0
	v_bfe_u32 v3 /*v259*/, v83, 4, 4
	v_bfe_u32 v4 /*v260*/, v83, 12, 4
	s_set_vgpr_msb 0                        ;  msbs: dst=0 src0=0 src1=0 src2=0
	v_lshrrev_b32_e32 v110, 28, v82
	v_lshrrev_b16 v80, 8, v80
	v_bfe_u32 v250, v83, 20, 4
	s_set_vgpr_msb 0x44                     ;  msbs: dst=1 src0=0 src1=1 src2=0
	v_mul_i32_i24_e32 v44 /*v300*/, v107, v3 /*v259*/
	v_mul_i32_i24_e32 v47 /*v303*/, v105, v4 /*v260*/
	s_set_vgpr_msb 0                        ;  msbs: dst=0 src0=0 src1=0 src2=0
	v_add_nc_u32_e32 v98, 4, v98
	s_set_vgpr_msb 64                       ;  msbs: dst=1 src0=0 src1=0 src2=0
	v_and_b32_e32 v39 /*v295*/, 15, v80
	s_set_vgpr_msb 0                        ;  msbs: dst=0 src0=0 src1=0 src2=0
	v_and_b32_e32 v80, 0xf0f0f0f, v82
	s_set_vgpr_msb 64                       ;  msbs: dst=1 src0=0 src1=0 src2=0
	v_mul_i32_i24_e32 v46 /*v302*/, v106, v250
	s_set_vgpr_msb 0                        ;  msbs: dst=0 src0=0 src1=0 src2=0
	v_and_b32_e32 v253, 15, v84
	s_set_vgpr_msb 64                       ;  msbs: dst=1 src0=0 src1=0 src2=0
	v_lshrrev_b16 v36 /*v292*/, 8, v80
	s_set_vgpr_msb 0                        ;  msbs: dst=0 src0=0 src1=0 src2=0
	v_lshrrev_b32_e32 v80, 4, v82
	s_delay_alu instid0(VALU_DEP_1) | instskip(SKIP_1) | instid1(VALU_DEP_1)
	v_lshrrev_b16 v80, 8, v80
	s_set_vgpr_msb 64                       ;  msbs: dst=1 src0=0 src1=0 src2=0
	v_and_b32_e32 v34 /*v290*/, 15, v80
	s_set_vgpr_msb 0                        ;  msbs: dst=0 src0=0 src1=0 src2=0
	v_and_b32_e32 v80, 0xf0f0f0f, v83
	s_set_vgpr_msb 64                       ;  msbs: dst=1 src0=0 src1=0 src2=0
	s_delay_alu instid0(VALU_DEP_1)
	v_lshrrev_b16 v32 /*v288*/, 8, v80
	s_set_vgpr_msb 0                        ;  msbs: dst=0 src0=0 src1=0 src2=0
	v_add_nc_u32_e32 v80, 0x1080, v102
	ds_load_b32 v115, v99
	ds_load_2addr_b32 v[80:81], v80 offset1:1
	v_add_nc_u32_e32 v99, 4, v99
	s_wait_dscnt 0x1
	v_pk_mul_f16 v191, v86, v115
	s_wait_dscnt 0x0
	v_dual_lshrrev_b32 v123, 28, v80 :: v_dual_bitop2_b32 v118, 15, v80 bitop3:0x40
	v_bfe_u32 v119, v80, 8, 4
	v_bfe_u32 v116, v80, 16, 4
	;; [unrolled: 1-line block ×3, first 2 shown]
	s_delay_alu instid0(VALU_DEP_4)
	v_mul_i32_i24_e32 v88, v118, v238
	v_bfe_u32 v120, v80, 4, 4
	v_bfe_u32 v122, v80, 12, 4
	s_set_vgpr_msb 4                        ;  msbs: dst=0 src0=0 src1=1 src2=0
	v_mul_i32_i24_e32 v89, v116, v9 /*v265*/
	v_mul_i32_i24_e32 v90, v117, v10 /*v266*/
	v_mad_i32_i24 v88, v119, v8 /*v264*/, v88
	v_bfe_u32 v121, v80, 20, 4
	v_mul_i32_i24_e32 v80, v123, v38 /*v294*/
	s_set_vgpr_msb 0                        ;  msbs: dst=0 src0=0 src1=0 src2=0
	v_dual_lshrrev_b32 v130, 28, v81 :: v_dual_bitop2_b32 v124, 15, v81 bitop3:0x40
	v_add3_u32 v88, v88, v89, v90
	s_set_vgpr_msb 4                        ;  msbs: dst=0 src0=0 src1=1 src2=0
	v_mul_i32_i24_e32 v89, v120, v15 /*v271*/
	v_mul_i32_i24_e32 v90, v122, v16 /*v272*/
	;; [unrolled: 1-line block ×3, first 2 shown]
	v_bfe_u32 v125, v81, 8, 4
	v_bfe_u32 v126, v81, 16, 4
	;; [unrolled: 1-line block ×3, first 2 shown]
	s_set_vgpr_msb 0                        ;  msbs: dst=0 src0=0 src1=0 src2=0
	v_add3_u32 v88, v88, v90, v89
	v_bfe_u32 v128, v81, 4, 4
	s_set_vgpr_msb 1                        ;  msbs: dst=0 src0=1 src1=0 src2=0
	v_mul_i32_i24_e32 v89, v19 /*v275*/, v125
	v_mul_i32_i24_e32 v90, v20 /*v276*/, v126
	s_set_vgpr_msb 0                        ;  msbs: dst=0 src0=0 src1=0 src2=0
	v_bfe_u32 v129, v81, 12, 4
	v_add3_u32 v80, v88, v91, v80
	s_set_vgpr_msb 1                        ;  msbs: dst=0 src0=1 src1=0 src2=0
	v_mul_i32_i24_e32 v88, v18 /*v274*/, v124
	v_mul_i32_i24_e32 v91, v37 /*v293*/, v127
	s_set_vgpr_msb 0                        ;  msbs: dst=0 src0=0 src1=0 src2=0
	v_bfe_u32 v131, v81, 20, 4
	s_delay_alu instid0(VALU_DEP_3) | instskip(SKIP_2) | instid1(VALU_DEP_3)
	v_add3_u32 v80, v80, v89, v88
	s_set_vgpr_msb 1                        ;  msbs: dst=0 src0=1 src1=0 src2=0
	v_mul_i32_i24_e32 v89, v21 /*v277*/, v128
	v_mul_i32_i24_e32 v92, v23 /*v279*/, v131
	s_set_vgpr_msb 0                        ;  msbs: dst=0 src0=0 src1=0 src2=0
	v_add3_u32 v88, v80, v90, v91
	v_add_nc_u32_e32 v80, 0x1088, v102
	s_set_vgpr_msb 1                        ;  msbs: dst=0 src0=1 src1=0 src2=0
	v_mul_i32_i24_e32 v90, v22 /*v278*/, v129
	v_mul_i32_i24_e32 v91, v35 /*v291*/, v130
	s_set_vgpr_msb 0                        ;  msbs: dst=0 src0=0 src1=0 src2=0
	ds_load_2addr_b32 v[80:81], v80 offset1:1
	v_add3_u32 v88, v88, v89, v90
	s_delay_alu instid0(VALU_DEP_1)
	v_add3_u32 v88, v88, v92, v91
	s_wait_dscnt 0x0
	v_bfe_u32 v132, v80, 8, 4
	v_dual_lshrrev_b32 v138, 28, v80 :: v_dual_bitop2_b32 v133, 15, v80 bitop3:0x40
	v_bfe_u32 v134, v80, 24, 4
	v_bfe_u32 v135, v80, 16, 4
	s_set_vgpr_msb 1                        ;  msbs: dst=0 src0=1 src1=0 src2=0
	v_mul_i32_i24_e32 v144, v26 /*v282*/, v132
	v_mul_i32_i24_e32 v93, v25 /*v281*/, v133
	s_set_vgpr_msb 0                        ;  msbs: dst=0 src0=0 src1=0 src2=0
	v_bfe_u32 v136, v80, 4, 4
	s_set_vgpr_msb 1                        ;  msbs: dst=0 src0=1 src1=0 src2=0
	v_mul_i32_i24_e32 v145, v33 /*v289*/, v134
	v_mul_i32_i24_e32 v146, v30 /*v286*/, v135
	s_set_vgpr_msb 0                        ;  msbs: dst=0 src0=0 src1=0 src2=0
	v_bfe_u32 v137, v80, 12, 4
	v_add3_u32 v88, v88, v144, v93
	s_set_vgpr_msb 1                        ;  msbs: dst=0 src0=1 src1=0 src2=0
	v_mul_i32_i24_e32 v148, v27 /*v283*/, v136
	s_set_vgpr_msb 0                        ;  msbs: dst=0 src0=0 src1=0 src2=0
	v_bfe_u32 v139, v80, 20, 4
	s_set_vgpr_msb 1                        ;  msbs: dst=0 src0=1 src1=0 src2=0
	v_mul_i32_i24_e32 v80, v31 /*v287*/, v138
	v_mul_i32_i24_e32 v147, v28 /*v284*/, v137
	s_set_vgpr_msb 0                        ;  msbs: dst=0 src0=0 src1=0 src2=0
	v_add3_u32 v88, v88, v146, v145
	v_bfe_u32 v140, v81, 8, 4
	s_set_vgpr_msb 1                        ;  msbs: dst=0 src0=1 src1=0 src2=0
	v_mul_i32_i24_e32 v149, v29 /*v285*/, v139
	v_and_b32_e32 v141, 15, v81
	s_set_vgpr_msb 0                        ;  msbs: dst=0 src0=0 src1=0 src2=0
	v_bfe_u32 v143, v81, 24, 4
	v_add3_u32 v88, v88, v148, v147
	v_mul_i32_i24_e32 v151, v95, v140
	v_bfe_u32 v142, v81, 16, 4
	v_mul_i32_i24_e32 v150, v94, v141
	s_delay_alu instid0(VALU_DEP_4) | instskip(SKIP_1) | instid1(VALU_DEP_3)
	v_add3_u32 v80, v88, v149, v80
	s_set_vgpr_msb 1                        ;  msbs: dst=0 src0=1 src1=0 src2=0
	v_mul_i32_i24_e32 v190, v24 /*v280*/, v142
	s_set_vgpr_msb 0                        ;  msbs: dst=0 src0=0 src1=0 src2=0
	s_delay_alu instid0(VALU_DEP_2)
	v_add3_u32 v192, v80, v151, v150
	v_add_nc_u32_e32 v80, 0x2100, v102
	ds_load_b32 v144, v100
	ds_load_2addr_b32 v[92:93], v80 offset1:1
	v_add_nc_u32_e32 v80, 0x2108, v102
	v_add_nc_u32_e32 v100, 4, v100
	ds_load_2addr_b32 v[240:241], v80 offset1:1
	v_add_nc_u32_e32 v80, 0x3180, v102
	ds_load_b32 v205, v101
	ds_load_2addr_b32 v[242:243], v80 offset1:1
	v_add_nc_u32_e32 v80, 0x3188, v102
	v_dual_add_nc_u32 v101, 4, v101 :: v_dual_add_nc_u32 v102, 16, v102
	s_set_vgpr_msb 64                       ;  msbs: dst=1 src0=0 src1=0 src2=0
	ds_load_2addr_b32 v[74:75] /*v[330:331]*/, v80 offset1:1
	s_wait_dscnt 0x5
	v_pk_mul_f16 v92 /*v348*/, v86, v144
	s_wait_dscnt 0x4
	s_set_vgpr_msb 0                        ;  msbs: dst=0 src0=0 src1=0 src2=0
	v_dual_lshrrev_b32 v155, 28, v93 :: v_dual_bitop2_b32 v149, 15, v93 bitop3:0x40
	v_bfe_u32 v150, v93, 8, 4
	v_bfe_u32 v151, v93, 16, 4
	;; [unrolled: 1-line block ×7, first 2 shown]
	v_lshrrev_b32_e32 v148, 28, v92
	s_wait_dscnt 0x2
	s_set_vgpr_msb 64                       ;  msbs: dst=1 src0=0 src1=0 src2=0
	v_pk_mul_f16 v116 /*v372*/, v86, v205
	s_set_vgpr_msb 0                        ;  msbs: dst=0 src0=0 src1=0 src2=0
	v_add_nc_u32_e32 v86, 0x404, v97
	s_wait_dscnt 0x1
	v_dual_lshrrev_b32 v216, 28, v243 :: v_dual_bitop2_b32 v210, 15, v243 bitop3:0x40
	v_bfe_u32 v211, v243, 8, 4
	v_bfe_u32 v212, v243, 16, 4
	ds_load_2addr_b32 v[90:91], v86 offset1:1
	v_add_nc_u32_e32 v80, 0x400, v97
	v_add_nc_u32_e32 v86, 0x414, v97
	s_wait_dscnt 0x1
	s_set_vgpr_msb 1                        ;  msbs: dst=0 src0=1 src1=0 src2=0
	v_bfe_u32 v218, v74 /*v330*/, 8, 4
	s_set_vgpr_msb 4                        ;  msbs: dst=0 src0=0 src1=1 src2=0
	v_dual_lshrrev_b32 v224, 28, v74 /*v330*/ :: v_dual_bitop2_b32 v219, 15, v74 /*v330*/ bitop3:0x40
	ds_load_2addr_b32 v[88:89], v80 offset0:4 offset1:7
	ds_load_2addr_b32 v[230:231], v86 offset1:1
	ds_load_2addr_b32 v[232:233], v80 offset1:3
	s_set_vgpr_msb 1                        ;  msbs: dst=0 src0=1 src1=0 src2=0
	v_bfe_u32 v220, v74 /*v330*/, 24, 4
	v_bfe_u32 v221, v74 /*v330*/, 16, 4
	;; [unrolled: 1-line block ×5, first 2 shown]
	s_set_vgpr_msb 0                        ;  msbs: dst=0 src0=0 src1=0 src2=0
	v_bfe_u32 v213, v243, 24, 4
	v_bfe_u32 v214, v243, 4, 4
	v_bfe_u32 v215, v243, 12, 4
	v_bfe_u32 v217, v243, 20, 4
	v_bfe_u32 v146, v92, 20, 4
	v_bfe_u32 v145, v92, 4, 4
	v_bfe_u32 v193, v240, 8, 4
	s_wait_dscnt 0x3
	s_set_vgpr_msb 64                       ;  msbs: dst=1 src0=0 src1=0 src2=0
	v_bfe_i32 v66 /*v322*/, v90, 0, 8
	v_bfe_i32 v67 /*v323*/, v90, 8, 8
	;; [unrolled: 1-line block ×3, first 2 shown]
	v_ashrrev_i32_e32 v69 /*v325*/, 24, v90
	v_bfe_i32 v58 /*v314*/, v91, 0, 8
	v_bfe_i32 v59 /*v315*/, v91, 8, 8
	s_wait_dscnt 0x2
	s_set_vgpr_msb 0                        ;  msbs: dst=0 src0=0 src1=0 src2=0
	v_ashrrev_i32_e32 v249, 24, v89
	s_set_vgpr_msb 64                       ;  msbs: dst=1 src0=0 src1=0 src2=0
	v_bfe_i32 v70 /*v326*/, v88, 0, 8
	v_bfe_i32 v71 /*v327*/, v88, 8, 8
	;; [unrolled: 1-line block ×3, first 2 shown]
	s_wait_dscnt 0x0
	v_dual_ashrrev_i32 v73 /*v329*/, 24, v88 :: v_dual_ashrrev_i32 v42 /*v298*/, 24, v233
	s_set_vgpr_msb 0                        ;  msbs: dst=0 src0=0 src1=0 src2=0
	v_mul_i32_i24_e32 v88, v253, v238
	s_set_vgpr_msb 64                       ;  msbs: dst=1 src0=0 src1=0 src2=0
	v_bfe_i32 v62 /*v318*/, v230, 0, 8
	v_bfe_i32 v63 /*v319*/, v230, 8, 8
	;; [unrolled: 1-line block ×3, first 2 shown]
	v_ashrrev_i32_e32 v65 /*v321*/, 24, v230
	v_bfe_i32 v60 /*v316*/, v91, 16, 8
	v_ashrrev_i32_e32 v61 /*v317*/, 24, v91
	s_set_vgpr_msb 0                        ;  msbs: dst=0 src0=0 src1=0 src2=0
	v_bfe_i32 v246, v89, 0, 8
	v_bfe_i32 v247, v89, 8, 8
	;; [unrolled: 1-line block ×3, first 2 shown]
	v_pk_mul_f16 v90, v108, v87
	s_set_vgpr_msb 5                        ;  msbs: dst=0 src0=1 src1=1 src2=0
	v_mul_i32_i24_e32 v89, v2 /*v258*/, v9 /*v265*/
	s_set_vgpr_msb 4                        ;  msbs: dst=0 src0=0 src1=1 src2=0
	v_mul_i32_i24_e32 v91, v251, v10 /*v266*/
	s_set_vgpr_msb 5                        ;  msbs: dst=0 src0=1 src1=1 src2=0
	v_mad_i32_i24 v88, v1 /*v257*/, v8 /*v264*/, v88
	s_set_vgpr_msb 1                        ;  msbs: dst=0 src0=1 src1=0 src2=0
	v_mul_i32_i24_e32 v230, v71 /*v327*/, v122
	s_set_vgpr_msb 0                        ;  msbs: dst=0 src0=0 src1=0 src2=0
	v_bfe_i32 v86, v232, 0, 8
	s_set_vgpr_msb 64                       ;  msbs: dst=1 src0=0 src1=0 src2=0
	v_bfe_i32 v117 /*v373*/, v232, 8, 8
	v_bfe_i32 v118 /*v374*/, v232, 16, 8
	v_dual_ashrrev_i32 v119 /*v375*/, 24, v232 :: v_dual_ashrrev_i32 v56 /*v312*/, 24, v231
	v_bfe_i32 v53 /*v309*/, v231, 0, 8
	v_bfe_i32 v54 /*v310*/, v231, 8, 8
	;; [unrolled: 1-line block ×3, first 2 shown]
	v_add3_u32 v74 /*v330*/, v88, v89, v91
	s_set_vgpr_msb 0                        ;  msbs: dst=0 src0=0 src1=0 src2=0
	v_cvt_f32_f16_e32 v89, v90
	v_lshrrev_b32_e32 v90, 16, v90
	s_set_vgpr_msb 1                        ;  msbs: dst=0 src0=1 src1=0 src2=0
	v_mul_i32_i24_e32 v231, v72 /*v328*/, v121
	v_mul_i32_i24_e32 v232, v73 /*v329*/, v123
	v_mad_i32_i24 v230, v70 /*v326*/, v120, v230
	s_set_vgpr_msb 0                        ;  msbs: dst=0 src0=0 src1=0 src2=0
	v_cvt_f32_f16_e64 v88, v234
	v_cvt_f32_f16_e32 v91, v90
	v_lshrrev_b32_e32 v90, 16, v234
	s_set_vgpr_msb 1                        ;  msbs: dst=0 src0=1 src1=0 src2=0
	v_mul_i32_i24_e32 v234, v67 /*v323*/, v125
	v_mul_i32_i24_e32 v236, v69 /*v325*/, v127
	s_set_vgpr_msb 0                        ;  msbs: dst=0 src0=0 src1=0 src2=0
	v_add3_u32 v230, v230, v231, v232
	v_bfe_i32 v80, v233, 0, 8
	v_bfe_i32 v93, v233, 8, 8
	s_set_vgpr_msb 64                       ;  msbs: dst=1 src0=0 src1=0 src2=0
	v_bfe_i32 v41 /*v297*/, v233, 16, 8
	s_set_vgpr_msb 1                        ;  msbs: dst=0 src0=1 src1=0 src2=0
	v_mul_i32_i24_e32 v233, v66 /*v322*/, v124
	v_mul_i32_i24_e32 v235, v68 /*v324*/, v126
	s_set_vgpr_msb 0                        ;  msbs: dst=0 src0=0 src1=0 src2=0
	v_add3_u32 v230, v230, v236, v234
	s_set_vgpr_msb 1                        ;  msbs: dst=0 src0=1 src1=0 src2=0
	v_mul_i32_i24_e32 v237, v62 /*v318*/, v128
	s_set_vgpr_msb 0x41                     ;  msbs: dst=1 src0=1 src1=0 src2=0
	v_mul_i32_i24_e32 v7 /*v263*/, v65 /*v321*/, v130
	s_set_vgpr_msb 1                        ;  msbs: dst=0 src0=1 src1=0 src2=0
	v_mul_i32_i24_e32 v243, v63 /*v319*/, v129
	s_set_vgpr_msb 0x41                     ;  msbs: dst=1 src0=1 src1=0 src2=0
	v_mul_i32_i24_e32 v6 /*v262*/, v64 /*v320*/, v131
	s_set_vgpr_msb 0                        ;  msbs: dst=0 src0=0 src1=0 src2=0
	v_add3_u32 v230, v230, v233, v235
	s_set_vgpr_msb 0x41                     ;  msbs: dst=1 src0=1 src1=0 src2=0
	v_mul_i32_i24_e32 v121 /*v377*/, v59 /*v315*/, v132
	v_mul_i32_i24_e32 v123 /*v379*/, v61 /*v317*/, v134
	;; [unrolled: 1-line block ×4, first 2 shown]
	s_set_vgpr_msb 4                        ;  msbs: dst=0 src0=0 src1=1 src2=0
	v_add3_u32 v230, v230, v7 /*v263*/, v237
	s_set_vgpr_msb 0x41                     ;  msbs: dst=1 src0=1 src1=0 src2=0
	v_mul_i32_i24_e32 v124 /*v380*/, v53 /*v309*/, v136
	v_mul_i32_i24_e32 v127 /*v383*/, v56 /*v312*/, v138
	;; [unrolled: 1-line block ×4, first 2 shown]
	s_set_vgpr_msb 16                       ;  msbs: dst=0 src0=0 src1=0 src2=1
	v_add3_u32 v230, v230, v243, v6 /*v262*/
	s_set_vgpr_msb 64                       ;  msbs: dst=1 src0=0 src1=0 src2=0
	v_mul_i32_i24_e32 v129 /*v385*/, v93, v140
	s_set_vgpr_msb 0x41                     ;  msbs: dst=1 src0=1 src1=0 src2=0
	v_mul_i32_i24_e32 v131 /*v387*/, v42 /*v298*/, v143
	s_set_vgpr_msb 64                       ;  msbs: dst=1 src0=0 src1=0 src2=0
	v_mul_i32_i24_e32 v128 /*v384*/, v80, v141
	s_set_vgpr_msb 0x41                     ;  msbs: dst=1 src0=1 src1=0 src2=0
	v_mul_i32_i24_e32 v130 /*v386*/, v41 /*v297*/, v142
	s_set_vgpr_msb 20                       ;  msbs: dst=0 src0=0 src1=1 src2=1
	v_add3_u32 v230, v230, v123 /*v379*/, v121 /*v377*/
	s_set_vgpr_msb 1                        ;  msbs: dst=0 src0=1 src1=0 src2=0
	v_mul_i32_i24_e32 v231, v72 /*v328*/, v146
	v_mul_i32_i24_e32 v232, v73 /*v329*/, v148
	;; [unrolled: 1-line block ×4, first 2 shown]
	s_set_vgpr_msb 20                       ;  msbs: dst=0 src0=0 src1=1 src2=1
	v_add3_u32 v230, v230, v120 /*v376*/, v122 /*v378*/
	s_set_vgpr_msb 1                        ;  msbs: dst=0 src0=1 src1=0 src2=0
	v_mul_i32_i24_e32 v233, v66 /*v322*/, v149
	v_mul_i32_i24_e32 v235, v68 /*v324*/, v151
	;; [unrolled: 1-line block ×3, first 2 shown]
	s_set_vgpr_msb 0x41                     ;  msbs: dst=1 src0=1 src1=0 src2=0
	v_mul_i32_i24_e32 v121 /*v377*/, v65 /*v321*/, v155
	s_set_vgpr_msb 20                       ;  msbs: dst=0 src0=0 src1=1 src2=1
	v_add3_u32 v230, v230, v127 /*v383*/, v124 /*v380*/
	v_bfe_u32 v195, v240, 24, 4
	s_set_vgpr_msb 1                        ;  msbs: dst=0 src0=1 src1=0 src2=0
	v_mul_i32_i24_e32 v243, v63 /*v319*/, v154
	s_set_vgpr_msb 0x41                     ;  msbs: dst=1 src0=1 src1=0 src2=0
	v_mul_i32_i24_e32 v120 /*v376*/, v64 /*v320*/, v189
	s_set_vgpr_msb 0                        ;  msbs: dst=0 src0=0 src1=0 src2=0
	v_dual_lshrrev_b32 v199, 28, v240 :: v_dual_bitop2_b32 v194, 15, v240 bitop3:0x40
	s_set_vgpr_msb 20                       ;  msbs: dst=0 src0=0 src1=1 src2=1
	v_add3_u32 v230, v230, v125 /*v381*/, v126 /*v382*/
	v_bfe_u32 v196, v240, 16, 4
	s_set_vgpr_msb 0x41                     ;  msbs: dst=1 src0=1 src1=0 src2=0
	v_mul_i32_i24_e32 v123 /*v379*/, v59 /*v315*/, v193
	v_mul_i32_i24_e32 v125 /*v381*/, v61 /*v317*/, v195
	s_set_vgpr_msb 20                       ;  msbs: dst=0 src0=0 src1=1 src2=1
	v_bfe_u32 v197, v240, 4, 4
	v_add3_u32 v230, v230, v131 /*v387*/, v129 /*v385*/
	s_set_vgpr_msb 0x41                     ;  msbs: dst=1 src0=1 src1=0 src2=0
	v_mul_i32_i24_e32 v122 /*v378*/, v58 /*v314*/, v194
	v_mul_i32_i24_e32 v124 /*v380*/, v60 /*v316*/, v196
	s_set_vgpr_msb 0                        ;  msbs: dst=0 src0=0 src1=0 src2=0
	v_bfe_u32 v198, v240, 12, 4
	v_bfe_u32 v200, v240, 20, 4
	s_set_vgpr_msb 0x54                     ;  msbs: dst=1 src0=0 src1=1 src2=1
	v_add3_u32 v7 /*v263*/, v230, v128 /*v384*/, v130 /*v386*/
	s_set_vgpr_msb 1                        ;  msbs: dst=0 src0=1 src1=0 src2=0
	v_mul_i32_i24_e32 v230, v71 /*v327*/, v147
	s_set_vgpr_msb 0x41                     ;  msbs: dst=1 src0=1 src1=0 src2=0
	v_mul_i32_i24_e32 v126 /*v382*/, v53 /*v309*/, v197
	v_mul_i32_i24_e32 v129 /*v385*/, v56 /*v312*/, v199
	s_set_vgpr_msb 0                        ;  msbs: dst=0 src0=0 src1=0 src2=0
	v_bfe_u32 v201, v241, 8, 4
	v_bfe_u32 v204, v241, 24, 4
	s_set_vgpr_msb 1                        ;  msbs: dst=0 src0=1 src1=0 src2=0
	v_mad_i32_i24 v230, v70 /*v326*/, v145, v230
	s_set_vgpr_msb 0x41                     ;  msbs: dst=1 src0=1 src1=0 src2=0
	v_mul_i32_i24_e32 v127 /*v383*/, v54 /*v310*/, v198
	v_mul_i32_i24_e32 v128 /*v384*/, v55 /*v311*/, v200
	s_set_vgpr_msb 0                        ;  msbs: dst=0 src0=0 src1=0 src2=0
	v_dual_lshrrev_b32 v209, 28, v242 :: v_dual_bitop2_b32 v202, 15, v241 bitop3:0x40
	v_add3_u32 v230, v230, v231, v232
	v_bfe_u32 v203, v241, 16, 4
	s_set_vgpr_msb 64                       ;  msbs: dst=1 src0=0 src1=0 src2=0
	v_mul_i32_i24_e32 v131 /*v387*/, v93, v201
	s_set_vgpr_msb 0x41                     ;  msbs: dst=1 src0=1 src1=0 src2=0
	v_mul_i32_i24_e32 v133 /*v389*/, v42 /*v298*/, v204
	s_set_vgpr_msb 0                        ;  msbs: dst=0 src0=0 src1=0 src2=0
	v_and_b32_e32 v232, 15, v92
	v_add3_u32 v230, v230, v236, v234
	s_set_vgpr_msb 64                       ;  msbs: dst=1 src0=0 src1=0 src2=0
	v_mul_i32_i24_e32 v130 /*v386*/, v80, v202
	s_set_vgpr_msb 0x41                     ;  msbs: dst=1 src0=1 src1=0 src2=0
	v_mul_i32_i24_e32 v132 /*v388*/, v41 /*v297*/, v203
	s_set_vgpr_msb 0                        ;  msbs: dst=0 src0=0 src1=0 src2=0
	v_bfe_u32 v231, v92, 24, 4
	v_bfe_u32 v234, v92, 16, 4
	v_add3_u32 v230, v230, v233, v235
	v_bfe_u32 v233, v92, 8, 4
	v_bfe_u32 v235, v241, 4, 4
	;; [unrolled: 1-line block ×3, first 2 shown]
	s_set_vgpr_msb 4                        ;  msbs: dst=0 src0=0 src1=1 src2=0
	v_mul_i32_i24_e32 v92, v234, v9 /*v265*/
	v_add3_u32 v230, v230, v121 /*v377*/, v237
	s_set_vgpr_msb 64                       ;  msbs: dst=1 src0=0 src1=0 src2=0
	v_mul_i32_i24_e32 v121 /*v377*/, v232, v238
	s_set_vgpr_msb 0                        ;  msbs: dst=0 src0=0 src1=0 src2=0
	v_lshrrev_b32_e32 v237, 28, v241
	s_set_vgpr_msb 4                        ;  msbs: dst=0 src0=0 src1=1 src2=0
	v_mul_i32_i24_e32 v239, v145, v15 /*v271*/
	v_mul_i32_i24_e32 v244, v147, v16 /*v272*/
	s_set_vgpr_msb 16                       ;  msbs: dst=0 src0=0 src1=0 src2=1
	v_add3_u32 v230, v230, v243, v120 /*v376*/
	s_set_vgpr_msb 0x54                     ;  msbs: dst=1 src0=0 src1=1 src2=1
	v_mad_i32_i24 v121 /*v377*/, v233, v8 /*v264*/, v121 /*v377*/
	s_set_vgpr_msb 4                        ;  msbs: dst=0 src0=0 src1=1 src2=0
	v_mul_i32_i24_e32 v245, v146, v17 /*v273*/
	s_set_vgpr_msb 0x44                     ;  msbs: dst=1 src0=0 src1=1 src2=0
	v_mul_i32_i24_e32 v11 /*v267*/, v148, v38 /*v294*/
	s_set_vgpr_msb 0x41                     ;  msbs: dst=1 src0=1 src1=0 src2=0
	v_mul_i32_i24_e32 v13 /*v269*/, v18 /*v274*/, v149
	s_set_vgpr_msb 20                       ;  msbs: dst=0 src0=0 src1=1 src2=1
	v_add3_u32 v230, v230, v125 /*v381*/, v123 /*v379*/
	s_set_vgpr_msb 0x41                     ;  msbs: dst=1 src0=1 src1=0 src2=0
	v_mul_i32_i24_e32 v14 /*v270*/, v19 /*v275*/, v150
	v_mul_i32_i24_e32 v76 /*v332*/, v20 /*v276*/, v151
	v_mul_i32_i24_e32 v77 /*v333*/, v37 /*v293*/, v152
	v_mul_i32_i24_e32 v78 /*v334*/, v21 /*v277*/, v153
	s_set_vgpr_msb 20                       ;  msbs: dst=0 src0=0 src1=1 src2=1
	v_add3_u32 v230, v230, v122 /*v378*/, v124 /*v380*/
	s_set_vgpr_msb 0x41                     ;  msbs: dst=1 src0=1 src1=0 src2=0
	v_mul_i32_i24_e32 v79 /*v335*/, v22 /*v278*/, v154
	v_mul_i32_i24_e32 v80 /*v336*/, v35 /*v291*/, v155
	v_mul_i32_i24_e32 v81 /*v337*/, v23 /*v279*/, v189
	;; [unrolled: 7-line block ×3, first 2 shown]
	v_mul_i32_i24_e32 v86 /*v342*/, v28 /*v284*/, v198
	s_set_vgpr_msb 20                       ;  msbs: dst=0 src0=0 src1=1 src2=1
	v_add3_u32 v230, v230, v127 /*v383*/, v128 /*v384*/
	s_set_vgpr_msb 0x41                     ;  msbs: dst=1 src0=1 src1=0 src2=0
	v_mul_i32_i24_e32 v87 /*v343*/, v27 /*v283*/, v197
	s_set_vgpr_msb 1                        ;  msbs: dst=0 src0=1 src1=0 src2=0
	v_mul_i32_i24_e32 v240, v31 /*v287*/, v199
	s_set_vgpr_msb 0x41                     ;  msbs: dst=1 src0=1 src1=0 src2=0
	v_mul_i32_i24_e32 v88 /*v344*/, v29 /*v285*/, v200
	s_set_vgpr_msb 64                       ;  msbs: dst=1 src0=0 src1=0 src2=0
	v_mul_i32_i24_e32 v89 /*v345*/, v94, v202
	s_set_vgpr_msb 20                       ;  msbs: dst=0 src0=0 src1=1 src2=1
	v_add3_u32 v230, v230, v133 /*v389*/, v131 /*v387*/
	s_set_vgpr_msb 64                       ;  msbs: dst=1 src0=0 src1=0 src2=0
	v_mul_i32_i24_e32 v90 /*v346*/, v95, v201
	s_set_vgpr_msb 0x41                     ;  msbs: dst=1 src0=1 src1=0 src2=0
	v_mul_i32_i24_e32 v91 /*v347*/, v24 /*v280*/, v203
	s_set_vgpr_msb 64                       ;  msbs: dst=1 src0=0 src1=0 src2=0
	v_pk_mul_f16 v120 /*v376*/, v144, v87
	s_set_vgpr_msb 20                       ;  msbs: dst=0 src0=0 src1=1 src2=1
	v_and_b32_e32 v227, 15, v75 /*v331*/
	v_add3_u32 v243, v230, v130 /*v386*/, v132 /*v388*/
	v_bfe_u32 v230, v241, 20, 4
	v_mul_i32_i24_e32 v241, v231, v10 /*v266*/
	v_bfe_u32 v208, v242, 12, 4
	v_bfe_u32 v207, v242, 20, 4
	;; [unrolled: 1-line block ×3, first 2 shown]
	s_set_vgpr_msb 64                       ;  msbs: dst=1 src0=0 src1=0 src2=0
	v_pk_mul_f16 v6 /*v262*/, v115, v87
	s_set_vgpr_msb 1                        ;  msbs: dst=0 src0=1 src1=0 src2=0
	v_add3_u32 v92, v121 /*v377*/, v92, v241
	s_set_vgpr_msb 0                        ;  msbs: dst=0 src0=0 src1=0 src2=0
	v_mul_i32_i24_e32 v241, v105, v236
	s_set_vgpr_msb 0x44                     ;  msbs: dst=1 src0=0 src1=1 src2=0
	v_mul_i32_i24_e32 v94 /*v350*/, v208, v16 /*v272*/
	v_mul_i32_i24_e32 v93 /*v349*/, v206, v15 /*v271*/
	;; [unrolled: 1-line block ×3, first 2 shown]
	s_set_vgpr_msb 0                        ;  msbs: dst=0 src0=0 src1=0 src2=0
	v_add3_u32 v92, v92, v244, v239
	v_mul_i32_i24_e32 v239, v107, v235
	s_set_vgpr_msb 1                        ;  msbs: dst=0 src0=1 src1=0 src2=0
	v_mul_i32_i24_e32 v244, v117 /*v373*/, v233
	s_set_vgpr_msb 0x44                     ;  msbs: dst=1 src0=0 src1=1 src2=0
	v_mul_i32_i24_e32 v96 /*v352*/, v209, v38 /*v294*/
	s_set_vgpr_msb 0x41                     ;  msbs: dst=1 src0=1 src1=0 src2=0
	v_mul_i32_i24_e32 v97 /*v353*/, v18 /*v274*/, v210
	s_set_vgpr_msb 16                       ;  msbs: dst=0 src0=0 src1=0 src2=1
	v_add3_u32 v92, v92, v245, v11 /*v267*/
	s_set_vgpr_msb 1                        ;  msbs: dst=0 src0=1 src1=0 src2=0
	v_mul_i32_i24_e32 v245, v118 /*v374*/, v234
	s_set_vgpr_msb 64                       ;  msbs: dst=1 src0=0 src1=0 src2=0
	v_mul_i32_i24_e32 v11 /*v267*/, v106, v230
	s_set_vgpr_msb 0x41                     ;  msbs: dst=1 src0=1 src1=0 src2=0
	v_mul_i32_i24_e32 v98 /*v354*/, v19 /*v275*/, v211
	v_mul_i32_i24_e32 v99 /*v355*/, v20 /*v276*/, v212
	s_set_vgpr_msb 20                       ;  msbs: dst=0 src0=0 src1=1 src2=1
	v_add3_u32 v92, v92, v14 /*v270*/, v13 /*v269*/
	s_set_vgpr_msb 0x41                     ;  msbs: dst=1 src0=1 src1=0 src2=0
	v_mul_i32_i24_e32 v13 /*v269*/, v119 /*v375*/, v231
	s_set_vgpr_msb 64                       ;  msbs: dst=1 src0=0 src1=0 src2=0
	v_mul_i32_i24_e32 v14 /*v270*/, v104, v237
	s_set_vgpr_msb 0x41                     ;  msbs: dst=1 src0=1 src1=0 src2=0
	v_mul_i32_i24_e32 v100 /*v356*/, v37 /*v293*/, v213
	v_mul_i32_i24_e32 v101 /*v357*/, v21 /*v277*/, v214
	s_set_vgpr_msb 20                       ;  msbs: dst=0 src0=0 src1=1 src2=1
	v_add3_u32 v92, v92, v76 /*v332*/, v77 /*v333*/
	s_set_vgpr_msb 64                       ;  msbs: dst=1 src0=0 src1=0 src2=0
	v_mul_i32_i24_e32 v76 /*v332*/, v246, v235
	v_mul_i32_i24_e32 v77 /*v333*/, v247, v236
	s_set_vgpr_msb 0x41                     ;  msbs: dst=1 src0=1 src1=0 src2=0
	v_mul_i32_i24_e32 v102 /*v358*/, v22 /*v278*/, v215
	v_mul_i32_i24_e32 v103 /*v359*/, v35 /*v291*/, v216
	s_set_vgpr_msb 20                       ;  msbs: dst=0 src0=0 src1=1 src2=1
	v_add3_u32 v92, v92, v78 /*v334*/, v79 /*v335*/
	s_set_vgpr_msb 64                       ;  msbs: dst=1 src0=0 src1=0 src2=0
	v_mul_i32_i24_e32 v78 /*v334*/, v103, v204
	;; [unrolled: 8-line block ×3, first 2 shown]
	s_set_vgpr_msb 0x41                     ;  msbs: dst=1 src0=1 src1=0 src2=0
	v_mul_i32_i24_e32 v106 /*v362*/, v26 /*v282*/, v218
	v_mul_i32_i24_e32 v81 /*v337*/, v53 /*v309*/, v222
	;; [unrolled: 1-line block ×3, first 2 shown]
	s_set_vgpr_msb 20                       ;  msbs: dst=0 src0=0 src1=1 src2=1
	v_add3_u32 v92, v92, v83 /*v339*/, v82 /*v338*/
	v_add3_u32 v243, v243, v80 /*v336*/, v76 /*v332*/
	s_set_vgpr_msb 0x41                     ;  msbs: dst=1 src0=1 src1=0 src2=0
	v_mul_i32_i24_e32 v80 /*v336*/, v61 /*v317*/, v220
	v_mul_i32_i24_e32 v108 /*v364*/, v30 /*v286*/, v221
	s_set_vgpr_msb 1                        ;  msbs: dst=0 src0=1 src1=0 src2=0
	v_bfe_u32 v226, v75 /*v331*/, 8, 4
	s_set_vgpr_msb 20                       ;  msbs: dst=0 src0=0 src1=1 src2=1
	v_add3_u32 v92, v92, v85 /*v341*/, v84 /*v340*/
	v_add3_u32 v243, v243, v77 /*v333*/, v79 /*v335*/
	s_set_vgpr_msb 0x41                     ;  msbs: dst=1 src0=1 src1=0 src2=0
	v_mul_i32_i24_e32 v79 /*v335*/, v60 /*v316*/, v221
	v_mul_i32_i24_e32 v84 /*v340*/, v56 /*v312*/, v224
	s_set_vgpr_msb 1                        ;  msbs: dst=0 src0=1 src1=0 src2=0
	v_bfe_u32 v229, v75 /*v331*/, 24, 4
	s_set_vgpr_msb 20                       ;  msbs: dst=0 src0=0 src1=1 src2=1
	v_add3_u32 v92, v92, v87 /*v343*/, v86 /*v342*/
	s_set_vgpr_msb 0x41                     ;  msbs: dst=1 src0=1 src1=0 src2=0
	v_mul_i32_i24_e32 v82 /*v338*/, v54 /*v310*/, v223
	v_mul_i32_i24_e32 v83 /*v339*/, v55 /*v311*/, v225
	;; [unrolled: 1-line block ×4, first 2 shown]
	s_set_vgpr_msb 4                        ;  msbs: dst=0 src0=0 src1=1 src2=0
	v_add3_u32 v92, v92, v88 /*v344*/, v240
	s_set_vgpr_msb 0                        ;  msbs: dst=0 src0=0 src1=0 src2=0
	v_mul_i32_i24_e32 v240, v86, v232
	s_set_vgpr_msb 1                        ;  msbs: dst=0 src0=1 src1=0 src2=0
	v_bfe_u32 v228, v75 /*v331*/, 16, 4
	s_set_vgpr_msb 64                       ;  msbs: dst=1 src0=0 src1=0 src2=0
	v_mul_i32_i24_e32 v86 /*v342*/, v93, v226
	s_set_vgpr_msb 0x41                     ;  msbs: dst=1 src0=1 src1=0 src2=0
	v_mul_i32_i24_e32 v88 /*v344*/, v42 /*v298*/, v229
	s_set_vgpr_msb 20                       ;  msbs: dst=0 src0=0 src1=1 src2=1
	v_add3_u32 v92, v92, v90 /*v346*/, v89 /*v345*/
	s_set_vgpr_msb 0                        ;  msbs: dst=0 src0=0 src1=0 src2=0
	v_add3_u32 v240, v243, v240, v244
	s_set_vgpr_msb 4                        ;  msbs: dst=0 src0=0 src1=1 src2=0
	v_lshrrev_b32_e32 v243, 16, v120 /*v376*/
	s_set_vgpr_msb 0x41                     ;  msbs: dst=1 src0=1 src1=0 src2=0
	v_mul_i32_i24_e32 v111 /*v367*/, v31 /*v287*/, v224
	v_mul_i32_i24_e32 v112 /*v368*/, v29 /*v285*/, v225
	s_set_vgpr_msb 20                       ;  msbs: dst=0 src0=0 src1=1 src2=1
	v_add3_u32 v92, v92, v91 /*v347*/, v78 /*v334*/
	s_set_vgpr_msb 0x41                     ;  msbs: dst=1 src0=1 src1=0 src2=0
	v_mul_i32_i24_e32 v78 /*v334*/, v59 /*v315*/, v218
	s_set_vgpr_msb 64                       ;  msbs: dst=1 src0=0 src1=0 src2=0
	v_mul_i32_i24_e32 v85 /*v341*/, v80, v227
	s_set_vgpr_msb 0x41                     ;  msbs: dst=1 src0=1 src1=0 src2=0
	v_mul_i32_i24_e32 v87 /*v343*/, v41 /*v297*/, v228
	s_set_vgpr_msb 64                       ;  msbs: dst=1 src0=0 src1=0 src2=0
	v_mul_i32_i24_e32 v113 /*v369*/, v94, v227
	s_set_vgpr_msb 0                        ;  msbs: dst=0 src0=0 src1=0 src2=0
	v_add3_u32 v92, v92, v239, v241
	s_set_vgpr_msb 16                       ;  msbs: dst=0 src0=0 src1=0 src2=1
	v_add3_u32 v239, v240, v245, v13 /*v269*/
	v_cvt_f32_f16_e64 v245, v243
	s_set_vgpr_msb 4                        ;  msbs: dst=0 src0=0 src1=1 src2=0
	v_lshrrev_b32_e32 v243, 16, v92 /*v348*/
	s_set_vgpr_msb 1                        ;  msbs: dst=0 src0=1 src1=0 src2=0
	v_cvt_f32_f16_e64 v241, v120 /*v376*/
	s_set_vgpr_msb 20                       ;  msbs: dst=0 src0=0 src1=1 src2=1
	v_add3_u32 v92, v92, v11 /*v267*/, v14 /*v270*/
	s_set_vgpr_msb 1                        ;  msbs: dst=0 src0=1 src1=0 src2=0
	v_cvt_f32_f16_e64 v240, v92 /*v348*/
	s_set_vgpr_msb 64                       ;  msbs: dst=1 src0=0 src1=0 src2=0
	v_cvt_f32_i32_e32 v77 /*v333*/, v239
	s_set_vgpr_msb 0                        ;  msbs: dst=0 src0=0 src1=0 src2=0
	v_cvt_f32_f16_e64 v244, v243
	s_set_vgpr_msb 1                        ;  msbs: dst=0 src0=1 src1=0 src2=0
	v_mul_i32_i24_e32 v239, v72 /*v328*/, v207
	s_set_vgpr_msb 64                       ;  msbs: dst=1 src0=0 src1=0 src2=0
	v_cvt_f32_i32_e32 v76 /*v332*/, v92
	s_set_vgpr_msb 1                        ;  msbs: dst=0 src0=1 src1=0 src2=0
	v_mul_i32_i24_e32 v92, v71 /*v327*/, v208
	v_mul_i32_i24_e32 v243, v67 /*v323*/, v211
	s_set_vgpr_msb 0x41                     ;  msbs: dst=1 src0=1 src1=0 src2=0
	v_mul_i32_i24_e32 v11 /*v267*/, v62 /*v318*/, v214
	v_mul_i32_i24_e32 v13 /*v269*/, v63 /*v319*/, v215
	s_set_vgpr_msb 4                        ;  msbs: dst=0 src0=0 src1=1 src2=0
	v_pk_fma_f32 v[240:241], v[240:241], v[76:77] /*v[332:333]*/, v[244:245]
	s_set_vgpr_msb 1                        ;  msbs: dst=0 src0=1 src1=0 src2=0
	v_mad_i32_i24 v92, v70 /*v326*/, v206, v92
	v_mul_i32_i24_e32 v245, v69 /*v325*/, v213
	v_mul_i32_i24_e32 v244, v68 /*v324*/, v212
	s_set_vgpr_msb 0x41                     ;  msbs: dst=1 src0=1 src1=0 src2=0
	v_mul_i32_i24_e32 v76 /*v332*/, v65 /*v321*/, v216
	s_set_vgpr_msb 0                        ;  msbs: dst=0 src0=0 src1=0 src2=0
	v_pk_add_f32 v[32:33], v[32:33], v[240:241]
	s_set_vgpr_msb 1                        ;  msbs: dst=0 src0=1 src1=0 src2=0
	v_mul_i32_i24_e32 v240, v73 /*v329*/, v209
	v_mul_i32_i24_e32 v241, v66 /*v322*/, v210
	s_set_vgpr_msb 0x41                     ;  msbs: dst=1 src0=1 src1=0 src2=0
	v_mul_i32_i24_e32 v14 /*v270*/, v64 /*v320*/, v217
	v_mul_i32_i24_e32 v77 /*v333*/, v58 /*v314*/, v219
	s_set_vgpr_msb 64                       ;  msbs: dst=1 src0=0 src1=0 src2=0
	v_mul_i32_i24_e32 v114 /*v370*/, v95, v226
	s_set_vgpr_msb 0                        ;  msbs: dst=0 src0=0 src1=0 src2=0
	v_add3_u32 v92, v92, v239, v240
	v_and_b32_e32 v240, 15, v242
	v_bfe_u32 v239, v242, 24, 4
	s_set_vgpr_msb 0x41                     ;  msbs: dst=1 src0=1 src1=0 src2=0
	v_mul_i32_i24_e32 v115 /*v371*/, v24 /*v280*/, v228
	s_set_vgpr_msb 64                       ;  msbs: dst=1 src0=0 src1=0 src2=0
	v_mul_i32_i24_e32 v43 /*v299*/, v86, v253
	s_set_vgpr_msb 0                        ;  msbs: dst=0 src0=0 src1=0 src2=0
	v_add3_u32 v92, v92, v245, v243
	s_set_vgpr_msb 1                        ;  msbs: dst=0 src0=1 src1=0 src2=0
	v_bfe_u32 v243, v75 /*v331*/, 4, 4
	s_set_vgpr_msb 0x44                     ;  msbs: dst=1 src0=0 src1=1 src2=0
	v_mul_i32_i24_e32 v10 /*v266*/, v239, v10 /*v266*/
	s_set_vgpr_msb 4                        ;  msbs: dst=0 src0=0 src1=1 src2=0
	v_lshrrev_b32_e32 v245, 28, v75 /*v331*/
	s_set_vgpr_msb 0                        ;  msbs: dst=0 src0=0 src1=0 src2=0
	v_mul_i32_i24_e32 v252, v86, v118
	v_add3_u32 v92, v92, v241, v244
	v_bfe_u32 v241, v242, 8, 4
	v_bfe_u32 v242, v242, 16, 4
	s_set_vgpr_msb 1                        ;  msbs: dst=0 src0=1 src1=0 src2=0
	v_bfe_u32 v244, v75 /*v331*/, 12, 4
	s_set_vgpr_msb 0                        ;  msbs: dst=0 src0=0 src1=0 src2=0
	v_mul_i32_i24_e32 v86, v86, v240
	s_set_vgpr_msb 20                       ;  msbs: dst=0 src0=0 src1=1 src2=1
	v_add3_u32 v92, v92, v76 /*v332*/, v11 /*v267*/
	s_set_vgpr_msb 64                       ;  msbs: dst=1 src0=0 src1=0 src2=0
	v_pk_mul_f16 v11 /*v267*/, v205, v87
	s_set_vgpr_msb 0                        ;  msbs: dst=0 src0=0 src1=0 src2=0
	v_mul_i32_i24_e32 v87, v240, v238
	s_set_vgpr_msb 0x44                     ;  msbs: dst=1 src0=0 src1=1 src2=0
	v_mul_i32_i24_e32 v9 /*v265*/, v242, v9 /*v265*/
	s_set_vgpr_msb 1                        ;  msbs: dst=0 src0=1 src1=0 src2=0
	v_bfe_u32 v238, v75 /*v331*/, 20, 4
	s_set_vgpr_msb 20                       ;  msbs: dst=0 src0=0 src1=1 src2=1
	v_add3_u32 v92, v92, v13 /*v269*/, v14 /*v270*/
	s_set_vgpr_msb 0x41                     ;  msbs: dst=1 src0=1 src1=0 src2=0
	v_mul_i32_i24_e32 v13 /*v269*/, v118 /*v374*/, v242
	s_set_vgpr_msb 4                        ;  msbs: dst=0 src0=0 src1=1 src2=0
	v_mad_i32_i24 v87, v241, v8 /*v264*/, v87
	s_set_vgpr_msb 64                       ;  msbs: dst=1 src0=0 src1=0 src2=0
	v_mul_i32_i24_e32 v8 /*v264*/, v107, v243
	v_mul_i32_i24_e32 v14 /*v270*/, v106, v238
	s_set_vgpr_msb 20                       ;  msbs: dst=0 src0=0 src1=1 src2=1
	v_add3_u32 v92, v92, v80 /*v336*/, v78 /*v334*/
	s_set_vgpr_msb 64                       ;  msbs: dst=1 src0=0 src1=0 src2=0
	v_mul_i32_i24_e32 v78 /*v334*/, v247, v244
	s_set_vgpr_msb 20                       ;  msbs: dst=0 src0=0 src1=1 src2=1
	v_add3_u32 v87, v87, v9 /*v265*/, v10 /*v266*/
	s_set_vgpr_msb 64                       ;  msbs: dst=1 src0=0 src1=0 src2=0
	v_mul_i32_i24_e32 v80 /*v336*/, v248, v238
	v_mul_i32_i24_e32 v9 /*v265*/, v105, v244
	s_set_vgpr_msb 20                       ;  msbs: dst=0 src0=0 src1=1 src2=1
	v_add3_u32 v92, v92, v77 /*v333*/, v79 /*v335*/
	s_set_vgpr_msb 64                       ;  msbs: dst=1 src0=0 src1=0 src2=0
	v_mul_i32_i24_e32 v77 /*v333*/, v246, v243
	s_set_vgpr_msb 20                       ;  msbs: dst=0 src0=0 src1=1 src2=1
	v_add3_u32 v87, v87, v94 /*v350*/, v93 /*v349*/
	s_set_vgpr_msb 64                       ;  msbs: dst=1 src0=0 src1=0 src2=0
	v_mul_i32_i24_e32 v79 /*v335*/, v103, v229
	s_set_vgpr_msb 0x41                     ;  msbs: dst=1 src0=1 src1=0 src2=0
	v_mul_i32_i24_e32 v10 /*v266*/, v117 /*v373*/, v241
	s_set_vgpr_msb 20                       ;  msbs: dst=0 src0=0 src1=1 src2=1
	v_add3_u32 v92, v92, v84 /*v340*/, v81 /*v337*/
	s_set_vgpr_msb 64                       ;  msbs: dst=1 src0=0 src1=0 src2=0
	v_mul_i32_i24_e32 v81 /*v337*/, v249, v245
	s_set_vgpr_msb 20                       ;  msbs: dst=0 src0=0 src1=1 src2=1
	v_add3_u32 v87, v87, v95 /*v351*/, v96 /*v352*/
	s_set_vgpr_msb 0x41                     ;  msbs: dst=1 src0=1 src1=0 src2=0
	v_mul_i32_i24_e32 v75 /*v331*/, v119 /*v375*/, v239
	s_set_vgpr_msb 64                       ;  msbs: dst=1 src0=0 src1=0 src2=0
	v_mul_i32_i24_e32 v76 /*v332*/, v104, v245
	s_set_vgpr_msb 20                       ;  msbs: dst=0 src0=0 src1=1 src2=1
	v_add3_u32 v92, v92, v82 /*v338*/, v83 /*v339*/
	s_set_vgpr_msb 0x41                     ;  msbs: dst=1 src0=1 src1=0 src2=0
	v_mul_i32_i24_e32 v37 /*v293*/, v37 /*v293*/, v113
	s_set_vgpr_msb 20                       ;  msbs: dst=0 src0=0 src1=1 src2=1
	v_add3_u32 v87, v87, v98 /*v354*/, v97 /*v353*/
	s_set_vgpr_msb 0x41                     ;  msbs: dst=1 src0=1 src1=0 src2=0
	v_mul_i32_i24_e32 v33 /*v289*/, v33 /*v289*/, v114
	s_set_vgpr_msb 0x44                     ;  msbs: dst=1 src0=0 src1=1 src2=0
	v_mul_i32_i24_e32 v51 /*v307*/, v246, v3 /*v259*/
	s_set_vgpr_msb 20                       ;  msbs: dst=0 src0=0 src1=1 src2=1
	v_add3_u32 v92, v92, v88 /*v344*/, v86 /*v342*/
	s_set_vgpr_msb 0x44                     ;  msbs: dst=1 src0=0 src1=1 src2=0
	v_mul_i32_i24_e32 v52 /*v308*/, v247, v4 /*v260*/
	s_set_vgpr_msb 20                       ;  msbs: dst=0 src0=0 src1=1 src2=1
	v_add3_u32 v87, v87, v99 /*v355*/, v100 /*v356*/
	s_set_vgpr_msb 0x45                     ;  msbs: dst=1 src0=1 src1=1 src2=0
	v_mul_i32_i24_e32 v45 /*v301*/, v117 /*v373*/, v1 /*v257*/
	v_mul_i32_i24_e32 v48 /*v304*/, v118 /*v374*/, v2 /*v258*/
	s_set_vgpr_msb 20                       ;  msbs: dst=0 src0=0 src1=1 src2=1
	v_add3_u32 v92, v92, v85 /*v341*/, v87 /*v343*/
	s_set_vgpr_msb 0x41                     ;  msbs: dst=1 src0=1 src1=0 src2=0
	v_mul_i32_i24_e32 v50 /*v306*/, v119 /*v375*/, v251
	s_set_vgpr_msb 20                       ;  msbs: dst=0 src0=0 src1=1 src2=1
	v_add3_u32 v87, v87, v101 /*v357*/, v102 /*v358*/
	v_cvt_f32_f16_e32 v90, v90
	s_set_vgpr_msb 0x41                     ;  msbs: dst=1 src0=1 src1=0 src2=0
	v_mul_i32_i24_e32 v0 /*v256*/, v119 /*v375*/, v117
	s_set_vgpr_msb 20                       ;  msbs: dst=0 src0=0 src1=1 src2=1
	v_add3_u32 v92, v92, v81 /*v337*/, v77 /*v333*/
	s_set_vgpr_msb 1                        ;  msbs: dst=0 src0=1 src1=0 src2=0
	v_mul_i32_i24_e32 v254, v117 /*v373*/, v119
	s_set_vgpr_msb 20                       ;  msbs: dst=0 src0=0 src1=1 src2=1
	v_add3_u32 v87, v87, v104 /*v360*/, v103 /*v359*/
	s_set_vgpr_msb 1                        ;  msbs: dst=0 src0=1 src1=0 src2=0
	v_mul_i32_i24_e32 v255, v118 /*v374*/, v116
	s_set_vgpr_msb 20                       ;  msbs: dst=0 src0=0 src1=1 src2=1
	v_add3_u32 v92, v92, v78 /*v334*/, v80 /*v336*/
	v_add3_u32 v87, v87, v106 /*v362*/, v105 /*v361*/
	s_set_vgpr_msb 16                       ;  msbs: dst=0 src0=0 src1=0 src2=1
	s_delay_alu instid0(VALU_DEP_2) | instskip(SKIP_1) | instid1(VALU_DEP_2)
	v_add3_u32 v86, v92, v86, v10 /*v266*/
	s_set_vgpr_msb 20                       ;  msbs: dst=0 src0=0 src1=1 src2=1
	v_add3_u32 v87, v87, v108 /*v364*/, v107 /*v363*/
	s_set_vgpr_msb 0x54                     ;  msbs: dst=1 src0=0 src1=1 src2=1
	s_delay_alu instid0(VALU_DEP_2) | instskip(SKIP_4) | instid1(VALU_DEP_1)
	v_add3_u32 v10 /*v266*/, v86, v13 /*v269*/, v75 /*v331*/
	s_set_vgpr_msb 1                        ;  msbs: dst=0 src0=1 src1=0 src2=0
	v_cvt_f32_f16_e64 v86, v116 /*v372*/
	s_set_vgpr_msb 20                       ;  msbs: dst=0 src0=0 src1=1 src2=1
	v_add3_u32 v87, v87, v110 /*v366*/, v109 /*v365*/
	v_add3_u32 v87, v87, v112 /*v368*/, v111 /*v367*/
	s_delay_alu instid0(VALU_DEP_1) | instskip(NEXT) | instid1(VALU_DEP_1)
	v_add3_u32 v87, v87, v114 /*v370*/, v113 /*v369*/
	v_add3_u32 v87, v87, v115 /*v371*/, v79 /*v335*/
	s_delay_alu instid0(VALU_DEP_1) | instskip(SKIP_3) | instid1(VALU_DEP_2)
	v_add3_u32 v87, v87, v8 /*v264*/, v9 /*v265*/
	s_set_vgpr_msb 0x44                     ;  msbs: dst=1 src0=0 src1=1 src2=0
	v_lshrrev_b32_e32 v8 /*v264*/, 16, v11 /*v267*/
	s_set_vgpr_msb 20                       ;  msbs: dst=0 src0=0 src1=1 src2=1
	v_add3_u32 v92, v87, v14 /*v270*/, v76 /*v332*/
	s_set_vgpr_msb 0x41                     ;  msbs: dst=1 src0=1 src1=0 src2=0
	s_delay_alu instid0(VALU_DEP_2)
	v_cvt_f32_f16_e64 v9 /*v265*/, v8 /*v264*/
	s_set_vgpr_msb 0x44                     ;  msbs: dst=1 src0=0 src1=1 src2=0
	v_lshrrev_b32_e32 v8 /*v264*/, 16, v116 /*v372*/
	s_set_vgpr_msb 1                        ;  msbs: dst=0 src0=1 src1=0 src2=0
	v_cvt_f32_f16_e64 v87, v11 /*v267*/
	s_set_vgpr_msb 0x41                     ;  msbs: dst=1 src0=1 src1=0 src2=0
	v_cvt_f32_i32_e32 v11 /*v267*/, v10 /*v266*/
	s_set_vgpr_msb 64                       ;  msbs: dst=1 src0=0 src1=0 src2=0
	v_cvt_f32_i32_e32 v10 /*v266*/, v92
	v_bfe_u32 v14 /*v270*/, v84, 20, 4
	s_set_vgpr_msb 0x41                     ;  msbs: dst=1 src0=1 src1=0 src2=0
	v_cvt_f32_f16_e64 v8 /*v264*/, v8 /*v264*/
	s_set_vgpr_msb 20                       ;  msbs: dst=0 src0=0 src1=1 src2=1
	s_delay_alu instid0(VALU_DEP_1) | instskip(SKIP_1) | instid1(VALU_DEP_1)
	v_pk_fma_f32 v[86:87], v[86:87], v[10:11] /*v[266:267]*/, v[8:9] /*v[264:265]*/
	s_set_vgpr_msb 0                        ;  msbs: dst=0 src0=0 src1=0 src2=0
	v_pk_add_f32 v[30:31], v[30:31], v[86:87]
	v_add_nc_u32_e32 v87, 0x804, v97
	v_add_nc_u32_e32 v86, 0x800, v97
	s_set_vgpr_msb 64                       ;  msbs: dst=1 src0=0 src1=0 src2=0
	ds_load_2addr_b32 v[78:79] /*v[334:335]*/, v87 offset1:1
	s_set_vgpr_msb 0                        ;  msbs: dst=0 src0=0 src1=0 src2=0
	v_add_nc_u32_e32 v87, 0x814, v97
	s_set_vgpr_msb 64                       ;  msbs: dst=1 src0=0 src1=0 src2=0
	ds_load_2addr_b32 v[76:77] /*v[332:333]*/, v86 offset0:4 offset1:7
	ds_load_2addr_b32 v[80:81] /*v[336:337]*/, v87 offset1:1
	ds_load_2addr_b32 v[82:83] /*v[338:339]*/, v86 offset1:3
	s_set_vgpr_msb 0                        ;  msbs: dst=0 src0=0 src1=0 src2=0
	ds_load_2addr_b32 v[86:87], v96 offset0:64 offset1:96
	s_wait_dscnt 0x4
	s_set_vgpr_msb 0x41                     ;  msbs: dst=1 src0=1 src1=0 src2=0
	v_bfe_i32 v89 /*v345*/, v78 /*v334*/, 8, 8
	v_bfe_i32 v90 /*v346*/, v79 /*v335*/, 8, 8
	s_wait_dscnt 0x3
	v_bfe_i32 v8 /*v264*/, v77 /*v333*/, 0, 8
	v_bfe_i32 v9 /*v265*/, v77 /*v333*/, 8, 8
	;; [unrolled: 1-line block ×3, first 2 shown]
	s_wait_dscnt 0x1
	s_set_vgpr_msb 0x44                     ;  msbs: dst=1 src0=0 src1=1 src2=0
	v_lshrrev_b16 v13 /*v269*/, 8, v82 /*v338*/
	v_ashrrev_i32_e32 v11 /*v267*/, 24, v77 /*v333*/
	s_set_vgpr_msb 4                        ;  msbs: dst=0 src0=0 src1=1 src2=0
	v_lshrrev_b16 v92, 8, v76 /*v332*/
	s_set_vgpr_msb 0x44                     ;  msbs: dst=1 src0=0 src1=1 src2=0
	v_ashrrev_i32_e32 v75 /*v331*/, 24, v82 /*v338*/
	s_set_vgpr_msb 0x41                     ;  msbs: dst=1 src0=1 src1=0 src2=0
	v_bfe_i32 v84 /*v340*/, v82 /*v338*/, 16, 8
	v_bfe_i32 v77 /*v333*/, v13 /*v269*/, 0, 8
	s_set_vgpr_msb 0x44                     ;  msbs: dst=1 src0=0 src1=1 src2=0
	v_and_b32_e32 v13 /*v269*/, 0xffff, v12 /*v268*/
	v_bfe_u32 v12 /*v268*/, v84, 4, 4
	s_set_vgpr_msb 0                        ;  msbs: dst=0 src0=0 src1=0 src2=0
	v_bfe_i32 v92, v92, 0, 8
	s_set_vgpr_msb 0x41                     ;  msbs: dst=1 src0=1 src1=0 src2=0
	v_bfe_i32 v91 /*v347*/, v83 /*v339*/, 16, 8
	v_bfe_i32 v92 /*v348*/, v83 /*v339*/, 8, 8
	v_bfe_i32 v82 /*v338*/, v82 /*v338*/, 0, 8
	s_set_vgpr_msb 5                        ;  msbs: dst=0 src0=1 src1=1 src2=0
	v_mul_i32_i24_e32 v84, v12 /*v268*/, v15 /*v271*/
	s_set_vgpr_msb 0x45                     ;  msbs: dst=1 src0=1 src1=1 src2=0
	v_mul_i32_i24_e32 v15 /*v271*/, v13 /*v269*/, v16 /*v272*/
	v_mul_i32_i24_e32 v16 /*v272*/, v14 /*v270*/, v17 /*v273*/
	s_set_vgpr_msb 0x44                     ;  msbs: dst=1 src0=0 src1=1 src2=0
	v_mul_i32_i24_e32 v17 /*v273*/, v111, v38 /*v294*/
	s_set_vgpr_msb 0x45                     ;  msbs: dst=1 src0=1 src1=1 src2=0
	v_mul_i32_i24_e32 v38 /*v294*/, v13 /*v269*/, v71 /*v327*/
	v_mul_i32_i24_e32 v71 /*v327*/, v14 /*v270*/, v72 /*v328*/
	s_set_vgpr_msb 5                        ;  msbs: dst=0 src0=1 src1=1 src2=0
	v_add3_u32 v84, v74 /*v330*/, v15 /*v271*/, v84
	s_set_vgpr_msb 0x44                     ;  msbs: dst=1 src0=0 src1=1 src2=0
	v_and_b32_e32 v15 /*v271*/, 0xffff, v40 /*v296*/
	v_mul_i32_i24_e32 v72 /*v328*/, v111, v73 /*v329*/
	s_set_vgpr_msb 0x55                     ;  msbs: dst=1 src0=1 src1=1 src2=1
	v_mad_i32_i24 v38 /*v294*/, v12 /*v268*/, v70 /*v326*/, v38 /*v294*/
	v_ashrrev_i32_e32 v70 /*v326*/, 24, v76 /*v332*/
	s_set_vgpr_msb 20                       ;  msbs: dst=0 src0=0 src1=1 src2=1
	v_add3_u32 v84, v84, v16 /*v272*/, v17 /*v273*/
	s_set_vgpr_msb 64                       ;  msbs: dst=1 src0=0 src1=0 src2=0
	v_and_b32_e32 v17 /*v273*/, 15, v85
	v_bfe_u32 v16 /*v272*/, v85, 16, 4
	s_set_vgpr_msb 0x55                     ;  msbs: dst=1 src0=1 src1=1 src2=1
	v_mul_i32_i24_e32 v19 /*v275*/, v19 /*v275*/, v15 /*v271*/
	v_add3_u32 v38 /*v294*/, v38 /*v294*/, v71 /*v327*/, v72 /*v328*/
	s_set_vgpr_msb 0x44                     ;  msbs: dst=1 src0=0 src1=1 src2=0
	v_mul_i32_i24_e32 v57 /*v313*/, v249, v5 /*v261*/
	s_set_vgpr_msb 0x45                     ;  msbs: dst=1 src0=1 src1=1 src2=0
	v_mul_i32_i24_e32 v18 /*v274*/, v18 /*v274*/, v17 /*v273*/
	v_mul_i32_i24_e32 v20 /*v276*/, v20 /*v276*/, v16 /*v272*/
	;; [unrolled: 1-line block ×5, first 2 shown]
	s_set_vgpr_msb 20                       ;  msbs: dst=0 src0=0 src1=1 src2=1
	v_add3_u32 v84, v84, v19 /*v275*/, v18 /*v274*/
	s_set_vgpr_msb 0x44                     ;  msbs: dst=1 src0=0 src1=1 src2=0
	v_and_b32_e32 v18 /*v274*/, 0xffff, v39 /*v295*/
	s_set_vgpr_msb 0x41                     ;  msbs: dst=1 src0=1 src1=0 src2=0
	v_mul_i32_i24_e32 v68 /*v324*/, v69 /*v325*/, v113
	s_set_vgpr_msb 0x44                     ;  msbs: dst=1 src0=0 src1=1 src2=0
	v_bfe_u32 v19 /*v275*/, v85, 20, 4
	v_mul_i32_i24_e32 v49 /*v305*/, v104, v5 /*v261*/
	s_set_vgpr_msb 20                       ;  msbs: dst=0 src0=0 src1=1 src2=1
	v_add3_u32 v84, v84, v20 /*v276*/, v37 /*v293*/
	s_set_vgpr_msb 64                       ;  msbs: dst=1 src0=0 src1=0 src2=0
	v_bfe_u32 v20 /*v276*/, v85, 4, 4
	s_set_vgpr_msb 0x55                     ;  msbs: dst=1 src0=1 src1=1 src2=1
	v_add3_u32 v38 /*v294*/, v38 /*v294*/, v68 /*v324*/, v66 /*v322*/
	v_mul_i32_i24_e32 v39 /*v295*/, v63 /*v319*/, v18 /*v274*/
	s_set_vgpr_msb 0x41                     ;  msbs: dst=1 src0=1 src1=0 src2=0
	v_mul_i32_i24_e32 v63 /*v319*/, v65 /*v321*/, v109
	v_bfe_i32 v71 /*v327*/, v76 /*v332*/, 0, 8
	s_set_vgpr_msb 5                        ;  msbs: dst=0 src0=1 src1=1 src2=0
	v_mul_i32_i24_e32 v85, v21 /*v277*/, v20 /*v276*/
	s_set_vgpr_msb 0x45                     ;  msbs: dst=1 src0=1 src1=1 src2=0
	v_mul_i32_i24_e32 v21 /*v277*/, v22 /*v278*/, v18 /*v274*/
	v_mul_i32_i24_e32 v22 /*v278*/, v23 /*v279*/, v19 /*v275*/
	s_set_vgpr_msb 0x41                     ;  msbs: dst=1 src0=1 src1=0 src2=0
	v_mul_i32_i24_e32 v23 /*v279*/, v35 /*v291*/, v109
	s_set_vgpr_msb 0x55                     ;  msbs: dst=1 src0=1 src1=1 src2=1
	v_add3_u32 v38 /*v294*/, v38 /*v294*/, v40 /*v296*/, v67 /*v323*/
	v_mul_i32_i24_e32 v35 /*v291*/, v62 /*v318*/, v20 /*v276*/
	s_set_vgpr_msb 16                       ;  msbs: dst=0 src0=0 src1=0 src2=1
	v_add3_u32 v84, v84, v85, v21 /*v277*/
	s_set_vgpr_msb 0x55                     ;  msbs: dst=1 src0=1 src1=1 src2=1
	v_and_b32_e32 v21 /*v277*/, 0xffff, v36 /*v292*/
	v_mul_i32_i24_e32 v62 /*v318*/, v64 /*v320*/, v19 /*v275*/
	v_bfe_i32 v72 /*v328*/, v76 /*v332*/, 16, 8
	v_add3_u32 v35 /*v291*/, v38 /*v294*/, v63 /*v319*/, v35 /*v291*/
	s_set_vgpr_msb 20                       ;  msbs: dst=0 src0=0 src1=1 src2=1
	v_add3_u32 v84, v84, v22 /*v278*/, v23 /*v279*/
	s_set_vgpr_msb 64                       ;  msbs: dst=1 src0=0 src1=0 src2=0
	v_and_b32_e32 v23 /*v279*/, 15, v82
	v_bfe_u32 v22 /*v278*/, v82, 16, 4
	s_set_vgpr_msb 0x55                     ;  msbs: dst=1 src0=1 src1=1 src2=1
	v_mul_i32_i24_e32 v26 /*v282*/, v26 /*v282*/, v21 /*v277*/
	v_add3_u32 v35 /*v291*/, v35 /*v291*/, v39 /*v295*/, v62 /*v318*/
	v_ashrrev_i32_e32 v69 /*v325*/, 24, v78 /*v334*/
	v_mul_i32_i24_e32 v25 /*v281*/, v25 /*v281*/, v23 /*v279*/
	v_mul_i32_i24_e32 v30 /*v286*/, v30 /*v286*/, v22 /*v278*/
	;; [unrolled: 1-line block ×5, first 2 shown]
	s_set_vgpr_msb 0x41                     ;  msbs: dst=1 src0=1 src1=0 src2=0
	v_mul_i32_i24_e32 v60 /*v316*/, v61 /*v317*/, v114
	s_set_vgpr_msb 20                       ;  msbs: dst=0 src0=0 src1=1 src2=1
	v_add3_u32 v84, v84, v26 /*v282*/, v25 /*v281*/
	s_set_vgpr_msb 0x44                     ;  msbs: dst=1 src0=0 src1=1 src2=0
	v_and_b32_e32 v25 /*v281*/, 0xffff, v34 /*v290*/
	v_bfe_u32 v26 /*v282*/, v82, 20, 4
	s_set_vgpr_msb 0x55                     ;  msbs: dst=1 src0=1 src1=1 src2=1
	v_bfe_i32 v76 /*v332*/, v78 /*v334*/, 16, 8
	v_add3_u32 v35 /*v291*/, v35 /*v291*/, v60 /*v316*/, v58 /*v314*/
	s_set_vgpr_msb 20                       ;  msbs: dst=0 src0=0 src1=1 src2=1
	v_add3_u32 v84, v84, v30 /*v286*/, v33 /*v289*/
	s_set_vgpr_msb 64                       ;  msbs: dst=1 src0=0 src1=0 src2=0
	v_bfe_u32 v30 /*v286*/, v82, 4, 4
	s_set_vgpr_msb 0x55                     ;  msbs: dst=1 src0=1 src1=1 src2=1
	v_mul_i32_i24_e32 v33 /*v289*/, v54 /*v310*/, v25 /*v281*/
	v_mul_i32_i24_e32 v34 /*v290*/, v55 /*v311*/, v26 /*v282*/
	v_add3_u32 v35 /*v291*/, v35 /*v291*/, v36 /*v292*/, v59 /*v315*/
	v_bfe_i32 v78 /*v334*/, v78 /*v334*/, 0, 8
	s_set_vgpr_msb 5                        ;  msbs: dst=0 src0=1 src1=1 src2=0
	v_mul_i32_i24_e32 v82, v27 /*v283*/, v30 /*v286*/
	s_set_vgpr_msb 0x45                     ;  msbs: dst=1 src0=1 src1=1 src2=0
	v_mul_i32_i24_e32 v27 /*v283*/, v28 /*v284*/, v25 /*v281*/
	v_mul_i32_i24_e32 v28 /*v284*/, v29 /*v285*/, v26 /*v282*/
	s_set_vgpr_msb 0x41                     ;  msbs: dst=1 src0=1 src1=0 src2=0
	v_mul_i32_i24_e32 v29 /*v285*/, v31 /*v287*/, v110
	s_set_vgpr_msb 0x45                     ;  msbs: dst=1 src0=1 src1=1 src2=0
	v_mul_i32_i24_e32 v31 /*v287*/, v53 /*v309*/, v30 /*v286*/
	s_set_vgpr_msb 0x41                     ;  msbs: dst=1 src0=1 src1=0 src2=0
	v_mul_i32_i24_e32 v53 /*v309*/, v56 /*v312*/, v110
	s_set_vgpr_msb 16                       ;  msbs: dst=0 src0=0 src1=0 src2=1
	v_add3_u32 v82, v84, v82, v27 /*v283*/
	s_set_vgpr_msb 0x44                     ;  msbs: dst=1 src0=0 src1=1 src2=0
	v_dual_ashrrev_i32 v64 /*v320*/, 24, v80 /*v336*/ :: v_dual_ashrrev_i32 v61 /*v317*/, 24, v79 /*v335*/
	s_set_vgpr_msb 0x55                     ;  msbs: dst=1 src0=1 src1=1 src2=1
	v_bfe_i32 v65 /*v321*/, v80 /*v336*/, 16, 8
	v_add3_u32 v31 /*v287*/, v35 /*v291*/, v53 /*v309*/, v31 /*v287*/
	s_set_vgpr_msb 0x41                     ;  msbs: dst=1 src0=1 src1=0 src2=0
	v_mul_i32_i24_e32 v35 /*v291*/, v42 /*v298*/, v112
	s_set_vgpr_msb 20                       ;  msbs: dst=0 src0=0 src1=1 src2=1
	v_add3_u32 v82, v82, v28 /*v284*/, v29 /*v285*/
	s_set_vgpr_msb 64                       ;  msbs: dst=1 src0=0 src1=0 src2=0
	v_mul_i32_i24_e32 v42 /*v298*/, v248, v250
	s_set_vgpr_msb 0x55                     ;  msbs: dst=1 src0=1 src1=1 src2=1
	v_mul_i32_i24_e32 v73 /*v329*/, v72 /*v328*/, v14 /*v270*/
	v_add3_u32 v34 /*v290*/, v31 /*v287*/, v33 /*v289*/, v34 /*v290*/
	v_and_b32_e32 v31 /*v287*/, 0xffff, v32 /*v288*/
	s_set_vgpr_msb 64                       ;  msbs: dst=1 src0=0 src1=0 src2=0
	v_and_b32_e32 v33 /*v289*/, 15, v83
	v_bfe_u32 v32 /*v288*/, v83, 16, 4
	s_set_vgpr_msb 0x41                     ;  msbs: dst=1 src0=1 src1=0 src2=0
	v_mul_i32_i24_e32 v74 /*v330*/, v70 /*v326*/, v111
	s_set_vgpr_msb 0x45                     ;  msbs: dst=1 src0=1 src1=1 src2=0
	v_mul_i32_i24_e32 v37 /*v293*/, v78 /*v334*/, v17 /*v273*/
	s_set_vgpr_msb 4                        ;  msbs: dst=0 src0=0 src1=1 src2=0
	v_mul_i32_i24_e32 v93, v93, v31 /*v287*/
	v_mul_i32_i24_e32 v83, v94, v33 /*v289*/
	;; [unrolled: 1-line block ×3, first 2 shown]
	s_set_vgpr_msb 5                        ;  msbs: dst=0 src0=1 src1=1 src2=0
	v_mul_i32_i24_e32 v95, v24 /*v280*/, v32 /*v288*/
	s_set_vgpr_msb 4                        ;  msbs: dst=0 src0=0 src1=1 src2=0
	v_mul_i32_i24_e32 v80, v80, v33 /*v289*/
	s_set_vgpr_msb 0x45                     ;  msbs: dst=1 src0=1 src1=1 src2=0
	v_mul_i32_i24_e32 v24 /*v280*/, v41 /*v297*/, v32 /*v288*/
	s_set_vgpr_msb 5                        ;  msbs: dst=0 src0=1 src1=1 src2=0
	v_add3_u32 v93, v34 /*v290*/, v35 /*v291*/, v93
	s_set_vgpr_msb 64                       ;  msbs: dst=1 src0=0 src1=0 src2=0
	v_mul_i32_i24_e32 v41 /*v297*/, v103, v112
	s_set_vgpr_msb 0                        ;  msbs: dst=0 src0=0 src1=0 src2=0
	v_add3_u32 v82, v82, v94, v83
	s_set_vgpr_msb 0x45                     ;  msbs: dst=1 src0=1 src1=1 src2=0
	v_mul_i32_i24_e32 v40 /*v296*/, v89 /*v345*/, v15 /*v271*/
	v_mul_i32_i24_e32 v66 /*v322*/, v76 /*v332*/, v16 /*v272*/
	s_set_vgpr_msb 16                       ;  msbs: dst=0 src0=0 src1=0 src2=1
	v_add3_u32 v80, v93, v80, v24 /*v280*/
	s_set_vgpr_msb 0x41                     ;  msbs: dst=1 src0=1 src1=0 src2=0
	v_mul_i32_i24_e32 v67 /*v323*/, v69 /*v325*/, v113
	s_set_vgpr_msb 16                       ;  msbs: dst=0 src0=0 src1=0 src2=1
	v_add3_u32 v82, v82, v95, v41 /*v297*/
	s_set_vgpr_msb 0x41                     ;  msbs: dst=1 src0=1 src1=0 src2=0
	v_bfe_i32 v68 /*v324*/, v80 /*v336*/, 8, 8
	v_bfe_i32 v80 /*v336*/, v80 /*v336*/, 0, 8
	s_set_vgpr_msb 20                       ;  msbs: dst=0 src0=0 src1=1 src2=1
	v_add3_u32 v80, v80, v57 /*v313*/, v51 /*v307*/
	s_set_vgpr_msb 0x45                     ;  msbs: dst=1 src0=1 src1=1 src2=0
	v_mul_i32_i24_e32 v39 /*v295*/, v65 /*v321*/, v19 /*v275*/
	s_set_vgpr_msb 20                       ;  msbs: dst=0 src0=0 src1=1 src2=1
	v_add3_u32 v82, v82, v44 /*v300*/, v47 /*v303*/
	s_set_vgpr_msb 0x41                     ;  msbs: dst=1 src0=1 src1=0 src2=0
	v_mul_i32_i24_e32 v62 /*v318*/, v64 /*v320*/, v109
	v_bfe_i32 v63 /*v319*/, v79 /*v335*/, 16, 8
	s_set_vgpr_msb 20                       ;  msbs: dst=0 src0=0 src1=1 src2=1
	v_add3_u32 v80, v80, v52 /*v308*/, v42 /*v298*/
	s_set_vgpr_msb 0x41                     ;  msbs: dst=1 src0=1 src1=0 src2=0
	v_bfe_i32 v79 /*v335*/, v79 /*v335*/, 0, 8
	s_set_vgpr_msb 20                       ;  msbs: dst=0 src0=0 src1=1 src2=1
	v_add3_u32 v82, v82, v46 /*v302*/, v49 /*v305*/
	s_set_vgpr_msb 0x44                     ;  msbs: dst=1 src0=0 src1=1 src2=0
	v_dual_ashrrev_i32 v54 /*v310*/, 24, v81 /*v337*/ :: v_dual_ashrrev_i32 v53 /*v309*/, 24, v83 /*v339*/
	s_set_vgpr_msb 20                       ;  msbs: dst=0 src0=0 src1=1 src2=1
	v_add3_u32 v80, v80, v43 /*v299*/, v45 /*v301*/
	s_set_vgpr_msb 0x41                     ;  msbs: dst=1 src0=1 src1=0 src2=0
	v_bfe_i32 v55 /*v311*/, v81 /*v337*/, 16, 8
	s_set_vgpr_msb 0                        ;  msbs: dst=0 src0=0 src1=0 src2=0
	v_cvt_f32_i32_e32 v82, v82
	s_set_vgpr_msb 5                        ;  msbs: dst=0 src0=1 src1=1 src2=0
	v_mul_i32_i24_e32 v85, v80 /*v336*/, v20 /*v276*/
	s_set_vgpr_msb 0x45                     ;  msbs: dst=1 src0=1 src1=1 src2=0
	v_mul_i32_i24_e32 v38 /*v294*/, v68 /*v324*/, v18 /*v274*/
	s_set_vgpr_msb 20                       ;  msbs: dst=0 src0=0 src1=1 src2=1
	v_add3_u32 v80, v80, v48 /*v304*/, v50 /*v306*/
	s_set_vgpr_msb 0x45                     ;  msbs: dst=1 src0=1 src1=1 src2=0
	v_mul_i32_i24_e32 v36 /*v292*/, v79 /*v335*/, v23 /*v279*/
	v_mul_i32_i24_e32 v58 /*v314*/, v90 /*v346*/, v21 /*v277*/
	;; [unrolled: 1-line block ×3, first 2 shown]
	s_set_vgpr_msb 0x41                     ;  msbs: dst=1 src0=1 src1=0 src2=0
	v_mul_i32_i24_e32 v60 /*v316*/, v61 /*v317*/, v114
	s_set_vgpr_msb 0                        ;  msbs: dst=0 src0=0 src1=0 src2=0
	v_cvt_f32_i32_e32 v83, v80
	s_set_vgpr_msb 0x45                     ;  msbs: dst=1 src0=1 src1=1 src2=0
	v_bfe_i32 v56 /*v312*/, v81 /*v337*/, 8, 8
	v_bfe_i32 v81 /*v337*/, v81 /*v337*/, 0, 8
	v_mul_i32_i24_e32 v28 /*v284*/, v55 /*v311*/, v26 /*v282*/
	s_set_vgpr_msb 0x41                     ;  msbs: dst=1 src0=1 src1=0 src2=0
	v_mul_i32_i24_e32 v29 /*v285*/, v54 /*v310*/, v110
	v_bfe_i32 v83 /*v339*/, v83 /*v339*/, 0, 8
	s_set_vgpr_msb 0                        ;  msbs: dst=0 src0=0 src1=0 src2=0
	v_pk_fma_f32 v[82:83], v[88:89], v[82:83], v[90:91]
	s_set_vgpr_msb 21                       ;  msbs: dst=0 src0=1 src1=1 src2=1
	v_mad_i32_i24 v93, v71 /*v327*/, v12 /*v268*/, v37 /*v293*/
	s_set_vgpr_msb 20                       ;  msbs: dst=0 src0=0 src1=1 src2=1
	v_mad_i32_i24 v94, v92, v13 /*v269*/, v40 /*v296*/
	s_set_vgpr_msb 21                       ;  msbs: dst=0 src0=1 src1=1 src2=1
	v_add3_u32 v95, v74 /*v330*/, v67 /*v323*/, v62 /*v318*/
	s_set_vgpr_msb 0x55                     ;  msbs: dst=1 src0=1 src1=1 src2=1
	v_add3_u32 v24 /*v280*/, v73 /*v329*/, v66 /*v322*/, v39 /*v295*/
	v_mul_i32_i24_e32 v87 /*v343*/, v2 /*v258*/, v84 /*v340*/
	s_set_vgpr_msb 0x44                     ;  msbs: dst=1 src0=0 src1=1 src2=0
	v_mul_i32_i24_e32 v88 /*v344*/, v251, v75 /*v331*/
	s_set_vgpr_msb 5                        ;  msbs: dst=0 src0=1 src1=1 src2=0
	v_mul_i32_i24_e32 v84, v81 /*v337*/, v30 /*v286*/
	s_set_vgpr_msb 0x45                     ;  msbs: dst=1 src0=1 src1=1 src2=0
	v_mul_i32_i24_e32 v27 /*v283*/, v56 /*v312*/, v25 /*v281*/
	s_set_vgpr_msb 0                        ;  msbs: dst=0 src0=0 src1=0 src2=0
	v_pk_add_f32 v[34:35], v[34:35], v[82:83]
	s_set_vgpr_msb 5                        ;  msbs: dst=0 src0=1 src1=1 src2=0
	v_mul_i32_i24_e32 v80, v83 /*v339*/, v33 /*v289*/
	v_mul_i32_i24_e32 v82, v92 /*v348*/, v31 /*v287*/
	;; [unrolled: 1-line block ×3, first 2 shown]
	s_set_vgpr_msb 1                        ;  msbs: dst=0 src0=1 src1=0 src2=0
	v_mul_i32_i24_e32 v88, v53 /*v309*/, v112
	s_set_vgpr_msb 20                       ;  msbs: dst=0 src0=0 src1=1 src2=1
	v_add3_u32 v94, v94, v38 /*v294*/, v58 /*v314*/
	s_set_vgpr_msb 16                       ;  msbs: dst=0 src0=0 src1=0 src2=1
	v_add3_u32 v85, v93, v85, v36 /*v292*/
	s_set_vgpr_msb 21                       ;  msbs: dst=0 src0=1 src1=1 src2=1
	v_add3_u32 v93, v24 /*v280*/, v59 /*v315*/, v28 /*v284*/
	s_set_vgpr_msb 20                       ;  msbs: dst=0 src0=0 src1=1 src2=1
	v_add3_u32 v95, v95, v60 /*v316*/, v29 /*v285*/
	s_set_vgpr_msb 0x44                     ;  msbs: dst=1 src0=0 src1=1 src2=0
	v_mul_i32_i24_e32 v85 /*v341*/, v253, v82 /*v338*/
	s_set_vgpr_msb 0x45                     ;  msbs: dst=1 src0=1 src1=1 src2=0
	v_mul_i32_i24_e32 v86 /*v342*/, v1 /*v257*/, v77 /*v333*/
	s_set_vgpr_msb 4                        ;  msbs: dst=0 src0=0 src1=1 src2=0
	v_add3_u32 v82, v94, v27 /*v283*/, v82
	s_set_vgpr_msb 0                        ;  msbs: dst=0 src0=0 src1=0 src2=0
	v_add3_u32 v80, v85, v84, v80
	s_set_vgpr_msb 16                       ;  msbs: dst=0 src0=0 src1=0 src2=1
	v_add3_u32 v84, v95, v88, v88 /*v344*/
	v_add3_u32 v83, v93, v83, v87 /*v343*/
	s_set_vgpr_msb 5                        ;  msbs: dst=0 src0=1 src1=1 src2=0
	v_mul_i32_i24_e32 v89, v9 /*v265*/, v4 /*v260*/
	v_mul_i32_i24_e32 v91, v11 /*v267*/, v5 /*v261*/
	s_set_vgpr_msb 1                        ;  msbs: dst=0 src0=1 src1=0 src2=0
	v_mul_i32_i24_e32 v90, v10 /*v266*/, v250
	s_set_vgpr_msb 4                        ;  msbs: dst=0 src0=0 src1=1 src2=0
	v_add3_u32 v82, v82, v86 /*v342*/, v84
	v_add3_u32 v80, v80, v85 /*v341*/, v83
	s_set_vgpr_msb 1                        ;  msbs: dst=0 src0=1 src1=0 src2=0
	v_mul_i32_i24_e32 v83, v70 /*v326*/, v123
	v_mul_i32_i24_e32 v85, v89 /*v345*/, v125
	;; [unrolled: 1-line block ×4, first 2 shown]
	s_set_vgpr_msb 0                        ;  msbs: dst=0 src0=0 src1=0 src2=0
	v_add3_u32 v80, v80, v82, v91
	s_set_vgpr_msb 5                        ;  msbs: dst=0 src0=1 src1=1 src2=0
	v_mad_i32_i24 v82, v8 /*v264*/, v3 /*v259*/, v89
	s_set_vgpr_msb 1                        ;  msbs: dst=0 src0=1 src1=0 src2=0
	v_mul_i32_i24_e32 v89, v69 /*v325*/, v127
	v_mul_i32_i24_e32 v91, v80 /*v336*/, v128
	;; [unrolled: 1-line block ×4, first 2 shown]
	s_set_vgpr_msb 0                        ;  msbs: dst=0 src0=0 src1=0 src2=0
	v_add3_u32 v80, v80, v82, v90
	s_wait_dscnt 0x0
	v_pk_mul_f16 v82, v108, v86
	s_set_vgpr_msb 1                        ;  msbs: dst=0 src0=1 src1=0 src2=0
	v_mul_i32_i24_e32 v94, v65 /*v321*/, v131
	s_set_vgpr_msb 0x41                     ;  msbs: dst=1 src0=1 src1=0 src2=0
	v_mul_i32_i24_e32 v35 /*v291*/, v90 /*v346*/, v132
	v_mul_i32_i24_e32 v37 /*v293*/, v61 /*v317*/, v134
	s_set_vgpr_msb 0                        ;  msbs: dst=0 src0=0 src1=0 src2=0
	v_cvt_f32_i32_e32 v80, v80
	s_set_vgpr_msb 0x41                     ;  msbs: dst=1 src0=1 src1=0 src2=0
	v_mul_i32_i24_e32 v34 /*v290*/, v79 /*v335*/, v133
	v_mul_i32_i24_e32 v36 /*v292*/, v63 /*v319*/, v135
	;; [unrolled: 1-line block ×4, first 2 shown]
	s_set_vgpr_msb 0                        ;  msbs: dst=0 src0=0 src1=0 src2=0
	v_fma_mix_f32 v90, v82, v80, v82 op_sel:[0,0,1] op_sel_hi:[1,0,1]
	v_mul_i32_i24_e32 v80, v92, v122
	s_set_vgpr_msb 1                        ;  msbs: dst=0 src0=1 src1=0 src2=0
	v_mul_i32_i24_e32 v82, v72 /*v328*/, v121
	s_set_vgpr_msb 0x41                     ;  msbs: dst=1 src0=1 src1=0 src2=0
	v_mul_i32_i24_e32 v39 /*v295*/, v56 /*v312*/, v137
	v_mul_i32_i24_e32 v40 /*v296*/, v55 /*v311*/, v139
	;; [unrolled: 1-line block ×3, first 2 shown]
	s_set_vgpr_msb 1                        ;  msbs: dst=0 src0=1 src1=0 src2=0
	v_mad_i32_i24 v80, v71 /*v327*/, v120, v80
	s_set_vgpr_msb 0x41                     ;  msbs: dst=1 src0=1 src1=0 src2=0
	v_mul_i32_i24_e32 v45 /*v301*/, v53 /*v309*/, v143
	v_mul_i32_i24_e32 v42 /*v298*/, v83 /*v339*/, v141
	;; [unrolled: 1-line block ×4, first 2 shown]
	s_set_vgpr_msb 0                        ;  msbs: dst=0 src0=0 src1=0 src2=0
	v_add3_u32 v80, v80, v82, v83
	s_set_vgpr_msb 0x41                     ;  msbs: dst=1 src0=1 src1=0 src2=0
	v_mul_i32_i24_e32 v46 /*v302*/, v56 /*v312*/, v198
	v_mul_i32_i24_e32 v47 /*v303*/, v55 /*v311*/, v200
	;; [unrolled: 1-line block ×4, first 2 shown]
	s_set_vgpr_msb 0                        ;  msbs: dst=0 src0=0 src1=0 src2=0
	v_add3_u32 v80, v80, v89, v85
	v_mul_i32_i24_e32 v89, v92, v147
	s_set_vgpr_msb 0x41                     ;  msbs: dst=1 src0=1 src1=0 src2=0
	v_mul_i32_i24_e32 v49 /*v305*/, v83 /*v339*/, v202
	v_mul_i32_i24_e32 v51 /*v307*/, v91 /*v347*/, v203
	;; [unrolled: 1-line block ×3, first 2 shown]
	s_set_vgpr_msb 0                        ;  msbs: dst=0 src0=0 src1=0 src2=0
	v_add3_u32 v80, v80, v84, v88
	s_set_vgpr_msb 1                        ;  msbs: dst=0 src0=1 src1=0 src2=0
	v_mad_i32_i24 v89, v71 /*v327*/, v145, v89
	s_set_vgpr_msb 0x41                     ;  msbs: dst=1 src0=1 src1=0 src2=0
	v_mul_i32_i24_e32 v60 /*v316*/, v11 /*v267*/, v237
	v_mul_i32_i24_e32 v58 /*v314*/, v9 /*v265*/, v236
	;; [unrolled: 1-line block ×3, first 2 shown]
	s_set_vgpr_msb 0                        ;  msbs: dst=0 src0=0 src1=0 src2=0
	v_add3_u32 v80, v80, v95, v91
	s_set_vgpr_msb 1                        ;  msbs: dst=0 src0=1 src1=0 src2=0
	v_mul_i32_i24_e32 v91, v72 /*v328*/, v146
	v_mul_i32_i24_e32 v95, v89 /*v345*/, v150
	;; [unrolled: 1-line block ×4, first 2 shown]
	s_set_vgpr_msb 0                        ;  msbs: dst=0 src0=0 src1=0 src2=0
	v_add3_u32 v80, v80, v93, v94
	s_set_vgpr_msb 1                        ;  msbs: dst=0 src0=1 src1=0 src2=0
	v_mul_i32_i24_e32 v93, v70 /*v326*/, v148
	v_mul_i32_i24_e32 v94, v78 /*v334*/, v149
	;; [unrolled: 1-line block ×3, first 2 shown]
	s_set_vgpr_msb 0x41                     ;  msbs: dst=1 src0=1 src1=0 src2=0
	v_mul_i32_i24_e32 v29 /*v285*/, v75 /*v331*/, v117
	s_set_vgpr_msb 20                       ;  msbs: dst=0 src0=0 src1=1 src2=1
	v_add3_u32 v80, v80, v37 /*v293*/, v35 /*v291*/
	s_set_vgpr_msb 0                        ;  msbs: dst=0 src0=0 src1=0 src2=0
	v_add3_u32 v89, v89, v91, v93
	s_set_vgpr_msb 0x41                     ;  msbs: dst=1 src0=1 src1=0 src2=0
	v_mul_i32_i24_e32 v35 /*v291*/, v76 /*v332*/, v151
	v_mul_i32_i24_e32 v37 /*v293*/, v80 /*v336*/, v153
	s_set_vgpr_msb 0                        ;  msbs: dst=0 src0=0 src1=0 src2=0
	v_mul_i32_i24_e32 v91, v92, v208
	s_set_vgpr_msb 20                       ;  msbs: dst=0 src0=0 src1=1 src2=1
	v_add3_u32 v80, v80, v34 /*v290*/, v36 /*v292*/
	s_set_vgpr_msb 0x41                     ;  msbs: dst=1 src0=1 src1=0 src2=0
	v_mul_i32_i24_e32 v36 /*v292*/, v69 /*v325*/, v152
	s_set_vgpr_msb 1                        ;  msbs: dst=0 src0=1 src1=0 src2=0
	v_mul_i32_i24_e32 v92, v72 /*v328*/, v207
	v_mul_i32_i24_e32 v93, v70 /*v326*/, v209
	v_mad_i32_i24 v91, v71 /*v327*/, v206, v91
	s_set_vgpr_msb 20                       ;  msbs: dst=0 src0=0 src1=1 src2=1
	v_add3_u32 v80, v80, v41 /*v297*/, v38 /*v294*/
	s_set_vgpr_msb 4                        ;  msbs: dst=0 src0=0 src1=1 src2=0
	v_add3_u32 v89, v89, v36 /*v292*/, v95
	s_set_vgpr_msb 0x41                     ;  msbs: dst=1 src0=1 src1=0 src2=0
	v_mul_i32_i24_e32 v38 /*v294*/, v68 /*v324*/, v154
	s_set_vgpr_msb 1                        ;  msbs: dst=0 src0=1 src1=0 src2=0
	v_mul_i32_i24_e32 v95, v89 /*v345*/, v211
	s_set_vgpr_msb 0x41                     ;  msbs: dst=1 src0=1 src1=0 src2=0
	v_mul_i32_i24_e32 v36 /*v292*/, v69 /*v325*/, v213
	s_set_vgpr_msb 20                       ;  msbs: dst=0 src0=0 src1=1 src2=1
	v_add3_u32 v80, v80, v39 /*v295*/, v40 /*v296*/
	s_set_vgpr_msb 0x41                     ;  msbs: dst=1 src0=1 src1=0 src2=0
	v_mul_i32_i24_e32 v40 /*v296*/, v64 /*v320*/, v155
	s_set_vgpr_msb 16                       ;  msbs: dst=0 src0=0 src1=0 src2=1
	v_add3_u32 v89, v89, v94, v35 /*v291*/
	s_set_vgpr_msb 0x41                     ;  msbs: dst=1 src0=1 src1=0 src2=0
	v_mul_i32_i24_e32 v39 /*v295*/, v65 /*v321*/, v189
	s_set_vgpr_msb 0                        ;  msbs: dst=0 src0=0 src1=0 src2=0
	v_add3_u32 v91, v91, v92, v93
	s_set_vgpr_msb 20                       ;  msbs: dst=0 src0=0 src1=1 src2=1
	v_add3_u32 v80, v80, v45 /*v301*/, v43 /*v299*/
	s_set_vgpr_msb 0x41                     ;  msbs: dst=1 src0=1 src1=0 src2=0
	v_mul_i32_i24_e32 v41 /*v297*/, v79 /*v335*/, v194
	s_set_vgpr_msb 20                       ;  msbs: dst=0 src0=0 src1=1 src2=1
	v_add3_u32 v89, v89, v40 /*v296*/, v37 /*v293*/
	s_set_vgpr_msb 0x41                     ;  msbs: dst=1 src0=1 src1=0 src2=0
	v_mul_i32_i24_e32 v43 /*v299*/, v63 /*v319*/, v196
	s_set_vgpr_msb 1                        ;  msbs: dst=0 src0=1 src1=0 src2=0
	v_mul_i32_i24_e32 v94, v78 /*v334*/, v210
	s_set_vgpr_msb 0x54                     ;  msbs: dst=1 src0=0 src1=1 src2=1
	v_add3_u32 v34 /*v290*/, v80, v42 /*v298*/, v44 /*v300*/
	s_set_vgpr_msb 0x41                     ;  msbs: dst=1 src0=1 src1=0 src2=0
	v_mul_i32_i24_e32 v42 /*v298*/, v90 /*v346*/, v193
	v_mul_i32_i24_e32 v44 /*v300*/, v61 /*v317*/, v195
	s_set_vgpr_msb 20                       ;  msbs: dst=0 src0=0 src1=1 src2=1
	v_add3_u32 v89, v89, v38 /*v294*/, v39 /*v295*/
	s_set_vgpr_msb 0x41                     ;  msbs: dst=1 src0=1 src1=0 src2=0
	v_mul_i32_i24_e32 v35 /*v291*/, v76 /*v332*/, v212
	s_set_vgpr_msb 4                        ;  msbs: dst=0 src0=0 src1=1 src2=0
	v_add3_u32 v91, v91, v36 /*v292*/, v95
	s_set_vgpr_msb 0x41                     ;  msbs: dst=1 src0=1 src1=0 src2=0
	v_mul_i32_i24_e32 v45 /*v301*/, v81 /*v337*/, v197
	v_mul_i32_i24_e32 v37 /*v293*/, v80 /*v336*/, v214
	s_set_vgpr_msb 20                       ;  msbs: dst=0 src0=0 src1=1 src2=1
	v_add3_u32 v89, v89, v44 /*v300*/, v42 /*v298*/
	s_set_vgpr_msb 0x41                     ;  msbs: dst=1 src0=1 src1=0 src2=0
	v_mul_i32_i24_e32 v40 /*v296*/, v64 /*v320*/, v216
	s_set_vgpr_msb 16                       ;  msbs: dst=0 src0=0 src1=0 src2=1
	v_add3_u32 v91, v91, v94, v35 /*v291*/
	s_set_vgpr_msb 0x41                     ;  msbs: dst=1 src0=1 src1=0 src2=0
	v_mul_i32_i24_e32 v38 /*v294*/, v68 /*v324*/, v215
	v_mul_i32_i24_e32 v39 /*v295*/, v65 /*v321*/, v217
	s_set_vgpr_msb 20                       ;  msbs: dst=0 src0=0 src1=1 src2=1
	v_add3_u32 v89, v89, v41 /*v297*/, v43 /*v299*/
	s_set_vgpr_msb 0x41                     ;  msbs: dst=1 src0=1 src1=0 src2=0
	v_mul_i32_i24_e32 v42 /*v298*/, v90 /*v346*/, v218
	s_set_vgpr_msb 20                       ;  msbs: dst=0 src0=0 src1=1 src2=1
	v_add3_u32 v91, v91, v40 /*v296*/, v37 /*v293*/
	s_set_vgpr_msb 0x41                     ;  msbs: dst=1 src0=1 src1=0 src2=0
	v_mul_i32_i24_e32 v44 /*v300*/, v61 /*v317*/, v220
	v_mul_i32_i24_e32 v41 /*v297*/, v79 /*v335*/, v219
	s_set_vgpr_msb 20                       ;  msbs: dst=0 src0=0 src1=1 src2=1
	v_add3_u32 v89, v89, v48 /*v304*/, v45 /*v301*/
	s_set_vgpr_msb 0x41                     ;  msbs: dst=1 src0=1 src1=0 src2=0
	v_mul_i32_i24_e32 v43 /*v299*/, v63 /*v319*/, v221
	s_set_vgpr_msb 20                       ;  msbs: dst=0 src0=0 src1=1 src2=1
	v_add3_u32 v91, v91, v38 /*v294*/, v39 /*v295*/
	s_set_vgpr_msb 0                        ;  msbs: dst=0 src0=0 src1=0 src2=0
	v_pk_mul_f16 v80, v115, v86
	s_set_vgpr_msb 0x41                     ;  msbs: dst=1 src0=1 src1=0 src2=0
	v_mul_i32_i24_e32 v45 /*v301*/, v81 /*v337*/, v222
	s_set_vgpr_msb 20                       ;  msbs: dst=0 src0=0 src1=1 src2=1
	v_add3_u32 v89, v89, v46 /*v302*/, v47 /*v303*/
	s_set_vgpr_msb 0x41                     ;  msbs: dst=1 src0=1 src1=0 src2=0
	v_mul_i32_i24_e32 v48 /*v304*/, v54 /*v310*/, v224
	s_set_vgpr_msb 20                       ;  msbs: dst=0 src0=0 src1=1 src2=1
	v_add3_u32 v91, v91, v44 /*v300*/, v42 /*v298*/
	v_cvt_f32_f16_e32 v82, v80
	s_set_vgpr_msb 0                        ;  msbs: dst=0 src0=0 src1=0 src2=0
	v_lshrrev_b32_e32 v80, 16, v80
	s_set_vgpr_msb 20                       ;  msbs: dst=0 src0=0 src1=1 src2=1
	v_add3_u32 v89, v89, v52 /*v308*/, v50 /*v306*/
	s_set_vgpr_msb 0x41                     ;  msbs: dst=1 src0=1 src1=0 src2=0
	v_mul_i32_i24_e32 v46 /*v302*/, v56 /*v312*/, v223
	s_set_vgpr_msb 20                       ;  msbs: dst=0 src0=0 src1=1 src2=1
	v_add3_u32 v91, v91, v41 /*v297*/, v43 /*v299*/
	s_set_vgpr_msb 0x41                     ;  msbs: dst=1 src0=1 src1=0 src2=0
	v_mul_i32_i24_e32 v47 /*v303*/, v55 /*v311*/, v225
	s_set_vgpr_msb 20                       ;  msbs: dst=0 src0=0 src1=1 src2=1
	v_cvt_f32_f16_e32 v84, v80
	v_add3_u32 v89, v89, v49 /*v305*/, v51 /*v307*/
	s_set_vgpr_msb 1                        ;  msbs: dst=0 src0=1 src1=0 src2=0
	v_mul_i32_i24_e32 v80, v82 /*v338*/, v232
	s_set_vgpr_msb 20                       ;  msbs: dst=0 src0=0 src1=1 src2=1
	v_add3_u32 v91, v91, v48 /*v304*/, v45 /*v301*/
	s_set_vgpr_msb 0x41                     ;  msbs: dst=1 src0=1 src1=0 src2=0
	v_mul_i32_i24_e32 v50 /*v306*/, v92 /*v348*/, v226
	v_mul_i32_i24_e32 v52 /*v308*/, v53 /*v309*/, v229
	s_set_vgpr_msb 20                       ;  msbs: dst=0 src0=0 src1=1 src2=1
	v_add3_u32 v89, v89, v60 /*v316*/, v57 /*v313*/
	s_set_vgpr_msb 0x41                     ;  msbs: dst=1 src0=1 src1=0 src2=0
	v_mul_i32_i24_e32 v49 /*v305*/, v83 /*v339*/, v227
	s_set_vgpr_msb 20                       ;  msbs: dst=0 src0=0 src1=1 src2=1
	v_add3_u32 v91, v91, v46 /*v302*/, v47 /*v303*/
	s_set_vgpr_msb 0x41                     ;  msbs: dst=1 src0=1 src1=0 src2=0
	v_mul_i32_i24_e32 v51 /*v307*/, v91 /*v347*/, v228
	v_mul_i32_i24_e32 v53 /*v309*/, v8 /*v264*/, v243
	s_set_vgpr_msb 20                       ;  msbs: dst=0 src0=0 src1=1 src2=1
	v_add3_u32 v89, v89, v58 /*v314*/, v59 /*v315*/
	s_set_vgpr_msb 0x41                     ;  msbs: dst=1 src0=1 src1=0 src2=0
	v_mul_i32_i24_e32 v56 /*v312*/, v11 /*v267*/, v245
	s_set_vgpr_msb 20                       ;  msbs: dst=0 src0=0 src1=1 src2=1
	v_add3_u32 v91, v91, v52 /*v308*/, v50 /*v306*/
	s_set_vgpr_msb 0x41                     ;  msbs: dst=1 src0=1 src1=0 src2=0
	v_mul_i32_i24_e32 v54 /*v310*/, v9 /*v265*/, v244
	v_mul_i32_i24_e32 v55 /*v311*/, v10 /*v266*/, v238
	s_set_vgpr_msb 0                        ;  msbs: dst=0 src0=0 src1=0 src2=0
	v_add3_u32 v80, v89, v80, v83
	v_pk_mul_f16 v83, v144, v86
	s_set_vgpr_msb 20                       ;  msbs: dst=0 src0=0 src1=1 src2=1
	v_add3_u32 v91, v91, v49 /*v305*/, v51 /*v307*/
	s_set_vgpr_msb 1                        ;  msbs: dst=0 src0=1 src1=0 src2=0
	v_mul_i32_i24_e32 v89, v75 /*v331*/, v239
	s_set_vgpr_msb 0x41                     ;  msbs: dst=1 src0=1 src1=0 src2=0
	v_mul_i32_i24_e32 v27 /*v283*/, v77 /*v333*/, v119
	s_set_vgpr_msb 0                        ;  msbs: dst=0 src0=0 src1=0 src2=0
	v_add3_u32 v80, v80, v85, v88
	s_set_vgpr_msb 1                        ;  msbs: dst=0 src0=1 src1=0 src2=0
	v_mul_i32_i24_e32 v85, v84 /*v340*/, v242
	s_set_vgpr_msb 20                       ;  msbs: dst=0 src0=0 src1=1 src2=1
	v_add3_u32 v91, v91, v56 /*v312*/, v53 /*v309*/
	s_set_vgpr_msb 0x41                     ;  msbs: dst=1 src0=1 src1=0 src2=0
	v_mul_i32_i24_e32 v24 /*v280*/, v82 /*v338*/, v118
	v_mul_i32_i24_e32 v28 /*v284*/, v84 /*v340*/, v116
	s_set_vgpr_msb 0                        ;  msbs: dst=0 src0=0 src1=0 src2=0
	v_cvt_f32_i32_e32 v80, v80
	v_mul_i32_i24_e32 v103, v103, v143
	s_set_vgpr_msb 20                       ;  msbs: dst=0 src0=0 src1=1 src2=1
	v_add3_u32 v91, v91, v54 /*v310*/, v55 /*v311*/
	s_set_vgpr_msb 0                        ;  msbs: dst=0 src0=0 src1=0 src2=0
	v_fma_mix_f32 v88, v83, v80, v83 op_sel:[0,0,1] op_sel_hi:[1,0,1]
	s_set_vgpr_msb 1                        ;  msbs: dst=0 src0=1 src1=0 src2=0
	v_mul_i32_i24_e32 v80, v82 /*v338*/, v240
	v_mul_i32_i24_e32 v83, v77 /*v333*/, v241
	s_set_vgpr_msb 0                        ;  msbs: dst=0 src0=0 src1=0 src2=0
	v_add3_u32 v103, v192, v190, v103
	s_delay_alu instid0(VALU_DEP_2) | instskip(SKIP_1) | instid1(VALU_DEP_2)
	v_add3_u32 v80, v91, v80, v83
	v_pk_mul_f16 v83, v205, v86
	v_add3_u32 v80, v80, v85, v89
	s_delay_alu instid0(VALU_DEP_1) | instskip(NEXT) | instid1(VALU_DEP_1)
	v_cvt_f32_i32_e32 v80, v80
	v_fma_mix_f32 v86, v83, v80, v83 op_sel:[0,0,1] op_sel_hi:[1,0,1]
	v_add_nc_u32_e32 v80, 0xc04, v97
	ds_load_2addr_b32 v[92:93], v80 offset1:1
	v_add_nc_u32_e32 v80, 0xc14, v97
	ds_load_2addr_b32 v[94:95], v80 offset1:1
	v_add_nc_u32_e32 v80, 0xc00, v97
	s_set_vgpr_msb 64                       ;  msbs: dst=1 src0=0 src1=0 src2=0
	ds_load_2addr_b32 v[40:41] /*v[296:297]*/, v80 offset1:3
	ds_load_2addr_b32 v[38:39] /*v[294:295]*/, v80 offset0:4 offset1:7
	s_wait_dscnt 0x3
	v_bfe_i32 v47 /*v303*/, v92, 0, 8
	v_bfe_i32 v48 /*v304*/, v92, 8, 8
	;; [unrolled: 1-line block ×3, first 2 shown]
	s_set_vgpr_msb 0                        ;  msbs: dst=0 src0=0 src1=0 src2=0
	v_ashrrev_i32_e32 v92, 24, v92
	s_set_vgpr_msb 64                       ;  msbs: dst=1 src0=0 src1=0 src2=0
	v_bfe_i32 v53 /*v309*/, v93, 0, 8
	s_set_vgpr_msb 0x45                     ;  msbs: dst=1 src0=1 src1=1 src2=0
	v_mul_i32_i24_e32 v42 /*v298*/, v47 /*v303*/, v17 /*v273*/
	s_wait_dscnt 0x2
	s_set_vgpr_msb 64                       ;  msbs: dst=1 src0=0 src1=0 src2=0
	v_bfe_i32 v50 /*v306*/, v94, 0, 8
	v_bfe_i32 v51 /*v307*/, v94, 8, 8
	;; [unrolled: 1-line block ×3, first 2 shown]
	s_set_vgpr_msb 0                        ;  msbs: dst=0 src0=0 src1=0 src2=0
	v_ashrrev_i32_e32 v94, 24, v94
	s_set_vgpr_msb 0x45                     ;  msbs: dst=1 src0=1 src1=1 src2=0
	v_mul_i32_i24_e32 v43 /*v299*/, v48 /*v304*/, v15 /*v271*/
	s_wait_dscnt 0x1
	v_bfe_i32 v59 /*v315*/, v41 /*v297*/, 0, 8
	s_wait_dscnt 0x0
	v_bfe_i32 v44 /*v300*/, v38 /*v294*/, 8, 8
	s_set_vgpr_msb 1                        ;  msbs: dst=0 src0=1 src1=0 src2=0
	v_bfe_i32 v80, v38 /*v294*/, 0, 8
	s_set_vgpr_msb 0x41                     ;  msbs: dst=1 src0=1 src1=0 src2=0
	v_bfe_i32 v45 /*v301*/, v38 /*v294*/, 16, 8
	s_set_vgpr_msb 0x44                     ;  msbs: dst=1 src0=0 src1=1 src2=0
	v_dual_ashrrev_i32 v46 /*v302*/, 24, v38 /*v294*/ :: v_dual_ashrrev_i32 v62 /*v318*/, 24, v41 /*v297*/
	s_set_vgpr_msb 0x41                     ;  msbs: dst=1 src0=1 src1=0 src2=0
	v_bfe_i32 v35 /*v291*/, v39 /*v295*/, 0, 8
	v_bfe_i32 v36 /*v292*/, v39 /*v295*/, 8, 8
	;; [unrolled: 1-line block ×3, first 2 shown]
	s_set_vgpr_msb 0x45                     ;  msbs: dst=1 src0=1 src1=1 src2=0
	v_dual_ashrrev_i32 v38 /*v294*/, 24, v39 /*v295*/ :: v_dual_ashrrev_i32 v65 /*v321*/, 24, v40 /*v296*/
	v_mul_i32_i24_e32 v39 /*v295*/, v13 /*v269*/, v44 /*v300*/
	v_bfe_i32 v60 /*v316*/, v41 /*v297*/, 8, 8
	v_bfe_i32 v61 /*v317*/, v41 /*v297*/, 16, 8
	;; [unrolled: 1-line block ×5, first 2 shown]
	v_mul_i32_i24_e32 v40 /*v296*/, v14 /*v270*/, v45 /*v301*/
	s_set_vgpr_msb 0x44                     ;  msbs: dst=1 src0=0 src1=1 src2=0
	v_mul_i32_i24_e32 v41 /*v297*/, v111, v46 /*v302*/
	s_set_vgpr_msb 0x51                     ;  msbs: dst=1 src0=1 src1=0 src2=1
	v_mad_i32_i24 v39 /*v295*/, v12 /*v268*/, v80, v39 /*v295*/
	s_set_vgpr_msb 64                       ;  msbs: dst=1 src0=0 src1=0 src2=0
	v_mul_i32_i24_e32 v68 /*v324*/, v92, v113
	s_set_vgpr_msb 0x45                     ;  msbs: dst=1 src0=1 src1=1 src2=0
	v_mul_i32_i24_e32 v67 /*v323*/, v49 /*v305*/, v16 /*v272*/
	v_mul_i32_i24_e32 v69 /*v325*/, v50 /*v306*/, v20 /*v276*/
	s_set_vgpr_msb 64                       ;  msbs: dst=1 src0=0 src1=0 src2=0
	v_mul_i32_i24_e32 v72 /*v328*/, v94, v109
	s_set_vgpr_msb 0x55                     ;  msbs: dst=1 src0=1 src1=1 src2=1
	v_add3_u32 v39 /*v295*/, v39 /*v295*/, v40 /*v296*/, v41 /*v297*/
	s_set_vgpr_msb 64                       ;  msbs: dst=1 src0=0 src1=0 src2=0
	v_bfe_i32 v54 /*v310*/, v93, 8, 8
	v_bfe_i32 v55 /*v311*/, v93, 16, 8
	s_set_vgpr_msb 0                        ;  msbs: dst=0 src0=0 src1=0 src2=0
	v_ashrrev_i32_e32 v93, 24, v93
	s_set_vgpr_msb 0x55                     ;  msbs: dst=1 src0=1 src1=1 src2=1
	v_mul_i32_i24_e32 v70 /*v326*/, v51 /*v307*/, v18 /*v274*/
	v_add3_u32 v39 /*v295*/, v39 /*v295*/, v68 /*v324*/, v43 /*v299*/
	v_mul_i32_i24_e32 v71 /*v327*/, v52 /*v308*/, v19 /*v275*/
	s_set_vgpr_msb 64                       ;  msbs: dst=1 src0=0 src1=0 src2=0
	v_bfe_i32 v56 /*v312*/, v95, 0, 8
	v_bfe_i32 v57 /*v313*/, v95, 8, 8
	v_bfe_i32 v58 /*v314*/, v95, 16, 8
	s_set_vgpr_msb 0x55                     ;  msbs: dst=1 src0=1 src1=1 src2=1
	v_add3_u32 v39 /*v295*/, v39 /*v295*/, v42 /*v298*/, v67 /*v323*/
	s_set_vgpr_msb 0                        ;  msbs: dst=0 src0=0 src1=0 src2=0
	v_ashrrev_i32_e32 v95, 24, v95
	s_set_vgpr_msb 0x45                     ;  msbs: dst=1 src0=1 src1=1 src2=0
	v_mul_i32_i24_e32 v74 /*v330*/, v54 /*v310*/, v21 /*v277*/
	s_set_vgpr_msb 64                       ;  msbs: dst=1 src0=0 src1=0 src2=0
	v_mul_i32_i24_e32 v76 /*v332*/, v93, v114
	s_set_vgpr_msb 0x55                     ;  msbs: dst=1 src0=1 src1=1 src2=1
	v_mul_i32_i24_e32 v73 /*v329*/, v53 /*v309*/, v23 /*v279*/
	v_add3_u32 v39 /*v295*/, v39 /*v295*/, v72 /*v328*/, v69 /*v325*/
	v_mul_i32_i24_e32 v75 /*v331*/, v55 /*v311*/, v22 /*v278*/
	v_mul_i32_i24_e32 v77 /*v333*/, v56 /*v312*/, v30 /*v286*/
	s_set_vgpr_msb 64                       ;  msbs: dst=1 src0=0 src1=0 src2=0
	v_mul_i32_i24_e32 v80 /*v336*/, v95, v110
	s_set_vgpr_msb 0x55                     ;  msbs: dst=1 src0=1 src1=1 src2=1
	v_mul_i32_i24_e32 v78 /*v334*/, v57 /*v313*/, v25 /*v281*/
	v_add3_u32 v39 /*v295*/, v39 /*v295*/, v70 /*v326*/, v71 /*v327*/
	v_mul_i32_i24_e32 v79 /*v335*/, v58 /*v314*/, v26 /*v282*/
	v_mul_i32_i24_e32 v82 /*v338*/, v60 /*v316*/, v31 /*v287*/
	s_set_vgpr_msb 0x41                     ;  msbs: dst=1 src0=1 src1=0 src2=0
	v_mul_i32_i24_e32 v84 /*v340*/, v62 /*v318*/, v112
	s_set_vgpr_msb 0x55                     ;  msbs: dst=1 src0=1 src1=1 src2=1
	v_mul_i32_i24_e32 v81 /*v337*/, v59 /*v315*/, v33 /*v289*/
	v_add3_u32 v39 /*v295*/, v39 /*v295*/, v76 /*v332*/, v74 /*v330*/
	v_mul_i32_i24_e32 v83 /*v339*/, v61 /*v317*/, v32 /*v288*/
	v_mul_i32_i24_e32 v85 /*v341*/, v35 /*v291*/, v3 /*v259*/
	;; [unrolled: 1-line block ×4, first 2 shown]
	v_add3_u32 v39 /*v295*/, v39 /*v295*/, v73 /*v329*/, v75 /*v331*/
	s_set_vgpr_msb 0x41                     ;  msbs: dst=1 src0=1 src1=0 src2=0
	v_mul_i32_i24_e32 v87 /*v343*/, v37 /*v293*/, v250
	s_set_vgpr_msb 4                        ;  msbs: dst=0 src0=0 src1=1 src2=0
	v_mul_i32_i24_e32 v83, v253, v64 /*v320*/
	s_set_vgpr_msb 5                        ;  msbs: dst=0 src0=1 src1=1 src2=0
	v_mul_i32_i24_e32 v85, v1 /*v257*/, v63 /*v319*/
	v_mul_i32_i24_e32 v89, v2 /*v258*/, v66 /*v322*/
	s_set_vgpr_msb 0x55                     ;  msbs: dst=1 src0=1 src1=1 src2=1
	v_add3_u32 v39 /*v295*/, v39 /*v295*/, v80 /*v336*/, v77 /*v333*/
	s_set_vgpr_msb 4                        ;  msbs: dst=0 src0=0 src1=1 src2=0
	v_mul_i32_i24_e32 v91, v251, v65 /*v321*/
	s_set_vgpr_msb 64                       ;  msbs: dst=1 src0=0 src1=0 src2=0
	v_mul_i32_i24_e32 v67 /*v323*/, v92, v127
	s_set_vgpr_msb 0x41                     ;  msbs: dst=1 src0=1 src1=0 src2=0
	v_mul_i32_i24_e32 v43 /*v299*/, v49 /*v305*/, v126
	v_mul_i32_i24_e32 v68 /*v324*/, v50 /*v306*/, v128
	s_set_vgpr_msb 0x55                     ;  msbs: dst=1 src0=1 src1=1 src2=1
	v_add3_u32 v39 /*v295*/, v39 /*v295*/, v78 /*v334*/, v79 /*v335*/
	s_set_vgpr_msb 64                       ;  msbs: dst=1 src0=0 src1=0 src2=0
	v_mul_i32_i24_e32 v71 /*v327*/, v94, v130
	s_set_vgpr_msb 0x41                     ;  msbs: dst=1 src0=1 src1=0 src2=0
	v_mul_i32_i24_e32 v69 /*v325*/, v51 /*v307*/, v129
	v_mul_i32_i24_e32 v70 /*v326*/, v52 /*v308*/, v131
	v_mul_i32_i24_e32 v73 /*v329*/, v54 /*v310*/, v132
	s_set_vgpr_msb 0x55                     ;  msbs: dst=1 src0=1 src1=1 src2=1
	v_add3_u32 v39 /*v295*/, v39 /*v295*/, v84 /*v340*/, v82 /*v338*/
	s_set_vgpr_msb 64                       ;  msbs: dst=1 src0=0 src1=0 src2=0
	v_mul_i32_i24_e32 v75 /*v331*/, v93, v134
	s_set_vgpr_msb 0x41                     ;  msbs: dst=1 src0=1 src1=0 src2=0
	v_mul_i32_i24_e32 v72 /*v328*/, v53 /*v309*/, v133
	;; [unrolled: 8-line block ×3, first 2 shown]
	v_mul_i32_i24_e32 v78 /*v334*/, v58 /*v314*/, v139
	v_mul_i32_i24_e32 v81 /*v337*/, v60 /*v316*/, v140
	s_set_vgpr_msb 0x55                     ;  msbs: dst=1 src0=1 src1=1 src2=1
	v_add3_u32 v39 /*v295*/, v39 /*v295*/, v88 /*v344*/, v85 /*v341*/
	s_set_vgpr_msb 0x41                     ;  msbs: dst=1 src0=1 src1=0 src2=0
	v_mul_i32_i24_e32 v83 /*v339*/, v62 /*v318*/, v143
	v_mul_i32_i24_e32 v80 /*v336*/, v59 /*v315*/, v141
	;; [unrolled: 1-line block ×4, first 2 shown]
	s_set_vgpr_msb 0x55                     ;  msbs: dst=1 src0=1 src1=1 src2=1
	v_add3_u32 v39 /*v295*/, v39 /*v295*/, v86 /*v342*/, v87 /*v343*/
	s_set_vgpr_msb 64                       ;  msbs: dst=1 src0=0 src1=0 src2=0
	v_mul_i32_i24_e32 v86 /*v342*/, v95, v199
	s_set_vgpr_msb 0x41                     ;  msbs: dst=1 src0=1 src1=0 src2=0
	v_mul_i32_i24_e32 v85 /*v341*/, v58 /*v314*/, v200
	v_mul_i32_i24_e32 v88 /*v344*/, v60 /*v316*/, v201
	;; [unrolled: 1-line block ×3, first 2 shown]
	s_set_vgpr_msb 1                        ;  msbs: dst=0 src0=1 src1=0 src2=0
	v_add3_u32 v83, v39 /*v295*/, v83, v85
	s_set_vgpr_msb 0                        ;  msbs: dst=0 src0=0 src1=0 src2=0
	v_pk_mul_f16 v85, v108, v87
	s_set_vgpr_msb 0x41                     ;  msbs: dst=1 src0=1 src1=0 src2=0
	v_mul_i32_i24_e32 v87 /*v343*/, v59 /*v315*/, v202
	v_mul_i32_i24_e32 v89 /*v345*/, v61 /*v317*/, v203
	;; [unrolled: 1-line block ×3, first 2 shown]
	s_set_vgpr_msb 0                        ;  msbs: dst=0 src0=0 src1=0 src2=0
	v_add3_u32 v83, v83, v89, v91
	s_set_vgpr_msb 1                        ;  msbs: dst=0 src0=1 src1=0 src2=0
	v_mul_i32_i24_e32 v89, v46 /*v302*/, v123
	s_set_vgpr_msb 0x41                     ;  msbs: dst=1 src0=1 src1=0 src2=0
	v_mul_i32_i24_e32 v94 /*v350*/, v38 /*v294*/, v237
	v_mul_i32_i24_e32 v92 /*v348*/, v36 /*v292*/, v236
	v_mul_i32_i24_e32 v93 /*v349*/, v37 /*v293*/, v230
	s_set_vgpr_msb 0                        ;  msbs: dst=0 src0=0 src1=0 src2=0
	v_cvt_f32_i32_e32 v83, v83
	v_mul_i32_i24_e32 v95, v95, v224
	s_set_vgpr_msb 0x41                     ;  msbs: dst=1 src0=1 src1=0 src2=0
	v_mul_i32_i24_e32 v57 /*v313*/, v57 /*v313*/, v223
	v_mul_i32_i24_e32 v58 /*v314*/, v58 /*v314*/, v225
	;; [unrolled: 1-line block ×3, first 2 shown]
	s_set_vgpr_msb 0                        ;  msbs: dst=0 src0=0 src1=0 src2=0
	v_fma_mix_f32 v91, v85, v83, v85 op_sel:[0,0,1] op_sel_hi:[1,0,1]
	s_set_vgpr_msb 1                        ;  msbs: dst=0 src0=1 src1=0 src2=0
	v_mul_i32_i24_e32 v83, v44 /*v300*/, v122
	v_mul_i32_i24_e32 v85, v45 /*v301*/, v121
	s_set_vgpr_msb 0x41                     ;  msbs: dst=1 src0=1 src1=0 src2=0
	v_mul_i32_i24_e32 v62 /*v318*/, v62 /*v318*/, v229
	v_mul_i32_i24_e32 v59 /*v315*/, v59 /*v315*/, v227
	s_set_vgpr_msb 0                        ;  msbs: dst=0 src0=0 src1=0 src2=0
	v_pk_add_f32 v[28:29], v[28:29], v[90:91]
	v_mad_i32_i24 v83, v80, v120, v83
	s_set_vgpr_msb 1                        ;  msbs: dst=0 src0=1 src1=0 src2=0
	v_mul_i32_i24_e32 v91, v48 /*v304*/, v125
	v_mul_i32_i24_e32 v90, v47 /*v303*/, v124
	s_set_vgpr_msb 0x41                     ;  msbs: dst=1 src0=1 src1=0 src2=0
	v_mul_i32_i24_e32 v61 /*v317*/, v61 /*v317*/, v228
	v_mul_i32_i24_e32 v42 /*v298*/, v63 /*v319*/, v119
	s_set_vgpr_msb 0                        ;  msbs: dst=0 src0=0 src1=0 src2=0
	v_add3_u32 v83, v83, v85, v89
	s_set_vgpr_msb 1                        ;  msbs: dst=0 src0=1 src1=0 src2=0
	v_mul_i32_i24_e32 v89, v64 /*v320*/, v232
	s_set_vgpr_msb 0x41                     ;  msbs: dst=1 src0=1 src1=0 src2=0
	v_mul_i32_i24_e32 v39 /*v295*/, v66 /*v322*/, v116
	v_mul_i32_i24_e32 v40 /*v296*/, v64 /*v320*/, v118
	;; [unrolled: 1-line block ×3, first 2 shown]
	s_set_vgpr_msb 4                        ;  msbs: dst=0 src0=0 src1=1 src2=0
	v_add3_u32 v83, v83, v67 /*v323*/, v91
	s_set_vgpr_msb 1                        ;  msbs: dst=0 src0=1 src1=0 src2=0
	v_mul_i32_i24_e32 v91, v66 /*v322*/, v234
	s_set_vgpr_msb 0x41                     ;  msbs: dst=1 src0=1 src1=0 src2=0
	v_mul_i32_i24_e32 v67 /*v323*/, v65 /*v321*/, v231
	s_set_vgpr_msb 16                       ;  msbs: dst=0 src0=0 src1=0 src2=1
	v_pk_mul_f16 v85, v115, v87
	v_add3_u32 v83, v83, v90, v43 /*v299*/
	s_set_vgpr_msb 1                        ;  msbs: dst=0 src0=1 src1=0 src2=0
	v_mul_i32_i24_e32 v90, v63 /*v319*/, v233
	s_set_vgpr_msb 20                       ;  msbs: dst=0 src0=0 src1=1 src2=1
	s_delay_alu instid0(VALU_DEP_2)
	v_add3_u32 v83, v83, v71 /*v327*/, v68 /*v324*/
	s_set_vgpr_msb 0x41                     ;  msbs: dst=1 src0=1 src1=0 src2=0
	v_mul_i32_i24_e32 v68 /*v324*/, v44 /*v300*/, v147
	v_mul_i32_i24_e32 v71 /*v327*/, v47 /*v303*/, v149
	;; [unrolled: 1-line block ×4, first 2 shown]
	s_set_vgpr_msb 20                       ;  msbs: dst=0 src0=0 src1=1 src2=1
	v_add3_u32 v83, v83, v69 /*v325*/, v70 /*v326*/
	s_set_vgpr_msb 0x41                     ;  msbs: dst=1 src0=1 src1=0 src2=0
	v_mul_i32_i24_e32 v69 /*v325*/, v45 /*v301*/, v146
	v_mul_i32_i24_e32 v70 /*v326*/, v46 /*v302*/, v148
	s_set_vgpr_msb 0x50                     ;  msbs: dst=1 src0=0 src1=0 src2=1
	v_mad_i32_i24 v68 /*v324*/, v80, v145, v68 /*v324*/
	s_set_vgpr_msb 0x41                     ;  msbs: dst=1 src0=1 src1=0 src2=0
	v_mul_i32_i24_e32 v45 /*v301*/, v45 /*v301*/, v207
	s_set_vgpr_msb 20                       ;  msbs: dst=0 src0=0 src1=1 src2=1
	v_add3_u32 v83, v83, v75 /*v331*/, v73 /*v329*/
	s_set_vgpr_msb 0x41                     ;  msbs: dst=1 src0=1 src1=0 src2=0
	v_mul_i32_i24_e32 v73 /*v329*/, v49 /*v305*/, v151
	v_mul_i32_i24_e32 v75 /*v331*/, v50 /*v306*/, v153
	s_set_vgpr_msb 0x55                     ;  msbs: dst=1 src0=1 src1=1 src2=1
	v_add3_u32 v68 /*v324*/, v68 /*v324*/, v69 /*v325*/, v70 /*v326*/
	s_set_vgpr_msb 0x41                     ;  msbs: dst=1 src0=1 src1=0 src2=0
	v_mul_i32_i24_e32 v46 /*v302*/, v46 /*v302*/, v209
	s_set_vgpr_msb 20                       ;  msbs: dst=0 src0=0 src1=1 src2=1
	v_add3_u32 v83, v83, v72 /*v328*/, v74 /*v330*/
	s_set_vgpr_msb 0x41                     ;  msbs: dst=1 src0=1 src1=0 src2=0
	v_mul_i32_i24_e32 v72 /*v328*/, v48 /*v304*/, v150
	s_set_vgpr_msb 64                       ;  msbs: dst=1 src0=0 src1=0 src2=0
	v_mul_i32_i24_e32 v74 /*v330*/, v92, v152
	s_set_vgpr_msb 16                       ;  msbs: dst=0 src0=0 src1=0 src2=1
	v_mad_i32_i24 v80, v80, v206, v44 /*v300*/
	s_set_vgpr_msb 0x41                     ;  msbs: dst=1 src0=1 src1=0 src2=0
	v_mul_i32_i24_e32 v48 /*v304*/, v48 /*v304*/, v211
	s_set_vgpr_msb 20                       ;  msbs: dst=0 src0=0 src1=1 src2=1
	v_add3_u32 v83, v83, v79 /*v335*/, v76 /*v332*/
	s_set_vgpr_msb 0x41                     ;  msbs: dst=1 src0=1 src1=0 src2=0
	v_mul_i32_i24_e32 v76 /*v332*/, v51 /*v307*/, v154
	s_set_vgpr_msb 0x55                     ;  msbs: dst=1 src0=1 src1=1 src2=1
	v_add3_u32 v68 /*v324*/, v68 /*v324*/, v74 /*v330*/, v72 /*v328*/
	s_set_vgpr_msb 0x41                     ;  msbs: dst=1 src0=1 src1=0 src2=0
	v_mul_i32_i24_e32 v79 /*v335*/, v53 /*v309*/, v194
	s_set_vgpr_msb 0                        ;  msbs: dst=0 src0=0 src1=0 src2=0
	v_mul_i32_i24_e32 v92, v92, v213
	s_set_vgpr_msb 20                       ;  msbs: dst=0 src0=0 src1=1 src2=1
	v_add3_u32 v83, v83, v77 /*v333*/, v78 /*v334*/
	s_set_vgpr_msb 64                       ;  msbs: dst=1 src0=0 src1=0 src2=0
	v_mul_i32_i24_e32 v78 /*v334*/, v94, v155
	s_set_vgpr_msb 0x55                     ;  msbs: dst=1 src0=1 src1=1 src2=1
	v_add3_u32 v68 /*v324*/, v68 /*v324*/, v71 /*v327*/, v73 /*v329*/
	s_set_vgpr_msb 0x41                     ;  msbs: dst=1 src0=1 src1=0 src2=0
	v_mul_i32_i24_e32 v77 /*v333*/, v52 /*v308*/, v189
	s_set_vgpr_msb 20                       ;  msbs: dst=0 src0=0 src1=1 src2=1
	v_add3_u32 v80, v80, v45 /*v301*/, v46 /*v302*/
	v_add3_u32 v83, v83, v83 /*v339*/, v81 /*v337*/
	s_set_vgpr_msb 0x41                     ;  msbs: dst=1 src0=1 src1=0 src2=0
	v_mul_i32_i24_e32 v81 /*v337*/, v55 /*v311*/, v196
	s_set_vgpr_msb 0x55                     ;  msbs: dst=1 src0=1 src1=1 src2=1
	v_add3_u32 v68 /*v324*/, v68 /*v324*/, v78 /*v334*/, v75 /*v331*/
	s_set_vgpr_msb 0x41                     ;  msbs: dst=1 src0=1 src1=0 src2=0
	v_mul_i32_i24_e32 v83 /*v339*/, v56 /*v312*/, v197
	v_mul_i32_i24_e32 v49 /*v305*/, v49 /*v305*/, v212
	s_set_vgpr_msb 0x54                     ;  msbs: dst=1 src0=0 src1=1 src2=1
	v_add3_u32 v43 /*v299*/, v83, v80 /*v336*/, v82 /*v338*/
	s_set_vgpr_msb 0x41                     ;  msbs: dst=1 src0=1 src1=0 src2=0
	v_mul_i32_i24_e32 v80 /*v336*/, v54 /*v310*/, v193
	s_set_vgpr_msb 64                       ;  msbs: dst=1 src0=0 src1=0 src2=0
	v_mul_i32_i24_e32 v82 /*v338*/, v93, v195
	s_set_vgpr_msb 0x55                     ;  msbs: dst=1 src0=1 src1=1 src2=1
	v_add3_u32 v68 /*v324*/, v68 /*v324*/, v76 /*v332*/, v77 /*v333*/
	s_set_vgpr_msb 16                       ;  msbs: dst=0 src0=0 src1=0 src2=1
	v_add3_u32 v80, v80, v92, v48 /*v304*/
	s_set_vgpr_msb 0x41                     ;  msbs: dst=1 src0=1 src1=0 src2=0
	v_mul_i32_i24_e32 v50 /*v306*/, v50 /*v306*/, v214
	s_set_vgpr_msb 0                        ;  msbs: dst=0 src0=0 src1=0 src2=0
	v_mul_i32_i24_e32 v94, v94, v216
	s_set_vgpr_msb 0x41                     ;  msbs: dst=1 src0=1 src1=0 src2=0
	v_mul_i32_i24_e32 v51 /*v307*/, v51 /*v307*/, v215
	s_set_vgpr_msb 0x55                     ;  msbs: dst=1 src0=1 src1=1 src2=1
	v_add3_u32 v68 /*v324*/, v68 /*v324*/, v82 /*v338*/, v80 /*v336*/
	s_set_vgpr_msb 20                       ;  msbs: dst=0 src0=0 src1=1 src2=1
	v_add3_u32 v80, v80, v47 /*v303*/, v49 /*v305*/
	s_set_vgpr_msb 0x41                     ;  msbs: dst=1 src0=1 src1=0 src2=0
	v_mul_i32_i24_e32 v52 /*v308*/, v52 /*v308*/, v217
	v_mul_i32_i24_e32 v54 /*v310*/, v54 /*v310*/, v218
	s_set_vgpr_msb 0                        ;  msbs: dst=0 src0=0 src1=0 src2=0
	v_mul_i32_i24_e32 v93, v93, v220
	s_set_vgpr_msb 0x55                     ;  msbs: dst=1 src0=1 src1=1 src2=1
	v_add3_u32 v68 /*v324*/, v68 /*v324*/, v79 /*v335*/, v81 /*v337*/
	s_set_vgpr_msb 16                       ;  msbs: dst=0 src0=0 src1=0 src2=1
	v_add3_u32 v80, v80, v94, v50 /*v306*/
	s_set_vgpr_msb 0x41                     ;  msbs: dst=1 src0=1 src1=0 src2=0
	v_mul_i32_i24_e32 v53 /*v309*/, v53 /*v309*/, v219
	v_mul_i32_i24_e32 v55 /*v311*/, v55 /*v311*/, v221
	;; [unrolled: 1-line block ×3, first 2 shown]
	s_set_vgpr_msb 0x55                     ;  msbs: dst=1 src0=1 src1=1 src2=1
	v_add3_u32 v68 /*v324*/, v68 /*v324*/, v86 /*v342*/, v83 /*v339*/
	s_set_vgpr_msb 20                       ;  msbs: dst=0 src0=0 src1=1 src2=1
	v_add3_u32 v80, v80, v51 /*v307*/, v52 /*v308*/
	v_cvt_f32_f16_e32 v83, v85
	s_set_vgpr_msb 0x55                     ;  msbs: dst=1 src0=1 src1=1 src2=1
	v_add3_u32 v68 /*v324*/, v68 /*v324*/, v84 /*v340*/, v85 /*v341*/
	s_set_vgpr_msb 16                       ;  msbs: dst=0 src0=0 src1=0 src2=1
	v_add3_u32 v80, v80, v93, v54 /*v310*/
	s_set_vgpr_msb 0x55                     ;  msbs: dst=1 src0=1 src1=1 src2=1
	s_delay_alu instid0(VALU_DEP_2) | instskip(SKIP_1) | instid1(VALU_DEP_2)
	v_add3_u32 v68 /*v324*/, v68 /*v324*/, v90 /*v346*/, v88 /*v344*/
	s_set_vgpr_msb 20                       ;  msbs: dst=0 src0=0 src1=1 src2=1
	v_add3_u32 v80, v80, v53 /*v309*/, v55 /*v311*/
	s_set_vgpr_msb 0x55                     ;  msbs: dst=1 src0=1 src1=1 src2=1
	s_delay_alu instid0(VALU_DEP_2) | instskip(SKIP_1) | instid1(VALU_DEP_2)
	v_add3_u32 v68 /*v324*/, v68 /*v324*/, v87 /*v343*/, v89 /*v345*/
	s_set_vgpr_msb 16                       ;  msbs: dst=0 src0=0 src1=0 src2=1
	v_add3_u32 v80, v80, v95, v56 /*v312*/
	s_set_vgpr_msb 0x55                     ;  msbs: dst=1 src0=1 src1=1 src2=1
	s_delay_alu instid0(VALU_DEP_2) | instskip(SKIP_1) | instid1(VALU_DEP_2)
	v_add3_u32 v68 /*v324*/, v68 /*v324*/, v94 /*v350*/, v91 /*v347*/
	s_set_vgpr_msb 20                       ;  msbs: dst=0 src0=0 src1=1 src2=1
	v_add3_u32 v80, v80, v57 /*v313*/, v58 /*v314*/
	s_set_vgpr_msb 0x55                     ;  msbs: dst=1 src0=1 src1=1 src2=1
	s_delay_alu instid0(VALU_DEP_2) | instskip(SKIP_1) | instid1(VALU_DEP_2)
	v_add3_u32 v68 /*v324*/, v68 /*v324*/, v92 /*v348*/, v93 /*v349*/
	s_set_vgpr_msb 20                       ;  msbs: dst=0 src0=0 src1=1 src2=1
	v_add3_u32 v80, v80, v62 /*v318*/, v60 /*v316*/
	s_set_vgpr_msb 1                        ;  msbs: dst=0 src0=1 src1=0 src2=0
	s_delay_alu instid0(VALU_DEP_2)
	v_add3_u32 v89, v68 /*v324*/, v89, v90
	s_set_vgpr_msb 0                        ;  msbs: dst=0 src0=0 src1=0 src2=0
	v_pk_mul_f16 v90, v144, v87
	s_set_vgpr_msb 20                       ;  msbs: dst=0 src0=0 src1=1 src2=1
	v_add3_u32 v80, v80, v59 /*v315*/, v61 /*v317*/
	s_set_vgpr_msb 16                       ;  msbs: dst=0 src0=0 src1=0 src2=1
	v_pk_mul_f16 v87, v205, v87
	v_add3_u32 v89, v89, v91, v67 /*v323*/
	s_set_vgpr_msb 1                        ;  msbs: dst=0 src0=1 src1=0 src2=0
	v_mul_i32_i24_e32 v91, v65 /*v321*/, v239
	s_set_vgpr_msb 0x41                     ;  msbs: dst=1 src0=1 src1=0 src2=0
	v_mul_i32_i24_e32 v65 /*v321*/, v37 /*v293*/, v238
	s_set_vgpr_msb 0                        ;  msbs: dst=0 src0=0 src1=0 src2=0
	v_cvt_f32_i32_e32 v89, v89
	s_delay_alu instid0(VALU_DEP_1)
	v_fma_mix_f32 v89, v90, v89, v90 op_sel:[0,0,1] op_sel_hi:[1,0,1]
	s_set_vgpr_msb 1                        ;  msbs: dst=0 src0=1 src1=0 src2=0
	v_mul_i32_i24_e32 v90, v66 /*v322*/, v242
	s_set_vgpr_msb 0x41                     ;  msbs: dst=1 src0=1 src1=0 src2=0
	v_mul_i32_i24_e32 v66 /*v322*/, v38 /*v294*/, v245
	s_set_vgpr_msb 0                        ;  msbs: dst=0 src0=0 src1=0 src2=0
	v_pk_add_f32 v[24:25], v[24:25], v[88:89]
	s_set_vgpr_msb 1                        ;  msbs: dst=0 src0=1 src1=0 src2=0
	v_mul_i32_i24_e32 v89, v63 /*v319*/, v241
	s_set_vgpr_msb 0x41                     ;  msbs: dst=1 src0=1 src1=0 src2=0
	v_mul_i32_i24_e32 v63 /*v319*/, v35 /*v291*/, v243
	s_set_vgpr_msb 1                        ;  msbs: dst=0 src0=1 src1=0 src2=0
	v_mul_i32_i24_e32 v88, v64 /*v320*/, v240
	s_set_vgpr_msb 0x41                     ;  msbs: dst=1 src0=1 src1=0 src2=0
	v_mul_i32_i24_e32 v64 /*v320*/, v36 /*v292*/, v244
	s_set_vgpr_msb 20                       ;  msbs: dst=0 src0=0 src1=1 src2=1
	v_add3_u32 v80, v80, v66 /*v322*/, v63 /*v319*/
	s_delay_alu instid0(VALU_DEP_1) | instskip(SKIP_1) | instid1(VALU_DEP_1)
	v_add3_u32 v80, v80, v64 /*v320*/, v65 /*v321*/
	s_set_vgpr_msb 0                        ;  msbs: dst=0 src0=0 src1=0 src2=0
	v_add3_u32 v80, v80, v88, v89
	s_delay_alu instid0(VALU_DEP_1) | instskip(NEXT) | instid1(VALU_DEP_1)
	v_add3_u32 v80, v80, v90, v91
	v_cvt_f32_i32_e32 v80, v80
	s_delay_alu instid0(VALU_DEP_1) | instskip(SKIP_1) | instid1(VALU_DEP_2)
	v_fma_mix_f32 v87, v87, v80, v87 op_sel:[0,0,1] op_sel_hi:[1,0,1]
	v_add_nc_u32_e32 v80, 0x1004, v97
	v_pk_add_f32 v[22:23], v[22:23], v[86:87]
	ds_load_2addr_b32 v[86:87], v80 offset1:1
	v_add_nc_u32_e32 v80, 0x1014, v97
	v_lshrrev_b32_e32 v85, 16, v85
	ds_load_2addr_b32 v[88:89], v80 offset1:1
	v_add_nc_u32_e32 v80, 0x1000, v97
	ds_load_2addr_b32 v[92:93], v80 offset1:3
	ds_load_2addr_b32 v[94:95], v80 offset0:4 offset1:7
	ds_load_2addr_b32 v[90:91], v96 offset0:128 offset1:160
	s_wait_dscnt 0x4
	s_set_vgpr_msb 64                       ;  msbs: dst=1 src0=0 src1=0 src2=0
	v_bfe_i32 v57 /*v313*/, v86, 8, 8
	v_ashrrev_i32_e32 v59 /*v315*/, 24, v86
	v_bfe_i32 v56 /*v312*/, v86, 0, 8
	v_bfe_i32 v58 /*v314*/, v86, 16, 8
	;; [unrolled: 1-line block ×3, first 2 shown]
	s_set_vgpr_msb 0x45                     ;  msbs: dst=1 src0=1 src1=1 src2=0
	v_mul_i32_i24_e32 v52 /*v308*/, v57 /*v313*/, v15 /*v271*/
	s_wait_dscnt 0x3
	s_set_vgpr_msb 64                       ;  msbs: dst=1 src0=0 src1=0 src2=0
	v_bfe_i32 v60 /*v316*/, v88, 0, 8
	v_ashrrev_i32_e32 v63 /*v319*/, 24, v88
	s_set_vgpr_msb 0x45                     ;  msbs: dst=1 src0=1 src1=1 src2=0
	v_mul_i32_i24_e32 v51 /*v307*/, v56 /*v312*/, v17 /*v273*/
	v_mul_i32_i24_e32 v76 /*v332*/, v58 /*v314*/, v16 /*v272*/
	s_set_vgpr_msb 64                       ;  msbs: dst=1 src0=0 src1=0 src2=0
	v_bfe_i32 v61 /*v317*/, v88, 8, 8
	s_wait_dscnt 0x1
	v_bfe_i32 v53 /*v309*/, v94, 8, 8
	s_set_vgpr_msb 0                        ;  msbs: dst=0 src0=0 src1=0 src2=0
	v_bfe_i32 v80, v94, 0, 8
	s_set_vgpr_msb 64                       ;  msbs: dst=1 src0=0 src1=0 src2=0
	v_bfe_i32 v54 /*v310*/, v94, 16, 8
	v_dual_ashrrev_i32 v55 /*v311*/, 24, v94 :: v_dual_ashrrev_i32 v47 /*v303*/, 24, v95
	s_set_vgpr_msb 0x45                     ;  msbs: dst=1 src0=1 src1=1 src2=0
	v_mul_i32_i24_e32 v48 /*v304*/, v13 /*v269*/, v53 /*v309*/
	s_set_vgpr_msb 0x41                     ;  msbs: dst=1 src0=1 src1=0 src2=0
	v_mul_i32_i24_e32 v77 /*v333*/, v59 /*v315*/, v113
	s_set_vgpr_msb 0x45                     ;  msbs: dst=1 src0=1 src1=1 src2=0
	v_mul_i32_i24_e32 v49 /*v305*/, v14 /*v270*/, v54 /*v310*/
	s_set_vgpr_msb 0x44                     ;  msbs: dst=1 src0=0 src1=1 src2=0
	v_mul_i32_i24_e32 v50 /*v306*/, v111, v55 /*v311*/
	v_bfe_i32 v62 /*v318*/, v88, 16, 8
	s_set_vgpr_msb 0x51                     ;  msbs: dst=1 src0=1 src1=0 src2=1
	v_mad_i32_i24 v48 /*v304*/, v12 /*v268*/, v80, v48 /*v304*/
	s_set_vgpr_msb 0x45                     ;  msbs: dst=1 src0=1 src1=1 src2=0
	v_mul_i32_i24_e32 v78 /*v334*/, v60 /*v316*/, v20 /*v276*/
	s_set_vgpr_msb 0x41                     ;  msbs: dst=1 src0=1 src1=0 src2=0
	v_mul_i32_i24_e32 v81 /*v337*/, v63 /*v319*/, v109
	s_set_vgpr_msb 64                       ;  msbs: dst=1 src0=0 src1=0 src2=0
	v_bfe_i32 v65 /*v321*/, v87, 8, 8
	v_bfe_i32 v66 /*v322*/, v87, 16, 8
	s_set_vgpr_msb 0x55                     ;  msbs: dst=1 src0=1 src1=1 src2=1
	v_add3_u32 v48 /*v304*/, v48 /*v304*/, v49 /*v305*/, v50 /*v306*/
	s_set_vgpr_msb 0                        ;  msbs: dst=0 src0=0 src1=0 src2=0
	v_ashrrev_i32_e32 v87, 24, v87
	s_set_vgpr_msb 0x55                     ;  msbs: dst=1 src0=1 src1=1 src2=1
	v_mul_i32_i24_e32 v79 /*v335*/, v61 /*v317*/, v18 /*v274*/
	v_mul_i32_i24_e32 v80 /*v336*/, v62 /*v318*/, v19 /*v275*/
	v_mul_i32_i24_e32 v83 /*v339*/, v65 /*v321*/, v21 /*v277*/
	v_add3_u32 v48 /*v304*/, v48 /*v304*/, v77 /*v333*/, v52 /*v308*/
	s_set_vgpr_msb 64                       ;  msbs: dst=1 src0=0 src1=0 src2=0
	v_mul_i32_i24_e32 v85 /*v341*/, v87, v114
	v_bfe_i32 v67 /*v323*/, v89, 0, 8
	v_bfe_i32 v68 /*v324*/, v89, 8, 8
	v_bfe_i32 v69 /*v325*/, v89, 16, 8
	s_set_vgpr_msb 0x55                     ;  msbs: dst=1 src0=1 src1=1 src2=1
	v_add3_u32 v48 /*v304*/, v48 /*v304*/, v51 /*v307*/, v76 /*v332*/
	s_set_vgpr_msb 0                        ;  msbs: dst=0 src0=0 src1=0 src2=0
	v_ashrrev_i32_e32 v89, 24, v89
	s_set_vgpr_msb 0x55                     ;  msbs: dst=1 src0=1 src1=1 src2=1
	v_mul_i32_i24_e32 v82 /*v338*/, v64 /*v320*/, v23 /*v279*/
	v_mul_i32_i24_e32 v84 /*v340*/, v66 /*v322*/, v22 /*v278*/
	v_mul_i32_i24_e32 v86 /*v342*/, v67 /*v323*/, v30 /*v286*/
	v_add3_u32 v48 /*v304*/, v48 /*v304*/, v81 /*v337*/, v78 /*v334*/
	s_set_vgpr_msb 64                       ;  msbs: dst=1 src0=0 src1=0 src2=0
	v_mul_i32_i24_e32 v89 /*v345*/, v89, v110
	v_bfe_i32 v70 /*v326*/, v93, 0, 8
	v_bfe_i32 v71 /*v327*/, v93, 8, 8
	v_bfe_i32 v72 /*v328*/, v93, 16, 8
	s_set_vgpr_msb 0x55                     ;  msbs: dst=1 src0=1 src1=1 src2=1
	v_add3_u32 v48 /*v304*/, v48 /*v304*/, v79 /*v335*/, v80 /*v336*/
	s_set_vgpr_msb 0                        ;  msbs: dst=0 src0=0 src1=0 src2=0
	v_ashrrev_i32_e32 v93, 24, v93
	s_set_vgpr_msb 0x55                     ;  msbs: dst=1 src0=1 src1=1 src2=1
	v_mul_i32_i24_e32 v87 /*v343*/, v68 /*v324*/, v25 /*v281*/
	v_mul_i32_i24_e32 v88 /*v344*/, v69 /*v325*/, v26 /*v282*/
	v_mul_i32_i24_e32 v91 /*v347*/, v71 /*v327*/, v31 /*v287*/
	v_add3_u32 v48 /*v304*/, v48 /*v304*/, v85 /*v341*/, v83 /*v339*/
	s_set_vgpr_msb 64                       ;  msbs: dst=1 src0=0 src1=0 src2=0
	v_mul_i32_i24_e32 v93 /*v349*/, v93, v112
	v_bfe_i32 v44 /*v300*/, v95, 0, 8
	s_set_vgpr_msb 0x55                     ;  msbs: dst=1 src0=1 src1=1 src2=1
	v_mul_i32_i24_e32 v90 /*v346*/, v70 /*v326*/, v33 /*v289*/
	v_mul_i32_i24_e32 v92 /*v348*/, v72 /*v328*/, v32 /*v288*/
	v_add3_u32 v48 /*v304*/, v48 /*v304*/, v82 /*v338*/, v84 /*v340*/
	s_set_vgpr_msb 64                       ;  msbs: dst=1 src0=0 src1=0 src2=0
	v_bfe_i32 v45 /*v301*/, v95, 8, 8
	v_bfe_i32 v46 /*v302*/, v95, 16, 8
	s_set_vgpr_msb 0x55                     ;  msbs: dst=1 src0=1 src1=1 src2=1
	v_mul_i32_i24_e32 v94 /*v350*/, v44 /*v300*/, v3 /*v259*/
	v_mul_i32_i24_e32 v97 /*v353*/, v47 /*v303*/, v5 /*v261*/
	v_add3_u32 v48 /*v304*/, v48 /*v304*/, v89 /*v345*/, v86 /*v342*/
	s_set_vgpr_msb 0                        ;  msbs: dst=0 src0=0 src1=0 src2=0
	v_bfe_i32 v95, v92, 8, 8
	s_set_vgpr_msb 64                       ;  msbs: dst=1 src0=0 src1=0 src2=0
	v_bfe_i32 v73 /*v329*/, v92, 0, 8
	s_set_vgpr_msb 0x45                     ;  msbs: dst=1 src0=1 src1=1 src2=0
	v_mul_i32_i24_e32 v95 /*v351*/, v45 /*v301*/, v4 /*v260*/
	s_set_vgpr_msb 0x41                     ;  msbs: dst=1 src0=1 src1=0 src2=0
	v_mul_i32_i24_e32 v96 /*v352*/, v46 /*v302*/, v250
	s_set_vgpr_msb 0x55                     ;  msbs: dst=1 src0=1 src1=1 src2=1
	v_add3_u32 v48 /*v304*/, v48 /*v304*/, v87 /*v343*/, v88 /*v344*/
	s_set_vgpr_msb 1                        ;  msbs: dst=0 src0=1 src1=0 src2=0
	v_mul_i32_i24_e32 v88, v1 /*v257*/, v95
	s_set_vgpr_msb 4                        ;  msbs: dst=0 src0=0 src1=1 src2=0
	v_mul_i32_i24_e32 v86, v253, v73 /*v329*/
	s_set_vgpr_msb 64                       ;  msbs: dst=1 src0=0 src1=0 src2=0
	v_ashrrev_i32_e32 v74 /*v330*/, 24, v92
	v_bfe_i32 v75 /*v331*/, v92, 16, 8
	s_set_vgpr_msb 0x55                     ;  msbs: dst=1 src0=1 src1=1 src2=1
	v_add3_u32 v48 /*v304*/, v48 /*v304*/, v93 /*v349*/, v91 /*v347*/
	s_set_vgpr_msb 0x41                     ;  msbs: dst=1 src0=1 src1=0 src2=0
	v_mul_i32_i24_e32 v76 /*v332*/, v57 /*v313*/, v125
	v_mul_i32_i24_e32 v78 /*v334*/, v59 /*v315*/, v127
	s_set_vgpr_msb 4                        ;  msbs: dst=0 src0=0 src1=1 src2=0
	v_mul_i32_i24_e32 v94, v251, v74 /*v330*/
	s_set_vgpr_msb 5                        ;  msbs: dst=0 src0=1 src1=1 src2=0
	v_mul_i32_i24_e32 v92, v2 /*v258*/, v75 /*v331*/
	s_set_vgpr_msb 0x55                     ;  msbs: dst=1 src0=1 src1=1 src2=1
	v_add3_u32 v48 /*v304*/, v48 /*v304*/, v90 /*v346*/, v92 /*v348*/
	s_set_vgpr_msb 0x41                     ;  msbs: dst=1 src0=1 src1=0 src2=0
	v_mul_i32_i24_e32 v52 /*v308*/, v56 /*v312*/, v124
	v_mul_i32_i24_e32 v77 /*v333*/, v58 /*v314*/, v126
	;; [unrolled: 1-line block ×4, first 2 shown]
	s_set_vgpr_msb 0x55                     ;  msbs: dst=1 src0=1 src1=1 src2=1
	v_add3_u32 v48 /*v304*/, v48 /*v304*/, v97 /*v353*/, v94 /*v350*/
	s_set_vgpr_msb 0x41                     ;  msbs: dst=1 src0=1 src1=0 src2=0
	v_mul_i32_i24_e32 v80 /*v336*/, v61 /*v317*/, v129
	v_mul_i32_i24_e32 v81 /*v337*/, v62 /*v318*/, v131
	v_mul_i32_i24_e32 v84 /*v340*/, v65 /*v321*/, v132
	s_set_vgpr_msb 64                       ;  msbs: dst=1 src0=0 src1=0 src2=0
	v_mul_i32_i24_e32 v86 /*v342*/, v87, v134
	s_set_vgpr_msb 0x55                     ;  msbs: dst=1 src0=1 src1=1 src2=1
	v_add3_u32 v48 /*v304*/, v48 /*v304*/, v95 /*v351*/, v96 /*v352*/
	s_set_vgpr_msb 0x41                     ;  msbs: dst=1 src0=1 src1=0 src2=0
	v_mul_i32_i24_e32 v83 /*v339*/, v64 /*v320*/, v133
	v_mul_i32_i24_e32 v85 /*v341*/, v66 /*v322*/, v135
	v_mul_i32_i24_e32 v87 /*v343*/, v67 /*v323*/, v136
	s_set_vgpr_msb 64                       ;  msbs: dst=1 src0=0 src1=0 src2=0
	v_mul_i32_i24_e32 v90 /*v346*/, v89, v138
	s_set_vgpr_msb 1                        ;  msbs: dst=0 src0=1 src1=0 src2=0
	v_add3_u32 v86, v48 /*v304*/, v86, v88
	s_wait_dscnt 0x0
	s_set_vgpr_msb 0                        ;  msbs: dst=0 src0=0 src1=0 src2=0
	v_pk_mul_f16 v88, v108, v90
	s_set_vgpr_msb 0x41                     ;  msbs: dst=1 src0=1 src1=0 src2=0
	v_mul_i32_i24_e32 v88 /*v344*/, v68 /*v324*/, v137
	v_mul_i32_i24_e32 v89 /*v345*/, v69 /*v325*/, v139
	;; [unrolled: 1-line block ×3, first 2 shown]
	s_set_vgpr_msb 0                        ;  msbs: dst=0 src0=0 src1=0 src2=0
	v_add3_u32 v86, v86, v92, v94
	s_set_vgpr_msb 1                        ;  msbs: dst=0 src0=1 src1=0 src2=0
	v_mul_i32_i24_e32 v92, v55 /*v311*/, v123
	s_set_vgpr_msb 64                       ;  msbs: dst=1 src0=0 src1=0 src2=0
	v_mul_i32_i24_e32 v94 /*v350*/, v93, v143
	s_set_vgpr_msb 0x41                     ;  msbs: dst=1 src0=1 src1=0 src2=0
	v_mul_i32_i24_e32 v91 /*v347*/, v70 /*v326*/, v141
	v_mul_i32_i24_e32 v93 /*v349*/, v72 /*v328*/, v142
	s_set_vgpr_msb 0                        ;  msbs: dst=0 src0=0 src1=0 src2=0
	v_cvt_f32_i32_e32 v86, v86
	s_set_vgpr_msb 0x41                     ;  msbs: dst=1 src0=1 src1=0 src2=0
	v_mul_i32_i24_e32 v95 /*v351*/, v68 /*v324*/, v198
	v_mul_i32_i24_e32 v96 /*v352*/, v69 /*v325*/, v200
	;; [unrolled: 1-line block ×3, first 2 shown]
	s_set_vgpr_msb 64                       ;  msbs: dst=1 src0=0 src1=0 src2=0
	v_mul_i32_i24_e32 v101 /*v357*/, v93, v204
	s_set_vgpr_msb 0                        ;  msbs: dst=0 src0=0 src1=0 src2=0
	v_fma_mix_f32 v94, v88, v86, v88 op_sel:[0,0,1] op_sel_hi:[1,0,1]
	s_set_vgpr_msb 1                        ;  msbs: dst=0 src0=1 src1=0 src2=0
	v_mul_i32_i24_e32 v86, v53 /*v309*/, v122
	v_mul_i32_i24_e32 v88, v54 /*v310*/, v121
	s_set_vgpr_msb 0x41                     ;  msbs: dst=1 src0=1 src1=0 src2=0
	v_mul_i32_i24_e32 v98 /*v354*/, v70 /*v326*/, v202
	v_mul_i32_i24_e32 v100 /*v356*/, v72 /*v328*/, v203
	;; [unrolled: 1-line block ×3, first 2 shown]
	s_set_vgpr_msb 0                        ;  msbs: dst=0 src0=0 src1=0 src2=0
	v_mad_i32_i24 v86, v80, v120, v86
	s_set_vgpr_msb 0x41                     ;  msbs: dst=1 src0=1 src1=0 src2=0
	v_mul_i32_i24_e32 v105 /*v361*/, v47 /*v303*/, v237
	v_mul_i32_i24_e32 v103 /*v359*/, v45 /*v301*/, v236
	;; [unrolled: 1-line block ×4, first 2 shown]
	s_set_vgpr_msb 0                        ;  msbs: dst=0 src0=0 src1=0 src2=0
	v_add3_u32 v86, v86, v88, v92
	v_pk_mul_f16 v88, v115, v90
	s_set_vgpr_msb 1                        ;  msbs: dst=0 src0=1 src1=0 src2=0
	v_mul_i32_i24_e32 v92, v73 /*v329*/, v232
	s_set_vgpr_msb 0x41                     ;  msbs: dst=1 src0=1 src1=0 src2=0
	v_mul_i32_i24_e32 v69 /*v325*/, v69 /*v325*/, v225
	v_mul_i32_i24_e32 v71 /*v327*/, v71 /*v327*/, v226
	s_set_vgpr_msb 20                       ;  msbs: dst=0 src0=0 src1=1 src2=1
	v_add3_u32 v86, v86, v78 /*v334*/, v76 /*v332*/
	s_set_vgpr_msb 64                       ;  msbs: dst=1 src0=0 src1=0 src2=0
	v_mul_i32_i24_e32 v76 /*v332*/, v95, v233
	s_set_vgpr_msb 0x41                     ;  msbs: dst=1 src0=1 src1=0 src2=0
	v_mul_i32_i24_e32 v78 /*v334*/, v74 /*v330*/, v231
	s_set_vgpr_msb 0                        ;  msbs: dst=0 src0=0 src1=0 src2=0
	v_mul_i32_i24_e32 v93, v93, v229
	s_set_vgpr_msb 0x41                     ;  msbs: dst=1 src0=1 src1=0 src2=0
	v_mul_i32_i24_e32 v70 /*v326*/, v70 /*v326*/, v227
	s_set_vgpr_msb 20                       ;  msbs: dst=0 src0=0 src1=1 src2=1
	v_add3_u32 v86, v86, v52 /*v308*/, v77 /*v333*/
	s_set_vgpr_msb 0x41                     ;  msbs: dst=1 src0=1 src1=0 src2=0
	v_mul_i32_i24_e32 v77 /*v333*/, v75 /*v331*/, v234
	v_mul_i32_i24_e32 v72 /*v328*/, v72 /*v328*/, v228
	;; [unrolled: 1-line block ×3, first 2 shown]
	s_set_vgpr_msb 64                       ;  msbs: dst=1 src0=0 src1=0 src2=0
	v_mul_i32_i24_e32 v49 /*v305*/, v95, v119
	s_set_vgpr_msb 20                       ;  msbs: dst=0 src0=0 src1=1 src2=1
	v_add3_u32 v86, v86, v82 /*v338*/, v79 /*v335*/
	s_set_vgpr_msb 0x41                     ;  msbs: dst=1 src0=1 src1=0 src2=0
	v_mul_i32_i24_e32 v79 /*v335*/, v53 /*v309*/, v147
	v_mul_i32_i24_e32 v82 /*v338*/, v56 /*v312*/, v149
	;; [unrolled: 1-line block ×4, first 2 shown]
	s_set_vgpr_msb 20                       ;  msbs: dst=0 src0=0 src1=1 src2=1
	v_add3_u32 v86, v86, v80 /*v336*/, v81 /*v337*/
	s_set_vgpr_msb 0x41                     ;  msbs: dst=1 src0=1 src1=0 src2=0
	v_mul_i32_i24_e32 v80 /*v336*/, v54 /*v310*/, v146
	v_mul_i32_i24_e32 v81 /*v337*/, v55 /*v311*/, v148
	s_set_vgpr_msb 0x50                     ;  msbs: dst=1 src0=0 src1=0 src2=1
	v_mad_i32_i24 v79 /*v335*/, v80, v145, v79 /*v335*/
	s_set_vgpr_msb 0x41                     ;  msbs: dst=1 src0=1 src1=0 src2=0
	v_mul_i32_i24_e32 v54 /*v310*/, v54 /*v310*/, v207
	s_set_vgpr_msb 20                       ;  msbs: dst=0 src0=0 src1=1 src2=1
	v_add3_u32 v86, v86, v86 /*v342*/, v84 /*v340*/
	s_set_vgpr_msb 0x41                     ;  msbs: dst=1 src0=1 src1=0 src2=0
	v_mul_i32_i24_e32 v84 /*v340*/, v58 /*v314*/, v151
	v_mul_i32_i24_e32 v86 /*v342*/, v60 /*v316*/, v153
	s_set_vgpr_msb 0x55                     ;  msbs: dst=1 src0=1 src1=1 src2=1
	v_add3_u32 v79 /*v335*/, v79 /*v335*/, v80 /*v336*/, v81 /*v337*/
	s_set_vgpr_msb 0x41                     ;  msbs: dst=1 src0=1 src1=0 src2=0
	v_mul_i32_i24_e32 v55 /*v311*/, v55 /*v311*/, v209
	s_set_vgpr_msb 20                       ;  msbs: dst=0 src0=0 src1=1 src2=1
	v_add3_u32 v86, v86, v83 /*v339*/, v85 /*v341*/
	s_set_vgpr_msb 0x41                     ;  msbs: dst=1 src0=1 src1=0 src2=0
	v_mul_i32_i24_e32 v83 /*v339*/, v57 /*v313*/, v150
	v_mul_i32_i24_e32 v85 /*v341*/, v59 /*v315*/, v152
	s_set_vgpr_msb 16                       ;  msbs: dst=0 src0=0 src1=0 src2=1
	v_mad_i32_i24 v80, v80, v206, v53 /*v309*/
	s_set_vgpr_msb 0x41                     ;  msbs: dst=1 src0=1 src1=0 src2=0
	v_mul_i32_i24_e32 v57 /*v313*/, v57 /*v313*/, v211
	s_set_vgpr_msb 20                       ;  msbs: dst=0 src0=0 src1=1 src2=1
	v_add3_u32 v86, v86, v90 /*v346*/, v87 /*v343*/
	s_set_vgpr_msb 0x41                     ;  msbs: dst=1 src0=1 src1=0 src2=0
	v_mul_i32_i24_e32 v87 /*v343*/, v61 /*v317*/, v154
	s_set_vgpr_msb 0x55                     ;  msbs: dst=1 src0=1 src1=1 src2=1
	v_add3_u32 v79 /*v335*/, v79 /*v335*/, v85 /*v341*/, v83 /*v339*/
	s_set_vgpr_msb 0x41                     ;  msbs: dst=1 src0=1 src1=0 src2=0
	v_mul_i32_i24_e32 v90 /*v346*/, v64 /*v320*/, v194
	v_mul_i32_i24_e32 v59 /*v315*/, v59 /*v315*/, v213
	s_set_vgpr_msb 20                       ;  msbs: dst=0 src0=0 src1=1 src2=1
	v_add3_u32 v86, v86, v88 /*v344*/, v89 /*v345*/
	s_set_vgpr_msb 0x41                     ;  msbs: dst=1 src0=1 src1=0 src2=0
	v_mul_i32_i24_e32 v89 /*v345*/, v63 /*v319*/, v155
	s_set_vgpr_msb 0x55                     ;  msbs: dst=1 src0=1 src1=1 src2=1
	v_add3_u32 v79 /*v335*/, v79 /*v335*/, v82 /*v338*/, v84 /*v340*/
	s_set_vgpr_msb 0x41                     ;  msbs: dst=1 src0=1 src1=0 src2=0
	v_mul_i32_i24_e32 v88 /*v344*/, v62 /*v318*/, v189
	s_set_vgpr_msb 20                       ;  msbs: dst=0 src0=0 src1=1 src2=1
	v_add3_u32 v80, v80, v54 /*v310*/, v55 /*v311*/
	v_add3_u32 v86, v86, v94 /*v350*/, v92 /*v348*/
	s_set_vgpr_msb 0x41                     ;  msbs: dst=1 src0=1 src1=0 src2=0
	v_mul_i32_i24_e32 v92 /*v348*/, v66 /*v322*/, v196
	s_set_vgpr_msb 0x55                     ;  msbs: dst=1 src0=1 src1=1 src2=1
	v_add3_u32 v79 /*v335*/, v79 /*v335*/, v89 /*v345*/, v86 /*v342*/
	s_set_vgpr_msb 0x41                     ;  msbs: dst=1 src0=1 src1=0 src2=0
	v_mul_i32_i24_e32 v94 /*v350*/, v67 /*v323*/, v197
	v_mul_i32_i24_e32 v58 /*v314*/, v58 /*v314*/, v212
	s_set_vgpr_msb 0x54                     ;  msbs: dst=1 src0=0 src1=1 src2=1
	v_add3_u32 v52 /*v308*/, v86, v91 /*v347*/, v93 /*v349*/
	s_set_vgpr_msb 0x41                     ;  msbs: dst=1 src0=1 src1=0 src2=0
	v_mul_i32_i24_e32 v91 /*v347*/, v65 /*v321*/, v193
	s_set_vgpr_msb 64                       ;  msbs: dst=1 src0=0 src1=0 src2=0
	v_mul_i32_i24_e32 v93 /*v349*/, v87, v195
	s_set_vgpr_msb 0x55                     ;  msbs: dst=1 src0=1 src1=1 src2=1
	v_add3_u32 v79 /*v335*/, v79 /*v335*/, v87 /*v343*/, v88 /*v344*/
	s_set_vgpr_msb 0                        ;  msbs: dst=0 src0=0 src1=0 src2=0
	v_cvt_f32_f16_e32 v86, v88
	v_lshrrev_b32_e32 v88, 16, v88
	s_set_vgpr_msb 64                       ;  msbs: dst=1 src0=0 src1=0 src2=0
	v_mul_i32_i24_e32 v97 /*v353*/, v89, v199
	s_set_vgpr_msb 20                       ;  msbs: dst=0 src0=0 src1=1 src2=1
	v_add3_u32 v80, v80, v59 /*v315*/, v57 /*v313*/
	s_set_vgpr_msb 0x55                     ;  msbs: dst=1 src0=1 src1=1 src2=1
	v_add3_u32 v79 /*v335*/, v79 /*v335*/, v93 /*v349*/, v91 /*v347*/
	s_set_vgpr_msb 0x41                     ;  msbs: dst=1 src0=1 src1=0 src2=0
	v_mul_i32_i24_e32 v60 /*v316*/, v60 /*v316*/, v214
	v_mul_i32_i24_e32 v63 /*v319*/, v63 /*v319*/, v216
	;; [unrolled: 1-line block ×3, first 2 shown]
	s_set_vgpr_msb 20                       ;  msbs: dst=0 src0=0 src1=1 src2=1
	v_add3_u32 v80, v80, v56 /*v312*/, v58 /*v314*/
	s_set_vgpr_msb 0x55                     ;  msbs: dst=1 src0=1 src1=1 src2=1
	v_add3_u32 v79 /*v335*/, v79 /*v335*/, v90 /*v346*/, v92 /*v348*/
	s_set_vgpr_msb 0x41                     ;  msbs: dst=1 src0=1 src1=0 src2=0
	v_mul_i32_i24_e32 v62 /*v318*/, v62 /*v318*/, v217
	v_mul_i32_i24_e32 v65 /*v321*/, v65 /*v321*/, v218
	s_set_vgpr_msb 0                        ;  msbs: dst=0 src0=0 src1=0 src2=0
	v_mul_i32_i24_e32 v87, v87, v220
	s_set_vgpr_msb 20                       ;  msbs: dst=0 src0=0 src1=1 src2=1
	v_add3_u32 v80, v80, v63 /*v319*/, v60 /*v316*/
	s_set_vgpr_msb 0x55                     ;  msbs: dst=1 src0=1 src1=1 src2=1
	v_add3_u32 v79 /*v335*/, v79 /*v335*/, v97 /*v353*/, v94 /*v350*/
	s_set_vgpr_msb 0x41                     ;  msbs: dst=1 src0=1 src1=0 src2=0
	v_mul_i32_i24_e32 v64 /*v320*/, v64 /*v320*/, v219
	v_mul_i32_i24_e32 v66 /*v322*/, v66 /*v322*/, v221
	;; [unrolled: 1-line block ×3, first 2 shown]
	s_set_vgpr_msb 20                       ;  msbs: dst=0 src0=0 src1=1 src2=1
	v_add3_u32 v80, v80, v61 /*v317*/, v62 /*v318*/
	s_set_vgpr_msb 0x55                     ;  msbs: dst=1 src0=1 src1=1 src2=1
	v_add3_u32 v79 /*v335*/, v79 /*v335*/, v95 /*v351*/, v96 /*v352*/
	s_set_vgpr_msb 0                        ;  msbs: dst=0 src0=0 src1=0 src2=0
	v_mul_i32_i24_e32 v89, v89, v224
	s_set_vgpr_msb 0x41                     ;  msbs: dst=1 src0=1 src1=0 src2=0
	v_mul_i32_i24_e32 v73 /*v329*/, v73 /*v329*/, v240
	s_set_vgpr_msb 16                       ;  msbs: dst=0 src0=0 src1=0 src2=1
	v_mul_i32_i24_e32 v95, v95, v241
	v_add3_u32 v80, v80, v87, v65 /*v321*/
	s_set_vgpr_msb 0x55                     ;  msbs: dst=1 src0=1 src1=1 src2=1
	v_add3_u32 v79 /*v335*/, v79 /*v335*/, v101 /*v357*/, v99 /*v355*/
	s_set_vgpr_msb 0x41                     ;  msbs: dst=1 src0=1 src1=0 src2=0
	v_mul_i32_i24_e32 v50 /*v306*/, v75 /*v331*/, v116
	v_mul_i32_i24_e32 v51 /*v307*/, v74 /*v330*/, v117
	;; [unrolled: 1-line block ×3, first 2 shown]
	s_set_vgpr_msb 20                       ;  msbs: dst=0 src0=0 src1=1 src2=1
	v_add3_u32 v80, v80, v64 /*v320*/, v66 /*v322*/
	s_set_vgpr_msb 0x55                     ;  msbs: dst=1 src0=1 src1=1 src2=1
	v_add3_u32 v79 /*v335*/, v79 /*v335*/, v98 /*v354*/, v100 /*v356*/
	s_set_vgpr_msb 0x41                     ;  msbs: dst=1 src0=1 src1=0 src2=0
	v_mul_i32_i24_e32 v74 /*v330*/, v74 /*v330*/, v239
	s_set_vgpr_msb 16                       ;  msbs: dst=0 src0=0 src1=0 src2=1
	v_pk_mul_f16 v87, v205, v90
	v_cvt_f32_f16_e32 v85, v85
	v_add3_u32 v80, v80, v89, v67 /*v323*/
	s_set_vgpr_msb 0x55                     ;  msbs: dst=1 src0=1 src1=1 src2=1
	v_add3_u32 v79 /*v335*/, v79 /*v335*/, v105 /*v361*/, v102 /*v358*/
	s_set_vgpr_msb 20                       ;  msbs: dst=0 src0=0 src1=1 src2=1
	v_cvt_f32_f16_e32 v88, v88
	v_add3_u32 v80, v80, v68 /*v324*/, v69 /*v325*/
	s_set_vgpr_msb 0x55                     ;  msbs: dst=1 src0=1 src1=1 src2=1
	v_add3_u32 v79 /*v335*/, v79 /*v335*/, v103 /*v359*/, v104 /*v360*/
	s_set_vgpr_msb 16                       ;  msbs: dst=0 src0=0 src1=0 src2=1
	s_delay_alu instid0(VALU_DEP_2) | instskip(SKIP_1) | instid1(VALU_DEP_2)
	v_add3_u32 v80, v80, v93, v71 /*v327*/
	s_set_vgpr_msb 17                       ;  msbs: dst=0 src0=1 src1=0 src2=1
	v_add3_u32 v92, v79 /*v335*/, v92, v76 /*v332*/
	s_set_vgpr_msb 64                       ;  msbs: dst=1 src0=0 src1=0 src2=0
	v_pk_mul_f16 v76 /*v332*/, v144, v90
	s_set_vgpr_msb 0x41                     ;  msbs: dst=1 src0=1 src1=0 src2=0
	v_mul_i32_i24_e32 v79 /*v335*/, v47 /*v303*/, v245
	s_set_vgpr_msb 20                       ;  msbs: dst=0 src0=0 src1=1 src2=1
	v_add3_u32 v80, v80, v70 /*v326*/, v72 /*v328*/
	v_add3_u32 v92, v92, v77 /*v333*/, v78 /*v334*/
	s_set_vgpr_msb 0x41                     ;  msbs: dst=1 src0=1 src1=0 src2=0
	v_mul_i32_i24_e32 v77 /*v333*/, v45 /*v301*/, v244
	v_mul_i32_i24_e32 v78 /*v334*/, v46 /*v302*/, v238
	s_set_vgpr_msb 0                        ;  msbs: dst=0 src0=0 src1=0 src2=0
	v_cvt_f32_i32_e32 v92, v92
	s_set_vgpr_msb 17                       ;  msbs: dst=0 src0=1 src1=0 src2=1
	s_delay_alu instid0(VALU_DEP_1) | instskip(SKIP_3) | instid1(VALU_DEP_1)
	v_fma_mix_f32 v92, v76 /*v332*/, v92, v76 /*v332*/ op_sel:[0,0,1] op_sel_hi:[1,0,1]
	s_set_vgpr_msb 0x41                     ;  msbs: dst=1 src0=1 src1=0 src2=0
	v_mul_i32_i24_e32 v76 /*v332*/, v44 /*v300*/, v243
	s_set_vgpr_msb 20                       ;  msbs: dst=0 src0=0 src1=1 src2=1
	v_add3_u32 v80, v80, v79 /*v335*/, v76 /*v332*/
	s_delay_alu instid0(VALU_DEP_1) | instskip(SKIP_1) | instid1(VALU_DEP_1)
	v_add3_u32 v80, v80, v77 /*v333*/, v78 /*v334*/
	s_set_vgpr_msb 4                        ;  msbs: dst=0 src0=0 src1=1 src2=0
	v_add3_u32 v80, v80, v73 /*v329*/, v95
	s_set_vgpr_msb 20                       ;  msbs: dst=0 src0=0 src1=1 src2=1
	s_delay_alu instid0(VALU_DEP_1) | instskip(NEXT) | instid1(VALU_DEP_1)
	v_add3_u32 v80, v80, v75 /*v331*/, v74 /*v330*/
	v_cvt_f32_i32_e32 v80, v80
	s_set_vgpr_msb 0                        ;  msbs: dst=0 src0=0 src1=0 src2=0
	s_delay_alu instid0(VALU_DEP_1)
	v_fma_mix_f32 v90, v87, v80, v87 op_sel:[0,0,1] op_sel_hi:[1,0,1]
	v_add_nc_u32_e32 v80, 0x1404, v97
	s_set_vgpr_msb 64                       ;  msbs: dst=1 src0=0 src1=0 src2=0
	ds_load_2addr_b32 v[54:55] /*v[310:311]*/, v80 offset1:1
	s_set_vgpr_msb 0                        ;  msbs: dst=0 src0=0 src1=0 src2=0
	v_add_nc_u32_e32 v80, 0x1414, v97
	s_set_vgpr_msb 64                       ;  msbs: dst=1 src0=0 src1=0 src2=0
	ds_load_2addr_b32 v[56:57] /*v[312:313]*/, v80 offset1:1
	s_set_vgpr_msb 0                        ;  msbs: dst=0 src0=0 src1=0 src2=0
	v_add_nc_u32_e32 v80, 0x1400, v97
	s_set_vgpr_msb 64                       ;  msbs: dst=1 src0=0 src1=0 src2=0
	ds_load_2addr_b32 v[58:59] /*v[314:315]*/, v80 offset1:3
	ds_load_2addr_b32 v[60:61] /*v[316:317]*/, v80 offset0:4 offset1:7
	s_wait_dscnt 0x3
	s_set_vgpr_msb 0x41                     ;  msbs: dst=1 src0=1 src1=0 src2=0
	v_bfe_i32 v64 /*v320*/, v54 /*v310*/, 0, 8
	v_bfe_i32 v65 /*v321*/, v54 /*v310*/, 8, 8
	;; [unrolled: 1-line block ×3, first 2 shown]
	s_set_vgpr_msb 0x44                     ;  msbs: dst=1 src0=0 src1=1 src2=0
	v_ashrrev_i32_e32 v67 /*v323*/, 24, v54 /*v310*/
	s_set_vgpr_msb 0x41                     ;  msbs: dst=1 src0=1 src1=0 src2=0
	v_bfe_i32 v72 /*v328*/, v55 /*v311*/, 0, 8
	v_bfe_i32 v73 /*v329*/, v55 /*v311*/, 8, 8
	s_wait_dscnt 0x2
	v_bfe_i32 v76 /*v332*/, v57 /*v313*/, 0, 8
	v_bfe_i32 v77 /*v333*/, v57 /*v313*/, 8, 8
	;; [unrolled: 1-line block ×3, first 2 shown]
	s_set_vgpr_msb 0x44                     ;  msbs: dst=1 src0=0 src1=1 src2=0
	v_ashrrev_i32_e32 v79 /*v335*/, 24, v57 /*v313*/
	s_set_vgpr_msb 0x41                     ;  msbs: dst=1 src0=1 src1=0 src2=0
	v_bfe_i32 v68 /*v324*/, v56 /*v312*/, 0, 8
	v_bfe_i32 v69 /*v325*/, v56 /*v312*/, 8, 8
	s_wait_dscnt 0x0
	v_bfe_i32 v62 /*v318*/, v60 /*v316*/, 8, 8
	s_set_vgpr_msb 1                        ;  msbs: dst=0 src0=1 src1=0 src2=0
	v_bfe_i32 v80, v60 /*v316*/, 0, 8
	s_set_vgpr_msb 0x41                     ;  msbs: dst=1 src0=1 src1=0 src2=0
	v_bfe_i32 v63 /*v319*/, v60 /*v316*/, 16, 8
	s_set_vgpr_msb 0x44                     ;  msbs: dst=1 src0=0 src1=1 src2=0
	v_ashrrev_i32_e32 v60 /*v316*/, 24, v60 /*v316*/
	s_set_vgpr_msb 0x45                     ;  msbs: dst=1 src0=1 src1=1 src2=0
	v_bfe_i32 v70 /*v326*/, v56 /*v312*/, 16, 8
	v_mul_i32_i24_e32 v57 /*v313*/, v13 /*v269*/, v62 /*v318*/
	v_dual_ashrrev_i32 v71 /*v327*/, 24, v56 /*v312*/ :: v_dual_ashrrev_i32 v75 /*v331*/, 24, v55 /*v311*/
	v_bfe_i32 v74 /*v330*/, v55 /*v311*/, 16, 8
	v_bfe_i32 v80 /*v336*/, v59 /*v315*/, 0, 8
	;; [unrolled: 1-line block ×4, first 2 shown]
	v_ashrrev_i32_e32 v83 /*v339*/, 24, v59 /*v315*/
	v_bfe_i32 v53 /*v309*/, v61 /*v317*/, 0, 8
	v_bfe_i32 v54 /*v310*/, v61 /*v317*/, 8, 8
	v_bfe_i32 v55 /*v311*/, v61 /*v317*/, 16, 8
	v_dual_ashrrev_i32 v56 /*v312*/, 24, v61 /*v317*/ :: v_dual_ashrrev_i32 v85 /*v341*/, 24, v58 /*v314*/
	v_bfe_i32 v61 /*v317*/, v58 /*v314*/, 8, 8
	v_bfe_i32 v84 /*v340*/, v58 /*v314*/, 0, 8
	;; [unrolled: 1-line block ×3, first 2 shown]
	v_mul_i32_i24_e32 v58 /*v314*/, v14 /*v270*/, v63 /*v319*/
	s_set_vgpr_msb 0x44                     ;  msbs: dst=1 src0=0 src1=1 src2=0
	v_mul_i32_i24_e32 v59 /*v315*/, v111, v60 /*v316*/
	s_set_vgpr_msb 0x51                     ;  msbs: dst=1 src0=1 src1=0 src2=1
	v_mad_i32_i24 v57 /*v313*/, v12 /*v268*/, v80, v57 /*v313*/
	s_set_vgpr_msb 0x45                     ;  msbs: dst=1 src0=1 src1=1 src2=0
	v_mul_i32_i24_e32 v88 /*v344*/, v65 /*v321*/, v15 /*v271*/
	s_set_vgpr_msb 0x41                     ;  msbs: dst=1 src0=1 src1=0 src2=0
	v_mul_i32_i24_e32 v90 /*v346*/, v67 /*v323*/, v113
	s_set_vgpr_msb 0x55                     ;  msbs: dst=1 src0=1 src1=1 src2=1
	v_mul_i32_i24_e32 v87 /*v343*/, v64 /*v320*/, v17 /*v273*/
	v_mul_i32_i24_e32 v89 /*v345*/, v66 /*v322*/, v16 /*v272*/
	v_add3_u32 v57 /*v313*/, v57 /*v313*/, v58 /*v314*/, v59 /*v315*/
	v_mul_i32_i24_e32 v91 /*v347*/, v68 /*v324*/, v20 /*v276*/
	s_set_vgpr_msb 0x41                     ;  msbs: dst=1 src0=1 src1=0 src2=0
	v_mul_i32_i24_e32 v94 /*v350*/, v71 /*v327*/, v109
	s_set_vgpr_msb 0x55                     ;  msbs: dst=1 src0=1 src1=1 src2=1
	v_mul_i32_i24_e32 v92 /*v348*/, v69 /*v325*/, v18 /*v274*/
	v_mul_i32_i24_e32 v93 /*v349*/, v70 /*v326*/, v19 /*v275*/
	v_add3_u32 v57 /*v313*/, v57 /*v313*/, v90 /*v346*/, v88 /*v344*/
	;; [unrolled: 7-line block ×5, first 2 shown]
	v_mul_i32_i24_e32 v107 /*v363*/, v53 /*v309*/, v3 /*v259*/
	v_mul_i32_i24_e32 v110 /*v366*/, v56 /*v312*/, v5 /*v261*/
	;; [unrolled: 1-line block ×3, first 2 shown]
	s_set_vgpr_msb 0x41                     ;  msbs: dst=1 src0=1 src1=0 src2=0
	v_mul_i32_i24_e32 v109 /*v365*/, v55 /*v311*/, v250
	s_set_vgpr_msb 0x55                     ;  msbs: dst=1 src0=1 src1=1 src2=1
	v_add3_u32 v57 /*v313*/, v57 /*v313*/, v98 /*v354*/, v96 /*v352*/
	s_set_vgpr_msb 4                        ;  msbs: dst=0 src0=0 src1=1 src2=0
	v_mul_i32_i24_e32 v87, v253, v84 /*v340*/
	s_set_vgpr_msb 5                        ;  msbs: dst=0 src0=1 src1=1 src2=0
	v_mul_i32_i24_e32 v89, v1 /*v257*/, v61 /*v317*/
	v_mul_i32_i24_e32 v93, v2 /*v258*/, v86 /*v342*/
	s_set_vgpr_msb 4                        ;  msbs: dst=0 src0=0 src1=1 src2=0
	v_mul_i32_i24_e32 v95, v251, v85 /*v341*/
	s_set_vgpr_msb 0x55                     ;  msbs: dst=1 src0=1 src1=1 src2=1
	v_add3_u32 v57 /*v313*/, v57 /*v313*/, v95 /*v351*/, v97 /*v353*/
	s_set_vgpr_msb 0x41                     ;  msbs: dst=1 src0=1 src1=0 src2=0
	v_mul_i32_i24_e32 v87 /*v343*/, v65 /*v321*/, v125
	v_mul_i32_i24_e32 v89 /*v345*/, v67 /*v323*/, v127
	v_mul_i32_i24_e32 v59 /*v315*/, v64 /*v320*/, v124
	v_mul_i32_i24_e32 v88 /*v344*/, v66 /*v322*/, v126
	s_set_vgpr_msb 0x55                     ;  msbs: dst=1 src0=1 src1=1 src2=1
	v_add3_u32 v57 /*v313*/, v57 /*v313*/, v102 /*v358*/, v99 /*v355*/
	s_set_vgpr_msb 0x41                     ;  msbs: dst=1 src0=1 src1=0 src2=0
	v_mul_i32_i24_e32 v90 /*v346*/, v68 /*v324*/, v128
	v_mul_i32_i24_e32 v93 /*v349*/, v71 /*v327*/, v130
	v_mul_i32_i24_e32 v91 /*v347*/, v69 /*v325*/, v129
	v_mul_i32_i24_e32 v92 /*v348*/, v70 /*v326*/, v131
	;; [unrolled: 7-line block ×7, first 2 shown]
	s_set_vgpr_msb 1                        ;  msbs: dst=0 src0=1 src1=0 src2=0
	v_add3_u32 v87, v57 /*v313*/, v87, v89
	s_set_vgpr_msb 0                        ;  msbs: dst=0 src0=0 src1=0 src2=0
	v_pk_mul_f16 v89, v108, v91
	s_set_vgpr_msb 0x41                     ;  msbs: dst=1 src0=1 src1=0 src2=0
	v_mul_i32_i24_e32 v116 /*v372*/, v56 /*v312*/, v237
	v_mul_i32_i24_e32 v114 /*v370*/, v54 /*v310*/, v236
	;; [unrolled: 1-line block ×3, first 2 shown]
	s_set_vgpr_msb 0                        ;  msbs: dst=0 src0=0 src1=0 src2=0
	v_add3_u32 v87, v87, v93, v95
	s_set_vgpr_msb 1                        ;  msbs: dst=0 src0=1 src1=0 src2=0
	v_mul_i32_i24_e32 v93, v60 /*v316*/, v123
	s_set_vgpr_msb 0x41                     ;  msbs: dst=1 src0=1 src1=0 src2=0
	v_mul_i32_i24_e32 v79 /*v335*/, v79 /*v335*/, v224
	v_mul_i32_i24_e32 v77 /*v333*/, v77 /*v333*/, v223
	;; [unrolled: 1-line block ×3, first 2 shown]
	s_set_vgpr_msb 0                        ;  msbs: dst=0 src0=0 src1=0 src2=0
	v_cvt_f32_i32_e32 v87, v87
	s_set_vgpr_msb 0x41                     ;  msbs: dst=1 src0=1 src1=0 src2=0
	v_mul_i32_i24_e32 v81 /*v337*/, v81 /*v337*/, v226
	v_mul_i32_i24_e32 v83 /*v339*/, v83 /*v339*/, v229
	;; [unrolled: 1-line block ×4, first 2 shown]
	s_set_vgpr_msb 0                        ;  msbs: dst=0 src0=0 src1=0 src2=0
	v_fma_mix_f32 v95, v89, v87, v89 op_sel:[0,0,1] op_sel_hi:[1,0,1]
	s_set_vgpr_msb 1                        ;  msbs: dst=0 src0=1 src1=0 src2=0
	v_mul_i32_i24_e32 v87, v62 /*v318*/, v122
	v_mul_i32_i24_e32 v89, v63 /*v319*/, v121
	s_set_vgpr_msb 0x41                     ;  msbs: dst=1 src0=1 src1=0 src2=0
	v_mul_i32_i24_e32 v57 /*v313*/, v85 /*v341*/, v117
	v_mul_i32_i24_e32 v58 /*v314*/, v61 /*v317*/, v119
	s_set_vgpr_msb 0                        ;  msbs: dst=0 src0=0 src1=0 src2=0
	v_pk_add_f32 v[16:17], v[16:17], v[94:95]
	v_mad_i32_i24 v87, v80, v120, v87
	s_set_vgpr_msb 1                        ;  msbs: dst=0 src0=1 src1=0 src2=0
	v_mul_i32_i24_e32 v95, v84 /*v340*/, v118
	v_mul_i32_i24_e32 v94, v86 /*v342*/, v116
	s_set_vgpr_msb 0                        ;  msbs: dst=0 src0=0 src1=0 src2=0
	v_add3_u32 v87, v87, v89, v93
	s_set_vgpr_msb 1                        ;  msbs: dst=0 src0=1 src1=0 src2=0
	v_mul_i32_i24_e32 v93, v84 /*v340*/, v232
	s_set_vgpr_msb 0                        ;  msbs: dst=0 src0=0 src1=0 src2=0
	v_pk_mul_f16 v89, v115, v91
	s_set_vgpr_msb 20                       ;  msbs: dst=0 src0=0 src1=1 src2=1
	v_add3_u32 v87, v87, v89 /*v345*/, v87 /*v343*/
	s_set_vgpr_msb 0x41                     ;  msbs: dst=1 src0=1 src1=0 src2=0
	v_mul_i32_i24_e32 v87 /*v343*/, v61 /*v317*/, v233
	v_mul_i32_i24_e32 v89 /*v345*/, v85 /*v341*/, v231
	s_set_vgpr_msb 20                       ;  msbs: dst=0 src0=0 src1=1 src2=1
	v_add3_u32 v87, v87, v59 /*v315*/, v88 /*v344*/
	s_set_vgpr_msb 0x41                     ;  msbs: dst=1 src0=1 src1=0 src2=0
	v_mul_i32_i24_e32 v88 /*v344*/, v86 /*v342*/, v234
	s_set_vgpr_msb 20                       ;  msbs: dst=0 src0=0 src1=1 src2=1
	s_delay_alu instid0(VALU_DEP_2)
	v_add3_u32 v87, v87, v93 /*v349*/, v90 /*v346*/
	s_set_vgpr_msb 0x41                     ;  msbs: dst=1 src0=1 src1=0 src2=0
	v_mul_i32_i24_e32 v90 /*v346*/, v62 /*v318*/, v147
	v_mul_i32_i24_e32 v93 /*v349*/, v64 /*v320*/, v149
	;; [unrolled: 1-line block ×4, first 2 shown]
	s_set_vgpr_msb 20                       ;  msbs: dst=0 src0=0 src1=1 src2=1
	v_add3_u32 v87, v87, v91 /*v347*/, v92 /*v348*/
	s_set_vgpr_msb 0x41                     ;  msbs: dst=1 src0=1 src1=0 src2=0
	v_mul_i32_i24_e32 v91 /*v347*/, v63 /*v319*/, v146
	v_mul_i32_i24_e32 v92 /*v348*/, v60 /*v316*/, v148
	s_set_vgpr_msb 0x50                     ;  msbs: dst=1 src0=0 src1=0 src2=1
	v_mad_i32_i24 v90 /*v346*/, v80, v145, v90 /*v346*/
	s_set_vgpr_msb 0x41                     ;  msbs: dst=1 src0=1 src1=0 src2=0
	v_mul_i32_i24_e32 v63 /*v319*/, v63 /*v319*/, v207
	s_set_vgpr_msb 20                       ;  msbs: dst=0 src0=0 src1=1 src2=1
	v_add3_u32 v87, v87, v97 /*v353*/, v95 /*v351*/
	s_set_vgpr_msb 0x41                     ;  msbs: dst=1 src0=1 src1=0 src2=0
	v_mul_i32_i24_e32 v95 /*v351*/, v66 /*v322*/, v151
	v_mul_i32_i24_e32 v97 /*v353*/, v68 /*v324*/, v153
	s_set_vgpr_msb 0x55                     ;  msbs: dst=1 src0=1 src1=1 src2=1
	v_add3_u32 v90 /*v346*/, v90 /*v346*/, v91 /*v347*/, v92 /*v348*/
	s_set_vgpr_msb 0x41                     ;  msbs: dst=1 src0=1 src1=0 src2=0
	v_mul_i32_i24_e32 v60 /*v316*/, v60 /*v316*/, v209
	s_set_vgpr_msb 20                       ;  msbs: dst=0 src0=0 src1=1 src2=1
	v_add3_u32 v87, v87, v94 /*v350*/, v96 /*v352*/
	s_set_vgpr_msb 0x41                     ;  msbs: dst=1 src0=1 src1=0 src2=0
	v_mul_i32_i24_e32 v94 /*v350*/, v65 /*v321*/, v150
	v_mul_i32_i24_e32 v96 /*v352*/, v67 /*v323*/, v152
	s_set_vgpr_msb 16                       ;  msbs: dst=0 src0=0 src1=0 src2=1
	v_mad_i32_i24 v80, v80, v206, v62 /*v318*/
	s_set_vgpr_msb 0x41                     ;  msbs: dst=1 src0=1 src1=0 src2=0
	v_mul_i32_i24_e32 v65 /*v321*/, v65 /*v321*/, v211
	s_set_vgpr_msb 20                       ;  msbs: dst=0 src0=0 src1=1 src2=1
	v_add3_u32 v87, v87, v101 /*v357*/, v98 /*v354*/
	s_set_vgpr_msb 0x41                     ;  msbs: dst=1 src0=1 src1=0 src2=0
	v_mul_i32_i24_e32 v98 /*v354*/, v69 /*v325*/, v154
	s_set_vgpr_msb 0x55                     ;  msbs: dst=1 src0=1 src1=1 src2=1
	v_add3_u32 v90 /*v346*/, v90 /*v346*/, v96 /*v352*/, v94 /*v350*/
	s_set_vgpr_msb 0x41                     ;  msbs: dst=1 src0=1 src1=0 src2=0
	v_mul_i32_i24_e32 v101 /*v357*/, v72 /*v328*/, v194
	v_mul_i32_i24_e32 v67 /*v323*/, v67 /*v323*/, v213
	s_set_vgpr_msb 20                       ;  msbs: dst=0 src0=0 src1=1 src2=1
	v_add3_u32 v87, v87, v99 /*v355*/, v100 /*v356*/
	s_set_vgpr_msb 0x41                     ;  msbs: dst=1 src0=1 src1=0 src2=0
	v_mul_i32_i24_e32 v100 /*v356*/, v71 /*v327*/, v155
	s_set_vgpr_msb 0x55                     ;  msbs: dst=1 src0=1 src1=1 src2=1
	v_add3_u32 v90 /*v346*/, v90 /*v346*/, v93 /*v349*/, v95 /*v351*/
	s_set_vgpr_msb 0x41                     ;  msbs: dst=1 src0=1 src1=0 src2=0
	v_mul_i32_i24_e32 v99 /*v355*/, v70 /*v326*/, v189
	s_set_vgpr_msb 20                       ;  msbs: dst=0 src0=0 src1=1 src2=1
	v_add3_u32 v80, v80, v63 /*v319*/, v60 /*v316*/
	v_add3_u32 v87, v87, v105 /*v361*/, v103 /*v359*/
	s_set_vgpr_msb 0x41                     ;  msbs: dst=1 src0=1 src1=0 src2=0
	v_mul_i32_i24_e32 v103 /*v359*/, v74 /*v330*/, v196
	s_set_vgpr_msb 0x55                     ;  msbs: dst=1 src0=1 src1=1 src2=1
	v_add3_u32 v90 /*v346*/, v90 /*v346*/, v100 /*v356*/, v97 /*v353*/
	s_set_vgpr_msb 0x41                     ;  msbs: dst=1 src0=1 src1=0 src2=0
	v_mul_i32_i24_e32 v105 /*v361*/, v76 /*v332*/, v197
	v_mul_i32_i24_e32 v66 /*v322*/, v66 /*v322*/, v212
	s_set_vgpr_msb 0x54                     ;  msbs: dst=1 src0=0 src1=1 src2=1
	v_add3_u32 v59 /*v315*/, v87, v102 /*v358*/, v104 /*v360*/
	s_set_vgpr_msb 0x41                     ;  msbs: dst=1 src0=1 src1=0 src2=0
	v_mul_i32_i24_e32 v102 /*v358*/, v73 /*v329*/, v193
	v_mul_i32_i24_e32 v104 /*v360*/, v75 /*v331*/, v195
	s_set_vgpr_msb 0x55                     ;  msbs: dst=1 src0=1 src1=1 src2=1
	v_add3_u32 v90 /*v346*/, v90 /*v346*/, v98 /*v354*/, v99 /*v355*/
	s_set_vgpr_msb 20                       ;  msbs: dst=0 src0=0 src1=1 src2=1
	v_add3_u32 v80, v80, v67 /*v323*/, v65 /*v321*/
	s_set_vgpr_msb 0x41                     ;  msbs: dst=1 src0=1 src1=0 src2=0
	v_mul_i32_i24_e32 v68 /*v324*/, v68 /*v324*/, v214
	v_mul_i32_i24_e32 v71 /*v327*/, v71 /*v327*/, v216
	v_mul_i32_i24_e32 v69 /*v325*/, v69 /*v325*/, v215
	s_set_vgpr_msb 0x55                     ;  msbs: dst=1 src0=1 src1=1 src2=1
	v_add3_u32 v90 /*v346*/, v90 /*v346*/, v104 /*v360*/, v102 /*v358*/
	s_set_vgpr_msb 20                       ;  msbs: dst=0 src0=0 src1=1 src2=1
	v_add3_u32 v80, v80, v64 /*v320*/, v66 /*v322*/
	s_set_vgpr_msb 0x41                     ;  msbs: dst=1 src0=1 src1=0 src2=0
	v_mul_i32_i24_e32 v70 /*v326*/, v70 /*v326*/, v217
	;; [unrolled: 8-line block ×3, first 2 shown]
	v_mul_i32_i24_e32 v74 /*v330*/, v74 /*v330*/, v221
	v_mul_i32_i24_e32 v76 /*v332*/, v76 /*v332*/, v222
	s_set_vgpr_msb 0x55                     ;  msbs: dst=1 src0=1 src1=1 src2=1
	v_add3_u32 v90 /*v346*/, v90 /*v346*/, v108 /*v364*/, v105 /*v361*/
	s_set_vgpr_msb 20                       ;  msbs: dst=0 src0=0 src1=1 src2=1
	v_add3_u32 v80, v80, v69 /*v325*/, v70 /*v326*/
	v_cvt_f32_f16_e32 v87, v89
	s_set_vgpr_msb 0                        ;  msbs: dst=0 src0=0 src1=0 src2=0
	v_lshrrev_b32_e32 v89, 16, v89
	s_set_vgpr_msb 0x55                     ;  msbs: dst=1 src0=1 src1=1 src2=1
	v_add3_u32 v90 /*v346*/, v90 /*v346*/, v106 /*v362*/, v107 /*v363*/
	s_set_vgpr_msb 20                       ;  msbs: dst=0 src0=0 src1=1 src2=1
	v_add3_u32 v80, v80, v75 /*v331*/, v73 /*v329*/
	s_set_vgpr_msb 0x55                     ;  msbs: dst=1 src0=1 src1=1 src2=1
	s_delay_alu instid0(VALU_DEP_2) | instskip(SKIP_1) | instid1(VALU_DEP_2)
	v_add3_u32 v90 /*v346*/, v90 /*v346*/, v112 /*v368*/, v110 /*v366*/
	s_set_vgpr_msb 20                       ;  msbs: dst=0 src0=0 src1=1 src2=1
	v_add3_u32 v80, v80, v72 /*v328*/, v74 /*v330*/
	s_set_vgpr_msb 0x55                     ;  msbs: dst=1 src0=1 src1=1 src2=1
	s_delay_alu instid0(VALU_DEP_2) | instskip(SKIP_1) | instid1(VALU_DEP_2)
	;; [unrolled: 5-line block ×4, first 2 shown]
	v_add3_u32 v90 /*v346*/, v90 /*v346*/, v114 /*v370*/, v115 /*v371*/
	s_set_vgpr_msb 20                       ;  msbs: dst=0 src0=0 src1=1 src2=1
	v_add3_u32 v80, v80, v83 /*v339*/, v81 /*v337*/
	s_set_vgpr_msb 17                       ;  msbs: dst=0 src0=1 src1=0 src2=1
	s_delay_alu instid0(VALU_DEP_2)
	v_add3_u32 v93, v90 /*v346*/, v93, v87 /*v343*/
	s_set_vgpr_msb 64                       ;  msbs: dst=1 src0=0 src1=0 src2=0
	v_pk_mul_f16 v87 /*v343*/, v144, v91
	s_set_vgpr_msb 20                       ;  msbs: dst=0 src0=0 src1=1 src2=1
	v_add3_u32 v80, v80, v80 /*v336*/, v82 /*v338*/
	s_set_vgpr_msb 0                        ;  msbs: dst=0 src0=0 src1=0 src2=0
	v_pk_mul_f16 v91, v205, v91
	s_set_vgpr_msb 20                       ;  msbs: dst=0 src0=0 src1=1 src2=1
	v_add3_u32 v93, v93, v88 /*v344*/, v89 /*v345*/
	s_set_vgpr_msb 0x41                     ;  msbs: dst=1 src0=1 src1=0 src2=0
	v_mul_i32_i24_e32 v88 /*v344*/, v56 /*v312*/, v245
	s_set_vgpr_msb 0                        ;  msbs: dst=0 src0=0 src1=0 src2=0
	s_delay_alu instid0(VALU_DEP_2) | instskip(SKIP_1) | instid1(VALU_DEP_1)
	v_cvt_f32_i32_e32 v93, v93
	s_set_vgpr_msb 17                       ;  msbs: dst=0 src0=1 src1=0 src2=1
	v_fma_mix_f32 v93, v87 /*v343*/, v93, v87 /*v343*/ op_sel:[0,0,1] op_sel_hi:[1,0,1]
	s_set_vgpr_msb 0x41                     ;  msbs: dst=1 src0=1 src1=0 src2=0
	v_mul_i32_i24_e32 v87 /*v343*/, v55 /*v311*/, v238
	s_set_vgpr_msb 0                        ;  msbs: dst=0 src0=0 src1=0 src2=0
	s_delay_alu instid0(VALU_DEP_2)
	v_pk_add_f32 v[12:13], v[12:13], v[92:93]
	s_set_vgpr_msb 1                        ;  msbs: dst=0 src0=1 src1=0 src2=0
	v_mul_i32_i24_e32 v92, v84 /*v340*/, v240
	s_set_vgpr_msb 0x41                     ;  msbs: dst=1 src0=1 src1=0 src2=0
	v_mul_i32_i24_e32 v84 /*v340*/, v85 /*v341*/, v239
	v_mul_i32_i24_e32 v85 /*v341*/, v53 /*v309*/, v243
	s_set_vgpr_msb 1                        ;  msbs: dst=0 src0=1 src1=0 src2=0
	v_mul_i32_i24_e32 v93, v61 /*v317*/, v241
	s_set_vgpr_msb 0x41                     ;  msbs: dst=1 src0=1 src1=0 src2=0
	v_mul_i32_i24_e32 v61 /*v317*/, v86 /*v342*/, v242
	v_mul_i32_i24_e32 v86 /*v342*/, v54 /*v310*/, v244
	s_set_vgpr_msb 20                       ;  msbs: dst=0 src0=0 src1=1 src2=1
	v_add3_u32 v80, v80, v88 /*v344*/, v85 /*v341*/
	s_delay_alu instid0(VALU_DEP_1) | instskip(SKIP_1) | instid1(VALU_DEP_1)
	v_add3_u32 v80, v80, v86 /*v342*/, v87 /*v343*/
	s_set_vgpr_msb 0                        ;  msbs: dst=0 src0=0 src1=0 src2=0
	v_add3_u32 v80, v80, v92, v93
	s_set_vgpr_msb 20                       ;  msbs: dst=0 src0=0 src1=1 src2=1
	s_delay_alu instid0(VALU_DEP_1) | instskip(NEXT) | instid1(VALU_DEP_1)
	v_add3_u32 v80, v80, v61 /*v317*/, v84 /*v340*/
	v_cvt_f32_i32_e32 v80, v80
	s_set_vgpr_msb 0                        ;  msbs: dst=0 src0=0 src1=0 src2=0
	s_delay_alu instid0(VALU_DEP_1) | instskip(SKIP_1) | instid1(VALU_DEP_2)
	v_fma_mix_f32 v91, v91, v80, v91 op_sel:[0,0,1] op_sel_hi:[1,0,1]
	v_add_nc_u32_e32 v80, 0x1800, v97
	v_pk_add_f32 v[10:11], v[10:11], v[90:91]
	v_add_nc_u32_e32 v90, 0x1804, v97
	s_set_vgpr_msb 64                       ;  msbs: dst=1 src0=0 src1=0 src2=0
	ds_load_2addr_b32 v[62:63] /*v[318:319]*/, v80 offset0:4 offset1:7
	ds_load_2addr_b32 v[64:65] /*v[320:321]*/, v90 offset1:1
	s_set_vgpr_msb 0                        ;  msbs: dst=0 src0=0 src1=0 src2=0
	v_add_nc_u32_e32 v90, 0x1814, v97
	s_set_vgpr_msb 64                       ;  msbs: dst=1 src0=0 src1=0 src2=0
	ds_load_2addr_b32 v[66:67] /*v[322:323]*/, v90 offset1:1
	ds_load_2addr_b32 v[68:69] /*v[324:325]*/, v80 offset1:3
	s_set_vgpr_msb 0                        ;  msbs: dst=0 src0=0 src1=0 src2=0
	ds_load_2addr_b32 v[90:91], v96 offset0:192 offset1:224
	v_add_nc_u32_e32 v96, 4, v96
	s_wait_dscnt 0x4
	s_set_vgpr_msb 0x41                     ;  msbs: dst=1 src0=1 src1=0 src2=0
	v_bfe_i32 v70 /*v326*/, v62 /*v318*/, 8, 8
	v_bfe_i32 v71 /*v327*/, v62 /*v318*/, 16, 8
	s_set_vgpr_msb 0x44                     ;  msbs: dst=1 src0=0 src1=1 src2=0
	v_ashrrev_i32_e32 v72 /*v328*/, 24, v62 /*v318*/
	s_set_vgpr_msb 0x45                     ;  msbs: dst=1 src0=1 src1=1 src2=0
	v_bfe_i32 v88 /*v344*/, v63 /*v319*/, 0, 8
	s_wait_dscnt 0x3
	v_bfe_i32 v73 /*v329*/, v64 /*v320*/, 0, 8
	v_mul_i32_i24_e32 v93 /*v349*/, v13 /*v269*/, v70 /*v326*/
	v_bfe_i32 v74 /*v330*/, v64 /*v320*/, 8, 8
	v_bfe_i32 v75 /*v331*/, v64 /*v320*/, 16, 8
	v_ashrrev_i32_e32 v64 /*v320*/, 24, v64 /*v320*/
	s_wait_dscnt 0x1
	v_bfe_i32 v61 /*v317*/, v68 /*v324*/, 0, 8
	v_bfe_i32 v60 /*v316*/, v68 /*v324*/, 8, 8
	s_set_vgpr_msb 1                        ;  msbs: dst=0 src0=1 src1=0 src2=0
	v_bfe_i32 v93, v68 /*v324*/, 16, 8
	s_set_vgpr_msb 4                        ;  msbs: dst=0 src0=0 src1=1 src2=0
	v_ashrrev_i32_e32 v92, 24, v68 /*v324*/
	s_set_vgpr_msb 0x45                     ;  msbs: dst=1 src0=1 src1=1 src2=0
	v_bfe_i32 v68 /*v324*/, v62 /*v318*/, 0, 8
	v_mul_i32_i24_e32 v94 /*v350*/, v14 /*v270*/, v71 /*v327*/
	s_set_vgpr_msb 0x44                     ;  msbs: dst=1 src0=0 src1=1 src2=0
	v_mul_i32_i24_e32 v95 /*v351*/, v111, v72 /*v328*/
	s_set_vgpr_msb 0x45                     ;  msbs: dst=1 src0=1 src1=1 src2=0
	v_mul_i32_i24_e32 v97 /*v353*/, v74 /*v330*/, v15 /*v271*/
	s_set_vgpr_msb 0x41                     ;  msbs: dst=1 src0=1 src1=0 src2=0
	v_mul_i32_i24_e32 v99 /*v355*/, v64 /*v320*/, v113
	s_set_vgpr_msb 0x55                     ;  msbs: dst=1 src0=1 src1=1 src2=1
	v_mad_i32_i24 v93 /*v349*/, v12 /*v268*/, v68 /*v324*/, v93 /*v349*/
	v_bfe_i32 v76 /*v332*/, v66 /*v322*/, 0, 8
	v_bfe_i32 v77 /*v333*/, v66 /*v322*/, 8, 8
	;; [unrolled: 1-line block ×3, first 2 shown]
	v_ashrrev_i32_e32 v66 /*v322*/, 24, v66 /*v322*/
	v_add3_u32 v93 /*v349*/, v93 /*v349*/, v94 /*v350*/, v95 /*v351*/
	v_mul_i32_i24_e32 v96 /*v352*/, v73 /*v329*/, v17 /*v273*/
	v_mul_i32_i24_e32 v98 /*v354*/, v75 /*v331*/, v16 /*v272*/
	v_bfe_i32 v79 /*v335*/, v65 /*v321*/, 0, 8
	v_bfe_i32 v80 /*v336*/, v65 /*v321*/, 8, 8
	v_add3_u32 v93 /*v349*/, v93 /*v349*/, v99 /*v355*/, v97 /*v353*/
	v_bfe_i32 v81 /*v337*/, v65 /*v321*/, 16, 8
	v_ashrrev_i32_e32 v65 /*v321*/, 24, v65 /*v321*/
	v_mul_i32_i24_e32 v100 /*v356*/, v76 /*v332*/, v20 /*v276*/
	s_set_vgpr_msb 0x41                     ;  msbs: dst=1 src0=1 src1=0 src2=0
	v_mul_i32_i24_e32 v103 /*v359*/, v66 /*v322*/, v109
	s_set_vgpr_msb 0x55                     ;  msbs: dst=1 src0=1 src1=1 src2=1
	v_add3_u32 v93 /*v349*/, v93 /*v349*/, v96 /*v352*/, v98 /*v354*/
	v_mul_i32_i24_e32 v101 /*v357*/, v77 /*v333*/, v18 /*v274*/
	v_mul_i32_i24_e32 v102 /*v358*/, v78 /*v334*/, v19 /*v275*/
	;; [unrolled: 1-line block ×3, first 2 shown]
	s_set_vgpr_msb 0x41                     ;  msbs: dst=1 src0=1 src1=0 src2=0
	v_mul_i32_i24_e32 v107 /*v363*/, v65 /*v321*/, v114
	s_set_vgpr_msb 0x55                     ;  msbs: dst=1 src0=1 src1=1 src2=1
	v_add3_u32 v93 /*v349*/, v93 /*v349*/, v103 /*v359*/, v100 /*v356*/
	v_bfe_i32 v82 /*v338*/, v67 /*v323*/, 0, 8
	v_bfe_i32 v83 /*v339*/, v67 /*v323*/, 8, 8
	;; [unrolled: 1-line block ×3, first 2 shown]
	v_ashrrev_i32_e32 v67 /*v323*/, 24, v67 /*v323*/
	v_add3_u32 v93 /*v349*/, v93 /*v349*/, v101 /*v357*/, v102 /*v358*/
	v_mul_i32_i24_e32 v104 /*v360*/, v79 /*v335*/, v23 /*v279*/
	v_mul_i32_i24_e32 v106 /*v362*/, v81 /*v337*/, v22 /*v278*/
	v_bfe_i32 v85 /*v341*/, v69 /*v325*/, 0, 8
	v_bfe_i32 v86 /*v342*/, v69 /*v325*/, 8, 8
	v_add3_u32 v93 /*v349*/, v93 /*v349*/, v107 /*v363*/, v105 /*v361*/
	v_bfe_i32 v87 /*v343*/, v69 /*v325*/, 16, 8
	v_ashrrev_i32_e32 v69 /*v325*/, 24, v69 /*v325*/
	v_mul_i32_i24_e32 v108 /*v364*/, v82 /*v338*/, v30 /*v286*/
	s_set_vgpr_msb 0x41                     ;  msbs: dst=1 src0=1 src1=0 src2=0
	v_mul_i32_i24_e32 v111 /*v367*/, v67 /*v323*/, v110
	s_set_vgpr_msb 0x55                     ;  msbs: dst=1 src0=1 src1=1 src2=1
	v_add3_u32 v93 /*v349*/, v93 /*v349*/, v104 /*v360*/, v106 /*v362*/
	v_mul_i32_i24_e32 v109 /*v365*/, v83 /*v339*/, v25 /*v281*/
	v_mul_i32_i24_e32 v110 /*v366*/, v84 /*v340*/, v26 /*v282*/
	;; [unrolled: 1-line block ×3, first 2 shown]
	s_set_vgpr_msb 0x41                     ;  msbs: dst=1 src0=1 src1=0 src2=0
	v_mul_i32_i24_e32 v115 /*v371*/, v69 /*v325*/, v112
	s_set_vgpr_msb 0x55                     ;  msbs: dst=1 src0=1 src1=1 src2=1
	v_add3_u32 v93 /*v349*/, v93 /*v349*/, v111 /*v367*/, v108 /*v364*/
	v_bfe_i32 v89 /*v345*/, v63 /*v319*/, 8, 8
	v_bfe_i32 v62 /*v318*/, v63 /*v319*/, 16, 8
	v_ashrrev_i32_e32 v63 /*v319*/, 24, v63 /*v319*/
	v_mul_i32_i24_e32 v112 /*v368*/, v85 /*v341*/, v33 /*v289*/
	v_add3_u32 v93 /*v349*/, v93 /*v349*/, v109 /*v365*/, v110 /*v366*/
	v_mul_i32_i24_e32 v114 /*v370*/, v87 /*v343*/, v32 /*v288*/
	v_mul_i32_i24_e32 v116 /*v372*/, v88 /*v344*/, v3 /*v259*/
	;; [unrolled: 1-line block ×4, first 2 shown]
	v_add3_u32 v93 /*v349*/, v93 /*v349*/, v115 /*v371*/, v113 /*v369*/
	s_set_vgpr_msb 0x41                     ;  msbs: dst=1 src0=1 src1=0 src2=0
	v_mul_i32_i24_e32 v118 /*v374*/, v62 /*v318*/, v250
	s_set_vgpr_msb 4                        ;  msbs: dst=0 src0=0 src1=1 src2=0
	v_mul_i32_i24_e32 v80, v253, v61 /*v317*/
	s_set_vgpr_msb 0x45                     ;  msbs: dst=1 src0=1 src1=1 src2=0
	v_mul_i32_i24_e32 v90 /*v346*/, v1 /*v257*/, v60 /*v316*/
	s_set_vgpr_msb 0x41                     ;  msbs: dst=1 src0=1 src1=0 src2=0
	v_mul_i32_i24_e32 v91 /*v347*/, v2 /*v258*/, v93
	s_set_vgpr_msb 0x55                     ;  msbs: dst=1 src0=1 src1=1 src2=1
	v_add3_u32 v93 /*v349*/, v93 /*v349*/, v112 /*v368*/, v114 /*v370*/
	s_set_vgpr_msb 64                       ;  msbs: dst=1 src0=0 src1=0 src2=0
	v_mul_i32_i24_e32 v92 /*v348*/, v251, v92
	s_set_vgpr_msb 0x41                     ;  msbs: dst=1 src0=1 src1=0 src2=0
	v_mul_i32_i24_e32 v94 /*v350*/, v74 /*v330*/, v125
	v_mul_i32_i24_e32 v96 /*v352*/, v64 /*v320*/, v127
	;; [unrolled: 1-line block ×3, first 2 shown]
	s_set_vgpr_msb 0x55                     ;  msbs: dst=1 src0=1 src1=1 src2=1
	v_add3_u32 v93 /*v349*/, v93 /*v349*/, v119 /*v375*/, v116 /*v372*/
	s_set_vgpr_msb 0x41                     ;  msbs: dst=1 src0=1 src1=0 src2=0
	v_mul_i32_i24_e32 v97 /*v353*/, v76 /*v332*/, v128
	v_mul_i32_i24_e32 v100 /*v356*/, v66 /*v322*/, v130
	;; [unrolled: 1-line block ×4, first 2 shown]
	s_set_vgpr_msb 0x55                     ;  msbs: dst=1 src0=1 src1=1 src2=1
	v_add3_u32 v93 /*v349*/, v93 /*v349*/, v117 /*v373*/, v118 /*v374*/
	s_set_vgpr_msb 0x41                     ;  msbs: dst=1 src0=1 src1=0 src2=0
	v_mul_i32_i24_e32 v102 /*v358*/, v80 /*v336*/, v132
	v_mul_i32_i24_e32 v104 /*v360*/, v65 /*v321*/, v134
	;; [unrolled: 1-line block ×4, first 2 shown]
	s_set_vgpr_msb 17                       ;  msbs: dst=0 src0=1 src1=0 src2=1
	v_add3_u32 v80, v93 /*v349*/, v80, v90 /*v346*/
	s_wait_dscnt 0x0
	s_set_vgpr_msb 64                       ;  msbs: dst=1 src0=0 src1=0 src2=0
	v_pk_mul_f16 v90 /*v346*/, v108, v90
	s_set_vgpr_msb 0x41                     ;  msbs: dst=1 src0=1 src1=0 src2=0
	v_mul_i32_i24_e32 v93 /*v349*/, v73 /*v329*/, v124
	v_mul_i32_i24_e32 v105 /*v361*/, v82 /*v338*/, v136
	;; [unrolled: 1-line block ×3, first 2 shown]
	s_set_vgpr_msb 20                       ;  msbs: dst=0 src0=0 src1=1 src2=1
	v_add3_u32 v80, v80, v91 /*v347*/, v92 /*v348*/
	s_set_vgpr_msb 0x41                     ;  msbs: dst=1 src0=1 src1=0 src2=0
	v_mul_i32_i24_e32 v91 /*v347*/, v71 /*v327*/, v121
	v_mul_i32_i24_e32 v92 /*v348*/, v72 /*v328*/, v123
	;; [unrolled: 1-line block ×4, first 2 shown]
	s_set_vgpr_msb 0                        ;  msbs: dst=0 src0=0 src1=0 src2=0
	v_cvt_f32_i32_e32 v80, v80
	s_set_vgpr_msb 0x41                     ;  msbs: dst=1 src0=1 src1=0 src2=0
	v_mul_i32_i24_e32 v110 /*v366*/, v86 /*v342*/, v140
	v_mul_i32_i24_e32 v112 /*v368*/, v69 /*v325*/, v143
	;; [unrolled: 1-line block ×4, first 2 shown]
	s_set_vgpr_msb 17                       ;  msbs: dst=0 src0=1 src1=0 src2=1
	v_fma_mix_f32 v80, v90 /*v346*/, v80, v90 /*v346*/ op_sel:[0,0,1] op_sel_hi:[1,0,1]
	s_set_vgpr_msb 0x51                     ;  msbs: dst=1 src0=1 src1=0 src2=1
	v_mul_i32_i24_e32 v90 /*v346*/, v70 /*v326*/, v122
	v_mul_i32_i24_e32 v114 /*v370*/, v69 /*v325*/, v204
	;; [unrolled: 1-line block ×5, first 2 shown]
	v_mad_i32_i24 v90 /*v346*/, v68 /*v324*/, v120, v90 /*v346*/
	s_set_vgpr_msb 0                        ;  msbs: dst=0 src0=0 src1=0 src2=0
	v_pk_mul_f16 v108, v108, v91
	s_set_vgpr_msb 0x41                     ;  msbs: dst=1 src0=1 src1=0 src2=0
	v_mul_i32_i24_e32 v115 /*v371*/, v88 /*v344*/, v235
	v_mul_i32_i24_e32 v116 /*v372*/, v89 /*v345*/, v236
	s_set_vgpr_msb 0x55                     ;  msbs: dst=1 src0=1 src1=1 src2=1
	v_add3_u32 v90 /*v346*/, v90 /*v346*/, v91 /*v347*/, v92 /*v348*/
	s_set_vgpr_msb 0x41                     ;  msbs: dst=1 src0=1 src1=0 src2=0
	v_mul_i32_i24_e32 v92 /*v348*/, v70 /*v326*/, v147
	v_mul_i32_i24_e32 v70 /*v326*/, v70 /*v326*/, v208
	s_set_vgpr_msb 64                       ;  msbs: dst=1 src0=0 src1=0 src2=0
	v_pk_mul_f16 v91 /*v347*/, v115, v90
	s_set_vgpr_msb 0x55                     ;  msbs: dst=1 src0=1 src1=1 src2=1
	v_add3_u32 v90 /*v346*/, v90 /*v346*/, v96 /*v352*/, v94 /*v350*/
	s_set_vgpr_msb 0x51                     ;  msbs: dst=1 src0=1 src1=0 src2=1
	v_mul_i32_i24_e32 v94 /*v350*/, v72 /*v328*/, v148
	v_mad_i32_i24 v92 /*v348*/, v68 /*v324*/, v145, v92 /*v348*/
	v_mul_i32_i24_e32 v72 /*v328*/, v72 /*v328*/, v209
	v_mad_i32_i24 v68 /*v324*/, v68 /*v324*/, v206, v70 /*v326*/
	s_set_vgpr_msb 0x55                     ;  msbs: dst=1 src0=1 src1=1 src2=1
	v_add3_u32 v90 /*v346*/, v90 /*v346*/, v93 /*v349*/, v95 /*v351*/
	s_set_vgpr_msb 0x41                     ;  msbs: dst=1 src0=1 src1=0 src2=0
	v_mul_i32_i24_e32 v93 /*v349*/, v71 /*v327*/, v146
	v_mul_i32_i24_e32 v71 /*v327*/, v71 /*v327*/, v207
	;; [unrolled: 1-line block ×4, first 2 shown]
	s_set_vgpr_msb 0x55                     ;  msbs: dst=1 src0=1 src1=1 src2=1
	v_add3_u32 v90 /*v346*/, v90 /*v346*/, v100 /*v356*/, v97 /*v353*/
	s_set_vgpr_msb 0x41                     ;  msbs: dst=1 src0=1 src1=0 src2=0
	v_mul_i32_i24_e32 v95 /*v351*/, v73 /*v329*/, v149
	s_set_vgpr_msb 0x55                     ;  msbs: dst=1 src0=1 src1=1 src2=1
	v_add3_u32 v68 /*v324*/, v68 /*v324*/, v71 /*v327*/, v72 /*v328*/
	s_set_vgpr_msb 0x41                     ;  msbs: dst=1 src0=1 src1=0 src2=0
	v_mul_i32_i24_e32 v97 /*v353*/, v75 /*v331*/, v151
	v_mul_i32_i24_e32 v73 /*v329*/, v73 /*v329*/, v210
	s_set_vgpr_msb 0x55                     ;  msbs: dst=1 src0=1 src1=1 src2=1
	v_add3_u32 v90 /*v346*/, v90 /*v346*/, v98 /*v354*/, v99 /*v355*/
	s_set_vgpr_msb 0x41                     ;  msbs: dst=1 src0=1 src1=0 src2=0
	v_mul_i32_i24_e32 v98 /*v354*/, v64 /*v320*/, v152
	v_mul_i32_i24_e32 v64 /*v320*/, v64 /*v320*/, v213
	;; [unrolled: 1-line block ×4, first 2 shown]
	s_set_vgpr_msb 0x55                     ;  msbs: dst=1 src0=1 src1=1 src2=1
	v_add3_u32 v90 /*v346*/, v90 /*v346*/, v104 /*v360*/, v102 /*v358*/
	s_set_vgpr_msb 0x41                     ;  msbs: dst=1 src0=1 src1=0 src2=0
	v_mul_i32_i24_e32 v102 /*v358*/, v66 /*v322*/, v155
	s_set_vgpr_msb 0x55                     ;  msbs: dst=1 src0=1 src1=1 src2=1
	v_add3_u32 v64 /*v320*/, v68 /*v324*/, v64 /*v320*/, v74 /*v330*/
	s_set_vgpr_msb 0x41                     ;  msbs: dst=1 src0=1 src1=0 src2=0
	v_mul_i32_i24_e32 v76 /*v332*/, v76 /*v332*/, v214
	v_mul_i32_i24_e32 v66 /*v322*/, v66 /*v322*/, v216
	s_set_vgpr_msb 0x55                     ;  msbs: dst=1 src0=1 src1=1 src2=1
	v_add3_u32 v90 /*v346*/, v90 /*v346*/, v101 /*v357*/, v103 /*v359*/
	s_set_vgpr_msb 0x41                     ;  msbs: dst=1 src0=1 src1=0 src2=0
	v_mul_i32_i24_e32 v100 /*v356*/, v77 /*v333*/, v154
	s_set_vgpr_msb 0x55                     ;  msbs: dst=1 src0=1 src1=1 src2=1
	v_add3_u32 v64 /*v320*/, v64 /*v320*/, v73 /*v329*/, v75 /*v331*/
	s_set_vgpr_msb 0x41                     ;  msbs: dst=1 src0=1 src1=0 src2=0
	v_mul_i32_i24_e32 v101 /*v357*/, v78 /*v334*/, v189
	v_mul_i32_i24_e32 v77 /*v333*/, v77 /*v333*/, v215
	;; [unrolled: 9-line block ×3, first 2 shown]
	s_set_vgpr_msb 0x55                     ;  msbs: dst=1 src0=1 src1=1 src2=1
	v_add3_u32 v90 /*v346*/, v90 /*v346*/, v106 /*v362*/, v107 /*v363*/
	s_set_vgpr_msb 0x41                     ;  msbs: dst=1 src0=1 src1=0 src2=0
	v_mul_i32_i24_e32 v106 /*v362*/, v65 /*v321*/, v195
	v_mul_i32_i24_e32 v65 /*v321*/, v65 /*v321*/, v220
	s_set_vgpr_msb 0x55                     ;  msbs: dst=1 src0=1 src1=1 src2=1
	v_add3_u32 v64 /*v320*/, v64 /*v320*/, v77 /*v333*/, v78 /*v334*/
	s_set_vgpr_msb 0x41                     ;  msbs: dst=1 src0=1 src1=0 src2=0
	v_mul_i32_i24_e32 v103 /*v359*/, v79 /*v335*/, v194
	v_mul_i32_i24_e32 v105 /*v361*/, v81 /*v337*/, v196
	v_mul_i32_i24_e32 v79 /*v335*/, v79 /*v335*/, v219
	v_mul_i32_i24_e32 v81 /*v337*/, v81 /*v337*/, v221
	s_set_vgpr_msb 0x55                     ;  msbs: dst=1 src0=1 src1=1 src2=1
	v_add3_u32 v64 /*v320*/, v64 /*v320*/, v65 /*v321*/, v80 /*v336*/
	v_add3_u32 v90 /*v346*/, v90 /*v346*/, v112 /*v368*/, v110 /*v366*/
	s_set_vgpr_msb 0x41                     ;  msbs: dst=1 src0=1 src1=0 src2=0
	v_mul_i32_i24_e32 v107 /*v363*/, v82 /*v338*/, v197
	v_mul_i32_i24_e32 v110 /*v366*/, v67 /*v323*/, v199
	v_mul_i32_i24_e32 v82 /*v338*/, v82 /*v338*/, v222
	v_mul_i32_i24_e32 v67 /*v323*/, v67 /*v323*/, v224
	s_set_vgpr_msb 0x55                     ;  msbs: dst=1 src0=1 src1=1 src2=1
	v_add3_u32 v64 /*v320*/, v64 /*v320*/, v79 /*v335*/, v81 /*v337*/
	;; [unrolled: 8-line block ×3, first 2 shown]
	s_set_vgpr_msb 0x41                     ;  msbs: dst=1 src0=1 src1=0 src2=0
	v_mul_i32_i24_e32 v112 /*v368*/, v86 /*v342*/, v201
	v_mul_i32_i24_e32 v86 /*v342*/, v86 /*v342*/, v226
	;; [unrolled: 1-line block ×3, first 2 shown]
	s_set_vgpr_msb 0x55                     ;  msbs: dst=1 src0=1 src1=1 src2=1
	v_add3_u32 v92 /*v348*/, v92 /*v348*/, v93 /*v349*/, v94 /*v350*/
	v_add3_u32 v64 /*v320*/, v64 /*v320*/, v83 /*v339*/, v84 /*v340*/
	s_set_vgpr_msb 0x41                     ;  msbs: dst=1 src0=1 src1=0 src2=0
	v_mul_i32_i24_e32 v85 /*v341*/, v85 /*v341*/, v227
	v_mul_i32_i24_e32 v94 /*v350*/, v88 /*v344*/, v243
	v_add_nc_u32_e32 v66 /*v322*/, 0x1c14, v97
	s_set_vgpr_msb 0x55                     ;  msbs: dst=1 src0=1 src1=1 src2=1
	v_add3_u32 v92 /*v348*/, v92 /*v348*/, v98 /*v354*/, v96 /*v352*/
	v_add3_u32 v64 /*v320*/, v64 /*v320*/, v69 /*v325*/, v86 /*v342*/
	s_set_vgpr_msb 0x41                     ;  msbs: dst=1 src0=1 src1=0 src2=0
	v_mul_i32_i24_e32 v96 /*v352*/, v63 /*v319*/, v245
	v_add_nc_u32_e32 v70 /*v326*/, 0x1c00, v97
	ds_load_2addr_b32 v[66:67] /*v[322:323]*/, v66 /*v322*/ offset1:1
	s_set_vgpr_msb 0x55                     ;  msbs: dst=1 src0=1 src1=1 src2=1
	v_add3_u32 v92 /*v348*/, v92 /*v348*/, v95 /*v351*/, v97 /*v353*/
	v_add3_u32 v64 /*v320*/, v64 /*v320*/, v85 /*v341*/, v87 /*v343*/
	s_set_vgpr_msb 64                       ;  msbs: dst=1 src0=0 src1=0 src2=0
	v_pk_mul_f16 v93 /*v349*/, v144, v90
	s_set_vgpr_msb 0x41                     ;  msbs: dst=1 src0=1 src1=0 src2=0
	v_mul_i32_i24_e32 v95 /*v351*/, v89 /*v345*/, v244
	s_set_vgpr_msb 0                        ;  msbs: dst=0 src0=0 src1=0 src2=0
	v_pk_mul_f16 v90, v205, v90
	s_set_vgpr_msb 0x55                     ;  msbs: dst=1 src0=1 src1=1 src2=1
	v_add3_u32 v92 /*v348*/, v92 /*v348*/, v102 /*v358*/, v99 /*v355*/
	v_add3_u32 v72 /*v328*/, v64 /*v320*/, v96 /*v352*/, v94 /*v350*/
	s_set_vgpr_msb 64                       ;  msbs: dst=1 src0=0 src1=0 src2=0
	v_add_nc_u32_e32 v64 /*v320*/, 0x1c04, v97
	s_set_vgpr_msb 0                        ;  msbs: dst=0 src0=0 src1=0 src2=0
	v_add_nc_u32_e32 v97, 32, v97
	s_set_vgpr_msb 0x55                     ;  msbs: dst=1 src0=1 src1=1 src2=1
	v_add3_u32 v92 /*v348*/, v92 /*v348*/, v100 /*v356*/, v101 /*v357*/
	ds_load_2addr_b32 v[64:65] /*v[320:321]*/, v64 /*v320*/ offset1:1
	ds_load_2addr_b32 v[68:69] /*v[324:325]*/, v70 /*v326*/ offset1:3
	ds_load_2addr_b32 v[70:71] /*v[326:327]*/, v70 /*v326*/ offset0:4 offset1:7
	v_add3_u32 v92 /*v348*/, v92 /*v348*/, v106 /*v362*/, v104 /*v360*/
	s_wait_dscnt 0x3
	v_bfe_i32 v79 /*v335*/, v66 /*v322*/, 0, 8
	v_bfe_i32 v80 /*v336*/, v66 /*v322*/, 8, 8
	;; [unrolled: 1-line block ×3, first 2 shown]
	v_ashrrev_i32_e32 v66 /*v322*/, 24, v66 /*v322*/
	v_bfe_i32 v85 /*v341*/, v67 /*v323*/, 0, 8
	v_mul_i32_i24_e32 v20 /*v276*/, v79 /*v335*/, v20 /*v276*/
	v_mul_i32_i24_e32 v18 /*v274*/, v80 /*v336*/, v18 /*v274*/
	;; [unrolled: 1-line block ×3, first 2 shown]
	s_set_vgpr_msb 1                        ;  msbs: dst=0 src0=1 src1=0 src2=0
	v_mul_i32_i24_e32 v109, v66 /*v322*/, v109
	s_set_vgpr_msb 0x41                     ;  msbs: dst=1 src0=1 src1=0 src2=0
	v_bfe_i32 v86 /*v342*/, v67 /*v323*/, 8, 8
	v_bfe_i32 v87 /*v343*/, v67 /*v323*/, 16, 8
	s_set_vgpr_msb 0x45                     ;  msbs: dst=1 src0=1 src1=1 src2=0
	v_ashrrev_i32_e32 v67 /*v323*/, 24, v67 /*v323*/
	v_mul_i32_i24_e32 v30 /*v286*/, v85 /*v341*/, v30 /*v286*/
	s_wait_dscnt 0x2
	v_bfe_i32 v76 /*v332*/, v64 /*v320*/, 0, 8
	s_wait_dscnt 0x0
	v_bfe_i32 v74 /*v330*/, v70 /*v326*/, 8, 8
	v_bfe_i32 v73 /*v329*/, v70 /*v326*/, 0, 8
	;; [unrolled: 1-line block ×3, first 2 shown]
	v_ashrrev_i32_e32 v70 /*v326*/, 24, v70 /*v326*/
	v_bfe_i32 v77 /*v333*/, v64 /*v320*/, 8, 8
	v_mul_i32_i24_e32 v13 /*v269*/, v13 /*v269*/, v74 /*v330*/
	v_bfe_i32 v78 /*v334*/, v64 /*v320*/, 16, 8
	v_ashrrev_i32_e32 v64 /*v320*/, 24, v64 /*v320*/
	v_mul_i32_i24_e32 v14 /*v270*/, v14 /*v270*/, v75 /*v331*/
	s_set_vgpr_msb 4                        ;  msbs: dst=0 src0=0 src1=1 src2=0
	v_mul_i32_i24_e32 v111, v111, v70 /*v326*/
	s_set_vgpr_msb 0x55                     ;  msbs: dst=1 src0=1 src1=1 src2=1
	v_mad_i32_i24 v12 /*v268*/, v12 /*v268*/, v73 /*v329*/, v13 /*v269*/
	v_mul_i32_i24_e32 v15 /*v271*/, v77 /*v333*/, v15 /*v271*/
	s_set_vgpr_msb 1                        ;  msbs: dst=0 src0=1 src1=0 src2=0
	v_mul_i32_i24_e32 v113, v64 /*v320*/, v113
	s_set_vgpr_msb 0x45                     ;  msbs: dst=1 src0=1 src1=1 src2=0
	v_mul_i32_i24_e32 v17 /*v273*/, v76 /*v332*/, v17 /*v273*/
	v_mul_i32_i24_e32 v16 /*v272*/, v78 /*v334*/, v16 /*v272*/
	s_set_vgpr_msb 5                        ;  msbs: dst=0 src0=1 src1=1 src2=0
	v_add3_u32 v111, v12 /*v268*/, v14 /*v270*/, v111
	s_set_vgpr_msb 0x41                     ;  msbs: dst=1 src0=1 src1=0 src2=0
	v_bfe_i32 v82 /*v338*/, v65 /*v321*/, 0, 8
	v_bfe_i32 v83 /*v339*/, v65 /*v321*/, 8, 8
	;; [unrolled: 1-line block ×3, first 2 shown]
	s_set_vgpr_msb 0x44                     ;  msbs: dst=1 src0=0 src1=1 src2=0
	v_ashrrev_i32_e32 v65 /*v321*/, 24, v65 /*v321*/
	s_set_vgpr_msb 16                       ;  msbs: dst=0 src0=0 src1=0 src2=1
	v_add3_u32 v111, v111, v113, v15 /*v271*/
	s_set_vgpr_msb 0x45                     ;  msbs: dst=1 src0=1 src1=1 src2=0
	v_mul_i32_i24_e32 v23 /*v279*/, v82 /*v338*/, v23 /*v279*/
	v_mul_i32_i24_e32 v21 /*v277*/, v83 /*v339*/, v21 /*v277*/
	;; [unrolled: 1-line block ×3, first 2 shown]
	s_set_vgpr_msb 1                        ;  msbs: dst=0 src0=1 src1=0 src2=0
	v_mul_i32_i24_e32 v114, v65 /*v321*/, v114
	s_set_vgpr_msb 20                       ;  msbs: dst=0 src0=0 src1=1 src2=1
	v_add3_u32 v111, v111, v17 /*v273*/, v16 /*v272*/
	s_set_vgpr_msb 1                        ;  msbs: dst=0 src0=1 src1=0 src2=0
	v_mul_i32_i24_e32 v110, v67 /*v323*/, v110
	s_set_vgpr_msb 0x41                     ;  msbs: dst=1 src0=1 src1=0 src2=0
	v_bfe_i32 v94 /*v350*/, v69 /*v325*/, 0, 8
	v_bfe_i32 v96 /*v352*/, v69 /*v325*/, 8, 8
	v_bfe_i32 v97 /*v353*/, v69 /*v325*/, 16, 8
	s_set_vgpr_msb 16                       ;  msbs: dst=0 src0=0 src1=0 src2=1
	v_add3_u32 v109, v111, v109, v20 /*v276*/
	s_set_vgpr_msb 0x45                     ;  msbs: dst=1 src0=1 src1=1 src2=0
	v_ashrrev_i32_e32 v69 /*v325*/, 24, v69 /*v325*/
	v_mul_i32_i24_e32 v25 /*v281*/, v86 /*v342*/, v25 /*v281*/
	v_mul_i32_i24_e32 v26 /*v282*/, v87 /*v343*/, v26 /*v282*/
	v_bfe_i32 v98 /*v354*/, v71 /*v327*/, 0, 8
	s_set_vgpr_msb 20                       ;  msbs: dst=0 src0=0 src1=1 src2=1
	v_add3_u32 v109, v109, v18 /*v274*/, v19 /*v275*/
	s_set_vgpr_msb 0x41                     ;  msbs: dst=1 src0=1 src1=0 src2=0
	v_bfe_i32 v99 /*v355*/, v71 /*v327*/, 8, 8
	v_bfe_i32 v100 /*v356*/, v71 /*v327*/, 16, 8
	s_set_vgpr_msb 0x45                     ;  msbs: dst=1 src0=1 src1=1 src2=0
	v_ashrrev_i32_e32 v71 /*v327*/, 24, v71 /*v327*/
	v_mul_i32_i24_e32 v31 /*v287*/, v96 /*v352*/, v31 /*v287*/
	s_set_vgpr_msb 16                       ;  msbs: dst=0 src0=0 src1=0 src2=1
	v_add3_u32 v109, v109, v114, v21 /*v277*/
	s_set_vgpr_msb 1                        ;  msbs: dst=0 src0=1 src1=0 src2=0
	v_mul_i32_i24_e32 v112, v69 /*v325*/, v112
	s_set_vgpr_msb 0x45                     ;  msbs: dst=1 src0=1 src1=1 src2=0
	v_mul_i32_i24_e32 v33 /*v289*/, v94 /*v350*/, v33 /*v289*/
	v_mul_i32_i24_e32 v32 /*v288*/, v97 /*v353*/, v32 /*v288*/
	v_mul_i32_i24_e32 v3 /*v259*/, v98 /*v354*/, v3 /*v259*/
	s_set_vgpr_msb 20                       ;  msbs: dst=0 src0=0 src1=1 src2=1
	v_add3_u32 v109, v109, v23 /*v279*/, v22 /*v278*/
	s_set_vgpr_msb 0x45                     ;  msbs: dst=1 src0=1 src1=1 src2=0
	v_mul_i32_i24_e32 v5 /*v261*/, v71 /*v327*/, v5 /*v261*/
	v_mul_i32_i24_e32 v4 /*v260*/, v99 /*v355*/, v4 /*v260*/
	s_set_vgpr_msb 1                        ;  msbs: dst=0 src0=1 src1=0 src2=0
	v_bfe_i32 v111, v68 /*v324*/, 0, 8
	v_bfe_i32 v113, v68 /*v324*/, 8, 8
	s_set_vgpr_msb 16                       ;  msbs: dst=0 src0=0 src1=0 src2=1
	v_add3_u32 v109, v109, v110, v30 /*v286*/
	v_bfe_u32 v110, v81, 4, 4
	v_lshrrev_b32_e32 v114, 28, v81
	s_set_vgpr_msb 1                        ;  msbs: dst=0 src0=1 src1=0 src2=0
	v_mul_i32_i24_e32 v250, v100 /*v356*/, v250
	s_set_vgpr_msb 0x44                     ;  msbs: dst=1 src0=0 src1=1 src2=0
	v_ashrrev_i32_e32 v12 /*v268*/, 24, v68 /*v324*/
	s_set_vgpr_msb 20                       ;  msbs: dst=0 src0=0 src1=1 src2=1
	v_add3_u32 v109, v109, v25 /*v281*/, v26 /*v282*/
	s_set_vgpr_msb 0                        ;  msbs: dst=0 src0=0 src1=0 src2=0
	v_mul_i32_i24_e32 v107, v107, v110
	v_mul_i32_i24_e32 v104, v104, v114
	s_set_vgpr_msb 0x55                     ;  msbs: dst=1 src0=1 src1=1 src2=1
	v_add3_u32 v92 /*v348*/, v92 /*v348*/, v103 /*v359*/, v105 /*v361*/
	s_set_vgpr_msb 4                        ;  msbs: dst=0 src0=0 src1=1 src2=0
	v_mul_i32_i24_e32 v251, v251, v12 /*v268*/
	s_set_vgpr_msb 16                       ;  msbs: dst=0 src0=0 src1=0 src2=1
	v_add3_u32 v109, v109, v112, v31 /*v287*/
	v_bfe_u32 v112, v81, 12, 4
	s_set_vgpr_msb 0x41                     ;  msbs: dst=1 src0=1 src1=0 src2=0
	v_mul_i32_i24_e32 v117 /*v373*/, v63 /*v319*/, v237
	s_set_vgpr_msb 0x55                     ;  msbs: dst=1 src0=1 src1=1 src2=1
	v_add3_u32 v92 /*v348*/, v92 /*v348*/, v110 /*v366*/, v107 /*v363*/
	s_set_vgpr_msb 20                       ;  msbs: dst=0 src0=0 src1=1 src2=1
	v_add3_u32 v109, v109, v33 /*v289*/, v32 /*v288*/
	s_set_vgpr_msb 0                        ;  msbs: dst=0 src0=0 src1=0 src2=0
	v_mul_i32_i24_e32 v105, v105, v112
	s_set_vgpr_msb 0x55                     ;  msbs: dst=1 src0=1 src1=1 src2=1
	v_add3_u32 v92 /*v348*/, v92 /*v348*/, v108 /*v364*/, v109 /*v365*/
	s_set_vgpr_msb 20                       ;  msbs: dst=0 src0=0 src1=1 src2=1
	v_add3_u32 v109, v109, v5 /*v261*/, v3 /*v259*/
	s_set_vgpr_msb 64                       ;  msbs: dst=1 src0=0 src1=0 src2=0
	v_bfe_u32 v3 /*v259*/, v81, 20, 4
	s_set_vgpr_msb 0x41                     ;  msbs: dst=1 src0=1 src1=0 src2=0
	v_bfe_i32 v5 /*v261*/, v68 /*v324*/, 16, 8
	s_set_vgpr_msb 0                        ;  msbs: dst=0 src0=0 src1=0 src2=0
	v_mul_i32_i24_e32 v81, v253, v111
	s_set_vgpr_msb 1                        ;  msbs: dst=0 src0=1 src1=0 src2=0
	v_mul_i32_i24_e32 v253, v1 /*v257*/, v113
	s_set_vgpr_msb 4                        ;  msbs: dst=0 src0=0 src1=1 src2=0
	v_add3_u32 v109, v109, v4 /*v260*/, v250
	v_mul_i32_i24_e32 v106, v106, v3 /*v259*/
	s_set_vgpr_msb 0                        ;  msbs: dst=0 src0=0 src1=0 src2=0
	v_add3_u32 v103, v103, v107, v105
	s_set_vgpr_msb 0x45                     ;  msbs: dst=1 src0=1 src1=1 src2=0
	v_mul_i32_i24_e32 v1 /*v257*/, v2 /*v258*/, v5 /*v261*/
	s_set_vgpr_msb 0                        ;  msbs: dst=0 src0=0 src1=0 src2=0
	v_cvt_f32_f16_e32 v105, v108
	v_add3_u32 v81, v109, v81, v253
	s_set_vgpr_msb 0x55                     ;  msbs: dst=1 src0=1 src1=1 src2=1
	v_add3_u32 v92 /*v348*/, v92 /*v348*/, v114 /*v370*/, v112 /*v368*/
	s_set_vgpr_msb 0                        ;  msbs: dst=0 src0=0 src1=0 src2=0
	v_add3_u32 v103, v103, v106, v104
	v_lshrrev_b32_e32 v106, 16, v108
	v_cvt_f32_f16_e64 v104, v191
	s_set_vgpr_msb 4                        ;  msbs: dst=0 src0=0 src1=1 src2=0
	v_add3_u32 v81, v81, v1 /*v257*/, v251
	s_set_vgpr_msb 0x55                     ;  msbs: dst=1 src0=1 src1=1 src2=1
	v_add3_u32 v92 /*v348*/, v92 /*v348*/, v111 /*v367*/, v113 /*v369*/
	s_set_vgpr_msb 0                        ;  msbs: dst=0 src0=0 src1=0 src2=0
	v_cvt_f32_i32_e32 v108, v103
	v_cvt_f32_f16_e32 v107, v106
	v_lshrrev_b32_e32 v106, 16, v191
	v_cvt_f32_i32_e32 v109, v81
	v_mul_i32_i24_e32 v81, v246, v110
	v_mul_i32_i24_e32 v103, v247, v112
	v_cvt_f32_f16_e32 v89, v89
	v_cvt_f32_f16_e32 v106, v106
	s_set_vgpr_msb 0x55                     ;  msbs: dst=1 src0=1 src1=1 src2=1
	v_add3_u32 v92 /*v348*/, v92 /*v348*/, v117 /*v373*/, v115 /*v371*/
	s_set_vgpr_msb 0                        ;  msbs: dst=0 src0=0 src1=0 src2=0
	s_delay_alu instid0(VALU_DEP_2)
	v_pk_fma_f32 v[104:105], v[104:105], v[108:109], v[106:107]
	v_mul_i32_i24_e32 v107, v249, v114
	s_set_vgpr_msb 4                        ;  msbs: dst=0 src0=0 src1=1 src2=0
	v_mul_i32_i24_e32 v106, v248, v3 /*v259*/
	s_set_vgpr_msb 1                        ;  msbs: dst=0 src0=1 src1=0 src2=0
	v_mul_i32_i24_e32 v109, v38 /*v294*/, v114
	s_set_vgpr_msb 5                        ;  msbs: dst=0 src0=1 src1=1 src2=0
	v_mul_i32_i24_e32 v108, v37 /*v293*/, v3 /*v259*/
	s_set_vgpr_msb 0                        ;  msbs: dst=0 src0=0 src1=0 src2=0
	v_pk_add_f32 v[6:7], v[6:7], v[104:105]
	s_set_vgpr_msb 1                        ;  msbs: dst=0 src0=1 src1=0 src2=0
	v_add3_u32 v81, v7 /*v263*/, v107, v81
	v_mul_i32_i24_e32 v107, v36 /*v292*/, v112
	v_mul_i32_i24_e32 v105, v83 /*v339*/, v132
	;; [unrolled: 1-line block ×3, first 2 shown]
	s_set_vgpr_msb 0                        ;  msbs: dst=0 src0=0 src1=0 src2=0
	v_add3_u32 v81, v81, v103, v106
	s_set_vgpr_msb 1                        ;  msbs: dst=0 src0=1 src1=0 src2=0
	v_mul_i32_i24_e32 v106, v11 /*v267*/, v114
	s_set_vgpr_msb 5                        ;  msbs: dst=0 src0=1 src1=1 src2=0
	v_mul_i32_i24_e32 v103, v10 /*v266*/, v3 /*v259*/
	s_set_vgpr_msb 0                        ;  msbs: dst=0 src0=0 src1=0 src2=0
	v_add3_u32 v81, v81, v252, v254
	s_set_vgpr_msb 16                       ;  msbs: dst=0 src0=0 src1=0 src2=1
	s_delay_alu instid0(VALU_DEP_1) | instskip(NEXT) | instid1(VALU_DEP_1)
	v_add3_u32 v81, v81, v255, v0 /*v256*/
	v_cvt_f32_i32_e32 v81, v81
	s_set_vgpr_msb 17                       ;  msbs: dst=0 src0=1 src1=0 src2=1
	s_delay_alu instid0(VALU_DEP_1) | instskip(SKIP_1) | instid1(VALU_DEP_1)
	v_fma_mix_f32 v81, v6 /*v262*/, v81, v6 /*v262*/ op_sel:[0,0,1] op_sel_hi:[1,0,1]
	s_set_vgpr_msb 0                        ;  msbs: dst=0 src0=0 src1=0 src2=0
	v_pk_add_f32 v[8:9], v[8:9], v[80:81]
	s_set_vgpr_msb 1                        ;  msbs: dst=0 src0=1 src1=0 src2=0
	v_mul_i32_i24_e32 v80, v8 /*v264*/, v110
	v_mul_i32_i24_e32 v81, v9 /*v265*/, v112
	s_delay_alu instid0(VALU_DEP_2) | instskip(SKIP_2) | instid1(VALU_DEP_2)
	v_add3_u32 v80, v34 /*v290*/, v106, v80
	v_mul_i32_i24_e32 v106, v35 /*v291*/, v110
	s_set_vgpr_msb 0                        ;  msbs: dst=0 src0=0 src1=0 src2=0
	v_add3_u32 v80, v80, v81, v103
	s_set_vgpr_msb 1                        ;  msbs: dst=0 src0=1 src1=0 src2=0
	s_delay_alu instid0(VALU_DEP_2)
	v_add3_u32 v106, v43 /*v299*/, v109, v106
	v_mul_i32_i24_e32 v103, v56 /*v312*/, v114
	v_mul_i32_i24_e32 v109, v86 /*v342*/, v137
	s_set_vgpr_msb 20                       ;  msbs: dst=0 src0=0 src1=1 src2=1
	v_add3_u32 v80, v80, v24 /*v280*/, v27 /*v283*/
	s_set_vgpr_msb 0                        ;  msbs: dst=0 src0=0 src1=0 src2=0
	v_add3_u32 v81, v106, v107, v108
	s_set_vgpr_msb 1                        ;  msbs: dst=0 src0=1 src1=0 src2=0
	v_mul_i32_i24_e32 v107, v65 /*v321*/, v134
	v_mul_i32_i24_e32 v106, v84 /*v340*/, v135
	;; [unrolled: 1-line block ×3, first 2 shown]
	s_set_vgpr_msb 20                       ;  msbs: dst=0 src0=0 src1=1 src2=1
	v_add3_u32 v80, v80, v28 /*v284*/, v29 /*v285*/
	v_add3_u32 v81, v81, v40 /*v296*/, v42 /*v298*/
	s_delay_alu instid0(VALU_DEP_2) | instskip(NEXT) | instid1(VALU_DEP_2)
	v_cvt_f32_i32_e32 v80, v80
	v_add3_u32 v81, v81, v39 /*v295*/, v41 /*v297*/
	s_delay_alu instid0(VALU_DEP_1) | instskip(SKIP_1) | instid1(VALU_DEP_1)
	v_cvt_f32_i32_e32 v81, v81
	s_set_vgpr_msb 0                        ;  msbs: dst=0 src0=0 src1=0 src2=0
	v_pk_fma_f32 v[80:81], v[82:83], v[80:81], v[84:85]
	s_set_vgpr_msb 1                        ;  msbs: dst=0 src0=1 src1=0 src2=0
	v_mul_i32_i24_e32 v83, v47 /*v303*/, v114
	s_set_vgpr_msb 5                        ;  msbs: dst=0 src0=1 src1=1 src2=0
	v_mul_i32_i24_e32 v82, v46 /*v302*/, v3 /*v259*/
	s_set_vgpr_msb 1                        ;  msbs: dst=0 src0=1 src1=0 src2=0
	v_mul_i32_i24_e32 v84, v54 /*v310*/, v112
	s_set_vgpr_msb 5                        ;  msbs: dst=0 src0=1 src1=1 src2=0
	v_mul_i32_i24_e32 v85, v55 /*v311*/, v3 /*v259*/
	s_set_vgpr_msb 0                        ;  msbs: dst=0 src0=0 src1=0 src2=0
	v_pk_add_f32 v[26:27], v[26:27], v[80:81]
	s_set_vgpr_msb 1                        ;  msbs: dst=0 src0=1 src1=0 src2=0
	v_mul_i32_i24_e32 v80, v44 /*v300*/, v110
	v_mul_i32_i24_e32 v81, v45 /*v301*/, v112
	s_delay_alu instid0(VALU_DEP_2) | instskip(SKIP_2) | instid1(VALU_DEP_2)
	v_add3_u32 v80, v52 /*v308*/, v83, v80
	v_mul_i32_i24_e32 v83, v53 /*v309*/, v110
	s_set_vgpr_msb 0                        ;  msbs: dst=0 src0=0 src1=0 src2=0
	v_add3_u32 v80, v80, v81, v82
	s_set_vgpr_msb 1                        ;  msbs: dst=0 src0=1 src1=0 src2=0
	s_delay_alu instid0(VALU_DEP_2)
	v_add3_u32 v83, v59 /*v315*/, v103, v83
	v_mul_i32_i24_e32 v82, v63 /*v319*/, v114
	v_mul_i32_i24_e32 v103, v66 /*v322*/, v130
	;; [unrolled: 1-line block ×3, first 2 shown]
	s_set_vgpr_msb 20                       ;  msbs: dst=0 src0=0 src1=1 src2=1
	v_add3_u32 v80, v80, v48 /*v304*/, v49 /*v305*/
	s_set_vgpr_msb 0                        ;  msbs: dst=0 src0=0 src1=0 src2=0
	v_add3_u32 v81, v83, v84, v85
	s_set_vgpr_msb 1                        ;  msbs: dst=0 src0=1 src1=0 src2=0
	v_mul_i32_i24_e32 v83, v75 /*v331*/, v121
	v_mul_i32_i24_e32 v84, v70 /*v326*/, v123
	;; [unrolled: 1-line block ×3, first 2 shown]
	s_set_vgpr_msb 20                       ;  msbs: dst=0 src0=0 src1=1 src2=1
	v_add3_u32 v80, v80, v50 /*v306*/, v51 /*v307*/
	s_set_vgpr_msb 16                       ;  msbs: dst=0 src0=0 src1=0 src2=1
	v_add3_u32 v81, v81, v95, v58 /*v314*/
	s_set_vgpr_msb 1                        ;  msbs: dst=0 src0=1 src1=0 src2=0
	v_mul_i32_i24_e32 v95, v81 /*v337*/, v131
	v_mul_i32_i24_e32 v121, v87 /*v343*/, v139
	;; [unrolled: 1-line block ×3, first 2 shown]
	s_set_vgpr_msb 16                       ;  msbs: dst=0 src0=0 src1=0 src2=1
	v_cvt_f32_i32_e32 v80, v80
	v_add3_u32 v81, v81, v94, v57 /*v313*/
	s_set_vgpr_msb 1                        ;  msbs: dst=0 src0=1 src1=0 src2=0
	v_mul_i32_i24_e32 v94, v80 /*v336*/, v129
	v_mul_i32_i24_e32 v123, v94 /*v350*/, v141
	s_set_vgpr_msb 0                        ;  msbs: dst=0 src0=0 src1=0 src2=0
	v_cvt_f32_i32_e32 v81, v81
	s_delay_alu instid0(VALU_DEP_1)
	v_pk_fma_f32 v[80:81], v[86:87], v[80:81], v[88:89]
	s_set_vgpr_msb 1                        ;  msbs: dst=0 src0=1 src1=0 src2=0
	v_mul_i32_i24_e32 v86, v77 /*v333*/, v125
	v_mul_i32_i24_e32 v88, v64 /*v320*/, v127
	v_mul_i32_i24_e32 v87, v78 /*v334*/, v126
	v_mul_i32_i24_e32 v89, v79 /*v335*/, v128
	s_set_vgpr_msb 0                        ;  msbs: dst=0 src0=0 src1=0 src2=0
	v_pk_add_f32 v[14:15], v[14:15], v[80:81]
	s_set_vgpr_msb 1                        ;  msbs: dst=0 src0=1 src1=0 src2=0
	v_mul_i32_i24_e32 v80, v88 /*v344*/, v110
	v_mul_i32_i24_e32 v126, v69 /*v325*/, v143
	v_mul_i32_i24_e32 v125, v97 /*v353*/, v142
	v_mul_i32_i24_e32 v110, v98 /*v354*/, v110
	v_mul_i32_i24_e32 v81, v89 /*v345*/, v112
	v_add3_u32 v80, v90 /*v346*/, v82, v80
	v_mul_i32_i24_e32 v82, v74 /*v330*/, v122
	v_mul_i32_i24_e32 v122, v67 /*v323*/, v138
	;; [unrolled: 1-line block ×3, first 2 shown]
	s_delay_alu instid0(VALU_DEP_3) | instskip(SKIP_1) | instid1(VALU_DEP_1)
	v_mad_i32_i24 v82, v73 /*v329*/, v120, v82
	s_set_vgpr_msb 0                        ;  msbs: dst=0 src0=0 src1=0 src2=0
	v_add3_u32 v82, v82, v83, v84
	v_pk_mul_f16 v83, v115, v91
	s_set_vgpr_msb 1                        ;  msbs: dst=0 src0=1 src1=0 src2=0
	v_mul_i32_i24_e32 v84, v61 /*v317*/, v118
	v_mul_i32_i24_e32 v115, v69 /*v325*/, v204
	s_set_vgpr_msb 0                        ;  msbs: dst=0 src0=0 src1=0 src2=0
	v_add3_u32 v82, v82, v88, v86
	s_set_vgpr_msb 1                        ;  msbs: dst=0 src0=1 src1=0 src2=0
	v_mul_i32_i24_e32 v86, v60 /*v316*/, v119
	v_mul_i32_i24_e32 v88, v5 /*v261*/, v116
	s_set_vgpr_msb 0                        ;  msbs: dst=0 src0=0 src1=0 src2=0
	v_add3_u32 v82, v82, v85, v87
	v_mul_i32_i24_e32 v85, v111, v118
	v_mul_i32_i24_e32 v87, v113, v119
	s_set_vgpr_msb 1                        ;  msbs: dst=0 src0=1 src1=0 src2=0
	v_mul_i32_i24_e32 v118, v71 /*v327*/, v237
	s_set_vgpr_msb 0                        ;  msbs: dst=0 src0=0 src1=0 src2=0
	v_add3_u32 v82, v82, v103, v89
	s_set_vgpr_msb 5                        ;  msbs: dst=0 src0=1 src1=1 src2=0
	v_mul_i32_i24_e32 v103, v100 /*v356*/, v3 /*v259*/
	s_set_vgpr_msb 0                        ;  msbs: dst=0 src0=0 src1=0 src2=0
	v_mul_i32_i24_e32 v89, v93, v116
	s_set_vgpr_msb 1                        ;  msbs: dst=0 src0=1 src1=0 src2=0
	v_mul_i32_i24_e32 v116, v98 /*v354*/, v235
	s_set_vgpr_msb 0                        ;  msbs: dst=0 src0=0 src1=0 src2=0
	v_add3_u32 v82, v82, v94, v95
	s_set_vgpr_msb 1                        ;  msbs: dst=0 src0=1 src1=0 src2=0
	v_mul_i32_i24_e32 v94, v12 /*v268*/, v117
	s_set_vgpr_msb 0                        ;  msbs: dst=0 src0=0 src1=0 src2=0
	s_delay_alu instid0(VALU_DEP_2)
	v_add3_u32 v82, v82, v107, v105
	s_set_vgpr_msb 1                        ;  msbs: dst=0 src0=1 src1=0 src2=0
	v_mul_i32_i24_e32 v105, v65 /*v321*/, v195
	v_mul_i32_i24_e32 v107, v86 /*v342*/, v198
	s_set_vgpr_msb 0                        ;  msbs: dst=0 src0=0 src1=0 src2=0
	v_add3_u32 v82, v82, v104, v106
	s_set_vgpr_msb 5                        ;  msbs: dst=0 src0=1 src1=1 src2=0
	v_mul_i32_i24_e32 v104, v62 /*v318*/, v3 /*v259*/
	s_set_vgpr_msb 1                        ;  msbs: dst=0 src0=1 src1=0 src2=0
	v_mul_i32_i24_e32 v106, v85 /*v341*/, v197
	s_set_vgpr_msb 0                        ;  msbs: dst=0 src0=0 src1=0 src2=0
	v_add3_u32 v82, v82, v122, v108
	v_add3_u32 v80, v80, v81, v104
	s_set_vgpr_msb 1                        ;  msbs: dst=0 src0=1 src1=0 src2=0
	v_mul_i32_i24_e32 v104, v84 /*v340*/, v196
	v_mul_i32_i24_e32 v108, v87 /*v343*/, v200
	s_set_vgpr_msb 0                        ;  msbs: dst=0 src0=0 src1=0 src2=0
	v_add3_u32 v82, v82, v109, v121
	v_add3_u32 v80, v80, v84, v86
	s_set_vgpr_msb 1                        ;  msbs: dst=0 src0=1 src1=0 src2=0
	v_mul_i32_i24_e32 v86, v64 /*v320*/, v152
	v_mul_i32_i24_e32 v109, v67 /*v323*/, v199
	s_set_vgpr_msb 0                        ;  msbs: dst=0 src0=0 src1=0 src2=0
	v_add3_u32 v82, v82, v126, v124
	s_delay_alu instid0(VALU_DEP_1) | instskip(NEXT) | instid1(VALU_DEP_1)
	v_add3_u32 v82, v82, v123, v125
	v_add3_u32 v82, v82, v114, v110
	s_set_vgpr_msb 1                        ;  msbs: dst=0 src0=1 src1=0 src2=0
	v_mul_i32_i24_e32 v110, v94 /*v350*/, v202
	v_mul_i32_i24_e32 v114, v97 /*v353*/, v203
	s_set_vgpr_msb 0                        ;  msbs: dst=0 src0=0 src1=0 src2=0
	v_add3_u32 v81, v82, v112, v103
	v_lshrrev_b32_e32 v82, 16, v83
	s_set_vgpr_msb 1                        ;  msbs: dst=0 src0=1 src1=0 src2=0
	v_mul_i32_i24_e32 v103, v83 /*v339*/, v193
	v_mul_i32_i24_e32 v112, v96 /*v352*/, v201
	s_set_vgpr_msb 0                        ;  msbs: dst=0 src0=0 src1=0 src2=0
	v_add3_u32 v81, v81, v85, v87
	s_set_vgpr_msb 1                        ;  msbs: dst=0 src0=1 src1=0 src2=0
	v_mul_i32_i24_e32 v87, v79 /*v335*/, v153
	s_set_vgpr_msb 0                        ;  msbs: dst=0 src0=0 src1=0 src2=0
	s_delay_alu instid0(VALU_DEP_2)
	v_add3_u32 v85, v81, v88, v94
	v_cvt_f32_f16_e32 v81, v83
	v_cvt_f32_f16_e32 v83, v82
	s_set_vgpr_msb 4                        ;  msbs: dst=0 src0=0 src1=1 src2=0
	v_lshrrev_b32_e32 v82, 16, v91 /*v347*/
	s_set_vgpr_msb 0                        ;  msbs: dst=0 src0=0 src1=0 src2=0
	v_mul_i32_i24_e32 v95, v92, v117
	v_cvt_f32_i32_e32 v85, v85
	s_set_vgpr_msb 1                        ;  msbs: dst=0 src0=1 src1=0 src2=0
	v_mul_i32_i24_e32 v94, v66 /*v322*/, v155
	v_mul_i32_i24_e32 v88, v80 /*v336*/, v154
	s_set_vgpr_msb 0                        ;  msbs: dst=0 src0=0 src1=0 src2=0
	v_cvt_f32_f16_e32 v82, v82
	v_add3_u32 v84, v80, v89, v95
	s_set_vgpr_msb 1                        ;  msbs: dst=0 src0=1 src1=0 src2=0
	v_cvt_f32_f16_e64 v80, v91 /*v347*/
	v_mul_i32_i24_e32 v89, v81 /*v337*/, v189
	v_mul_i32_i24_e32 v95, v82 /*v338*/, v194
	;; [unrolled: 1-line block ×3, first 2 shown]
	s_set_vgpr_msb 0                        ;  msbs: dst=0 src0=0 src1=0 src2=0
	v_cvt_f32_i32_e32 v84, v84
	s_delay_alu instid0(VALU_DEP_1)
	v_pk_fma_f32 v[80:81], v[80:81], v[84:85], v[82:83]
	s_set_vgpr_msb 1                        ;  msbs: dst=0 src0=1 src1=0 src2=0
	v_mul_i32_i24_e32 v82, v70 /*v326*/, v148
	v_mul_i32_i24_e32 v84, v77 /*v333*/, v150
	;; [unrolled: 1-line block ×4, first 2 shown]
	s_set_vgpr_msb 0                        ;  msbs: dst=0 src0=0 src1=0 src2=0
	v_pk_add_f32 v[4:5], v[4:5], v[80:81]
	s_set_vgpr_msb 1                        ;  msbs: dst=0 src0=1 src1=0 src2=0
	v_mul_i32_i24_e32 v80, v74 /*v330*/, v147
	v_mul_i32_i24_e32 v81, v75 /*v331*/, v146
	s_delay_alu instid0(VALU_DEP_2) | instskip(SKIP_1) | instid1(VALU_DEP_1)
	v_mad_i32_i24 v80, v73 /*v329*/, v145, v80
	s_set_vgpr_msb 0                        ;  msbs: dst=0 src0=0 src1=0 src2=0
	v_add3_u32 v80, v80, v81, v82
	s_set_vgpr_msb 1                        ;  msbs: dst=0 src0=1 src1=0 src2=0
	v_mul_i32_i24_e32 v81, v61 /*v317*/, v232
	s_set_vgpr_msb 0                        ;  msbs: dst=0 src0=0 src1=0 src2=0
	v_pk_mul_f16 v82, v144, v91
	v_add3_u32 v80, v80, v86, v84
	s_set_vgpr_msb 1                        ;  msbs: dst=0 src0=1 src1=0 src2=0
	v_mul_i32_i24_e32 v84, v60 /*v316*/, v233
	v_mul_i32_i24_e32 v86, v5 /*v261*/, v234
	s_set_vgpr_msb 0                        ;  msbs: dst=0 src0=0 src1=0 src2=0
	v_add3_u32 v80, v80, v83, v85
	v_mul_i32_i24_e32 v83, v111, v232
	v_mul_i32_i24_e32 v85, v113, v233
	s_delay_alu instid0(VALU_DEP_3)
	v_add3_u32 v80, v80, v94, v87
	s_set_vgpr_msb 1                        ;  msbs: dst=0 src0=1 src1=0 src2=0
	v_mul_i32_i24_e32 v94, v100 /*v356*/, v230
	s_set_vgpr_msb 0                        ;  msbs: dst=0 src0=0 src1=0 src2=0
	v_mul_i32_i24_e32 v87, v93, v234
	v_add3_u32 v80, v80, v88, v89
	v_mul_i32_i24_e32 v89, v92, v231
	s_set_vgpr_msb 1                        ;  msbs: dst=0 src0=1 src1=0 src2=0
	v_mul_i32_i24_e32 v88, v12 /*v268*/, v231
	s_set_vgpr_msb 0                        ;  msbs: dst=0 src0=0 src1=0 src2=0
	v_add3_u32 v80, v80, v105, v103
	s_set_vgpr_msb 1                        ;  msbs: dst=0 src0=1 src1=0 src2=0
	v_mul_i32_i24_e32 v103, v83 /*v339*/, v218
	v_mul_i32_i24_e32 v105, v65 /*v321*/, v220
	s_set_vgpr_msb 0                        ;  msbs: dst=0 src0=0 src1=0 src2=0
	v_add3_u32 v80, v80, v95, v104
	s_set_vgpr_msb 1                        ;  msbs: dst=0 src0=1 src1=0 src2=0
	v_mul_i32_i24_e32 v95, v62 /*v318*/, v230
	v_mul_i32_i24_e32 v104, v84 /*v340*/, v221
	s_set_vgpr_msb 0                        ;  msbs: dst=0 src0=0 src1=0 src2=0
	v_add3_u32 v80, v80, v109, v106
	s_set_vgpr_msb 5                        ;  msbs: dst=0 src0=1 src1=1 src2=0
	v_add3_u32 v95, v92 /*v348*/, v116 /*v372*/, v95
	s_set_vgpr_msb 1                        ;  msbs: dst=0 src0=1 src1=0 src2=0
	v_mul_i32_i24_e32 v106, v85 /*v341*/, v222
	v_mul_i32_i24_e32 v109, v67 /*v323*/, v224
	s_set_vgpr_msb 0                        ;  msbs: dst=0 src0=0 src1=0 src2=0
	v_add3_u32 v80, v80, v107, v108
	v_add3_u32 v81, v95, v81, v84
	s_set_vgpr_msb 1                        ;  msbs: dst=0 src0=1 src1=0 src2=0
	v_mul_i32_i24_e32 v95, v82 /*v338*/, v219
	v_mul_i32_i24_e32 v107, v86 /*v342*/, v223
	;; [unrolled: 1-line block ×3, first 2 shown]
	s_set_vgpr_msb 0                        ;  msbs: dst=0 src0=0 src1=0 src2=0
	v_add3_u32 v80, v80, v115, v112
	v_add3_u32 v84, v81, v87, v89
	v_cvt_f32_f16_e32 v81, v82
	v_lshrrev_b32_e32 v82, 16, v82
	s_set_vgpr_msb 1                        ;  msbs: dst=0 src0=1 src1=0 src2=0
	v_mul_i32_i24_e32 v87, v79 /*v335*/, v214
	s_set_vgpr_msb 0                        ;  msbs: dst=0 src0=0 src1=0 src2=0
	v_add3_u32 v80, v80, v110, v114
	v_cvt_f32_i32_e32 v84, v84
	s_set_vgpr_msb 1                        ;  msbs: dst=0 src0=1 src1=0 src2=0
	v_mul_i32_i24_e32 v89, v81 /*v337*/, v217
	v_mul_i32_i24_e32 v112, v96 /*v352*/, v226
	;; [unrolled: 1-line block ×3, first 2 shown]
	s_set_vgpr_msb 0                        ;  msbs: dst=0 src0=0 src1=0 src2=0
	v_add3_u32 v80, v80, v118, v116
	s_set_vgpr_msb 1                        ;  msbs: dst=0 src0=1 src1=0 src2=0
	v_mul_i32_i24_e32 v110, v94 /*v350*/, v227
	v_mul_i32_i24_e32 v114, v97 /*v353*/, v228
	v_mul_i32_i24_e32 v116, v98 /*v354*/, v243
	v_mul_i32_i24_e32 v118, v71 /*v327*/, v245
	s_set_vgpr_msb 0                        ;  msbs: dst=0 src0=0 src1=0 src2=0
	v_add3_u32 v80, v80, v117, v94
	s_set_vgpr_msb 1                        ;  msbs: dst=0 src0=1 src1=0 src2=0
	v_mul_i32_i24_e32 v94, v66 /*v322*/, v216
	v_mul_i32_i24_e32 v117, v99 /*v355*/, v244
	s_set_vgpr_msb 0                        ;  msbs: dst=0 src0=0 src1=0 src2=0
	v_add3_u32 v80, v80, v83, v85
	v_cvt_f32_f16_e32 v83, v82
	s_set_vgpr_msb 4                        ;  msbs: dst=0 src0=0 src1=1 src2=0
	v_lshrrev_b32_e32 v82, 16, v93 /*v349*/
	s_set_vgpr_msb 0                        ;  msbs: dst=0 src0=0 src1=0 src2=0
	v_add3_u32 v85, v80, v86, v88
	s_set_vgpr_msb 1                        ;  msbs: dst=0 src0=1 src1=0 src2=0
	v_cvt_f32_f16_e64 v80, v93 /*v349*/
	s_set_vgpr_msb 0                        ;  msbs: dst=0 src0=0 src1=0 src2=0
	v_cvt_f32_f16_e32 v82, v82
	s_set_vgpr_msb 1                        ;  msbs: dst=0 src0=1 src1=0 src2=0
	v_mul_i32_i24_e32 v86, v64 /*v320*/, v213
	v_mul_i32_i24_e32 v88, v80 /*v336*/, v215
	s_set_vgpr_msb 0                        ;  msbs: dst=0 src0=0 src1=0 src2=0
	v_cvt_f32_i32_e32 v85, v85
	s_delay_alu instid0(VALU_DEP_1)
	v_pk_fma_f32 v[80:81], v[80:81], v[84:85], v[82:83]
	s_set_vgpr_msb 1                        ;  msbs: dst=0 src0=1 src1=0 src2=0
	v_mul_i32_i24_e32 v82, v70 /*v326*/, v209
	v_mul_i32_i24_e32 v84, v77 /*v333*/, v211
	;; [unrolled: 1-line block ×4, first 2 shown]
	s_set_vgpr_msb 0                        ;  msbs: dst=0 src0=0 src1=0 src2=0
	v_pk_add_f32 v[2:3], v[2:3], v[80:81]
	s_set_vgpr_msb 1                        ;  msbs: dst=0 src0=1 src1=0 src2=0
	v_mul_i32_i24_e32 v80, v74 /*v330*/, v208
	v_mul_i32_i24_e32 v81, v75 /*v331*/, v207
	s_delay_alu instid0(VALU_DEP_2) | instskip(SKIP_1) | instid1(VALU_DEP_1)
	v_mad_i32_i24 v80, v73 /*v329*/, v206, v80
	s_set_vgpr_msb 0                        ;  msbs: dst=0 src0=0 src1=0 src2=0
	v_add3_u32 v80, v80, v81, v82
	v_pk_mul_f16 v82, v205, v91
	s_set_vgpr_msb 1                        ;  msbs: dst=0 src0=1 src1=0 src2=0
	v_mul_i32_i24_e32 v81, v61 /*v317*/, v240
	v_mul_i32_i24_e32 v91, v100 /*v356*/, v238
	s_set_vgpr_msb 0                        ;  msbs: dst=0 src0=0 src1=0 src2=0
	v_add3_u32 v80, v80, v86, v84
	s_set_vgpr_msb 1                        ;  msbs: dst=0 src0=1 src1=0 src2=0
	v_mul_i32_i24_e32 v84, v60 /*v316*/, v241
	v_mul_i32_i24_e32 v86, v5 /*v261*/, v242
	s_set_vgpr_msb 0                        ;  msbs: dst=0 src0=0 src1=0 src2=0
	v_add3_u32 v80, v80, v83, v85
	v_mul_i32_i24_e32 v83, v111, v240
	v_mul_i32_i24_e32 v85, v113, v241
	s_delay_alu instid0(VALU_DEP_3) | instskip(SKIP_1) | instid1(VALU_DEP_2)
	v_add3_u32 v80, v80, v94, v87
	v_mul_i32_i24_e32 v87, v93, v242
	v_add3_u32 v80, v80, v88, v89
	v_mul_i32_i24_e32 v89, v92, v239
	s_set_vgpr_msb 1                        ;  msbs: dst=0 src0=1 src1=0 src2=0
	v_mul_i32_i24_e32 v92, v62 /*v318*/, v238
	v_mul_i32_i24_e32 v88, v12 /*v268*/, v239
	s_set_vgpr_msb 0                        ;  msbs: dst=0 src0=0 src1=0 src2=0
	v_add3_u32 v80, v80, v105, v103
	s_set_vgpr_msb 5                        ;  msbs: dst=0 src0=1 src1=1 src2=0
	v_add3_u32 v92, v72 /*v328*/, v95 /*v351*/, v92
	s_set_vgpr_msb 0                        ;  msbs: dst=0 src0=0 src1=0 src2=0
	s_delay_alu instid0(VALU_DEP_2) | instskip(NEXT) | instid1(VALU_DEP_2)
	v_add3_u32 v80, v80, v95, v104
	v_add3_u32 v81, v92, v81, v84
	s_delay_alu instid0(VALU_DEP_2) | instskip(NEXT) | instid1(VALU_DEP_2)
	v_add3_u32 v80, v80, v109, v106
	v_add3_u32 v84, v81, v87, v89
	v_cvt_f32_f16_e32 v81, v82
	v_lshrrev_b32_e32 v82, 16, v82
	s_delay_alu instid0(VALU_DEP_4) | instskip(NEXT) | instid1(VALU_DEP_4)
	v_add3_u32 v80, v80, v107, v108
	v_cvt_f32_i32_e32 v84, v84
	s_delay_alu instid0(VALU_DEP_2) | instskip(NEXT) | instid1(VALU_DEP_1)
	v_add3_u32 v80, v80, v115, v112
	v_add3_u32 v80, v80, v110, v114
	s_delay_alu instid0(VALU_DEP_1) | instskip(NEXT) | instid1(VALU_DEP_1)
	v_add3_u32 v80, v80, v118, v116
	v_add3_u32 v80, v80, v117, v91
	s_delay_alu instid0(VALU_DEP_1) | instskip(SKIP_2) | instid1(VALU_DEP_3)
	v_add3_u32 v80, v80, v83, v85
	v_cvt_f32_f16_e32 v83, v82
	v_lshrrev_b32_e32 v82, 16, v90
	v_add3_u32 v85, v80, v86, v88
	v_cvt_f32_f16_e32 v80, v90
	s_delay_alu instid0(VALU_DEP_3) | instskip(NEXT) | instid1(VALU_DEP_3)
	v_cvt_f32_f16_e32 v82, v82
	v_cvt_f32_i32_e32 v85, v85
	s_delay_alu instid0(VALU_DEP_1) | instskip(NEXT) | instid1(VALU_DEP_1)
	v_pk_fma_f32 v[80:81], v[80:81], v[84:85], v[82:83]
	v_pk_add_f32 v[0:1], v[0:1], v[80:81]
	s_cbranch_scc1 .LBB160_12
; %bb.13:                               ;   in Loop: Header=BB160_7 Depth=1
	s_barrier_signal -1
	s_barrier_wait -1
	s_branch .LBB160_6
.LBB160_14:
	v_dual_mov_b32 v18, v19 :: v_dual_mov_b32 v20, v37
	s_mov_b32 s0, exec_lo
	s_wait_xcnt 0x0
	v_cmpx_gt_u32_e64 s6, v41
	s_cbranch_execz .LBB160_3
.LBB160_15:
	v_mul_lo_u32 v36, v41, s12
	v_add_nc_u32_e32 v19, s14, v20
	s_delay_alu instid0(VALU_DEP_1)
	v_cmp_gt_u32_e32 vcc_lo, s12, v19
	s_and_saveexec_b32 s1, vcc_lo
	s_cbranch_execz .LBB160_17
; %bb.16:
	v_bfe_u32 v20, v34, 16, 1
	v_cmp_o_f32_e64 s0, v34, v34
	v_add_nc_u32_e32 v21, v19, v36
	s_delay_alu instid0(VALU_DEP_3) | instskip(NEXT) | instid1(VALU_DEP_1)
	v_add3_u32 v20, v34, v20, 0x7fff
	v_lshrrev_b32_e32 v20, 16, v20
	s_delay_alu instid0(VALU_DEP_1)
	v_cndmask_b32_e64 v20, 0x7fc0, v20, s0
	s_wait_kmcnt 0x0
	global_store_b16 v21, v20, s[8:9] scale_offset
.LBB160_17:
	s_wait_xcnt 0x0
	s_or_b32 exec_lo, exec_lo, s1
	v_add_nc_u32_e32 v20, 32, v19
	s_delay_alu instid0(VALU_DEP_1)
	v_cmp_gt_u32_e64 s0, s12, v20
	s_and_saveexec_b32 s2, s0
	s_cbranch_execz .LBB160_19
; %bb.18:
	v_bfe_u32 v21, v6, 16, 1
	v_cmp_o_f32_e64 s1, v6, v6
	s_delay_alu instid0(VALU_DEP_2) | instskip(NEXT) | instid1(VALU_DEP_1)
	v_add3_u32 v21, v6, v21, 0x7fff
	v_lshrrev_b32_e32 v21, 16, v21
	s_delay_alu instid0(VALU_DEP_1)
	v_cndmask_b32_e64 v6, 0x7fc0, v21, s1
	v_add_nc_u32_e32 v21, v20, v36
	s_wait_kmcnt 0x0
	global_store_b16 v21, v6, s[8:9] scale_offset
.LBB160_19:
	s_wait_xcnt 0x0
	s_or_b32 exec_lo, exec_lo, s2
	v_add_nc_u32_e32 v6, 64, v19
	s_delay_alu instid0(VALU_DEP_1)
	v_cmp_gt_u32_e64 s1, s12, v6
	s_and_saveexec_b32 s3, s1
	s_cbranch_execz .LBB160_21
; %bb.20:
	v_bfe_u32 v21, v32, 16, 1
	v_cmp_o_f32_e64 s2, v32, v32
	s_delay_alu instid0(VALU_DEP_2) | instskip(NEXT) | instid1(VALU_DEP_1)
	v_add3_u32 v21, v32, v21, 0x7fff
	v_dual_add_nc_u32 v32, v6, v36 :: v_dual_lshrrev_b32 v21, 16, v21
	s_delay_alu instid0(VALU_DEP_1)
	v_cndmask_b32_e64 v21, 0x7fc0, v21, s2
	s_wait_kmcnt 0x0
	global_store_b16 v32, v21, s[8:9] scale_offset
.LBB160_21:
	s_wait_xcnt 0x0
	s_or_b32 exec_lo, exec_lo, s3
	v_add_nc_u32_e32 v21, 0x60, v19
	s_delay_alu instid0(VALU_DEP_1)
	v_cmp_gt_u32_e64 s2, s12, v21
	s_and_saveexec_b32 s4, s2
	s_cbranch_execz .LBB160_23
; %bb.22:
	v_bfe_u32 v32, v30, 16, 1
	v_cmp_o_f32_e64 s3, v30, v30
	s_delay_alu instid0(VALU_DEP_2) | instskip(NEXT) | instid1(VALU_DEP_1)
	v_add3_u32 v32, v30, v32, 0x7fff
	v_lshrrev_b32_e32 v32, 16, v32
	s_delay_alu instid0(VALU_DEP_1)
	v_cndmask_b32_e64 v30, 0x7fc0, v32, s3
	v_add_nc_u32_e32 v32, v21, v36
	s_wait_kmcnt 0x0
	global_store_b16 v32, v30, s[8:9] scale_offset
.LBB160_23:
	s_wait_xcnt 0x0
	s_or_b32 exec_lo, exec_lo, s4
	v_add3_u32 v30, v18, s13, 8
	s_delay_alu instid0(VALU_DEP_1)
	v_cmp_gt_u32_e64 s3, s6, v30
	s_and_b32 exec_lo, exec_lo, s3
	s_cbranch_execz .LBB160_3
; %bb.24:
	v_mul_lo_u32 v30, v30, s12
	s_and_saveexec_b32 s4, vcc_lo
	s_cbranch_execnz .LBB160_64
; %bb.25:
	s_or_b32 exec_lo, exec_lo, s4
	s_and_saveexec_b32 s4, s0
	s_cbranch_execnz .LBB160_65
.LBB160_26:
	s_or_b32 exec_lo, exec_lo, s4
	s_and_saveexec_b32 s4, s1
	s_cbranch_execnz .LBB160_66
.LBB160_27:
	s_or_b32 exec_lo, exec_lo, s4
	s_and_saveexec_b32 s4, s2
	s_cbranch_execz .LBB160_29
.LBB160_28:
	v_bfe_u32 v9, v31, 16, 1
	v_cmp_o_f32_e64 s3, v31, v31
	v_add_nc_u32_e32 v30, v30, v21
	s_delay_alu instid0(VALU_DEP_3) | instskip(NEXT) | instid1(VALU_DEP_1)
	v_add3_u32 v9, v31, v9, 0x7fff
	v_lshrrev_b32_e32 v9, 16, v9
	s_delay_alu instid0(VALU_DEP_1)
	v_cndmask_b32_e64 v9, 0x7fc0, v9, s3
	s_wait_kmcnt 0x0
	global_store_b16 v30, v9, s[8:9] scale_offset
.LBB160_29:
	s_wait_xcnt 0x0
	s_or_b32 exec_lo, exec_lo, s4
	v_add3_u32 v9, v18, s13, 16
	s_delay_alu instid0(VALU_DEP_1)
	v_cmp_gt_u32_e64 s3, s6, v9
	s_and_b32 exec_lo, exec_lo, s3
	s_cbranch_execz .LBB160_3
; %bb.30:
	v_mul_lo_u32 v9, v9, s12
	s_and_saveexec_b32 s4, vcc_lo
	s_cbranch_execnz .LBB160_67
; %bb.31:
	s_or_b32 exec_lo, exec_lo, s4
	s_and_saveexec_b32 s4, s0
	s_cbranch_execnz .LBB160_68
.LBB160_32:
	s_or_b32 exec_lo, exec_lo, s4
	s_and_saveexec_b32 s4, s1
	s_cbranch_execnz .LBB160_69
.LBB160_33:
	s_or_b32 exec_lo, exec_lo, s4
	s_and_saveexec_b32 s4, s2
	s_cbranch_execz .LBB160_35
.LBB160_34:
	v_bfe_u32 v24, v22, 16, 1
	v_cmp_o_f32_e64 s3, v22, v22
	v_add_nc_u32_e32 v9, v9, v21
	s_delay_alu instid0(VALU_DEP_3) | instskip(NEXT) | instid1(VALU_DEP_1)
	v_add3_u32 v24, v22, v24, 0x7fff
	v_lshrrev_b32_e32 v24, 16, v24
	s_delay_alu instid0(VALU_DEP_1)
	v_cndmask_b32_e64 v22, 0x7fc0, v24, s3
	s_wait_kmcnt 0x0
	global_store_b16 v9, v22, s[8:9] scale_offset
.LBB160_35:
	s_wait_xcnt 0x0
	s_or_b32 exec_lo, exec_lo, s4
	v_add3_u32 v9, v18, s13, 24
	s_delay_alu instid0(VALU_DEP_1)
	v_cmp_gt_u32_e64 s3, s6, v9
	s_and_b32 exec_lo, exec_lo, s3
	s_cbranch_execz .LBB160_3
; %bb.36:
	v_mul_lo_u32 v9, v9, s12
	s_and_saveexec_b32 s4, vcc_lo
	s_cbranch_execnz .LBB160_70
; %bb.37:
	s_or_b32 exec_lo, exec_lo, s4
	s_and_saveexec_b32 s4, s0
	s_cbranch_execnz .LBB160_71
.LBB160_38:
	s_or_b32 exec_lo, exec_lo, s4
	s_and_saveexec_b32 s4, s1
	s_cbranch_execnz .LBB160_72
.LBB160_39:
	s_or_b32 exec_lo, exec_lo, s4
	s_and_saveexec_b32 s4, s2
	s_cbranch_execz .LBB160_41
.LBB160_40:
	v_bfe_u32 v22, v23, 16, 1
	v_cmp_o_f32_e64 s3, v23, v23
	v_add_nc_u32_e32 v9, v9, v21
	s_delay_alu instid0(VALU_DEP_3) | instskip(NEXT) | instid1(VALU_DEP_1)
	v_add3_u32 v22, v23, v22, 0x7fff
	v_lshrrev_b32_e32 v22, 16, v22
	s_delay_alu instid0(VALU_DEP_1)
	v_cndmask_b32_e64 v22, 0x7fc0, v22, s3
	s_wait_kmcnt 0x0
	global_store_b16 v9, v22, s[8:9] scale_offset
.LBB160_41:
	s_wait_xcnt 0x0
	s_or_b32 exec_lo, exec_lo, s4
	v_add3_u32 v9, v18, s13, 32
	s_delay_alu instid0(VALU_DEP_1)
	v_cmp_gt_u32_e64 s3, s6, v9
	s_and_b32 exec_lo, exec_lo, s3
	s_cbranch_execz .LBB160_3
; %bb.42:
	v_mul_lo_u32 v9, v9, s12
	s_and_saveexec_b32 s4, vcc_lo
	s_cbranch_execnz .LBB160_73
; %bb.43:
	s_or_b32 exec_lo, exec_lo, s4
	s_and_saveexec_b32 s4, s0
	s_cbranch_execnz .LBB160_74
.LBB160_44:
	s_or_b32 exec_lo, exec_lo, s4
	s_and_saveexec_b32 s4, s1
	s_cbranch_execnz .LBB160_75
.LBB160_45:
	s_or_b32 exec_lo, exec_lo, s4
	s_and_saveexec_b32 s4, s2
	s_cbranch_execz .LBB160_47
.LBB160_46:
	v_bfe_u32 v12, v10, 16, 1
	v_cmp_o_f32_e64 s3, v10, v10
	v_add_nc_u32_e32 v9, v9, v21
	s_delay_alu instid0(VALU_DEP_3) | instskip(NEXT) | instid1(VALU_DEP_1)
	v_add3_u32 v12, v10, v12, 0x7fff
	v_lshrrev_b32_e32 v12, 16, v12
	s_delay_alu instid0(VALU_DEP_1)
	v_cndmask_b32_e64 v10, 0x7fc0, v12, s3
	s_wait_kmcnt 0x0
	global_store_b16 v9, v10, s[8:9] scale_offset
.LBB160_47:
	s_wait_xcnt 0x0
	s_or_b32 exec_lo, exec_lo, s4
	v_add3_u32 v9, v18, s13, 40
	s_delay_alu instid0(VALU_DEP_1)
	v_cmp_gt_u32_e64 s3, s6, v9
	s_and_b32 exec_lo, exec_lo, s3
	s_cbranch_execz .LBB160_3
; %bb.48:
	v_mul_lo_u32 v9, v9, s12
	s_and_saveexec_b32 s4, vcc_lo
	s_cbranch_execnz .LBB160_76
; %bb.49:
	s_or_b32 exec_lo, exec_lo, s4
	s_and_saveexec_b32 s4, s0
	s_cbranch_execnz .LBB160_77
.LBB160_50:
	s_or_b32 exec_lo, exec_lo, s4
	s_and_saveexec_b32 s4, s1
	s_cbranch_execnz .LBB160_78
.LBB160_51:
	s_or_b32 exec_lo, exec_lo, s4
	s_and_saveexec_b32 s4, s2
	s_cbranch_execz .LBB160_53
.LBB160_52:
	v_bfe_u32 v10, v11, 16, 1
	v_cmp_o_f32_e64 s3, v11, v11
	v_add_nc_u32_e32 v9, v9, v21
	s_delay_alu instid0(VALU_DEP_3) | instskip(NEXT) | instid1(VALU_DEP_1)
	v_add3_u32 v10, v11, v10, 0x7fff
	v_lshrrev_b32_e32 v10, 16, v10
	s_delay_alu instid0(VALU_DEP_1)
	v_cndmask_b32_e64 v10, 0x7fc0, v10, s3
	s_wait_kmcnt 0x0
	global_store_b16 v9, v10, s[8:9] scale_offset
.LBB160_53:
	s_wait_xcnt 0x0
	s_or_b32 exec_lo, exec_lo, s4
	v_add3_u32 v9, v18, s13, 48
	s_delay_alu instid0(VALU_DEP_1)
	v_cmp_gt_u32_e64 s3, s6, v9
	s_and_b32 exec_lo, exec_lo, s3
	s_cbranch_execz .LBB160_3
; %bb.54:
	v_mul_lo_u32 v9, v9, s12
	s_and_saveexec_b32 s4, vcc_lo
	s_cbranch_execnz .LBB160_79
; %bb.55:
	s_or_b32 exec_lo, exec_lo, s4
	s_and_saveexec_b32 s4, s0
	s_cbranch_execnz .LBB160_80
.LBB160_56:
	s_or_b32 exec_lo, exec_lo, s4
	s_and_saveexec_b32 s4, s1
	s_cbranch_execnz .LBB160_81
.LBB160_57:
	s_or_b32 exec_lo, exec_lo, s4
	s_and_saveexec_b32 s4, s2
	s_cbranch_execz .LBB160_59
.LBB160_58:
	v_bfe_u32 v2, v0, 16, 1
	v_cmp_o_f32_e64 s3, v0, v0
	s_delay_alu instid0(VALU_DEP_2) | instskip(NEXT) | instid1(VALU_DEP_1)
	v_add3_u32 v2, v0, v2, 0x7fff
	v_lshrrev_b32_e32 v2, 16, v2
	s_delay_alu instid0(VALU_DEP_1)
	v_cndmask_b32_e64 v0, 0x7fc0, v2, s3
	v_add_nc_u32_e32 v2, v9, v21
	s_wait_kmcnt 0x0
	global_store_b16 v2, v0, s[8:9] scale_offset
.LBB160_59:
	s_wait_xcnt 0x0
	s_or_b32 exec_lo, exec_lo, s4
	v_add3_u32 v0, v18, s13, 56
	s_delay_alu instid0(VALU_DEP_1)
	v_cmp_gt_u32_e64 s3, s6, v0
	s_and_b32 exec_lo, exec_lo, s3
	s_cbranch_execz .LBB160_3
; %bb.60:
	v_mul_lo_u32 v0, v0, s12
	s_and_saveexec_b32 s3, vcc_lo
	s_cbranch_execnz .LBB160_82
; %bb.61:
	s_or_b32 exec_lo, exec_lo, s3
	s_and_saveexec_b32 s3, s0
	s_cbranch_execnz .LBB160_83
.LBB160_62:
	s_or_b32 exec_lo, exec_lo, s3
	s_and_saveexec_b32 s0, s1
	s_cbranch_execnz .LBB160_84
.LBB160_63:
	s_or_b32 exec_lo, exec_lo, s0
	s_delay_alu instid0(SALU_CYCLE_1)
	s_and_b32 exec_lo, exec_lo, s2
	s_cbranch_execz .LBB160_3
	s_branch .LBB160_85
.LBB160_64:
	v_bfe_u32 v32, v35, 16, 1
	v_cmp_o_f32_e64 s3, v35, v35
	s_delay_alu instid0(VALU_DEP_3) | instskip(NEXT) | instid1(VALU_DEP_3)
	v_add_nc_u32_e32 v34, v30, v19
	v_add3_u32 v32, v35, v32, 0x7fff
	s_delay_alu instid0(VALU_DEP_1) | instskip(NEXT) | instid1(VALU_DEP_1)
	v_lshrrev_b32_e32 v32, 16, v32
	v_cndmask_b32_e64 v32, 0x7fc0, v32, s3
	s_wait_kmcnt 0x0
	global_store_b16 v34, v32, s[8:9] scale_offset
	s_wait_xcnt 0x0
	s_or_b32 exec_lo, exec_lo, s4
	s_and_saveexec_b32 s4, s0
	s_cbranch_execz .LBB160_26
.LBB160_65:
	v_bfe_u32 v32, v9, 16, 1
	v_cmp_o_f32_e64 s3, v9, v9
	s_delay_alu instid0(VALU_DEP_2) | instskip(NEXT) | instid1(VALU_DEP_1)
	v_add3_u32 v32, v9, v32, 0x7fff
	v_lshrrev_b32_e32 v32, 16, v32
	s_delay_alu instid0(VALU_DEP_1)
	v_cndmask_b32_e64 v9, 0x7fc0, v32, s3
	v_add_nc_u32_e32 v32, v30, v20
	s_wait_kmcnt 0x0
	global_store_b16 v32, v9, s[8:9] scale_offset
	s_wait_xcnt 0x0
	s_or_b32 exec_lo, exec_lo, s4
	s_and_saveexec_b32 s4, s1
	s_cbranch_execz .LBB160_27
.LBB160_66:
	v_bfe_u32 v9, v33, 16, 1
	v_cmp_o_f32_e64 s3, v33, v33
	v_add_nc_u32_e32 v32, v30, v6
	s_delay_alu instid0(VALU_DEP_3) | instskip(NEXT) | instid1(VALU_DEP_1)
	v_add3_u32 v9, v33, v9, 0x7fff
	v_lshrrev_b32_e32 v9, 16, v9
	s_delay_alu instid0(VALU_DEP_1)
	v_cndmask_b32_e64 v9, 0x7fc0, v9, s3
	s_wait_kmcnt 0x0
	global_store_b16 v32, v9, s[8:9] scale_offset
	s_wait_xcnt 0x0
	s_or_b32 exec_lo, exec_lo, s4
	s_and_saveexec_b32 s4, s2
	s_cbranch_execnz .LBB160_28
	s_branch .LBB160_29
.LBB160_67:
	v_bfe_u32 v30, v28, 16, 1
	v_cmp_o_f32_e64 s3, v28, v28
	s_delay_alu instid0(VALU_DEP_2) | instskip(NEXT) | instid1(VALU_DEP_1)
	v_add3_u32 v30, v28, v30, 0x7fff
	v_lshrrev_b32_e32 v30, 16, v30
	s_delay_alu instid0(VALU_DEP_1)
	v_cndmask_b32_e64 v28, 0x7fc0, v30, s3
	v_add_nc_u32_e32 v30, v9, v19
	s_wait_kmcnt 0x0
	global_store_b16 v30, v28, s[8:9] scale_offset
	s_wait_xcnt 0x0
	s_or_b32 exec_lo, exec_lo, s4
	s_and_saveexec_b32 s4, s0
	s_cbranch_execz .LBB160_32
.LBB160_68:
	v_bfe_u32 v28, v26, 16, 1
	v_cmp_o_f32_e64 s3, v26, v26
	s_delay_alu instid0(VALU_DEP_2) | instskip(NEXT) | instid1(VALU_DEP_1)
	v_add3_u32 v28, v26, v28, 0x7fff
	v_lshrrev_b32_e32 v28, 16, v28
	s_delay_alu instid0(VALU_DEP_1)
	v_cndmask_b32_e64 v26, 0x7fc0, v28, s3
	v_add_nc_u32_e32 v28, v9, v20
	s_wait_kmcnt 0x0
	global_store_b16 v28, v26, s[8:9] scale_offset
	s_wait_xcnt 0x0
	s_or_b32 exec_lo, exec_lo, s4
	s_and_saveexec_b32 s4, s1
	s_cbranch_execz .LBB160_33
.LBB160_69:
	v_bfe_u32 v26, v24, 16, 1
	v_cmp_o_f32_e64 s3, v24, v24
	s_delay_alu instid0(VALU_DEP_2) | instskip(NEXT) | instid1(VALU_DEP_1)
	v_add3_u32 v26, v24, v26, 0x7fff
	v_lshrrev_b32_e32 v26, 16, v26
	s_delay_alu instid0(VALU_DEP_1)
	v_cndmask_b32_e64 v24, 0x7fc0, v26, s3
	v_add_nc_u32_e32 v26, v9, v6
	s_wait_kmcnt 0x0
	global_store_b16 v26, v24, s[8:9] scale_offset
	s_wait_xcnt 0x0
	s_or_b32 exec_lo, exec_lo, s4
	s_and_saveexec_b32 s4, s2
	s_cbranch_execnz .LBB160_34
	s_branch .LBB160_35
.LBB160_70:
	v_bfe_u32 v22, v29, 16, 1
	v_cmp_o_f32_e64 s3, v29, v29
	s_delay_alu instid0(VALU_DEP_3) | instskip(NEXT) | instid1(VALU_DEP_3)
	v_add_nc_u32_e32 v24, v9, v19
	v_add3_u32 v22, v29, v22, 0x7fff
	s_delay_alu instid0(VALU_DEP_1) | instskip(NEXT) | instid1(VALU_DEP_1)
	v_lshrrev_b32_e32 v22, 16, v22
	v_cndmask_b32_e64 v22, 0x7fc0, v22, s3
	s_wait_kmcnt 0x0
	global_store_b16 v24, v22, s[8:9] scale_offset
	s_wait_xcnt 0x0
	s_or_b32 exec_lo, exec_lo, s4
	s_and_saveexec_b32 s4, s0
	s_cbranch_execz .LBB160_38
.LBB160_71:
	v_bfe_u32 v22, v27, 16, 1
	v_cmp_o_f32_e64 s3, v27, v27
	s_delay_alu instid0(VALU_DEP_3) | instskip(NEXT) | instid1(VALU_DEP_3)
	v_add_nc_u32_e32 v24, v9, v20
	v_add3_u32 v22, v27, v22, 0x7fff
	s_delay_alu instid0(VALU_DEP_1) | instskip(NEXT) | instid1(VALU_DEP_1)
	v_lshrrev_b32_e32 v22, 16, v22
	v_cndmask_b32_e64 v22, 0x7fc0, v22, s3
	s_wait_kmcnt 0x0
	global_store_b16 v24, v22, s[8:9] scale_offset
	s_wait_xcnt 0x0
	s_or_b32 exec_lo, exec_lo, s4
	s_and_saveexec_b32 s4, s1
	s_cbranch_execz .LBB160_39
.LBB160_72:
	v_bfe_u32 v22, v25, 16, 1
	v_cmp_o_f32_e64 s3, v25, v25
	v_add_nc_u32_e32 v24, v9, v6
	s_delay_alu instid0(VALU_DEP_3) | instskip(NEXT) | instid1(VALU_DEP_1)
	v_add3_u32 v22, v25, v22, 0x7fff
	v_lshrrev_b32_e32 v22, 16, v22
	s_delay_alu instid0(VALU_DEP_1)
	v_cndmask_b32_e64 v22, 0x7fc0, v22, s3
	s_wait_kmcnt 0x0
	global_store_b16 v24, v22, s[8:9] scale_offset
	s_wait_xcnt 0x0
	s_or_b32 exec_lo, exec_lo, s4
	s_and_saveexec_b32 s4, s2
	s_cbranch_execnz .LBB160_40
	s_branch .LBB160_41
.LBB160_73:
	v_bfe_u32 v22, v16, 16, 1
	v_cmp_o_f32_e64 s3, v16, v16
	s_delay_alu instid0(VALU_DEP_2) | instskip(NEXT) | instid1(VALU_DEP_1)
	v_add3_u32 v22, v16, v22, 0x7fff
	v_lshrrev_b32_e32 v22, 16, v22
	s_delay_alu instid0(VALU_DEP_1)
	v_cndmask_b32_e64 v16, 0x7fc0, v22, s3
	v_add_nc_u32_e32 v22, v9, v19
	s_wait_kmcnt 0x0
	global_store_b16 v22, v16, s[8:9] scale_offset
	s_wait_xcnt 0x0
	s_or_b32 exec_lo, exec_lo, s4
	s_and_saveexec_b32 s4, s0
	s_cbranch_execz .LBB160_44
.LBB160_74:
	v_bfe_u32 v16, v14, 16, 1
	v_cmp_o_f32_e64 s3, v14, v14
	s_delay_alu instid0(VALU_DEP_2) | instskip(NEXT) | instid1(VALU_DEP_1)
	v_add3_u32 v16, v14, v16, 0x7fff
	v_lshrrev_b32_e32 v16, 16, v16
	s_delay_alu instid0(VALU_DEP_1)
	v_cndmask_b32_e64 v14, 0x7fc0, v16, s3
	v_add_nc_u32_e32 v16, v9, v20
	s_wait_kmcnt 0x0
	global_store_b16 v16, v14, s[8:9] scale_offset
	s_wait_xcnt 0x0
	s_or_b32 exec_lo, exec_lo, s4
	s_and_saveexec_b32 s4, s1
	s_cbranch_execz .LBB160_45
.LBB160_75:
	v_bfe_u32 v14, v12, 16, 1
	v_cmp_o_f32_e64 s3, v12, v12
	s_delay_alu instid0(VALU_DEP_2) | instskip(NEXT) | instid1(VALU_DEP_1)
	v_add3_u32 v14, v12, v14, 0x7fff
	v_lshrrev_b32_e32 v14, 16, v14
	s_delay_alu instid0(VALU_DEP_1)
	v_cndmask_b32_e64 v12, 0x7fc0, v14, s3
	v_add_nc_u32_e32 v14, v9, v6
	s_wait_kmcnt 0x0
	global_store_b16 v14, v12, s[8:9] scale_offset
	s_wait_xcnt 0x0
	s_or_b32 exec_lo, exec_lo, s4
	s_and_saveexec_b32 s4, s2
	s_cbranch_execnz .LBB160_46
	s_branch .LBB160_47
.LBB160_76:
	v_bfe_u32 v10, v17, 16, 1
	v_cmp_o_f32_e64 s3, v17, v17
	s_delay_alu instid0(VALU_DEP_3) | instskip(NEXT) | instid1(VALU_DEP_3)
	v_add_nc_u32_e32 v12, v9, v19
	v_add3_u32 v10, v17, v10, 0x7fff
	s_delay_alu instid0(VALU_DEP_1) | instskip(NEXT) | instid1(VALU_DEP_1)
	v_lshrrev_b32_e32 v10, 16, v10
	v_cndmask_b32_e64 v10, 0x7fc0, v10, s3
	s_wait_kmcnt 0x0
	global_store_b16 v12, v10, s[8:9] scale_offset
	s_wait_xcnt 0x0
	s_or_b32 exec_lo, exec_lo, s4
	s_and_saveexec_b32 s4, s0
	s_cbranch_execz .LBB160_50
.LBB160_77:
	v_bfe_u32 v10, v15, 16, 1
	v_cmp_o_f32_e64 s3, v15, v15
	s_delay_alu instid0(VALU_DEP_3) | instskip(NEXT) | instid1(VALU_DEP_3)
	v_add_nc_u32_e32 v12, v9, v20
	v_add3_u32 v10, v15, v10, 0x7fff
	s_delay_alu instid0(VALU_DEP_1) | instskip(NEXT) | instid1(VALU_DEP_1)
	v_lshrrev_b32_e32 v10, 16, v10
	v_cndmask_b32_e64 v10, 0x7fc0, v10, s3
	s_wait_kmcnt 0x0
	global_store_b16 v12, v10, s[8:9] scale_offset
	s_wait_xcnt 0x0
	s_or_b32 exec_lo, exec_lo, s4
	s_and_saveexec_b32 s4, s1
	s_cbranch_execz .LBB160_51
.LBB160_78:
	v_bfe_u32 v10, v13, 16, 1
	v_cmp_o_f32_e64 s3, v13, v13
	v_add_nc_u32_e32 v12, v9, v6
	s_delay_alu instid0(VALU_DEP_3) | instskip(NEXT) | instid1(VALU_DEP_1)
	v_add3_u32 v10, v13, v10, 0x7fff
	v_lshrrev_b32_e32 v10, 16, v10
	s_delay_alu instid0(VALU_DEP_1)
	v_cndmask_b32_e64 v10, 0x7fc0, v10, s3
	s_wait_kmcnt 0x0
	global_store_b16 v12, v10, s[8:9] scale_offset
	s_wait_xcnt 0x0
	s_or_b32 exec_lo, exec_lo, s4
	s_and_saveexec_b32 s4, s2
	s_cbranch_execnz .LBB160_52
	s_branch .LBB160_53
.LBB160_79:
	v_bfe_u32 v10, v8, 16, 1
	v_cmp_o_f32_e64 s3, v8, v8
	s_delay_alu instid0(VALU_DEP_2) | instskip(NEXT) | instid1(VALU_DEP_1)
	v_add3_u32 v10, v8, v10, 0x7fff
	v_lshrrev_b32_e32 v10, 16, v10
	s_delay_alu instid0(VALU_DEP_1)
	v_cndmask_b32_e64 v8, 0x7fc0, v10, s3
	v_add_nc_u32_e32 v10, v9, v19
	s_wait_kmcnt 0x0
	global_store_b16 v10, v8, s[8:9] scale_offset
	s_wait_xcnt 0x0
	s_or_b32 exec_lo, exec_lo, s4
	s_and_saveexec_b32 s4, s0
	s_cbranch_execz .LBB160_56
.LBB160_80:
	v_bfe_u32 v8, v4, 16, 1
	v_cmp_o_f32_e64 s3, v4, v4
	s_delay_alu instid0(VALU_DEP_2) | instskip(NEXT) | instid1(VALU_DEP_1)
	v_add3_u32 v8, v4, v8, 0x7fff
	v_lshrrev_b32_e32 v8, 16, v8
	s_delay_alu instid0(VALU_DEP_1)
	v_cndmask_b32_e64 v4, 0x7fc0, v8, s3
	v_add_nc_u32_e32 v8, v9, v20
	s_wait_kmcnt 0x0
	global_store_b16 v8, v4, s[8:9] scale_offset
	s_wait_xcnt 0x0
	s_or_b32 exec_lo, exec_lo, s4
	s_and_saveexec_b32 s4, s1
	s_cbranch_execz .LBB160_57
.LBB160_81:
	v_bfe_u32 v4, v2, 16, 1
	v_cmp_o_f32_e64 s3, v2, v2
	s_delay_alu instid0(VALU_DEP_2) | instskip(NEXT) | instid1(VALU_DEP_1)
	v_add3_u32 v4, v2, v4, 0x7fff
	v_lshrrev_b32_e32 v4, 16, v4
	s_delay_alu instid0(VALU_DEP_1)
	v_cndmask_b32_e64 v2, 0x7fc0, v4, s3
	v_add_nc_u32_e32 v4, v9, v6
	s_wait_kmcnt 0x0
	global_store_b16 v4, v2, s[8:9] scale_offset
	s_wait_xcnt 0x0
	s_or_b32 exec_lo, exec_lo, s4
	s_and_saveexec_b32 s4, s2
	s_cbranch_execnz .LBB160_58
	s_branch .LBB160_59
.LBB160_82:
	v_bfe_u32 v2, v7, 16, 1
	v_cmp_o_f32_e32 vcc_lo, v7, v7
	s_delay_alu instid0(VALU_DEP_3) | instskip(NEXT) | instid1(VALU_DEP_3)
	v_add_nc_u32_e32 v4, v0, v19
	v_add3_u32 v2, v7, v2, 0x7fff
	s_delay_alu instid0(VALU_DEP_1) | instskip(NEXT) | instid1(VALU_DEP_1)
	v_lshrrev_b32_e32 v2, 16, v2
	v_cndmask_b32_e32 v2, 0x7fc0, v2, vcc_lo
	s_wait_kmcnt 0x0
	global_store_b16 v4, v2, s[8:9] scale_offset
	s_wait_xcnt 0x0
	s_or_b32 exec_lo, exec_lo, s3
	s_and_saveexec_b32 s3, s0
	s_cbranch_execz .LBB160_62
.LBB160_83:
	v_bfe_u32 v2, v5, 16, 1
	v_cmp_o_f32_e32 vcc_lo, v5, v5
	s_delay_alu instid0(VALU_DEP_3) | instskip(NEXT) | instid1(VALU_DEP_3)
	v_add_nc_u32_e32 v4, v0, v20
	v_add3_u32 v2, v5, v2, 0x7fff
	s_delay_alu instid0(VALU_DEP_1) | instskip(NEXT) | instid1(VALU_DEP_1)
	v_lshrrev_b32_e32 v2, 16, v2
	v_cndmask_b32_e32 v2, 0x7fc0, v2, vcc_lo
	s_wait_kmcnt 0x0
	global_store_b16 v4, v2, s[8:9] scale_offset
	s_wait_xcnt 0x0
	s_or_b32 exec_lo, exec_lo, s3
	s_and_saveexec_b32 s0, s1
	s_cbranch_execz .LBB160_63
.LBB160_84:
	v_bfe_u32 v2, v3, 16, 1
	v_cmp_o_f32_e32 vcc_lo, v3, v3
	s_delay_alu instid0(VALU_DEP_2) | instskip(SKIP_1) | instid1(VALU_DEP_2)
	v_add3_u32 v2, v3, v2, 0x7fff
	v_add_nc_u32_e32 v3, v0, v6
	v_lshrrev_b32_e32 v2, 16, v2
	s_delay_alu instid0(VALU_DEP_1) | instskip(SKIP_4) | instid1(SALU_CYCLE_1)
	v_cndmask_b32_e32 v2, 0x7fc0, v2, vcc_lo
	s_wait_kmcnt 0x0
	global_store_b16 v3, v2, s[8:9] scale_offset
	s_wait_xcnt 0x0
	s_or_b32 exec_lo, exec_lo, s0
	s_and_b32 exec_lo, exec_lo, s2
	s_cbranch_execz .LBB160_3
.LBB160_85:
	v_bfe_u32 v2, v1, 16, 1
	v_cmp_o_f32_e32 vcc_lo, v1, v1
	v_add_nc_u32_e32 v0, v0, v21
	s_delay_alu instid0(VALU_DEP_3) | instskip(NEXT) | instid1(VALU_DEP_1)
	v_add3_u32 v2, v1, v2, 0x7fff
	v_lshrrev_b32_e32 v2, 16, v2
	s_delay_alu instid0(VALU_DEP_1)
	v_cndmask_b32_e32 v1, 0x7fc0, v2, vcc_lo
	s_wait_kmcnt 0x0
	global_store_b16 v0, v1, s[8:9] scale_offset
	s_sendmsg sendmsg(MSG_DEALLOC_VGPRS)
	s_endpgm
	.section	.rodata,"a",@progbits
	.p2align	6, 0x0
	.amdhsa_kernel _ZL12mul_mat_q4_1IN3c108BFloat16ELb1EEvPKvS3_PT_iiiii
		.amdhsa_group_segment_fixed_size 30336
		.amdhsa_private_segment_fixed_size 0
		.amdhsa_kernarg_size 44
		.amdhsa_user_sgpr_count 2
		.amdhsa_user_sgpr_dispatch_ptr 0
		.amdhsa_user_sgpr_queue_ptr 0
		.amdhsa_user_sgpr_kernarg_segment_ptr 1
		.amdhsa_user_sgpr_dispatch_id 0
		.amdhsa_user_sgpr_kernarg_preload_length 0
		.amdhsa_user_sgpr_kernarg_preload_offset 0
		.amdhsa_user_sgpr_private_segment_size 0
		.amdhsa_wavefront_size32 1
		.amdhsa_uses_dynamic_stack 0
		.amdhsa_enable_private_segment 0
		.amdhsa_system_sgpr_workgroup_id_x 1
		.amdhsa_system_sgpr_workgroup_id_y 1
		.amdhsa_system_sgpr_workgroup_id_z 0
		.amdhsa_system_sgpr_workgroup_info 0
		.amdhsa_system_vgpr_workitem_id 1
		.amdhsa_next_free_vgpr 455
		.amdhsa_next_free_sgpr 16
		.amdhsa_named_barrier_count 0
		.amdhsa_reserve_vcc 1
		.amdhsa_float_round_mode_32 0
		.amdhsa_float_round_mode_16_64 0
		.amdhsa_float_denorm_mode_32 3
		.amdhsa_float_denorm_mode_16_64 3
		.amdhsa_fp16_overflow 0
		.amdhsa_memory_ordered 1
		.amdhsa_forward_progress 1
		.amdhsa_inst_pref_size 255
		.amdhsa_round_robin_scheduling 0
		.amdhsa_exception_fp_ieee_invalid_op 0
		.amdhsa_exception_fp_denorm_src 0
		.amdhsa_exception_fp_ieee_div_zero 0
		.amdhsa_exception_fp_ieee_overflow 0
		.amdhsa_exception_fp_ieee_underflow 0
		.amdhsa_exception_fp_ieee_inexact 0
		.amdhsa_exception_int_div_zero 0
	.end_amdhsa_kernel
	.section	.text._ZL12mul_mat_q4_1IN3c108BFloat16ELb1EEvPKvS3_PT_iiiii,"axG",@progbits,_ZL12mul_mat_q4_1IN3c108BFloat16ELb1EEvPKvS3_PT_iiiii,comdat
.Lfunc_end160:
	.size	_ZL12mul_mat_q4_1IN3c108BFloat16ELb1EEvPKvS3_PT_iiiii, .Lfunc_end160-_ZL12mul_mat_q4_1IN3c108BFloat16ELb1EEvPKvS3_PT_iiiii
                                        ; -- End function
	.set _ZL12mul_mat_q4_1IN3c108BFloat16ELb1EEvPKvS3_PT_iiiii.num_vgpr, 455
	.set _ZL12mul_mat_q4_1IN3c108BFloat16ELb1EEvPKvS3_PT_iiiii.num_agpr, 0
	.set _ZL12mul_mat_q4_1IN3c108BFloat16ELb1EEvPKvS3_PT_iiiii.numbered_sgpr, 16
	.set _ZL12mul_mat_q4_1IN3c108BFloat16ELb1EEvPKvS3_PT_iiiii.num_named_barrier, 0
	.set _ZL12mul_mat_q4_1IN3c108BFloat16ELb1EEvPKvS3_PT_iiiii.private_seg_size, 0
	.set _ZL12mul_mat_q4_1IN3c108BFloat16ELb1EEvPKvS3_PT_iiiii.uses_vcc, 1
	.set _ZL12mul_mat_q4_1IN3c108BFloat16ELb1EEvPKvS3_PT_iiiii.uses_flat_scratch, 0
	.set _ZL12mul_mat_q4_1IN3c108BFloat16ELb1EEvPKvS3_PT_iiiii.has_dyn_sized_stack, 0
	.set _ZL12mul_mat_q4_1IN3c108BFloat16ELb1EEvPKvS3_PT_iiiii.has_recursion, 0
	.set _ZL12mul_mat_q4_1IN3c108BFloat16ELb1EEvPKvS3_PT_iiiii.has_indirect_call, 0
	.section	.AMDGPU.csdata,"",@progbits
; Kernel info:
; codeLenInByte = 43236
; TotalNumSgprs: 18
; NumVgprs: 455
; ScratchSize: 0
; MemoryBound: 0
; FloatMode: 240
; IeeeMode: 1
; LDSByteSize: 30336 bytes/workgroup (compile time only)
; SGPRBlocks: 0
; VGPRBlocks: 28
; NumSGPRsForWavesPerEU: 18
; NumVGPRsForWavesPerEU: 455
; NamedBarCnt: 0
; Occupancy: 2
; WaveLimiterHint : 0
; COMPUTE_PGM_RSRC2:SCRATCH_EN: 0
; COMPUTE_PGM_RSRC2:USER_SGPR: 2
; COMPUTE_PGM_RSRC2:TRAP_HANDLER: 0
; COMPUTE_PGM_RSRC2:TGID_X_EN: 1
; COMPUTE_PGM_RSRC2:TGID_Y_EN: 1
; COMPUTE_PGM_RSRC2:TGID_Z_EN: 0
; COMPUTE_PGM_RSRC2:TIDIG_COMP_CNT: 1
	.section	.text._ZL12mul_mat_q5_0IN3c108BFloat16ELb0EEvPKvS3_PT_iiiii,"axG",@progbits,_ZL12mul_mat_q5_0IN3c108BFloat16ELb0EEvPKvS3_PT_iiiii,comdat
	.globl	_ZL12mul_mat_q5_0IN3c108BFloat16ELb0EEvPKvS3_PT_iiiii ; -- Begin function _ZL12mul_mat_q5_0IN3c108BFloat16ELb0EEvPKvS3_PT_iiiii
	.p2align	8
	.type	_ZL12mul_mat_q5_0IN3c108BFloat16ELb0EEvPKvS3_PT_iiiii,@function
_ZL12mul_mat_q5_0IN3c108BFloat16ELb0EEvPKvS3_PT_iiiii: ; @_ZL12mul_mat_q5_0IN3c108BFloat16ELb0EEvPKvS3_PT_iiiii
; %bb.0:
	s_clause 0x1
	s_load_b32 s10, s[0:1], 0x18
	s_load_b96 s[4:6], s[0:1], 0x20
	s_bfe_u32 s2, ttmp6, 0x4000c
	s_bfe_u32 s7, ttmp6, 0x40010
	s_add_co_i32 s2, s2, 1
	s_and_b32 s3, ttmp6, 15
	s_mul_i32 s2, ttmp9, s2
	s_add_co_i32 s7, s7, 1
	s_add_co_i32 s3, s3, s2
	s_mul_i32 s2, ttmp7, s7
	s_bfe_u32 s7, ttmp6, 0x40004
	s_getreg_b32 s8, hwreg(HW_REG_IB_STS2, 6, 4)
	s_add_co_i32 s7, s7, s2
	s_cmp_eq_u32 s8, 0
	v_bfe_u32 v1, v0, 10, 10
	s_cselect_b32 s7, ttmp7, s7
	v_and_b32_e32 v29, 0x3ff, v0
	s_cselect_b32 s2, ttmp9, s3
	s_lshl_b32 s7, s7, 6
	s_mov_b32 s3, 0
	s_wait_kmcnt 0x0
	s_cmp_gt_i32 s10, 31
	s_cbranch_scc1 .LBB161_2
; %bb.1:
	v_bfe_u32 v28, v0, 10, 10
	v_and_b32_e32 v30, 0x3ff, v0
	s_delay_alu instid0(VALU_DEP_2)
	v_add_nc_u32_e32 v33, s7, v28
	s_branch .LBB161_3
.LBB161_2:
	s_mov_b32 s3, -1
                                        ; implicit-def: $vgpr28
                                        ; implicit-def: $vgpr30
                                        ; implicit-def: $vgpr33
.LBB161_3:
	s_load_b64 s[8:9], s[0:1], 0x10
	v_dual_mov_b32 v3, 0 :: v_dual_mov_b32 v2, 0
	v_dual_mov_b32 v13, 0 :: v_dual_mov_b32 v12, 0
	;; [unrolled: 1-line block ×16, first 2 shown]
	s_and_not1_b32 vcc_lo, exec_lo, s3
	s_lshl_b32 s14, s2, 7
	s_cbranch_vccnz .LBB161_14
; %bb.4:
	v_dual_add_nc_u32 v33, s7, v1 :: v_dual_bitop2_b32 v22, 3, v0 bitop3:0x40
	s_add_co_i32 s16, s4, -1
	v_dual_mov_b32 v31, 0 :: v_dual_lshlrev_b32 v20, 3, v29
	s_delay_alu instid0(VALU_DEP_2) | instskip(SKIP_3) | instid1(VALU_DEP_4)
	v_dual_add_nc_u32 v6, 8, v33 :: v_dual_add_nc_u32 v8, 16, v33
	v_dual_add_nc_u32 v10, 24, v33 :: v_dual_add_nc_u32 v12, 32, v33
	v_cvt_f64_i32_e32 v[2:3], s16
	v_cvt_f64_u32_e32 v[4:5], v33
	v_cvt_f64_u32_e32 v[6:7], v6
	;; [unrolled: 1-line block ×4, first 2 shown]
	v_dual_add_nc_u32 v14, 40, v33 :: v_dual_add_nc_u32 v16, 48, v33
	v_dual_lshlrev_b32 v21, 2, v29 :: v_dual_bitop2_b32 v32, 7, v0 bitop3:0x40
	v_bfe_u32 v41, v0, 3, 7
	v_cvt_f64_u32_e32 v[10:11], v10
	s_delay_alu instid0(VALU_DEP_4)
	v_cvt_f64_u32_e32 v[14:15], v14
	v_cvt_f64_u32_e32 v[16:17], v16
	v_mad_u32_u24 v43, 0x104, v1, v20
	v_lshl_add_u32 v25, v1, 2, v41
	v_dual_lshlrev_b32 v26, 2, v32 :: v_dual_bitop2_b32 v20, 28, v21 bitop3:0x40
	v_mov_b32_e32 v21, v31
	s_ashr_i32 s11, s10, 31
	s_ashr_i32 s12, s5, 31
	s_lshr_b32 s11, s11, 27
	s_lshr_b32 s12, s12, 27
	s_add_co_i32 s17, s10, s11
	s_add_co_i32 s10, s5, s12
	s_ashr_i32 s5, s17, 5
	v_dual_add_nc_u32 v18, 56, v33 :: v_dual_bitop2_b32 v23, 31, v0 bitop3:0x40
	s_lshl_b32 s18, s5, 3
	v_mul_lo_u32 v40, s5, v1
	v_bfe_u32 v28, v0, 2, 8
	v_dual_lshlrev_b32 v24, 7, v1 :: v_dual_lshlrev_b32 v30, 2, v22
	v_cvt_f64_u32_e32 v[18:19], v18
	v_min_num_f64_e32 v[4:5], v[4:5], v[2:3]
	v_min_num_f64_e32 v[6:7], v[6:7], v[2:3]
	;; [unrolled: 1-line block ×4, first 2 shown]
	v_lshl_add_u32 v27, v1, 3, v28
	s_ashr_i32 s19, s10, 5
	v_add_nc_u32_e32 v42, s18, v40
	v_mul_lo_u32 v62, s5, v25
	v_lshl_or_b32 v23, v23, 2, 0x8200
	v_min_num_f64_e32 v[10:11], v[10:11], v[2:3]
	v_add_nc_u32_e32 v34, 0x400, v24
	v_min_num_f64_e32 v[16:17], v[16:17], v[2:3]
	s_wait_xcnt 0x0
	s_load_b128 s[0:3], s[0:1], 0x0
	s_and_not1_b32 s17, s17, 31
	v_add_nc_u32_e32 v35, 0x800, v24
	s_mul_i32 s10, s5, s14
	v_add_nc_u32_e32 v172, 0x8200, v24
	s_ashr_i32 s11, s10, 31
	v_mov_b64_e32 v[38:39], 0
	s_mul_u64 s[12:13], s[10:11], 22
	s_movk_i32 s10, 0x80
	v_mov_b64_e32 v[36:37], 0
	v_add_nc_u32_e32 v45, 0x820, v43
	v_add_nc_u32_e32 v47, 0x1040, v43
	;; [unrolled: 1-line block ×10, first 2 shown]
	v_cvt_i32_f64_e32 v4, v[4:5]
	v_cvt_i32_f64_e32 v5, v[6:7]
	;; [unrolled: 1-line block ×4, first 2 shown]
	v_dual_min_num_f64 v[14:15], v[14:15], v[2:3] :: v_dual_add_nc_u32 v12, 32, v25
	v_and_b32_e32 v9, 0x7fc, v25
	s_wait_kmcnt 0x0
	v_add_nc_u64_e32 v[52:53], s[2:3], v[20:21]
	v_mov_b64_e32 v[20:21], 0
	v_cvt_i32_f64_e32 v7, v[10:11]
	v_lshlrev_b32_e32 v10, 5, v25
	v_cvt_i32_f64_e32 v13, v[16:17]
	v_and_b32_e32 v17, 0xffc, v12
	v_lshlrev_b32_e32 v12, 5, v12
	v_add3_u32 v9, v9, v26, 0xa200
	v_add_nc_u32_e32 v67, 0x5960, v43
	v_add_nc_u32_e32 v69, 0x6180, v43
	v_add3_u32 v17, v17, v26, 0xa200
	v_add_nc_u32_e32 v71, 0x69a0, v43
	v_add_nc_u32_e32 v73, 0x71c0, v43
	;; [unrolled: 1-line block ×3, first 2 shown]
	v_mul_u32_u24_e32 v178, 0x104, v29
	v_lshl_add_u32 v179, v1, 4, 0xb280
	v_mad_u32_u24 v180, 0x104, v29, s10
	s_mov_b32 s11, 0
	s_add_co_i32 s15, s5, 3
	s_add_nc_u64 s[0:1], s[0:1], s[12:13]
	s_mov_b32 s10, s11
	v_add_nc_u32_e32 v44, s18, v42
	v_min_num_f64_e32 v[2:3], v[18:19], v[2:3]
	v_add_nc_u32_e32 v156, v9, v10
	v_add_nc_u32_e32 v164, v23, v34
	v_mul_lo_u32 v79, s19, v4
	v_add_nc_u32_e32 v46, s18, v44
	v_mul_lo_u32 v149, s19, v6
	;; [unrolled: 2-line block ×3, first 2 shown]
	v_cvt_i32_f64_e32 v11, v[14:15]
	v_add_nc_u32_e32 v15, 0x60, v25
	v_dual_add_nc_u32 v14, 64, v25 :: v_dual_bitop2_b32 v16, 63, v27 bitop3:0x40
	v_mul_lo_u32 v150, s19, v7
	v_add_nc_u32_e32 v7, 64, v29
	s_delay_alu instid0(VALU_DEP_4)
	v_and_b32_e32 v27, 0xffc, v15
	v_lshlrev_b32_e32 v15, 5, v15
	v_and_b32_e32 v18, 0xffc, v14
	v_dual_lshlrev_b32 v14, 5, v14 :: v_dual_bitop2_b32 v19, s7, v16 bitop3:0x54
	v_mul_lo_u32 v153, s19, v13
	v_dual_add_nc_u32 v8, 32, v29 :: v_dual_lshlrev_b32 v13, 5, v29
	v_and_b32_e32 v6, 0x1fc, v6
	v_and_b32_e32 v7, 0x1fc, v7
	v_add_nc_u32_e32 v48, s18, v46
	v_add3_u32 v18, v18, v26, 0xa200
	v_mul_lo_u32 v148, s19, v5
	v_add_nc_u32_e32 v4, 0x1000, v24
	v_add_nc_u32_e32 v5, 0x1400, v24
	;; [unrolled: 1-line block ×3, first 2 shown]
	v_mov_b64_e32 v[34:35], 0
	v_add_nc_u32_e32 v70, s17, v62
	v_cvt_i32_f64_e32 v2, v[2:3]
	v_lshl_or_b32 v3, v16, 4, v30
	v_dual_add_nc_u32 v171, v23, v24 :: v_dual_min_i32 v16, s16, v19
	s_delay_alu instid0(VALU_DEP_4) | instskip(SKIP_1) | instid1(VALU_DEP_4)
	v_add_nc_u32_e32 v74, s17, v70
	v_add3_u32 v19, v27, v26, 0xa200
	v_add_nc_u32_e32 v75, 0xb280, v3
	s_delay_alu instid0(VALU_DEP_4)
	v_mad_u32 v77, v16, s19, v22
	v_and_b32_e32 v16, 0x1fc, v8
	v_and_b32_e32 v22, 0xfc, v0
	v_add_nc_u32_e32 v3, 0xc00, v24
	v_mul_lo_u32 v152, s19, v11
	v_add_nc_u32_e32 v11, 0x1800, v24
	v_dual_add_nc_u32 v160, v18, v14 :: v_dual_add_nc_u32 v162, v19, v15
	v_dual_add_nc_u32 v167, v23, v4 :: v_dual_add_nc_u32 v168, v23, v5
	s_delay_alu instid0(VALU_DEP_3)
	v_add_nc_u32_e32 v169, v23, v11
	v_mov_b64_e32 v[4:5], 0
	v_mov_b64_e32 v[26:27], 0
	;; [unrolled: 1-line block ×5, first 2 shown]
	v_add_nc_u32_e32 v78, s17, v74
	v_mul_lo_u32 v154, s19, v2
	v_dual_add_nc_u32 v2, v13, v6 :: v_dual_add_nc_u32 v6, v13, v7
	v_add_nc_u32_e32 v0, s18, v48
	v_dual_add_nc_u32 v7, v13, v16 :: v_dual_add_nc_u32 v13, v13, v22
	v_add_nc_u32_e32 v16, 0x1c00, v24
	s_delay_alu instid0(VALU_DEP_4) | instskip(NEXT) | instid1(VALU_DEP_4)
	v_add_nc_u32_e32 v157, 0xae00, v2
	v_add_nc_u32_e32 v50, s18, v0
	v_lshrrev_b32_e32 v155, 3, v8
	v_add_nc_u32_e32 v159, 0xaa00, v6
	v_add_nc_u32_e32 v161, 0xa600, v7
	;; [unrolled: 1-line block ×3, first 2 shown]
	v_dual_add_nc_u32 v54, s18, v50 :: v_dual_add_nc_u32 v158, v17, v12
	v_add_nc_u32_e32 v173, 0xae10, v2
	v_add_nc_u32_e32 v174, 0xaa10, v6
	;; [unrolled: 1-line block ×3, first 2 shown]
	s_delay_alu instid0(VALU_DEP_4)
	v_add_nc_u32_e32 v56, s18, v54
	v_add_nc_u32_e32 v176, 0xa210, v13
	v_mov_b64_e32 v[8:9], 0
	v_mov_b64_e32 v[6:7], 0
	;; [unrolled: 1-line block ×3, first 2 shown]
	v_dual_add_nc_u32 v58, s18, v56 :: v_dual_add_nc_u32 v166, v23, v3
	v_mov_b64_e32 v[2:3], 0
	v_mov_b64_e32 v[12:13], 0
	s_delay_alu instid0(VALU_DEP_3) | instskip(NEXT) | instid1(VALU_DEP_1)
	v_add_nc_u32_e32 v60, s18, v58
	v_add_nc_u32_e32 v64, s18, v60
	s_delay_alu instid0(VALU_DEP_1) | instskip(SKIP_3) | instid1(VALU_DEP_4)
	v_add_nc_u32_e32 v66, s18, v64
	v_add_nc_u32_e32 v170, v23, v16
	v_mov_b64_e32 v[16:17], 0
	v_mov_b64_e32 v[22:23], 0
	v_add_nc_u32_e32 v68, s18, v66
	s_delay_alu instid0(VALU_DEP_1) | instskip(NEXT) | instid1(VALU_DEP_1)
	v_add_nc_u32_e32 v72, s18, v68
	v_add_nc_u32_e32 v76, s18, v72
	s_branch .LBB161_6
.LBB161_5:                              ;   in Loop: Header=BB161_6 Depth=1
	s_add_co_i32 s10, s10, 8
	s_add_co_i32 s15, s15, -8
	s_cmp_ge_i32 s10, s5
	s_cbranch_scc1 .LBB161_13
.LBB161_6:                              ; =>This Loop Header: Depth=1
                                        ;     Child Loop BB161_8 Depth 2
                                        ;     Child Loop BB161_11 Depth 2
	s_mul_u64 s[12:13], s[10:11], 22
	s_cmp_gt_u32 s15, 3
	s_add_nc_u64 s[12:13], s[0:1], s[12:13]
	s_delay_alu instid0(SALU_CYCLE_1) | instskip(NEXT) | instid1(VALU_DEP_1)
	v_mad_nc_u64_u32 v[80:81], v28, 22, s[12:13]
	v_mad_nc_u64_u32 v[82:83], v40, 22, v[80:81]
	;; [unrolled: 1-line block ×12, first 2 shown]
	v_add_nc_u64_e32 v[102:103], v[82:83], v[30:31]
	v_add_nc_u64_e32 v[104:105], v[86:87], v[30:31]
	;; [unrolled: 1-line block ×4, first 2 shown]
	s_clause 0x7
	global_load_b32 v91, v[100:101], off offset:2
	global_load_b32 v92, v[88:89], off offset:2
	;; [unrolled: 1-line block ×8, first 2 shown]
	s_wait_xcnt 0x4
	v_add_nc_u64_e32 v[82:83], v[108:109], v[30:31]
	v_add_nc_u64_e32 v[86:87], v[110:111], v[30:31]
	v_add_nc_u64_e32 v[88:89], v[112:113], v[30:31]
	s_clause 0x6
	global_load_b32 v100, v[84:85], off offset:2
	global_load_b32 v101, v[112:113], off offset:2
	;; [unrolled: 1-line block ×7, first 2 shown]
	s_wait_xcnt 0x6
	v_add_nc_u64_e32 v[84:85], v[84:85], v[30:31]
	s_wait_xcnt 0x2
	v_mad_nc_u64_u32 v[82:83], v32, 22, s[12:13]
	v_mad_nc_u64_u32 v[110:111], v56, 22, v[80:81]
	;; [unrolled: 1-line block ×6, first 2 shown]
	global_load_b32 v144, v[84:85], off offset:6
	v_add_nc_u64_e32 v[134:135], v[116:117], v[30:31]
	v_add_nc_u64_e32 v[136:137], v[118:119], v[30:31]
	;; [unrolled: 1-line block ×3, first 2 shown]
	v_mad_nc_u64_u32 v[126:127], v62, 22, v[82:83]
	v_add_nc_u64_e32 v[128:129], v[110:111], v[30:31]
	v_add_nc_u64_e32 v[130:131], v[112:113], v[30:31]
	;; [unrolled: 1-line block ×5, first 2 shown]
	s_clause 0x10
	global_load_u16 v108, v[126:127], off
	global_load_b32 v145, v[128:129], off offset:6
	global_load_b32 v146, v[130:131], off offset:6
	;; [unrolled: 1-line block ×14, first 2 shown]
	; meta instruction
	; meta instruction
	;; [unrolled: 1-line block ×15, first 2 shown]
	global_load_b32 v87, v[120:121], off offset:2
	global_load_b32 v89, v[118:119], off offset:2
	s_wait_loadcnt 0x1f
	v_dual_ashrrev_i32 v91, v30, v91 :: v_dual_ashrrev_i32 v92, v30, v92
	s_wait_loadcnt 0x1d
	v_dual_ashrrev_i32 v96, v30, v96 :: v_dual_ashrrev_i32 v99, v30, v99
	s_wait_loadcnt 0x1c
	s_wait_xcnt 0x8
	v_and_b32_e32 v110, 0xf0f0f0f, v98
	v_lshrrev_b32_e32 v98, 4, v98
	s_wait_loadcnt 0x1b
	v_and_b32_e32 v111, 0xf0f0f0f, v97
	v_lshrrev_b32_e32 v97, 4, v97
	s_wait_loadcnt 0x19
	v_and_b32_e32 v113, 0xf0f0f0f, v93
	s_wait_loadcnt 0x15
	v_dual_lshrrev_b32 v93, 4, v93 :: v_dual_ashrrev_i32 v107, v30, v107
	v_dual_ashrrev_i32 v103, v30, v103 :: v_dual_ashrrev_i32 v101, v30, v101
	s_wait_loadcnt 0x12
	v_and_b32_e32 v116, 0xf0f0f0f, v102
	v_dual_lshrrev_b32 v102, 4, v102 :: v_dual_ashrrev_i32 v100, v30, v100
	s_wait_xcnt 0x0
	v_dual_lshlrev_b32 v117, 4, v99 :: v_dual_lshlrev_b32 v118, 11, v99
	v_dual_lshlrev_b32 v119, 18, v99 :: v_dual_lshlrev_b32 v120, 25, v99
	v_dual_lshrrev_b32 v121, 12, v99 :: v_dual_lshrrev_b32 v122, 5, v99
	v_dual_lshlrev_b32 v123, 2, v99 :: v_dual_lshlrev_b32 v99, 9, v99
	v_dual_lshlrev_b32 v124, 4, v96 :: v_dual_lshlrev_b32 v125, 11, v96
	v_dual_lshlrev_b32 v126, 18, v96 :: v_dual_lshlrev_b32 v127, 25, v96
	v_dual_lshrrev_b32 v128, 12, v96 :: v_dual_lshrrev_b32 v129, 5, v96
	v_dual_lshlrev_b32 v130, 2, v96 :: v_dual_lshlrev_b32 v96, 9, v96
	;; [unrolled: 4-line block ×3, first 2 shown]
	v_lshlrev_b32_e32 v197, 4, v101
	v_and_b32_e32 v114, 0xf0f0f0f, v105
	v_lshrrev_b32_e32 v105, 4, v105
	v_and_b32_e32 v115, 0xf0f0f0f, v104
	v_lshrrev_b32_e32 v104, 4, v104
	v_and_b32_e32 v93, 0xf0f0f0f, v93
	v_dual_lshlrev_b32 v183, 4, v107 :: v_dual_lshlrev_b32 v184, 11, v107
	v_dual_lshlrev_b32 v185, 18, v107 :: v_dual_lshlrev_b32 v186, 25, v107
	v_dual_lshrrev_b32 v187, 12, v107 :: v_dual_lshrrev_b32 v188, 5, v107
	v_dual_lshlrev_b32 v189, 2, v107 :: v_dual_lshlrev_b32 v107, 9, v107
	v_dual_lshlrev_b32 v190, 4, v103 :: v_dual_lshlrev_b32 v191, 11, v103
	;; [unrolled: 1-line block ×3, first 2 shown]
	v_dual_lshrrev_b32 v194, 12, v103 :: v_dual_lshrrev_b32 v195, 5, v103
	v_dual_lshlrev_b32 v196, 2, v103 :: v_dual_lshlrev_b32 v103, 9, v103
	v_and_b32_e32 v182, 0x100000, v182
	v_and_b32_e32 v91, 0x10000000, v91
	;; [unrolled: 1-line block ×3, first 2 shown]
	v_lshrrev_b32_e32 v95, 4, v95
	v_and_b32_e32 v98, 0xf0f0f0f, v98
	v_and_b32_e32 v97, 0xf0f0f0f, v97
	v_dual_lshlrev_b32 v131, 4, v92 :: v_dual_lshlrev_b32 v132, 11, v92
	v_dual_lshlrev_b32 v133, 18, v92 :: v_dual_lshlrev_b32 v134, 25, v92
	v_dual_lshrrev_b32 v135, 12, v92 :: v_dual_lshrrev_b32 v136, 5, v92
	v_dual_lshlrev_b32 v137, 2, v92 :: v_dual_lshlrev_b32 v92, 9, v92
	v_dual_lshlrev_b32 v198, 11, v101 :: v_dual_lshlrev_b32 v199, 18, v101
	v_dual_lshlrev_b32 v200, 25, v101 :: v_dual_lshrrev_b32 v201, 12, v101
	v_dual_lshrrev_b32 v202, 5, v101 :: v_dual_lshlrev_b32 v203, 2, v101
	v_dual_lshlrev_b32 v101, 9, v101 :: v_dual_bitop2_b32 v124, 16, v124 bitop3:0x40
	v_and_b32_e32 v117, 16, v117
	v_and_b32_e32 v118, 0x1000, v118
	;; [unrolled: 1-line block ×22, first 2 shown]
	v_or3_b32 v91, v93, v182, v91
	v_and_b32_e32 v190, 16, v190
	v_and_b32_e32 v95, 0xf0f0f0f, v95
	;; [unrolled: 1-line block ×10, first 2 shown]
	v_or3_b32 v117, v117, v110, v118
	v_or3_b32 v118, v121, v98, v122
	;; [unrolled: 1-line block ×5, first 2 shown]
	v_and_b32_e32 v128, 16, v128
	v_or3_b32 v96, v97, v130, v96
	v_and_b32_e32 v131, 16, v131
	v_and_b32_e32 v195, 0x1000, v195
	;; [unrolled: 1-line block ×5, first 2 shown]
	v_or3_b32 v122, v187, v105, v188
	v_or3_b32 v105, v105, v189, v107
	;; [unrolled: 1-line block ×3, first 2 shown]
	v_dual_lshrrev_b32 v91, 16, v91 :: v_dual_bitop2_b32 v197, 16, v197 bitop3:0x40
	v_or3_b32 v107, v190, v115, v191
	v_or3_b32 v115, v115, v192, v193
	v_and_b32_e32 v194, 16, v194
	v_and_b32_e32 v136, 0x1000, v136
	;; [unrolled: 1-line block ×3, first 2 shown]
	v_or3_b32 v110, v110, v119, v120
	v_or3_b32 v92, v95, v137, v92
	v_dual_lshrrev_b32 v111, 16, v111 :: v_dual_bitop2_b32 v138, 16, v138 bitop3:0x40
	v_or3_b32 v119, v128, v97, v129
	v_lshrrev_b32_e32 v96, 16, v96
	v_or3_b32 v97, v131, v112, v132
	v_or3_b32 v112, v112, v133, v134
	v_and_b32_e32 v135, 16, v135
	v_and_b32_e32 v102, 0xf0f0f0f, v102
	v_and_b32_e32 v202, 0x1000, v202
	v_and_b32_e32 v203, 0x100000, v203
	v_and_b32_e32 v101, 0x10000000, v101
	v_lshrrev_b32_e32 v115, 16, v115
	v_or3_b32 v123, v194, v104, v195
	v_lshrrev_b32_e32 v103, 16, v103
	v_or3_b32 v104, v197, v116, v198
	v_or3_b32 v116, v116, v199, v200
	v_and_b32_e32 v201, 16, v201
	v_and_b32_e32 v140, 0x100000, v140
	v_and_b32_e32 v141, 0x10000000, v141
	v_lshrrev_b32_e32 v112, 16, v112
	v_or3_b32 v120, v135, v95, v136
	v_lshrrev_b32_e32 v92, 16, v92
	v_or3_b32 v95, v138, v113, v139
	v_or3_b32 v101, v102, v203, v101
	v_lshlrev_b16 v125, 8, v118
	v_lshrrev_b32_e32 v116, 16, v116
	v_or3_b32 v124, v201, v102, v202
	v_lshrrev_b32_e32 v102, 16, v110
	v_and_b32_e32 v110, 0x1f00, v117
	v_lshlrev_b16 v117, 8, v117
	v_lshlrev_b16 v126, 8, v99
	;; [unrolled: 1-line block ×3, first 2 shown]
	v_and_b32_e32 v143, 0x1000, v143
	v_or3_b32 v113, v113, v140, v141
	v_and_b32_e32 v142, 16, v142
	v_lshlrev_b16 v130, 8, v95
	v_add_nc_u16 v110, 0xf000, v110
	v_add_nc_u16 v117, 0xf000, v117
	v_and_b32_e32 v138, 0x1f00, v102
	v_lshlrev_b16 v102, 8, v102
	v_add_nc_u16 v125, 0xf000, v125
	v_add_nc_u16 v126, 0xf000, v126
	;; [unrolled: 1-line block ×3, first 2 shown]
	v_lshrrev_b32_e32 v113, 16, v113
	v_or3_b32 v121, v142, v93, v143
	v_add_nc_u16 v130, 0xf000, v130
	v_lshrrev_b32_e32 v98, 16, v98
	v_perm_b32 v110, v117, v110, 0xc0c0105
	v_add_nc_u16 v117, 0xf000, v138
	v_add_nc_u16 v102, 0xf000, v102
	v_lshrrev_b16 v125, 8, v125
	v_and_b32_e32 v127, 0x1f00, v119
	v_lshlrev_b16 v119, 8, v119
	v_lshrrev_b16 v126, 8, v126
	v_and_b32_e32 v129, 0x1f00, v120
	v_lshlrev_b16 v120, 8, v120
	v_lshrrev_b16 v128, 8, v128
	v_and_b32_e32 v183, 16, v183
	v_and_b32_e32 v184, 0x1000, v184
	v_and_b32_e32 v131, 0x1f00, v121
	v_lshlrev_b16 v121, 8, v121
	v_lshrrev_b16 v130, 8, v130
	v_and_b32_e32 v139, 0x1f00, v98
	v_lshlrev_b16 v98, 8, v98
	v_perm_b32 v102, v102, v117, 0xc0c0105
	v_bitop3_b16 v117, v118, v125, 0x1f00 bitop3:0xec
	v_and_b32_e32 v140, 0x1f00, v111
	v_lshlrev_b16 v111, 8, v111
	v_add_nc_u16 v127, 0xf000, v127
	v_add_nc_u16 v119, 0xf000, v119
	v_and_b32_e32 v141, 0x1f00, v96
	v_lshlrev_b16 v96, 8, v96
	v_bitop3_b16 v99, v99, v126, 0x1f00 bitop3:0xec
	v_and_b32_e32 v142, 0x1f00, v112
	v_lshlrev_b16 v112, 8, v112
	v_add_nc_u16 v129, 0xf000, v129
	v_add_nc_u16 v120, 0xf000, v120
	v_and_b32_e32 v143, 0x1f00, v92
	v_lshlrev_b16 v92, 8, v92
	v_bitop3_b16 v97, v97, v128, 0x1f00 bitop3:0xec
	v_or3_b32 v93, v183, v114, v184
	v_and_b32_e32 v182, 0x1f00, v113
	v_lshlrev_b16 v113, 8, v113
	v_add_nc_u16 v131, 0xf000, v131
	v_add_nc_u16 v121, 0xf000, v121
	v_and_b32_e32 v183, 0x1f00, v91
	v_lshlrev_b16 v91, 8, v91
	v_bitop3_b16 v95, v95, v130, 0x1f00 bitop3:0xec
	v_lshlrev_b16 v137, 8, v124
	v_add_nc_u16 v138, 0xf000, v139
	v_add_nc_u16 v98, 0xf000, v98
	v_lshl_or_b32 v102, v102, 16, v110
	v_add_nc_u16 v110, 0xf000, v117
	v_add_nc_u16 v139, 0xf000, v140
	v_add_nc_u16 v111, 0xf000, v111
	v_perm_b32 v119, v119, v127, 0xc0c0105
	v_add_nc_u16 v127, 0xf000, v141
	v_add_nc_u16 v96, 0xf000, v96
	v_add_nc_u16 v99, 0xf000, v99
	v_add_nc_u16 v140, 0xf000, v142
	v_add_nc_u16 v112, 0xf000, v112
	v_perm_b32 v120, v120, v129, 0xc0c0105
	v_add_nc_u16 v129, 0xf000, v143
	v_add_nc_u16 v92, 0xf000, v92
	;; [unrolled: 6-line block ×3, first 2 shown]
	v_add_nc_u16 v95, 0xf000, v95
	v_add_nc_u16 v137, 0xf000, v137
	v_perm_b32 v98, v98, v138, 0xc0c0105
	v_and_b32_e32 v110, 0xffff, v110
	v_perm_b32 v111, v111, v139, 0xc0c0105
	v_perm_b32 v96, v96, v127, 0xc0c0105
	v_and_b32_e32 v99, 0xffff, v99
	v_perm_b32 v112, v112, v140, 0xc0c0105
	;; [unrolled: 3-line block ×3, first 2 shown]
	v_perm_b32 v91, v91, v131, 0xc0c0105
	v_and_b32_e32 v95, 0xffff, v95
	v_and_b32_e32 v135, 0x1f00, v123
	v_lshlrev_b16 v123, 8, v123
	v_lshrrev_b32_e32 v101, 16, v101
	v_lshrrev_b16 v137, 8, v137
	v_lshl_or_b32 v98, v98, 16, v110
	v_lshl_or_b32 v96, v96, 16, v119
	;; [unrolled: 1-line block ×7, first 2 shown]
	v_add_nc_u16 v135, 0xf000, v135
	v_add_nc_u16 v123, 0xf000, v123
	v_and_b32_e32 v187, 0x1f00, v103
	v_lshlrev_b16 v103, 8, v103
	v_bitop3_b16 v118, v124, v137, 0x1f00 bitop3:0xec
	ds_store_2addr_b32 v43, v102, v98 offset1:1
	ds_store_2addr_b32 v45, v99, v96 offset1:1
	;; [unrolled: 1-line block ×4, first 2 shown]
	v_lshlrev_b32_e32 v95, 4, v100
	v_and_b32_e32 v189, 0x1f00, v101
	v_lshlrev_b16 v101, 8, v101
	v_perm_b32 v123, v123, v135, 0xc0c0105
	v_add_nc_u16 v135, 0xf000, v187
	v_add_nc_u16 v103, 0xf000, v103
	;; [unrolled: 1-line block ×5, first 2 shown]
	v_dual_lshlrev_b32 v98, 11, v100 :: v_dual_bitop2_b32 v95, 16, v95 bitop3:0x40
	v_dual_lshlrev_b32 v101, 18, v100 :: v_dual_lshlrev_b32 v102, 25, v100
	v_perm_b32 v103, v103, v135, 0xc0c0105
	s_wait_loadcnt 0x11
	v_and_b32_e32 v99, 0xf0f0f0f, v144
	v_and_b32_e32 v98, 0x1000, v98
	v_perm_b32 v92, v96, v92, 0xc0c0105
	v_and_b32_e32 v96, 0xffff, v97
	v_and_b32_e32 v97, 0x100000, v101
	;; [unrolled: 1-line block ×3, first 2 shown]
	v_or3_b32 v95, v95, v99, v98
	v_lshl_or_b32 v98, v103, 16, v123
	v_lshl_or_b32 v92, v92, 16, v96
	v_lshlrev_b32_e32 v102, 2, v100
	v_or3_b32 v96, v99, v97, v101
	v_lshrrev_b32_e32 v101, 12, v100
	v_lshrrev_b32_e32 v99, 4, v144
	v_dual_lshlrev_b32 v103, 9, v100 :: v_dual_lshrrev_b32 v100, 5, v100
	v_and_b32_e32 v102, 0x100000, v102
	s_delay_alu instid0(VALU_DEP_4) | instskip(NEXT) | instid1(VALU_DEP_4)
	v_and_b32_e32 v101, 16, v101
	v_and_b32_e32 v99, 0xf0f0f0f, v99
	s_delay_alu instid0(VALU_DEP_4)
	v_and_b32_e32 v103, 0x10000000, v103
	v_and_b32_e32 v100, 0x1000, v100
	;; [unrolled: 1-line block ×3, first 2 shown]
	v_lshlrev_b16 v95, 8, v95
	v_and_b32_e32 v136, 0x1f00, v104
	v_or3_b32 v102, v99, v102, v103
	v_lshrrev_b32_e32 v96, 16, v96
	v_or3_b32 v99, v101, v99, v100
	v_lshlrev_b16 v104, 8, v104
	v_add_nc_u16 v97, 0xf000, v97
	v_lshrrev_b32_e32 v101, 16, v102
	v_and_b32_e32 v100, 0x1f00, v96
	v_lshlrev_b16 v96, 8, v96
	v_add_nc_u16 v95, 0xf000, v95
	v_add_nc_u16 v136, 0xf000, v136
	v_add_nc_u16 v104, 0xf000, v104
	v_add_nc_u16 v100, 0xf000, v100
	v_add_nc_u16 v96, 0xf000, v96
	v_and_b32_e32 v188, 0x1f00, v116
	v_lshlrev_b16 v116, 8, v116
	v_lshlrev_b16 v102, 8, v99
	v_perm_b32 v95, v95, v97, 0xc0c0105
	v_perm_b32 v96, v96, v100, 0xc0c0105
	s_wait_loadcnt 0x8
	v_ashrrev_i32_e32 v100, v30, v181
	v_perm_b32 v104, v104, v136, 0xc0c0105
	v_add_nc_u16 v136, 0xf000, v188
	v_add_nc_u16 v116, 0xf000, v116
	v_and_b32_e32 v97, 0x1f00, v101
	v_add_nc_u16 v102, 0xf000, v102
	v_lshlrev_b16 v101, 8, v101
	v_lshl_or_b32 v95, v96, 16, v95
	v_lshlrev_b32_e32 v96, 4, v100
	v_perm_b32 v91, v116, v136, 0xc0c0105
	v_add_nc_u16 v97, 0xf000, v97
	v_lshrrev_b16 v102, 8, v102
	v_add_nc_u16 v101, 0xf000, v101
	v_and_b32_e32 v96, 16, v96
	v_lshlrev_b32_e32 v103, 11, v100
	v_lshl_or_b32 v91, v91, 16, v104
	v_bitop3_b16 v99, v99, v102, 0x1f00 bitop3:0xec
	v_perm_b32 v97, v101, v97, 0xc0c0105
	v_and_b32_e32 v101, 0xf0f0f0f, v145
	v_and_b32_e32 v102, 0x1000, v103
	v_dual_lshrrev_b32 v103, 4, v145 :: v_dual_lshrrev_b32 v104, 12, v100
	v_dual_lshrrev_b32 v110, 5, v100 :: v_dual_lshlrev_b32 v111, 25, v100
	v_lshlrev_b32_e32 v112, 2, v100
	s_delay_alu instid0(VALU_DEP_4)
	v_or3_b32 v96, v96, v101, v102
	v_lshlrev_b32_e32 v102, 18, v100
	v_and_b32_e32 v103, 0xf0f0f0f, v103
	v_and_b32_e32 v104, 16, v104
	;; [unrolled: 1-line block ×5, first 2 shown]
	v_lshlrev_b16 v132, 8, v93
	v_lshlrev_b16 v134, 8, v107
	v_and_b32_e32 v102, 0x100000, v102
	v_or3_b32 v104, v104, v103, v110
	v_and_b32_e32 v110, 0x10000000, v111
	v_or3_b32 v114, v114, v185, v186
	v_add_nc_u16 v132, 0xf000, v132
	v_add_nc_u16 v134, 0xf000, v134
	v_lshrrev_b32_e32 v105, 16, v105
	v_or3_b32 v101, v101, v102, v110
	v_and_b32_e32 v102, 0x1f00, v96
	v_lshlrev_b16 v96, 8, v96
	v_lshrrev_b32_e32 v114, 16, v114
	v_and_b32_e32 v133, 0x1f00, v122
	v_lshlrev_b16 v122, 8, v122
	v_lshrrev_b16 v132, 8, v132
	v_lshrrev_b16 v134, 8, v134
	v_lshlrev_b32_e32 v100, 9, v100
	v_add_nc_u16 v102, 0xf000, v102
	v_add_nc_u16 v96, 0xf000, v96
	v_and_b32_e32 v184, 0x1f00, v114
	v_lshlrev_b16 v114, 8, v114
	v_add_nc_u16 v133, 0xf000, v133
	v_add_nc_u16 v122, 0xf000, v122
	v_and_b32_e32 v185, 0x1f00, v105
	v_lshlrev_b16 v105, 8, v105
	v_bitop3_b16 v93, v93, v132, 0x1f00 bitop3:0xec
	v_and_b32_e32 v186, 0x1f00, v115
	v_lshlrev_b16 v115, 8, v115
	v_bitop3_b16 v107, v107, v134, 0x1f00 bitop3:0xec
	v_and_b32_e32 v111, 0x100000, v112
	v_lshlrev_b16 v112, 8, v104
	v_perm_b32 v96, v96, v102, 0xc0c0105
	v_ashrrev_i32_e32 v102, v30, v147
	v_and_b32_e32 v100, 0x10000000, v100
	v_add_nc_u16 v142, 0xf000, v184
	v_add_nc_u16 v114, 0xf000, v114
	v_perm_b32 v122, v122, v133, 0xc0c0105
	v_add_nc_u16 v133, 0xf000, v185
	v_add_nc_u16 v105, 0xf000, v105
	;; [unrolled: 1-line block ×7, first 2 shown]
	v_or3_b32 v100, v103, v111, v100
	v_add_nc_u16 v103, 0xf000, v112
	v_lshrrev_b32_e32 v101, 16, v101
	v_perm_b32 v114, v114, v142, 0xc0c0105
	v_perm_b32 v105, v105, v133, 0xc0c0105
	v_and_b32_e32 v93, 0xffff, v93
	v_perm_b32 v115, v115, v143, 0xc0c0105
	v_and_b32_e32 v107, 0xffff, v107
	v_and_b32_e32 v99, 0xffff, v99
	v_lshrrev_b16 v103, 8, v103
	v_and_b32_e32 v110, 0x1f00, v101
	v_lshlrev_b16 v101, 8, v101
	v_lshl_or_b32 v105, v105, 16, v122
	v_lshl_or_b32 v93, v114, 16, v93
	v_lshrrev_b32_e32 v100, 16, v100
	v_lshl_or_b32 v107, v115, 16, v107
	v_lshl_or_b32 v97, v97, 16, v99
	v_bitop3_b16 v103, v104, v103, 0x1f00 bitop3:0xec
	v_add_nc_u16 v104, 0xf000, v110
	v_add_nc_u16 v101, 0xf000, v101
	ds_store_2addr_b32 v51, v93, v105 offset1:1
	ds_store_2addr_b32 v55, v107, v98 offset1:1
	;; [unrolled: 1-line block ×4, first 2 shown]
	v_lshlrev_b32_e32 v92, 4, v102
	v_and_b32_e32 v111, 0x1f00, v100
	v_lshlrev_b16 v100, 8, v100
	v_perm_b32 v99, v101, v104, 0xc0c0105
	v_add_nc_u16 v103, 0xf000, v103
	v_lshlrev_b32_e32 v93, 18, v102
	v_add_nc_u16 v110, 0xf000, v111
	v_add_nc_u16 v100, 0xf000, v100
	v_lshl_or_b32 v91, v99, 16, v96
	v_lshlrev_b32_e32 v96, 25, v102
	v_and_b32_e32 v101, 0xffff, v103
	v_dual_lshlrev_b32 v97, 11, v102 :: v_dual_bitop2_b32 v92, 16, v92 bitop3:0x40
	v_perm_b32 v100, v100, v110, 0xc0c0105
	v_and_b32_e32 v98, 0xf0f0f0f, v146
	v_and_b32_e32 v93, 0x100000, v93
	v_and_b32_e32 v96, 0x10000000, v96
	v_and_b32_e32 v97, 0x1000, v97
	v_lshl_or_b32 v95, v100, 16, v101
	v_dual_lshrrev_b32 v100, 12, v102 :: v_dual_lshrrev_b32 v101, 5, v102
	v_lshrrev_b32_e32 v99, 4, v146
	v_or3_b32 v93, v98, v93, v96
	v_or3_b32 v92, v92, v98, v97
	s_delay_alu instid0(VALU_DEP_4)
	v_and_b32_e32 v96, 16, v100
	v_and_b32_e32 v97, 0x1000, v101
	;; [unrolled: 1-line block ×3, first 2 shown]
	v_dual_lshrrev_b32 v99, 16, v93 :: v_dual_lshlrev_b32 v93, 2, v102
	v_lshlrev_b32_e32 v100, 9, v102
	v_and_b32_e32 v101, 0x1f00, v92
	s_delay_alu instid0(VALU_DEP_4)
	v_or3_b32 v102, v96, v98, v97
	v_lshlrev_b16 v103, 8, v92
	v_and_b32_e32 v104, 0x100000, v93
	v_mad_nc_u64_u32 v[92:93], v70, 22, v[82:83]
	v_mad_nc_u64_u32 v[96:97], v74, 22, v[82:83]
	v_and_b32_e32 v100, 0x10000000, v100
	v_lshlrev_b16 v105, 8, v102
	v_mad_nc_u64_u32 v[82:83], v78, 22, v[82:83]
	v_add_nc_u16 v101, 0xf000, v101
	v_ashrrev_i32_e32 v94, v30, v94
	v_or3_b32 v98, v98, v104, v100
	v_add_nc_u16 v100, 0xf000, v103
	v_add_nc_u16 v103, 0xf000, v105
	v_and_b32_e32 v104, 0x1f00, v99
	global_load_u16 v92, v[92:93], off
	v_lshlrev_b16 v99, 8, v99
	s_wait_loadcnt 0x1
	v_ashrrev_i32_e32 v89, v30, v89
	s_wait_xcnt 0x0
	v_lshrrev_b16 v93, 8, v103
	s_clause 0x1
	global_load_u16 v103, v[96:97], off
	global_load_u16 v105, v[82:83], off
	s_wait_xcnt 0x1
	v_add_nc_u16 v96, 0xf000, v104
	v_add_nc_u16 v97, 0xf000, v99
	ds_store_2addr_b32 v61, v91, v95 offset1:1
	v_bitop3_b16 v93, v102, v93, 0x1f00 bitop3:0xec
	v_dual_ashrrev_i32 v87, v30, v87 :: v_dual_ashrrev_i32 v85, v30, v85
	v_perm_b32 v96, v97, v96, 0xc0c0105
	v_dual_ashrrev_i32 v97, v30, v109 :: v_dual_lshrrev_b32 v98, 16, v98
	s_delay_alu instid0(VALU_DEP_4) | instskip(SKIP_1) | instid1(VALU_DEP_3)
	v_add_nc_u16 v93, 0xf000, v93
	v_ashrrev_i32_e32 v81, v30, v81
	v_lshlrev_b32_e32 v91, 4, v97
	s_wait_xcnt 0x0
	v_and_b32_e32 v82, 0x1f00, v98
	v_lshlrev_b16 v83, 8, v98
	v_perm_b32 v98, v100, v101, 0xc0c0105
	v_dual_lshlrev_b32 v95, 11, v97 :: v_dual_bitop2_b32 v91, 16, v91 bitop3:0x40
	s_delay_alu instid0(VALU_DEP_4) | instskip(NEXT) | instid1(VALU_DEP_4)
	v_add_nc_u16 v82, 0xf000, v82
	v_add_nc_u16 v83, 0xf000, v83
	s_delay_alu instid0(VALU_DEP_4) | instskip(SKIP_2) | instid1(VALU_DEP_4)
	v_lshl_or_b32 v96, v96, 16, v98
	v_dual_lshlrev_b32 v98, 18, v97 :: v_dual_lshlrev_b32 v99, 25, v97
	v_and_b32_e32 v95, 0x1000, v95
	v_perm_b32 v82, v83, v82, 0xc0c0105
	v_and_b32_e32 v83, 0xffff, v93
	v_dual_lshrrev_b32 v100, 4, v106 :: v_dual_lshrrev_b32 v101, 12, v97
	v_lshrrev_b32_e32 v102, 5, v97
	v_and_b32_e32 v98, 0x100000, v98
	s_delay_alu instid0(VALU_DEP_4) | instskip(SKIP_4) | instid1(VALU_DEP_4)
	v_lshl_or_b32 v82, v82, 16, v83
	v_and_b32_e32 v83, 0xf0f0f0f, v106
	v_and_b32_e32 v99, 0x10000000, v99
	v_and_b32_e32 v100, 0xf0f0f0f, v100
	v_cvt_f32_f16_e32 v93, v108
	v_or3_b32 v91, v91, v83, v95
	v_lshlrev_b32_e32 v95, 2, v97
	v_and_b32_e32 v102, 0x1000, v102
	v_lshlrev_b32_e32 v97, 9, v97
	v_or3_b32 v83, v83, v98, v99
	v_and_b32_e32 v101, 16, v101
	v_and_b32_e32 v95, 0x100000, v95
	;; [unrolled: 1-line block ×4, first 2 shown]
	v_lshrrev_b32_e32 v83, 16, v83
	v_or3_b32 v98, v101, v100, v102
	v_lshlrev_b16 v91, 8, v91
	v_add_nc_u16 v99, 0xf000, v99
	v_or3_b32 v95, v100, v95, v97
	v_and_b32_e32 v97, 0x1f00, v83
	v_lshlrev_b16 v101, 8, v98
	v_lshlrev_b16 v83, 8, v83
	v_add_nc_u16 v91, 0xf000, v91
	v_lshrrev_b32_e32 v95, 16, v95
	v_add_nc_u16 v97, 0xf000, v97
	v_add_nc_u16 v100, 0xf000, v101
	;; [unrolled: 1-line block ×3, first 2 shown]
	v_perm_b32 v91, v91, v99, 0xc0c0105
	v_and_b32_e32 v99, 0x1f00, v95
	v_lshlrev_b16 v95, 8, v95
	v_lshrrev_b16 v100, 8, v100
	v_perm_b32 v83, v83, v97, 0xc0c0105
	s_delay_alu instid0(VALU_DEP_4) | instskip(NEXT) | instid1(VALU_DEP_4)
	v_add_nc_u16 v97, 0xf000, v99
	v_add_nc_u16 v95, 0xf000, v95
	s_delay_alu instid0(VALU_DEP_4) | instskip(NEXT) | instid1(VALU_DEP_4)
	v_bitop3_b16 v98, v98, v100, 0x1f00 bitop3:0xec
	v_lshl_or_b32 v83, v83, 16, v91
	v_lshlrev_b32_e32 v91, 4, v94
	s_delay_alu instid0(VALU_DEP_4) | instskip(NEXT) | instid1(VALU_DEP_4)
	v_perm_b32 v95, v95, v97, 0xc0c0105
	v_add_nc_u16 v98, 0xf000, v98
	s_delay_alu instid0(VALU_DEP_3) | instskip(SKIP_1) | instid1(VALU_DEP_3)
	v_dual_lshlrev_b32 v99, 11, v94 :: v_dual_bitop2_b32 v91, 16, v91 bitop3:0x40
	v_dual_lshlrev_b32 v100, 18, v94 :: v_dual_lshlrev_b32 v101, 25, v94
	v_and_b32_e32 v97, 0xffff, v98
	v_and_b32_e32 v98, 0xf0f0f0f, v90
	s_delay_alu instid0(VALU_DEP_4) | instskip(NEXT) | instid1(VALU_DEP_4)
	v_and_b32_e32 v99, 0x1000, v99
	v_and_b32_e32 v100, 0x100000, v100
	;; [unrolled: 1-line block ×3, first 2 shown]
	v_lshrrev_b32_e32 v90, 4, v90
	v_dual_lshrrev_b32 v102, 12, v94 :: v_dual_lshrrev_b32 v104, 5, v94
	v_or3_b32 v91, v91, v98, v99
	s_delay_alu instid0(VALU_DEP_4)
	v_or3_b32 v98, v98, v100, v101
	v_lshl_or_b32 v95, v95, 16, v97
	v_and_b32_e32 v90, 0xf0f0f0f, v90
	v_and_b32_e32 v102, 16, v102
	;; [unrolled: 1-line block ×3, first 2 shown]
	v_lshrrev_b32_e32 v98, 16, v98
	v_dual_lshlrev_b32 v99, 2, v94 :: v_dual_lshlrev_b32 v94, 9, v94
	v_and_b32_e32 v101, 0x1f00, v91
	v_lshlrev_b16 v91, 8, v91
	s_delay_alu instid0(VALU_DEP_4)
	v_and_b32_e32 v97, 0x1f00, v98
	v_lshlrev_b16 v98, 8, v98
	v_and_b32_e32 v99, 0x100000, v99
	v_and_b32_e32 v94, 0x10000000, v94
	v_add_nc_u16 v101, 0xf000, v101
	v_add_nc_u16 v97, 0xf000, v97
	v_add_nc_u16 v98, 0xf000, v98
	v_add_nc_u16 v91, 0xf000, v91
	ds_store_2addr_b32 v63, v96, v82 offset1:1
	ds_store_2addr_b32 v65, v83, v95 offset1:1
	v_dual_lshrrev_b32 v95, 12, v89 :: v_dual_lshrrev_b32 v96, 5, v89
	v_perm_b32 v97, v98, v97, 0xc0c0105
	v_lshlrev_b32_e32 v98, 4, v89
	v_or3_b32 v100, v102, v90, v104
	v_or3_b32 v90, v90, v99, v94
	v_perm_b32 v91, v91, v101, 0xc0c0105
	v_and_b32_e32 v95, 16, v95
	v_and_b32_e32 v98, 16, v98
	v_lshlrev_b16 v102, 8, v100
	v_lshrrev_b32_e32 v90, 16, v90
	v_lshl_or_b32 v82, v97, 16, v91
	v_lshlrev_b32_e32 v91, 18, v89
	v_and_b32_e32 v96, 0x1000, v96
	v_add_nc_u16 v94, 0xf000, v102
	v_and_b32_e32 v99, 0x1f00, v90
	v_lshlrev_b16 v90, 8, v90
	v_and_b32_e32 v91, 0x100000, v91
	v_lshlrev_b32_e32 v97, 2, v89
	v_lshrrev_b16 v94, 8, v94
	v_add_nc_u16 v99, 0xf000, v99
	v_add_nc_u16 v90, 0xf000, v90
	s_delay_alu instid0(VALU_DEP_3) | instskip(SKIP_1) | instid1(VALU_DEP_3)
	v_bitop3_b16 v94, v100, v94, 0x1f00 bitop3:0xec
	v_lshlrev_b32_e32 v100, 11, v89
	v_perm_b32 v90, v90, v99, 0xc0c0105
	v_and_b32_e32 v99, 0xf0f0f0f, v88
	v_lshrrev_b32_e32 v88, 4, v88
	v_add_nc_u16 v94, 0xf000, v94
	v_and_b32_e32 v100, 0x1000, v100
	s_delay_alu instid0(VALU_DEP_3) | instskip(NEXT) | instid1(VALU_DEP_3)
	v_and_b32_e32 v88, 0xf0f0f0f, v88
	v_and_b32_e32 v94, 0xffff, v94
	s_delay_alu instid0(VALU_DEP_2) | instskip(NEXT) | instid1(VALU_DEP_2)
	v_or3_b32 v95, v95, v88, v96
	v_lshl_or_b32 v83, v90, 16, v94
	v_lshlrev_b32_e32 v94, 25, v89
	v_or3_b32 v90, v98, v99, v100
	v_lshlrev_b32_e32 v89, 9, v89
	v_and_b32_e32 v96, 0x100000, v97
	v_lshlrev_b16 v97, 8, v95
	v_and_b32_e32 v94, 0x10000000, v94
	ds_store_2addr_b32 v67, v82, v83 offset1:1
	v_and_b32_e32 v89, 0x10000000, v89
	v_or3_b32 v91, v99, v91, v94
	v_and_b32_e32 v94, 0x1f00, v90
	v_lshlrev_b16 v90, 8, v90
	s_delay_alu instid0(VALU_DEP_4)
	v_or3_b32 v88, v88, v96, v89
	v_add_nc_u16 v96, 0xf000, v97
	v_lshrrev_b32_e32 v91, 16, v91
	v_add_nc_u16 v94, 0xf000, v94
	v_add_nc_u16 v89, 0xf000, v90
	v_lshrrev_b32_e32 v88, 16, v88
	v_and_b32_e32 v97, 0xf0f0f0f, v86
	v_and_b32_e32 v90, 0x1f00, v91
	v_lshlrev_b16 v91, 8, v91
	v_perm_b32 v89, v89, v94, 0xc0c0105
	v_lshrrev_b16 v94, 8, v96
	v_and_b32_e32 v96, 0x1f00, v88
	v_add_nc_u16 v90, 0xf000, v90
	v_add_nc_u16 v91, 0xf000, v91
	v_lshlrev_b16 v88, 8, v88
	v_bitop3_b16 v94, v95, v94, 0x1f00 bitop3:0xec
	v_dual_lshrrev_b32 v86, 4, v86 :: v_dual_lshlrev_b32 v98, 18, v87
	v_lshlrev_b32_e32 v99, 25, v87
	v_perm_b32 v90, v91, v90, 0xc0c0105
	v_add_nc_u16 v91, 0xf000, v96
	v_add_nc_u16 v88, 0xf000, v88
	;; [unrolled: 1-line block ×3, first 2 shown]
	v_dual_lshlrev_b32 v95, 4, v87 :: v_dual_lshlrev_b32 v96, 11, v87
	v_lshl_or_b32 v82, v90, 16, v89
	s_delay_alu instid0(VALU_DEP_4) | instskip(NEXT) | instid1(VALU_DEP_4)
	v_perm_b32 v88, v88, v91, 0xc0c0105
	v_and_b32_e32 v91, 0xffff, v94
	v_and_b32_e32 v94, 0x100000, v98
	;; [unrolled: 1-line block ×5, first 2 shown]
	v_lshl_or_b32 v83, v88, 16, v91
	v_lshlrev_b32_e32 v91, 2, v87
	v_or3_b32 v88, v97, v94, v98
	v_and_b32_e32 v95, 16, v95
	v_dual_lshlrev_b32 v94, 9, v87 :: v_dual_lshlrev_b32 v98, 11, v85
	s_delay_alu instid0(VALU_DEP_4) | instskip(NEXT) | instid1(VALU_DEP_4)
	v_and_b32_e32 v91, 0x100000, v91
	v_lshrrev_b32_e32 v88, 16, v88
	s_delay_alu instid0(VALU_DEP_4) | instskip(NEXT) | instid1(VALU_DEP_4)
	v_or3_b32 v95, v95, v97, v96
	v_and_b32_e32 v94, 0x10000000, v94
	v_and_b32_e32 v96, 0xf0f0f0f, v84
	v_dual_lshlrev_b32 v97, 4, v85 :: v_dual_lshrrev_b32 v84, 4, v84
	s_delay_alu instid0(VALU_DEP_4) | instskip(SKIP_3) | instid1(VALU_DEP_4)
	v_and_b32_e32 v89, 0x1f00, v95
	v_lshlrev_b16 v90, 8, v95
	v_dual_lshrrev_b32 v95, 12, v87 :: v_dual_lshrrev_b32 v87, 5, v87
	v_or3_b32 v91, v86, v91, v94
	v_add_nc_u16 v89, 0xf000, v89
	s_delay_alu instid0(VALU_DEP_4) | instskip(NEXT) | instid1(VALU_DEP_4)
	v_add_nc_u16 v90, 0xf000, v90
	v_and_b32_e32 v95, 16, v95
	v_and_b32_e32 v87, 0x1000, v87
	v_lshrrev_b32_e32 v91, 16, v91
	v_and_b32_e32 v84, 0xf0f0f0f, v84
	v_perm_b32 v89, v90, v89, 0xc0c0105
	s_delay_alu instid0(VALU_DEP_4)
	v_or3_b32 v86, v95, v86, v87
	v_and_b32_e32 v87, 0x1f00, v88
	v_lshlrev_b16 v88, 8, v88
	v_and_b32_e32 v94, 0x1f00, v91
	v_lshlrev_b32_e32 v95, 25, v85
	v_lshlrev_b16 v90, 8, v86
	v_add_nc_u16 v87, 0xf000, v87
	v_add_nc_u16 v88, 0xf000, v88
	s_delay_alu instid0(VALU_DEP_4) | instskip(NEXT) | instid1(VALU_DEP_4)
	v_and_b32_e32 v95, 0x10000000, v95
	v_add_nc_u16 v90, 0xf000, v90
	s_delay_alu instid0(VALU_DEP_3)
	v_perm_b32 v87, v88, v87, 0xc0c0105
	v_add_nc_u16 v88, 0xf000, v94
	v_lshlrev_b32_e32 v94, 18, v85
	v_lshlrev_b16 v91, 8, v91
	v_lshrrev_b16 v90, 8, v90
	v_lshl_or_b32 v87, v87, 16, v89
	s_delay_alu instid0(VALU_DEP_4) | instskip(NEXT) | instid1(VALU_DEP_4)
	v_and_b32_e32 v94, 0x100000, v94
	v_add_nc_u16 v91, 0xf000, v91
	s_delay_alu instid0(VALU_DEP_4) | instskip(NEXT) | instid1(VALU_DEP_3)
	v_bitop3_b16 v86, v86, v90, 0x1f00 bitop3:0xec
	v_or3_b32 v89, v96, v94, v95
	s_delay_alu instid0(VALU_DEP_3) | instskip(SKIP_1) | instid1(VALU_DEP_4)
	v_perm_b32 v88, v91, v88, 0xc0c0105
	v_dual_lshlrev_b32 v91, 2, v85 :: v_dual_lshlrev_b32 v94, 9, v85
	v_add_nc_u16 v86, 0xf000, v86
	s_delay_alu instid0(VALU_DEP_2) | instskip(NEXT) | instid1(VALU_DEP_3)
	v_and_b32_e32 v91, 0x100000, v91
	v_and_b32_e32 v94, 0x10000000, v94
	s_delay_alu instid0(VALU_DEP_3) | instskip(NEXT) | instid1(VALU_DEP_2)
	v_and_b32_e32 v86, 0xffff, v86
	v_or3_b32 v91, v84, v91, v94
	v_and_b32_e32 v90, 16, v97
	v_and_b32_e32 v97, 0x1000, v98
	s_delay_alu instid0(VALU_DEP_4) | instskip(NEXT) | instid1(VALU_DEP_4)
	v_lshl_or_b32 v86, v88, 16, v86
	v_lshrrev_b32_e32 v91, 16, v91
	s_delay_alu instid0(VALU_DEP_3) | instskip(SKIP_2) | instid1(VALU_DEP_3)
	v_or3_b32 v90, v90, v96, v97
	v_dual_lshrrev_b32 v96, 12, v85 :: v_dual_lshrrev_b32 v85, 5, v85
	v_lshrrev_b32_e32 v89, 16, v89
	v_and_b32_e32 v95, 0x1f00, v90
	v_lshlrev_b16 v90, 8, v90
	s_delay_alu instid0(VALU_DEP_4)
	v_and_b32_e32 v96, 16, v96
	v_and_b32_e32 v85, 0x1000, v85
	;; [unrolled: 1-line block ×3, first 2 shown]
	v_add_nc_u16 v95, 0xf000, v95
	v_add_nc_u16 v90, 0xf000, v90
	v_lshlrev_b16 v89, 8, v89
	v_or3_b32 v84, v96, v84, v85
	s_delay_alu instid0(VALU_DEP_3) | instskip(SKIP_1) | instid1(VALU_DEP_3)
	v_perm_b32 v85, v90, v95, 0xc0c0105
	v_add_nc_u16 v90, 0xf000, v94
	v_lshlrev_b16 v95, 8, v84
	v_add_nc_u16 v89, 0xf000, v89
	v_and_b32_e32 v94, 0x1f00, v91
	v_lshlrev_b16 v91, 8, v91
	s_delay_alu instid0(VALU_DEP_4) | instskip(NEXT) | instid1(VALU_DEP_4)
	v_add_nc_u16 v95, 0xf000, v95
	v_perm_b32 v89, v89, v90, 0xc0c0105
	v_lshlrev_b32_e32 v90, 4, v81
	v_add_nc_u16 v94, 0xf000, v94
	v_add_nc_u16 v91, 0xf000, v91
	v_lshrrev_b16 v95, 8, v95
	v_lshl_or_b32 v85, v89, 16, v85
	v_dual_lshlrev_b32 v96, 11, v81 :: v_dual_bitop2_b32 v90, 16, v90 bitop3:0x40
	s_delay_alu instid0(VALU_DEP_4)
	v_perm_b32 v91, v91, v94, 0xc0c0105
	v_and_b32_e32 v94, 0xf0f0f0f, v80
	v_bitop3_b16 v84, v84, v95, 0x1f00 bitop3:0xec
	v_dual_lshrrev_b32 v80, 4, v80 :: v_dual_lshrrev_b32 v95, 12, v81
	v_and_b32_e32 v96, 0x1000, v96
	v_dual_lshrrev_b32 v97, 5, v81 :: v_dual_lshlrev_b32 v98, 25, v81
	s_delay_alu instid0(VALU_DEP_3) | instskip(NEXT) | instid1(VALU_DEP_4)
	v_and_b32_e32 v80, 0xf0f0f0f, v80
	v_and_b32_e32 v95, 16, v95
	s_delay_alu instid0(VALU_DEP_4) | instskip(SKIP_4) | instid1(VALU_DEP_4)
	v_or3_b32 v90, v90, v94, v96
	v_lshlrev_b32_e32 v96, 18, v81
	v_and_b32_e32 v97, 0x1000, v97
	v_dual_lshlrev_b32 v99, 2, v81 :: v_dual_lshlrev_b32 v81, 9, v81
	v_add_nc_u16 v84, 0xf000, v84
	v_and_b32_e32 v96, 0x100000, v96
	s_delay_alu instid0(VALU_DEP_4)
	v_or3_b32 v95, v95, v80, v97
	v_and_b32_e32 v97, 0x10000000, v98
	v_and_b32_e32 v98, 0x100000, v99
	;; [unrolled: 1-line block ×4, first 2 shown]
	v_lshlrev_b16 v99, 8, v95
	v_or3_b32 v94, v94, v96, v97
	v_and_b32_e32 v96, 0x1f00, v90
	v_or3_b32 v80, v80, v98, v81
	v_lshlrev_b16 v81, 8, v90
	v_add_nc_u16 v90, 0xf000, v99
	v_lshrrev_b32_e32 v94, 16, v94
	v_add_nc_u16 v96, 0xf000, v96
	v_lshrrev_b32_e32 v80, 16, v80
	v_add_nc_u16 v81, 0xf000, v81
	v_lshrrev_b16 v90, 8, v90
	v_and_b32_e32 v97, 0x1f00, v94
	v_lshlrev_b16 v94, 8, v94
	v_and_b32_e32 v98, 0x1f00, v80
	v_lshlrev_b16 v80, 8, v80
	v_bitop3_b16 v90, v95, v90, 0x1f00 bitop3:0xec
	v_add_nc_u16 v95, 0xf000, v97
	v_add_nc_u16 v94, 0xf000, v94
	v_add_nc_u16 v97, 0xf000, v98
	v_add_nc_u16 v80, 0xf000, v80
	v_add_nc_u16 v90, 0xf000, v90
	v_perm_b32 v81, v81, v96, 0xc0c0105
	v_perm_b32 v94, v94, v95, 0xc0c0105
	v_lshl_or_b32 v84, v91, 16, v84
	v_perm_b32 v80, v80, v97, 0xc0c0105
	v_and_b32_e32 v90, 0xffff, v90
	ds_store_2addr_b32 v69, v82, v83 offset1:1
	ds_store_2addr_b32 v71, v87, v86 offset1:1
	;; [unrolled: 1-line block ×3, first 2 shown]
	v_lshl_or_b32 v81, v94, 16, v81
	s_wait_loadcnt 0x2
	v_cvt_f32_f16_e32 v82, v92
	v_lshl_or_b32 v80, v80, 16, v90
	ds_store_2addr_b32 v177, v81, v80 offset1:1
	s_wait_loadcnt 0x1
	v_cvt_f32_f16_e32 v80, v103
	s_wait_loadcnt 0x0
	v_cvt_f32_f16_e32 v81, v105
	ds_store_b32 v156, v93
	ds_store_b32 v158, v82
	;; [unrolled: 1-line block ×4, first 2 shown]
	s_cbranch_scc0 .LBB161_5
; %bb.7:                                ;   in Loop: Header=BB161_6 Depth=1
	v_dual_mov_b32 v101, v172 :: v_dual_add_nc_u32 v82, s10, v41
	v_dual_mov_b32 v134, v178 :: v_dual_add_nc_u32 v97, s10, v77
	s_mov_b32 s12, -4
	s_delay_alu instid0(VALU_DEP_2) | instskip(SKIP_2) | instid1(VALU_DEP_3)
	v_dual_mov_b32 v135, v179 :: v_dual_add_nc_u32 v80, v82, v79
	v_dual_mov_b32 v136, v163 :: v_dual_mov_b32 v137, v161
	v_mov_b32_e32 v138, v159
	v_mad_nc_i64_i32 v[80:81], v80, 36, v[52:53]
	v_mov_b32_e32 v139, v157
	global_load_b32 v80, v[80:81], off offset:4
	s_wait_loadcnt 0x0
	ds_store_b32 v171, v80
	v_add_nc_u32_e32 v80, v82, v148
	s_delay_alu instid0(VALU_DEP_1) | instskip(SKIP_4) | instid1(VALU_DEP_1)
	v_mad_nc_i64_i32 v[80:81], v80, 36, v[52:53]
	global_load_b32 v80, v[80:81], off offset:4
	s_wait_loadcnt 0x0
	ds_store_b32 v164, v80
	v_add_nc_u32_e32 v80, v82, v149
	v_mad_nc_i64_i32 v[80:81], v80, 36, v[52:53]
	global_load_b32 v80, v[80:81], off offset:4
	s_wait_loadcnt 0x0
	ds_store_b32 v165, v80
	v_add_nc_u32_e32 v80, v82, v150
	s_delay_alu instid0(VALU_DEP_1) | instskip(SKIP_4) | instid1(VALU_DEP_1)
	v_mad_nc_i64_i32 v[80:81], v80, 36, v[52:53]
	global_load_b32 v80, v[80:81], off offset:4
	s_wait_loadcnt 0x0
	ds_store_b32 v166, v80
	v_add_nc_u32_e32 v80, v82, v151
	v_mad_nc_i64_i32 v[80:81], v80, 36, v[52:53]
	global_load_b32 v80, v[80:81], off offset:4
	s_wait_loadcnt 0x0
	ds_store_b32 v167, v80
	v_add_nc_u32_e32 v80, v82, v152
	s_delay_alu instid0(VALU_DEP_1) | instskip(SKIP_4) | instid1(VALU_DEP_1)
	v_mad_nc_i64_i32 v[80:81], v80, 36, v[52:53]
	global_load_b32 v80, v[80:81], off offset:4
	s_wait_loadcnt 0x0
	ds_store_b32 v168, v80
	v_add_nc_u32_e32 v80, v82, v153
	v_mad_nc_i64_i32 v[80:81], v80, 36, v[52:53]
	global_load_b32 v80, v[80:81], off offset:4
	s_wait_loadcnt 0x0
	ds_store_b32 v169, v80
	v_add_nc_u32_e32 v80, v82, v154
	s_delay_alu instid0(VALU_DEP_1)
	v_mad_nc_i64_i32 v[80:81], v80, 36, v[52:53]
	global_load_b32 v80, v[80:81], off offset:4
	s_wait_loadcnt 0x0
	ds_store_b32 v170, v80
	v_mad_nc_u64_u32 v[80:81], v97, 36, s[2:3]
	global_load_b32 v80, v[80:81], off
	s_wait_loadcnt 0x0
	v_cvt_f32_f16_e32 v80, v80
	ds_store_b32 v75, v80
	s_wait_dscnt 0x0
	s_barrier_signal -1
	s_barrier_wait -1
.LBB161_8:                              ;   Parent Loop BB161_6 Depth=1
                                        ; =>  This Inner Loop Header: Depth=2
	ds_load_2addr_b32 v[88:89], v101 offset0:3 offset1:4
	ds_load_2addr_b32 v[98:99], v101 offset0:1 offset1:2
	;; [unrolled: 1-line block ×3, first 2 shown]
	ds_load_2addr_b32 v[90:91], v101 offset1:7
	ds_load_2addr_b32 v[80:81], v135 offset1:32
	v_add_nc_u32_e32 v84, 0x2080, v134
	ds_load_b32 v82, v136
	ds_load_2addr_b32 v[86:87], v134 offset1:1
	ds_load_2addr_b32 v[110:111], v134 offset0:2 offset1:3
	ds_load_2addr_b32 v[112:113], v134 offset0:4 offset1:5
	;; [unrolled: 1-line block ×3, first 2 shown]
	s_add_co_i32 s12, s12, 4
	ds_load_b32 v83, v137
	ds_load_2addr_b32 v[84:85], v84 offset1:1
	s_cmp_lt_u32 s12, 12
	v_dual_add_nc_u32 v137, 4, v137 :: v_dual_add_nc_u32 v136, 4, v136
	s_wait_dscnt 0xb
	v_dual_lshlrev_b32 v96, 16, v89 :: v_dual_lshlrev_b32 v100, 8, v89
	s_wait_dscnt 0xa
	v_dual_lshlrev_b32 v104, 16, v98 :: v_dual_lshlrev_b32 v105, 8, v98
	s_wait_dscnt 0x8
	v_bfe_i32 v132, v90, 0, 8
	v_bfe_i32 v133, v90, 8, 8
	v_perm_b32 v206, v96, v89, 0x7000c0c
	v_dual_lshlrev_b32 v106, 16, v102 :: v_dual_lshlrev_b32 v107, 8, v102
	s_wait_dscnt 0x0
	v_bfe_i32 v92, v84, 0, 8
	v_bfe_i32 v93, v84, 8, 8
	v_perm_b32 v96, v84, v84, 0xc0c0302
	v_ashrrev_i32_e32 v205, 24, v85
	v_perm_b32 v122, v85, v90, 0x5040302
	v_mul_i32_i24_e32 v92, v92, v132
	v_perm_b32 v89, v89, v100, 0xc0c0703
	v_or_b32_e32 v96, v206, v96
	v_perm_b32 v100, v104, v98, 0x7000c0c
	v_perm_b32 v98, v98, v105, 0xc0c0703
	v_mad_i32_i24 v121, v93, v133, v92
	v_add_nc_u32_e32 v92, 0x2088, v134
	v_dual_lshlrev_b32 v108, 16, v99 :: v_dual_lshlrev_b32 v109, 8, v99
	v_or_b32_e32 v207, v100, v89
	s_delay_alu instid0(VALU_DEP_4)
	v_dot4_i32_iu8 v96, v96, v122, v121 neg_lo:[1,1,0]
	ds_load_2addr_b32 v[118:119], v92 offset1:1
	v_add_nc_u32_e32 v92, 0x2090, v134
	v_perm_b32 v100, v106, v102, 0x7000c0c
	v_perm_b32 v209, v102, v107, 0xc0c0703
	;; [unrolled: 1-line block ×3, first 2 shown]
	v_dual_lshlrev_b32 v116, 16, v103 :: v_dual_lshlrev_b32 v117, 8, v103
	ds_load_2addr_b32 v[114:115], v92 offset1:1
	v_or_b32_e32 v208, v100, v98
	v_add_nc_u32_e32 v92, 0x2098, v134
	v_perm_b32 v211, v99, v109, 0xc0c0703
	v_perm_b32 v212, v116, v103, 0xc0c0700
	v_dual_lshlrev_b32 v120, 16, v88 :: v_dual_lshlrev_b32 v142, 8, v88
	ds_load_2addr_b32 v[92:93], v92 offset1:1
	v_perm_b32 v213, v103, v117, 0xc0c0703
	v_add_nc_u32_e32 v100, 0x4108, v134
	v_perm_b32 v214, v120, v88, 0xc0c0700
	v_add_nc_u32_e32 v98, 0x4100, v134
	v_add_nc_u32_e32 v106, 0x6188, v134
	s_wait_dscnt 0x2
	v_perm_b32 v121, v118, v85, 0x5040302
	v_add_nc_u32_e32 v102, 0x6180, v134
	v_perm_b32 v196, v87, v87, 0x2010003
	v_perm_b32 v197, v110, v110, 0x2010003
	;; [unrolled: 1-line block ×3, first 2 shown]
	v_dot4_i32_iu8 v89, v207, v121, v96 neg_lo:[1,1,0]
	v_perm_b32 v96, v119, v118, 0x5040302
	v_perm_b32 v199, v112, v112, 0x2010003
	;; [unrolled: 1-line block ×4, first 2 shown]
	v_dual_lshlrev_b32 v140, 16, v91 :: v_dual_lshlrev_b32 v141, 8, v91
	v_dot4_i32_iu8 v89, v208, v96, v89 neg_lo:[1,1,0]
	v_perm_b32 v96, v119, v119, 0xc0c0302
	v_perm_b32 v142, v88, v142, 0xc0c0703
	s_wait_dscnt 0x0
	v_perm_b32 v88, v92, v92, 0xc0c0302
	s_delay_alu instid0(VALU_DEP_3) | instskip(SKIP_1) | instid1(VALU_DEP_1)
	v_dot4_i32_iu8 v89, v209, v96, v89 neg_lo:[1,1,0]
	v_perm_b32 v96, v114, v114, 0xc0c0100
	v_dot4_i32_iu8 v89, v210, v96, v89 neg_lo:[1,1,0]
	v_perm_b32 v96, v114, v114, 0xc0c0302
	s_delay_alu instid0(VALU_DEP_1) | instskip(SKIP_1) | instid1(VALU_DEP_1)
	v_dot4_i32_iu8 v89, v211, v96, v89 neg_lo:[1,1,0]
	v_perm_b32 v96, v115, v115, 0xc0c0100
	v_dot4_i32_iu8 v89, v212, v96, v89 neg_lo:[1,1,0]
	v_perm_b32 v96, v115, v115, 0xc0c0302
	s_delay_alu instid0(VALU_DEP_1) | instskip(SKIP_1) | instid1(VALU_DEP_1)
	v_dot4_i32_iu8 v89, v213, v96, v89 neg_lo:[1,1,0]
	v_perm_b32 v96, v92, v92, 0xc0c0100
	v_dot4_i32_iu8 v89, v214, v96, v89 neg_lo:[1,1,0]
	ds_load_b32 v96, v138
	ds_load_2addr_b32 v[98:99], v98 offset1:1
	ds_load_2addr_b32 v[116:117], v100 offset1:1
	v_add_nc_u32_e32 v100, 0x4110, v134
	v_add_nc_u32_e32 v138, 4, v138
	v_dot4_i32_iu8 v88, v142, v88, v89 neg_lo:[1,1,0]
	v_perm_b32 v89, v91, v141, 0x7030c04
	v_perm_b32 v91, v140, v140, 0xc0c030c
	ds_load_2addr_b32 v[120:121], v100 offset1:1
	v_add_nc_u32_e32 v100, 0x4118, v134
	v_dual_mov_b32 v89, v80 :: v_dual_bitop2_b32 v91, v89, v91 bitop3:0x54
	ds_load_2addr_b32 v[104:105], v100 offset1:1
	ds_load_b32 v100, v139
	ds_load_2addr_b32 v[102:103], v102 offset1:1
	ds_load_2addr_b32 v[122:123], v106 offset1:1
	v_add_nc_u32_e32 v106, 0x6190, v134
	v_add_nc_u32_e32 v139, 4, v139
	s_wait_dscnt 0x6
	v_perm_b32 v189, v99, v90, 0x5040302
	ds_load_2addr_b32 v[124:125], v106 offset1:1
	v_add_nc_u32_e32 v106, 0x6198, v134
	v_add_nc_u32_e32 v134, 32, v134
	ds_load_2addr_b32 v[108:109], v106 offset1:1
	v_add_nc_u32_e32 v106, 0x40c, v101
	ds_load_2addr_b32 v[126:127], v106 offset1:1
	v_add_nc_u32_e32 v106, 0x404, v101
	s_wait_dscnt 0x3
	v_perm_b32 v190, v123, v123, 0x6010007
	ds_load_2addr_b32 v[128:129], v106 offset1:1
	v_add_nc_u32_e32 v106, 0x414, v101
	s_wait_dscnt 0x3
	v_perm_b32 v191, v124, v124, 0x2010003
	v_perm_b32 v192, v125, v125, 0x2010003
	ds_load_2addr_b32 v[130:131], v106 offset1:1
	v_add_nc_u32_e32 v106, 0x400, v101
	s_wait_dscnt 0x3
	v_perm_b32 v193, v108, v108, 0x2010003
	ds_load_2addr_b32 v[106:107], v106 offset1:7
	s_wait_dscnt 0x3
	v_dual_lshlrev_b32 v144, 16, v127 :: v_dual_lshlrev_b32 v145, 8, v127
	v_perm_b32 v127, v127, v127, 0xc0c0003
	v_dual_lshlrev_b32 v187, 16, v126 :: v_dual_lshlrev_b32 v188, 8, v126
	v_perm_b32 v126, v126, v126, 0xc0c0003
	s_wait_dscnt 0x2
	v_dual_lshlrev_b32 v146, 16, v128 :: v_dual_lshlrev_b32 v147, 8, v128
	v_perm_b32 v144, v145, v144, 0x7030c0c
	v_perm_b32 v128, v128, v128, 0xc0c0003
	v_dual_lshlrev_b32 v183, 16, v129 :: v_dual_lshlrev_b32 v184, 8, v129
	s_wait_dscnt 0x1
	v_dual_lshlrev_b32 v181, 16, v130 :: v_dual_lshlrev_b32 v182, 8, v130
	v_or_b32_e32 v127, v144, v127
	v_perm_b32 v145, v147, v146, 0x7030c0c
	v_perm_b32 v130, v130, v130, 0xc0c0003
	v_dual_lshlrev_b32 v185, 16, v131 :: v_dual_lshlrev_b32 v186, 8, v131
	s_wait_dscnt 0x0
	s_delay_alu instid0(VALU_DEP_3)
	v_dual_lshlrev_b32 v143, 16, v107 :: v_dual_bitop2_b32 v128, v145, v128 bitop3:0x54
	v_dot4_i32_iu8 v144, v127, v196, 0 neg_lo:[1,1,0]
	v_perm_b32 v145, v182, v181, 0x7030c0c
	v_perm_b32 v129, v129, v129, 0xc0c0003
	;; [unrolled: 1-line block ×4, first 2 shown]
	v_dot4_i32_iu8 v144, v128, v197, v144 neg_lo:[1,1,0]
	v_or_b32_e32 v130, v145, v130
	v_perm_b32 v145, v184, v183, 0x7030c0c
	v_perm_b32 v182, v85, v85, 0x2010003
	v_or_b32_e32 v146, v206, v146
	v_perm_b32 v183, v118, v118, 0x2010003
	v_dot4_i32_iu8 v144, v130, v198, v144 neg_lo:[1,1,0]
	v_or_b32_e32 v129, v145, v129
	v_perm_b32 v145, v186, v185, 0x7030c0c
	v_perm_b32 v184, v119, v119, 0x6010007
	;; [unrolled: 1-line block ×4, first 2 shown]
	v_dot4_i32_iu8 v144, v129, v199, v144 neg_lo:[1,1,0]
	v_or_b32_e32 v131, v145, v131
	v_perm_b32 v145, v188, v187, 0x7030c0c
	v_perm_b32 v187, v92, v92, 0x2010003
	;; [unrolled: 1-line block ×4, first 2 shown]
	v_dot4_i32_iu8 v144, v131, v200, v144 neg_lo:[1,1,0]
	v_or_b32_e32 v126, v145, v126
	v_bfe_i32 v145, v86, 8, 8
	s_delay_alu instid0(VALU_DEP_2) | instskip(SKIP_1) | instid1(VALU_DEP_1)
	v_dot4_i32_iu8 v188, v126, v201, v144 neg_lo:[1,1,0]
	v_bfe_i32 v144, v86, 0, 8
	v_mul_i32_i24_e32 v144, v144, v132
	s_delay_alu instid0(VALU_DEP_1) | instskip(SKIP_4) | instid1(VALU_DEP_4)
	v_mad_i32_i24 v144, v145, v133, v144
	v_perm_b32 v145, v87, v90, 0x5040302
	v_perm_b32 v87, v110, v87, 0x5040302
	;; [unrolled: 1-line block ×4, first 2 shown]
	v_dot4_i32_iu8 v144, v146, v145, v144 neg_lo:[1,1,0]
	v_perm_b32 v145, v117, v117, 0x6010007
	v_perm_b32 v146, v120, v120, 0x2010003
	s_delay_alu instid0(VALU_DEP_3) | instskip(SKIP_1) | instid1(VALU_DEP_2)
	v_dot4_i32_iu8 v87, v207, v87, v144 neg_lo:[1,1,0]
	v_perm_b32 v144, v116, v116, 0x2010003
	v_dot4_i32_iu8 v87, v208, v110, v87 neg_lo:[1,1,0]
	v_perm_b32 v110, v111, v111, 0xc0c0302
	s_delay_alu instid0(VALU_DEP_1) | instskip(SKIP_1) | instid1(VALU_DEP_1)
	v_dot4_i32_iu8 v87, v209, v110, v87 neg_lo:[1,1,0]
	v_perm_b32 v110, v112, v112, 0xc0c0100
	v_dot4_i32_iu8 v87, v210, v110, v87 neg_lo:[1,1,0]
	v_perm_b32 v110, v112, v112, 0xc0c0302
	s_delay_alu instid0(VALU_DEP_1) | instskip(SKIP_1) | instid1(VALU_DEP_1)
	v_dot4_i32_iu8 v87, v211, v110, v87 neg_lo:[1,1,0]
	v_perm_b32 v110, v113, v113, 0xc0c0100
	v_dot4_i32_iu8 v87, v212, v110, v87 neg_lo:[1,1,0]
	v_perm_b32 v110, v113, v113, 0xc0c0302
	v_bfe_i32 v113, v98, 8, 8
	s_delay_alu instid0(VALU_DEP_2) | instskip(SKIP_2) | instid1(VALU_DEP_2)
	v_dot4_i32_iu8 v87, v213, v110, v87 neg_lo:[1,1,0]
	v_perm_b32 v110, v94, v94, 0xc0c0100
	v_perm_b32 v94, v94, v94, 0xc0c0302
	v_dot4_i32_iu8 v195, v214, v110, v87 neg_lo:[1,1,0]
	v_dot4_i32_iu8 v87, v127, v182, 0 neg_lo:[1,1,0]
	v_pk_mul_f32 v[110:111], v[82:83], v[80:81] op_sel_hi:[0,1]
	s_delay_alu instid0(VALU_DEP_3) | instskip(NEXT) | instid1(VALU_DEP_3)
	v_dot4_i32_iu8 v94, v142, v94, v195 neg_lo:[1,1,0]
	v_dot4_i32_iu8 v87, v128, v183, v87 neg_lo:[1,1,0]
	s_delay_alu instid0(VALU_DEP_2) | instskip(NEXT) | instid1(VALU_DEP_2)
	v_dot4_i32_iu8 v94, v91, v95, v94 neg_lo:[1,1,0]
	v_dot4_i32_iu8 v87, v130, v184, v87 neg_lo:[1,1,0]
	s_delay_alu instid0(VALU_DEP_2) | instskip(NEXT) | instid1(VALU_DEP_2)
	v_cvt_f32_i32_e32 v94, v94
	v_dot4_i32_iu8 v87, v129, v185, v87 neg_lo:[1,1,0]
	s_delay_alu instid0(VALU_DEP_1) | instskip(NEXT) | instid1(VALU_DEP_1)
	v_dot4_i32_iu8 v87, v131, v186, v87 neg_lo:[1,1,0]
	v_dot4_i32_iu8 v194, v126, v187, v87 neg_lo:[1,1,0]
	v_perm_b32 v87, v99, v99, 0x2010003
	v_perm_b32 v99, v116, v99, 0x5040302
	s_delay_alu instid0(VALU_DEP_2) | instskip(NEXT) | instid1(VALU_DEP_1)
	v_dot4_i32_iu8 v112, v127, v87, 0 neg_lo:[1,1,0]
	v_dot4_i32_iu8 v112, v128, v144, v112 neg_lo:[1,1,0]
	s_delay_alu instid0(VALU_DEP_1) | instskip(NEXT) | instid1(VALU_DEP_1)
	v_dot4_i32_iu8 v112, v130, v145, v112 neg_lo:[1,1,0]
	v_dot4_i32_iu8 v112, v129, v146, v112 neg_lo:[1,1,0]
	s_delay_alu instid0(VALU_DEP_1) | instskip(NEXT) | instid1(VALU_DEP_1)
	v_dot4_i32_iu8 v112, v131, v147, v112 neg_lo:[1,1,0]
	v_dot4_i32_iu8 v202, v126, v181, v112 neg_lo:[1,1,0]
	v_bfe_i32 v112, v98, 0, 8
	s_delay_alu instid0(VALU_DEP_1) | instskip(NEXT) | instid1(VALU_DEP_1)
	v_mul_i32_i24_e32 v112, v112, v132
	v_mad_i32_i24 v112, v113, v133, v112
	v_perm_b32 v113, v98, v98, 0xc0c0302
	s_delay_alu instid0(VALU_DEP_1) | instskip(NEXT) | instid1(VALU_DEP_1)
	v_or_b32_e32 v113, v206, v113
	v_dot4_i32_iu8 v112, v113, v189, v112 neg_lo:[1,1,0]
	v_perm_b32 v189, v122, v122, 0x2010003
	s_delay_alu instid0(VALU_DEP_2) | instskip(SKIP_1) | instid1(VALU_DEP_1)
	v_dot4_i32_iu8 v99, v207, v99, v112 neg_lo:[1,1,0]
	v_perm_b32 v112, v117, v116, 0x5040302
	v_dot4_i32_iu8 v99, v208, v112, v99 neg_lo:[1,1,0]
	v_perm_b32 v112, v117, v117, 0xc0c0302
	v_bfe_i32 v117, v102, 8, 8
	s_delay_alu instid0(VALU_DEP_2) | instskip(SKIP_1) | instid1(VALU_DEP_1)
	v_dot4_i32_iu8 v99, v209, v112, v99 neg_lo:[1,1,0]
	v_perm_b32 v112, v120, v120, 0xc0c0100
	v_dot4_i32_iu8 v99, v210, v112, v99 neg_lo:[1,1,0]
	v_perm_b32 v112, v120, v120, 0xc0c0302
	s_delay_alu instid0(VALU_DEP_1) | instskip(SKIP_1) | instid1(VALU_DEP_1)
	v_dot4_i32_iu8 v99, v211, v112, v99 neg_lo:[1,1,0]
	v_perm_b32 v112, v121, v121, 0xc0c0100
	v_dot4_i32_iu8 v99, v212, v112, v99 neg_lo:[1,1,0]
	v_perm_b32 v112, v121, v121, 0xc0c0302
	s_delay_alu instid0(VALU_DEP_1) | instskip(SKIP_1) | instid1(VALU_DEP_1)
	v_dot4_i32_iu8 v99, v213, v112, v99 neg_lo:[1,1,0]
	v_perm_b32 v112, v104, v104, 0xc0c0100
	v_dot4_i32_iu8 v203, v214, v112, v99 neg_lo:[1,1,0]
	v_perm_b32 v99, v103, v103, 0x2010003
	v_perm_b32 v103, v122, v103, 0x5040302
	v_pk_mul_f32 v[112:113], v[96:97], v[80:81] op_sel_hi:[0,1]
	s_delay_alu instid0(VALU_DEP_3) | instskip(NEXT) | instid1(VALU_DEP_1)
	v_dot4_i32_iu8 v116, v127, v99, 0 neg_lo:[1,1,0]
	v_dot4_i32_iu8 v116, v128, v189, v116 neg_lo:[1,1,0]
	s_delay_alu instid0(VALU_DEP_1) | instskip(NEXT) | instid1(VALU_DEP_1)
	v_dot4_i32_iu8 v116, v130, v190, v116 neg_lo:[1,1,0]
	v_dot4_i32_iu8 v116, v129, v191, v116 neg_lo:[1,1,0]
	s_delay_alu instid0(VALU_DEP_1) | instskip(NEXT) | instid1(VALU_DEP_1)
	v_dot4_i32_iu8 v116, v131, v192, v116 neg_lo:[1,1,0]
	v_dot4_i32_iu8 v204, v126, v193, v116 neg_lo:[1,1,0]
	v_bfe_i32 v116, v102, 0, 8
	s_delay_alu instid0(VALU_DEP_1) | instskip(NEXT) | instid1(VALU_DEP_1)
	v_mul_i32_i24_e32 v116, v116, v132
	v_mad_i32_i24 v116, v117, v133, v116
	v_perm_b32 v117, v102, v102, 0xc0c0302
	s_delay_alu instid0(VALU_DEP_1) | instskip(NEXT) | instid1(VALU_DEP_1)
	v_or_b32_e32 v117, v206, v117
	v_dot4_i32_iu8 v90, v117, v90, v116 neg_lo:[1,1,0]
	v_pk_mul_f32 v[116:117], v[100:101], v[80:81] op_sel_hi:[0,1]
	s_delay_alu instid0(VALU_DEP_2) | instskip(SKIP_1) | instid1(VALU_DEP_1)
	v_dot4_i32_iu8 v90, v207, v103, v90 neg_lo:[1,1,0]
	v_perm_b32 v103, v123, v122, 0x5040302
	v_dot4_i32_iu8 v90, v208, v103, v90 neg_lo:[1,1,0]
	v_perm_b32 v103, v123, v123, 0xc0c0302
	s_delay_alu instid0(VALU_DEP_1) | instskip(SKIP_1) | instid1(VALU_DEP_1)
	v_dot4_i32_iu8 v90, v209, v103, v90 neg_lo:[1,1,0]
	v_perm_b32 v103, v124, v124, 0xc0c0100
	v_dot4_i32_iu8 v90, v210, v103, v90 neg_lo:[1,1,0]
	v_perm_b32 v103, v124, v124, 0xc0c0302
	s_delay_alu instid0(VALU_DEP_1) | instskip(SKIP_1) | instid1(VALU_DEP_1)
	;; [unrolled: 5-line block ×3, first 2 shown]
	v_dot4_i32_iu8 v90, v213, v103, v90 neg_lo:[1,1,0]
	v_perm_b32 v103, v108, v108, 0xc0c0100
	v_dot4_i32_iu8 v90, v214, v103, v90 neg_lo:[1,1,0]
	v_add_nc_u32_e32 v103, 0x80c, v101
	ds_load_2addr_b32 v[124:125], v103 offset1:1
	v_add_nc_u32_e32 v103, 0x804, v101
	ds_load_2addr_b32 v[126:127], v103 offset1:1
	;; [unrolled: 2-line block ×4, first 2 shown]
	ds_load_2addr_b32 v[122:123], v135 offset0:64 offset1:96
	s_wait_dscnt 0x4
	v_dual_lshlrev_b32 v103, 16, v125 :: v_dual_lshlrev_b32 v130, 8, v125
	v_perm_b32 v125, v125, v125, 0xc0c0003
	v_dual_lshlrev_b32 v211, 16, v124 :: v_dual_lshlrev_b32 v212, 8, v124
	v_perm_b32 v124, v124, v124, 0xc0c0003
	s_wait_dscnt 0x3
	v_dual_lshlrev_b32 v131, 16, v126 :: v_dual_lshlrev_b32 v132, 8, v126
	v_perm_b32 v103, v130, v103, 0x7030c0c
	v_perm_b32 v126, v126, v126, 0xc0c0003
	v_dual_lshlrev_b32 v207, 16, v127 :: v_dual_lshlrev_b32 v208, 8, v127
	s_wait_dscnt 0x2
	v_dual_lshlrev_b32 v133, 16, v128 :: v_dual_lshlrev_b32 v206, 8, v128
	v_or_b32_e32 v125, v103, v125
	v_perm_b32 v130, v132, v131, 0x7030c0c
	v_perm_b32 v128, v128, v128, 0xc0c0003
	s_wait_dscnt 0x1
	v_lshlrev_b32_e32 v213, 16, v121
	v_dual_lshlrev_b32 v209, 16, v129 :: v_dual_lshlrev_b32 v210, 8, v129
	v_dot4_i32_iu8 v103, v125, v196, 0 neg_lo:[1,1,0]
	v_or_b32_e32 v126, v130, v126
	v_perm_b32 v130, v206, v133, 0x7030c0c
	v_perm_b32 v127, v127, v127, 0xc0c0003
	;; [unrolled: 1-line block ×3, first 2 shown]
	s_delay_alu instid0(VALU_DEP_4) | instskip(NEXT) | instid1(VALU_DEP_4)
	v_dot4_i32_iu8 v103, v126, v197, v103 neg_lo:[1,1,0]
	v_or_b32_e32 v128, v130, v128
	v_perm_b32 v130, v208, v207, 0x7030c0c
	s_delay_alu instid0(VALU_DEP_2) | instskip(NEXT) | instid1(VALU_DEP_2)
	v_dot4_i32_iu8 v103, v128, v198, v103 neg_lo:[1,1,0]
	v_or_b32_e32 v127, v130, v127
	v_perm_b32 v130, v210, v209, 0x7030c0c
	s_delay_alu instid0(VALU_DEP_2) | instskip(NEXT) | instid1(VALU_DEP_2)
	;; [unrolled: 4-line block ×3, first 2 shown]
	v_dot4_i32_iu8 v103, v129, v200, v103 neg_lo:[1,1,0]
	v_or_b32_e32 v124, v130, v124
	v_dot4_i32_iu8 v130, v125, v87, 0 neg_lo:[1,1,0]
	s_delay_alu instid0(VALU_DEP_2) | instskip(SKIP_2) | instid1(VALU_DEP_4)
	v_dot4_i32_iu8 v132, v124, v201, v103 neg_lo:[1,1,0]
	v_dot4_i32_iu8 v103, v125, v182, 0 neg_lo:[1,1,0]
	;; [unrolled: 1-line block ×4, first 2 shown]
	s_delay_alu instid0(VALU_DEP_3) | instskip(NEXT) | instid1(VALU_DEP_3)
	v_dot4_i32_iu8 v103, v126, v183, v103 neg_lo:[1,1,0]
	v_dot4_i32_iu8 v125, v126, v189, v125 neg_lo:[1,1,0]
	s_delay_alu instid0(VALU_DEP_3) | instskip(NEXT) | instid1(VALU_DEP_3)
	v_dot4_i32_iu8 v130, v128, v145, v130 neg_lo:[1,1,0]
	v_dot4_i32_iu8 v103, v128, v184, v103 neg_lo:[1,1,0]
	;; [unrolled: 3-line block ×7, first 2 shown]
	v_add_nc_u32_e32 v124, 0xc0c, v101
	ds_load_2addr_b32 v[126:127], v124 offset1:1
	v_add_nc_u32_e32 v124, 0xc04, v101
	ds_load_2addr_b32 v[128:129], v124 offset1:1
	;; [unrolled: 2-line block ×4, first 2 shown]
	s_wait_dscnt 0x3
	v_dual_lshlrev_b32 v206, 16, v127 :: v_dual_lshlrev_b32 v207, 8, v127
	v_perm_b32 v127, v127, v127, 0xc0c0003
	v_dual_lshlrev_b32 v218, 16, v126 :: v_dual_lshlrev_b32 v219, 8, v126
	v_perm_b32 v126, v126, v126, 0xc0c0003
	s_wait_dscnt 0x2
	v_dual_lshlrev_b32 v208, 16, v128 :: v_dual_lshlrev_b32 v209, 8, v128
	v_perm_b32 v206, v207, v206, 0x7030c0c
	v_perm_b32 v128, v128, v128, 0xc0c0003
	v_dual_lshlrev_b32 v214, 16, v129 :: v_dual_lshlrev_b32 v215, 8, v129
	s_wait_dscnt 0x1
	v_dual_lshlrev_b32 v216, 16, v131 :: v_dual_lshlrev_b32 v211, 16, v130
	v_dual_lshlrev_b32 v212, 8, v130 :: v_dual_bitop2_b32 v221, v206, v127 bitop3:0x54
	v_perm_b32 v206, v209, v208, 0x7030c0c
	v_perm_b32 v130, v130, v130, 0xc0c0003
	v_lshlrev_b32_e32 v217, 8, v131
	v_perm_b32 v129, v129, v129, 0xc0c0003
	s_wait_dscnt 0x0
	v_dual_lshlrev_b32 v220, 16, v125 :: v_dual_bitop2_b32 v222, v206, v128 bitop3:0x54
	v_perm_b32 v128, v212, v211, 0x7030c0c
	v_dot4_i32_iu8 v127, v221, v196, 0 neg_lo:[1,1,0]
	v_perm_b32 v206, v95, v95, 0x2010003
	s_delay_alu instid0(VALU_DEP_3) | instskip(SKIP_1) | instid1(VALU_DEP_1)
	v_or_b32_e32 v130, v128, v130
	v_perm_b32 v128, v215, v214, 0x7030c0c
	v_or_b32_e32 v211, v128, v129
	v_perm_b32 v128, v217, v216, 0x7030c0c
	v_perm_b32 v129, v131, v131, 0xc0c0003
	s_delay_alu instid0(VALU_DEP_1) | instskip(SKIP_1) | instid1(VALU_DEP_1)
	v_or_b32_e32 v131, v128, v129
	v_perm_b32 v128, v219, v218, 0x7030c0c
	v_dual_lshlrev_b32 v128, 8, v125 :: v_dual_bitop2_b32 v212, v128, v126 bitop3:0x54
	v_dot4_i32_iu8 v127, v222, v197, v127 neg_lo:[1,1,0]
	v_perm_b32 v125, v125, v125, 0xc0c0003
	s_delay_alu instid0(VALU_DEP_3) | instskip(NEXT) | instid1(VALU_DEP_3)
	v_perm_b32 v128, v128, v220, 0x7030c0c
	v_dot4_i32_iu8 v127, v130, v198, v127 neg_lo:[1,1,0]
	s_delay_alu instid0(VALU_DEP_2) | instskip(NEXT) | instid1(VALU_DEP_2)
	v_or_b32_e32 v207, v128, v125
	v_dot4_i32_iu8 v127, v211, v199, v127 neg_lo:[1,1,0]
	s_delay_alu instid0(VALU_DEP_1) | instskip(NEXT) | instid1(VALU_DEP_1)
	v_dot4_i32_iu8 v127, v131, v200, v127 neg_lo:[1,1,0]
	v_dot4_i32_iu8 v126, v212, v201, v127 neg_lo:[1,1,0]
	v_lshlrev_b32_e32 v127, 8, v121
	v_perm_b32 v121, v121, v121, 0xc0c0003
	s_delay_alu instid0(VALU_DEP_3) | instskip(NEXT) | instid1(VALU_DEP_3)
	v_dot4_i32_iu8 v125, v207, v206, v126 neg_lo:[1,1,0]
	v_perm_b32 v126, v127, v213, 0x7030c0c
	s_delay_alu instid0(VALU_DEP_2) | instskip(NEXT) | instid1(VALU_DEP_2)
	v_dot4_i32_iu8 v125, v86, v124, v125 neg_lo:[1,1,0]
	v_or_b32_e32 v208, v126, v121
	v_pk_mul_f32 v[126:127], v[82:83], v[122:123] op_sel_hi:[0,1]
	s_delay_alu instid0(VALU_DEP_3) | instskip(NEXT) | instid1(VALU_DEP_3)
	v_cvt_f32_i32_e32 v129, v125
	v_dot4_i32_iu8 v121, v208, v206, v132 neg_lo:[1,1,0]
	s_delay_alu instid0(VALU_DEP_1) | instskip(NEXT) | instid1(VALU_DEP_1)
	v_dot4_i32_iu8 v121, v86, v120, v121 neg_lo:[1,1,0]
	v_cvt_f32_i32_e32 v128, v121
	v_dot4_i32_iu8 v121, v221, v182, 0 neg_lo:[1,1,0]
	s_delay_alu instid0(VALU_DEP_2) | instskip(NEXT) | instid1(VALU_DEP_2)
	v_pk_fma_f32 v[26:27], v[126:127], v[128:129], v[26:27]
	v_dot4_i32_iu8 v121, v222, v183, v121 neg_lo:[1,1,0]
	s_delay_alu instid0(VALU_DEP_1) | instskip(NEXT) | instid1(VALU_DEP_1)
	v_dot4_i32_iu8 v121, v130, v184, v121 neg_lo:[1,1,0]
	v_dot4_i32_iu8 v121, v211, v185, v121 neg_lo:[1,1,0]
	s_delay_alu instid0(VALU_DEP_1) | instskip(NEXT) | instid1(VALU_DEP_1)
	v_dot4_i32_iu8 v121, v131, v186, v121 neg_lo:[1,1,0]
	v_dot4_i32_iu8 v209, v212, v187, v121 neg_lo:[1,1,0]
	;; [unrolled: 1-line block ×3, first 2 shown]
	s_delay_alu instid0(VALU_DEP_1) | instskip(NEXT) | instid1(VALU_DEP_1)
	v_dot4_i32_iu8 v121, v222, v144, v121 neg_lo:[1,1,0]
	v_dot4_i32_iu8 v121, v130, v145, v121 neg_lo:[1,1,0]
	s_delay_alu instid0(VALU_DEP_1) | instskip(NEXT) | instid1(VALU_DEP_1)
	v_dot4_i32_iu8 v121, v211, v146, v121 neg_lo:[1,1,0]
	v_dot4_i32_iu8 v121, v131, v147, v121 neg_lo:[1,1,0]
	s_delay_alu instid0(VALU_DEP_1) | instskip(SKIP_1) | instid1(VALU_DEP_1)
	v_dot4_i32_iu8 v125, v212, v181, v121 neg_lo:[1,1,0]
	v_perm_b32 v121, v105, v105, 0x2010003
	v_dot4_i32_iu8 v125, v207, v121, v125 neg_lo:[1,1,0]
	v_dot4_i32_iu8 v126, v208, v121, v133 neg_lo:[1,1,0]
	s_delay_alu instid0(VALU_DEP_2) | instskip(NEXT) | instid1(VALU_DEP_2)
	v_dot4_i32_iu8 v125, v98, v124, v125 neg_lo:[1,1,0]
	v_dot4_i32_iu8 v128, v98, v120, v126 neg_lo:[1,1,0]
	v_pk_mul_f32 v[126:127], v[96:97], v[122:123] op_sel_hi:[0,1]
	s_delay_alu instid0(VALU_DEP_3) | instskip(SKIP_1) | instid1(VALU_DEP_4)
	v_cvt_f32_i32_e32 v129, v125
	v_dot4_i32_iu8 v125, v221, v99, 0 neg_lo:[1,1,0]
	v_cvt_f32_i32_e32 v128, v128
	s_delay_alu instid0(VALU_DEP_2) | instskip(NEXT) | instid1(VALU_DEP_2)
	v_dot4_i32_iu8 v125, v222, v189, v125 neg_lo:[1,1,0]
	v_pk_fma_f32 v[22:23], v[126:127], v[128:129], v[22:23]
	s_delay_alu instid0(VALU_DEP_2) | instskip(NEXT) | instid1(VALU_DEP_1)
	v_dot4_i32_iu8 v125, v130, v190, v125 neg_lo:[1,1,0]
	v_dot4_i32_iu8 v125, v211, v191, v125 neg_lo:[1,1,0]
	s_delay_alu instid0(VALU_DEP_1) | instskip(NEXT) | instid1(VALU_DEP_1)
	v_dot4_i32_iu8 v125, v131, v192, v125 neg_lo:[1,1,0]
	v_dot4_i32_iu8 v126, v212, v193, v125 neg_lo:[1,1,0]
	v_perm_b32 v125, v109, v109, 0x2010003
	s_delay_alu instid0(VALU_DEP_1) | instskip(SKIP_1) | instid1(VALU_DEP_2)
	v_dot4_i32_iu8 v126, v207, v125, v126 neg_lo:[1,1,0]
	v_dot4_i32_iu8 v127, v208, v125, v210 neg_lo:[1,1,0]
	;; [unrolled: 1-line block ×3, first 2 shown]
	s_delay_alu instid0(VALU_DEP_2) | instskip(SKIP_1) | instid1(VALU_DEP_3)
	v_dot4_i32_iu8 v128, v102, v120, v127 neg_lo:[1,1,0]
	v_pk_mul_f32 v[126:127], v[100:101], v[122:123] op_sel_hi:[0,1]
	v_cvt_f32_i32_e32 v129, v129
	s_delay_alu instid0(VALU_DEP_3) | instskip(NEXT) | instid1(VALU_DEP_1)
	v_cvt_f32_i32_e32 v128, v128
	v_pk_fma_f32 v[20:21], v[126:127], v[128:129], v[20:21]
	v_add_nc_u32_e32 v126, 0x100c, v101
	ds_load_2addr_b32 v[130:131], v126 offset1:1
	v_add_nc_u32_e32 v126, 0x1004, v101
	ds_load_2addr_b32 v[132:133], v126 offset1:1
	v_add_nc_u32_e32 v126, 0x1014, v101
	ds_load_2addr_b32 v[210:211], v126 offset1:1
	v_add_nc_u32_e32 v126, 0x1000, v101
	ds_load_2addr_b32 v[126:127], v126 offset1:7
	ds_load_2addr_b32 v[128:129], v135 offset0:128 offset1:160
	s_wait_dscnt 0x4
	v_dual_lshlrev_b32 v212, 16, v131 :: v_dual_lshlrev_b32 v213, 8, v131
	v_perm_b32 v131, v131, v131, 0xc0c0003
	v_dual_lshlrev_b32 v222, 16, v130 :: v_dual_lshlrev_b32 v223, 8, v130
	v_perm_b32 v130, v130, v130, 0xc0c0003
	s_wait_dscnt 0x3
	v_dual_lshlrev_b32 v214, 16, v132 :: v_dual_lshlrev_b32 v215, 8, v132
	v_perm_b32 v212, v213, v212, 0x7030c0c
	v_perm_b32 v132, v132, v132, 0xc0c0003
	v_dual_lshlrev_b32 v218, 16, v133 :: v_dual_lshlrev_b32 v219, 8, v133
	s_wait_dscnt 0x2
	v_dual_lshlrev_b32 v216, 16, v210 :: v_dual_lshlrev_b32 v217, 8, v210
	v_or_b32_e32 v131, v212, v131
	v_perm_b32 v213, v215, v214, 0x7030c0c
	v_perm_b32 v210, v210, v210, 0xc0c0003
	s_wait_dscnt 0x1
	v_lshlrev_b32_e32 v224, 16, v127
	v_dual_lshlrev_b32 v220, 16, v211 :: v_dual_lshlrev_b32 v221, 8, v211
	v_dot4_i32_iu8 v212, v131, v196, 0 neg_lo:[1,1,0]
	v_or_b32_e32 v132, v213, v132
	v_perm_b32 v213, v217, v216, 0x7030c0c
	v_perm_b32 v133, v133, v133, 0xc0c0003
	;; [unrolled: 1-line block ×3, first 2 shown]
	s_delay_alu instid0(VALU_DEP_4) | instskip(NEXT) | instid1(VALU_DEP_4)
	v_dot4_i32_iu8 v212, v132, v197, v212 neg_lo:[1,1,0]
	v_or_b32_e32 v210, v213, v210
	v_perm_b32 v213, v219, v218, 0x7030c0c
	s_delay_alu instid0(VALU_DEP_2) | instskip(NEXT) | instid1(VALU_DEP_2)
	v_dot4_i32_iu8 v212, v210, v198, v212 neg_lo:[1,1,0]
	v_or_b32_e32 v133, v213, v133
	v_perm_b32 v213, v221, v220, 0x7030c0c
	s_delay_alu instid0(VALU_DEP_2) | instskip(NEXT) | instid1(VALU_DEP_2)
	;; [unrolled: 4-line block ×3, first 2 shown]
	v_dot4_i32_iu8 v212, v211, v200, v212 neg_lo:[1,1,0]
	v_or_b32_e32 v130, v213, v130
	s_delay_alu instid0(VALU_DEP_1) | instskip(SKIP_1) | instid1(VALU_DEP_1)
	v_dot4_i32_iu8 v214, v130, v201, v212 neg_lo:[1,1,0]
	v_dot4_i32_iu8 v212, v131, v182, 0 neg_lo:[1,1,0]
	;; [unrolled: 1-line block ×3, first 2 shown]
	s_delay_alu instid0(VALU_DEP_1) | instskip(NEXT) | instid1(VALU_DEP_1)
	v_dot4_i32_iu8 v212, v210, v184, v212 neg_lo:[1,1,0]
	v_dot4_i32_iu8 v212, v133, v185, v212 neg_lo:[1,1,0]
	s_delay_alu instid0(VALU_DEP_1) | instskip(NEXT) | instid1(VALU_DEP_1)
	v_dot4_i32_iu8 v212, v211, v186, v212 neg_lo:[1,1,0]
	v_dot4_i32_iu8 v218, v130, v187, v212 neg_lo:[1,1,0]
	;; [unrolled: 1-line block ×4, first 2 shown]
	s_delay_alu instid0(VALU_DEP_2) | instskip(NEXT) | instid1(VALU_DEP_2)
	v_dot4_i32_iu8 v212, v132, v144, v212 neg_lo:[1,1,0]
	v_dot4_i32_iu8 v131, v132, v189, v131 neg_lo:[1,1,0]
	s_delay_alu instid0(VALU_DEP_2) | instskip(NEXT) | instid1(VALU_DEP_2)
	v_dot4_i32_iu8 v212, v210, v145, v212 neg_lo:[1,1,0]
	v_dot4_i32_iu8 v131, v210, v190, v131 neg_lo:[1,1,0]
	;; [unrolled: 3-line block ×5, first 2 shown]
	v_add_nc_u32_e32 v130, 0x140c, v101
	ds_load_2addr_b32 v[132:133], v130 offset1:1
	v_add_nc_u32_e32 v130, 0x1404, v101
	ds_load_2addr_b32 v[210:211], v130 offset1:1
	;; [unrolled: 2-line block ×4, first 2 shown]
	s_wait_dscnt 0x3
	v_dual_lshlrev_b32 v217, 16, v133 :: v_dual_lshlrev_b32 v219, 8, v133
	v_perm_b32 v133, v133, v133, 0xc0c0003
	v_dual_lshlrev_b32 v229, 16, v132 :: v_dual_lshlrev_b32 v230, 8, v132
	v_perm_b32 v132, v132, v132, 0xc0c0003
	s_wait_dscnt 0x2
	v_dual_lshlrev_b32 v220, 16, v210 :: v_dual_lshlrev_b32 v221, 8, v210
	v_perm_b32 v217, v219, v217, 0x7030c0c
	v_perm_b32 v210, v210, v210, 0xc0c0003
	v_dual_lshlrev_b32 v225, 16, v211 :: v_dual_lshlrev_b32 v226, 8, v211
	s_wait_dscnt 0x1
	v_dual_lshlrev_b32 v227, 16, v213 :: v_dual_lshlrev_b32 v222, 16, v212
	v_lshlrev_b32_e32 v223, 8, v212
	v_perm_b32 v219, v221, v220, 0x7030c0c
	v_perm_b32 v212, v212, v212, 0xc0c0003
	v_lshlrev_b32_e32 v228, 8, v213
	v_perm_b32 v211, v211, v211, 0xc0c0003
	v_or_b32_e32 v217, v217, v133
	v_or_b32_e32 v219, v219, v210
	v_perm_b32 v210, v223, v222, 0x7030c0c
	s_wait_dscnt 0x0
	v_lshlrev_b32_e32 v231, 16, v131
	v_dot4_i32_iu8 v133, v217, v196, 0 neg_lo:[1,1,0]
	s_delay_alu instid0(VALU_DEP_3) | instskip(SKIP_1) | instid1(VALU_DEP_1)
	v_or_b32_e32 v212, v210, v212
	v_perm_b32 v210, v226, v225, 0x7030c0c
	v_or_b32_e32 v220, v210, v211
	v_perm_b32 v210, v228, v227, 0x7030c0c
	v_perm_b32 v211, v213, v213, 0xc0c0003
	s_delay_alu instid0(VALU_DEP_1) | instskip(SKIP_1) | instid1(VALU_DEP_1)
	v_or_b32_e32 v213, v210, v211
	v_perm_b32 v210, v230, v229, 0x7030c0c
	v_dual_lshlrev_b32 v210, 8, v131 :: v_dual_bitop2_b32 v221, v210, v132 bitop3:0x54
	v_dot4_i32_iu8 v133, v219, v197, v133 neg_lo:[1,1,0]
	v_perm_b32 v131, v131, v131, 0xc0c0003
	s_delay_alu instid0(VALU_DEP_3) | instskip(NEXT) | instid1(VALU_DEP_3)
	v_perm_b32 v210, v210, v231, 0x7030c0c
	v_dot4_i32_iu8 v133, v212, v198, v133 neg_lo:[1,1,0]
	s_delay_alu instid0(VALU_DEP_2) | instskip(NEXT) | instid1(VALU_DEP_2)
	v_or_b32_e32 v131, v210, v131
	v_dot4_i32_iu8 v133, v220, v199, v133 neg_lo:[1,1,0]
	s_delay_alu instid0(VALU_DEP_1) | instskip(NEXT) | instid1(VALU_DEP_1)
	v_dot4_i32_iu8 v133, v213, v200, v133 neg_lo:[1,1,0]
	v_dot4_i32_iu8 v132, v221, v201, v133 neg_lo:[1,1,0]
	v_lshlrev_b32_e32 v133, 8, v127
	v_perm_b32 v127, v127, v127, 0xc0c0003
	s_delay_alu instid0(VALU_DEP_3) | instskip(NEXT) | instid1(VALU_DEP_3)
	v_dot4_i32_iu8 v132, v131, v206, v132 neg_lo:[1,1,0]
	v_perm_b32 v133, v133, v224, 0x7030c0c
	s_delay_alu instid0(VALU_DEP_2) | instskip(NEXT) | instid1(VALU_DEP_2)
	v_dot4_i32_iu8 v211, v86, v130, v132 neg_lo:[1,1,0]
	v_or_b32_e32 v127, v133, v127
	s_delay_alu instid0(VALU_DEP_2) | instskip(NEXT) | instid1(VALU_DEP_2)
	v_cvt_f32_i32_e32 v211, v211
	v_dot4_i32_iu8 v133, v127, v206, v214 neg_lo:[1,1,0]
	s_delay_alu instid0(VALU_DEP_1) | instskip(SKIP_1) | instid1(VALU_DEP_2)
	v_dot4_i32_iu8 v210, v86, v126, v133 neg_lo:[1,1,0]
	v_pk_mul_f32 v[132:133], v[82:83], v[128:129] op_sel_hi:[0,1]
	v_cvt_f32_i32_e32 v210, v210
	s_delay_alu instid0(VALU_DEP_1) | instskip(SKIP_2) | instid1(VALU_DEP_2)
	v_pk_fma_f32 v[18:19], v[132:133], v[210:211], v[18:19]
	v_dot4_i32_iu8 v132, v217, v182, 0 neg_lo:[1,1,0]
	v_dot4_i32_iu8 v133, v127, v121, v215 neg_lo:[1,1,0]
	v_dot4_i32_iu8 v132, v219, v183, v132 neg_lo:[1,1,0]
	s_delay_alu instid0(VALU_DEP_2) | instskip(NEXT) | instid1(VALU_DEP_2)
	v_dot4_i32_iu8 v210, v98, v126, v133 neg_lo:[1,1,0]
	v_dot4_i32_iu8 v132, v212, v184, v132 neg_lo:[1,1,0]
	s_delay_alu instid0(VALU_DEP_2) | instskip(NEXT) | instid1(VALU_DEP_2)
	v_cvt_f32_i32_e32 v210, v210
	v_dot4_i32_iu8 v132, v220, v185, v132 neg_lo:[1,1,0]
	s_delay_alu instid0(VALU_DEP_1) | instskip(NEXT) | instid1(VALU_DEP_1)
	v_dot4_i32_iu8 v132, v213, v186, v132 neg_lo:[1,1,0]
	v_dot4_i32_iu8 v222, v221, v187, v132 neg_lo:[1,1,0]
	;; [unrolled: 1-line block ×3, first 2 shown]
	s_delay_alu instid0(VALU_DEP_1) | instskip(NEXT) | instid1(VALU_DEP_1)
	v_dot4_i32_iu8 v132, v219, v144, v132 neg_lo:[1,1,0]
	v_dot4_i32_iu8 v132, v212, v145, v132 neg_lo:[1,1,0]
	s_delay_alu instid0(VALU_DEP_1) | instskip(NEXT) | instid1(VALU_DEP_1)
	v_dot4_i32_iu8 v132, v220, v146, v132 neg_lo:[1,1,0]
	v_dot4_i32_iu8 v132, v213, v147, v132 neg_lo:[1,1,0]
	;; [unrolled: 3-line block ×3, first 2 shown]
	s_delay_alu instid0(VALU_DEP_1) | instskip(SKIP_1) | instid1(VALU_DEP_2)
	v_dot4_i32_iu8 v211, v98, v130, v132 neg_lo:[1,1,0]
	v_pk_mul_f32 v[132:133], v[96:97], v[128:129] op_sel_hi:[0,1]
	v_cvt_f32_i32_e32 v211, v211
	s_delay_alu instid0(VALU_DEP_1) | instskip(SKIP_2) | instid1(VALU_DEP_2)
	v_pk_fma_f32 v[14:15], v[132:133], v[210:211], v[14:15]
	v_dot4_i32_iu8 v132, v217, v99, 0 neg_lo:[1,1,0]
	v_dot4_i32_iu8 v133, v127, v125, v216 neg_lo:[1,1,0]
	;; [unrolled: 1-line block ×3, first 2 shown]
	s_delay_alu instid0(VALU_DEP_2) | instskip(NEXT) | instid1(VALU_DEP_2)
	v_dot4_i32_iu8 v210, v102, v126, v133 neg_lo:[1,1,0]
	v_dot4_i32_iu8 v132, v212, v190, v132 neg_lo:[1,1,0]
	s_delay_alu instid0(VALU_DEP_2) | instskip(NEXT) | instid1(VALU_DEP_2)
	v_cvt_f32_i32_e32 v210, v210
	v_dot4_i32_iu8 v132, v220, v191, v132 neg_lo:[1,1,0]
	s_delay_alu instid0(VALU_DEP_1) | instskip(NEXT) | instid1(VALU_DEP_1)
	v_dot4_i32_iu8 v132, v213, v192, v132 neg_lo:[1,1,0]
	v_dot4_i32_iu8 v132, v221, v193, v132 neg_lo:[1,1,0]
	s_delay_alu instid0(VALU_DEP_1) | instskip(NEXT) | instid1(VALU_DEP_1)
	v_dot4_i32_iu8 v132, v131, v125, v132 neg_lo:[1,1,0]
	v_dot4_i32_iu8 v211, v102, v130, v132 neg_lo:[1,1,0]
	v_pk_mul_f32 v[132:133], v[100:101], v[128:129] op_sel_hi:[0,1]
	s_delay_alu instid0(VALU_DEP_2) | instskip(NEXT) | instid1(VALU_DEP_1)
	v_cvt_f32_i32_e32 v211, v211
	v_pk_fma_f32 v[12:13], v[132:133], v[210:211], v[12:13]
	v_add_nc_u32_e32 v132, 0x180c, v101
	ds_load_2addr_b32 v[210:211], v132 offset1:1
	v_add_nc_u32_e32 v132, 0x1804, v101
	ds_load_2addr_b32 v[212:213], v132 offset1:1
	;; [unrolled: 2-line block ×4, first 2 shown]
	ds_load_2addr_b32 v[216:217], v135 offset0:192 offset1:224
	v_add_nc_u32_e32 v135, 4, v135
	s_wait_dscnt 0x4
	v_dual_lshlrev_b32 v219, 16, v211 :: v_dual_lshlrev_b32 v220, 8, v211
	v_ashrrev_i32_e32 v221, 24, v211
	v_perm_b32 v235, v211, v211, 0xc0c0003
	v_lshlrev_b32_e32 v231, 16, v210
	s_delay_alu instid0(VALU_DEP_4)
	v_perm_b32 v211, v219, v211, 0xc0c0700
	s_wait_dscnt 0x3
	v_lshlrev_b32_e32 v223, 16, v212
	v_perm_b32 v234, v220, v219, 0x7030c0c
	v_mul_i32_i24_e32 v205, v221, v205
	v_perm_b32 v219, v85, v85, 0xc0c0100
	v_lshlrev_b32_e32 v224, 8, v212
	v_perm_b32 v237, v212, v212, 0xc0c0003
	v_perm_b32 v85, v118, v85, 0x5040702
	s_wait_dscnt 0x2
	v_lshlrev_b32_e32 v225, 16, v214
	v_dot4_i32_iu8 v205, v211, v219, v205 neg_lo:[1,1,0]
	v_perm_b32 v211, v223, v212, 0x700030c
	v_perm_b32 v212, v220, v220, 0xc0c0c03
	;; [unrolled: 1-line block ×3, first 2 shown]
	v_dual_lshlrev_b32 v226, 8, v214 :: v_dual_lshlrev_b32 v227, 16, v213
	v_dual_lshlrev_b32 v228, 8, v213 :: v_dual_lshlrev_b32 v229, 16, v215
	s_delay_alu instid0(VALU_DEP_4) | instskip(SKIP_3) | instid1(VALU_DEP_4)
	v_dual_lshlrev_b32 v230, 8, v215 :: v_dual_bitop2_b32 v211, v211, v212 bitop3:0x54
	v_or_b32_e32 v234, v234, v235
	v_perm_b32 v236, v224, v223, 0x7030c0c
	v_perm_b32 v238, v214, v214, 0xc0c0003
	v_dot4_i32_iu8 v85, v211, v85, v205 neg_lo:[1,1,0]
	v_perm_b32 v205, v119, v119, 0x504030c
	v_perm_b32 v211, v224, v224, 0xc0c0c03
	v_or_b32_e32 v236, v236, v237
	v_perm_b32 v237, v226, v225, 0x7030c0c
	v_perm_b32 v239, v213, v213, 0xc0c0003
	v_or_b32_e32 v118, v205, v118
	v_perm_b32 v205, v225, v214, 0x700030c
	s_wait_dscnt 0x1
	v_dual_lshlrev_b32 v232, 8, v210 :: v_dual_lshlrev_b32 v233, 16, v133
	v_or_b32_e32 v237, v237, v238
	v_perm_b32 v238, v228, v227, 0x7030c0c
	v_or_b32_e32 v205, v205, v211
	v_perm_b32 v240, v215, v215, 0xc0c0003
	v_perm_b32 v241, v210, v210, 0xc0c0003
	v_add_nc_u32_e32 v212, 0x1c00, v101
	v_or_b32_e32 v238, v238, v239
	v_dot4_i32_iu8 v85, v205, v118, v85 neg_lo:[1,1,0]
	v_perm_b32 v118, v114, v119, 0x5040702
	v_perm_b32 v119, v227, v213, 0x700030c
	v_perm_b32 v205, v226, v226, 0xc0c0c03
	v_perm_b32 v114, v115, v114, 0x5040702
	v_perm_b32 v239, v230, v229, 0x7030c0c
	s_delay_alu instid0(VALU_DEP_3) | instskip(NEXT) | instid1(VALU_DEP_2)
	v_or_b32_e32 v119, v119, v205
	v_or_b32_e32 v239, v239, v240
	v_perm_b32 v240, v232, v231, 0x7030c0c
	s_delay_alu instid0(VALU_DEP_3) | instskip(SKIP_2) | instid1(VALU_DEP_4)
	v_dot4_i32_iu8 v85, v119, v118, v85 neg_lo:[1,1,0]
	v_perm_b32 v118, v229, v215, 0x700030c
	v_perm_b32 v119, v228, v228, 0xc0c0c03
	v_or_b32_e32 v240, v240, v241
	s_delay_alu instid0(VALU_DEP_2) | instskip(NEXT) | instid1(VALU_DEP_1)
	v_or_b32_e32 v118, v118, v119
	v_dot4_i32_iu8 v85, v118, v114, v85 neg_lo:[1,1,0]
	v_perm_b32 v114, v92, v115, 0x5040702
	v_perm_b32 v115, v231, v210, 0x700030c
	;; [unrolled: 1-line block ×3, first 2 shown]
	v_add_nc_u32_e32 v210, 0x1c14, v101
	s_delay_alu instid0(VALU_DEP_2) | instskip(SKIP_1) | instid1(VALU_DEP_2)
	v_or_b32_e32 v115, v115, v118
	v_add_nc_u32_e32 v118, 0x1c04, v101
	v_dot4_i32_iu8 v85, v115, v114, v85 neg_lo:[1,1,0]
	v_dot4_i32_iu8 v114, v234, v87, 0 neg_lo:[1,1,0]
	s_delay_alu instid0(VALU_DEP_1) | instskip(NEXT) | instid1(VALU_DEP_1)
	v_dot4_i32_iu8 v114, v236, v144, v114 neg_lo:[1,1,0]
	v_dot4_i32_iu8 v114, v237, v145, v114 neg_lo:[1,1,0]
	s_delay_alu instid0(VALU_DEP_1) | instskip(NEXT) | instid1(VALU_DEP_1)
	v_dot4_i32_iu8 v114, v238, v146, v114 neg_lo:[1,1,0]
	v_dot4_i32_iu8 v114, v239, v147, v114 neg_lo:[1,1,0]
	s_delay_alu instid0(VALU_DEP_1) | instskip(SKIP_1) | instid1(VALU_DEP_1)
	v_dot4_i32_iu8 v205, v240, v181, v114 neg_lo:[1,1,0]
	v_dot4_i32_iu8 v114, v234, v99, 0 neg_lo:[1,1,0]
	;; [unrolled: 1-line block ×3, first 2 shown]
	s_delay_alu instid0(VALU_DEP_1) | instskip(NEXT) | instid1(VALU_DEP_1)
	v_dot4_i32_iu8 v114, v237, v190, v114 neg_lo:[1,1,0]
	v_dot4_i32_iu8 v114, v238, v191, v114 neg_lo:[1,1,0]
	s_delay_alu instid0(VALU_DEP_1) | instskip(NEXT) | instid1(VALU_DEP_1)
	v_dot4_i32_iu8 v114, v239, v192, v114 neg_lo:[1,1,0]
	v_dot4_i32_iu8 v214, v240, v193, v114 neg_lo:[1,1,0]
	v_add_nc_u32_e32 v114, 0x1c0c, v101
	ds_load_2addr_b32 v[114:115], v114 offset1:1
	ds_load_2addr_b32 v[118:119], v118 offset1:1
	;; [unrolled: 1-line block ×4, first 2 shown]
	s_wait_dscnt 0x3
	v_dual_lshlrev_b32 v215, 16, v115 :: v_dual_lshlrev_b32 v219, 8, v115
	v_perm_b32 v115, v115, v115, 0xc0c0003
	s_wait_dscnt 0x2
	v_dual_lshlrev_b32 v220, 16, v118 :: v_dual_lshlrev_b32 v221, 8, v118
	v_dot4_i32_iu8 v235, v234, v196, 0 neg_lo:[1,1,0]
	v_perm_b32 v215, v219, v215, 0x7030c0c
	v_perm_b32 v118, v118, v118, 0xc0c0003
	s_wait_dscnt 0x1
	v_dual_lshlrev_b32 v223, 16, v210 :: v_dual_lshlrev_b32 v224, 8, v210
	v_dot4_i32_iu8 v235, v236, v197, v235 neg_lo:[1,1,0]
	v_or_b32_e32 v215, v215, v115
	v_dual_lshlrev_b32 v225, 16, v119 :: v_dual_lshlrev_b32 v226, 8, v119
	v_dual_lshlrev_b32 v227, 16, v211 :: v_dual_lshlrev_b32 v228, 8, v211
	s_delay_alu instid0(VALU_DEP_3)
	v_dot4_i32_iu8 v115, v215, v196, 0 neg_lo:[1,1,0]
	v_perm_b32 v196, v221, v220, 0x7030c0c
	v_perm_b32 v119, v119, v119, 0xc0c0003
	v_dot4_i32_iu8 v235, v237, v198, v235 neg_lo:[1,1,0]
	v_dual_lshlrev_b32 v229, 16, v114 :: v_dual_lshlrev_b32 v230, 8, v114
	s_wait_dscnt 0x0
	v_dual_lshlrev_b32 v234, 8, v213 :: v_dual_bitop2_b32 v196, v196, v118 bitop3:0x54
	v_perm_b32 v118, v224, v223, 0x7030c0c
	v_dot4_i32_iu8 v235, v238, v199, v235 neg_lo:[1,1,0]
	v_perm_b32 v114, v114, v114, 0xc0c0003
	v_lshlrev_b32_e32 v231, 16, v213
	v_dot4_i32_iu8 v115, v196, v197, v115 neg_lo:[1,1,0]
	v_perm_b32 v197, v210, v210, 0xc0c0003
	v_dot4_i32_iu8 v235, v239, v200, v235 neg_lo:[1,1,0]
	s_delay_alu instid0(VALU_DEP_2) | instskip(SKIP_1) | instid1(VALU_DEP_3)
	v_or_b32_e32 v197, v118, v197
	v_perm_b32 v118, v226, v225, 0x7030c0c
	v_dot4_i32_iu8 v235, v240, v201, v235 neg_lo:[1,1,0]
	s_delay_alu instid0(VALU_DEP_3) | instskip(NEXT) | instid1(VALU_DEP_3)
	v_dot4_i32_iu8 v115, v197, v198, v115 neg_lo:[1,1,0]
	v_or_b32_e32 v119, v118, v119
	v_perm_b32 v118, v228, v227, 0x7030c0c
	v_perm_b32 v198, v211, v211, 0xc0c0003
	s_delay_alu instid0(VALU_DEP_3) | instskip(NEXT) | instid1(VALU_DEP_2)
	v_dot4_i32_iu8 v115, v119, v199, v115 neg_lo:[1,1,0]
	v_or_b32_e32 v198, v118, v198
	v_perm_b32 v118, v230, v229, 0x7030c0c
	s_delay_alu instid0(VALU_DEP_2) | instskip(NEXT) | instid1(VALU_DEP_2)
	v_dot4_i32_iu8 v115, v198, v200, v115 neg_lo:[1,1,0]
	v_or_b32_e32 v199, v118, v114
	v_perm_b32 v118, v213, v213, 0xc0c0003
	s_delay_alu instid0(VALU_DEP_2) | instskip(SKIP_2) | instid1(VALU_DEP_2)
	v_dot4_i32_iu8 v114, v199, v201, v115 neg_lo:[1,1,0]
	v_perm_b32 v201, v93, v93, 0x2010003
	v_perm_b32 v115, v234, v231, 0x7030c0c
	v_dot4_i32_iu8 v80, v207, v201, v209 neg_lo:[1,1,0]
	v_dot4_i32_iu8 v103, v208, v201, v103 neg_lo:[1,1,0]
	s_delay_alu instid0(VALU_DEP_3)
	v_or_b32_e32 v200, v115, v118
	v_dot4_i32_iu8 v115, v91, v93, v88 neg_lo:[1,1,0]
	v_mov_b32_e32 v88, v217
	v_dot4_i32_iu8 v80, v84, v124, v80 neg_lo:[1,1,0]
	v_dot4_i32_iu8 v103, v84, v120, v103 neg_lo:[1,1,0]
	v_mov_b32_e32 v118, v83
	v_dot4_i32_iu8 v114, v200, v206, v114 neg_lo:[1,1,0]
	v_pk_mul_f32 v[88:89], v[88:89], v[82:83]
	v_cvt_f32_i32_e32 v141, v80
	v_dot4_i32_iu8 v80, v131, v201, v222 neg_lo:[1,1,0]
	v_cvt_f32_i32_e32 v140, v103
	v_dot4_i32_iu8 v103, v127, v201, v218 neg_lo:[1,1,0]
	v_dot4_i32_iu8 v114, v86, v212, v114 neg_lo:[1,1,0]
	v_pk_mul_f32 v[122:123], v[118:119], v[122:123] op_sel_hi:[0,1]
	v_dot4_i32_iu8 v80, v84, v130, v80 neg_lo:[1,1,0]
	v_cvt_f32_i32_e32 v115, v115
	v_dot4_i32_iu8 v103, v84, v126, v103 neg_lo:[1,1,0]
	v_cvt_f32_i32_e32 v114, v114
	v_pk_fma_f32 v[24:25], v[122:123], v[140:141], v[24:25]
	v_cvt_f32_i32_e32 v127, v80
	v_lshlrev_b32_e32 v80, 8, v107
	v_perm_b32 v107, v107, v107, 0xc0c0003
	v_cvt_f32_i32_e32 v126, v103
	v_lshlrev_b32_e32 v103, 8, v133
	v_pk_mul_f32 v[122:123], v[118:119], v[128:129] op_sel_hi:[0,1]
	v_perm_b32 v80, v80, v143, 0x7030c0c
	v_pk_fma_f32 v[8:9], v[88:89], v[114:115], v[8:9]
	s_delay_alu instid0(VALU_DEP_3) | instskip(NEXT) | instid1(VALU_DEP_3)
	v_pk_fma_f32 v[16:17], v[122:123], v[126:127], v[16:17]
	v_or_b32_e32 v107, v80, v107
	s_delay_alu instid0(VALU_DEP_1) | instskip(NEXT) | instid1(VALU_DEP_1)
	v_dot4_i32_iu8 v80, v107, v206, v188 neg_lo:[1,1,0]
	v_dot4_i32_iu8 v80, v106, v86, v80 neg_lo:[1,1,0]
	s_delay_alu instid0(VALU_DEP_1) | instskip(SKIP_1) | instid1(VALU_DEP_2)
	v_cvt_f32_i32_e32 v95, v80
	v_dot4_i32_iu8 v80, v107, v121, v202 neg_lo:[1,1,0]
	v_pk_fma_f32 v[38:39], v[110:111], v[94:95], v[38:39]
	v_perm_b32 v94, v104, v104, 0xc0c0302
	s_delay_alu instid0(VALU_DEP_3) | instskip(NEXT) | instid1(VALU_DEP_2)
	v_dot4_i32_iu8 v80, v106, v98, v80 neg_lo:[1,1,0]
	v_dot4_i32_iu8 v94, v142, v94, v203 neg_lo:[1,1,0]
	s_delay_alu instid0(VALU_DEP_2) | instskip(SKIP_1) | instid1(VALU_DEP_3)
	v_cvt_f32_i32_e32 v95, v80
	v_dot4_i32_iu8 v80, v107, v125, v204 neg_lo:[1,1,0]
	v_dot4_i32_iu8 v94, v91, v105, v94 neg_lo:[1,1,0]
	s_delay_alu instid0(VALU_DEP_2) | instskip(NEXT) | instid1(VALU_DEP_2)
	v_dot4_i32_iu8 v80, v106, v102, v80 neg_lo:[1,1,0]
	v_cvt_f32_i32_e32 v94, v94
	s_delay_alu instid0(VALU_DEP_1) | instskip(SKIP_1) | instid1(VALU_DEP_1)
	v_pk_fma_f32 v[36:37], v[112:113], v[94:95], v[36:37]
	v_perm_b32 v94, v108, v108, 0xc0c0302
	v_dot4_i32_iu8 v90, v142, v94, v90 neg_lo:[1,1,0]
	s_delay_alu instid0(VALU_DEP_1) | instskip(SKIP_2) | instid1(VALU_DEP_3)
	v_dot4_i32_iu8 v90, v91, v109, v90 neg_lo:[1,1,0]
	v_cvt_f32_i32_e32 v91, v80
	v_mov_b32_e32 v80, v216
	v_cvt_f32_i32_e32 v90, v90
	s_delay_alu instid0(VALU_DEP_2) | instskip(SKIP_2) | instid1(VALU_DEP_4)
	v_pk_mul_f32 v[80:81], v[82:83], v[80:81]
	v_perm_b32 v83, v103, v233, 0x7030c0c
	v_dot4_i32_iu8 v82, v107, v201, v194 neg_lo:[1,1,0]
	v_pk_fma_f32 v[34:35], v[116:117], v[90:91], v[34:35]
	v_perm_b32 v90, v133, v133, 0xc0c0003
	s_delay_alu instid0(VALU_DEP_3) | instskip(NEXT) | instid1(VALU_DEP_2)
	v_dot4_i32_iu8 v82, v84, v106, v82 neg_lo:[1,1,0]
	v_or_b32_e32 v90, v83, v90
	s_delay_alu instid0(VALU_DEP_1) | instskip(NEXT) | instid1(VALU_DEP_1)
	v_dot4_i32_iu8 v83, v90, v206, v235 neg_lo:[1,1,0]
	v_dot4_i32_iu8 v86, v86, v132, v83 neg_lo:[1,1,0]
	s_delay_alu instid0(VALU_DEP_4) | instskip(NEXT) | instid1(VALU_DEP_2)
	v_cvt_f32_i32_e32 v83, v82
	v_cvt_f32_i32_e32 v82, v86
	s_delay_alu instid0(VALU_DEP_1) | instskip(SKIP_4) | instid1(VALU_DEP_4)
	v_pk_fma_f32 v[10:11], v[80:81], v[82:83], v[10:11]
	v_dot4_i32_iu8 v80, v215, v182, 0 neg_lo:[1,1,0]
	v_perm_b32 v82, v233, v133, 0x700030c
	v_perm_b32 v83, v232, v232, 0xc0c0c03
	;; [unrolled: 1-line block ×3, first 2 shown]
	v_dot4_i32_iu8 v80, v196, v183, v80 neg_lo:[1,1,0]
	s_delay_alu instid0(VALU_DEP_3) | instskip(SKIP_1) | instid1(VALU_DEP_3)
	v_or_b32_e32 v82, v82, v83
	v_perm_b32 v83, v132, v103, 0xc0c0403
	v_dot4_i32_iu8 v80, v197, v184, v80 neg_lo:[1,1,0]
	s_delay_alu instid0(VALU_DEP_3) | instskip(SKIP_1) | instid1(VALU_DEP_3)
	v_dot4_i32_iu8 v81, v82, v81, v85 neg_lo:[1,1,0]
	v_perm_b32 v82, v84, v93, 0xc0c0402
	v_dot4_i32_iu8 v80, v119, v185, v80 neg_lo:[1,1,0]
	s_delay_alu instid0(VALU_DEP_2) | instskip(SKIP_1) | instid1(VALU_DEP_3)
	v_dot4_i32_iu8 v81, v83, v82, v81 neg_lo:[1,1,0]
	v_perm_b32 v82, v132, v132, 0xc030201
	v_dot4_i32_iu8 v80, v198, v186, v80 neg_lo:[1,1,0]
	v_perm_b32 v83, v84, v84, 0xc030201
	s_delay_alu instid0(VALU_DEP_2) | instskip(NEXT) | instid1(VALU_DEP_2)
	v_dot4_i32_iu8 v80, v199, v187, v80 neg_lo:[1,1,0]
	v_dot4_i32_iu8 v82, v82, v83, v81 neg_lo:[1,1,0]
	s_delay_alu instid0(VALU_DEP_2) | instskip(NEXT) | instid1(VALU_DEP_2)
	v_dot4_i32_iu8 v80, v200, v201, v80 neg_lo:[1,1,0]
	v_cvt_f32_i32_e32 v82, v82
	s_delay_alu instid0(VALU_DEP_2) | instskip(SKIP_1) | instid1(VALU_DEP_2)
	v_dot4_i32_iu8 v83, v212, v84, v80 neg_lo:[1,1,0]
	v_pk_mul_f32 v[80:81], v[118:119], v[216:217] op_sel_hi:[0,1]
	v_cvt_f32_i32_e32 v83, v83
	s_delay_alu instid0(VALU_DEP_1) | instskip(SKIP_2) | instid1(VALU_DEP_2)
	v_pk_fma_f32 v[6:7], v[80:81], v[82:83], v[6:7]
	v_dot4_i32_iu8 v80, v215, v87, 0 neg_lo:[1,1,0]
	v_dot4_i32_iu8 v81, v90, v121, v205 neg_lo:[1,1,0]
	;; [unrolled: 1-line block ×3, first 2 shown]
	s_delay_alu instid0(VALU_DEP_2) | instskip(NEXT) | instid1(VALU_DEP_2)
	v_dot4_i32_iu8 v82, v132, v98, v81 neg_lo:[1,1,0]
	v_dot4_i32_iu8 v80, v197, v145, v80 neg_lo:[1,1,0]
	s_delay_alu instid0(VALU_DEP_2) | instskip(NEXT) | instid1(VALU_DEP_2)
	v_cvt_f32_i32_e32 v82, v82
	v_dot4_i32_iu8 v80, v119, v146, v80 neg_lo:[1,1,0]
	s_delay_alu instid0(VALU_DEP_1) | instskip(NEXT) | instid1(VALU_DEP_1)
	v_dot4_i32_iu8 v80, v198, v147, v80 neg_lo:[1,1,0]
	v_dot4_i32_iu8 v80, v199, v181, v80 neg_lo:[1,1,0]
	s_delay_alu instid0(VALU_DEP_1) | instskip(NEXT) | instid1(VALU_DEP_1)
	v_dot4_i32_iu8 v80, v200, v121, v80 neg_lo:[1,1,0]
	v_dot4_i32_iu8 v83, v212, v98, v80 neg_lo:[1,1,0]
	v_pk_mul_f32 v[80:81], v[96:97], v[216:217] op_sel_hi:[0,1]
	s_delay_alu instid0(VALU_DEP_2) | instskip(NEXT) | instid1(VALU_DEP_1)
	v_cvt_f32_i32_e32 v83, v83
	v_pk_fma_f32 v[4:5], v[80:81], v[82:83], v[4:5]
	v_dot4_i32_iu8 v80, v215, v99, 0 neg_lo:[1,1,0]
	v_dot4_i32_iu8 v81, v90, v125, v214 neg_lo:[1,1,0]
	s_delay_alu instid0(VALU_DEP_2) | instskip(NEXT) | instid1(VALU_DEP_2)
	v_dot4_i32_iu8 v80, v196, v189, v80 neg_lo:[1,1,0]
	v_dot4_i32_iu8 v82, v132, v102, v81 neg_lo:[1,1,0]
	s_delay_alu instid0(VALU_DEP_2) | instskip(NEXT) | instid1(VALU_DEP_2)
	v_dot4_i32_iu8 v80, v197, v190, v80 neg_lo:[1,1,0]
	v_cvt_f32_i32_e32 v82, v82
	s_delay_alu instid0(VALU_DEP_2) | instskip(NEXT) | instid1(VALU_DEP_1)
	v_dot4_i32_iu8 v80, v119, v191, v80 neg_lo:[1,1,0]
	v_dot4_i32_iu8 v80, v198, v192, v80 neg_lo:[1,1,0]
	s_delay_alu instid0(VALU_DEP_1) | instskip(NEXT) | instid1(VALU_DEP_1)
	v_dot4_i32_iu8 v80, v199, v193, v80 neg_lo:[1,1,0]
	v_dot4_i32_iu8 v80, v200, v125, v80 neg_lo:[1,1,0]
	s_delay_alu instid0(VALU_DEP_1) | instskip(SKIP_2) | instid1(VALU_DEP_3)
	v_dot4_i32_iu8 v83, v212, v102, v80 neg_lo:[1,1,0]
	v_pk_mul_f32 v[80:81], v[100:101], v[216:217] op_sel_hi:[0,1]
	v_add_nc_u32_e32 v101, 32, v101
	v_cvt_f32_i32_e32 v83, v83
	s_delay_alu instid0(VALU_DEP_1)
	v_pk_fma_f32 v[2:3], v[80:81], v[82:83], v[2:3]
	s_cbranch_scc1 .LBB161_8
; %bb.9:                                ;   in Loop: Header=BB161_6 Depth=1
	s_and_b32 s12, s15, -4
	s_delay_alu instid0(SALU_CYCLE_1)
	s_cmp_eq_u32 s12, 4
	s_barrier_signal -1
	s_barrier_wait -1
	s_cbranch_scc1 .LBB161_5
; %bb.10:                               ;   in Loop: Header=BB161_6 Depth=1
	v_dual_add_nc_u32 v88, s10, v155 :: v_dual_add_nc_u32 v80, 4, v97
	v_dual_mov_b32 v181, v179 :: v_dual_mov_b32 v182, v172
	v_dual_mov_b32 v183, v180 :: v_dual_mov_b32 v184, v176
	s_delay_alu instid0(VALU_DEP_3) | instskip(SKIP_3) | instid1(VALU_DEP_4)
	v_dual_add_nc_u32 v86, v88, v154 :: v_dual_add_nc_u32 v92, v88, v151
	v_dual_add_nc_u32 v82, v88, v79 :: v_dual_add_nc_u32 v84, v88, v148
	;; [unrolled: 1-line block ×3, first 2 shown]
	v_mad_nc_u64_u32 v[80:81], v80, 36, s[2:3]
	v_mad_nc_i64_i32 v[86:87], v86, 36, v[52:53]
	s_delay_alu instid0(VALU_DEP_4)
	v_mad_nc_i64_i32 v[82:83], v82, 36, v[52:53]
	v_dual_add_nc_u32 v94, v88, v152 :: v_dual_add_nc_u32 v96, v88, v153
	v_mad_nc_i64_i32 v[84:85], v84, 36, v[52:53]
	v_mad_nc_i64_i32 v[88:89], v89, 36, v[52:53]
	;; [unrolled: 1-line block ×6, first 2 shown]
	s_clause 0x8
	global_load_b32 v98, v[80:81], off
	global_load_b32 v99, v[86:87], off offset:4
	global_load_b32 v100, v[82:83], off offset:4
	;; [unrolled: 1-line block ×8, first 2 shown]
	v_dual_mov_b32 v185, v175 :: v_dual_mov_b32 v186, v174
	v_mov_b32_e32 v187, v173
	s_mov_b32 s12, 12
	s_wait_loadcnt 0x8
	s_wait_xcnt 0x8
	v_cvt_f32_f16_e32 v80, v98
	s_wait_loadcnt 0x7
	ds_store_b32 v170, v99
	s_wait_loadcnt 0x6
	ds_store_b32 v171, v100
	;; [unrolled: 2-line block ×8, first 2 shown]
	ds_store_b32 v75, v80
	s_wait_dscnt 0x0
	s_barrier_signal -1
	s_barrier_wait -1
.LBB161_11:                             ;   Parent Loop BB161_6 Depth=1
                                        ; =>  This Inner Loop Header: Depth=2
	ds_load_2addr_b32 v[122:123], v182 offset0:3 offset1:4
	ds_load_2addr_b32 v[124:125], v182 offset0:5 offset1:6
	;; [unrolled: 1-line block ×3, first 2 shown]
	ds_load_2addr_b32 v[118:119], v182 offset1:7
	ds_load_2addr_b32 v[120:121], v181 offset1:32
	;; [unrolled: 1-line block ×3, first 2 shown]
	ds_load_2addr_b32 v[128:129], v183 offset0:2 offset1:3
	ds_load_2addr_b32 v[100:101], v183 offset0:4 offset1:5
	;; [unrolled: 1-line block ×3, first 2 shown]
	ds_load_b32 v130, v184
	ds_load_b32 v131, v185
	;; [unrolled: 1-line block ×4, first 2 shown]
	ds_load_2addr_b32 v[220:221], v181 offset0:192 offset1:224
	ds_load_2addr_b32 v[134:135], v181 offset0:64 offset1:96
	;; [unrolled: 1-line block ×3, first 2 shown]
	v_add_nc_u32_e32 v84, 0x2080, v183
	v_add_nc_u32_e32 v85, 0x2088, v183
	;; [unrolled: 1-line block ×34, first 2 shown]
	s_wait_dscnt 0x2
	v_dual_mov_b32 v230, v221 :: v_dual_mov_b32 v231, v120
	v_mov_b32_e32 v232, v131
	ds_load_2addr_b32 v[86:87], v84 offset1:1
	ds_load_2addr_b32 v[222:223], v85 offset1:1
	;; [unrolled: 1-line block ×15, first 2 shown]
	s_set_vgpr_msb 64                       ;  msbs: dst=1 src0=0 src1=0 src2=0
	ds_load_2addr_b32 v[0:1] /*v[256:257]*/, v108 offset1:1
	ds_load_2addr_b32 v[2:3] /*v[258:259]*/, v109 offset1:1
	s_set_vgpr_msb 0                        ;  msbs: dst=0 src0=0 src1=0 src2=0
	ds_load_2addr_b32 v[140:141], v110 offset1:1
	s_set_vgpr_msb 64                       ;  msbs: dst=1 src0=0 src1=0 src2=0
	ds_load_2addr_b32 v[4:5] /*v[260:261]*/, v111 offset1:1
	ds_load_2addr_b32 v[6:7] /*v[262:263]*/, v112 offset1:1
	s_set_vgpr_msb 0                        ;  msbs: dst=0 src0=0 src1=0 src2=0
	ds_load_2addr_b32 v[138:139], v113 offset1:1
	s_set_vgpr_msb 64                       ;  msbs: dst=1 src0=0 src1=0 src2=0
	ds_load_2addr_b32 v[8:9] /*v[264:265]*/, v114 offset1:1
	ds_load_2addr_b32 v[14:15] /*v[270:271]*/, v115 offset1:1
	s_set_vgpr_msb 0                        ;  msbs: dst=0 src0=0 src1=0 src2=0
	ds_load_2addr_b32 v[136:137], v116 offset1:1
	s_set_vgpr_msb 64                       ;  msbs: dst=1 src0=0 src1=0 src2=0
	ds_load_2addr_b32 v[16:17] /*v[272:273]*/, v117 offset1:1
	ds_load_2addr_b32 v[18:19] /*v[274:275]*/, v142 offset1:1
	s_set_vgpr_msb 0                        ;  msbs: dst=0 src0=0 src1=0 src2=0
	ds_load_2addr_b32 v[242:243], v143 offset1:1
	ds_load_2addr_b32 v[116:117], v190 offset1:7
	s_set_vgpr_msb 64                       ;  msbs: dst=1 src0=0 src1=0 src2=0
	ds_load_2addr_b32 v[10:11] /*v[266:267]*/, v193 offset1:1
	ds_load_2addr_b32 v[20:21] /*v[276:277]*/, v188 offset1:1
	;; [unrolled: 1-line block ×5, first 2 shown]
	s_set_vgpr_msb 0                        ;  msbs: dst=0 src0=0 src1=0 src2=0
	ds_load_2addr_b32 v[142:143], v194 offset1:7
	v_dual_lshlrev_b32 v190, 16, v123 :: v_dual_lshlrev_b32 v191, 8, v123
	v_add_nc_u32_e32 v133, 0x800, v182
	v_dual_lshlrev_b32 v195, 16, v126 :: v_dual_lshlrev_b32 v196, 8, v126
	v_dual_lshlrev_b32 v198, 16, v124 :: v_dual_lshlrev_b32 v200, 8, v124
	v_dual_lshlrev_b32 v201, 16, v127 :: v_dual_lshlrev_b32 v203, 8, v127
	v_dual_lshlrev_b32 v204, 16, v125 :: v_dual_lshlrev_b32 v205, 8, v125
	v_perm_b32 v233, v83, v83, 0x2010003
	v_perm_b32 v247, v123, v191, 0x7030c04
	v_perm_b32 v248, v190, v190, 0xc0c030c
	v_dual_lshlrev_b32 v209, 16, v122 :: v_dual_lshlrev_b32 v210, 8, v122
	v_pk_mul_f32 v[88:89], v[130:131], v[120:121] op_sel_hi:[0,1]
	v_pk_mul_f32 v[90:91], v[102:103], v[120:121] op_sel_hi:[0,1]
	v_pk_mul_f32 v[92:93], v[132:133], v[120:121] op_sel_hi:[0,1]
	s_wait_dscnt 0x23
	v_pk_mul_f32 v[104:105], v[130:131], v[134:135] op_sel_hi:[0,1]
	v_pk_mul_f32 v[106:107], v[102:103], v[134:135] op_sel_hi:[0,1]
	;; [unrolled: 1-line block ×3, first 2 shown]
	s_wait_dscnt 0x22
	v_pk_mul_f32 v[110:111], v[130:131], v[218:219] op_sel_hi:[0,1]
	v_pk_mul_f32 v[112:113], v[102:103], v[218:219] op_sel_hi:[0,1]
	;; [unrolled: 1-line block ×3, first 2 shown]
	v_mov_b32_e32 v120, v220
	v_perm_b32 v249, v126, v196, 0x7030c04
	v_perm_b32 v250, v195, v195, 0xc0c030c
	s_set_vgpr_msb 64                       ;  msbs: dst=1 src0=0 src1=0 src2=0
	v_perm_b32 v12 /*v268*/, v198, v124, 0xc0c0700
	v_perm_b32 v24 /*v280*/, v124, v200, 0xc0c0703
	;; [unrolled: 1-line block ×3, first 2 shown]
	s_set_vgpr_msb 0                        ;  msbs: dst=0 src0=0 src1=0 src2=0
	v_perm_b32 v201, v127, v203, 0xc0c0703
	v_perm_b32 v195, v204, v125, 0xc0c0700
	;; [unrolled: 1-line block ×3, first 2 shown]
	s_wait_dscnt 0x1d
	s_set_vgpr_msb 64                       ;  msbs: dst=1 src0=0 src1=0 src2=0
	v_dot4_i32_iu8 v51 /*v307*/, v94, v118, 0 neg_lo:[1,1,0]
	s_wait_dscnt 0x1a
	v_dot4_i32_iu8 v57 /*v313*/, v96, v118, 0 neg_lo:[1,1,0]
	s_set_vgpr_msb 0                        ;  msbs: dst=0 src0=0 src1=0 src2=0
	v_pk_mul_f32 v[124:125], v[232:233], v[134:135] op_sel_hi:[0,1]
	v_pk_mul_f32 v[126:127], v[232:233], v[218:219] op_sel_hi:[0,1]
	s_wait_dscnt 0xa
	v_dual_lshlrev_b32 v135, 16, v137 :: v_dual_bitop2_b32 v218, v247, v248 bitop3:0x54
	v_dual_lshlrev_b32 v215, 8, v119 :: v_dual_lshlrev_b32 v216, 8, v146
	v_ashrrev_i32_e32 v217, 24, v83
	v_perm_b32 v235, v129, v129, 0x2010003
	v_perm_b32 v197, v100, v100, 0x2010003
	;; [unrolled: 1-line block ×3, first 2 shown]
	v_dot4_i32_iu8 v236, v82, v118, 0 neg_lo:[1,1,0]
	v_perm_b32 v237, v129, v129, 0xc0c0100
	v_perm_b32 v238, v129, v129, 0xc0c0302
	;; [unrolled: 1-line block ×10, first 2 shown]
	v_pk_mul_f32 v[100:101], v[102:103], v[220:221] op_sel_hi:[0,1]
	v_pk_mul_f32 v[102:103], v[132:133], v[220:221] op_sel_hi:[0,1]
	v_ashrrev_i32_e32 v245, 24, v87
	s_set_vgpr_msb 64                       ;  msbs: dst=1 src0=0 src1=0 src2=0
	v_dual_lshlrev_b32 v27 /*v283*/, 16, v147 :: v_dual_lshlrev_b32 v28 /*v284*/, 8, v147
	v_perm_b32 v44 /*v300*/, v122, v210, 0x7030c04
	v_perm_b32 v45 /*v301*/, v209, v209, 0xc0c030c
	;; [unrolled: 1-line block ×3, first 2 shown]
	s_set_vgpr_msb 0                        ;  msbs: dst=0 src0=0 src1=0 src2=0
	v_perm_b32 v210, v206, v206, 0x2010003
	v_perm_b32 v203, v207, v207, 0x2010003
	s_set_vgpr_msb 64                       ;  msbs: dst=1 src0=0 src1=0 src2=0
	v_perm_b32 v53 /*v309*/, v206, v206, 0xc0c0100
	s_set_vgpr_msb 0                        ;  msbs: dst=0 src0=0 src1=0 src2=0
	v_perm_b32 v209, v206, v206, 0xc0c0302
	v_perm_b32 v204, v207, v207, 0xc0c0100
	;; [unrolled: 1-line block ×3, first 2 shown]
	s_set_vgpr_msb 64                       ;  msbs: dst=1 src0=0 src1=0 src2=0
	v_perm_b32 v54 /*v310*/, v97, v97, 0x2010003
	s_set_vgpr_msb 0                        ;  msbs: dst=0 src0=0 src1=0 src2=0
	v_perm_b32 v214, v228, v228, 0x2010003
	v_perm_b32 v206, v229, v229, 0x2010003
	s_set_vgpr_msb 64                       ;  msbs: dst=1 src0=0 src1=0 src2=0
	v_perm_b32 v61 /*v317*/, v228, v228, 0xc0c0100
	s_set_vgpr_msb 16                       ;  msbs: dst=0 src0=0 src1=0 src2=1
	v_perm_b32 v213, v228, v228, 0xc0c0302
	v_perm_b32 v207, v229, v229, 0xc0c0100
	;; [unrolled: 1-line block ×3, first 2 shown]
	v_dual_lshlrev_b32 v228, 16, v145 :: v_dual_lshlrev_b32 v229, 8, v145
	v_pk_mul_f32 v[122:123], v[130:131], v[120:121]
	v_pk_mul_f32 v[120:121], v[232:233], v[220:221] op_sel_hi:[0,1]
	v_dual_lshlrev_b32 v219, 8, v137 :: v_dual_bitop2_b32 v220, v249, v250 bitop3:0x54
	v_dot4_i32_iu8 v95, v218, v95, v51 /*v307*/ neg_lo:[1,1,0]
	v_dot4_i32_iu8 v97, v218, v97, v57 /*v313*/ neg_lo:[1,1,0]
	s_set_vgpr_msb 64                       ;  msbs: dst=1 src0=0 src1=0 src2=0
	v_dual_lshlrev_b32 v66 /*v322*/, 16, v119 :: v_dual_lshlrev_b32 v30 /*v286*/, 16, v252
	s_set_vgpr_msb 0                        ;  msbs: dst=0 src0=0 src1=0 src2=0
	v_perm_b32 v244, v128, v83, 0x7020100
	v_dot4_i32_iu8 v132, v86, v118, 0 neg_lo:[1,1,0]
	s_set_vgpr_msb 64                       ;  msbs: dst=1 src0=0 src1=0 src2=0
	v_dual_ashrrev_i32 v29 /*v285*/, 24, v147 :: v_dual_lshlrev_b32 v31 /*v287*/, 8, v252
	v_dual_lshlrev_b32 v67 /*v323*/, 16, v146 :: v_dual_ashrrev_i32 v62 /*v318*/, 24, v145
	v_perm_b32 v38 /*v294*/, v147, v147, 0xc0c0003
	v_perm_b32 v49 /*v305*/, v224, v224, 0x2010003
	;; [unrolled: 1-line block ×3, first 2 shown]
	v_dual_lshlrev_b32 v71 /*v327*/, 16, v141 :: v_dual_ashrrev_i32 v73 /*v329*/, 24, v141
	v_perm_b32 v72 /*v328*/, v119, v215, 0x7030c04
	s_set_vgpr_msb 0                        ;  msbs: dst=0 src0=0 src1=0 src2=0
	v_lshlrev_b32_e32 v215, 8, v141
	v_pk_mul_f32 v[118:119], v[230:231], v[130:131]
	v_dual_lshlrev_b32 v130, 16, v139 :: v_dual_lshlrev_b32 v131, 8, v139
	v_dual_ashrrev_i32 v134, 24, v139 :: v_dual_ashrrev_i32 v221, 24, v137
	v_dot4_i32_iu8 v83, v218, v83, v236 neg_lo:[1,1,0]
	s_set_vgpr_msb 1                        ;  msbs: dst=0 src0=1 src1=0 src2=0
	v_perm_b32 v147, v27 /*v283*/, v147, 0xc0c0700
	s_set_vgpr_msb 0                        ;  msbs: dst=0 src0=0 src1=0 src2=0
	v_dot4_i32_iu8 v95, v220, v224, v95 neg_lo:[1,1,0]
	s_set_vgpr_msb 4                        ;  msbs: dst=0 src0=0 src1=1 src2=0
	v_perm_b32 v224, v252, v28 /*v284*/, 0x7030c0c
	s_set_vgpr_msb 0                        ;  msbs: dst=0 src0=0 src1=0 src2=0
	v_perm_b32 v232, v228, v145, 0xc0c0700
	v_dot4_i32_iu8 v97, v220, v226, v97 neg_lo:[1,1,0]
	s_set_vgpr_msb 1                        ;  msbs: dst=0 src0=1 src1=0 src2=0
	v_perm_b32 v226, v0 /*v256*/, v229, 0x7030c0c
	s_set_vgpr_msb 0                        ;  msbs: dst=0 src0=0 src1=0 src2=0
	v_perm_b32 v234, v128, v128, 0x2010003
	v_dot4_i32_iu8 v83, v220, v128, v83 neg_lo:[1,1,0]
	s_wait_dscnt 0x7
	v_lshlrev_b32_e32 v128, 16, v243
	s_set_vgpr_msb 1                        ;  msbs: dst=0 src0=1 src1=0 src2=0
	v_mul_i32_i24_e32 v230, v29 /*v285*/, v245
	v_mul_i32_i24_e32 v231, v62 /*v318*/, v245
	;; [unrolled: 1-line block ×3, first 2 shown]
	v_perm_b32 v247, v71 /*v327*/, v141, 0xc0c0700
	s_set_vgpr_msb 0                        ;  msbs: dst=0 src0=0 src1=0 src2=0
	v_mul_i32_i24_e32 v134, v134, v245
	v_mul_i32_i24_e32 v221, v221, v245
	s_set_vgpr_msb 1                        ;  msbs: dst=0 src0=1 src1=0 src2=0
	v_perm_b32 v245, v4 /*v260*/, v215, 0x7030c0c
	s_set_vgpr_msb 0                        ;  msbs: dst=0 src0=0 src1=0 src2=0
	v_or_b32_e32 v147, v224, v147
	v_perm_b32 v224, v130, v139, 0xc0c0700
	v_or_b32_e32 v226, v226, v232
	s_set_vgpr_msb 1                        ;  msbs: dst=0 src0=1 src1=0 src2=0
	v_perm_b32 v232, v8 /*v264*/, v131, 0x7030c0c
	s_set_vgpr_msb 0                        ;  msbs: dst=0 src0=0 src1=0 src2=0
	v_or_b32_e32 v245, v245, v247
	v_perm_b32 v247, v135, v137, 0xc0c0700
	s_set_vgpr_msb 64                       ;  msbs: dst=1 src0=0 src1=0 src2=0
	v_perm_b32 v41 /*v297*/, v222, v87, 0x7020100
	v_perm_b32 v39 /*v295*/, v252, v252, 0xc0c0003
	s_set_vgpr_msb 0                        ;  msbs: dst=0 src0=0 src1=0 src2=0
	v_or_b32_e32 v224, v232, v224
	s_set_vgpr_msb 1                        ;  msbs: dst=0 src0=1 src1=0 src2=0
	v_perm_b32 v232, v16 /*v272*/, v219, 0x7030c0c
	s_set_vgpr_msb 4                        ;  msbs: dst=0 src0=0 src1=1 src2=0
	v_lshlrev_b32_e32 v249, 8, v4 /*v260*/
	v_dot4_i32_iu8 v147, v147, v41 /*v297*/, v230 neg_lo:[1,1,0]
	s_set_vgpr_msb 0                        ;  msbs: dst=0 src0=0 src1=0 src2=0
	v_ashrrev_i32_e32 v230, 24, v243
	s_set_vgpr_msb 4                        ;  msbs: dst=0 src0=0 src1=1 src2=0
	v_dot4_i32_iu8 v236, v245, v41 /*v297*/, v236 neg_lo:[1,1,0]
	s_set_vgpr_msb 0                        ;  msbs: dst=0 src0=0 src1=0 src2=0
	v_or_b32_e32 v232, v232, v247
	v_lshlrev_b32_e32 v247, 8, v243
	s_set_vgpr_msb 4                        ;  msbs: dst=0 src0=0 src1=1 src2=0
	v_dot4_i32_iu8 v226, v226, v41 /*v297*/, v231 neg_lo:[1,1,0]
	s_wait_dscnt 0x5
	v_dual_lshlrev_b32 v231, 16, v11 /*v267*/ :: v_dual_lshlrev_b32 v245, 8, v11 /*v267*/
	v_dot4_i32_iu8 v134, v224, v41 /*v297*/, v134 neg_lo:[1,1,0]
	v_ashrrev_i32_e32 v224, 24, v11 /*v267*/
	v_dot4_i32_iu8 v221, v232, v41 /*v297*/, v221 neg_lo:[1,1,0]
	s_set_vgpr_msb 0                        ;  msbs: dst=0 src0=0 src1=0 src2=0
	v_perm_b32 v232, v128, v243, 0xc0c0700
	s_wait_dscnt 0x4
	s_set_vgpr_msb 1                        ;  msbs: dst=0 src0=1 src1=0 src2=0
	v_perm_b32 v248, v20 /*v276*/, v247, 0x7030c0c
	s_set_vgpr_msb 0                        ;  msbs: dst=0 src0=0 src1=0 src2=0
	v_mul_i32_i24_e32 v230, v230, v217
	v_mul_i32_i24_e32 v217, v224, v217
	s_set_vgpr_msb 4                        ;  msbs: dst=0 src0=0 src1=1 src2=0
	v_perm_b32 v224, v231, v11 /*v267*/, 0xc0c0700
	s_set_vgpr_msb 0                        ;  msbs: dst=0 src0=0 src1=0 src2=0
	v_perm_b32 v141, v141, v141, 0xc0c0003
	v_or_b32_e32 v232, v248, v232
	s_wait_dscnt 0x2
	s_set_vgpr_msb 1                        ;  msbs: dst=0 src0=1 src1=0 src2=0
	v_perm_b32 v248, v32 /*v288*/, v245, 0x7030c0c
	s_set_vgpr_msb 4                        ;  msbs: dst=0 src0=0 src1=1 src2=0
	v_perm_b32 v215, v215, v71 /*v327*/, 0x7030c0c
	s_set_vgpr_msb 0                        ;  msbs: dst=0 src0=0 src1=0 src2=0
	v_perm_b32 v130, v131, v130, 0x7030c0c
	s_set_vgpr_msb 4                        ;  msbs: dst=0 src0=0 src1=1 src2=0
	v_lshlrev_b32_e32 v131, 16, v8 /*v264*/
	s_set_vgpr_msb 0                        ;  msbs: dst=0 src0=0 src1=0 src2=0
	v_dot4_i32_iu8 v230, v232, v244, v230 neg_lo:[1,1,0]
	v_or_b32_e32 v224, v248, v224
	s_set_vgpr_msb 4                        ;  msbs: dst=0 src0=0 src1=1 src2=0
	v_lshlrev_b32_e32 v232, 16, v4 /*v260*/
	s_set_vgpr_msb 0                        ;  msbs: dst=0 src0=0 src1=0 src2=0
	v_perm_b32 v135, v219, v135, 0x7030c0c
	s_set_vgpr_msb 4                        ;  msbs: dst=0 src0=0 src1=1 src2=0
	v_lshlrev_b32_e32 v219, 8, v8 /*v264*/
	s_set_vgpr_msb 0                        ;  msbs: dst=0 src0=0 src1=0 src2=0
	v_perm_b32 v128, v247, v128, 0x7030c0c
	v_perm_b32 v139, v139, v139, 0xc0c0003
	s_set_vgpr_msb 5                        ;  msbs: dst=0 src0=1 src1=1 src2=0
	v_perm_b32 v247, v31 /*v287*/, v30 /*v286*/, 0x7030c0c
	s_set_vgpr_msb 0                        ;  msbs: dst=0 src0=0 src1=0 src2=0
	v_dot4_i32_iu8 v217, v224, v244, v217 neg_lo:[1,1,0]
	s_set_vgpr_msb 5                        ;  msbs: dst=0 src0=1 src1=1 src2=0
	v_perm_b32 v244, v28 /*v284*/, v27 /*v283*/, 0x7030c0c
	s_set_vgpr_msb 0                        ;  msbs: dst=0 src0=0 src1=0 src2=0
	v_perm_b32 v231, v245, v231, 0x7030c0c
	s_set_vgpr_msb 5                        ;  msbs: dst=0 src0=1 src1=1 src2=0
	v_perm_b32 v245, v8 /*v264*/, v8 /*v264*/, 0xc0c0003
	s_set_vgpr_msb 0                        ;  msbs: dst=0 src0=0 src1=0 src2=0
	v_dot4_i32_iu8 v132, v218, v87, v132 neg_lo:[1,1,0]
	s_set_vgpr_msb 4                        ;  msbs: dst=0 src0=0 src1=1 src2=0
	v_dual_lshlrev_b32 v218, 16, v16 /*v272*/ :: v_dual_bitop2_b32 v244, v244, v38 /*v294*/ bitop3:0x54
	v_dual_lshlrev_b32 v250, 8, v16 /*v272*/ :: v_dual_bitop2_b32 v247, v247, v39 /*v295*/ bitop3:0x54
	s_set_vgpr_msb 0                        ;  msbs: dst=0 src0=0 src1=0 src2=0
	v_perm_b32 v137, v137, v137, 0xc0c0003
	v_or_b32_e32 v141, v215, v141
	v_perm_b32 v215, v249, v232, 0x7030c0c
	s_set_vgpr_msb 4                        ;  msbs: dst=0 src0=0 src1=1 src2=0
	v_perm_b32 v232, v232, v4 /*v260*/, 0xc0c0700
	s_set_vgpr_msb 1                        ;  msbs: dst=0 src0=1 src1=0 src2=0
	v_perm_b32 v249, v6 /*v262*/, v249, 0x7030c0c
	s_set_vgpr_msb 0                        ;  msbs: dst=0 src0=0 src1=0 src2=0
	v_dual_add_nc_u32 v184, 4, v184 :: v_dual_bitop2_b32 v139, v130, v139 bitop3:0x54
	v_perm_b32 v130, v219, v131, 0x7030c0c
	s_set_vgpr_msb 0x44                     ;  msbs: dst=1 src0=0 src1=1 src2=0
	v_dual_lshlrev_b32 v63 /*v319*/, 16, v0 /*v256*/ :: v_dual_lshlrev_b32 v64 /*v320*/, 8, v0 /*v256*/
	s_set_vgpr_msb 0                        ;  msbs: dst=0 src0=0 src1=0 src2=0
	v_perm_b32 v145, v145, v145, 0xc0c0003
	v_perm_b32 v228, v229, v228, 0x7030c0c
	s_set_vgpr_msb 1                        ;  msbs: dst=0 src0=1 src1=0 src2=0
	v_perm_b32 v252, v30 /*v286*/, v252, 0xc0c0700
	s_set_vgpr_msb 0x44                     ;  msbs: dst=1 src0=0 src1=1 src2=0
	v_perm_b32 v27 /*v283*/, v254, v31 /*v287*/, 0x7030c0c
	s_set_vgpr_msb 0                        ;  msbs: dst=0 src0=0 src1=0 src2=0
	v_dual_add_nc_u32 v185, 4, v185 :: v_dual_bitop2_b32 v232, v249, v232 bitop3:0x54
	v_or_b32_e32 v249, v130, v245
	v_or_b32_e32 v135, v135, v137
	v_perm_b32 v137, v250, v218, 0x7030c0c
	s_set_vgpr_msb 4                        ;  msbs: dst=0 src0=0 src1=1 src2=0
	v_perm_b32 v218, v218, v16 /*v272*/, 0xc0c0700
	s_set_vgpr_msb 1                        ;  msbs: dst=0 src0=1 src1=0 src2=0
	v_perm_b32 v245, v18 /*v274*/, v250, 0x7030c0c
	s_set_vgpr_msb 64                       ;  msbs: dst=1 src0=0 src1=0 src2=0
	v_perm_b32 v42 /*v298*/, v223, v222, 0x7020100
	s_set_vgpr_msb 5                        ;  msbs: dst=0 src0=1 src1=1 src2=0
	v_perm_b32 v224, v0 /*v256*/, v0 /*v256*/, 0xc0c0003
	v_perm_b32 v229, v4 /*v260*/, v4 /*v260*/, 0xc0c0003
	s_set_vgpr_msb 1                        ;  msbs: dst=0 src0=1 src1=0 src2=0
	v_dual_add_nc_u32 v187, 4, v187 :: v_dual_bitop2_b32 v252, v27 /*v283*/, v252 bitop3:0x54
	s_set_vgpr_msb 0                        ;  msbs: dst=0 src0=0 src1=0 src2=0
	v_or_b32_e32 v145, v228, v145
	s_set_vgpr_msb 5                        ;  msbs: dst=0 src0=1 src1=1 src2=0
	v_perm_b32 v228, v64 /*v320*/, v63 /*v319*/, 0x7030c0c
	s_set_vgpr_msb 0x45                     ;  msbs: dst=1 src0=1 src1=1 src2=0
	v_perm_b32 v0 /*v256*/, v63 /*v319*/, v0 /*v256*/, 0xc0c0700
	v_perm_b32 v27 /*v283*/, v2 /*v258*/, v64 /*v320*/, 0x7030c0c
	s_set_vgpr_msb 0                        ;  msbs: dst=0 src0=0 src1=0 src2=0
	v_or_b32_e32 v218, v245, v218
	s_set_vgpr_msb 0x44                     ;  msbs: dst=1 src0=0 src1=1 src2=0
	v_lshlrev_b32_e32 v65 /*v321*/, 16, v2 /*v258*/
	s_set_vgpr_msb 0                        ;  msbs: dst=0 src0=0 src1=0 src2=0
	v_dual_add_nc_u32 v186, 4, v186 :: v_dual_bitop2_b32 v224, v228, v224 bitop3:0x54
	s_set_vgpr_msb 5                        ;  msbs: dst=0 src0=1 src1=1 src2=0
	v_perm_b32 v228, v16 /*v272*/, v16 /*v272*/, 0xc0c0003
	s_set_vgpr_msb 0x45                     ;  msbs: dst=1 src0=1 src1=1 src2=0
	v_or_b32_e32 v0 /*v256*/, v27 /*v283*/, v0 /*v256*/
	v_dual_lshlrev_b32 v27 /*v283*/, 16, v20 /*v276*/ :: v_dual_lshlrev_b32 v4 /*v260*/, 16, v1 /*v257*/
	s_set_vgpr_msb 0                        ;  msbs: dst=0 src0=0 src1=0 src2=0
	v_or_b32_e32 v215, v215, v229
	s_set_vgpr_msb 4                        ;  msbs: dst=0 src0=0 src1=1 src2=0
	v_lshlrev_b32_e32 v229, 8, v20 /*v276*/
	v_perm_b32 v131, v131, v8 /*v264*/, 0xc0c0700
	s_set_vgpr_msb 1                        ;  msbs: dst=0 src0=1 src1=0 src2=0
	v_perm_b32 v219, v14 /*v270*/, v219, 0x7030c0c
	s_set_vgpr_msb 4                        ;  msbs: dst=0 src0=0 src1=1 src2=0
	v_dot4_i32_iu8 v218, v218, v42 /*v298*/, v221 neg_lo:[1,1,0]
	s_set_vgpr_msb 0                        ;  msbs: dst=0 src0=0 src1=0 src2=0
	v_dot4_i32_iu8 v221, v139, v233, 0 neg_lo:[1,1,0]
	v_add_nc_u32_e32 v211, 0x4118, v183
	v_add_nc_u32_e32 v208, 0x6198, v183
	s_set_vgpr_msb 5                        ;  msbs: dst=0 src0=1 src1=1 src2=0
	v_perm_b32 v130, v20 /*v276*/, v20 /*v276*/, 0xc0c0003
	s_set_vgpr_msb 0                        ;  msbs: dst=0 src0=0 src1=0 src2=0
	v_dual_add_nc_u32 v181, 4, v181 :: v_dual_bitop2_b32 v131, v219, v131 bitop3:0x54
	s_set_vgpr_msb 4                        ;  msbs: dst=0 src0=0 src1=1 src2=0
	v_lshlrev_b32_e32 v219, 16, v32 /*v288*/
	s_set_vgpr_msb 0                        ;  msbs: dst=0 src0=0 src1=0 src2=0
	v_or_b32_e32 v137, v137, v228
	s_set_vgpr_msb 5                        ;  msbs: dst=0 src0=1 src1=1 src2=0
	v_lshlrev_b32_e32 v228, 8, v32 /*v288*/
	v_perm_b32 v245, v27 /*v283*/, v20 /*v276*/, 0xc0c0700
	s_set_vgpr_msb 0                        ;  msbs: dst=0 src0=0 src1=0 src2=0
	v_add_nc_u32_e32 v183, 32, v183
	s_set_vgpr_msb 64                       ;  msbs: dst=1 src0=0 src1=0 src2=0
	v_dot4_i32_iu8 v30 /*v286*/, v249, v234, v221 neg_lo:[1,1,0]
	s_set_vgpr_msb 4                        ;  msbs: dst=0 src0=0 src1=1 src2=0
	v_lshlrev_b32_e32 v221, 16, v6 /*v262*/
	v_perm_b32 v250, v229, v27 /*v283*/, 0x7030c0c
	s_set_vgpr_msb 1                        ;  msbs: dst=0 src0=1 src1=0 src2=0
	v_perm_b32 v229, v22 /*v278*/, v229, 0x7030c0c
	s_set_vgpr_msb 0                        ;  msbs: dst=0 src0=0 src1=0 src2=0
	v_perm_b32 v243, v243, v243, 0xc0c0003
	v_perm_b32 v251, v223, v223, 0xc0c0100
	s_set_vgpr_msb 64                       ;  msbs: dst=1 src0=0 src1=0 src2=0
	v_perm_b32 v52 /*v308*/, v225, v225, 0xc0c0100
	s_set_vgpr_msb 0                        ;  msbs: dst=0 src0=0 src1=0 src2=0
	v_or_b32_e32 v250, v250, v130
	v_or_b32_e32 v229, v229, v245
	s_set_vgpr_msb 5                        ;  msbs: dst=0 src0=1 src1=1 src2=0
	v_perm_b32 v245, v11 /*v267*/, v11 /*v267*/, 0xc0c0003
	s_set_vgpr_msb 4                        ;  msbs: dst=0 src0=0 src1=1 src2=0
	v_perm_b32 v130, v219, v32 /*v288*/, 0xc0c0700
	s_set_vgpr_msb 0                        ;  msbs: dst=0 src0=0 src1=0 src2=0
	v_perm_b32 v219, v228, v219, 0x7030c0c
	s_wait_dscnt 0x1
	s_set_vgpr_msb 1                        ;  msbs: dst=0 src0=1 src1=0 src2=0
	v_perm_b32 v228, v46 /*v302*/, v228, 0x7030c0c
	s_set_vgpr_msb 0                        ;  msbs: dst=0 src0=0 src1=0 src2=0
	v_or_b32_e32 v128, v128, v243
	s_set_vgpr_msb 5                        ;  msbs: dst=0 src0=1 src1=1 src2=0
	v_perm_b32 v243, v32 /*v288*/, v32 /*v288*/, 0xc0c0003
	s_set_vgpr_msb 0                        ;  msbs: dst=0 src0=0 src1=0 src2=0
	v_or_b32_e32 v231, v231, v245
	v_perm_b32 v87, v87, v87, 0x2010003
	v_or_b32_e32 v228, v228, v130
	v_dot4_i32_iu8 v130, v220, v222, v132 neg_lo:[1,1,0]
	s_set_vgpr_msb 4                        ;  msbs: dst=0 src0=0 src1=1 src2=0
	v_dot4_i32_iu8 v147, v252, v42 /*v298*/, v147 neg_lo:[1,1,0]
	s_set_vgpr_msb 5                        ;  msbs: dst=0 src0=1 src1=1 src2=0
	v_dot4_i32_iu8 v226, v0 /*v256*/, v42 /*v298*/, v226 neg_lo:[1,1,0]
	s_set_vgpr_msb 4                        ;  msbs: dst=0 src0=0 src1=1 src2=0
	v_dot4_i32_iu8 v232, v232, v42 /*v298*/, v236 neg_lo:[1,1,0]
	s_set_vgpr_msb 0                        ;  msbs: dst=0 src0=0 src1=0 src2=0
	v_dot4_i32_iu8 v236, v141, v233, 0 neg_lo:[1,1,0]
	s_set_vgpr_msb 4                        ;  msbs: dst=0 src0=0 src1=1 src2=0
	v_dot4_i32_iu8 v252, v131, v42 /*v298*/, v134 neg_lo:[1,1,0]
	v_dot4_i32_iu8 v134, v141, v48 /*v304*/, 0 neg_lo:[1,1,0]
	;; [unrolled: 1-line block ×3, first 2 shown]
	s_set_vgpr_msb 0x44                     ;  msbs: dst=1 src0=0 src1=1 src2=0
	v_dot4_i32_iu8 v0 /*v256*/, v139, v48 /*v304*/, 0 neg_lo:[1,1,0]
	s_set_vgpr_msb 4                        ;  msbs: dst=0 src0=0 src1=1 src2=0
	v_dot4_i32_iu8 v139, v139, v54 /*v310*/, 0 neg_lo:[1,1,0]
	s_set_vgpr_msb 64                       ;  msbs: dst=1 src0=0 src1=0 src2=0
	v_dual_lshlrev_b32 v34 /*v290*/, 16, v254 :: v_dual_lshlrev_b32 v35 /*v291*/, 8, v254
	v_perm_b32 v50 /*v306*/, v225, v225, 0x2010003
	s_set_vgpr_msb 0                        ;  msbs: dst=0 src0=0 src1=0 src2=0
	v_perm_b32 v225, v225, v225, 0xc0c0302
	s_set_vgpr_msb 64                       ;  msbs: dst=1 src0=0 src1=0 src2=0
	v_perm_b32 v60 /*v316*/, v227, v227, 0xc0c0100
	s_set_vgpr_msb 4                        ;  msbs: dst=0 src0=0 src1=1 src2=0
	v_lshlrev_b32_e32 v248, 8, v2 /*v258*/
	s_set_vgpr_msb 0                        ;  msbs: dst=0 src0=0 src1=0 src2=0
	v_or_b32_e32 v219, v219, v243
	s_set_vgpr_msb 1                        ;  msbs: dst=0 src0=1 src1=0 src2=0
	v_dot4_i32_iu8 v220, v12 /*v268*/, v251, v130 neg_lo:[1,1,0]
	v_dot4_i32_iu8 v83, v12 /*v268*/, v237, v83 neg_lo:[1,1,0]
	s_set_vgpr_msb 5                        ;  msbs: dst=0 src0=1 src1=1 src2=0
	v_dot4_i32_iu8 v95, v12 /*v268*/, v52 /*v308*/, v95 neg_lo:[1,1,0]
	s_set_vgpr_msb 0                        ;  msbs: dst=0 src0=0 src1=0 src2=0
	v_dot4_i32_iu8 v132, v244, v233, 0 neg_lo:[1,1,0]
	s_set_vgpr_msb 4                        ;  msbs: dst=0 src0=0 src1=1 src2=0
	v_dot4_i32_iu8 v237, v244, v48 /*v304*/, 0 neg_lo:[1,1,0]
	v_dot4_i32_iu8 v243, v244, v54 /*v310*/, 0 neg_lo:[1,1,0]
	s_set_vgpr_msb 0                        ;  msbs: dst=0 src0=0 src1=0 src2=0
	v_dot4_i32_iu8 v229, v229, v246, v230 neg_lo:[1,1,0]
	s_set_vgpr_msb 4                        ;  msbs: dst=0 src0=0 src1=1 src2=0
	v_dot4_i32_iu8 v230, v135, v48 /*v304*/, 0 neg_lo:[1,1,0]
	s_set_vgpr_msb 0                        ;  msbs: dst=0 src0=0 src1=0 src2=0
	v_dot4_i32_iu8 v217, v228, v246, v217 neg_lo:[1,1,0]
	v_dot4_i32_iu8 v228, v128, v87, 0 neg_lo:[1,1,0]
	;; [unrolled: 1-line block ×3, first 2 shown]
	s_set_vgpr_msb 0x44                     ;  msbs: dst=1 src0=0 src1=1 src2=0
	v_dot4_i32_iu8 v29 /*v285*/, v215, v55 /*v311*/, v141 neg_lo:[1,1,0]
	s_set_vgpr_msb 0x54                     ;  msbs: dst=1 src0=0 src1=1 src2=1
	v_dot4_i32_iu8 v0 /*v256*/, v249, v49 /*v305*/, v0 /*v256*/ neg_lo:[1,1,0]
	s_set_vgpr_msb 4                        ;  msbs: dst=0 src0=0 src1=1 src2=0
	v_dot4_i32_iu8 v139, v249, v55 /*v311*/, v139 neg_lo:[1,1,0]
	s_set_vgpr_msb 0                        ;  msbs: dst=0 src0=0 src1=0 src2=0
	v_perm_b32 v141, v222, v222, 0x2010003
	v_lshlrev_b32_e32 v249, 8, v140
	v_dot4_i32_iu8 v244, v145, v233, 0 neg_lo:[1,1,0]
	s_set_vgpr_msb 4                        ;  msbs: dst=0 src0=0 src1=1 src2=0
	v_dot4_i32_iu8 v251, v145, v48 /*v304*/, 0 neg_lo:[1,1,0]
	v_dot4_i32_iu8 v145, v145, v54 /*v310*/, 0 neg_lo:[1,1,0]
	s_set_vgpr_msb 0                        ;  msbs: dst=0 src0=0 src1=0 src2=0
	v_dot4_i32_iu8 v233, v135, v233, 0 neg_lo:[1,1,0]
	s_set_vgpr_msb 4                        ;  msbs: dst=0 src0=0 src1=1 src2=0
	v_dot4_i32_iu8 v135, v135, v54 /*v310*/, 0 neg_lo:[1,1,0]
	s_set_vgpr_msb 5                        ;  msbs: dst=0 src0=1 src1=1 src2=0
	v_dot4_i32_iu8 v97, v12 /*v268*/, v60 /*v316*/, v97 neg_lo:[1,1,0]
	s_set_vgpr_msb 0x45                     ;  msbs: dst=1 src0=1 src1=1 src2=0
	v_perm_b32 v12 /*v268*/, v2 /*v258*/, v2 /*v258*/, 0xc0c0003
	s_set_vgpr_msb 64                       ;  msbs: dst=1 src0=0 src1=0 src2=0
	v_dot4_i32_iu8 v16 /*v272*/, v247, v234, v132 neg_lo:[1,1,0]
	v_dot4_i32_iu8 v27 /*v283*/, v224, v234, v244 neg_lo:[1,1,0]
	s_set_vgpr_msb 4                        ;  msbs: dst=0 src0=0 src1=1 src2=0
	v_dot4_i32_iu8 v251, v224, v49 /*v305*/, v251 neg_lo:[1,1,0]
	v_dot4_i32_iu8 v224, v224, v55 /*v311*/, v145 neg_lo:[1,1,0]
	s_set_vgpr_msb 0                        ;  msbs: dst=0 src0=0 src1=0 src2=0
	v_dot4_i32_iu8 v236, v215, v234, v236 neg_lo:[1,1,0]
	v_dot4_i32_iu8 v233, v137, v234, v233 neg_lo:[1,1,0]
	s_set_vgpr_msb 4                        ;  msbs: dst=0 src0=0 src1=1 src2=0
	v_dot4_i32_iu8 v230, v137, v49 /*v305*/, v230 neg_lo:[1,1,0]
	v_dot4_i32_iu8 v234, v137, v55 /*v311*/, v135 neg_lo:[1,1,0]
	s_set_vgpr_msb 64                       ;  msbs: dst=1 src0=0 src1=0 src2=0
	v_dot4_i32_iu8 v31 /*v287*/, v250, v141, v228 neg_lo:[1,1,0]
	s_set_vgpr_msb 4                        ;  msbs: dst=0 src0=0 src1=1 src2=0
	v_dual_lshlrev_b32 v222, 16, v14 /*v270*/ :: v_dual_lshlrev_b32 v228, 8, v14 /*v270*/
	s_set_vgpr_msb 0                        ;  msbs: dst=0 src0=0 src1=0 src2=0
	v_dot4_i32_iu8 v87, v219, v141, v87 neg_lo:[1,1,0]
	s_set_vgpr_msb 1                        ;  msbs: dst=0 src0=1 src1=0 src2=0
	v_perm_b32 v137, v34 /*v290*/, v254, 0xc0c0700
	s_set_vgpr_msb 4                        ;  msbs: dst=0 src0=0 src1=1 src2=0
	v_perm_b32 v141, v253, v35 /*v291*/, 0x7030c0c
	s_set_vgpr_msb 5                        ;  msbs: dst=0 src0=1 src1=1 src2=0
	v_perm_b32 v145, v65 /*v321*/, v2 /*v258*/, 0xc0c0700
	s_set_vgpr_msb 0x41                     ;  msbs: dst=1 src0=1 src1=0 src2=0
	v_dot4_i32_iu8 v2 /*v258*/, v24 /*v280*/, v225, v95 neg_lo:[1,1,0]
	s_set_vgpr_msb 1                        ;  msbs: dst=0 src0=1 src1=0 src2=0
	v_perm_b32 v95, v1 /*v257*/, v248, 0x7030c0c
	s_set_vgpr_msb 64                       ;  msbs: dst=1 src0=0 src1=0 src2=0
	v_perm_b32 v13 /*v269*/, v223, v223, 0xc0c0302
	s_set_vgpr_msb 0                        ;  msbs: dst=0 src0=0 src1=0 src2=0
	v_or_b32_e32 v137, v141, v137
	s_set_vgpr_msb 4                        ;  msbs: dst=0 src0=0 src1=1 src2=0
	v_perm_b32 v141, v222, v14 /*v270*/, 0xc0c0700
	s_set_vgpr_msb 64                       ;  msbs: dst=1 src0=0 src1=0 src2=0
	v_perm_b32 v43 /*v299*/, v240, v223, 0x7020100
	s_set_vgpr_msb 0                        ;  msbs: dst=0 src0=0 src1=0 src2=0
	v_or_b32_e32 v95, v95, v145
	s_set_vgpr_msb 1                        ;  msbs: dst=0 src0=1 src1=0 src2=0
	v_perm_b32 v145, v9 /*v265*/, v228, 0x7030c0c
	s_set_vgpr_msb 4                        ;  msbs: dst=0 src0=0 src1=1 src2=0
	v_dot4_i32_iu8 v246, v128, v48 /*v304*/, 0 neg_lo:[1,1,0]
	s_set_vgpr_msb 0x44                     ;  msbs: dst=1 src0=0 src1=1 src2=0
	v_dot4_i32_iu8 v11 /*v267*/, v231, v48 /*v304*/, 0 neg_lo:[1,1,0]
	s_set_vgpr_msb 4                        ;  msbs: dst=0 src0=0 src1=1 src2=0
	v_dot4_i32_iu8 v231, v231, v54 /*v310*/, 0 neg_lo:[1,1,0]
	v_lshlrev_b32_e32 v135, 8, v6 /*v262*/
	s_set_vgpr_msb 0                        ;  msbs: dst=0 src0=0 src1=0 src2=0
	v_or_b32_e32 v141, v145, v141
	s_set_vgpr_msb 64                       ;  msbs: dst=1 src0=0 src1=0 src2=0
	v_perm_b32 v40 /*v296*/, v254, v254, 0xc0c0003
	s_set_vgpr_msb 0x44                     ;  msbs: dst=1 src0=0 src1=1 src2=0
	v_dot4_i32_iu8 v28 /*v284*/, v215, v49 /*v305*/, v134 neg_lo:[1,1,0]
	v_dot4_i32_iu8 v32 /*v288*/, v250, v49 /*v305*/, v246 neg_lo:[1,1,0]
	s_set_vgpr_msb 0x54                     ;  msbs: dst=1 src0=0 src1=1 src2=1
	v_dot4_i32_iu8 v11 /*v267*/, v219, v49 /*v305*/, v11 /*v267*/ neg_lo:[1,1,0]
	s_set_vgpr_msb 4                        ;  msbs: dst=0 src0=0 src1=1 src2=0
	v_lshlrev_b32_e32 v246, 16, v18 /*v274*/
	s_set_vgpr_msb 0x44                     ;  msbs: dst=1 src0=0 src1=1 src2=0
	v_dot4_i32_iu8 v48 /*v304*/, v219, v55 /*v311*/, v231 neg_lo:[1,1,0]
	s_set_vgpr_msb 5                        ;  msbs: dst=0 src0=1 src1=1 src2=0
	v_lshlrev_b32_e32 v219, 8, v18 /*v274*/
	v_dot4_i32_iu8 v254, v24 /*v280*/, v13 /*v269*/, v220 neg_lo:[1,1,0]
	s_set_vgpr_msb 4                        ;  msbs: dst=0 src0=0 src1=1 src2=0
	v_perm_b32 v215, v221, v6 /*v262*/, 0xc0c0700
	v_dot4_i32_iu8 v141, v141, v43 /*v299*/, v252 neg_lo:[1,1,0]
	v_lshlrev_b32_e32 v252, 16, v5 /*v261*/
	s_set_vgpr_msb 1                        ;  msbs: dst=0 src0=1 src1=0 src2=0
	v_perm_b32 v220, v5 /*v261*/, v135, 0x7030c0c
	v_perm_b32 v145, v17 /*v273*/, v219, 0x7030c0c
	s_set_vgpr_msb 64                       ;  msbs: dst=1 src0=0 src1=0 src2=0
	v_perm_b32 v56 /*v312*/, v227, v227, 0x2010003
	s_set_vgpr_msb 0                        ;  msbs: dst=0 src0=0 src1=0 src2=0
	v_perm_b32 v227, v227, v227, 0xc0c0302
	s_set_vgpr_msb 4                        ;  msbs: dst=0 src0=0 src1=1 src2=0
	v_lshlrev_b32_e32 v225, 8, v22 /*v278*/
	s_set_vgpr_msb 0                        ;  msbs: dst=0 src0=0 src1=0 src2=0
	v_or_b32_e32 v215, v220, v215
	s_set_vgpr_msb 4                        ;  msbs: dst=0 src0=0 src1=1 src2=0
	v_perm_b32 v220, v246, v18 /*v274*/, 0xc0c0700
	s_set_vgpr_msb 0x44                     ;  msbs: dst=1 src0=0 src1=1 src2=0
	v_dot4_i32_iu8 v20 /*v276*/, v247, v55 /*v311*/, v243 neg_lo:[1,1,0]
	s_set_vgpr_msb 1                        ;  msbs: dst=0 src0=1 src1=0 src2=0
	v_dot4_i32_iu8 v97, v24 /*v280*/, v227, v97 neg_lo:[1,1,0]
	s_set_vgpr_msb 4                        ;  msbs: dst=0 src0=0 src1=1 src2=0
	v_dot4_i32_iu8 v244, v137, v43 /*v299*/, v147 neg_lo:[1,1,0]
	v_dot4_i32_iu8 v243, v95, v43 /*v299*/, v226 neg_lo:[1,1,0]
	s_set_vgpr_msb 0                        ;  msbs: dst=0 src0=0 src1=0 src2=0
	v_or_b32_e32 v145, v145, v220
	s_set_vgpr_msb 4                        ;  msbs: dst=0 src0=0 src1=1 src2=0
	v_lshlrev_b32_e32 v220, 16, v22 /*v278*/
	v_dual_lshlrev_b32 v226, 16, v46 /*v302*/ :: v_dual_lshlrev_b32 v227, 8, v46 /*v302*/
	v_dot4_i32_iu8 v147, v215, v43 /*v299*/, v232 neg_lo:[1,1,0]
	v_dot4_i32_iu8 v95, v145, v43 /*v299*/, v218 neg_lo:[1,1,0]
	s_delay_alu instid0(VALU_DEP_4)
	v_perm_b32 v137, v220, v22 /*v278*/, 0xc0c0700
	s_set_vgpr_msb 1                        ;  msbs: dst=0 src0=1 src1=0 src2=0
	v_perm_b32 v145, v21 /*v277*/, v225, 0x7030c0c
	s_set_vgpr_msb 4                        ;  msbs: dst=0 src0=0 src1=1 src2=0
	v_perm_b32 v215, v226, v46 /*v302*/, 0xc0c0700
	v_perm_b32 v218, v248, v65 /*v321*/, 0x7030c0c
	s_set_vgpr_msb 0                        ;  msbs: dst=0 src0=0 src1=0 src2=0
	v_perm_b32 v135, v135, v221, 0x7030c0c
	v_perm_b32 v221, v228, v222, 0x7030c0c
	v_or_b32_e32 v137, v145, v137
	s_set_vgpr_msb 1                        ;  msbs: dst=0 src0=1 src1=0 src2=0
	v_perm_b32 v145, v33 /*v289*/, v227, 0x7030c0c
	s_set_vgpr_msb 0                        ;  msbs: dst=0 src0=0 src1=0 src2=0
	v_perm_b32 v220, v225, v220, 0x7030c0c
	s_set_vgpr_msb 5                        ;  msbs: dst=0 src0=1 src1=1 src2=0
	v_perm_b32 v225, v14 /*v270*/, v14 /*v270*/, 0xc0c0003
	s_set_vgpr_msb 4                        ;  msbs: dst=0 src0=0 src1=1 src2=0
	v_dot4_i32_iu8 v128, v128, v54 /*v310*/, 0 neg_lo:[1,1,0]
	s_set_vgpr_msb 0                        ;  msbs: dst=0 src0=0 src1=0 src2=0
	v_perm_b32 v219, v219, v246, 0x7030c0c
	v_or_b32_e32 v145, v145, v215
	v_dot4_i32_iu8 v215, v137, v129, v229 neg_lo:[1,1,0]
	v_perm_b32 v222, v227, v226, 0x7030c0c
	s_set_vgpr_msb 4                        ;  msbs: dst=0 src0=0 src1=1 src2=0
	v_or_b32_e32 v226, v218, v12 /*v268*/
	s_set_vgpr_msb 5                        ;  msbs: dst=0 src0=1 src1=1 src2=0
	v_perm_b32 v218, v18 /*v274*/, v18 /*v274*/, 0xc0c0003
	s_set_vgpr_msb 0                        ;  msbs: dst=0 src0=0 src1=0 src2=0
	v_dot4_i32_iu8 v145, v145, v129, v217 neg_lo:[1,1,0]
	v_perm_b32 v129, v223, v223, 0x2010003
	s_set_vgpr_msb 5                        ;  msbs: dst=0 src0=1 src1=1 src2=0
	v_perm_b32 v223, v6 /*v262*/, v6 /*v262*/, 0xc0c0003
	v_perm_b32 v217, v35 /*v291*/, v34 /*v290*/, 0x7030c0c
	s_set_vgpr_msb 0                        ;  msbs: dst=0 src0=0 src1=0 src2=0
	v_or_b32_e32 v227, v221, v225
	s_set_vgpr_msb 5                        ;  msbs: dst=0 src0=1 src1=1 src2=0
	v_perm_b32 v221, v46 /*v302*/, v46 /*v302*/, 0xc0c0003
	s_set_vgpr_msb 64                       ;  msbs: dst=1 src0=0 src1=0 src2=0
	v_dual_lshlrev_b32 v36 /*v292*/, 16, v253 :: v_dual_lshlrev_b32 v37 /*v293*/, 8, v253
	s_set_vgpr_msb 0                        ;  msbs: dst=0 src0=0 src1=0 src2=0
	v_or_b32_e32 v223, v135, v223
	s_set_vgpr_msb 5                        ;  msbs: dst=0 src0=1 src1=1 src2=0
	v_perm_b32 v135, v22 /*v278*/, v22 /*v278*/, 0xc0c0003
	s_set_vgpr_msb 4                        ;  msbs: dst=0 src0=0 src1=1 src2=0
	v_dot4_i32_iu8 v237, v247, v49 /*v305*/, v237 neg_lo:[1,1,0]
	v_dot4_i32_iu8 v128, v250, v55 /*v311*/, v128 neg_lo:[1,1,0]
	s_set_vgpr_msb 1                        ;  msbs: dst=0 src0=1 src1=0 src2=0
	v_dot4_i32_iu8 v83, v24 /*v280*/, v238, v83 neg_lo:[1,1,0]
	s_set_vgpr_msb 4                        ;  msbs: dst=0 src0=0 src1=1 src2=0
	v_or_b32_e32 v217, v217, v40 /*v296*/
	s_set_vgpr_msb 16                       ;  msbs: dst=0 src0=0 src1=0 src2=1
	v_or_b32_e32 v229, v219, v218
	v_or_b32_e32 v232, v220, v135
	v_or_b32_e32 v238, v222, v221
	v_perm_b32 v196, v241, v241, 0xc0c0100
	v_perm_b32 v191, v241, v241, 0xc0c0302
	;; [unrolled: 1-line block ×4, first 2 shown]
	v_dot4_i32_iu8 v218, v226, v235, v27 /*v283*/ neg_lo:[1,1,0]
	s_set_vgpr_msb 4                        ;  msbs: dst=0 src0=0 src1=1 src2=0
	v_dot4_i32_iu8 v219, v226, v50 /*v306*/, v251 neg_lo:[1,1,0]
	v_dot4_i32_iu8 v220, v226, v56 /*v312*/, v224 neg_lo:[1,1,0]
	s_set_vgpr_msb 0                        ;  msbs: dst=0 src0=0 src1=0 src2=0
	v_dot4_i32_iu8 v225, v223, v235, v236 neg_lo:[1,1,0]
	s_set_vgpr_msb 20                       ;  msbs: dst=0 src0=0 src1=1 src2=1
	v_dot4_i32_iu8 v221, v223, v50 /*v306*/, v28 /*v284*/ neg_lo:[1,1,0]
	v_dot4_i32_iu8 v222, v223, v56 /*v312*/, v29 /*v285*/ neg_lo:[1,1,0]
	s_set_vgpr_msb 16                       ;  msbs: dst=0 src0=0 src1=0 src2=1
	v_dot4_i32_iu8 v226, v227, v235, v30 /*v286*/ neg_lo:[1,1,0]
	s_set_vgpr_msb 20                       ;  msbs: dst=0 src0=0 src1=1 src2=1
	v_dot4_i32_iu8 v223, v227, v50 /*v306*/, v0 /*v256*/ neg_lo:[1,1,0]
	s_set_vgpr_msb 4                        ;  msbs: dst=0 src0=0 src1=1 src2=0
	v_dot4_i32_iu8 v224, v227, v56 /*v312*/, v139 neg_lo:[1,1,0]
	s_set_vgpr_msb 0                        ;  msbs: dst=0 src0=0 src1=0 src2=0
	v_dot4_i32_iu8 v227, v229, v235, v233 neg_lo:[1,1,0]
	s_set_vgpr_msb 4                        ;  msbs: dst=0 src0=0 src1=1 src2=0
	v_dot4_i32_iu8 v228, v229, v50 /*v306*/, v230 neg_lo:[1,1,0]
	s_set_vgpr_msb 16                       ;  msbs: dst=0 src0=0 src1=0 src2=1
	v_dot4_i32_iu8 v230, v232, v129, v31 /*v287*/ neg_lo:[1,1,0]
	s_set_vgpr_msb 20                       ;  msbs: dst=0 src0=0 src1=1 src2=1
	v_dot4_i32_iu8 v231, v232, v50 /*v306*/, v32 /*v288*/ neg_lo:[1,1,0]
	s_set_vgpr_msb 4                        ;  msbs: dst=0 src0=0 src1=1 src2=0
	v_dot4_i32_iu8 v232, v232, v56 /*v312*/, v128 neg_lo:[1,1,0]
	s_set_vgpr_msb 0                        ;  msbs: dst=0 src0=0 src1=0 src2=0
	v_dot4_i32_iu8 v233, v238, v129, v87 neg_lo:[1,1,0]
	s_set_vgpr_msb 4                        ;  msbs: dst=0 src0=0 src1=1 src2=0
	v_lshlrev_b32_e32 v87, 8, v19 /*v275*/
	s_set_vgpr_msb 16                       ;  msbs: dst=0 src0=0 src1=0 src2=1
	v_dot4_i32_iu8 v246, v217, v235, v16 /*v272*/ neg_lo:[1,1,0]
	s_set_vgpr_msb 4                        ;  msbs: dst=0 src0=0 src1=1 src2=0
	v_dot4_i32_iu8 v247, v217, v50 /*v306*/, v237 neg_lo:[1,1,0]
	s_set_vgpr_msb 20                       ;  msbs: dst=0 src0=0 src1=1 src2=1
	v_dot4_i32_iu8 v248, v217, v56 /*v312*/, v20 /*v276*/ neg_lo:[1,1,0]
	s_set_vgpr_msb 5                        ;  msbs: dst=0 src0=1 src1=1 src2=0
	v_dot4_i32_iu8 v237, v26 /*v282*/, v61 /*v317*/, v97 neg_lo:[1,1,0]
	v_lshlrev_b32_e32 v97, 16, v23 /*v279*/
	s_set_vgpr_msb 0                        ;  msbs: dst=0 src0=0 src1=0 src2=0
	v_perm_b32 v217, v241, v241, 0x2010003
	s_set_vgpr_msb 4                        ;  msbs: dst=0 src0=0 src1=1 src2=0
	v_lshlrev_b32_e32 v241, 8, v23 /*v279*/
	s_set_vgpr_msb 1                        ;  msbs: dst=0 src0=1 src1=0 src2=0
	v_perm_b32 v128, v36 /*v292*/, v253, 0xc0c0700
	s_set_vgpr_msb 4                        ;  msbs: dst=0 src0=0 src1=1 src2=0
	v_perm_b32 v129, v255, v37 /*v293*/, 0x7030c0c
	s_set_vgpr_msb 0x44                     ;  msbs: dst=1 src0=0 src1=1 src2=0
	v_dual_lshlrev_b32 v8 /*v264*/, 8, v1 /*v257*/ :: v_dual_lshlrev_b32 v62 /*v318*/, 16, v3 /*v259*/
	v_perm_b32 v28 /*v284*/, v97, v23 /*v279*/, 0xc0c0700
	s_set_vgpr_msb 64                       ;  msbs: dst=1 src0=0 src1=0 src2=0
	v_perm_b32 v22 /*v278*/, v241, v97, 0x7030c0c
	s_set_vgpr_msb 5                        ;  msbs: dst=0 src0=1 src1=1 src2=0
	v_perm_b32 v97, v66 /*v322*/, v66 /*v322*/, 0xc0c030c
	s_set_vgpr_msb 64                       ;  msbs: dst=1 src0=0 src1=0 src2=0
	v_or_b32_e32 v66 /*v322*/, v129, v128
	s_set_vgpr_msb 0                        ;  msbs: dst=0 src0=0 src1=0 src2=0
	ds_load_2addr_b32 v[128:129], v133 offset1:7
	s_set_vgpr_msb 64                       ;  msbs: dst=1 src0=0 src1=0 src2=0
	v_perm_b32 v25 /*v281*/, v240, v240, 0xc0c0100
	v_dual_lshlrev_b32 v58 /*v314*/, 16, v255 :: v_dual_lshlrev_b32 v59 /*v315*/, 8, v255
	s_set_vgpr_msb 0x44                     ;  msbs: dst=1 src0=0 src1=1 src2=0
	v_dual_lshlrev_b32 v63 /*v319*/, 8, v3 /*v259*/ :: v_dual_lshlrev_b32 v24 /*v280*/, 8, v5 /*v261*/
	s_set_vgpr_msb 5                        ;  msbs: dst=0 src0=1 src1=1 src2=0
	v_perm_b32 v132, v3 /*v259*/, v3 /*v259*/, 0xc0c0003
	s_set_vgpr_msb 0x44                     ;  msbs: dst=1 src0=0 src1=1 src2=0
	v_dual_lshlrev_b32 v6 /*v262*/, 16, v9 /*v265*/ :: v_dual_lshlrev_b32 v49 /*v305*/, 8, v9 /*v265*/
	v_dual_lshlrev_b32 v0 /*v256*/, 16, v17 /*v273*/ :: v_dual_lshlrev_b32 v14 /*v270*/, 8, v17 /*v273*/
	s_set_vgpr_msb 4                        ;  msbs: dst=0 src0=0 src1=1 src2=0
	v_dot4_i32_iu8 v229, v229, v56 /*v312*/, v234 neg_lo:[1,1,0]
	s_set_vgpr_msb 0                        ;  msbs: dst=0 src0=0 src1=0 src2=0
	v_lshlrev_b32_e32 v139, 16, v136
	s_set_vgpr_msb 20                       ;  msbs: dst=0 src0=0 src1=1 src2=1
	v_dot4_i32_iu8 v235, v238, v56 /*v312*/, v48 /*v304*/ neg_lo:[1,1,0]
	s_set_vgpr_msb 0x45                     ;  msbs: dst=1 src0=1 src1=1 src2=0
	v_perm_b32 v56 /*v312*/, v3 /*v259*/, v8 /*v264*/, 0x7030c0c
	v_perm_b32 v55 /*v311*/, v62 /*v318*/, v3 /*v259*/, 0xc0c0700
	v_lshlrev_b32_e32 v3 /*v259*/, 16, v33 /*v289*/
	s_set_vgpr_msb 64                       ;  msbs: dst=1 src0=0 src1=0 src2=0
	v_perm_b32 v68 /*v324*/, v253, v253, 0xc0c0003
	v_perm_b32 v70 /*v326*/, v146, v146, 0xc0c0003
	s_set_vgpr_msb 0                        ;  msbs: dst=0 src0=0 src1=0 src2=0
	v_lshlrev_b32_e32 v130, 16, v144
	s_set_vgpr_msb 5                        ;  msbs: dst=0 src0=1 src1=1 src2=0
	v_perm_b32 v131, v1 /*v257*/, v1 /*v257*/, 0xc0c0003
	s_set_vgpr_msb 0x44                     ;  msbs: dst=1 src0=0 src1=1 src2=0
	v_dual_lshlrev_b32 v71 /*v327*/, 16, v7 /*v263*/ :: v_dual_lshlrev_b32 v73 /*v329*/, 8, v7 /*v263*/
	s_set_vgpr_msb 0                        ;  msbs: dst=0 src0=0 src1=0 src2=0
	v_lshlrev_b32_e32 v137, 16, v140
	s_set_vgpr_msb 0x45                     ;  msbs: dst=1 src0=1 src1=1 src2=0
	v_perm_b32 v41 /*v297*/, v5 /*v261*/, v5 /*v261*/, 0xc0c0003
	v_dual_lshlrev_b32 v74 /*v330*/, 16, v15 /*v271*/ :: v_dual_lshlrev_b32 v75 /*v331*/, 8, v15 /*v271*/
	s_set_vgpr_msb 0                        ;  msbs: dst=0 src0=0 src1=0 src2=0
	v_lshlrev_b32_e32 v135, 16, v138
	s_set_vgpr_msb 0x45                     ;  msbs: dst=1 src0=1 src1=1 src2=0
	v_perm_b32 v38 /*v294*/, v9 /*v265*/, v9 /*v265*/, 0xc0c0003
	v_lshlrev_b32_e32 v76 /*v332*/, 16, v19 /*v275*/
	s_set_vgpr_msb 20                       ;  msbs: dst=0 src0=0 src1=1 src2=1
	v_dot4_i32_iu8 v234, v238, v50 /*v306*/, v11 /*v267*/ neg_lo:[1,1,0]
	s_set_vgpr_msb 0                        ;  msbs: dst=0 src0=0 src1=0 src2=0
	v_lshlrev_b32_e32 v251, 8, v136
	s_set_vgpr_msb 5                        ;  msbs: dst=0 src0=1 src1=1 src2=0
	v_dot4_i32_iu8 v238, v26 /*v282*/, v25 /*v281*/, v254 neg_lo:[1,1,0]
	s_set_vgpr_msb 1                        ;  msbs: dst=0 src0=1 src1=0 src2=0
	v_dot4_i32_iu8 v239, v26 /*v282*/, v239, v83 neg_lo:[1,1,0]
	s_set_vgpr_msb 21                       ;  msbs: dst=0 src0=1 src1=1 src2=1
	v_lshlrev_b32_e32 v254, 16, v21 /*v277*/
	v_dot4_i32_iu8 v236, v26 /*v282*/, v53 /*v309*/, v2 /*v258*/ neg_lo:[1,1,0]
	s_set_vgpr_msb 0x44                     ;  msbs: dst=1 src0=0 src1=1 src2=0
	v_lshlrev_b32_e32 v2 /*v258*/, 8, v21 /*v277*/
	s_set_vgpr_msb 5                        ;  msbs: dst=0 src0=1 src1=1 src2=0
	v_or_b32_e32 v83, v44 /*v300*/, v45 /*v301*/
	v_perm_b32 v253, v37 /*v293*/, v36 /*v292*/, 0x7030c0c
	s_set_vgpr_msb 0x45                     ;  msbs: dst=1 src0=1 src1=1 src2=0
	v_perm_b32 v54 /*v310*/, v4 /*v260*/, v1 /*v257*/, 0xc0c0700
	v_perm_b32 v61 /*v317*/, v8 /*v264*/, v4 /*v260*/, 0x7030c0c
	s_set_vgpr_msb 0x44                     ;  msbs: dst=1 src0=0 src1=1 src2=0
	v_perm_b32 v50 /*v306*/, v252, v5 /*v261*/, 0xc0c0700
	s_set_vgpr_msb 0x41                     ;  msbs: dst=1 src0=1 src1=0 src2=0
	v_perm_b32 v57 /*v313*/, v24 /*v280*/, v252, 0x7030c0c
	s_set_vgpr_msb 0x45                     ;  msbs: dst=1 src0=1 src1=1 src2=0
	v_perm_b32 v52 /*v308*/, v7 /*v263*/, v24 /*v280*/, 0x7030c0c
	v_lshlrev_b32_e32 v4 /*v260*/, 8, v33 /*v289*/
	v_perm_b32 v48 /*v304*/, v6 /*v262*/, v9 /*v265*/, 0xc0c0700
	v_lshlrev_b32_e32 v5 /*v261*/, 16, v47 /*v303*/
	;; [unrolled: 2-line block ×3, first 2 shown]
	v_perm_b32 v36 /*v292*/, v0 /*v256*/, v17 /*v273*/, 0xc0c0700
	v_dual_lshlrev_b32 v24 /*v280*/, 16, v10 /*v266*/ :: v_dual_lshlrev_b32 v77 /*v333*/, 8, v10 /*v266*/
	v_perm_b32 v45 /*v301*/, v14 /*v270*/, v0 /*v256*/, 0x7030c0c
	v_perm_b32 v0 /*v256*/, v33 /*v289*/, v33 /*v289*/, 0xc0c0003
	;; [unrolled: 1-line block ×3, first 2 shown]
	s_set_vgpr_msb 64                       ;  msbs: dst=1 src0=0 src1=0 src2=0
	v_perm_b32 v46 /*v302*/, v136, v136, 0xc0c0003
	s_set_vgpr_msb 0x44                     ;  msbs: dst=1 src0=0 src1=1 src2=0
	v_perm_b32 v65 /*v321*/, v146, v59 /*v315*/, 0x7030c0c
	s_set_vgpr_msb 0x41                     ;  msbs: dst=1 src0=1 src1=0 src2=0
	v_perm_b32 v16 /*v272*/, v67 /*v323*/, v146, 0xc0c0700
	s_wait_dscnt 0x1
	v_lshlrev_b32_e32 v1 /*v257*/, 16, v143
	s_set_vgpr_msb 0                        ;  msbs: dst=0 src0=0 src1=0 src2=0
	v_perm_b32 v146, v142, v81, 0x4020c00
	s_set_vgpr_msb 64                       ;  msbs: dst=1 src0=0 src1=0 src2=0
	v_perm_b32 v33 /*v289*/, v136, v87, 0x7030c0c
	v_perm_b32 v9 /*v265*/, v139, v136, 0xc0c0700
	s_set_vgpr_msb 0                        ;  msbs: dst=0 src0=0 src1=0 src2=0
	v_perm_b32 v136, v81, v81, 0xc0c010c
	s_set_vgpr_msb 64                       ;  msbs: dst=1 src0=0 src1=0 src2=0
	v_perm_b32 v69 /*v325*/, v255, v255, 0xc0c0003
	s_set_vgpr_msb 0                        ;  msbs: dst=0 src0=0 src1=0 src2=0
	v_lshlrev_b32_e32 v245, 8, v144
	v_perm_b32 v134, v144, v144, 0xc0c0003
	s_set_vgpr_msb 0x45                     ;  msbs: dst=1 src0=1 src1=1 src2=0
	v_perm_b32 v42 /*v298*/, v7 /*v263*/, v7 /*v263*/, 0xc0c0003
	s_set_vgpr_msb 64                       ;  msbs: dst=1 src0=0 src1=0 src2=0
	v_perm_b32 v39 /*v295*/, v140, v140, 0xc0c0003
	s_set_vgpr_msb 0                        ;  msbs: dst=0 src0=0 src1=0 src2=0
	v_lshlrev_b32_e32 v250, 8, v138
	s_set_vgpr_msb 0x45                     ;  msbs: dst=1 src0=1 src1=1 src2=0
	v_perm_b32 v40 /*v296*/, v15 /*v271*/, v15 /*v271*/, 0xc0c0003
	s_set_vgpr_msb 64                       ;  msbs: dst=1 src0=0 src1=0 src2=0
	v_perm_b32 v43 /*v299*/, v138, v138, 0xc0c0003
	s_set_vgpr_msb 0x45                     ;  msbs: dst=1 src0=1 src1=1 src2=0
	v_perm_b32 v34 /*v290*/, v17 /*v273*/, v17 /*v273*/, 0xc0c0003
	v_perm_b32 v35 /*v291*/, v19 /*v275*/, v19 /*v275*/, 0xc0c0003
	s_set_vgpr_msb 0x41                     ;  msbs: dst=1 src0=1 src1=0 src2=0
	v_dual_lshlrev_b32 v25 /*v281*/, 16, v242 :: v_dual_lshlrev_b32 v26 /*v282*/, 8, v242
	v_perm_b32 v60 /*v316*/, v58 /*v314*/, v255, 0xc0c0700
	s_set_vgpr_msb 0x45                     ;  msbs: dst=1 src0=1 src1=1 src2=0
	v_perm_b32 v13 /*v269*/, v21 /*v277*/, v21 /*v277*/, 0xc0c0003
	v_perm_b32 v11 /*v267*/, v23 /*v279*/, v23 /*v279*/, 0xc0c0003
	;; [unrolled: 1-line block ×7, first 2 shown]
	s_set_vgpr_msb 0x44                     ;  msbs: dst=1 src0=0 src1=1 src2=0
	v_perm_b32 v30 /*v286*/, v254, v21 /*v277*/, 0xc0c0700
	s_set_vgpr_msb 0x45                     ;  msbs: dst=1 src0=1 src1=1 src2=0
	v_perm_b32 v31 /*v287*/, v23 /*v279*/, v2 /*v258*/, 0x7030c0c
	s_set_vgpr_msb 64                       ;  msbs: dst=1 src0=0 src1=0 src2=0
	v_perm_b32 v29 /*v285*/, v242, v241, 0x7030c0c
	s_set_vgpr_msb 0x41                     ;  msbs: dst=1 src0=1 src1=0 src2=0
	v_perm_b32 v23 /*v279*/, v2 /*v258*/, v254, 0x7030c0c
	s_set_vgpr_msb 5                        ;  msbs: dst=0 src0=1 src1=1 src2=0
	v_perm_b32 v255, v47 /*v303*/, v47 /*v303*/, 0xc0c0003
	v_perm_b32 v254, v10 /*v266*/, v10 /*v266*/, 0xc0c0003
	s_set_vgpr_msb 0x45                     ;  msbs: dst=1 src0=1 src1=1 src2=0
	v_perm_b32 v21 /*v277*/, v47 /*v303*/, v4 /*v260*/, 0x7030c0c
	v_perm_b32 v18 /*v274*/, v5 /*v261*/, v47 /*v303*/, 0xc0c0700
	v_perm_b32 v19 /*v275*/, v10 /*v266*/, v6 /*v262*/, 0x7030c0c
	v_perm_b32 v17 /*v273*/, v24 /*v280*/, v10 /*v266*/, 0xc0c0700
	s_set_vgpr_msb 5                        ;  msbs: dst=0 src0=1 src1=1 src2=0
	v_perm_b32 v241, v59 /*v315*/, v58 /*v314*/, 0x7030c0c
	s_set_vgpr_msb 0x45                     ;  msbs: dst=1 src0=1 src1=1 src2=0
	v_perm_b32 v64 /*v320*/, v63 /*v319*/, v62 /*v318*/, 0x7030c0c
	s_set_vgpr_msb 0x44                     ;  msbs: dst=1 src0=0 src1=1 src2=0
	v_perm_b32 v63 /*v319*/, v144, v63 /*v319*/, 0x7030c0c
	s_set_vgpr_msb 64                       ;  msbs: dst=1 src0=0 src1=0 src2=0
	v_perm_b32 v15 /*v271*/, v130, v144, 0xc0c0700
	v_lshlrev_b32_e32 v2 /*v258*/, 8, v143
	s_set_vgpr_msb 0x44                     ;  msbs: dst=1 src0=0 src1=1 src2=0
	v_perm_b32 v59 /*v315*/, v140, v73 /*v329*/, 0x7030c0c
	s_set_vgpr_msb 64                       ;  msbs: dst=1 src0=0 src1=0 src2=0
	v_perm_b32 v14 /*v270*/, v137, v140, 0xc0c0700
	s_set_vgpr_msb 0x44                     ;  msbs: dst=1 src0=0 src1=1 src2=0
	v_perm_b32 v47 /*v303*/, v138, v75 /*v331*/, 0x7030c0c
	s_set_vgpr_msb 64                       ;  msbs: dst=1 src0=0 src1=0 src2=0
	v_perm_b32 v10 /*v266*/, v135, v138, 0xc0c0700
	s_set_vgpr_msb 0                        ;  msbs: dst=0 src0=0 src1=0 src2=0
	v_perm_b32 v144, v142, v142, 0xc030201
	s_set_vgpr_msb 4                        ;  msbs: dst=0 src0=0 src1=1 src2=0
	v_perm_b32 v138, v87, v76 /*v332*/, 0x7030c0c
	s_set_vgpr_msb 0                        ;  msbs: dst=0 src0=0 src1=0 src2=0
	v_perm_b32 v252, v143, v143, 0xc0c0003
	s_set_vgpr_msb 0x45                     ;  msbs: dst=1 src0=1 src1=1 src2=0
	v_perm_b32 v8 /*v264*/, v4 /*v260*/, v3 /*v259*/, 0x7030c0c
	s_set_vgpr_msb 0                        ;  msbs: dst=0 src0=0 src1=0 src2=0
	v_perm_b32 v140, v142, v142, 0xc0c0100
	s_set_vgpr_msb 0x45                     ;  msbs: dst=1 src0=1 src1=1 src2=0
	v_perm_b32 v7 /*v263*/, v6 /*v262*/, v5 /*v261*/, 0x7030c0c
	;; [unrolled: 4-line block ×3, first 2 shown]
	s_set_vgpr_msb 0x44                     ;  msbs: dst=1 src0=0 src1=1 src2=0
	v_perm_b32 v24 /*v280*/, v143, v77 /*v333*/, 0x7030c0c
	s_set_vgpr_msb 0x41                     ;  msbs: dst=1 src0=1 src1=0 src2=0
	v_perm_b32 v5 /*v261*/, v1 /*v257*/, v143, 0xc0c0700
	s_set_vgpr_msb 0                        ;  msbs: dst=0 src0=0 src1=0 src2=0
	v_perm_b32 v142, v116, v81, 0x4020c00
	v_or_b32_e32 v143, v146, v136
	s_set_vgpr_msb 64                       ;  msbs: dst=1 src0=0 src1=0 src2=0
	v_dual_lshlrev_b32 v3 /*v259*/, 16, v99 :: v_dual_lshlrev_b32 v4 /*v260*/, 8, v99
	s_set_vgpr_msb 4                        ;  msbs: dst=0 src0=0 src1=1 src2=0
	v_perm_b32 v146, v216, v67 /*v323*/, 0x7030c0c
	s_set_vgpr_msb 64                       ;  msbs: dst=1 src0=0 src1=0 src2=0
	v_perm_b32 v12 /*v268*/, v242, v242, 0xc0c0003
	s_set_vgpr_msb 0x41                     ;  msbs: dst=1 src0=1 src1=0 src2=0
	v_perm_b32 v27 /*v283*/, v25 /*v281*/, v242, 0xc0c0700
	s_set_vgpr_msb 0                        ;  msbs: dst=0 src0=0 src1=0 src2=0
	v_or_b32_e32 v142, v142, v136
	s_set_vgpr_msb 4                        ;  msbs: dst=0 src0=0 src1=1 src2=0
	v_or_b32_e32 v242, v241, v69 /*v325*/
	s_set_vgpr_msb 0                        ;  msbs: dst=0 src0=0 src1=0 src2=0
	v_perm_b32 v136, v99, v99, 0xc0c0003
	s_set_vgpr_msb 4                        ;  msbs: dst=0 src0=0 src1=1 src2=0
	v_or_b32_e32 v241, v146, v70 /*v326*/
	s_set_vgpr_msb 5                        ;  msbs: dst=0 src0=1 src1=1 src2=0
	v_perm_b32 v146, v4 /*v260*/, v3 /*v259*/, 0x7030c0c
	s_set_vgpr_msb 0x45                     ;  msbs: dst=1 src0=1 src1=1 src2=0
	v_or_b32_e32 v60 /*v316*/, v65 /*v321*/, v60 /*v316*/
	s_wait_dscnt 0x0
	s_set_vgpr_msb 0x41                     ;  msbs: dst=1 src0=1 src1=0 src2=0
	v_dual_lshlrev_b32 v65 /*v321*/, 16, v129 :: v_dual_bitop2_b32 v61 /*v317*/, v61 /*v317*/, v131 bitop3:0x54
	v_lshlrev_b32_e32 v67 /*v323*/, 8, v129
	s_set_vgpr_msb 0                        ;  msbs: dst=0 src0=0 src1=0 src2=0
	v_perm_b32 v130, v245, v130, 0x7030c0c
	s_set_vgpr_msb 4                        ;  msbs: dst=0 src0=0 src1=1 src2=0
	v_or_b32_e32 v253, v253, v68 /*v324*/
	s_set_vgpr_msb 0                        ;  msbs: dst=0 src0=0 src1=0 src2=0
	v_or_b32_e32 v146, v146, v136
	v_add_nc_u32_e32 v136, 0xc00, v182
	v_perm_b32 v131, v129, v129, 0xc0c0003
	s_set_vgpr_msb 64                       ;  msbs: dst=1 src0=0 src1=0 src2=0
	v_or_b32_e32 v68 /*v324*/, v130, v134
	s_set_vgpr_msb 5                        ;  msbs: dst=0 src0=1 src1=1 src2=0
	v_perm_b32 v130, v67 /*v323*/, v65 /*v321*/, 0x7030c0c
	s_set_vgpr_msb 0x45                     ;  msbs: dst=1 src0=1 src1=1 src2=0
	v_or_b32_e32 v54 /*v310*/, v56 /*v312*/, v54 /*v310*/
	v_or_b32_e32 v41 /*v297*/, v57 /*v313*/, v41 /*v297*/
	s_set_vgpr_msb 0                        ;  msbs: dst=0 src0=0 src1=0 src2=0
	v_perm_b32 v134, v249, v137, 0x7030c0c
	s_set_vgpr_msb 0x45                     ;  msbs: dst=1 src0=1 src1=1 src2=0
	v_perm_b32 v62 /*v318*/, v73 /*v329*/, v71 /*v327*/, 0x7030c0c
	s_set_vgpr_msb 64                       ;  msbs: dst=1 src0=0 src1=0 src2=0
	v_or_b32_e32 v69 /*v325*/, v130, v131
	s_set_vgpr_msb 0                        ;  msbs: dst=0 src0=0 src1=0 src2=0
	ds_load_2addr_b32 v[130:131], v136 offset1:7
	s_set_vgpr_msb 0x41                     ;  msbs: dst=1 src0=1 src1=0 src2=0
	v_or_b32_e32 v64 /*v320*/, v64 /*v320*/, v132
	s_set_vgpr_msb 0                        ;  msbs: dst=0 src0=0 src1=0 src2=0
	v_add_nc_u32_e32 v132, 0x1000, v182
	s_set_vgpr_msb 0x44                     ;  msbs: dst=1 src0=0 src1=1 src2=0
	v_or_b32_e32 v39 /*v295*/, v134, v39 /*v295*/
	s_set_vgpr_msb 0x45                     ;  msbs: dst=1 src0=1 src1=1 src2=0
	v_or_b32_e32 v42 /*v298*/, v62 /*v318*/, v42 /*v298*/
	v_or_b32_e32 v50 /*v306*/, v52 /*v308*/, v50 /*v306*/
	;; [unrolled: 1-line block ×3, first 2 shown]
	s_set_vgpr_msb 0                        ;  msbs: dst=0 src0=0 src1=0 src2=0
	v_perm_b32 v135, v250, v135, 0x7030c0c
	s_set_vgpr_msb 0x45                     ;  msbs: dst=1 src0=1 src1=1 src2=0
	v_perm_b32 v58 /*v314*/, v75 /*v331*/, v74 /*v330*/, 0x7030c0c
	v_or_b32_e32 v34 /*v290*/, v45 /*v301*/, v34 /*v290*/
	s_set_vgpr_msb 0x44                     ;  msbs: dst=1 src0=0 src1=1 src2=0
	v_or_b32_e32 v35 /*v291*/, v138, v35 /*v291*/
	s_set_vgpr_msb 0                        ;  msbs: dst=0 src0=0 src1=0 src2=0
	v_perm_b32 v139, v251, v139, 0x7030c0c
	s_set_vgpr_msb 0x44                     ;  msbs: dst=1 src0=0 src1=1 src2=0
	v_or_b32_e32 v43 /*v299*/, v135, v43 /*v299*/
	s_set_vgpr_msb 0x45                     ;  msbs: dst=1 src0=1 src1=1 src2=0
	v_or_b32_e32 v40 /*v296*/, v58 /*v314*/, v40 /*v296*/
	s_set_vgpr_msb 0                        ;  msbs: dst=0 src0=0 src1=0 src2=0
	v_perm_b32 v202, v240, v240, 0xc0c0302
	v_perm_b32 v240, v240, v240, 0x2010003
	s_set_vgpr_msb 0x44                     ;  msbs: dst=1 src0=0 src1=1 src2=0
	v_or_b32_e32 v46 /*v302*/, v139, v46 /*v302*/
	s_set_vgpr_msb 0x45                     ;  msbs: dst=1 src0=1 src1=1 src2=0
	v_or_b32_e32 v48 /*v304*/, v49 /*v305*/, v48 /*v304*/
	v_or_b32_e32 v30 /*v286*/, v31 /*v287*/, v30 /*v286*/
	;; [unrolled: 1-line block ×3, first 2 shown]
	s_wait_dscnt 0x0
	s_set_vgpr_msb 64                       ;  msbs: dst=1 src0=0 src1=0 src2=0
	v_dual_lshlrev_b32 v56 /*v312*/, 16, v131 :: v_dual_lshlrev_b32 v57 /*v313*/, 8, v131
	s_set_vgpr_msb 0                        ;  msbs: dst=0 src0=0 src1=0 src2=0
	v_perm_b32 v133, v131, v131, 0xc0c0003
	s_set_vgpr_msb 0x45                     ;  msbs: dst=1 src0=1 src1=1 src2=0
	v_or_b32_e32 v20 /*v276*/, v21 /*v277*/, v20 /*v276*/
	v_or_b32_e32 v0 /*v256*/, v8 /*v264*/, v0 /*v256*/
	v_or_b32_e32 v55 /*v311*/, v63 /*v319*/, v55 /*v311*/
	s_set_vgpr_msb 5                        ;  msbs: dst=0 src0=1 src1=1 src2=0
	v_perm_b32 v134, v57 /*v313*/, v56 /*v312*/, 0x7030c0c
	s_set_vgpr_msb 0x45                     ;  msbs: dst=1 src0=1 src1=1 src2=0
	v_or_b32_e32 v51 /*v307*/, v59 /*v315*/, v51 /*v307*/
	v_or_b32_e32 v32 /*v288*/, v33 /*v289*/, v32 /*v288*/
	;; [unrolled: 1-line block ×3, first 2 shown]
	v_perm_b32 v25 /*v281*/, v26 /*v282*/, v25 /*v281*/, 0x7030c0c
	s_set_vgpr_msb 64                       ;  msbs: dst=1 src0=0 src1=0 src2=0
	v_or_b32_e32 v62 /*v318*/, v134, v133
	s_set_vgpr_msb 0                        ;  msbs: dst=0 src0=0 src1=0 src2=0
	ds_load_2addr_b32 v[132:133], v132 offset1:7
	v_add_nc_u32_e32 v134, 0x1400, v182
	s_set_vgpr_msb 0x44                     ;  msbs: dst=1 src0=0 src1=1 src2=0
	v_perm_b32 v26 /*v282*/, v117, v26 /*v282*/, 0x7030c0c
	s_set_vgpr_msb 0x45                     ;  msbs: dst=1 src0=1 src1=1 src2=0
	v_or_b32_e32 v11 /*v267*/, v22 /*v278*/, v11 /*v267*/
	s_set_vgpr_msb 64                       ;  msbs: dst=1 src0=0 src1=0 src2=0
	v_lshlrev_b32_e32 v21 /*v277*/, 16, v117
	s_set_vgpr_msb 0x45                     ;  msbs: dst=1 src0=1 src1=1 src2=0
	v_or_b32_e32 v18 /*v274*/, v19 /*v275*/, v18 /*v274*/
	s_set_vgpr_msb 0                        ;  msbs: dst=0 src0=0 src1=0 src2=0
	v_perm_b32 v216, v99, v216, 0x7030c0c
	v_perm_b32 v249, v131, v249, 0x7030c0c
	s_set_vgpr_msb 1                        ;  msbs: dst=0 src0=1 src1=0 src2=0
	v_or_b32_e32 v255, v7 /*v263*/, v255
	v_perm_b32 v99, v3 /*v259*/, v99, 0xc0c0700
	s_set_vgpr_msb 0x44                     ;  msbs: dst=1 src0=0 src1=1 src2=0
	v_perm_b32 v3 /*v259*/, v98, v4 /*v260*/, 0x4030c0c
	s_set_vgpr_msb 1                        ;  msbs: dst=0 src0=1 src1=0 src2=0
	v_dot4_i32_iu8 v244, v66 /*v322*/, v212, v244 neg_lo:[1,1,0]
	s_set_vgpr_msb 0                        ;  msbs: dst=0 src0=0 src1=0 src2=0
	v_dot4_i32_iu8 v246, v253, v197, v246 neg_lo:[1,1,0]
	v_dot4_i32_iu8 v247, v253, v210, v247 neg_lo:[1,1,0]
	;; [unrolled: 1-line block ×3, first 2 shown]
	s_set_vgpr_msb 1                        ;  msbs: dst=0 src0=1 src1=0 src2=0
	v_dot4_i32_iu8 v243, v54 /*v310*/, v212, v243 neg_lo:[1,1,0]
	v_dot4_i32_iu8 v218, v61 /*v317*/, v197, v218 neg_lo:[1,1,0]
	;; [unrolled: 1-line block ×5, first 2 shown]
	s_wait_dscnt 0x0
	s_set_vgpr_msb 64                       ;  msbs: dst=1 src0=0 src1=0 src2=0
	v_dual_lshlrev_b32 v52 /*v308*/, 16, v133 :: v_dual_lshlrev_b32 v53 /*v309*/, 8, v133
	s_set_vgpr_msb 0                        ;  msbs: dst=0 src0=0 src1=0 src2=0
	v_perm_b32 v136, v133, v133, 0xc0c0003
	v_perm_b32 v250, v133, v250, 0x7030c0c
	s_set_vgpr_msb 1                        ;  msbs: dst=0 src0=1 src1=0 src2=0
	v_dot4_i32_iu8 v147, v50 /*v306*/, v212, v147 neg_lo:[1,1,0]
	v_dot4_i32_iu8 v221, v41 /*v297*/, v210, v221 neg_lo:[1,1,0]
	s_set_vgpr_msb 5                        ;  msbs: dst=0 src0=1 src1=1 src2=0
	v_perm_b32 v135, v53 /*v309*/, v52 /*v308*/, 0x7030c0c
	s_set_vgpr_msb 1                        ;  msbs: dst=0 src0=1 src1=0 src2=0
	v_dot4_i32_iu8 v222, v41 /*v297*/, v214, v222 neg_lo:[1,1,0]
	v_dot4_i32_iu8 v226, v38 /*v294*/, v197, v226 neg_lo:[1,1,0]
	;; [unrolled: 1-line block ×4, first 2 shown]
	s_set_vgpr_msb 64                       ;  msbs: dst=1 src0=0 src1=0 src2=0
	v_or_b32_e32 v58 /*v314*/, v135, v136
	s_set_vgpr_msb 0                        ;  msbs: dst=0 src0=0 src1=0 src2=0
	ds_load_2addr_b32 v[134:135], v134 offset1:7
	ds_load_2addr_b32 v[136:137], v211 offset1:1
	s_set_vgpr_msb 5                        ;  msbs: dst=0 src0=1 src1=1 src2=0
	v_or_b32_e32 v211, v47 /*v303*/, v44 /*v300*/
	s_set_vgpr_msb 1                        ;  msbs: dst=0 src0=1 src1=0 src2=0
	v_dot4_i32_iu8 v224, v38 /*v294*/, v214, v224 neg_lo:[1,1,0]
	v_dot4_i32_iu8 v197, v34 /*v290*/, v197, v227 neg_lo:[1,1,0]
	;; [unrolled: 1-line block ×6, first 2 shown]
	s_set_vgpr_msb 64                       ;  msbs: dst=1 src0=0 src1=0 src2=0
	v_perm_b32 v31 /*v287*/, v81, v80, 0x7020100
	s_set_vgpr_msb 0x45                     ;  msbs: dst=1 src0=1 src1=1 src2=0
	v_or_b32_e32 v26 /*v282*/, v26 /*v282*/, v27 /*v283*/
	v_or_b32_e32 v12 /*v268*/, v25 /*v281*/, v12 /*v268*/
	s_set_vgpr_msb 64                       ;  msbs: dst=1 src0=0 src1=0 src2=0
	v_perm_b32 v19 /*v275*/, v84, v84, 0x2010003
	s_set_vgpr_msb 0x45                     ;  msbs: dst=1 src0=1 src1=1 src2=0
	v_or_b32_e32 v17 /*v273*/, v24 /*v280*/, v17 /*v273*/
	s_set_vgpr_msb 64                       ;  msbs: dst=1 src0=0 src1=0 src2=0
	v_perm_b32 v24 /*v280*/, v85, v84, 0x7020100
	s_set_vgpr_msb 0                        ;  msbs: dst=0 src0=0 src1=0 src2=0
	v_perm_b32 v245, v129, v245, 0x7030c0c
	s_set_vgpr_msb 4                        ;  msbs: dst=0 src0=0 src1=1 src2=0
	v_or_b32_e32 v249, v249, v14 /*v270*/
	s_set_vgpr_msb 1                        ;  msbs: dst=0 src0=1 src1=0 src2=0
	v_perm_b32 v131, v56 /*v312*/, v131, 0xc0c0700
	s_set_vgpr_msb 4                        ;  msbs: dst=0 src0=0 src1=1 src2=0
	v_or_b32_e32 v250, v250, v10 /*v266*/
	s_set_vgpr_msb 1                        ;  msbs: dst=0 src0=1 src1=0 src2=0
	v_perm_b32 v133, v52 /*v308*/, v133, 0xc0c0700
	s_wait_dscnt 0x1
	s_set_vgpr_msb 64                       ;  msbs: dst=1 src0=0 src1=0 src2=0
	v_lshlrev_b32_e32 v44 /*v300*/, 16, v135
	s_set_vgpr_msb 0                        ;  msbs: dst=0 src0=0 src1=0 src2=0
	v_perm_b32 v138, v135, v135, 0xc0c0003
	s_set_vgpr_msb 64                       ;  msbs: dst=1 src0=0 src1=0 src2=0
	v_lshlrev_b32_e32 v45 /*v301*/, 8, v135
	s_set_vgpr_msb 0                        ;  msbs: dst=0 src0=0 src1=0 src2=0
	v_perm_b32 v251, v135, v251, 0x7030c0c
	s_wait_dscnt 0x0
	s_set_vgpr_msb 64                       ;  msbs: dst=1 src0=0 src1=0 src2=0
	v_perm_b32 v27 /*v283*/, v136, v136, 0x2010003
	s_set_vgpr_msb 1                        ;  msbs: dst=0 src0=1 src1=0 src2=0
	v_perm_b32 v135, v44 /*v300*/, v135, 0xc0c0700
	s_set_vgpr_msb 64                       ;  msbs: dst=1 src0=0 src1=0 src2=0
	v_perm_b32 v8 /*v264*/, v117, v117, 0xc0c0003
	s_set_vgpr_msb 5                        ;  msbs: dst=0 src0=1 src1=1 src2=0
	v_perm_b32 v139, v45 /*v301*/, v44 /*v300*/, 0x7030c0c
	s_set_vgpr_msb 4                        ;  msbs: dst=0 src0=0 src1=1 src2=0
	v_or_b32_e32 v251, v251, v9 /*v265*/
	s_set_vgpr_msb 64                       ;  msbs: dst=1 src0=0 src1=0 src2=0
	v_lshlrev_b32_e32 v9 /*v265*/, 8, v117
	s_set_vgpr_msb 1                        ;  msbs: dst=0 src0=1 src1=0 src2=0
	v_or_b32_e32 v254, v6 /*v262*/, v254
	s_set_vgpr_msb 0x45                     ;  msbs: dst=1 src0=1 src1=1 src2=0
	v_perm_b32 v1 /*v257*/, v2 /*v258*/, v1 /*v257*/, 0x7030c0c
	s_set_vgpr_msb 64                       ;  msbs: dst=1 src0=0 src1=0 src2=0
	v_or_b32_e32 v47 /*v303*/, v139, v138
	s_set_vgpr_msb 0                        ;  msbs: dst=0 src0=0 src1=0 src2=0
	ds_load_2addr_b32 v[138:139], v208 offset1:1
	s_set_vgpr_msb 5                        ;  msbs: dst=0 src0=1 src1=1 src2=0
	v_or_b32_e32 v208, v37 /*v293*/, v36 /*v292*/
	s_set_vgpr_msb 64                       ;  msbs: dst=1 src0=0 src1=0 src2=0
	v_perm_b32 v36 /*v292*/, v80, v80, 0x2010003
	s_set_vgpr_msb 0x44                     ;  msbs: dst=1 src0=0 src1=1 src2=0
	v_perm_b32 v37 /*v293*/, v130, v57 /*v313*/, 0x4030c0c
	v_perm_b32 v44 /*v300*/, v134, v45 /*v301*/, 0x4030c0c
	;; [unrolled: 1-line block ×3, first 2 shown]
	s_set_vgpr_msb 0                        ;  msbs: dst=0 src0=0 src1=0 src2=0
	v_dot4_i32_iu8 v95, v208, v212, v95 neg_lo:[1,1,0]
	s_set_vgpr_msb 1                        ;  msbs: dst=0 src0=1 src1=0 src2=0
	v_dot4_i32_iu8 v208, v34 /*v290*/, v210, v228 neg_lo:[1,1,0]
	v_dot4_i32_iu8 v212, v34 /*v290*/, v214, v229 neg_lo:[1,1,0]
	;; [unrolled: 1-line block ×6, first 2 shown]
	s_set_vgpr_msb 0x44                     ;  msbs: dst=1 src0=0 src1=1 src2=0
	v_perm_b32 v2 /*v258*/, v82, v2 /*v258*/, 0x4030c0c
	s_set_vgpr_msb 1                        ;  msbs: dst=0 src0=1 src1=0 src2=0
	v_or_b32_e32 v99, v3 /*v259*/, v99
	v_perm_b32 v117, v21 /*v277*/, v117, 0xc0c0700
	s_set_vgpr_msb 0x45                     ;  msbs: dst=1 src0=1 src1=1 src2=0
	v_perm_b32 v3 /*v259*/, v9 /*v265*/, v21 /*v277*/, 0x7030c0c
	s_set_vgpr_msb 0x44                     ;  msbs: dst=1 src0=0 src1=1 src2=0
	v_perm_b32 v4 /*v260*/, v82, v9 /*v265*/, 0x4030c0c
	s_set_vgpr_msb 0                        ;  msbs: dst=0 src0=0 src1=0 src2=0
	v_dot4_i32_iu8 v202, v201, v202, v238 neg_lo:[1,1,0]
	v_dot4_i32_iu8 v230, v242, v192, v246 neg_lo:[1,1,0]
	s_wait_dscnt 0x0
	s_set_vgpr_msb 64                       ;  msbs: dst=1 src0=0 src1=0 src2=0
	v_perm_b32 v22 /*v278*/, v138, v138, 0x2010003
	s_set_vgpr_msb 0                        ;  msbs: dst=0 src0=0 src1=0 src2=0
	v_dot4_i32_iu8 v194, v201, v194, v239 neg_lo:[1,1,0]
	s_set_vgpr_msb 1                        ;  msbs: dst=0 src0=1 src1=0 src2=0
	v_dot4_i32_iu8 v231, v60 /*v316*/, v205, v244 neg_lo:[1,1,0]
	s_set_vgpr_msb 0                        ;  msbs: dst=0 src0=0 src1=0 src2=0
	v_dot4_i32_iu8 v232, v242, v203, v247 neg_lo:[1,1,0]
	v_dot4_i32_iu8 v209, v201, v209, v236 neg_lo:[1,1,0]
	v_dot4_i32_iu8 v233, v242, v206, v248 neg_lo:[1,1,0]
	v_dot4_i32_iu8 v201, v201, v213, v237 neg_lo:[1,1,0]
	s_set_vgpr_msb 1                        ;  msbs: dst=0 src0=1 src1=0 src2=0
	v_dot4_i32_iu8 v213, v64 /*v320*/, v192, v218 neg_lo:[1,1,0]
	v_dot4_i32_iu8 v218, v55 /*v311*/, v205, v243 neg_lo:[1,1,0]
	;; [unrolled: 1-line block ×8, first 2 shown]
	s_set_vgpr_msb 0                        ;  msbs: dst=0 src0=0 src1=0 src2=0
	v_dot4_i32_iu8 v141, v211, v205, v141 neg_lo:[1,1,0]
	s_set_vgpr_msb 1                        ;  msbs: dst=0 src0=1 src1=0 src2=0
	v_dot4_i32_iu8 v211, v40 /*v296*/, v203, v223 neg_lo:[1,1,0]
	v_dot4_i32_iu8 v223, v40 /*v296*/, v206, v224 neg_lo:[1,1,0]
	;; [unrolled: 1-line block ×11, first 2 shown]
	s_set_vgpr_msb 0                        ;  msbs: dst=0 src0=0 src1=0 src2=0
	v_dot4_i32_iu8 v193, v255, v217, v199 neg_lo:[1,1,0]
	v_dot4_i32_iu8 v199, v255, v203, v210 neg_lo:[1,1,0]
	;; [unrolled: 1-line block ×3, first 2 shown]
	s_set_vgpr_msb 64                       ;  msbs: dst=1 src0=0 src1=0 src2=0
	v_perm_b32 v33 /*v289*/, v81, v81, 0x6010407
	v_perm_b32 v23 /*v279*/, v137, v137, 0x6010407
	;; [unrolled: 1-line block ×3, first 2 shown]
	s_set_vgpr_msb 4                        ;  msbs: dst=0 src0=0 src1=1 src2=0
	v_or_b32_e32 v216, v216, v16 /*v272*/
	s_set_vgpr_msb 64                       ;  msbs: dst=1 src0=0 src1=0 src2=0
	v_perm_b32 v16 /*v272*/, v86, v85, 0x4020100
	s_set_vgpr_msb 4                        ;  msbs: dst=0 src0=0 src1=1 src2=0
	v_or_b32_e32 v245, v245, v15 /*v271*/
	s_set_vgpr_msb 1                        ;  msbs: dst=0 src0=1 src1=0 src2=0
	v_or_b32_e32 v131, v37 /*v293*/, v131
	v_perm_b32 v129, v65 /*v321*/, v129, 0xc0c0700
	s_set_vgpr_msb 0x44                     ;  msbs: dst=1 src0=0 src1=1 src2=0
	v_perm_b32 v49 /*v305*/, v128, v67 /*v323*/, 0x4030c0c
	s_set_vgpr_msb 1                        ;  msbs: dst=0 src0=1 src1=0 src2=0
	v_or_b32_e32 v135, v44 /*v300*/, v135
	v_or_b32_e32 v133, v45 /*v301*/, v133
	s_set_vgpr_msb 64                       ;  msbs: dst=1 src0=0 src1=0 src2=0
	v_perm_b32 v7 /*v263*/, v85, v85, 0x2010003
	s_set_vgpr_msb 0x45                     ;  msbs: dst=1 src0=1 src1=1 src2=0
	v_or_b32_e32 v2 /*v258*/, v2 /*v258*/, v5 /*v261*/
	s_set_vgpr_msb 1                        ;  msbs: dst=0 src0=1 src1=0 src2=0
	v_or_b32_e32 v117, v4 /*v260*/, v117
	s_set_vgpr_msb 0x45                     ;  msbs: dst=1 src0=1 src1=1 src2=0
	v_or_b32_e32 v3 /*v259*/, v3 /*v259*/, v8 /*v264*/
	s_set_vgpr_msb 1                        ;  msbs: dst=0 src0=1 src1=0 src2=0
	v_or_b32_e32 v252, v1 /*v257*/, v252
	v_dot4_i32_iu8 v222, v42 /*v298*/, v206, v222 neg_lo:[1,1,0]
	s_set_vgpr_msb 0                        ;  msbs: dst=0 src0=0 src1=0 src2=0
	v_dot4_i32_iu8 v196, v195, v196, v202 neg_lo:[1,1,0]
	v_dot4_i32_iu8 v189, v195, v189, v194 neg_lo:[1,1,0]
	s_set_vgpr_msb 4                        ;  msbs: dst=0 src0=0 src1=1 src2=0
	v_dot4_i32_iu8 v194, v241, v36 /*v292*/, v230 neg_lo:[1,1,0]
	s_set_vgpr_msb 0                        ;  msbs: dst=0 src0=0 src1=0 src2=0
	v_dot4_i32_iu8 v202, v195, v204, v209 neg_lo:[1,1,0]
	s_set_vgpr_msb 4                        ;  msbs: dst=0 src0=0 src1=1 src2=0
	v_dot4_i32_iu8 v204, v241, v27 /*v283*/, v232 neg_lo:[1,1,0]
	s_set_vgpr_msb 0                        ;  msbs: dst=0 src0=0 src1=0 src2=0
	;; [unrolled: 4-line block ×3, first 2 shown]
	v_dot4_i32_iu8 v206, v68 /*v324*/, v36 /*v292*/, v213 neg_lo:[1,1,0]
	v_dot4_i32_iu8 v207, v68 /*v324*/, v27 /*v283*/, v219 neg_lo:[1,1,0]
	;; [unrolled: 1-line block ×10, first 2 shown]
	s_set_vgpr_msb 4                        ;  msbs: dst=0 src0=0 src1=1 src2=0
	v_dot4_i32_iu8 v147, v249, v24 /*v280*/, v147 neg_lo:[1,1,0]
	v_dot4_i32_iu8 v141, v250, v24 /*v280*/, v141 neg_lo:[1,1,0]
	v_dot4_i32_iu8 v95, v251, v24 /*v280*/, v95 neg_lo:[1,1,0]
	v_dot4_i32_iu8 v193, v254, v19 /*v275*/, v193 neg_lo:[1,1,0]
	v_dot4_i32_iu8 v199, v254, v27 /*v283*/, v199 neg_lo:[1,1,0]
	v_dot4_i32_iu8 v203, v254, v22 /*v278*/, v203 neg_lo:[1,1,0]
	s_set_vgpr_msb 64                       ;  msbs: dst=1 src0=0 src1=0 src2=0
	v_perm_b32 v29 /*v285*/, v82, v82, 0xc030201
	s_set_vgpr_msb 1                        ;  msbs: dst=0 src0=1 src1=0 src2=0
	v_or_b32_e32 v129, v49 /*v305*/, v129
	s_set_vgpr_msb 64                       ;  msbs: dst=1 src0=0 src1=0 src2=0
	v_perm_b32 v6 /*v262*/, v86, v86, 0xc0c0100
	v_perm_b32 v4 /*v260*/, v94, v94, 0xc0c0100
	;; [unrolled: 1-line block ×3, first 2 shown]
	s_set_vgpr_msb 0                        ;  msbs: dst=0 src0=0 src1=0 src2=0
	v_perm_b32 v253, v96, v96, 0xc0c0100
	s_set_vgpr_msb 5                        ;  msbs: dst=0 src0=1 src1=1 src2=0
	v_dot4_i32_iu8 v214, v39 /*v295*/, v22 /*v278*/, v222 neg_lo:[1,1,0]
	v_dot4_i32_iu8 v217, v43 /*v299*/, v36 /*v292*/, v226 neg_lo:[1,1,0]
	v_dot4_i32_iu8 v211, v43 /*v299*/, v27 /*v283*/, v211 neg_lo:[1,1,0]
	v_dot4_i32_iu8 v219, v43 /*v299*/, v22 /*v278*/, v223 neg_lo:[1,1,0]
	v_dot4_i32_iu8 v192, v46 /*v302*/, v36 /*v292*/, v192 neg_lo:[1,1,0]
	v_dot4_i32_iu8 v197, v46 /*v302*/, v27 /*v283*/, v197 neg_lo:[1,1,0]
	v_dot4_i32_iu8 v205, v46 /*v302*/, v22 /*v278*/, v205 neg_lo:[1,1,0]
	s_set_vgpr_msb 4                        ;  msbs: dst=0 src0=0 src1=1 src2=0
	v_dot4_i32_iu8 v216, v216, v24 /*v280*/, v231 neg_lo:[1,1,0]
	v_dot4_i32_iu8 v218, v245, v24 /*v280*/, v218 neg_lo:[1,1,0]
	s_set_vgpr_msb 0                        ;  msbs: dst=0 src0=0 src1=0 src2=0
	v_dot4_i32_iu8 v191, v190, v191, v196 neg_lo:[1,1,0]
	v_dot4_i32_iu8 v188, v190, v188, v189 neg_lo:[1,1,0]
	s_set_vgpr_msb 4                        ;  msbs: dst=0 src0=0 src1=1 src2=0
	v_dot4_i32_iu8 v189, v146, v33 /*v289*/, v194 neg_lo:[1,1,0]
	s_set_vgpr_msb 0                        ;  msbs: dst=0 src0=0 src1=0 src2=0
	v_dot4_i32_iu8 v194, v190, v198, v202 neg_lo:[1,1,0]
	s_set_vgpr_msb 4                        ;  msbs: dst=0 src0=0 src1=1 src2=0
	v_dot4_i32_iu8 v196, v146, v23 /*v279*/, v204 neg_lo:[1,1,0]
	s_set_vgpr_msb 0                        ;  msbs: dst=0 src0=0 src1=0 src2=0
	;; [unrolled: 4-line block ×3, first 2 shown]
	v_dot4_i32_iu8 v195, v69 /*v325*/, v33 /*v289*/, v206 neg_lo:[1,1,0]
	v_dot4_i32_iu8 v198, v69 /*v325*/, v23 /*v279*/, v207 neg_lo:[1,1,0]
	v_dot4_i32_iu8 v201, v62 /*v318*/, v33 /*v289*/, v210 neg_lo:[1,1,0]
	v_dot4_i32_iu8 v202, v62 /*v318*/, v23 /*v279*/, v213 neg_lo:[1,1,0]
	s_set_vgpr_msb 4                        ;  msbs: dst=0 src0=0 src1=1 src2=0
	v_dot4_i32_iu8 v131, v131, v16 /*v272*/, v147 neg_lo:[1,1,0]
	v_dot4_i32_iu8 v95, v135, v16 /*v272*/, v95 neg_lo:[1,1,0]
	;; [unrolled: 1-line block ×3, first 2 shown]
	s_set_vgpr_msb 1                        ;  msbs: dst=0 src0=1 src1=0 src2=0
	v_dot4_i32_iu8 v135, v2 /*v258*/, v143, v145 neg_lo:[1,1,0]
	s_set_vgpr_msb 0                        ;  msbs: dst=0 src0=0 src1=0 src2=0
	v_dot4_i32_iu8 v117, v117, v142, v208 neg_lo:[1,1,0]
	s_set_vgpr_msb 5                        ;  msbs: dst=0 src0=1 src1=1 src2=0
	v_dot4_i32_iu8 v141, v3 /*v259*/, v7 /*v263*/, v212 neg_lo:[1,1,0]
	s_set_vgpr_msb 4                        ;  msbs: dst=0 src0=0 src1=1 src2=0
	v_dot4_i32_iu8 v142, v252, v7 /*v263*/, v193 neg_lo:[1,1,0]
	s_set_vgpr_msb 5                        ;  msbs: dst=0 src0=1 src1=1 src2=0
	v_dot4_i32_iu8 v143, v3 /*v259*/, v23 /*v279*/, v215 neg_lo:[1,1,0]
	s_set_vgpr_msb 4                        ;  msbs: dst=0 src0=0 src1=1 src2=0
	v_dot4_i32_iu8 v145, v252, v23 /*v279*/, v199 neg_lo:[1,1,0]
	;; [unrolled: 4-line block ×3, first 2 shown]
	s_set_vgpr_msb 1                        ;  msbs: dst=0 src0=1 src1=0 src2=0
	v_or_b32_e32 v97, v72 /*v328*/, v97
	s_set_vgpr_msb 64                       ;  msbs: dst=1 src0=0 src1=0 src2=0
	v_perm_b32 v15 /*v271*/, v128, v128, 0xc030201
	v_perm_b32 v14 /*v270*/, v86, v86, 0xc030201
	;; [unrolled: 1-line block ×11, first 2 shown]
	s_set_vgpr_msb 5                        ;  msbs: dst=0 src0=1 src1=1 src2=0
	v_dot4_i32_iu8 v200, v69 /*v325*/, v25 /*v281*/, v209 neg_lo:[1,1,0]
	v_dot4_i32_iu8 v204, v62 /*v318*/, v25 /*v281*/, v214 neg_lo:[1,1,0]
	v_dot4_i32_iu8 v206, v58 /*v314*/, v33 /*v289*/, v217 neg_lo:[1,1,0]
	v_dot4_i32_iu8 v207, v58 /*v314*/, v23 /*v279*/, v211 neg_lo:[1,1,0]
	v_dot4_i32_iu8 v209, v58 /*v314*/, v25 /*v281*/, v219 neg_lo:[1,1,0]
	v_dot4_i32_iu8 v192, v47 /*v303*/, v33 /*v289*/, v192 neg_lo:[1,1,0]
	v_dot4_i32_iu8 v197, v47 /*v303*/, v23 /*v279*/, v197 neg_lo:[1,1,0]
	v_dot4_i32_iu8 v205, v47 /*v303*/, v25 /*v281*/, v205 neg_lo:[1,1,0]
	s_set_vgpr_msb 4                        ;  msbs: dst=0 src0=0 src1=1 src2=0
	v_dot4_i32_iu8 v129, v129, v16 /*v272*/, v218 neg_lo:[1,1,0]
	v_dot4_i32_iu8 v99, v99, v16 /*v272*/, v216 neg_lo:[1,1,0]
	s_set_vgpr_msb 0                        ;  msbs: dst=0 src0=0 src1=0 src2=0
	v_dot4_i32_iu8 v188, v83, v80, v188 neg_lo:[1,1,0]
	v_dot4_i32_iu8 v136, v83, v136, v194 neg_lo:[1,1,0]
	;; [unrolled: 1-line block ×8, first 2 shown]
	s_set_vgpr_msb 1                        ;  msbs: dst=0 src0=1 src1=0 src2=0
	v_dot4_i32_iu8 v144, v29 /*v285*/, v144, v135 neg_lo:[1,1,0]
	s_set_vgpr_msb 4                        ;  msbs: dst=0 src0=0 src1=1 src2=0
	v_dot4_i32_iu8 v142, v140, v6 /*v262*/, v142 neg_lo:[1,1,0]
	s_set_vgpr_msb 0                        ;  msbs: dst=0 src0=0 src1=0 src2=0
	v_dot4_i32_iu8 v86, v116, v86, v141 neg_lo:[1,1,0]
	s_set_vgpr_msb 4                        ;  msbs: dst=0 src0=0 src1=1 src2=0
	v_dot4_i32_iu8 v141, v140, v4 /*v260*/, v145 neg_lo:[1,1,0]
	s_set_vgpr_msb 5                        ;  msbs: dst=0 src0=1 src1=1 src2=0
	v_dot4_i32_iu8 v143, v8 /*v264*/, v4 /*v260*/, v143 neg_lo:[1,1,0]
	s_set_vgpr_msb 0                        ;  msbs: dst=0 src0=0 src1=0 src2=0
	v_dot4_i32_iu8 v140, v140, v253, v193 neg_lo:[1,1,0]
	s_set_vgpr_msb 1                        ;  msbs: dst=0 src0=1 src1=0 src2=0
	v_dot4_i32_iu8 v145, v8 /*v264*/, v253, v147 neg_lo:[1,1,0]
	s_set_vgpr_msb 0                        ;  msbs: dst=0 src0=0 src1=0 src2=0
	v_dot4_i32_iu8 v128, v96, v128, v200 neg_lo:[1,1,0]
	v_dot4_i32_iu8 v130, v96, v130, v204 neg_lo:[1,1,0]
	;; [unrolled: 1-line block ×8, first 2 shown]
	s_set_vgpr_msb 5                        ;  msbs: dst=0 src0=1 src1=1 src2=0
	v_dot4_i32_iu8 v200, v14 /*v270*/, v15 /*v271*/, v129 neg_lo:[1,1,0]
	v_dot4_i32_iu8 v201, v14 /*v270*/, v37 /*v293*/, v131 neg_lo:[1,1,0]
	;; [unrolled: 1-line block ×4, first 2 shown]
	s_set_vgpr_msb 0                        ;  msbs: dst=0 src0=0 src1=0 src2=0
	v_dot4_i32_iu8 v189, v98, v82, v189 neg_lo:[1,1,0]
	v_dot4_i32_iu8 v191, v98, v94, v196 neg_lo:[1,1,0]
	;; [unrolled: 1-line block ×3, first 2 shown]
	s_set_vgpr_msb 5                        ;  msbs: dst=0 src0=1 src1=1 src2=0
	v_dot4_i32_iu8 v146, v29 /*v285*/, v44 /*v300*/, v117 neg_lo:[1,1,0]
	v_dot4_i32_iu8 v196, v14 /*v270*/, v45 /*v301*/, v99 neg_lo:[1,1,0]
	s_set_vgpr_msb 0                        ;  msbs: dst=0 src0=0 src1=0 src2=0
	v_cvt_f32_i32_e32 v83, v190
	v_cvt_f32_i32_e32 v82, v80
	;; [unrolled: 1-line block ×4, first 2 shown]
	v_dot4_i32_iu8 v84, v97, v85, v84 neg_lo:[1,1,0]
	v_cvt_f32_i32_e32 v80, v144
	v_dot4_i32_iu8 v144, v97, v81, v188 neg_lo:[1,1,0]
	v_dot4_i32_iu8 v136, v97, v137, v136 neg_lo:[1,1,0]
	;; [unrolled: 1-line block ×3, first 2 shown]
	s_set_vgpr_msb 4                        ;  msbs: dst=0 src0=0 src1=1 src2=0
	v_dot4_i32_iu8 v142, v87, v5 /*v261*/, v142 neg_lo:[1,1,0]
	s_set_vgpr_msb 5                        ;  msbs: dst=0 src0=1 src1=1 src2=0
	v_dot4_i32_iu8 v143, v1 /*v257*/, v9 /*v265*/, v143 neg_lo:[1,1,0]
	s_set_vgpr_msb 4                        ;  msbs: dst=0 src0=0 src1=1 src2=0
	v_dot4_i32_iu8 v141, v87, v9 /*v265*/, v141 neg_lo:[1,1,0]
	s_set_vgpr_msb 5                        ;  msbs: dst=0 src0=1 src1=1 src2=0
	v_dot4_i32_iu8 v145, v1 /*v257*/, v21 /*v277*/, v145 neg_lo:[1,1,0]
	s_set_vgpr_msb 4                        ;  msbs: dst=0 src0=0 src1=1 src2=0
	v_dot4_i32_iu8 v140, v87, v21 /*v277*/, v140 neg_lo:[1,1,0]
	v_cvt_f32_i32_e32 v99, v130
	v_cvt_f32_i32_e32 v98, v128
	;; [unrolled: 1-line block ×18, first 2 shown]
	s_set_vgpr_msb 0                        ;  msbs: dst=0 src0=0 src1=0 src2=0
	v_pk_fma_f32 v[26:27], v[104:105], v[82:83], v[26:27]
	v_pk_fma_f32 v[22:23], v[106:107], v[94:95], v[22:23]
	v_cvt_f32_i32_e32 v81, v84
	v_cvt_f32_i32_e32 v84, v144
	;; [unrolled: 1-line block ×9, first 2 shown]
	v_add_nc_u32_e32 v182, 32, v182
	v_pk_fma_f32 v[20:21], v[108:109], v[98:99], v[20:21]
	v_pk_fma_f32 v[18:19], v[110:111], v[116:117], v[18:19]
	;; [unrolled: 1-line block ×14, first 2 shown]
	s_add_co_i32 s12, s12, 4
	s_delay_alu instid0(SALU_CYCLE_1)
	s_cmp_lt_u32 s12, 28
	s_cbranch_scc1 .LBB161_11
; %bb.12:                               ;   in Loop: Header=BB161_6 Depth=1
	s_barrier_signal -1
	s_barrier_wait -1
	s_branch .LBB161_5
.LBB161_13:
	v_dual_mov_b32 v28, v1 :: v_dual_mov_b32 v30, v29
.LBB161_14:
	s_wait_xcnt 0x0
	s_mov_b32 s0, exec_lo
	v_cmpx_gt_u32_e64 s4, v33
	s_cbranch_execz .LBB161_65
; %bb.15:
	v_mul_lo_u32 v31, v33, s6
	v_add_nc_u32_e32 v0, s14, v30
	s_delay_alu instid0(VALU_DEP_1)
	v_cmp_gt_u32_e32 vcc_lo, s6, v0
	s_and_saveexec_b32 s1, vcc_lo
	s_cbranch_execz .LBB161_17
; %bb.16:
	v_bfe_u32 v1, v38, 16, 1
	v_cmp_o_f32_e64 s0, v38, v38
	v_add_nc_u32_e32 v29, v0, v31
	s_delay_alu instid0(VALU_DEP_3) | instskip(NEXT) | instid1(VALU_DEP_1)
	v_add3_u32 v1, v38, v1, 0x7fff
	v_lshrrev_b32_e32 v1, 16, v1
	s_delay_alu instid0(VALU_DEP_1)
	v_cndmask_b32_e64 v1, 0x7fc0, v1, s0
	s_wait_kmcnt 0x0
	global_store_b16 v29, v1, s[8:9] scale_offset
.LBB161_17:
	s_wait_xcnt 0x0
	s_or_b32 exec_lo, exec_lo, s1
	v_add_nc_u32_e32 v1, 32, v0
	s_delay_alu instid0(VALU_DEP_1)
	v_cmp_gt_u32_e64 s0, s6, v1
	s_and_saveexec_b32 s2, s0
	s_cbranch_execz .LBB161_19
; %bb.18:
	v_bfe_u32 v29, v9, 16, 1
	v_cmp_o_f32_e64 s1, v9, v9
	s_delay_alu instid0(VALU_DEP_2) | instskip(NEXT) | instid1(VALU_DEP_1)
	v_add3_u32 v29, v9, v29, 0x7fff
	v_lshrrev_b32_e32 v29, 16, v29
	s_delay_alu instid0(VALU_DEP_1)
	v_cndmask_b32_e64 v9, 0x7fc0, v29, s1
	v_add_nc_u32_e32 v29, v1, v31
	s_wait_kmcnt 0x0
	global_store_b16 v29, v9, s[8:9] scale_offset
.LBB161_19:
	s_wait_xcnt 0x0
	s_or_b32 exec_lo, exec_lo, s2
	v_add_nc_u32_e32 v9, 64, v0
	s_delay_alu instid0(VALU_DEP_1)
	v_cmp_gt_u32_e64 s1, s6, v9
	s_and_saveexec_b32 s3, s1
	s_cbranch_execz .LBB161_21
; %bb.20:
	v_bfe_u32 v29, v36, 16, 1
	v_cmp_o_f32_e64 s2, v36, v36
	v_add_nc_u32_e32 v30, v9, v31
	s_delay_alu instid0(VALU_DEP_3) | instskip(NEXT) | instid1(VALU_DEP_1)
	v_add3_u32 v29, v36, v29, 0x7fff
	v_lshrrev_b32_e32 v29, 16, v29
	s_delay_alu instid0(VALU_DEP_1)
	v_cndmask_b32_e64 v29, 0x7fc0, v29, s2
	s_wait_kmcnt 0x0
	global_store_b16 v30, v29, s[8:9] scale_offset
.LBB161_21:
	s_wait_xcnt 0x0
	s_or_b32 exec_lo, exec_lo, s3
	v_add_nc_u32_e32 v29, 0x60, v0
	s_delay_alu instid0(VALU_DEP_1)
	v_cmp_gt_u32_e64 s2, s6, v29
	s_and_saveexec_b32 s5, s2
	s_cbranch_execz .LBB161_23
; %bb.22:
	v_bfe_u32 v30, v34, 16, 1
	v_cmp_o_f32_e64 s3, v34, v34
	v_add_nc_u32_e32 v31, v29, v31
	s_delay_alu instid0(VALU_DEP_3) | instskip(NEXT) | instid1(VALU_DEP_1)
	v_add3_u32 v30, v34, v30, 0x7fff
	v_lshrrev_b32_e32 v30, 16, v30
	s_delay_alu instid0(VALU_DEP_1)
	v_cndmask_b32_e64 v30, 0x7fc0, v30, s3
	s_wait_kmcnt 0x0
	global_store_b16 v31, v30, s[8:9] scale_offset
.LBB161_23:
	s_wait_xcnt 0x0
	s_or_b32 exec_lo, exec_lo, s5
	v_add3_u32 v30, v28, s7, 8
	s_delay_alu instid0(VALU_DEP_1)
	v_cmp_gt_u32_e64 s3, s4, v30
	s_and_b32 exec_lo, exec_lo, s3
	s_cbranch_execz .LBB161_65
; %bb.24:
	v_mul_lo_u32 v30, v30, s6
	s_and_saveexec_b32 s5, vcc_lo
	s_cbranch_execnz .LBB161_66
; %bb.25:
	s_or_b32 exec_lo, exec_lo, s5
	s_and_saveexec_b32 s5, s0
	s_cbranch_execnz .LBB161_67
.LBB161_26:
	s_or_b32 exec_lo, exec_lo, s5
	s_and_saveexec_b32 s5, s1
	s_cbranch_execnz .LBB161_68
.LBB161_27:
	s_or_b32 exec_lo, exec_lo, s5
	s_and_saveexec_b32 s5, s2
	s_cbranch_execz .LBB161_29
.LBB161_28:
	v_bfe_u32 v11, v35, 16, 1
	v_cmp_o_f32_e64 s3, v35, v35
	v_add_nc_u32_e32 v30, v30, v29
	s_delay_alu instid0(VALU_DEP_3) | instskip(NEXT) | instid1(VALU_DEP_1)
	v_add3_u32 v11, v35, v11, 0x7fff
	v_lshrrev_b32_e32 v11, 16, v11
	s_delay_alu instid0(VALU_DEP_1)
	v_cndmask_b32_e64 v11, 0x7fc0, v11, s3
	s_wait_kmcnt 0x0
	global_store_b16 v30, v11, s[8:9] scale_offset
.LBB161_29:
	s_wait_xcnt 0x0
	s_or_b32 exec_lo, exec_lo, s5
	v_add3_u32 v11, v28, s7, 16
	s_delay_alu instid0(VALU_DEP_1)
	v_cmp_gt_u32_e64 s3, s4, v11
	s_and_b32 exec_lo, exec_lo, s3
	s_cbranch_execz .LBB161_65
; %bb.30:
	v_mul_lo_u32 v11, v11, s6
	s_and_saveexec_b32 s5, vcc_lo
	s_cbranch_execnz .LBB161_69
; %bb.31:
	s_or_b32 exec_lo, exec_lo, s5
	s_and_saveexec_b32 s5, s0
	s_cbranch_execnz .LBB161_70
.LBB161_32:
	s_or_b32 exec_lo, exec_lo, s5
	s_and_saveexec_b32 s5, s1
	s_cbranch_execnz .LBB161_71
.LBB161_33:
	s_or_b32 exec_lo, exec_lo, s5
	s_and_saveexec_b32 s5, s2
	s_cbranch_execz .LBB161_35
.LBB161_34:
	v_bfe_u32 v22, v20, 16, 1
	v_cmp_o_f32_e64 s3, v20, v20
	v_add_nc_u32_e32 v11, v11, v29
	s_delay_alu instid0(VALU_DEP_3) | instskip(NEXT) | instid1(VALU_DEP_1)
	v_add3_u32 v22, v20, v22, 0x7fff
	v_lshrrev_b32_e32 v22, 16, v22
	s_delay_alu instid0(VALU_DEP_1)
	v_cndmask_b32_e64 v20, 0x7fc0, v22, s3
	s_wait_kmcnt 0x0
	global_store_b16 v11, v20, s[8:9] scale_offset
.LBB161_35:
	s_wait_xcnt 0x0
	s_or_b32 exec_lo, exec_lo, s5
	v_add3_u32 v11, v28, s7, 24
	s_delay_alu instid0(VALU_DEP_1)
	v_cmp_gt_u32_e64 s3, s4, v11
	s_and_b32 exec_lo, exec_lo, s3
	s_cbranch_execz .LBB161_65
; %bb.36:
	v_mul_lo_u32 v11, v11, s6
	s_and_saveexec_b32 s5, vcc_lo
	s_cbranch_execnz .LBB161_72
; %bb.37:
	s_or_b32 exec_lo, exec_lo, s5
	s_and_saveexec_b32 s5, s0
	s_cbranch_execnz .LBB161_73
.LBB161_38:
	s_or_b32 exec_lo, exec_lo, s5
	s_and_saveexec_b32 s5, s1
	s_cbranch_execnz .LBB161_74
.LBB161_39:
	s_or_b32 exec_lo, exec_lo, s5
	s_and_saveexec_b32 s5, s2
	s_cbranch_execz .LBB161_41
.LBB161_40:
	v_bfe_u32 v20, v21, 16, 1
	v_cmp_o_f32_e64 s3, v21, v21
	v_add_nc_u32_e32 v11, v11, v29
	s_delay_alu instid0(VALU_DEP_3) | instskip(NEXT) | instid1(VALU_DEP_1)
	v_add3_u32 v20, v21, v20, 0x7fff
	v_lshrrev_b32_e32 v20, 16, v20
	s_delay_alu instid0(VALU_DEP_1)
	v_cndmask_b32_e64 v20, 0x7fc0, v20, s3
	s_wait_kmcnt 0x0
	global_store_b16 v11, v20, s[8:9] scale_offset
.LBB161_41:
	s_wait_xcnt 0x0
	s_or_b32 exec_lo, exec_lo, s5
	v_add3_u32 v11, v28, s7, 32
	s_delay_alu instid0(VALU_DEP_1)
	v_cmp_gt_u32_e64 s3, s4, v11
	s_and_b32 exec_lo, exec_lo, s3
	s_cbranch_execz .LBB161_65
; %bb.42:
	v_mul_lo_u32 v11, v11, s6
	s_and_saveexec_b32 s5, vcc_lo
	s_cbranch_execnz .LBB161_75
; %bb.43:
	s_or_b32 exec_lo, exec_lo, s5
	s_and_saveexec_b32 s5, s0
	s_cbranch_execnz .LBB161_76
.LBB161_44:
	s_or_b32 exec_lo, exec_lo, s5
	s_and_saveexec_b32 s5, s1
	s_cbranch_execnz .LBB161_77
.LBB161_45:
	s_or_b32 exec_lo, exec_lo, s5
	s_and_saveexec_b32 s5, s2
	s_cbranch_execz .LBB161_47
.LBB161_46:
	v_bfe_u32 v14, v12, 16, 1
	v_cmp_o_f32_e64 s3, v12, v12
	v_add_nc_u32_e32 v11, v11, v29
	s_delay_alu instid0(VALU_DEP_3) | instskip(NEXT) | instid1(VALU_DEP_1)
	v_add3_u32 v14, v12, v14, 0x7fff
	v_lshrrev_b32_e32 v14, 16, v14
	s_delay_alu instid0(VALU_DEP_1)
	v_cndmask_b32_e64 v12, 0x7fc0, v14, s3
	s_wait_kmcnt 0x0
	global_store_b16 v11, v12, s[8:9] scale_offset
.LBB161_47:
	s_wait_xcnt 0x0
	s_or_b32 exec_lo, exec_lo, s5
	v_add3_u32 v11, v28, s7, 40
	s_delay_alu instid0(VALU_DEP_1)
	v_cmp_gt_u32_e64 s3, s4, v11
	s_and_b32 exec_lo, exec_lo, s3
	s_cbranch_execz .LBB161_65
; %bb.48:
	v_mul_lo_u32 v11, v11, s6
	s_and_saveexec_b32 s5, vcc_lo
	s_cbranch_execnz .LBB161_78
; %bb.49:
	s_or_b32 exec_lo, exec_lo, s5
	s_and_saveexec_b32 s5, s0
	s_cbranch_execnz .LBB161_79
.LBB161_50:
	s_or_b32 exec_lo, exec_lo, s5
	s_and_saveexec_b32 s5, s1
	s_cbranch_execnz .LBB161_80
.LBB161_51:
	s_or_b32 exec_lo, exec_lo, s5
	s_and_saveexec_b32 s5, s2
	s_cbranch_execz .LBB161_53
.LBB161_52:
	v_bfe_u32 v12, v13, 16, 1
	v_cmp_o_f32_e64 s3, v13, v13
	v_add_nc_u32_e32 v11, v11, v29
	s_delay_alu instid0(VALU_DEP_3) | instskip(NEXT) | instid1(VALU_DEP_1)
	v_add3_u32 v12, v13, v12, 0x7fff
	v_lshrrev_b32_e32 v12, 16, v12
	s_delay_alu instid0(VALU_DEP_1)
	v_cndmask_b32_e64 v12, 0x7fc0, v12, s3
	s_wait_kmcnt 0x0
	global_store_b16 v11, v12, s[8:9] scale_offset
.LBB161_53:
	s_wait_xcnt 0x0
	s_or_b32 exec_lo, exec_lo, s5
	v_add3_u32 v11, v28, s7, 48
	s_delay_alu instid0(VALU_DEP_1)
	v_cmp_gt_u32_e64 s3, s4, v11
	s_and_b32 exec_lo, exec_lo, s3
	s_cbranch_execz .LBB161_65
; %bb.54:
	v_mul_lo_u32 v11, v11, s6
	s_and_saveexec_b32 s5, vcc_lo
	s_cbranch_execnz .LBB161_81
; %bb.55:
	s_or_b32 exec_lo, exec_lo, s5
	s_and_saveexec_b32 s5, s0
	s_cbranch_execnz .LBB161_82
.LBB161_56:
	s_or_b32 exec_lo, exec_lo, s5
	s_and_saveexec_b32 s5, s1
	s_cbranch_execnz .LBB161_83
.LBB161_57:
	s_or_b32 exec_lo, exec_lo, s5
	s_and_saveexec_b32 s5, s2
	s_cbranch_execz .LBB161_59
.LBB161_58:
	v_bfe_u32 v4, v2, 16, 1
	v_cmp_o_f32_e64 s3, v2, v2
	s_delay_alu instid0(VALU_DEP_2) | instskip(NEXT) | instid1(VALU_DEP_1)
	v_add3_u32 v4, v2, v4, 0x7fff
	v_lshrrev_b32_e32 v4, 16, v4
	s_delay_alu instid0(VALU_DEP_1)
	v_cndmask_b32_e64 v2, 0x7fc0, v4, s3
	v_add_nc_u32_e32 v4, v11, v29
	s_wait_kmcnt 0x0
	global_store_b16 v4, v2, s[8:9] scale_offset
.LBB161_59:
	s_wait_xcnt 0x0
	s_or_b32 exec_lo, exec_lo, s5
	v_add3_u32 v2, v28, s7, 56
	s_delay_alu instid0(VALU_DEP_1)
	v_cmp_gt_u32_e64 s3, s4, v2
	s_and_b32 exec_lo, exec_lo, s3
	s_cbranch_execz .LBB161_65
; %bb.60:
	v_mul_lo_u32 v2, v2, s6
	s_and_saveexec_b32 s3, vcc_lo
	s_cbranch_execnz .LBB161_84
; %bb.61:
	s_or_b32 exec_lo, exec_lo, s3
	s_and_saveexec_b32 s3, s0
	s_cbranch_execnz .LBB161_85
.LBB161_62:
	s_or_b32 exec_lo, exec_lo, s3
	s_and_saveexec_b32 s0, s1
	s_cbranch_execnz .LBB161_86
.LBB161_63:
	s_or_b32 exec_lo, exec_lo, s0
	s_delay_alu instid0(SALU_CYCLE_1)
	s_and_b32 exec_lo, exec_lo, s2
	s_cbranch_execz .LBB161_65
.LBB161_64:
	v_bfe_u32 v0, v3, 16, 1
	v_cmp_o_f32_e32 vcc_lo, v3, v3
	v_add_nc_u32_e32 v1, v2, v29
	s_delay_alu instid0(VALU_DEP_3) | instskip(NEXT) | instid1(VALU_DEP_1)
	v_add3_u32 v0, v3, v0, 0x7fff
	v_lshrrev_b32_e32 v0, 16, v0
	s_delay_alu instid0(VALU_DEP_1)
	v_cndmask_b32_e32 v0, 0x7fc0, v0, vcc_lo
	s_wait_kmcnt 0x0
	global_store_b16 v1, v0, s[8:9] scale_offset
.LBB161_65:
	s_sendmsg sendmsg(MSG_DEALLOC_VGPRS)
	s_endpgm
.LBB161_66:
	v_bfe_u32 v31, v39, 16, 1
	v_cmp_o_f32_e64 s3, v39, v39
	s_delay_alu instid0(VALU_DEP_3) | instskip(NEXT) | instid1(VALU_DEP_3)
	v_add_nc_u32_e32 v32, v30, v0
	v_add3_u32 v31, v39, v31, 0x7fff
	s_delay_alu instid0(VALU_DEP_1) | instskip(NEXT) | instid1(VALU_DEP_1)
	v_lshrrev_b32_e32 v31, 16, v31
	v_cndmask_b32_e64 v31, 0x7fc0, v31, s3
	s_wait_kmcnt 0x0
	global_store_b16 v32, v31, s[8:9] scale_offset
	s_wait_xcnt 0x0
	s_or_b32 exec_lo, exec_lo, s5
	s_and_saveexec_b32 s5, s0
	s_cbranch_execz .LBB161_26
.LBB161_67:
	v_bfe_u32 v31, v11, 16, 1
	v_cmp_o_f32_e64 s3, v11, v11
	s_delay_alu instid0(VALU_DEP_2) | instskip(NEXT) | instid1(VALU_DEP_1)
	v_add3_u32 v31, v11, v31, 0x7fff
	v_lshrrev_b32_e32 v31, 16, v31
	s_delay_alu instid0(VALU_DEP_1)
	v_cndmask_b32_e64 v11, 0x7fc0, v31, s3
	v_add_nc_u32_e32 v31, v30, v1
	s_wait_kmcnt 0x0
	global_store_b16 v31, v11, s[8:9] scale_offset
	s_wait_xcnt 0x0
	s_or_b32 exec_lo, exec_lo, s5
	s_and_saveexec_b32 s5, s1
	s_cbranch_execz .LBB161_27
.LBB161_68:
	v_bfe_u32 v11, v37, 16, 1
	v_cmp_o_f32_e64 s3, v37, v37
	v_add_nc_u32_e32 v31, v30, v9
	s_delay_alu instid0(VALU_DEP_3) | instskip(NEXT) | instid1(VALU_DEP_1)
	v_add3_u32 v11, v37, v11, 0x7fff
	v_lshrrev_b32_e32 v11, 16, v11
	s_delay_alu instid0(VALU_DEP_1)
	v_cndmask_b32_e64 v11, 0x7fc0, v11, s3
	s_wait_kmcnt 0x0
	global_store_b16 v31, v11, s[8:9] scale_offset
	s_wait_xcnt 0x0
	s_or_b32 exec_lo, exec_lo, s5
	s_and_saveexec_b32 s5, s2
	s_cbranch_execnz .LBB161_28
	s_branch .LBB161_29
.LBB161_69:
	v_bfe_u32 v30, v26, 16, 1
	v_cmp_o_f32_e64 s3, v26, v26
	s_delay_alu instid0(VALU_DEP_2) | instskip(NEXT) | instid1(VALU_DEP_1)
	v_add3_u32 v30, v26, v30, 0x7fff
	v_lshrrev_b32_e32 v30, 16, v30
	s_delay_alu instid0(VALU_DEP_1)
	v_cndmask_b32_e64 v26, 0x7fc0, v30, s3
	v_add_nc_u32_e32 v30, v11, v0
	s_wait_kmcnt 0x0
	global_store_b16 v30, v26, s[8:9] scale_offset
	s_wait_xcnt 0x0
	s_or_b32 exec_lo, exec_lo, s5
	s_and_saveexec_b32 s5, s0
	s_cbranch_execz .LBB161_32
.LBB161_70:
	v_bfe_u32 v26, v24, 16, 1
	v_cmp_o_f32_e64 s3, v24, v24
	s_delay_alu instid0(VALU_DEP_2) | instskip(NEXT) | instid1(VALU_DEP_1)
	v_add3_u32 v26, v24, v26, 0x7fff
	v_lshrrev_b32_e32 v26, 16, v26
	s_delay_alu instid0(VALU_DEP_1)
	v_cndmask_b32_e64 v24, 0x7fc0, v26, s3
	v_add_nc_u32_e32 v26, v11, v1
	s_wait_kmcnt 0x0
	global_store_b16 v26, v24, s[8:9] scale_offset
	s_wait_xcnt 0x0
	s_or_b32 exec_lo, exec_lo, s5
	s_and_saveexec_b32 s5, s1
	s_cbranch_execz .LBB161_33
.LBB161_71:
	v_bfe_u32 v24, v22, 16, 1
	v_cmp_o_f32_e64 s3, v22, v22
	s_delay_alu instid0(VALU_DEP_2) | instskip(NEXT) | instid1(VALU_DEP_1)
	v_add3_u32 v24, v22, v24, 0x7fff
	v_lshrrev_b32_e32 v24, 16, v24
	s_delay_alu instid0(VALU_DEP_1)
	v_cndmask_b32_e64 v22, 0x7fc0, v24, s3
	v_add_nc_u32_e32 v24, v11, v9
	s_wait_kmcnt 0x0
	global_store_b16 v24, v22, s[8:9] scale_offset
	s_wait_xcnt 0x0
	s_or_b32 exec_lo, exec_lo, s5
	s_and_saveexec_b32 s5, s2
	s_cbranch_execnz .LBB161_34
	s_branch .LBB161_35
.LBB161_72:
	v_bfe_u32 v20, v27, 16, 1
	v_cmp_o_f32_e64 s3, v27, v27
	s_delay_alu instid0(VALU_DEP_3) | instskip(NEXT) | instid1(VALU_DEP_3)
	v_add_nc_u32_e32 v22, v11, v0
	v_add3_u32 v20, v27, v20, 0x7fff
	s_delay_alu instid0(VALU_DEP_1) | instskip(NEXT) | instid1(VALU_DEP_1)
	v_lshrrev_b32_e32 v20, 16, v20
	v_cndmask_b32_e64 v20, 0x7fc0, v20, s3
	s_wait_kmcnt 0x0
	global_store_b16 v22, v20, s[8:9] scale_offset
	s_wait_xcnt 0x0
	s_or_b32 exec_lo, exec_lo, s5
	s_and_saveexec_b32 s5, s0
	s_cbranch_execz .LBB161_38
.LBB161_73:
	v_bfe_u32 v20, v25, 16, 1
	v_cmp_o_f32_e64 s3, v25, v25
	s_delay_alu instid0(VALU_DEP_3) | instskip(NEXT) | instid1(VALU_DEP_3)
	v_add_nc_u32_e32 v22, v11, v1
	v_add3_u32 v20, v25, v20, 0x7fff
	s_delay_alu instid0(VALU_DEP_1) | instskip(NEXT) | instid1(VALU_DEP_1)
	v_lshrrev_b32_e32 v20, 16, v20
	v_cndmask_b32_e64 v20, 0x7fc0, v20, s3
	s_wait_kmcnt 0x0
	global_store_b16 v22, v20, s[8:9] scale_offset
	s_wait_xcnt 0x0
	s_or_b32 exec_lo, exec_lo, s5
	s_and_saveexec_b32 s5, s1
	s_cbranch_execz .LBB161_39
.LBB161_74:
	v_bfe_u32 v20, v23, 16, 1
	v_cmp_o_f32_e64 s3, v23, v23
	v_add_nc_u32_e32 v22, v11, v9
	s_delay_alu instid0(VALU_DEP_3) | instskip(NEXT) | instid1(VALU_DEP_1)
	v_add3_u32 v20, v23, v20, 0x7fff
	v_lshrrev_b32_e32 v20, 16, v20
	s_delay_alu instid0(VALU_DEP_1)
	v_cndmask_b32_e64 v20, 0x7fc0, v20, s3
	s_wait_kmcnt 0x0
	global_store_b16 v22, v20, s[8:9] scale_offset
	s_wait_xcnt 0x0
	s_or_b32 exec_lo, exec_lo, s5
	s_and_saveexec_b32 s5, s2
	s_cbranch_execnz .LBB161_40
	s_branch .LBB161_41
.LBB161_75:
	v_bfe_u32 v20, v18, 16, 1
	v_cmp_o_f32_e64 s3, v18, v18
	s_delay_alu instid0(VALU_DEP_2) | instskip(NEXT) | instid1(VALU_DEP_1)
	v_add3_u32 v20, v18, v20, 0x7fff
	v_lshrrev_b32_e32 v20, 16, v20
	s_delay_alu instid0(VALU_DEP_1)
	v_cndmask_b32_e64 v18, 0x7fc0, v20, s3
	v_add_nc_u32_e32 v20, v11, v0
	s_wait_kmcnt 0x0
	global_store_b16 v20, v18, s[8:9] scale_offset
	s_wait_xcnt 0x0
	s_or_b32 exec_lo, exec_lo, s5
	s_and_saveexec_b32 s5, s0
	s_cbranch_execz .LBB161_44
.LBB161_76:
	v_bfe_u32 v18, v16, 16, 1
	v_cmp_o_f32_e64 s3, v16, v16
	s_delay_alu instid0(VALU_DEP_2) | instskip(NEXT) | instid1(VALU_DEP_1)
	v_add3_u32 v18, v16, v18, 0x7fff
	v_lshrrev_b32_e32 v18, 16, v18
	s_delay_alu instid0(VALU_DEP_1)
	v_cndmask_b32_e64 v16, 0x7fc0, v18, s3
	v_add_nc_u32_e32 v18, v11, v1
	s_wait_kmcnt 0x0
	global_store_b16 v18, v16, s[8:9] scale_offset
	s_wait_xcnt 0x0
	s_or_b32 exec_lo, exec_lo, s5
	s_and_saveexec_b32 s5, s1
	s_cbranch_execz .LBB161_45
.LBB161_77:
	v_bfe_u32 v16, v14, 16, 1
	v_cmp_o_f32_e64 s3, v14, v14
	s_delay_alu instid0(VALU_DEP_2) | instskip(NEXT) | instid1(VALU_DEP_1)
	v_add3_u32 v16, v14, v16, 0x7fff
	v_lshrrev_b32_e32 v16, 16, v16
	s_delay_alu instid0(VALU_DEP_1)
	v_cndmask_b32_e64 v14, 0x7fc0, v16, s3
	v_add_nc_u32_e32 v16, v11, v9
	s_wait_kmcnt 0x0
	global_store_b16 v16, v14, s[8:9] scale_offset
	s_wait_xcnt 0x0
	s_or_b32 exec_lo, exec_lo, s5
	s_and_saveexec_b32 s5, s2
	s_cbranch_execnz .LBB161_46
	s_branch .LBB161_47
.LBB161_78:
	v_bfe_u32 v12, v19, 16, 1
	v_cmp_o_f32_e64 s3, v19, v19
	s_delay_alu instid0(VALU_DEP_3) | instskip(NEXT) | instid1(VALU_DEP_3)
	v_add_nc_u32_e32 v14, v11, v0
	v_add3_u32 v12, v19, v12, 0x7fff
	s_delay_alu instid0(VALU_DEP_1) | instskip(NEXT) | instid1(VALU_DEP_1)
	v_lshrrev_b32_e32 v12, 16, v12
	v_cndmask_b32_e64 v12, 0x7fc0, v12, s3
	s_wait_kmcnt 0x0
	global_store_b16 v14, v12, s[8:9] scale_offset
	s_wait_xcnt 0x0
	s_or_b32 exec_lo, exec_lo, s5
	s_and_saveexec_b32 s5, s0
	s_cbranch_execz .LBB161_50
.LBB161_79:
	v_bfe_u32 v12, v17, 16, 1
	v_cmp_o_f32_e64 s3, v17, v17
	s_delay_alu instid0(VALU_DEP_3) | instskip(NEXT) | instid1(VALU_DEP_3)
	v_add_nc_u32_e32 v14, v11, v1
	v_add3_u32 v12, v17, v12, 0x7fff
	s_delay_alu instid0(VALU_DEP_1) | instskip(NEXT) | instid1(VALU_DEP_1)
	v_lshrrev_b32_e32 v12, 16, v12
	v_cndmask_b32_e64 v12, 0x7fc0, v12, s3
	s_wait_kmcnt 0x0
	global_store_b16 v14, v12, s[8:9] scale_offset
	s_wait_xcnt 0x0
	s_or_b32 exec_lo, exec_lo, s5
	s_and_saveexec_b32 s5, s1
	s_cbranch_execz .LBB161_51
.LBB161_80:
	v_bfe_u32 v12, v15, 16, 1
	v_cmp_o_f32_e64 s3, v15, v15
	v_add_nc_u32_e32 v14, v11, v9
	s_delay_alu instid0(VALU_DEP_3) | instskip(NEXT) | instid1(VALU_DEP_1)
	v_add3_u32 v12, v15, v12, 0x7fff
	v_lshrrev_b32_e32 v12, 16, v12
	s_delay_alu instid0(VALU_DEP_1)
	v_cndmask_b32_e64 v12, 0x7fc0, v12, s3
	s_wait_kmcnt 0x0
	global_store_b16 v14, v12, s[8:9] scale_offset
	s_wait_xcnt 0x0
	s_or_b32 exec_lo, exec_lo, s5
	s_and_saveexec_b32 s5, s2
	s_cbranch_execnz .LBB161_52
	s_branch .LBB161_53
.LBB161_81:
	v_bfe_u32 v12, v10, 16, 1
	v_cmp_o_f32_e64 s3, v10, v10
	s_delay_alu instid0(VALU_DEP_2) | instskip(NEXT) | instid1(VALU_DEP_1)
	v_add3_u32 v12, v10, v12, 0x7fff
	v_lshrrev_b32_e32 v12, 16, v12
	s_delay_alu instid0(VALU_DEP_1)
	v_cndmask_b32_e64 v10, 0x7fc0, v12, s3
	v_add_nc_u32_e32 v12, v11, v0
	s_wait_kmcnt 0x0
	global_store_b16 v12, v10, s[8:9] scale_offset
	s_wait_xcnt 0x0
	s_or_b32 exec_lo, exec_lo, s5
	s_and_saveexec_b32 s5, s0
	s_cbranch_execz .LBB161_56
.LBB161_82:
	v_bfe_u32 v10, v6, 16, 1
	v_cmp_o_f32_e64 s3, v6, v6
	s_delay_alu instid0(VALU_DEP_2) | instskip(NEXT) | instid1(VALU_DEP_1)
	v_add3_u32 v10, v6, v10, 0x7fff
	v_lshrrev_b32_e32 v10, 16, v10
	s_delay_alu instid0(VALU_DEP_1)
	v_cndmask_b32_e64 v6, 0x7fc0, v10, s3
	v_add_nc_u32_e32 v10, v11, v1
	s_wait_kmcnt 0x0
	global_store_b16 v10, v6, s[8:9] scale_offset
	s_wait_xcnt 0x0
	s_or_b32 exec_lo, exec_lo, s5
	s_and_saveexec_b32 s5, s1
	s_cbranch_execz .LBB161_57
.LBB161_83:
	v_bfe_u32 v6, v4, 16, 1
	v_cmp_o_f32_e64 s3, v4, v4
	s_delay_alu instid0(VALU_DEP_2) | instskip(NEXT) | instid1(VALU_DEP_1)
	v_add3_u32 v6, v4, v6, 0x7fff
	v_lshrrev_b32_e32 v6, 16, v6
	s_delay_alu instid0(VALU_DEP_1)
	v_cndmask_b32_e64 v4, 0x7fc0, v6, s3
	v_add_nc_u32_e32 v6, v11, v9
	s_wait_kmcnt 0x0
	global_store_b16 v6, v4, s[8:9] scale_offset
	s_wait_xcnt 0x0
	s_or_b32 exec_lo, exec_lo, s5
	s_and_saveexec_b32 s5, s2
	s_cbranch_execnz .LBB161_58
	s_branch .LBB161_59
.LBB161_84:
	v_bfe_u32 v4, v8, 16, 1
	v_cmp_o_f32_e32 vcc_lo, v8, v8
	s_delay_alu instid0(VALU_DEP_3) | instskip(NEXT) | instid1(VALU_DEP_3)
	v_add_nc_u32_e32 v0, v2, v0
	v_add3_u32 v4, v8, v4, 0x7fff
	s_delay_alu instid0(VALU_DEP_1) | instskip(NEXT) | instid1(VALU_DEP_1)
	v_lshrrev_b32_e32 v4, 16, v4
	v_cndmask_b32_e32 v4, 0x7fc0, v4, vcc_lo
	s_wait_kmcnt 0x0
	global_store_b16 v0, v4, s[8:9] scale_offset
	s_wait_xcnt 0x0
	s_or_b32 exec_lo, exec_lo, s3
	s_and_saveexec_b32 s3, s0
	s_cbranch_execz .LBB161_62
.LBB161_85:
	v_bfe_u32 v0, v7, 16, 1
	v_cmp_o_f32_e32 vcc_lo, v7, v7
	s_delay_alu instid0(VALU_DEP_3) | instskip(NEXT) | instid1(VALU_DEP_3)
	v_add_nc_u32_e32 v1, v2, v1
	v_add3_u32 v0, v7, v0, 0x7fff
	s_delay_alu instid0(VALU_DEP_1) | instskip(NEXT) | instid1(VALU_DEP_1)
	v_lshrrev_b32_e32 v0, 16, v0
	v_cndmask_b32_e32 v0, 0x7fc0, v0, vcc_lo
	s_wait_kmcnt 0x0
	global_store_b16 v1, v0, s[8:9] scale_offset
	s_wait_xcnt 0x0
	s_or_b32 exec_lo, exec_lo, s3
	s_and_saveexec_b32 s0, s1
	s_cbranch_execz .LBB161_63
.LBB161_86:
	v_bfe_u32 v0, v5, 16, 1
	v_cmp_o_f32_e32 vcc_lo, v5, v5
	v_add_nc_u32_e32 v1, v2, v9
	s_delay_alu instid0(VALU_DEP_3) | instskip(NEXT) | instid1(VALU_DEP_1)
	v_add3_u32 v0, v5, v0, 0x7fff
	v_lshrrev_b32_e32 v0, 16, v0
	s_delay_alu instid0(VALU_DEP_1) | instskip(SKIP_4) | instid1(SALU_CYCLE_1)
	v_cndmask_b32_e32 v0, 0x7fc0, v0, vcc_lo
	s_wait_kmcnt 0x0
	global_store_b16 v1, v0, s[8:9] scale_offset
	s_wait_xcnt 0x0
	s_or_b32 exec_lo, exec_lo, s0
	s_and_b32 exec_lo, exec_lo, s2
	s_cbranch_execnz .LBB161_64
	s_branch .LBB161_65
	.section	.rodata,"a",@progbits
	.p2align	6, 0x0
	.amdhsa_kernel _ZL12mul_mat_q5_0IN3c108BFloat16ELb0EEvPKvS3_PT_iiiii
		.amdhsa_group_segment_fixed_size 46720
		.amdhsa_private_segment_fixed_size 0
		.amdhsa_kernarg_size 44
		.amdhsa_user_sgpr_count 2
		.amdhsa_user_sgpr_dispatch_ptr 0
		.amdhsa_user_sgpr_queue_ptr 0
		.amdhsa_user_sgpr_kernarg_segment_ptr 1
		.amdhsa_user_sgpr_dispatch_id 0
		.amdhsa_user_sgpr_kernarg_preload_length 0
		.amdhsa_user_sgpr_kernarg_preload_offset 0
		.amdhsa_user_sgpr_private_segment_size 0
		.amdhsa_wavefront_size32 1
		.amdhsa_uses_dynamic_stack 0
		.amdhsa_enable_private_segment 0
		.amdhsa_system_sgpr_workgroup_id_x 1
		.amdhsa_system_sgpr_workgroup_id_y 1
		.amdhsa_system_sgpr_workgroup_id_z 0
		.amdhsa_system_sgpr_workgroup_info 0
		.amdhsa_system_vgpr_workitem_id 1
		.amdhsa_next_free_vgpr 334
		.amdhsa_next_free_sgpr 20
		.amdhsa_named_barrier_count 0
		.amdhsa_reserve_vcc 1
		.amdhsa_float_round_mode_32 0
		.amdhsa_float_round_mode_16_64 0
		.amdhsa_float_denorm_mode_32 3
		.amdhsa_float_denorm_mode_16_64 3
		.amdhsa_fp16_overflow 0
		.amdhsa_memory_ordered 1
		.amdhsa_forward_progress 1
		.amdhsa_inst_pref_size 243
		.amdhsa_round_robin_scheduling 0
		.amdhsa_exception_fp_ieee_invalid_op 0
		.amdhsa_exception_fp_denorm_src 0
		.amdhsa_exception_fp_ieee_div_zero 0
		.amdhsa_exception_fp_ieee_overflow 0
		.amdhsa_exception_fp_ieee_underflow 0
		.amdhsa_exception_fp_ieee_inexact 0
		.amdhsa_exception_int_div_zero 0
	.end_amdhsa_kernel
	.section	.text._ZL12mul_mat_q5_0IN3c108BFloat16ELb0EEvPKvS3_PT_iiiii,"axG",@progbits,_ZL12mul_mat_q5_0IN3c108BFloat16ELb0EEvPKvS3_PT_iiiii,comdat
.Lfunc_end161:
	.size	_ZL12mul_mat_q5_0IN3c108BFloat16ELb0EEvPKvS3_PT_iiiii, .Lfunc_end161-_ZL12mul_mat_q5_0IN3c108BFloat16ELb0EEvPKvS3_PT_iiiii
                                        ; -- End function
	.set _ZL12mul_mat_q5_0IN3c108BFloat16ELb0EEvPKvS3_PT_iiiii.num_vgpr, 334
	.set _ZL12mul_mat_q5_0IN3c108BFloat16ELb0EEvPKvS3_PT_iiiii.num_agpr, 0
	.set _ZL12mul_mat_q5_0IN3c108BFloat16ELb0EEvPKvS3_PT_iiiii.numbered_sgpr, 20
	.set _ZL12mul_mat_q5_0IN3c108BFloat16ELb0EEvPKvS3_PT_iiiii.num_named_barrier, 0
	.set _ZL12mul_mat_q5_0IN3c108BFloat16ELb0EEvPKvS3_PT_iiiii.private_seg_size, 0
	.set _ZL12mul_mat_q5_0IN3c108BFloat16ELb0EEvPKvS3_PT_iiiii.uses_vcc, 1
	.set _ZL12mul_mat_q5_0IN3c108BFloat16ELb0EEvPKvS3_PT_iiiii.uses_flat_scratch, 0
	.set _ZL12mul_mat_q5_0IN3c108BFloat16ELb0EEvPKvS3_PT_iiiii.has_dyn_sized_stack, 0
	.set _ZL12mul_mat_q5_0IN3c108BFloat16ELb0EEvPKvS3_PT_iiiii.has_recursion, 0
	.set _ZL12mul_mat_q5_0IN3c108BFloat16ELb0EEvPKvS3_PT_iiiii.has_indirect_call, 0
	.section	.AMDGPU.csdata,"",@progbits
; Kernel info:
; codeLenInByte = 31024
; TotalNumSgprs: 22
; NumVgprs: 334
; ScratchSize: 0
; MemoryBound: 0
; FloatMode: 240
; IeeeMode: 1
; LDSByteSize: 46720 bytes/workgroup (compile time only)
; SGPRBlocks: 0
; VGPRBlocks: 20
; NumSGPRsForWavesPerEU: 22
; NumVGPRsForWavesPerEU: 334
; NamedBarCnt: 0
; Occupancy: 3
; WaveLimiterHint : 0
; COMPUTE_PGM_RSRC2:SCRATCH_EN: 0
; COMPUTE_PGM_RSRC2:USER_SGPR: 2
; COMPUTE_PGM_RSRC2:TRAP_HANDLER: 0
; COMPUTE_PGM_RSRC2:TGID_X_EN: 1
; COMPUTE_PGM_RSRC2:TGID_Y_EN: 1
; COMPUTE_PGM_RSRC2:TGID_Z_EN: 0
; COMPUTE_PGM_RSRC2:TIDIG_COMP_CNT: 1
	.section	.text._ZL12mul_mat_q5_0IN3c108BFloat16ELb1EEvPKvS3_PT_iiiii,"axG",@progbits,_ZL12mul_mat_q5_0IN3c108BFloat16ELb1EEvPKvS3_PT_iiiii,comdat
	.globl	_ZL12mul_mat_q5_0IN3c108BFloat16ELb1EEvPKvS3_PT_iiiii ; -- Begin function _ZL12mul_mat_q5_0IN3c108BFloat16ELb1EEvPKvS3_PT_iiiii
	.p2align	8
	.type	_ZL12mul_mat_q5_0IN3c108BFloat16ELb1EEvPKvS3_PT_iiiii,@function
_ZL12mul_mat_q5_0IN3c108BFloat16ELb1EEvPKvS3_PT_iiiii: ; @_ZL12mul_mat_q5_0IN3c108BFloat16ELb1EEvPKvS3_PT_iiiii
; %bb.0:
	s_clause 0x1
	s_load_b128 s[4:7], s[0:1], 0x18
	s_load_b32 s12, s[0:1], 0x28
	s_bfe_u32 s2, ttmp6, 0x4000c
	s_bfe_u32 s8, ttmp6, 0x40010
	s_add_co_i32 s2, s2, 1
	s_and_b32 s3, ttmp6, 15
	s_mul_i32 s2, ttmp9, s2
	s_add_co_i32 s8, s8, 1
	s_add_co_i32 s3, s3, s2
	s_mul_i32 s2, ttmp7, s8
	s_bfe_u32 s8, ttmp6, 0x40004
	s_getreg_b32 s9, hwreg(HW_REG_IB_STS2, 6, 4)
	s_add_co_i32 s8, s8, s2
	s_cmp_eq_u32 s9, 0
	v_bfe_u32 v21, v0, 10, 10
	s_cselect_b32 s8, ttmp7, s8
	v_and_b32_e32 v39, 0x3ff, v0
	s_cselect_b32 s2, ttmp9, s3
	s_lshl_b32 s13, s8, 6
	s_mov_b32 s3, 0
	s_wait_kmcnt 0x0
	s_cmp_gt_i32 s4, 31
	s_cbranch_scc1 .LBB162_2
; %bb.1:
	v_bfe_u32 v1, v0, 10, 10
	v_and_b32_e32 v20, 0x3ff, v0
	s_delay_alu instid0(VALU_DEP_2)
	v_add_nc_u32_e32 v41, s13, v1
	s_branch .LBB162_3
.LBB162_2:
	s_mov_b32 s3, -1
                                        ; implicit-def: $vgpr1
                                        ; implicit-def: $vgpr20
                                        ; implicit-def: $vgpr41
.LBB162_3:
	s_load_b64 s[8:9], s[0:1], 0x10
	v_dual_mov_b32 v3, 0 :: v_dual_mov_b32 v2, 0
	v_dual_mov_b32 v13, 0 :: v_dual_mov_b32 v12, 0
	;; [unrolled: 1-line block ×16, first 2 shown]
	s_and_not1_b32 vcc_lo, exec_lo, s3
	s_lshl_b32 s14, s2, 7
	s_cbranch_vccnz .LBB162_14
; %bb.4:
	s_not_b32 s16, s14
	s_ashr_i32 s10, s4, 31
	s_add_co_i32 s5, s5, s16
	s_ashr_i32 s11, s7, 31
	s_lshr_b32 s10, s10, 27
	v_dual_add_nc_u32 v28, 16, v21 :: v_dual_min_i32 v26, s5, v21
	v_add_nc_u32_e32 v41, s13, v21
	s_add_co_i32 s4, s4, s10
	s_lshr_b32 s11, s11, 27
	s_ashr_i32 s15, s4, 5
	s_add_co_i32 s4, s7, s11
	s_add_co_i32 s7, s6, -1
	v_min_i32_e32 v29, s5, v28
	v_cvt_f64_i32_e32 v[2:3], s7
	v_cvt_f64_u32_e32 v[4:5], v41
	v_bfe_u32 v47, v0, 3, 7
	v_dual_add_nc_u32 v30, 24, v21 :: v_dual_add_nc_u32 v32, 32, v21
	v_dual_add_nc_u32 v33, 40, v21 :: v_dual_add_nc_u32 v40, 48, v21
	s_delay_alu instid0(VALU_DEP_3) | instskip(NEXT) | instid1(VALU_DEP_3)
	v_lshl_add_u32 v31, v21, 2, v47
	v_dual_add_nc_u32 v18, 56, v41 :: v_dual_min_i32 v35, s5, v30
	s_delay_alu instid0(VALU_DEP_4) | instskip(NEXT) | instid1(VALU_DEP_3)
	v_dual_add_nc_u32 v6, 8, v41 :: v_dual_min_i32 v36, s5, v32
	v_dual_add_nc_u32 v8, 16, v41 :: v_dual_min_i32 v34, s5, v31
	v_min_i32_e32 v37, s5, v33
	v_dual_add_nc_u32 v10, 24, v41 :: v_dual_add_nc_u32 v12, 32, v41
	v_dual_add_nc_u32 v14, 40, v41 :: v_dual_add_nc_u32 v16, 48, v41
	s_delay_alu instid0(VALU_DEP_4) | instskip(SKIP_3) | instid1(VALU_DEP_4)
	v_dual_ashrrev_i32 v38, 31, v34 :: v_dual_min_i32 v52, s5, v40
	v_add_min_i32_e64 v76, v31, 64, s5
	v_cvt_f64_u32_e32 v[6:7], v6
	v_cvt_f64_u32_e32 v[8:9], v8
	v_lshrrev_b32_e32 v42, 30, v38
	v_cvt_f64_u32_e32 v[10:11], v10
	v_cvt_f64_u32_e32 v[12:13], v12
	;; [unrolled: 1-line block ×5, first 2 shown]
	v_dual_add_nc_u32 v42, v34, v42 :: v_dual_ashrrev_i32 v48, 31, v76
	v_dual_add_nc_u32 v44, 56, v21 :: v_dual_bitop2_b32 v38, 7, v0 bitop3:0x40
	v_min_num_f64_e32 v[4:5], v[4:5], v[2:3]
	v_bfe_u32 v20, v0, 2, 8
	v_add_min_i32_e64 v74, v31, 32, s5
	v_add_min_i32_e64 v31, 0x60, v31, s5
	v_dual_mov_b32 v25, 0 :: v_dual_bitop2_b32 v1, 3, v0 bitop3:0x40
	s_delay_alu instid0(VALU_DEP_4) | instskip(NEXT) | instid1(VALU_DEP_3)
	v_lshl_add_u32 v54, v21, 3, v20
	v_dual_ashrrev_i32 v46, 31, v74 :: v_dual_ashrrev_i32 v50, 31, v31
	v_dual_lshlrev_b32 v22, 3, v39 :: v_dual_add_nc_u32 v23, 8, v21
	v_and_b32_e32 v42, -4, v42
	s_ashr_i32 s4, s4, 5
	v_dual_lshlrev_b32 v24, 2, v1 :: v_dual_min_i32 v56, s5, v44
	s_delay_alu instid0(VALU_DEP_3)
	v_min_i32_e32 v27, s5, v23
	s_wait_xcnt 0x0
	s_load_b128 s[0:3], s[0:1], 0x0
	v_add_min_i32_e64 v58, v21, 64, s5
	v_add_min_i32_e64 v68, 0x70, v21, s5
	;; [unrolled: 1-line block ×3, first 2 shown]
	v_min_num_f64_e32 v[6:7], v[6:7], v[2:3]
	v_min_num_f64_e32 v[8:9], v[8:9], v[2:3]
	v_mad_u32 v43, 0x104, v26, v22
	v_min_num_f64_e32 v[10:11], v[10:11], v[2:3]
	v_min_num_f64_e32 v[12:13], v[12:13], v[2:3]
	;; [unrolled: 1-line block ×4, first 2 shown]
	v_dual_min_num_f64 v[2:3], v[18:19], v[2:3] :: v_dual_lshrrev_b32 v18, 30, v48
	v_and_b32_e32 v48, 63, v54
	v_lshrrev_b32_e32 v19, 30, v50
	v_lshlrev_b32_e32 v50, 2, v38
	v_cvt_i32_f64_e32 v4, v[4:5]
	v_mad_u32 v45, 0x104, v27, v22
	v_or_b32_e32 v54, s13, v48
	v_mad_u32 v49, 0x104, v29, v22
	v_add3_u32 v42, v42, v50, 0xa200
	v_mad_u32 v51, 0x104, v35, v22
	v_mad_u32 v53, 0x104, v36, v22
	v_min_i32_e32 v54, s7, v54
	v_mad_u32 v55, 0x104, v37, v22
	v_mad_u32 v67, 0x104, v52, v22
	;; [unrolled: 1-line block ×5, first 2 shown]
	v_lshlrev_b32_e32 v1, 5, v34
	v_mad_u32 v149, 0x104, v68, v22
	v_mad_u32 v150, 0x104, v70, v22
	v_mul_lo_u32 v52, v52, s15
	v_mul_lo_u32 v54, v56, s15
	;; [unrolled: 1-line block ×4, first 2 shown]
	v_cvt_i32_f64_e32 v5, v[6:7]
	v_cvt_i32_f64_e32 v6, v[8:9]
	v_mul_lo_u32 v70, v70, s15
	v_cvt_i32_f64_e32 v7, v[10:11]
	v_add_nc_u32_e32 v11, 0x60, v39
	v_mul_lo_u32 v72, v34, s15
	v_mul_lo_u32 v78, v31, s15
	s_mul_i32 s10, s15, s14
	v_mul_u32_u24_e32 v178, 0x104, v39
	v_and_b32_e32 v11, 0x1fc, v11
	s_ashr_i32 s11, s10, 31
	v_lshl_add_u32 v179, v21, 4, 0xb280
	v_mul_lo_u32 v152, s4, v4
	v_dual_lshlrev_b32 v4, 7, v23 :: v_dual_add_nc_u32 v59, v42, v1
	v_cvt_i32_f64_e32 v8, v[12:13]
	v_dual_add_nc_u32 v12, 64, v39 :: v_dual_lshrrev_b32 v46, 30, v46
	v_add_nc_u32_e32 v19, v31, v19
	v_dual_lshlrev_b32 v1, 5, v31 :: v_dual_bitop2_b32 v42, 31, v0 bitop3:0x40
	v_cvt_i32_f64_e32 v9, v[14:15]
	s_delay_alu instid0(VALU_DEP_3) | instskip(SKIP_2) | instid1(VALU_DEP_3)
	v_dual_add_nc_u32 v46, v74, v46 :: v_dual_bitop2_b32 v19, -4, v19 bitop3:0x40
	v_and_b32_e32 v12, 0x1fc, v12
	v_and_b32_e32 v15, 0xfc, v0
	v_dual_add_nc_u32 v13, 32, v39 :: v_dual_bitop2_b32 v46, -4, v46 bitop3:0x40
	s_delay_alu instid0(VALU_DEP_4) | instskip(SKIP_2) | instid1(VALU_DEP_2)
	v_add3_u32 v19, v19, v50, 0xa200
	s_mul_u64 s[10:11], s[10:11], 22
	s_add_co_i32 s7, s15, 3
	v_and_b32_e32 v14, 0x1fc, v13
	v_mul_lo_u32 v153, s4, v5
	v_dual_add_nc_u32 v65, v19, v1 :: v_dual_lshlrev_b32 v1, 2, v39
	v_add_min_i32_e64 v19, 0x68, v21, s5
	v_mul_lo_u32 v154, s4, v6
	v_dual_lshlrev_b32 v6, 7, v30 :: v_dual_lshlrev_b32 v5, 7, v28
	s_delay_alu instid0(VALU_DEP_4)
	v_and_b32_e32 v0, 28, v1
	v_cvt_i32_f64_e32 v2, v[2:3]
	v_dual_lshlrev_b32 v3, 5, v39 :: v_dual_add_nc_u32 v18, v76, v18
	v_mov_b32_e32 v1, v25
	v_mad_u32 v148, 0x104, v19, v22
	v_mul_lo_u32 v155, s4, v7
	s_delay_alu instid0(VALU_DEP_4)
	v_add_nc_u32_e32 v12, v3, v12
	v_cvt_i32_f64_e32 v10, v[16:17]
	v_dual_lshlrev_b32 v16, 5, v74 :: v_dual_add_nc_u32 v11, v3, v11
	v_dual_add_nc_u32 v14, v3, v14 :: v_dual_add_nc_u32 v3, v3, v15
	v_add3_u32 v46, v46, v50, 0xa200
	v_dual_lshlrev_b32 v15, 5, v76 :: v_dual_bitop2_b32 v18, -4, v18 bitop3:0x40
	v_add_min_i32_e64 v17, 0x58, v21, s5
	v_mul_lo_u32 v156, s4, v8
	s_delay_alu instid0(VALU_DEP_4) | instskip(NEXT) | instid1(VALU_DEP_4)
	v_add_nc_u32_e32 v61, v46, v16
	v_add3_u32 v18, v18, v50, 0xa200
	v_add_min_i32_e64 v16, 0x48, v21, s5
	v_mad_u32 v77, 0x104, v17, v22
	v_lshl_or_b32 v46, v48, 4, v24
	s_delay_alu instid0(VALU_DEP_4)
	v_dual_lshlrev_b32 v7, 7, v32 :: v_dual_add_nc_u32 v63, v18, v15
	v_add_min_i32_e64 v15, 0x50, v21, s5
	v_add_min_i32_e64 v18, 0x60, v21, s5
	v_mad_u32 v73, 0x104, v16, v22
	v_mul_lo_u32 v157, s4, v9
	v_dual_lshlrev_b32 v8, 7, v33 :: v_dual_lshlrev_b32 v9, 7, v40
	v_mad_u32 v75, 0x104, v15, v22
	v_mad_u32 v79, 0x104, v18, v22
	v_lshl_or_b32 v22, v42, 2, 0x8200
	v_mul_lo_u32 v159, s4, v2
	v_dual_lshlrev_b32 v2, 7, v44 :: v_dual_lshrrev_b32 v160, 3, v13
	v_add_nc_u32_e32 v151, 0xb280, v46
	s_delay_alu instid0(VALU_DEP_4)
	v_dual_add_nc_u32 v161, v22, v4 :: v_dual_add_nc_u32 v162, v22, v5
	v_dual_add_nc_u32 v163, v22, v6 :: v_dual_lshlrev_b32 v4, 7, v21
	v_mul_lo_u32 v158, s4, v10
	v_mul_lo_u32 v40, v26, s15
	;; [unrolled: 1-line block ×14, first 2 shown]
	s_wait_kmcnt 0x0
	v_add_nc_u64_e32 v[0:1], s[2:3], v[0:1]
	v_dual_add_nc_u32 v164, v22, v7 :: v_dual_add_nc_u32 v165, v22, v8
	v_dual_add_nc_u32 v166, v22, v9 :: v_dual_add_nc_u32 v167, v22, v2
	v_add_nc_u32_e32 v168, v22, v4
	v_add_nc_u32_e32 v169, 0x8200, v4
	;; [unrolled: 1-line block ×10, first 2 shown]
	s_movk_i32 s4, 0x80
	v_mov_b64_e32 v[36:37], 0
	v_mov_b64_e32 v[8:9], 0
	;; [unrolled: 1-line block ×16, first 2 shown]
	v_mad_u32_u24 v180, 0x104, v39, s4
	s_mov_b32 s5, 0
	s_add_nc_u64 s[0:1], s[0:1], s[10:11]
	s_mov_b32 s4, s5
	s_branch .LBB162_6
.LBB162_5:                              ;   in Loop: Header=BB162_6 Depth=1
	s_add_co_i32 s4, s4, 8
	s_add_co_i32 s7, s7, -8
	s_cmp_ge_i32 s4, s15
	s_cbranch_scc1 .LBB162_13
.LBB162_6:                              ; =>This Loop Header: Depth=1
                                        ;     Child Loop BB162_8 Depth 2
                                        ;     Child Loop BB162_11 Depth 2
	s_mul_u64 s[10:11], s[4:5], 22
	s_cmp_gt_u32 s7, 3
	s_add_nc_u64 s[10:11], s[0:1], s[10:11]
	s_delay_alu instid0(SALU_CYCLE_1) | instskip(SKIP_1) | instid1(VALU_DEP_2)
	v_mad_nc_u64_u32 v[80:81], v20, 22, s[10:11]
	v_mad_nc_u64_u32 v[82:83], v38, 22, s[10:11]
	v_mad_nc_i64_i32 v[84:85], v40, 22, v[80:81]
	v_mad_nc_i64_i32 v[86:87], v42, 22, v[80:81]
	;; [unrolled: 1-line block ×12, first 2 shown]
	v_add_nc_u64_e32 v[106:107], v[84:85], v[24:25]
	v_add_nc_u64_e32 v[108:109], v[86:87], v[24:25]
	;; [unrolled: 1-line block ×4, first 2 shown]
	s_clause 0xb
	global_load_u16 v114, v[94:95], off
	global_load_u16 v115, v[96:97], off
	;; [unrolled: 1-line block ×4, first 2 shown]
	global_load_b32 v118, v[90:91], off offset:2
	global_load_b32 v119, v[88:89], off offset:2
	;; [unrolled: 1-line block ×8, first 2 shown]
	s_wait_xcnt 0x8
	v_add_nc_u64_e32 v[82:83], v[92:93], v[24:25]
	s_wait_xcnt 0x6
	v_mad_nc_i64_i32 v[88:89], v62, 22, v[80:81]
	v_mad_nc_i64_i32 v[94:95], v66, 22, v[80:81]
	s_wait_xcnt 0x4
	v_add_nc_u64_e32 v[84:85], v[100:101], v[24:25]
	v_add_nc_u64_e32 v[86:87], v[102:103], v[24:25]
	s_clause 0x6
	global_load_b32 v112, v[104:105], off offset:2
	global_load_b32 v113, v[102:103], off offset:2
	;; [unrolled: 1-line block ×7, first 2 shown]
	v_add_nc_u64_e32 v[90:91], v[104:105], v[24:25]
	s_wait_xcnt 0x2
	v_mad_nc_i64_i32 v[82:83], v56, 22, v[80:81]
	s_wait_xcnt 0x1
	v_mad_nc_i64_i32 v[84:85], v58, 22, v[80:81]
	s_wait_xcnt 0x0
	v_mad_nc_i64_i32 v[86:87], v60, 22, v[80:81]
	v_mad_nc_i64_i32 v[92:93], v64, 22, v[80:81]
	v_mad_nc_i64_i32 v[96:97], v68, 22, v[80:81]
	;; [unrolled: 1-line block ×3, first 2 shown]
	global_load_b32 v131, v[90:91], off offset:6
	v_add_nc_u64_e32 v[102:103], v[88:89], v[24:25]
	v_add_nc_u64_e32 v[106:107], v[94:95], v[24:25]
	s_wait_xcnt 0x0
	v_add_nc_u64_e32 v[90:91], v[82:83], v[24:25]
	v_add_nc_u64_e32 v[98:99], v[84:85], v[24:25]
	v_add_nc_u64_e32 v[100:101], v[86:87], v[24:25]
	v_add_nc_u64_e32 v[104:105], v[92:93], v[24:25]
	v_add_nc_u64_e32 v[108:109], v[96:97], v[24:25]
	v_add_nc_u64_e32 v[110:111], v[80:81], v[24:25]
	s_clause 0xf
	global_load_b32 v132, v[90:91], off offset:6
	global_load_b32 v133, v[98:99], off offset:6
	;; [unrolled: 1-line block ×15, first 2 shown]
	; meta instruction
	; meta instruction
	;; [unrolled: 1-line block ×15, first 2 shown]
	global_load_b32 v81, v[92:93], off offset:2
	s_wait_loadcnt 0x23
	v_cvt_f32_f16_e32 v82, v114
	s_wait_loadcnt 0x22
	v_cvt_f32_f16_e32 v83, v115
	;; [unrolled: 2-line block ×4, first 2 shown]
	s_wait_loadcnt 0x1e
	s_wait_xcnt 0x1
	v_dual_ashrrev_i32 v94, v24, v118 :: v_dual_ashrrev_i32 v91, v24, v119
	s_wait_loadcnt 0x1c
	v_dual_ashrrev_i32 v88, v24, v120 :: v_dual_ashrrev_i32 v85, v24, v121
	s_wait_loadcnt 0x1a
	v_dual_lshrrev_b32 v87, 4, v122 :: v_dual_lshrrev_b32 v90, 4, v123
	v_and_b32_e32 v86, 0xf0f0f0f, v122
	s_delay_alu instid0(VALU_DEP_3)
	v_dual_lshlrev_b32 v114, 4, v88 :: v_dual_lshlrev_b32 v115, 11, v88
	s_wait_loadcnt 0x16
	v_ashrrev_i32_e32 v103, v24, v113
	v_dual_lshlrev_b32 v106, 4, v85 :: v_dual_lshlrev_b32 v107, 11, v85
	v_dual_lshlrev_b32 v108, 18, v85 :: v_dual_lshlrev_b32 v109, 25, v85
	v_dual_lshrrev_b32 v110, 12, v85 :: v_dual_lshrrev_b32 v111, 5, v85
	v_dual_lshlrev_b32 v113, 2, v85 :: v_dual_lshlrev_b32 v85, 9, v85
	s_wait_loadcnt 0x13
	v_dual_ashrrev_i32 v97, v24, v127 :: v_dual_lshrrev_b32 v99, 4, v128
	s_wait_loadcnt 0x12
	v_dual_ashrrev_i32 v100, v24, v126 :: v_dual_lshrrev_b32 v102, 4, v129
	v_dual_lshlrev_b32 v116, 18, v88 :: v_dual_lshlrev_b32 v117, 25, v88
	v_dual_lshrrev_b32 v118, 12, v88 :: v_dual_lshrrev_b32 v119, 5, v88
	v_dual_lshlrev_b32 v120, 2, v88 :: v_dual_lshlrev_b32 v88, 9, v88
	v_and_b32_e32 v87, 0xf0f0f0f, v87
	v_and_b32_e32 v113, 0x100000, v113
	;; [unrolled: 1-line block ×4, first 2 shown]
	s_wait_xcnt 0x0
	v_and_b32_e32 v92, 0xf0f0f0f, v124
	v_lshrrev_b32_e32 v93, 4, v124
	v_and_b32_e32 v95, 0xf0f0f0f, v125
	v_lshrrev_b32_e32 v96, 4, v125
	v_and_b32_e32 v98, 0xf0f0f0f, v128
	v_and_b32_e32 v101, 0xf0f0f0f, v129
	s_wait_loadcnt 0x11
	v_and_b32_e32 v104, 0xf0f0f0f, v130
	v_dual_lshrrev_b32 v105, 4, v130 :: v_dual_lshlrev_b32 v121, 4, v91
	v_dual_lshlrev_b32 v122, 11, v91 :: v_dual_lshlrev_b32 v123, 18, v91
	v_dual_lshlrev_b32 v124, 25, v91 :: v_dual_lshrrev_b32 v125, 12, v91
	v_dual_lshrrev_b32 v126, 5, v91 :: v_dual_lshlrev_b32 v127, 2, v91
	v_dual_lshlrev_b32 v91, 9, v91 :: v_dual_lshlrev_b32 v128, 4, v94
	v_dual_lshlrev_b32 v129, 11, v94 :: v_dual_lshlrev_b32 v130, 18, v94
	v_dual_lshlrev_b32 v147, 25, v94 :: v_dual_lshrrev_b32 v181, 12, v94
	v_dual_lshrrev_b32 v182, 5, v94 :: v_dual_lshlrev_b32 v183, 2, v94
	v_dual_lshlrev_b32 v94, 9, v94 :: v_dual_lshlrev_b32 v184, 4, v97
	;; [unrolled: 4-line block ×3, first 2 shown]
	v_dual_lshlrev_b32 v192, 11, v100 :: v_dual_lshlrev_b32 v193, 18, v100
	v_dual_lshlrev_b32 v194, 25, v100 :: v_dual_lshrrev_b32 v195, 12, v100
	v_dual_lshrrev_b32 v196, 5, v100 :: v_dual_lshlrev_b32 v197, 2, v100
	v_lshlrev_b32_e32 v100, 9, v100
	v_and_b32_e32 v90, 0xf0f0f0f, v90
	v_and_b32_e32 v120, 0x100000, v120
	;; [unrolled: 1-line block ×6, first 2 shown]
	v_or3_b32 v85, v87, v113, v85
	v_and_b32_e32 v106, 16, v106
	v_and_b32_e32 v93, 0xf0f0f0f, v93
	;; [unrolled: 1-line block ×16, first 2 shown]
	v_or3_b32 v88, v90, v120, v88
	v_and_b32_e32 v114, 16, v114
	v_and_b32_e32 v118, 16, v118
	;; [unrolled: 1-line block ×4, first 2 shown]
	v_lshrrev_b32_e32 v85, 16, v85
	v_or3_b32 v106, v106, v86, v107
	v_or3_b32 v86, v86, v108, v109
	v_and_b32_e32 v121, 16, v121
	v_and_b32_e32 v126, 0x1000, v126
	;; [unrolled: 1-line block ×13, first 2 shown]
	v_or3_b32 v107, v110, v87, v111
	v_or3_b32 v91, v93, v127, v91
	v_and_b32_e32 v125, 16, v125
	v_or3_b32 v94, v96, v183, v94
	v_and_b32_e32 v181, 16, v181
	;; [unrolled: 2-line block ×4, first 2 shown]
	v_and_b32_e32 v116, 0x100000, v116
	v_and_b32_e32 v117, 0x10000000, v117
	v_lshrrev_b32_e32 v88, 16, v88
	v_or3_b32 v87, v114, v89, v115
	v_or3_b32 v108, v118, v90, v119
	v_lshrrev_b32_e32 v86, 16, v86
	v_or3_b32 v90, v121, v92, v122
	v_and_b32_e32 v123, 0x100000, v123
	v_and_b32_e32 v124, 0x10000000, v124
	;; [unrolled: 1-line block ×3, first 2 shown]
	v_lshlrev_b16 v106, 8, v106
	v_lshlrev_b16 v115, 8, v107
	v_lshrrev_b32_e32 v91, 16, v91
	v_or3_b32 v109, v125, v93, v126
	v_or3_b32 v93, v128, v95, v129
	v_lshrrev_b32_e32 v94, 16, v94
	v_or3_b32 v110, v181, v96, v182
	v_or3_b32 v96, v184, v98, v185
	;; [unrolled: 3-line block ×3, first 2 shown]
	v_or3_b32 v101, v101, v193, v194
	v_lshrrev_b32_e32 v100, 16, v100
	v_or3_b32 v113, v195, v102, v196
	v_or3_b32 v89, v89, v116, v117
	v_lshlrev_b16 v116, 8, v87
	v_lshlrev_b16 v118, 8, v90
	v_and_b32_e32 v130, 0x100000, v130
	v_and_b32_e32 v147, 0x10000000, v147
	;; [unrolled: 1-line block ×4, first 2 shown]
	v_or3_b32 v92, v92, v123, v124
	v_lshlrev_b16 v120, 8, v93
	v_lshlrev_b16 v122, 8, v96
	v_lshrrev_b32_e32 v101, 16, v101
	v_and_b32_e32 v124, 0x1f00, v99
	v_lshlrev_b16 v99, 8, v99
	v_lshlrev_b16 v125, 8, v113
	v_add_nc_u16 v114, 0xf000, v114
	v_add_nc_u16 v106, 0xf000, v106
	v_and_b32_e32 v127, 0x1f00, v86
	v_lshlrev_b16 v86, 8, v86
	v_add_nc_u16 v115, 0xf000, v115
	v_add_nc_u16 v116, 0xf000, v116
	;; [unrolled: 1-line block ×3, first 2 shown]
	v_or3_b32 v95, v95, v130, v147
	v_or3_b32 v98, v98, v186, v187
	v_add_nc_u16 v120, 0xf000, v120
	v_add_nc_u16 v122, 0xf000, v122
	;; [unrolled: 1-line block ×4, first 2 shown]
	v_and_b32_e32 v186, 0x1f00, v101
	v_lshlrev_b16 v101, 8, v101
	v_add_nc_u16 v125, 0xf000, v125
	v_perm_b32 v106, v106, v114, 0xc0c0105
	v_add_nc_u16 v114, 0xf000, v127
	v_add_nc_u16 v86, 0xf000, v86
	v_lshrrev_b16 v115, 8, v115
	v_lshrrev_b32_e32 v89, 16, v89
	v_and_b32_e32 v117, 0x1f00, v108
	v_lshlrev_b16 v108, 8, v108
	v_lshrrev_b16 v116, 8, v116
	v_lshrrev_b32_e32 v92, 16, v92
	v_and_b32_e32 v119, 0x1f00, v109
	v_lshlrev_b16 v109, 8, v109
	v_lshrrev_b16 v118, 8, v118
	v_dual_lshlrev_b32 v198, 4, v103 :: v_dual_lshlrev_b32 v199, 11, v103
	v_dual_lshlrev_b32 v200, 18, v103 :: v_dual_lshlrev_b32 v201, 25, v103
	v_lshrrev_b32_e32 v95, 16, v95
	v_and_b32_e32 v121, 0x1f00, v110
	v_lshlrev_b16 v110, 8, v110
	v_lshrrev_b32_e32 v98, 16, v98
	v_and_b32_e32 v123, 0x1f00, v111
	v_lshlrev_b16 v111, 8, v111
	v_and_b32_e32 v128, 0x1f00, v85
	v_lshlrev_b16 v85, 8, v85
	v_lshrrev_b16 v120, 8, v120
	v_lshrrev_b16 v122, 8, v122
	v_perm_b32 v99, v99, v124, 0xc0c0105
	v_add_nc_u16 v124, 0xf000, v186
	v_add_nc_u16 v101, 0xf000, v101
	v_lshrrev_b16 v125, 8, v125
	v_perm_b32 v86, v86, v114, 0xc0c0105
	v_bitop3_b16 v107, v107, v115, 0x1f00 bitop3:0xec
	v_and_b32_e32 v129, 0x1f00, v89
	v_lshlrev_b16 v89, 8, v89
	v_add_nc_u16 v117, 0xf000, v117
	v_add_nc_u16 v108, 0xf000, v108
	v_and_b32_e32 v130, 0x1f00, v88
	v_lshlrev_b16 v88, 8, v88
	v_bitop3_b16 v87, v87, v116, 0x1f00 bitop3:0xec
	v_and_b32_e32 v147, 0x1f00, v92
	v_lshlrev_b16 v92, 8, v92
	v_add_nc_u16 v119, 0xf000, v119
	v_add_nc_u16 v109, 0xf000, v109
	v_and_b32_e32 v181, 0x1f00, v91
	v_lshlrev_b16 v91, 8, v91
	v_bitop3_b16 v90, v90, v118, 0x1f00 bitop3:0xec
	v_and_b32_e32 v198, 16, v198
	v_and_b32_e32 v199, 0x1000, v199
	;; [unrolled: 1-line block ×5, first 2 shown]
	v_lshlrev_b16 v95, 8, v95
	v_add_nc_u16 v121, 0xf000, v121
	v_add_nc_u16 v110, 0xf000, v110
	v_and_b32_e32 v183, 0x1f00, v94
	v_lshlrev_b16 v94, 8, v94
	v_and_b32_e32 v184, 0x1f00, v98
	v_lshlrev_b16 v98, 8, v98
	v_add_nc_u16 v123, 0xf000, v123
	v_add_nc_u16 v111, 0xf000, v111
	v_and_b32_e32 v185, 0x1f00, v97
	v_lshlrev_b16 v97, 8, v97
	v_and_b32_e32 v187, 0x1f00, v100
	v_lshlrev_b16 v100, 8, v100
	v_add_nc_u16 v127, 0xf000, v128
	v_add_nc_u16 v85, 0xf000, v85
	v_bitop3_b16 v93, v93, v120, 0x1f00 bitop3:0xec
	v_bitop3_b16 v96, v96, v122, 0x1f00 bitop3:0xec
	v_perm_b32 v101, v101, v124, 0xc0c0105
	v_bitop3_b16 v113, v113, v125, 0x1f00 bitop3:0xec
	v_lshl_or_b32 v86, v86, 16, v106
	v_add_nc_u16 v106, 0xf000, v107
	v_add_nc_u16 v128, 0xf000, v129
	;; [unrolled: 1-line block ×3, first 2 shown]
	v_perm_b32 v108, v108, v117, 0xc0c0105
	v_add_nc_u16 v117, 0xf000, v130
	v_add_nc_u16 v88, 0xf000, v88
	;; [unrolled: 1-line block ×5, first 2 shown]
	v_perm_b32 v109, v109, v119, 0xc0c0105
	v_add_nc_u16 v119, 0xf000, v181
	v_add_nc_u16 v91, 0xf000, v91
	;; [unrolled: 1-line block ×3, first 2 shown]
	v_or3_b32 v102, v198, v104, v199
	v_or3_b32 v104, v104, v200, v201
	v_add_nc_u16 v130, 0xf000, v182
	v_add_nc_u16 v95, 0xf000, v95
	v_perm_b32 v110, v110, v121, 0xc0c0105
	v_add_nc_u16 v121, 0xf000, v183
	v_add_nc_u16 v94, 0xf000, v94
	v_add_nc_u16 v147, 0xf000, v184
	v_add_nc_u16 v98, 0xf000, v98
	v_perm_b32 v111, v111, v123, 0xc0c0105
	v_add_nc_u16 v123, 0xf000, v185
	v_add_nc_u16 v97, 0xf000, v97
	v_add_nc_u16 v181, 0xf000, v187
	v_add_nc_u16 v100, 0xf000, v100
	v_perm_b32 v85, v85, v127, 0xc0c0105
	v_add_nc_u16 v93, 0xf000, v93
	v_add_nc_u16 v96, 0xf000, v96
	v_lshl_or_b32 v99, v101, 16, v99
	v_add_nc_u16 v101, 0xf000, v113
	v_and_b32_e32 v106, 0xffff, v106
	v_perm_b32 v89, v89, v128, 0xc0c0105
	v_perm_b32 v88, v88, v117, 0xc0c0105
	v_and_b32_e32 v87, 0xffff, v87
	v_perm_b32 v92, v92, v129, 0xc0c0105
	v_perm_b32 v91, v91, v119, 0xc0c0105
	v_and_b32_e32 v90, 0xffff, v90
	v_lshrrev_b32_e32 v104, 16, v104
	v_perm_b32 v95, v95, v130, 0xc0c0105
	v_perm_b32 v94, v94, v121, 0xc0c0105
	;; [unrolled: 1-line block ×5, first 2 shown]
	v_and_b32_e32 v93, 0xffff, v93
	v_and_b32_e32 v96, 0xffff, v96
	;; [unrolled: 1-line block ×3, first 2 shown]
	v_lshl_or_b32 v85, v85, 16, v106
	v_lshl_or_b32 v88, v88, 16, v108
	;; [unrolled: 1-line block ×5, first 2 shown]
	v_dual_lshrrev_b32 v202, 12, v103 :: v_dual_lshrrev_b32 v203, 5, v103
	v_dual_lshlrev_b32 v204, 2, v103 :: v_dual_lshlrev_b32 v103, 9, v103
	v_lshl_or_b32 v94, v94, 16, v110
	v_lshl_or_b32 v97, v97, 16, v111
	;; [unrolled: 1-line block ×5, first 2 shown]
	ds_store_2addr_b32 v43, v86, v85 offset1:1
	ds_store_b32 v59, v82
	ds_store_2addr_b32 v45, v87, v88 offset1:1
	ds_store_b32 v61, v83
	ds_store_2addr_b32 v49, v89, v91 offset1:1
	ds_store_b32 v63, v84
	ds_store_2addr_b32 v51, v90, v94 offset1:1
	ds_store_2addr_b32 v53, v92, v97 offset1:1
	;; [unrolled: 1-line block ×3, first 2 shown]
	v_and_b32_e32 v84, 0x1f00, v104
	v_lshlrev_b16 v85, 8, v104
	v_and_b32_e32 v105, 0xf0f0f0f, v105
	v_and_b32_e32 v202, 16, v202
	;; [unrolled: 1-line block ×6, first 2 shown]
	v_lshlrev_b16 v102, 8, v102
	v_add_nc_u16 v84, 0xf000, v84
	v_add_nc_u16 v85, 0xf000, v85
	v_or3_b32 v82, v105, v204, v103
	v_add_nc_u16 v126, 0xf000, v126
	v_add_nc_u16 v86, 0xf000, v102
	s_wait_loadcnt 0x0
	v_ashrrev_i32_e32 v81, v24, v81
	v_perm_b32 v84, v85, v84, 0xc0c0105
	v_ashrrev_i32_e32 v85, v24, v112
	v_or3_b32 v83, v202, v105, v203
	v_lshrrev_b32_e32 v82, 16, v82
	v_perm_b32 v86, v86, v126, 0xc0c0105
	s_delay_alu instid0(VALU_DEP_4) | instskip(NEXT) | instid1(VALU_DEP_4)
	v_lshrrev_b32_e32 v90, 12, v85
	v_lshlrev_b16 v87, 8, v83
	v_lshrrev_b32_e32 v91, 5, v85
	s_delay_alu instid0(VALU_DEP_4) | instskip(SKIP_4) | instid1(VALU_DEP_4)
	v_lshl_or_b32 v84, v84, 16, v86
	v_lshlrev_b32_e32 v86, 4, v85
	v_and_b32_e32 v88, 0x1f00, v82
	v_add_nc_u16 v87, 0xf000, v87
	v_lshlrev_b16 v82, 8, v82
	v_dual_lshlrev_b32 v89, 11, v85 :: v_dual_bitop2_b32 v86, 16, v86 bitop3:0x40
	s_delay_alu instid0(VALU_DEP_4) | instskip(NEXT) | instid1(VALU_DEP_4)
	v_add_nc_u16 v88, 0xf000, v88
	v_lshrrev_b16 v87, 8, v87
	s_delay_alu instid0(VALU_DEP_4) | instskip(SKIP_2) | instid1(VALU_DEP_4)
	v_add_nc_u16 v82, 0xf000, v82
	v_dual_lshlrev_b32 v92, 25, v85 :: v_dual_bitop2_b32 v90, 16, v90 bitop3:0x40
	v_lshlrev_b32_e32 v93, 2, v85
	v_bitop3_b16 v83, v83, v87, 0x1f00 bitop3:0xec
	s_delay_alu instid0(VALU_DEP_4) | instskip(SKIP_4) | instid1(VALU_DEP_3)
	v_perm_b32 v82, v82, v88, 0xc0c0105
	v_and_b32_e32 v87, 0xf0f0f0f, v131
	v_and_b32_e32 v88, 0x1000, v89
	v_lshrrev_b32_e32 v89, 4, v131
	v_add_nc_u16 v83, 0xf000, v83
	v_or3_b32 v86, v86, v87, v88
	v_lshlrev_b32_e32 v88, 18, v85
	s_delay_alu instid0(VALU_DEP_4) | instskip(SKIP_4) | instid1(VALU_DEP_4)
	v_and_b32_e32 v89, 0xf0f0f0f, v89
	v_and_b32_e32 v91, 0x1000, v91
	v_lshlrev_b32_e32 v85, 9, v85
	v_and_b32_e32 v83, 0xffff, v83
	v_and_b32_e32 v88, 0x100000, v88
	v_or3_b32 v90, v90, v89, v91
	v_and_b32_e32 v91, 0x10000000, v92
	v_and_b32_e32 v92, 0x100000, v93
	v_and_b32_e32 v85, 0x10000000, v85
	v_lshl_or_b32 v82, v82, 16, v83
	v_lshlrev_b16 v93, 8, v90
	v_or3_b32 v87, v87, v88, v91
	v_and_b32_e32 v88, 0x1f00, v86
	v_or3_b32 v85, v89, v92, v85
	v_lshlrev_b16 v86, 8, v86
	v_add_nc_u16 v89, 0xf000, v93
	v_lshrrev_b32_e32 v87, 16, v87
	v_add_nc_u16 v88, 0xf000, v88
	v_lshrrev_b32_e32 v85, 16, v85
	v_add_nc_u16 v86, 0xf000, v86
	v_lshrrev_b16 v89, 8, v89
	v_and_b32_e32 v91, 0x1f00, v87
	v_lshlrev_b16 v87, 8, v87
	v_and_b32_e32 v92, 0x1f00, v85
	v_lshlrev_b16 v85, 8, v85
	v_bitop3_b16 v89, v90, v89, 0x1f00 bitop3:0xec
	v_add_nc_u16 v90, 0xf000, v91
	v_add_nc_u16 v87, 0xf000, v87
	;; [unrolled: 1-line block ×5, first 2 shown]
	v_perm_b32 v86, v86, v88, 0xc0c0105
	v_perm_b32 v87, v87, v90, 0xc0c0105
	v_ashrrev_i32_e32 v88, v24, v139
	v_perm_b32 v85, v85, v91, 0xc0c0105
	v_and_b32_e32 v89, 0xffff, v89
	s_delay_alu instid0(VALU_DEP_4) | instskip(SKIP_1) | instid1(VALU_DEP_3)
	v_lshl_or_b32 v86, v87, 16, v86
	v_and_b32_e32 v87, 0xf0f0f0f, v132
	v_lshl_or_b32 v85, v85, 16, v89
	ds_store_2addr_b32 v67, v84, v82 offset1:1
	ds_store_2addr_b32 v69, v86, v85 offset1:1
	v_lshrrev_b32_e32 v85, 4, v132
	v_dual_lshlrev_b32 v83, 4, v88 :: v_dual_lshlrev_b32 v90, 11, v88
	v_dual_lshlrev_b32 v82, 18, v88 :: v_dual_lshlrev_b32 v84, 25, v88
	s_delay_alu instid0(VALU_DEP_2) | instskip(NEXT) | instid1(VALU_DEP_3)
	v_dual_lshrrev_b32 v86, 12, v88 :: v_dual_bitop2_b32 v83, 16, v83 bitop3:0x40
	v_and_b32_e32 v89, 0x1000, v90
	s_delay_alu instid0(VALU_DEP_3) | instskip(NEXT) | instid1(VALU_DEP_4)
	v_and_b32_e32 v82, 0x100000, v82
	v_and_b32_e32 v84, 0x10000000, v84
	v_lshlrev_b32_e32 v90, 2, v88
	v_and_b32_e32 v85, 0xf0f0f0f, v85
	v_or3_b32 v83, v83, v87, v89
	v_dual_lshrrev_b32 v89, 5, v88 :: v_dual_bitop2_b32 v86, 16, v86 bitop3:0x40
	v_lshlrev_b32_e32 v88, 9, v88
	v_or3_b32 v82, v87, v82, v84
	v_and_b32_e32 v87, 0x100000, v90
	s_delay_alu instid0(VALU_DEP_4) | instskip(SKIP_3) | instid1(VALU_DEP_4)
	v_and_b32_e32 v89, 0x1000, v89
	v_and_b32_e32 v84, 0x1f00, v83
	;; [unrolled: 1-line block ×3, first 2 shown]
	v_lshlrev_b16 v83, 8, v83
	v_or3_b32 v86, v86, v85, v89
	s_delay_alu instid0(VALU_DEP_4) | instskip(NEXT) | instid1(VALU_DEP_4)
	v_add_nc_u16 v84, 0xf000, v84
	v_or3_b32 v85, v85, v87, v88
	v_lshrrev_b32_e32 v82, 16, v82
	v_add_nc_u16 v83, 0xf000, v83
	v_lshlrev_b16 v87, 8, v86
	s_delay_alu instid0(VALU_DEP_4) | instskip(NEXT) | instid1(VALU_DEP_4)
	v_lshrrev_b32_e32 v85, 16, v85
	v_and_b32_e32 v88, 0x1f00, v82
	v_lshlrev_b16 v82, 8, v82
	s_delay_alu instid0(VALU_DEP_4)
	v_add_nc_u16 v87, 0xf000, v87
	v_perm_b32 v83, v83, v84, 0xc0c0105
	v_and_b32_e32 v84, 0x1f00, v85
	v_add_nc_u16 v88, 0xf000, v88
	v_add_nc_u16 v82, 0xf000, v82
	v_lshrrev_b16 v87, 8, v87
	v_lshlrev_b16 v85, 8, v85
	v_add_nc_u16 v84, 0xf000, v84
	s_delay_alu instid0(VALU_DEP_4) | instskip(SKIP_3) | instid1(VALU_DEP_4)
	v_perm_b32 v82, v82, v88, 0xc0c0105
	v_ashrrev_i32_e32 v88, v24, v138
	v_bitop3_b16 v86, v86, v87, 0x1f00 bitop3:0xec
	v_add_nc_u16 v85, 0xf000, v85
	v_lshl_or_b32 v82, v82, 16, v83
	s_delay_alu instid0(VALU_DEP_4) | instskip(NEXT) | instid1(VALU_DEP_4)
	v_lshlrev_b32_e32 v83, 4, v88
	v_add_nc_u16 v86, 0xf000, v86
	s_delay_alu instid0(VALU_DEP_4) | instskip(SKIP_1) | instid1(VALU_DEP_4)
	v_perm_b32 v84, v85, v84, 0xc0c0105
	v_and_b32_e32 v85, 0xf0f0f0f, v133
	v_dual_lshlrev_b32 v87, 11, v88 :: v_dual_bitop2_b32 v83, 16, v83 bitop3:0x40
	v_dual_lshrrev_b32 v89, 4, v133 :: v_dual_lshrrev_b32 v90, 12, v88
	v_lshrrev_b32_e32 v91, 5, v88
	v_and_b32_e32 v86, 0xffff, v86
	s_delay_alu instid0(VALU_DEP_4) | instskip(NEXT) | instid1(VALU_DEP_4)
	v_and_b32_e32 v87, 0x1000, v87
	v_and_b32_e32 v89, 0xf0f0f0f, v89
	v_dual_lshlrev_b32 v92, 25, v88 :: v_dual_bitop2_b32 v90, 16, v90 bitop3:0x40
	v_lshlrev_b32_e32 v93, 2, v88
	s_delay_alu instid0(VALU_DEP_4) | instskip(SKIP_4) | instid1(VALU_DEP_4)
	v_or3_b32 v83, v83, v85, v87
	v_lshlrev_b32_e32 v87, 18, v88
	v_and_b32_e32 v91, 0x1000, v91
	v_lshlrev_b32_e32 v88, 9, v88
	v_lshl_or_b32 v84, v84, 16, v86
	v_and_b32_e32 v87, 0x100000, v87
	s_delay_alu instid0(VALU_DEP_4)
	v_or3_b32 v90, v90, v89, v91
	v_and_b32_e32 v91, 0x10000000, v92
	v_and_b32_e32 v92, 0x100000, v93
	;; [unrolled: 1-line block ×3, first 2 shown]
	ds_store_2addr_b32 v71, v82, v84 offset1:1
	v_lshlrev_b16 v86, 8, v90
	v_or3_b32 v85, v85, v87, v91
	v_and_b32_e32 v87, 0x1f00, v83
	v_or3_b32 v88, v89, v92, v88
	v_lshlrev_b16 v83, 8, v83
	v_add_nc_u16 v86, 0xf000, v86
	v_lshrrev_b32_e32 v85, 16, v85
	v_add_nc_u16 v87, 0xf000, v87
	v_lshrrev_b32_e32 v88, 16, v88
	v_add_nc_u16 v83, 0xf000, v83
	v_lshrrev_b16 v86, 8, v86
	v_and_b32_e32 v89, 0x1f00, v85
	v_lshlrev_b16 v85, 8, v85
	v_and_b32_e32 v91, 0x1f00, v88
	v_lshlrev_b16 v88, 8, v88
	v_bitop3_b16 v86, v90, v86, 0x1f00 bitop3:0xec
	v_add_nc_u16 v89, 0xf000, v89
	v_add_nc_u16 v85, 0xf000, v85
	;; [unrolled: 1-line block ×5, first 2 shown]
	v_perm_b32 v83, v83, v87, 0xc0c0105
	v_ashrrev_i32_e32 v87, v24, v137
	v_perm_b32 v85, v85, v89, 0xc0c0105
	v_perm_b32 v88, v88, v90, 0xc0c0105
	v_and_b32_e32 v86, 0xffff, v86
	s_delay_alu instid0(VALU_DEP_4) | instskip(NEXT) | instid1(VALU_DEP_4)
	v_lshlrev_b32_e32 v82, 4, v87
	v_lshl_or_b32 v83, v85, 16, v83
	s_delay_alu instid0(VALU_DEP_3) | instskip(SKIP_1) | instid1(VALU_DEP_4)
	v_lshl_or_b32 v85, v88, 16, v86
	v_and_b32_e32 v86, 0xf0f0f0f, v134
	v_dual_lshlrev_b32 v84, 11, v87 :: v_dual_bitop2_b32 v82, 16, v82 bitop3:0x40
	v_dual_lshlrev_b32 v88, 18, v87 :: v_dual_lshlrev_b32 v89, 25, v87
	v_dual_lshrrev_b32 v90, 4, v134 :: v_dual_lshrrev_b32 v91, 12, v87
	s_delay_alu instid0(VALU_DEP_3) | instskip(NEXT) | instid1(VALU_DEP_3)
	v_and_b32_e32 v84, 0x1000, v84
	v_and_b32_e32 v88, 0x100000, v88
	s_delay_alu instid0(VALU_DEP_4)
	v_and_b32_e32 v89, 0x10000000, v89
	v_lshrrev_b32_e32 v92, 5, v87
	v_and_b32_e32 v90, 0xf0f0f0f, v90
	v_or3_b32 v82, v82, v86, v84
	v_dual_lshlrev_b32 v84, 2, v87 :: v_dual_lshlrev_b32 v87, 9, v87
	v_or3_b32 v86, v86, v88, v89
	v_and_b32_e32 v91, 16, v91
	v_and_b32_e32 v92, 0x1000, v92
	s_delay_alu instid0(VALU_DEP_4)
	v_and_b32_e32 v84, 0x100000, v84
	v_and_b32_e32 v87, 0x10000000, v87
	v_lshrrev_b32_e32 v86, 16, v86
	v_and_b32_e32 v89, 0x1f00, v82
	v_or3_b32 v88, v91, v90, v92
	v_lshlrev_b16 v82, 8, v82
	v_or3_b32 v84, v90, v84, v87
	v_and_b32_e32 v87, 0x1f00, v86
	v_lshlrev_b16 v86, 8, v86
	v_lshlrev_b16 v91, 8, v88
	v_add_nc_u16 v89, 0xf000, v89
	v_add_nc_u16 v82, 0xf000, v82
	;; [unrolled: 1-line block ×5, first 2 shown]
	v_lshrrev_b32_e32 v84, 16, v84
	v_perm_b32 v82, v82, v89, 0xc0c0105
	s_delay_alu instid0(VALU_DEP_4)
	v_perm_b32 v86, v86, v87, 0xc0c0105
	v_ashrrev_i32_e32 v87, v24, v136
	v_lshrrev_b16 v90, 8, v90
	v_and_b32_e32 v89, 0x1f00, v84
	v_lshlrev_b16 v84, 8, v84
	v_lshl_or_b32 v82, v86, 16, v82
	v_lshlrev_b32_e32 v86, 4, v87
	v_bitop3_b16 v88, v88, v90, 0x1f00 bitop3:0xec
	v_add_nc_u16 v89, 0xf000, v89
	v_add_nc_u16 v84, 0xf000, v84
	s_delay_alu instid0(VALU_DEP_4)
	v_dual_lshlrev_b32 v90, 11, v87 :: v_dual_bitop2_b32 v86, 16, v86 bitop3:0x40
	v_dual_lshlrev_b32 v91, 18, v87 :: v_dual_lshlrev_b32 v92, 25, v87
	v_dual_lshrrev_b32 v94, 12, v87 :: v_dual_lshrrev_b32 v95, 5, v87
	v_lshrrev_b32_e32 v93, 4, v135
	v_perm_b32 v84, v84, v89, 0xc0c0105
	v_and_b32_e32 v89, 0xf0f0f0f, v135
	v_and_b32_e32 v90, 0x1000, v90
	;; [unrolled: 1-line block ×7, first 2 shown]
	v_or3_b32 v86, v86, v89, v90
	v_dual_lshlrev_b32 v90, 2, v87 :: v_dual_lshlrev_b32 v87, 9, v87
	v_or3_b32 v89, v89, v91, v92
	s_delay_alu instid0(VALU_DEP_4) | instskip(NEXT) | instid1(VALU_DEP_4)
	v_or3_b32 v91, v94, v93, v95
	v_and_b32_e32 v92, 0x1f00, v86
	s_delay_alu instid0(VALU_DEP_4)
	v_and_b32_e32 v90, 0x100000, v90
	v_and_b32_e32 v87, 0x10000000, v87
	v_lshlrev_b16 v86, 8, v86
	v_lshlrev_b16 v94, 8, v91
	v_add_nc_u16 v88, 0xf000, v88
	v_add_nc_u16 v92, 0xf000, v92
	v_or3_b32 v87, v93, v90, v87
	v_lshrrev_b32_e32 v89, 16, v89
	v_add_nc_u16 v90, 0xf000, v94
	v_add_nc_u16 v86, 0xf000, v86
	v_and_b32_e32 v88, 0xffff, v88
	v_lshrrev_b32_e32 v87, 16, v87
	s_delay_alu instid0(VALU_DEP_4) | instskip(NEXT) | instid1(VALU_DEP_4)
	v_lshrrev_b16 v90, 8, v90
	v_perm_b32 v86, v86, v92, 0xc0c0105
	s_delay_alu instid0(VALU_DEP_4) | instskip(NEXT) | instid1(VALU_DEP_4)
	v_lshl_or_b32 v84, v84, 16, v88
	v_and_b32_e32 v92, 0x1f00, v87
	v_lshlrev_b16 v87, 8, v87
	v_bitop3_b16 v90, v91, v90, 0x1f00 bitop3:0xec
	v_and_b32_e32 v88, 0x1f00, v89
	v_lshlrev_b16 v89, 8, v89
	v_add_nc_u16 v91, 0xf000, v92
	v_add_nc_u16 v87, 0xf000, v87
	;; [unrolled: 1-line block ×5, first 2 shown]
	ds_store_2addr_b32 v73, v83, v85 offset1:1
	ds_store_2addr_b32 v75, v82, v84 offset1:1
	v_perm_b32 v87, v87, v91, 0xc0c0105
	v_and_b32_e32 v90, 0xffff, v90
	v_and_b32_e32 v91, 0xf0f0f0f, v140
	v_perm_b32 v88, v89, v88, 0xc0c0105
	s_delay_alu instid0(VALU_DEP_3) | instskip(SKIP_2) | instid1(VALU_DEP_4)
	v_lshl_or_b32 v83, v87, 16, v90
	v_dual_lshrrev_b32 v87, 4, v140 :: v_dual_lshlrev_b32 v89, 4, v81
	v_lshlrev_b32_e32 v92, 11, v81
	v_lshl_or_b32 v82, v88, 16, v86
	v_dual_lshrrev_b32 v88, 12, v81 :: v_dual_lshlrev_b32 v85, 18, v81
	v_lshlrev_b32_e32 v86, 25, v81
	v_and_b32_e32 v89, 16, v89
	v_and_b32_e32 v92, 0x1000, v92
	;; [unrolled: 1-line block ×5, first 2 shown]
	v_lshlrev_b32_e32 v90, 2, v81
	v_or3_b32 v84, v89, v91, v92
	v_dual_lshrrev_b32 v89, 5, v81 :: v_dual_bitop2_b32 v88, 16, v88 bitop3:0x40
	v_lshlrev_b32_e32 v81, 9, v81
	v_or3_b32 v85, v91, v85, v86
	s_delay_alu instid0(VALU_DEP_4) | instskip(NEXT) | instid1(VALU_DEP_4)
	v_and_b32_e32 v86, 0x1f00, v84
	v_and_b32_e32 v89, 0x1000, v89
	v_lshlrev_b16 v84, 8, v84
	v_and_b32_e32 v81, 0x10000000, v81
	v_and_b32_e32 v91, 0xf0f0f0f, v141
	v_add_nc_u16 v86, 0xf000, v86
	v_or3_b32 v88, v88, v87, v89
	v_and_b32_e32 v89, 0x100000, v90
	v_add_nc_u16 v84, 0xf000, v84
	ds_store_2addr_b32 v77, v82, v83 offset1:1
	v_lshlrev_b16 v90, 8, v88
	v_or3_b32 v81, v87, v89, v81
	v_perm_b32 v84, v84, v86, 0xc0c0105
	s_delay_alu instid0(VALU_DEP_3) | instskip(SKIP_1) | instid1(VALU_DEP_1)
	v_add_nc_u16 v89, 0xf000, v90
	v_dual_ashrrev_i32 v90, v24, v146 :: v_dual_lshrrev_b32 v85, 16, v85
	v_dual_lshlrev_b32 v92, 18, v90 :: v_dual_lshlrev_b32 v93, 25, v90
	s_delay_alu instid0(VALU_DEP_2) | instskip(SKIP_1) | instid1(VALU_DEP_2)
	v_and_b32_e32 v87, 0x1f00, v85
	v_lshlrev_b16 v85, 8, v85
	v_add_nc_u16 v86, 0xf000, v87
	v_lshrrev_b16 v87, 8, v89
	s_delay_alu instid0(VALU_DEP_3) | instskip(NEXT) | instid1(VALU_DEP_2)
	v_add_nc_u16 v85, 0xf000, v85
	v_bitop3_b16 v87, v88, v87, 0x1f00 bitop3:0xec
	v_dual_lshlrev_b32 v88, 4, v90 :: v_dual_lshrrev_b32 v81, 16, v81
	s_delay_alu instid0(VALU_DEP_3) | instskip(NEXT) | instid1(VALU_DEP_3)
	v_perm_b32 v85, v85, v86, 0xc0c0105
	v_add_nc_u16 v87, 0xf000, v87
	s_delay_alu instid0(VALU_DEP_3) | instskip(NEXT) | instid1(VALU_DEP_4)
	v_and_b32_e32 v88, 16, v88
	v_and_b32_e32 v89, 0x1f00, v81
	v_lshlrev_b16 v81, 8, v81
	v_lshl_or_b32 v82, v85, 16, v84
	s_delay_alu instid0(VALU_DEP_3) | instskip(SKIP_1) | instid1(VALU_DEP_4)
	v_add_nc_u16 v86, 0xf000, v89
	v_lshlrev_b32_e32 v89, 11, v90
	v_add_nc_u16 v81, 0xf000, v81
	s_delay_alu instid0(VALU_DEP_2) | instskip(NEXT) | instid1(VALU_DEP_2)
	v_and_b32_e32 v89, 0x1000, v89
	v_perm_b32 v81, v81, v86, 0xc0c0105
	v_and_b32_e32 v86, 0xffff, v87
	v_and_b32_e32 v87, 0x100000, v92
	;; [unrolled: 1-line block ×3, first 2 shown]
	v_or3_b32 v88, v88, v91, v89
	v_lshrrev_b32_e32 v89, 12, v90
	v_lshl_or_b32 v81, v81, 16, v86
	v_lshrrev_b32_e32 v86, 4, v141
	v_or3_b32 v83, v91, v87, v92
	v_and_b32_e32 v84, 0x1f00, v88
	v_lshlrev_b16 v85, 8, v88
	v_dual_lshlrev_b32 v87, 2, v90 :: v_dual_lshlrev_b32 v88, 9, v90
	v_dual_lshrrev_b32 v90, 5, v90 :: v_dual_bitop2_b32 v89, 16, v89 bitop3:0x40
	v_and_b32_e32 v86, 0xf0f0f0f, v86
	s_delay_alu instid0(VALU_DEP_3) | instskip(NEXT) | instid1(VALU_DEP_4)
	v_and_b32_e32 v87, 0x100000, v87
	v_and_b32_e32 v88, 0x10000000, v88
	s_delay_alu instid0(VALU_DEP_4)
	v_and_b32_e32 v90, 0x1000, v90
	v_lshrrev_b32_e32 v83, 16, v83
	v_add_nc_u16 v84, 0xf000, v84
	v_add_nc_u16 v85, 0xf000, v85
	v_or3_b32 v87, v86, v87, v88
	v_or3_b32 v86, v89, v86, v90
	v_ashrrev_i32_e32 v90, v24, v145
	v_and_b32_e32 v88, 0x1f00, v83
	v_lshlrev_b16 v83, 8, v83
	v_lshrrev_b32_e32 v87, 16, v87
	v_perm_b32 v84, v85, v84, 0xc0c0105
	v_lshlrev_b16 v85, 8, v86
	v_add_nc_u16 v88, 0xf000, v88
	v_add_nc_u16 v83, 0xf000, v83
	v_and_b32_e32 v89, 0x1f00, v87
	v_dual_lshlrev_b32 v91, 25, v90 :: v_dual_lshlrev_b32 v93, 4, v90
	v_add_nc_u16 v85, 0xf000, v85
	s_delay_alu instid0(VALU_DEP_4) | instskip(NEXT) | instid1(VALU_DEP_4)
	v_perm_b32 v83, v83, v88, 0xc0c0105
	v_add_nc_u16 v88, 0xf000, v89
	v_lshlrev_b32_e32 v89, 18, v90
	v_lshlrev_b16 v87, 8, v87
	v_lshrrev_b16 v85, 8, v85
	v_lshlrev_b32_e32 v94, 11, v90
	v_and_b32_e32 v92, 0xf0f0f0f, v142
	v_and_b32_e32 v89, 0x100000, v89
	v_add_nc_u16 v87, 0xf000, v87
	v_and_b32_e32 v91, 0x10000000, v91
	v_bitop3_b16 v85, v86, v85, 0x1f00 bitop3:0xec
	v_and_b32_e32 v86, 16, v93
	v_and_b32_e32 v93, 0x1000, v94
	v_lshl_or_b32 v83, v83, 16, v84
	v_or3_b32 v84, v92, v89, v91
	v_perm_b32 v87, v87, v88, 0xc0c0105
	v_lshrrev_b32_e32 v88, 4, v142
	v_or3_b32 v86, v86, v92, v93
	v_dual_lshlrev_b32 v89, 2, v90 :: v_dual_lshlrev_b32 v91, 9, v90
	v_dual_lshrrev_b32 v93, 12, v90 :: v_dual_lshrrev_b32 v90, 5, v90
	v_lshrrev_b32_e32 v84, 16, v84
	s_delay_alu instid0(VALU_DEP_4)
	v_and_b32_e32 v92, 0x1f00, v86
	v_and_b32_e32 v88, 0xf0f0f0f, v88
	v_and_b32_e32 v89, 0x100000, v89
	v_and_b32_e32 v91, 0x10000000, v91
	v_lshlrev_b16 v86, 8, v86
	v_and_b32_e32 v93, 16, v93
	v_and_b32_e32 v90, 0x1000, v90
	v_add_nc_u16 v92, 0xf000, v92
	v_or3_b32 v89, v88, v89, v91
	v_add_nc_u16 v86, 0xf000, v86
	v_and_b32_e32 v91, 0x1f00, v84
	v_or3_b32 v88, v93, v88, v90
	v_lshlrev_b16 v84, 8, v84
	v_dual_lshrrev_b32 v89, 16, v89 :: v_dual_ashrrev_i32 v93, v24, v144
	v_perm_b32 v86, v86, v92, 0xc0c0105
	s_delay_alu instid0(VALU_DEP_4) | instskip(SKIP_1) | instid1(VALU_DEP_4)
	v_lshlrev_b16 v92, 8, v88
	v_add_nc_u16 v90, 0xf000, v91
	v_and_b32_e32 v91, 0x1f00, v89
	v_lshlrev_b16 v89, 8, v89
	v_add_nc_u16 v84, 0xf000, v84
	v_add_nc_u16 v92, 0xf000, v92
	v_lshlrev_b32_e32 v94, 11, v93
	v_add_nc_u16 v91, 0xf000, v91
	v_add_nc_u16 v89, 0xf000, v89
	v_perm_b32 v84, v84, v90, 0xc0c0105
	v_lshlrev_b32_e32 v90, 4, v93
	v_lshrrev_b16 v92, 8, v92
	v_and_b32_e32 v94, 0x1000, v94
	v_perm_b32 v89, v89, v91, 0xc0c0105
	v_and_b32_e32 v91, 0xf0f0f0f, v143
	v_dual_lshrrev_b32 v95, 12, v93 :: v_dual_bitop2_b32 v90, 16, v90 bitop3:0x40
	v_bitop3_b16 v88, v88, v92, 0x1f00 bitop3:0xec
	v_dual_lshrrev_b32 v92, 4, v143 :: v_dual_lshrrev_b32 v96, 5, v93
	s_delay_alu instid0(VALU_DEP_3) | instskip(NEXT) | instid1(VALU_DEP_4)
	v_or3_b32 v90, v90, v91, v94
	v_dual_lshlrev_b32 v94, 18, v93 :: v_dual_bitop2_b32 v95, 16, v95 bitop3:0x40
	v_lshlrev_b32_e32 v97, 25, v93
	s_delay_alu instid0(VALU_DEP_4) | instskip(SKIP_4) | instid1(VALU_DEP_4)
	v_and_b32_e32 v92, 0xf0f0f0f, v92
	v_and_b32_e32 v96, 0x1000, v96
	v_dual_lshlrev_b32 v98, 2, v93 :: v_dual_lshlrev_b32 v93, 9, v93
	v_and_b32_e32 v94, 0x100000, v94
	v_add_nc_u16 v85, 0xf000, v85
	v_or3_b32 v95, v95, v92, v96
	v_and_b32_e32 v96, 0x10000000, v97
	v_and_b32_e32 v97, 0x100000, v98
	;; [unrolled: 1-line block ×3, first 2 shown]
	v_add_nc_u16 v88, 0xf000, v88
	v_lshlrev_b16 v98, 8, v95
	v_or3_b32 v91, v91, v94, v96
	v_and_b32_e32 v94, 0x1f00, v90
	v_or3_b32 v92, v92, v97, v93
	v_lshlrev_b16 v90, 8, v90
	v_add_nc_u16 v93, 0xf000, v98
	v_lshrrev_b32_e32 v91, 16, v91
	v_add_nc_u16 v94, 0xf000, v94
	v_lshrrev_b32_e32 v92, 16, v92
	v_add_nc_u16 v90, 0xf000, v90
	v_lshrrev_b16 v93, 8, v93
	v_and_b32_e32 v96, 0x1f00, v91
	v_lshlrev_b16 v91, 8, v91
	v_and_b32_e32 v97, 0x1f00, v92
	v_lshlrev_b16 v92, 8, v92
	v_bitop3_b16 v93, v95, v93, 0x1f00 bitop3:0xec
	v_add_nc_u16 v95, 0xf000, v96
	v_add_nc_u16 v91, 0xf000, v91
	v_add_nc_u16 v96, 0xf000, v97
	v_add_nc_u16 v92, 0xf000, v92
	v_add_nc_u16 v93, 0xf000, v93
	v_and_b32_e32 v85, 0xffff, v85
	v_and_b32_e32 v88, 0xffff, v88
	v_perm_b32 v90, v90, v94, 0xc0c0105
	v_perm_b32 v91, v91, v95, 0xc0c0105
	;; [unrolled: 1-line block ×3, first 2 shown]
	v_and_b32_e32 v93, 0xffff, v93
	v_lshl_or_b32 v85, v87, 16, v85
	v_lshl_or_b32 v84, v84, 16, v86
	;; [unrolled: 1-line block ×5, first 2 shown]
	ds_store_2addr_b32 v79, v82, v81 offset1:1
	ds_store_2addr_b32 v148, v83, v85 offset1:1
	;; [unrolled: 1-line block ×4, first 2 shown]
	ds_store_b32 v65, v80
	s_cbranch_scc0 .LBB162_5
; %bb.7:                                ;   in Loop: Header=BB162_6 Depth=1
	v_dual_add_nc_u32 v97, s4, v57 :: v_dual_add_nc_u32 v82, s4, v47
	v_dual_mov_b32 v134, v178 :: v_dual_mov_b32 v137, v174
	v_dual_mov_b32 v139, v170 :: v_dual_mov_b32 v101, v169
	s_delay_alu instid0(VALU_DEP_3) | instskip(SKIP_3) | instid1(VALU_DEP_3)
	v_add_nc_u32_e32 v80, v82, v152
	s_mov_b32 s10, -4
	v_dual_mov_b32 v135, v179 :: v_dual_mov_b32 v136, v176
	v_mov_b32_e32 v138, v172
	v_mad_nc_i64_i32 v[80:81], v80, 36, v[0:1]
	global_load_b32 v80, v[80:81], off offset:4
	s_wait_loadcnt 0x0
	ds_store_b32 v168, v80
	v_add_nc_u32_e32 v80, v82, v153
	s_delay_alu instid0(VALU_DEP_1) | instskip(SKIP_4) | instid1(VALU_DEP_1)
	v_mad_nc_i64_i32 v[80:81], v80, 36, v[0:1]
	global_load_b32 v80, v[80:81], off offset:4
	s_wait_loadcnt 0x0
	ds_store_b32 v161, v80
	v_add_nc_u32_e32 v80, v82, v154
	v_mad_nc_i64_i32 v[80:81], v80, 36, v[0:1]
	global_load_b32 v80, v[80:81], off offset:4
	s_wait_loadcnt 0x0
	ds_store_b32 v162, v80
	v_add_nc_u32_e32 v80, v82, v155
	s_delay_alu instid0(VALU_DEP_1) | instskip(SKIP_4) | instid1(VALU_DEP_1)
	v_mad_nc_i64_i32 v[80:81], v80, 36, v[0:1]
	global_load_b32 v80, v[80:81], off offset:4
	s_wait_loadcnt 0x0
	ds_store_b32 v163, v80
	v_add_nc_u32_e32 v80, v82, v156
	;; [unrolled: 11-line block ×3, first 2 shown]
	v_mad_nc_i64_i32 v[80:81], v80, 36, v[0:1]
	global_load_b32 v80, v[80:81], off offset:4
	s_wait_loadcnt 0x0
	ds_store_b32 v166, v80
	v_add_nc_u32_e32 v80, v82, v159
	s_delay_alu instid0(VALU_DEP_1)
	v_mad_nc_i64_i32 v[80:81], v80, 36, v[0:1]
	global_load_b32 v80, v[80:81], off offset:4
	s_wait_loadcnt 0x0
	ds_store_b32 v167, v80
	v_mad_nc_u64_u32 v[80:81], v97, 36, s[2:3]
	global_load_b32 v80, v[80:81], off
	s_wait_loadcnt 0x0
	v_cvt_f32_f16_e32 v80, v80
	ds_store_b32 v151, v80
	s_wait_dscnt 0x0
	s_barrier_signal -1
	s_barrier_wait -1
.LBB162_8:                              ;   Parent Loop BB162_6 Depth=1
                                        ; =>  This Inner Loop Header: Depth=2
	ds_load_2addr_b32 v[88:89], v101 offset0:3 offset1:4
	ds_load_2addr_b32 v[98:99], v101 offset0:1 offset1:2
	;; [unrolled: 1-line block ×3, first 2 shown]
	ds_load_2addr_b32 v[90:91], v101 offset1:7
	ds_load_2addr_b32 v[80:81], v135 offset1:32
	v_add_nc_u32_e32 v84, 0x2080, v134
	ds_load_b32 v82, v136
	ds_load_2addr_b32 v[86:87], v134 offset1:1
	ds_load_2addr_b32 v[110:111], v134 offset0:2 offset1:3
	ds_load_2addr_b32 v[112:113], v134 offset0:4 offset1:5
	;; [unrolled: 1-line block ×3, first 2 shown]
	s_add_co_i32 s10, s10, 4
	ds_load_b32 v83, v137
	ds_load_2addr_b32 v[84:85], v84 offset1:1
	s_cmp_lt_u32 s10, 12
	v_dual_add_nc_u32 v137, 4, v137 :: v_dual_add_nc_u32 v136, 4, v136
	s_wait_dscnt 0xb
	v_dual_lshlrev_b32 v96, 16, v89 :: v_dual_lshlrev_b32 v100, 8, v89
	s_wait_dscnt 0xa
	v_dual_lshlrev_b32 v104, 16, v98 :: v_dual_lshlrev_b32 v105, 8, v98
	s_wait_dscnt 0x8
	v_bfe_i32 v132, v90, 0, 8
	v_bfe_i32 v133, v90, 8, 8
	v_perm_b32 v206, v96, v89, 0x7000c0c
	v_dual_lshlrev_b32 v106, 16, v102 :: v_dual_lshlrev_b32 v107, 8, v102
	s_wait_dscnt 0x0
	v_bfe_i32 v92, v84, 0, 8
	v_bfe_i32 v93, v84, 8, 8
	v_perm_b32 v96, v84, v84, 0xc0c0302
	v_ashrrev_i32_e32 v205, 24, v85
	v_perm_b32 v122, v85, v90, 0x5040302
	v_mul_i32_i24_e32 v92, v92, v132
	v_perm_b32 v89, v89, v100, 0xc0c0703
	v_or_b32_e32 v96, v206, v96
	v_perm_b32 v100, v104, v98, 0x7000c0c
	v_perm_b32 v98, v98, v105, 0xc0c0703
	v_mad_i32_i24 v121, v93, v133, v92
	v_add_nc_u32_e32 v92, 0x2088, v134
	v_dual_lshlrev_b32 v108, 16, v99 :: v_dual_lshlrev_b32 v109, 8, v99
	v_or_b32_e32 v207, v100, v89
	s_delay_alu instid0(VALU_DEP_4)
	v_dot4_i32_iu8 v96, v96, v122, v121 neg_lo:[1,1,0]
	ds_load_2addr_b32 v[118:119], v92 offset1:1
	v_add_nc_u32_e32 v92, 0x2090, v134
	v_perm_b32 v100, v106, v102, 0x7000c0c
	v_perm_b32 v209, v102, v107, 0xc0c0703
	;; [unrolled: 1-line block ×3, first 2 shown]
	v_dual_lshlrev_b32 v116, 16, v103 :: v_dual_lshlrev_b32 v117, 8, v103
	ds_load_2addr_b32 v[114:115], v92 offset1:1
	v_or_b32_e32 v208, v100, v98
	v_add_nc_u32_e32 v92, 0x2098, v134
	v_perm_b32 v211, v99, v109, 0xc0c0703
	v_perm_b32 v212, v116, v103, 0xc0c0700
	v_dual_lshlrev_b32 v120, 16, v88 :: v_dual_lshlrev_b32 v142, 8, v88
	ds_load_2addr_b32 v[92:93], v92 offset1:1
	v_perm_b32 v213, v103, v117, 0xc0c0703
	v_add_nc_u32_e32 v100, 0x4108, v134
	v_perm_b32 v214, v120, v88, 0xc0c0700
	v_add_nc_u32_e32 v98, 0x4100, v134
	v_add_nc_u32_e32 v106, 0x6188, v134
	s_wait_dscnt 0x2
	v_perm_b32 v121, v118, v85, 0x5040302
	v_add_nc_u32_e32 v102, 0x6180, v134
	v_perm_b32 v196, v87, v87, 0x2010003
	v_perm_b32 v197, v110, v110, 0x2010003
	;; [unrolled: 1-line block ×3, first 2 shown]
	v_dot4_i32_iu8 v89, v207, v121, v96 neg_lo:[1,1,0]
	v_perm_b32 v96, v119, v118, 0x5040302
	v_perm_b32 v199, v112, v112, 0x2010003
	;; [unrolled: 1-line block ×4, first 2 shown]
	v_dual_lshlrev_b32 v140, 16, v91 :: v_dual_lshlrev_b32 v141, 8, v91
	v_dot4_i32_iu8 v89, v208, v96, v89 neg_lo:[1,1,0]
	v_perm_b32 v96, v119, v119, 0xc0c0302
	v_perm_b32 v142, v88, v142, 0xc0c0703
	s_wait_dscnt 0x0
	v_perm_b32 v88, v92, v92, 0xc0c0302
	s_delay_alu instid0(VALU_DEP_3) | instskip(SKIP_1) | instid1(VALU_DEP_1)
	v_dot4_i32_iu8 v89, v209, v96, v89 neg_lo:[1,1,0]
	v_perm_b32 v96, v114, v114, 0xc0c0100
	v_dot4_i32_iu8 v89, v210, v96, v89 neg_lo:[1,1,0]
	v_perm_b32 v96, v114, v114, 0xc0c0302
	s_delay_alu instid0(VALU_DEP_1) | instskip(SKIP_1) | instid1(VALU_DEP_1)
	v_dot4_i32_iu8 v89, v211, v96, v89 neg_lo:[1,1,0]
	v_perm_b32 v96, v115, v115, 0xc0c0100
	v_dot4_i32_iu8 v89, v212, v96, v89 neg_lo:[1,1,0]
	v_perm_b32 v96, v115, v115, 0xc0c0302
	s_delay_alu instid0(VALU_DEP_1) | instskip(SKIP_1) | instid1(VALU_DEP_1)
	v_dot4_i32_iu8 v89, v213, v96, v89 neg_lo:[1,1,0]
	v_perm_b32 v96, v92, v92, 0xc0c0100
	v_dot4_i32_iu8 v89, v214, v96, v89 neg_lo:[1,1,0]
	ds_load_b32 v96, v138
	ds_load_2addr_b32 v[98:99], v98 offset1:1
	ds_load_2addr_b32 v[116:117], v100 offset1:1
	v_add_nc_u32_e32 v100, 0x4110, v134
	v_add_nc_u32_e32 v138, 4, v138
	v_dot4_i32_iu8 v88, v142, v88, v89 neg_lo:[1,1,0]
	v_perm_b32 v89, v91, v141, 0x7030c04
	v_perm_b32 v91, v140, v140, 0xc0c030c
	ds_load_2addr_b32 v[120:121], v100 offset1:1
	v_add_nc_u32_e32 v100, 0x4118, v134
	v_dual_mov_b32 v89, v80 :: v_dual_bitop2_b32 v91, v89, v91 bitop3:0x54
	ds_load_2addr_b32 v[104:105], v100 offset1:1
	ds_load_b32 v100, v139
	ds_load_2addr_b32 v[102:103], v102 offset1:1
	ds_load_2addr_b32 v[122:123], v106 offset1:1
	v_add_nc_u32_e32 v106, 0x6190, v134
	v_add_nc_u32_e32 v139, 4, v139
	s_wait_dscnt 0x6
	v_perm_b32 v189, v99, v90, 0x5040302
	ds_load_2addr_b32 v[124:125], v106 offset1:1
	v_add_nc_u32_e32 v106, 0x6198, v134
	v_add_nc_u32_e32 v134, 32, v134
	ds_load_2addr_b32 v[108:109], v106 offset1:1
	v_add_nc_u32_e32 v106, 0x40c, v101
	ds_load_2addr_b32 v[126:127], v106 offset1:1
	v_add_nc_u32_e32 v106, 0x404, v101
	s_wait_dscnt 0x3
	v_perm_b32 v190, v123, v123, 0x6010007
	ds_load_2addr_b32 v[128:129], v106 offset1:1
	v_add_nc_u32_e32 v106, 0x414, v101
	s_wait_dscnt 0x3
	v_perm_b32 v191, v124, v124, 0x2010003
	v_perm_b32 v192, v125, v125, 0x2010003
	ds_load_2addr_b32 v[130:131], v106 offset1:1
	v_add_nc_u32_e32 v106, 0x400, v101
	s_wait_dscnt 0x3
	v_perm_b32 v193, v108, v108, 0x2010003
	ds_load_2addr_b32 v[106:107], v106 offset1:7
	s_wait_dscnt 0x3
	v_dual_lshlrev_b32 v144, 16, v127 :: v_dual_lshlrev_b32 v145, 8, v127
	v_perm_b32 v127, v127, v127, 0xc0c0003
	v_dual_lshlrev_b32 v187, 16, v126 :: v_dual_lshlrev_b32 v188, 8, v126
	v_perm_b32 v126, v126, v126, 0xc0c0003
	s_wait_dscnt 0x2
	v_dual_lshlrev_b32 v146, 16, v128 :: v_dual_lshlrev_b32 v147, 8, v128
	v_perm_b32 v144, v145, v144, 0x7030c0c
	v_perm_b32 v128, v128, v128, 0xc0c0003
	v_dual_lshlrev_b32 v183, 16, v129 :: v_dual_lshlrev_b32 v184, 8, v129
	s_wait_dscnt 0x1
	v_dual_lshlrev_b32 v181, 16, v130 :: v_dual_lshlrev_b32 v182, 8, v130
	v_or_b32_e32 v127, v144, v127
	v_perm_b32 v145, v147, v146, 0x7030c0c
	v_perm_b32 v130, v130, v130, 0xc0c0003
	v_dual_lshlrev_b32 v185, 16, v131 :: v_dual_lshlrev_b32 v186, 8, v131
	s_wait_dscnt 0x0
	s_delay_alu instid0(VALU_DEP_3)
	v_dual_lshlrev_b32 v143, 16, v107 :: v_dual_bitop2_b32 v128, v145, v128 bitop3:0x54
	v_dot4_i32_iu8 v144, v127, v196, 0 neg_lo:[1,1,0]
	v_perm_b32 v145, v182, v181, 0x7030c0c
	v_perm_b32 v129, v129, v129, 0xc0c0003
	;; [unrolled: 1-line block ×4, first 2 shown]
	v_dot4_i32_iu8 v144, v128, v197, v144 neg_lo:[1,1,0]
	v_or_b32_e32 v130, v145, v130
	v_perm_b32 v145, v184, v183, 0x7030c0c
	v_perm_b32 v182, v85, v85, 0x2010003
	v_or_b32_e32 v146, v206, v146
	v_perm_b32 v183, v118, v118, 0x2010003
	v_dot4_i32_iu8 v144, v130, v198, v144 neg_lo:[1,1,0]
	v_or_b32_e32 v129, v145, v129
	v_perm_b32 v145, v186, v185, 0x7030c0c
	v_perm_b32 v184, v119, v119, 0x6010007
	;; [unrolled: 1-line block ×4, first 2 shown]
	v_dot4_i32_iu8 v144, v129, v199, v144 neg_lo:[1,1,0]
	v_or_b32_e32 v131, v145, v131
	v_perm_b32 v145, v188, v187, 0x7030c0c
	v_perm_b32 v187, v92, v92, 0x2010003
	;; [unrolled: 1-line block ×4, first 2 shown]
	v_dot4_i32_iu8 v144, v131, v200, v144 neg_lo:[1,1,0]
	v_or_b32_e32 v126, v145, v126
	v_bfe_i32 v145, v86, 8, 8
	s_delay_alu instid0(VALU_DEP_2) | instskip(SKIP_1) | instid1(VALU_DEP_1)
	v_dot4_i32_iu8 v188, v126, v201, v144 neg_lo:[1,1,0]
	v_bfe_i32 v144, v86, 0, 8
	v_mul_i32_i24_e32 v144, v144, v132
	s_delay_alu instid0(VALU_DEP_1) | instskip(SKIP_4) | instid1(VALU_DEP_4)
	v_mad_i32_i24 v144, v145, v133, v144
	v_perm_b32 v145, v87, v90, 0x5040302
	v_perm_b32 v87, v110, v87, 0x5040302
	;; [unrolled: 1-line block ×4, first 2 shown]
	v_dot4_i32_iu8 v144, v146, v145, v144 neg_lo:[1,1,0]
	v_perm_b32 v145, v117, v117, 0x6010007
	v_perm_b32 v146, v120, v120, 0x2010003
	s_delay_alu instid0(VALU_DEP_3) | instskip(SKIP_1) | instid1(VALU_DEP_2)
	v_dot4_i32_iu8 v87, v207, v87, v144 neg_lo:[1,1,0]
	v_perm_b32 v144, v116, v116, 0x2010003
	v_dot4_i32_iu8 v87, v208, v110, v87 neg_lo:[1,1,0]
	v_perm_b32 v110, v111, v111, 0xc0c0302
	s_delay_alu instid0(VALU_DEP_1) | instskip(SKIP_1) | instid1(VALU_DEP_1)
	v_dot4_i32_iu8 v87, v209, v110, v87 neg_lo:[1,1,0]
	v_perm_b32 v110, v112, v112, 0xc0c0100
	v_dot4_i32_iu8 v87, v210, v110, v87 neg_lo:[1,1,0]
	v_perm_b32 v110, v112, v112, 0xc0c0302
	s_delay_alu instid0(VALU_DEP_1) | instskip(SKIP_1) | instid1(VALU_DEP_1)
	v_dot4_i32_iu8 v87, v211, v110, v87 neg_lo:[1,1,0]
	v_perm_b32 v110, v113, v113, 0xc0c0100
	v_dot4_i32_iu8 v87, v212, v110, v87 neg_lo:[1,1,0]
	v_perm_b32 v110, v113, v113, 0xc0c0302
	v_bfe_i32 v113, v98, 8, 8
	s_delay_alu instid0(VALU_DEP_2) | instskip(SKIP_2) | instid1(VALU_DEP_2)
	v_dot4_i32_iu8 v87, v213, v110, v87 neg_lo:[1,1,0]
	v_perm_b32 v110, v94, v94, 0xc0c0100
	v_perm_b32 v94, v94, v94, 0xc0c0302
	v_dot4_i32_iu8 v195, v214, v110, v87 neg_lo:[1,1,0]
	v_dot4_i32_iu8 v87, v127, v182, 0 neg_lo:[1,1,0]
	v_pk_mul_f32 v[110:111], v[82:83], v[80:81] op_sel_hi:[0,1]
	s_delay_alu instid0(VALU_DEP_3) | instskip(NEXT) | instid1(VALU_DEP_3)
	v_dot4_i32_iu8 v94, v142, v94, v195 neg_lo:[1,1,0]
	v_dot4_i32_iu8 v87, v128, v183, v87 neg_lo:[1,1,0]
	s_delay_alu instid0(VALU_DEP_2) | instskip(NEXT) | instid1(VALU_DEP_2)
	v_dot4_i32_iu8 v94, v91, v95, v94 neg_lo:[1,1,0]
	v_dot4_i32_iu8 v87, v130, v184, v87 neg_lo:[1,1,0]
	s_delay_alu instid0(VALU_DEP_2) | instskip(NEXT) | instid1(VALU_DEP_2)
	v_cvt_f32_i32_e32 v94, v94
	v_dot4_i32_iu8 v87, v129, v185, v87 neg_lo:[1,1,0]
	s_delay_alu instid0(VALU_DEP_1) | instskip(NEXT) | instid1(VALU_DEP_1)
	v_dot4_i32_iu8 v87, v131, v186, v87 neg_lo:[1,1,0]
	v_dot4_i32_iu8 v194, v126, v187, v87 neg_lo:[1,1,0]
	v_perm_b32 v87, v99, v99, 0x2010003
	v_perm_b32 v99, v116, v99, 0x5040302
	s_delay_alu instid0(VALU_DEP_2) | instskip(NEXT) | instid1(VALU_DEP_1)
	v_dot4_i32_iu8 v112, v127, v87, 0 neg_lo:[1,1,0]
	v_dot4_i32_iu8 v112, v128, v144, v112 neg_lo:[1,1,0]
	s_delay_alu instid0(VALU_DEP_1) | instskip(NEXT) | instid1(VALU_DEP_1)
	v_dot4_i32_iu8 v112, v130, v145, v112 neg_lo:[1,1,0]
	v_dot4_i32_iu8 v112, v129, v146, v112 neg_lo:[1,1,0]
	s_delay_alu instid0(VALU_DEP_1) | instskip(NEXT) | instid1(VALU_DEP_1)
	v_dot4_i32_iu8 v112, v131, v147, v112 neg_lo:[1,1,0]
	v_dot4_i32_iu8 v202, v126, v181, v112 neg_lo:[1,1,0]
	v_bfe_i32 v112, v98, 0, 8
	s_delay_alu instid0(VALU_DEP_1) | instskip(NEXT) | instid1(VALU_DEP_1)
	v_mul_i32_i24_e32 v112, v112, v132
	v_mad_i32_i24 v112, v113, v133, v112
	v_perm_b32 v113, v98, v98, 0xc0c0302
	s_delay_alu instid0(VALU_DEP_1) | instskip(NEXT) | instid1(VALU_DEP_1)
	v_or_b32_e32 v113, v206, v113
	v_dot4_i32_iu8 v112, v113, v189, v112 neg_lo:[1,1,0]
	v_perm_b32 v189, v122, v122, 0x2010003
	s_delay_alu instid0(VALU_DEP_2) | instskip(SKIP_1) | instid1(VALU_DEP_1)
	v_dot4_i32_iu8 v99, v207, v99, v112 neg_lo:[1,1,0]
	v_perm_b32 v112, v117, v116, 0x5040302
	v_dot4_i32_iu8 v99, v208, v112, v99 neg_lo:[1,1,0]
	v_perm_b32 v112, v117, v117, 0xc0c0302
	v_bfe_i32 v117, v102, 8, 8
	s_delay_alu instid0(VALU_DEP_2) | instskip(SKIP_1) | instid1(VALU_DEP_1)
	v_dot4_i32_iu8 v99, v209, v112, v99 neg_lo:[1,1,0]
	v_perm_b32 v112, v120, v120, 0xc0c0100
	v_dot4_i32_iu8 v99, v210, v112, v99 neg_lo:[1,1,0]
	v_perm_b32 v112, v120, v120, 0xc0c0302
	s_delay_alu instid0(VALU_DEP_1) | instskip(SKIP_1) | instid1(VALU_DEP_1)
	v_dot4_i32_iu8 v99, v211, v112, v99 neg_lo:[1,1,0]
	v_perm_b32 v112, v121, v121, 0xc0c0100
	v_dot4_i32_iu8 v99, v212, v112, v99 neg_lo:[1,1,0]
	v_perm_b32 v112, v121, v121, 0xc0c0302
	s_delay_alu instid0(VALU_DEP_1) | instskip(SKIP_1) | instid1(VALU_DEP_1)
	v_dot4_i32_iu8 v99, v213, v112, v99 neg_lo:[1,1,0]
	v_perm_b32 v112, v104, v104, 0xc0c0100
	v_dot4_i32_iu8 v203, v214, v112, v99 neg_lo:[1,1,0]
	v_perm_b32 v99, v103, v103, 0x2010003
	v_perm_b32 v103, v122, v103, 0x5040302
	v_pk_mul_f32 v[112:113], v[96:97], v[80:81] op_sel_hi:[0,1]
	s_delay_alu instid0(VALU_DEP_3) | instskip(NEXT) | instid1(VALU_DEP_1)
	v_dot4_i32_iu8 v116, v127, v99, 0 neg_lo:[1,1,0]
	v_dot4_i32_iu8 v116, v128, v189, v116 neg_lo:[1,1,0]
	s_delay_alu instid0(VALU_DEP_1) | instskip(NEXT) | instid1(VALU_DEP_1)
	v_dot4_i32_iu8 v116, v130, v190, v116 neg_lo:[1,1,0]
	v_dot4_i32_iu8 v116, v129, v191, v116 neg_lo:[1,1,0]
	s_delay_alu instid0(VALU_DEP_1) | instskip(NEXT) | instid1(VALU_DEP_1)
	v_dot4_i32_iu8 v116, v131, v192, v116 neg_lo:[1,1,0]
	v_dot4_i32_iu8 v204, v126, v193, v116 neg_lo:[1,1,0]
	v_bfe_i32 v116, v102, 0, 8
	s_delay_alu instid0(VALU_DEP_1) | instskip(NEXT) | instid1(VALU_DEP_1)
	v_mul_i32_i24_e32 v116, v116, v132
	v_mad_i32_i24 v116, v117, v133, v116
	v_perm_b32 v117, v102, v102, 0xc0c0302
	s_delay_alu instid0(VALU_DEP_1) | instskip(NEXT) | instid1(VALU_DEP_1)
	v_or_b32_e32 v117, v206, v117
	v_dot4_i32_iu8 v90, v117, v90, v116 neg_lo:[1,1,0]
	v_pk_mul_f32 v[116:117], v[100:101], v[80:81] op_sel_hi:[0,1]
	s_delay_alu instid0(VALU_DEP_2) | instskip(SKIP_1) | instid1(VALU_DEP_1)
	v_dot4_i32_iu8 v90, v207, v103, v90 neg_lo:[1,1,0]
	v_perm_b32 v103, v123, v122, 0x5040302
	v_dot4_i32_iu8 v90, v208, v103, v90 neg_lo:[1,1,0]
	v_perm_b32 v103, v123, v123, 0xc0c0302
	s_delay_alu instid0(VALU_DEP_1) | instskip(SKIP_1) | instid1(VALU_DEP_1)
	v_dot4_i32_iu8 v90, v209, v103, v90 neg_lo:[1,1,0]
	v_perm_b32 v103, v124, v124, 0xc0c0100
	v_dot4_i32_iu8 v90, v210, v103, v90 neg_lo:[1,1,0]
	v_perm_b32 v103, v124, v124, 0xc0c0302
	s_delay_alu instid0(VALU_DEP_1) | instskip(SKIP_1) | instid1(VALU_DEP_1)
	;; [unrolled: 5-line block ×3, first 2 shown]
	v_dot4_i32_iu8 v90, v213, v103, v90 neg_lo:[1,1,0]
	v_perm_b32 v103, v108, v108, 0xc0c0100
	v_dot4_i32_iu8 v90, v214, v103, v90 neg_lo:[1,1,0]
	v_add_nc_u32_e32 v103, 0x80c, v101
	ds_load_2addr_b32 v[124:125], v103 offset1:1
	v_add_nc_u32_e32 v103, 0x804, v101
	ds_load_2addr_b32 v[126:127], v103 offset1:1
	;; [unrolled: 2-line block ×4, first 2 shown]
	ds_load_2addr_b32 v[122:123], v135 offset0:64 offset1:96
	s_wait_dscnt 0x4
	v_dual_lshlrev_b32 v103, 16, v125 :: v_dual_lshlrev_b32 v130, 8, v125
	v_perm_b32 v125, v125, v125, 0xc0c0003
	v_dual_lshlrev_b32 v211, 16, v124 :: v_dual_lshlrev_b32 v212, 8, v124
	v_perm_b32 v124, v124, v124, 0xc0c0003
	s_wait_dscnt 0x3
	v_dual_lshlrev_b32 v131, 16, v126 :: v_dual_lshlrev_b32 v132, 8, v126
	v_perm_b32 v103, v130, v103, 0x7030c0c
	v_perm_b32 v126, v126, v126, 0xc0c0003
	v_dual_lshlrev_b32 v207, 16, v127 :: v_dual_lshlrev_b32 v208, 8, v127
	s_wait_dscnt 0x2
	v_dual_lshlrev_b32 v133, 16, v128 :: v_dual_lshlrev_b32 v206, 8, v128
	v_or_b32_e32 v125, v103, v125
	v_perm_b32 v130, v132, v131, 0x7030c0c
	v_perm_b32 v128, v128, v128, 0xc0c0003
	s_wait_dscnt 0x1
	v_lshlrev_b32_e32 v213, 16, v121
	v_dual_lshlrev_b32 v209, 16, v129 :: v_dual_lshlrev_b32 v210, 8, v129
	v_dot4_i32_iu8 v103, v125, v196, 0 neg_lo:[1,1,0]
	v_or_b32_e32 v126, v130, v126
	v_perm_b32 v130, v206, v133, 0x7030c0c
	v_perm_b32 v127, v127, v127, 0xc0c0003
	;; [unrolled: 1-line block ×3, first 2 shown]
	s_delay_alu instid0(VALU_DEP_4) | instskip(NEXT) | instid1(VALU_DEP_4)
	v_dot4_i32_iu8 v103, v126, v197, v103 neg_lo:[1,1,0]
	v_or_b32_e32 v128, v130, v128
	v_perm_b32 v130, v208, v207, 0x7030c0c
	s_delay_alu instid0(VALU_DEP_2) | instskip(NEXT) | instid1(VALU_DEP_2)
	v_dot4_i32_iu8 v103, v128, v198, v103 neg_lo:[1,1,0]
	v_or_b32_e32 v127, v130, v127
	v_perm_b32 v130, v210, v209, 0x7030c0c
	s_delay_alu instid0(VALU_DEP_2) | instskip(NEXT) | instid1(VALU_DEP_2)
	;; [unrolled: 4-line block ×3, first 2 shown]
	v_dot4_i32_iu8 v103, v129, v200, v103 neg_lo:[1,1,0]
	v_or_b32_e32 v124, v130, v124
	v_dot4_i32_iu8 v130, v125, v87, 0 neg_lo:[1,1,0]
	s_delay_alu instid0(VALU_DEP_2) | instskip(SKIP_2) | instid1(VALU_DEP_4)
	v_dot4_i32_iu8 v132, v124, v201, v103 neg_lo:[1,1,0]
	v_dot4_i32_iu8 v103, v125, v182, 0 neg_lo:[1,1,0]
	v_dot4_i32_iu8 v125, v125, v99, 0 neg_lo:[1,1,0]
	v_dot4_i32_iu8 v130, v126, v144, v130 neg_lo:[1,1,0]
	s_delay_alu instid0(VALU_DEP_3) | instskip(NEXT) | instid1(VALU_DEP_3)
	v_dot4_i32_iu8 v103, v126, v183, v103 neg_lo:[1,1,0]
	v_dot4_i32_iu8 v125, v126, v189, v125 neg_lo:[1,1,0]
	s_delay_alu instid0(VALU_DEP_3) | instskip(NEXT) | instid1(VALU_DEP_3)
	v_dot4_i32_iu8 v130, v128, v145, v130 neg_lo:[1,1,0]
	v_dot4_i32_iu8 v103, v128, v184, v103 neg_lo:[1,1,0]
	;; [unrolled: 3-line block ×7, first 2 shown]
	v_add_nc_u32_e32 v124, 0xc0c, v101
	ds_load_2addr_b32 v[126:127], v124 offset1:1
	v_add_nc_u32_e32 v124, 0xc04, v101
	ds_load_2addr_b32 v[128:129], v124 offset1:1
	;; [unrolled: 2-line block ×4, first 2 shown]
	s_wait_dscnt 0x3
	v_dual_lshlrev_b32 v206, 16, v127 :: v_dual_lshlrev_b32 v207, 8, v127
	v_perm_b32 v127, v127, v127, 0xc0c0003
	v_dual_lshlrev_b32 v218, 16, v126 :: v_dual_lshlrev_b32 v219, 8, v126
	v_perm_b32 v126, v126, v126, 0xc0c0003
	s_wait_dscnt 0x2
	v_dual_lshlrev_b32 v208, 16, v128 :: v_dual_lshlrev_b32 v209, 8, v128
	v_perm_b32 v206, v207, v206, 0x7030c0c
	v_perm_b32 v128, v128, v128, 0xc0c0003
	v_dual_lshlrev_b32 v214, 16, v129 :: v_dual_lshlrev_b32 v215, 8, v129
	s_wait_dscnt 0x1
	v_dual_lshlrev_b32 v216, 16, v131 :: v_dual_lshlrev_b32 v211, 16, v130
	v_dual_lshlrev_b32 v212, 8, v130 :: v_dual_bitop2_b32 v221, v206, v127 bitop3:0x54
	v_perm_b32 v206, v209, v208, 0x7030c0c
	v_perm_b32 v130, v130, v130, 0xc0c0003
	v_lshlrev_b32_e32 v217, 8, v131
	v_perm_b32 v129, v129, v129, 0xc0c0003
	s_wait_dscnt 0x0
	v_dual_lshlrev_b32 v220, 16, v125 :: v_dual_bitop2_b32 v222, v206, v128 bitop3:0x54
	v_perm_b32 v128, v212, v211, 0x7030c0c
	v_dot4_i32_iu8 v127, v221, v196, 0 neg_lo:[1,1,0]
	v_perm_b32 v206, v95, v95, 0x2010003
	s_delay_alu instid0(VALU_DEP_3) | instskip(SKIP_1) | instid1(VALU_DEP_1)
	v_or_b32_e32 v130, v128, v130
	v_perm_b32 v128, v215, v214, 0x7030c0c
	v_or_b32_e32 v211, v128, v129
	v_perm_b32 v128, v217, v216, 0x7030c0c
	v_perm_b32 v129, v131, v131, 0xc0c0003
	s_delay_alu instid0(VALU_DEP_1) | instskip(SKIP_1) | instid1(VALU_DEP_1)
	v_or_b32_e32 v131, v128, v129
	v_perm_b32 v128, v219, v218, 0x7030c0c
	v_dual_lshlrev_b32 v128, 8, v125 :: v_dual_bitop2_b32 v212, v128, v126 bitop3:0x54
	v_dot4_i32_iu8 v127, v222, v197, v127 neg_lo:[1,1,0]
	v_perm_b32 v125, v125, v125, 0xc0c0003
	s_delay_alu instid0(VALU_DEP_3) | instskip(NEXT) | instid1(VALU_DEP_3)
	v_perm_b32 v128, v128, v220, 0x7030c0c
	v_dot4_i32_iu8 v127, v130, v198, v127 neg_lo:[1,1,0]
	s_delay_alu instid0(VALU_DEP_2) | instskip(NEXT) | instid1(VALU_DEP_2)
	v_or_b32_e32 v207, v128, v125
	v_dot4_i32_iu8 v127, v211, v199, v127 neg_lo:[1,1,0]
	s_delay_alu instid0(VALU_DEP_1) | instskip(NEXT) | instid1(VALU_DEP_1)
	v_dot4_i32_iu8 v127, v131, v200, v127 neg_lo:[1,1,0]
	v_dot4_i32_iu8 v126, v212, v201, v127 neg_lo:[1,1,0]
	v_lshlrev_b32_e32 v127, 8, v121
	v_perm_b32 v121, v121, v121, 0xc0c0003
	s_delay_alu instid0(VALU_DEP_3) | instskip(NEXT) | instid1(VALU_DEP_3)
	v_dot4_i32_iu8 v125, v207, v206, v126 neg_lo:[1,1,0]
	v_perm_b32 v126, v127, v213, 0x7030c0c
	s_delay_alu instid0(VALU_DEP_2) | instskip(NEXT) | instid1(VALU_DEP_2)
	v_dot4_i32_iu8 v125, v86, v124, v125 neg_lo:[1,1,0]
	v_or_b32_e32 v208, v126, v121
	v_pk_mul_f32 v[126:127], v[82:83], v[122:123] op_sel_hi:[0,1]
	s_delay_alu instid0(VALU_DEP_3) | instskip(NEXT) | instid1(VALU_DEP_3)
	v_cvt_f32_i32_e32 v129, v125
	v_dot4_i32_iu8 v121, v208, v206, v132 neg_lo:[1,1,0]
	s_delay_alu instid0(VALU_DEP_1) | instskip(NEXT) | instid1(VALU_DEP_1)
	v_dot4_i32_iu8 v121, v86, v120, v121 neg_lo:[1,1,0]
	v_cvt_f32_i32_e32 v128, v121
	v_dot4_i32_iu8 v121, v221, v182, 0 neg_lo:[1,1,0]
	s_delay_alu instid0(VALU_DEP_2) | instskip(NEXT) | instid1(VALU_DEP_2)
	v_pk_fma_f32 v[30:31], v[126:127], v[128:129], v[30:31]
	v_dot4_i32_iu8 v121, v222, v183, v121 neg_lo:[1,1,0]
	s_delay_alu instid0(VALU_DEP_1) | instskip(NEXT) | instid1(VALU_DEP_1)
	v_dot4_i32_iu8 v121, v130, v184, v121 neg_lo:[1,1,0]
	v_dot4_i32_iu8 v121, v211, v185, v121 neg_lo:[1,1,0]
	s_delay_alu instid0(VALU_DEP_1) | instskip(NEXT) | instid1(VALU_DEP_1)
	v_dot4_i32_iu8 v121, v131, v186, v121 neg_lo:[1,1,0]
	v_dot4_i32_iu8 v209, v212, v187, v121 neg_lo:[1,1,0]
	;; [unrolled: 1-line block ×3, first 2 shown]
	s_delay_alu instid0(VALU_DEP_1) | instskip(NEXT) | instid1(VALU_DEP_1)
	v_dot4_i32_iu8 v121, v222, v144, v121 neg_lo:[1,1,0]
	v_dot4_i32_iu8 v121, v130, v145, v121 neg_lo:[1,1,0]
	s_delay_alu instid0(VALU_DEP_1) | instskip(NEXT) | instid1(VALU_DEP_1)
	v_dot4_i32_iu8 v121, v211, v146, v121 neg_lo:[1,1,0]
	v_dot4_i32_iu8 v121, v131, v147, v121 neg_lo:[1,1,0]
	s_delay_alu instid0(VALU_DEP_1) | instskip(SKIP_1) | instid1(VALU_DEP_1)
	v_dot4_i32_iu8 v125, v212, v181, v121 neg_lo:[1,1,0]
	v_perm_b32 v121, v105, v105, 0x2010003
	v_dot4_i32_iu8 v125, v207, v121, v125 neg_lo:[1,1,0]
	v_dot4_i32_iu8 v126, v208, v121, v133 neg_lo:[1,1,0]
	s_delay_alu instid0(VALU_DEP_2) | instskip(NEXT) | instid1(VALU_DEP_2)
	v_dot4_i32_iu8 v125, v98, v124, v125 neg_lo:[1,1,0]
	v_dot4_i32_iu8 v128, v98, v120, v126 neg_lo:[1,1,0]
	v_pk_mul_f32 v[126:127], v[96:97], v[122:123] op_sel_hi:[0,1]
	s_delay_alu instid0(VALU_DEP_3) | instskip(SKIP_1) | instid1(VALU_DEP_4)
	v_cvt_f32_i32_e32 v129, v125
	v_dot4_i32_iu8 v125, v221, v99, 0 neg_lo:[1,1,0]
	v_cvt_f32_i32_e32 v128, v128
	s_delay_alu instid0(VALU_DEP_2) | instskip(NEXT) | instid1(VALU_DEP_2)
	v_dot4_i32_iu8 v125, v222, v189, v125 neg_lo:[1,1,0]
	v_pk_fma_f32 v[26:27], v[126:127], v[128:129], v[26:27]
	s_delay_alu instid0(VALU_DEP_2) | instskip(NEXT) | instid1(VALU_DEP_1)
	v_dot4_i32_iu8 v125, v130, v190, v125 neg_lo:[1,1,0]
	v_dot4_i32_iu8 v125, v211, v191, v125 neg_lo:[1,1,0]
	s_delay_alu instid0(VALU_DEP_1) | instskip(NEXT) | instid1(VALU_DEP_1)
	v_dot4_i32_iu8 v125, v131, v192, v125 neg_lo:[1,1,0]
	v_dot4_i32_iu8 v126, v212, v193, v125 neg_lo:[1,1,0]
	v_perm_b32 v125, v109, v109, 0x2010003
	s_delay_alu instid0(VALU_DEP_1) | instskip(SKIP_1) | instid1(VALU_DEP_2)
	v_dot4_i32_iu8 v126, v207, v125, v126 neg_lo:[1,1,0]
	v_dot4_i32_iu8 v127, v208, v125, v210 neg_lo:[1,1,0]
	;; [unrolled: 1-line block ×3, first 2 shown]
	s_delay_alu instid0(VALU_DEP_2) | instskip(SKIP_1) | instid1(VALU_DEP_3)
	v_dot4_i32_iu8 v128, v102, v120, v127 neg_lo:[1,1,0]
	v_pk_mul_f32 v[126:127], v[100:101], v[122:123] op_sel_hi:[0,1]
	v_cvt_f32_i32_e32 v129, v129
	s_delay_alu instid0(VALU_DEP_3) | instskip(NEXT) | instid1(VALU_DEP_1)
	v_cvt_f32_i32_e32 v128, v128
	v_pk_fma_f32 v[22:23], v[126:127], v[128:129], v[22:23]
	v_add_nc_u32_e32 v126, 0x100c, v101
	ds_load_2addr_b32 v[130:131], v126 offset1:1
	v_add_nc_u32_e32 v126, 0x1004, v101
	ds_load_2addr_b32 v[132:133], v126 offset1:1
	;; [unrolled: 2-line block ×4, first 2 shown]
	ds_load_2addr_b32 v[128:129], v135 offset0:128 offset1:160
	s_wait_dscnt 0x4
	v_dual_lshlrev_b32 v212, 16, v131 :: v_dual_lshlrev_b32 v213, 8, v131
	v_perm_b32 v131, v131, v131, 0xc0c0003
	v_dual_lshlrev_b32 v222, 16, v130 :: v_dual_lshlrev_b32 v223, 8, v130
	v_perm_b32 v130, v130, v130, 0xc0c0003
	s_wait_dscnt 0x3
	v_dual_lshlrev_b32 v214, 16, v132 :: v_dual_lshlrev_b32 v215, 8, v132
	v_perm_b32 v212, v213, v212, 0x7030c0c
	v_perm_b32 v132, v132, v132, 0xc0c0003
	v_dual_lshlrev_b32 v218, 16, v133 :: v_dual_lshlrev_b32 v219, 8, v133
	s_wait_dscnt 0x2
	v_dual_lshlrev_b32 v216, 16, v210 :: v_dual_lshlrev_b32 v217, 8, v210
	v_or_b32_e32 v131, v212, v131
	v_perm_b32 v213, v215, v214, 0x7030c0c
	v_perm_b32 v210, v210, v210, 0xc0c0003
	s_wait_dscnt 0x1
	v_lshlrev_b32_e32 v224, 16, v127
	v_dual_lshlrev_b32 v220, 16, v211 :: v_dual_lshlrev_b32 v221, 8, v211
	v_dot4_i32_iu8 v212, v131, v196, 0 neg_lo:[1,1,0]
	v_or_b32_e32 v132, v213, v132
	v_perm_b32 v213, v217, v216, 0x7030c0c
	v_perm_b32 v133, v133, v133, 0xc0c0003
	v_perm_b32 v211, v211, v211, 0xc0c0003
	s_delay_alu instid0(VALU_DEP_4) | instskip(NEXT) | instid1(VALU_DEP_4)
	v_dot4_i32_iu8 v212, v132, v197, v212 neg_lo:[1,1,0]
	v_or_b32_e32 v210, v213, v210
	v_perm_b32 v213, v219, v218, 0x7030c0c
	s_delay_alu instid0(VALU_DEP_2) | instskip(NEXT) | instid1(VALU_DEP_2)
	v_dot4_i32_iu8 v212, v210, v198, v212 neg_lo:[1,1,0]
	v_or_b32_e32 v133, v213, v133
	v_perm_b32 v213, v221, v220, 0x7030c0c
	s_delay_alu instid0(VALU_DEP_2) | instskip(NEXT) | instid1(VALU_DEP_2)
	;; [unrolled: 4-line block ×3, first 2 shown]
	v_dot4_i32_iu8 v212, v211, v200, v212 neg_lo:[1,1,0]
	v_or_b32_e32 v130, v213, v130
	s_delay_alu instid0(VALU_DEP_1) | instskip(SKIP_1) | instid1(VALU_DEP_1)
	v_dot4_i32_iu8 v214, v130, v201, v212 neg_lo:[1,1,0]
	v_dot4_i32_iu8 v212, v131, v182, 0 neg_lo:[1,1,0]
	;; [unrolled: 1-line block ×3, first 2 shown]
	s_delay_alu instid0(VALU_DEP_1) | instskip(NEXT) | instid1(VALU_DEP_1)
	v_dot4_i32_iu8 v212, v210, v184, v212 neg_lo:[1,1,0]
	v_dot4_i32_iu8 v212, v133, v185, v212 neg_lo:[1,1,0]
	s_delay_alu instid0(VALU_DEP_1) | instskip(NEXT) | instid1(VALU_DEP_1)
	v_dot4_i32_iu8 v212, v211, v186, v212 neg_lo:[1,1,0]
	v_dot4_i32_iu8 v218, v130, v187, v212 neg_lo:[1,1,0]
	;; [unrolled: 1-line block ×4, first 2 shown]
	s_delay_alu instid0(VALU_DEP_2) | instskip(NEXT) | instid1(VALU_DEP_2)
	v_dot4_i32_iu8 v212, v132, v144, v212 neg_lo:[1,1,0]
	v_dot4_i32_iu8 v131, v132, v189, v131 neg_lo:[1,1,0]
	s_delay_alu instid0(VALU_DEP_2) | instskip(NEXT) | instid1(VALU_DEP_2)
	v_dot4_i32_iu8 v212, v210, v145, v212 neg_lo:[1,1,0]
	v_dot4_i32_iu8 v131, v210, v190, v131 neg_lo:[1,1,0]
	;; [unrolled: 3-line block ×5, first 2 shown]
	v_add_nc_u32_e32 v130, 0x140c, v101
	ds_load_2addr_b32 v[132:133], v130 offset1:1
	v_add_nc_u32_e32 v130, 0x1404, v101
	ds_load_2addr_b32 v[210:211], v130 offset1:1
	;; [unrolled: 2-line block ×4, first 2 shown]
	s_wait_dscnt 0x3
	v_dual_lshlrev_b32 v217, 16, v133 :: v_dual_lshlrev_b32 v219, 8, v133
	v_perm_b32 v133, v133, v133, 0xc0c0003
	v_dual_lshlrev_b32 v229, 16, v132 :: v_dual_lshlrev_b32 v230, 8, v132
	v_perm_b32 v132, v132, v132, 0xc0c0003
	s_wait_dscnt 0x2
	v_dual_lshlrev_b32 v220, 16, v210 :: v_dual_lshlrev_b32 v221, 8, v210
	v_perm_b32 v217, v219, v217, 0x7030c0c
	v_perm_b32 v210, v210, v210, 0xc0c0003
	v_dual_lshlrev_b32 v225, 16, v211 :: v_dual_lshlrev_b32 v226, 8, v211
	s_wait_dscnt 0x1
	v_dual_lshlrev_b32 v227, 16, v213 :: v_dual_lshlrev_b32 v222, 16, v212
	v_lshlrev_b32_e32 v223, 8, v212
	v_perm_b32 v219, v221, v220, 0x7030c0c
	v_perm_b32 v212, v212, v212, 0xc0c0003
	v_lshlrev_b32_e32 v228, 8, v213
	v_perm_b32 v211, v211, v211, 0xc0c0003
	v_or_b32_e32 v217, v217, v133
	v_or_b32_e32 v219, v219, v210
	v_perm_b32 v210, v223, v222, 0x7030c0c
	s_wait_dscnt 0x0
	v_lshlrev_b32_e32 v231, 16, v131
	v_dot4_i32_iu8 v133, v217, v196, 0 neg_lo:[1,1,0]
	s_delay_alu instid0(VALU_DEP_3) | instskip(SKIP_1) | instid1(VALU_DEP_1)
	v_or_b32_e32 v212, v210, v212
	v_perm_b32 v210, v226, v225, 0x7030c0c
	v_or_b32_e32 v220, v210, v211
	v_perm_b32 v210, v228, v227, 0x7030c0c
	v_perm_b32 v211, v213, v213, 0xc0c0003
	s_delay_alu instid0(VALU_DEP_1) | instskip(SKIP_1) | instid1(VALU_DEP_1)
	v_or_b32_e32 v213, v210, v211
	v_perm_b32 v210, v230, v229, 0x7030c0c
	v_dual_lshlrev_b32 v210, 8, v131 :: v_dual_bitop2_b32 v221, v210, v132 bitop3:0x54
	v_dot4_i32_iu8 v133, v219, v197, v133 neg_lo:[1,1,0]
	v_perm_b32 v131, v131, v131, 0xc0c0003
	s_delay_alu instid0(VALU_DEP_3) | instskip(NEXT) | instid1(VALU_DEP_3)
	v_perm_b32 v210, v210, v231, 0x7030c0c
	v_dot4_i32_iu8 v133, v212, v198, v133 neg_lo:[1,1,0]
	s_delay_alu instid0(VALU_DEP_2) | instskip(NEXT) | instid1(VALU_DEP_2)
	v_or_b32_e32 v131, v210, v131
	v_dot4_i32_iu8 v133, v220, v199, v133 neg_lo:[1,1,0]
	s_delay_alu instid0(VALU_DEP_1) | instskip(NEXT) | instid1(VALU_DEP_1)
	v_dot4_i32_iu8 v133, v213, v200, v133 neg_lo:[1,1,0]
	v_dot4_i32_iu8 v132, v221, v201, v133 neg_lo:[1,1,0]
	v_lshlrev_b32_e32 v133, 8, v127
	v_perm_b32 v127, v127, v127, 0xc0c0003
	s_delay_alu instid0(VALU_DEP_3) | instskip(NEXT) | instid1(VALU_DEP_3)
	v_dot4_i32_iu8 v132, v131, v206, v132 neg_lo:[1,1,0]
	v_perm_b32 v133, v133, v224, 0x7030c0c
	s_delay_alu instid0(VALU_DEP_2) | instskip(NEXT) | instid1(VALU_DEP_2)
	v_dot4_i32_iu8 v211, v86, v130, v132 neg_lo:[1,1,0]
	v_or_b32_e32 v127, v133, v127
	s_delay_alu instid0(VALU_DEP_2) | instskip(NEXT) | instid1(VALU_DEP_2)
	v_cvt_f32_i32_e32 v211, v211
	v_dot4_i32_iu8 v133, v127, v206, v214 neg_lo:[1,1,0]
	s_delay_alu instid0(VALU_DEP_1) | instskip(SKIP_1) | instid1(VALU_DEP_2)
	v_dot4_i32_iu8 v210, v86, v126, v133 neg_lo:[1,1,0]
	v_pk_mul_f32 v[132:133], v[82:83], v[128:129] op_sel_hi:[0,1]
	v_cvt_f32_i32_e32 v210, v210
	s_delay_alu instid0(VALU_DEP_1) | instskip(SKIP_2) | instid1(VALU_DEP_2)
	v_pk_fma_f32 v[18:19], v[132:133], v[210:211], v[18:19]
	v_dot4_i32_iu8 v132, v217, v182, 0 neg_lo:[1,1,0]
	v_dot4_i32_iu8 v133, v127, v121, v215 neg_lo:[1,1,0]
	;; [unrolled: 1-line block ×3, first 2 shown]
	s_delay_alu instid0(VALU_DEP_2) | instskip(NEXT) | instid1(VALU_DEP_2)
	v_dot4_i32_iu8 v210, v98, v126, v133 neg_lo:[1,1,0]
	v_dot4_i32_iu8 v132, v212, v184, v132 neg_lo:[1,1,0]
	s_delay_alu instid0(VALU_DEP_2) | instskip(NEXT) | instid1(VALU_DEP_2)
	v_cvt_f32_i32_e32 v210, v210
	v_dot4_i32_iu8 v132, v220, v185, v132 neg_lo:[1,1,0]
	s_delay_alu instid0(VALU_DEP_1) | instskip(NEXT) | instid1(VALU_DEP_1)
	v_dot4_i32_iu8 v132, v213, v186, v132 neg_lo:[1,1,0]
	v_dot4_i32_iu8 v222, v221, v187, v132 neg_lo:[1,1,0]
	;; [unrolled: 1-line block ×3, first 2 shown]
	s_delay_alu instid0(VALU_DEP_1) | instskip(NEXT) | instid1(VALU_DEP_1)
	v_dot4_i32_iu8 v132, v219, v144, v132 neg_lo:[1,1,0]
	v_dot4_i32_iu8 v132, v212, v145, v132 neg_lo:[1,1,0]
	s_delay_alu instid0(VALU_DEP_1) | instskip(NEXT) | instid1(VALU_DEP_1)
	v_dot4_i32_iu8 v132, v220, v146, v132 neg_lo:[1,1,0]
	v_dot4_i32_iu8 v132, v213, v147, v132 neg_lo:[1,1,0]
	;; [unrolled: 3-line block ×3, first 2 shown]
	s_delay_alu instid0(VALU_DEP_1) | instskip(SKIP_1) | instid1(VALU_DEP_2)
	v_dot4_i32_iu8 v211, v98, v130, v132 neg_lo:[1,1,0]
	v_pk_mul_f32 v[132:133], v[96:97], v[128:129] op_sel_hi:[0,1]
	v_cvt_f32_i32_e32 v211, v211
	s_delay_alu instid0(VALU_DEP_1) | instskip(SKIP_2) | instid1(VALU_DEP_2)
	v_pk_fma_f32 v[14:15], v[132:133], v[210:211], v[14:15]
	v_dot4_i32_iu8 v132, v217, v99, 0 neg_lo:[1,1,0]
	v_dot4_i32_iu8 v133, v127, v125, v216 neg_lo:[1,1,0]
	;; [unrolled: 1-line block ×3, first 2 shown]
	s_delay_alu instid0(VALU_DEP_2) | instskip(NEXT) | instid1(VALU_DEP_2)
	v_dot4_i32_iu8 v210, v102, v126, v133 neg_lo:[1,1,0]
	v_dot4_i32_iu8 v132, v212, v190, v132 neg_lo:[1,1,0]
	s_delay_alu instid0(VALU_DEP_2) | instskip(NEXT) | instid1(VALU_DEP_2)
	v_cvt_f32_i32_e32 v210, v210
	v_dot4_i32_iu8 v132, v220, v191, v132 neg_lo:[1,1,0]
	s_delay_alu instid0(VALU_DEP_1) | instskip(NEXT) | instid1(VALU_DEP_1)
	v_dot4_i32_iu8 v132, v213, v192, v132 neg_lo:[1,1,0]
	v_dot4_i32_iu8 v132, v221, v193, v132 neg_lo:[1,1,0]
	s_delay_alu instid0(VALU_DEP_1) | instskip(NEXT) | instid1(VALU_DEP_1)
	v_dot4_i32_iu8 v132, v131, v125, v132 neg_lo:[1,1,0]
	v_dot4_i32_iu8 v211, v102, v130, v132 neg_lo:[1,1,0]
	v_pk_mul_f32 v[132:133], v[100:101], v[128:129] op_sel_hi:[0,1]
	s_delay_alu instid0(VALU_DEP_2) | instskip(NEXT) | instid1(VALU_DEP_1)
	v_cvt_f32_i32_e32 v211, v211
	v_pk_fma_f32 v[12:13], v[132:133], v[210:211], v[12:13]
	v_add_nc_u32_e32 v132, 0x180c, v101
	ds_load_2addr_b32 v[210:211], v132 offset1:1
	v_add_nc_u32_e32 v132, 0x1804, v101
	ds_load_2addr_b32 v[212:213], v132 offset1:1
	;; [unrolled: 2-line block ×4, first 2 shown]
	ds_load_2addr_b32 v[216:217], v135 offset0:192 offset1:224
	v_add_nc_u32_e32 v135, 4, v135
	s_wait_dscnt 0x4
	v_dual_lshlrev_b32 v219, 16, v211 :: v_dual_lshlrev_b32 v220, 8, v211
	v_ashrrev_i32_e32 v221, 24, v211
	v_perm_b32 v235, v211, v211, 0xc0c0003
	v_lshlrev_b32_e32 v231, 16, v210
	s_delay_alu instid0(VALU_DEP_4)
	v_perm_b32 v211, v219, v211, 0xc0c0700
	s_wait_dscnt 0x3
	v_lshlrev_b32_e32 v223, 16, v212
	v_perm_b32 v234, v220, v219, 0x7030c0c
	v_mul_i32_i24_e32 v205, v221, v205
	v_perm_b32 v219, v85, v85, 0xc0c0100
	v_lshlrev_b32_e32 v224, 8, v212
	v_perm_b32 v237, v212, v212, 0xc0c0003
	v_perm_b32 v85, v118, v85, 0x5040702
	s_wait_dscnt 0x2
	v_lshlrev_b32_e32 v225, 16, v214
	v_dot4_i32_iu8 v205, v211, v219, v205 neg_lo:[1,1,0]
	v_perm_b32 v211, v223, v212, 0x700030c
	v_perm_b32 v212, v220, v220, 0xc0c0c03
	;; [unrolled: 1-line block ×3, first 2 shown]
	v_dual_lshlrev_b32 v226, 8, v214 :: v_dual_lshlrev_b32 v227, 16, v213
	v_dual_lshlrev_b32 v228, 8, v213 :: v_dual_lshlrev_b32 v229, 16, v215
	s_delay_alu instid0(VALU_DEP_4) | instskip(SKIP_3) | instid1(VALU_DEP_4)
	v_dual_lshlrev_b32 v230, 8, v215 :: v_dual_bitop2_b32 v211, v211, v212 bitop3:0x54
	v_or_b32_e32 v234, v234, v235
	v_perm_b32 v236, v224, v223, 0x7030c0c
	v_perm_b32 v238, v214, v214, 0xc0c0003
	v_dot4_i32_iu8 v85, v211, v85, v205 neg_lo:[1,1,0]
	v_perm_b32 v205, v119, v119, 0x504030c
	v_perm_b32 v211, v224, v224, 0xc0c0c03
	v_or_b32_e32 v236, v236, v237
	v_perm_b32 v237, v226, v225, 0x7030c0c
	v_perm_b32 v239, v213, v213, 0xc0c0003
	v_or_b32_e32 v118, v205, v118
	v_perm_b32 v205, v225, v214, 0x700030c
	s_wait_dscnt 0x1
	v_dual_lshlrev_b32 v232, 8, v210 :: v_dual_lshlrev_b32 v233, 16, v133
	v_or_b32_e32 v237, v237, v238
	v_perm_b32 v238, v228, v227, 0x7030c0c
	v_or_b32_e32 v205, v205, v211
	v_perm_b32 v240, v215, v215, 0xc0c0003
	v_perm_b32 v241, v210, v210, 0xc0c0003
	v_add_nc_u32_e32 v212, 0x1c00, v101
	v_or_b32_e32 v238, v238, v239
	v_dot4_i32_iu8 v85, v205, v118, v85 neg_lo:[1,1,0]
	v_perm_b32 v118, v114, v119, 0x5040702
	v_perm_b32 v119, v227, v213, 0x700030c
	;; [unrolled: 1-line block ×5, first 2 shown]
	s_delay_alu instid0(VALU_DEP_3) | instskip(NEXT) | instid1(VALU_DEP_2)
	v_or_b32_e32 v119, v119, v205
	v_or_b32_e32 v239, v239, v240
	v_perm_b32 v240, v232, v231, 0x7030c0c
	s_delay_alu instid0(VALU_DEP_3) | instskip(SKIP_2) | instid1(VALU_DEP_4)
	v_dot4_i32_iu8 v85, v119, v118, v85 neg_lo:[1,1,0]
	v_perm_b32 v118, v229, v215, 0x700030c
	v_perm_b32 v119, v228, v228, 0xc0c0c03
	v_or_b32_e32 v240, v240, v241
	s_delay_alu instid0(VALU_DEP_2) | instskip(NEXT) | instid1(VALU_DEP_1)
	v_or_b32_e32 v118, v118, v119
	v_dot4_i32_iu8 v85, v118, v114, v85 neg_lo:[1,1,0]
	v_perm_b32 v114, v92, v115, 0x5040702
	v_perm_b32 v115, v231, v210, 0x700030c
	;; [unrolled: 1-line block ×3, first 2 shown]
	v_add_nc_u32_e32 v210, 0x1c14, v101
	s_delay_alu instid0(VALU_DEP_2) | instskip(SKIP_1) | instid1(VALU_DEP_2)
	v_or_b32_e32 v115, v115, v118
	v_add_nc_u32_e32 v118, 0x1c04, v101
	v_dot4_i32_iu8 v85, v115, v114, v85 neg_lo:[1,1,0]
	v_dot4_i32_iu8 v114, v234, v87, 0 neg_lo:[1,1,0]
	s_delay_alu instid0(VALU_DEP_1) | instskip(NEXT) | instid1(VALU_DEP_1)
	v_dot4_i32_iu8 v114, v236, v144, v114 neg_lo:[1,1,0]
	v_dot4_i32_iu8 v114, v237, v145, v114 neg_lo:[1,1,0]
	s_delay_alu instid0(VALU_DEP_1) | instskip(NEXT) | instid1(VALU_DEP_1)
	v_dot4_i32_iu8 v114, v238, v146, v114 neg_lo:[1,1,0]
	v_dot4_i32_iu8 v114, v239, v147, v114 neg_lo:[1,1,0]
	s_delay_alu instid0(VALU_DEP_1) | instskip(SKIP_1) | instid1(VALU_DEP_1)
	v_dot4_i32_iu8 v205, v240, v181, v114 neg_lo:[1,1,0]
	v_dot4_i32_iu8 v114, v234, v99, 0 neg_lo:[1,1,0]
	;; [unrolled: 1-line block ×3, first 2 shown]
	s_delay_alu instid0(VALU_DEP_1) | instskip(NEXT) | instid1(VALU_DEP_1)
	v_dot4_i32_iu8 v114, v237, v190, v114 neg_lo:[1,1,0]
	v_dot4_i32_iu8 v114, v238, v191, v114 neg_lo:[1,1,0]
	s_delay_alu instid0(VALU_DEP_1) | instskip(NEXT) | instid1(VALU_DEP_1)
	v_dot4_i32_iu8 v114, v239, v192, v114 neg_lo:[1,1,0]
	v_dot4_i32_iu8 v214, v240, v193, v114 neg_lo:[1,1,0]
	v_add_nc_u32_e32 v114, 0x1c0c, v101
	ds_load_2addr_b32 v[114:115], v114 offset1:1
	ds_load_2addr_b32 v[118:119], v118 offset1:1
	ds_load_2addr_b32 v[210:211], v210 offset1:1
	ds_load_2addr_b32 v[212:213], v212 offset1:7
	s_wait_dscnt 0x3
	v_dual_lshlrev_b32 v215, 16, v115 :: v_dual_lshlrev_b32 v219, 8, v115
	v_perm_b32 v115, v115, v115, 0xc0c0003
	s_wait_dscnt 0x2
	v_dual_lshlrev_b32 v220, 16, v118 :: v_dual_lshlrev_b32 v221, 8, v118
	v_dot4_i32_iu8 v235, v234, v196, 0 neg_lo:[1,1,0]
	v_perm_b32 v215, v219, v215, 0x7030c0c
	v_perm_b32 v118, v118, v118, 0xc0c0003
	s_wait_dscnt 0x1
	v_dual_lshlrev_b32 v223, 16, v210 :: v_dual_lshlrev_b32 v224, 8, v210
	v_dot4_i32_iu8 v235, v236, v197, v235 neg_lo:[1,1,0]
	v_or_b32_e32 v215, v215, v115
	v_dual_lshlrev_b32 v225, 16, v119 :: v_dual_lshlrev_b32 v226, 8, v119
	v_dual_lshlrev_b32 v227, 16, v211 :: v_dual_lshlrev_b32 v228, 8, v211
	s_delay_alu instid0(VALU_DEP_3)
	v_dot4_i32_iu8 v115, v215, v196, 0 neg_lo:[1,1,0]
	v_perm_b32 v196, v221, v220, 0x7030c0c
	v_perm_b32 v119, v119, v119, 0xc0c0003
	v_dot4_i32_iu8 v235, v237, v198, v235 neg_lo:[1,1,0]
	v_dual_lshlrev_b32 v229, 16, v114 :: v_dual_lshlrev_b32 v230, 8, v114
	s_wait_dscnt 0x0
	v_dual_lshlrev_b32 v234, 8, v213 :: v_dual_bitop2_b32 v196, v196, v118 bitop3:0x54
	v_perm_b32 v118, v224, v223, 0x7030c0c
	v_dot4_i32_iu8 v235, v238, v199, v235 neg_lo:[1,1,0]
	v_perm_b32 v114, v114, v114, 0xc0c0003
	v_lshlrev_b32_e32 v231, 16, v213
	v_dot4_i32_iu8 v115, v196, v197, v115 neg_lo:[1,1,0]
	v_perm_b32 v197, v210, v210, 0xc0c0003
	v_dot4_i32_iu8 v235, v239, v200, v235 neg_lo:[1,1,0]
	s_delay_alu instid0(VALU_DEP_2) | instskip(SKIP_1) | instid1(VALU_DEP_3)
	v_or_b32_e32 v197, v118, v197
	v_perm_b32 v118, v226, v225, 0x7030c0c
	v_dot4_i32_iu8 v235, v240, v201, v235 neg_lo:[1,1,0]
	s_delay_alu instid0(VALU_DEP_3) | instskip(NEXT) | instid1(VALU_DEP_3)
	v_dot4_i32_iu8 v115, v197, v198, v115 neg_lo:[1,1,0]
	v_or_b32_e32 v119, v118, v119
	v_perm_b32 v118, v228, v227, 0x7030c0c
	v_perm_b32 v198, v211, v211, 0xc0c0003
	s_delay_alu instid0(VALU_DEP_3) | instskip(NEXT) | instid1(VALU_DEP_2)
	v_dot4_i32_iu8 v115, v119, v199, v115 neg_lo:[1,1,0]
	v_or_b32_e32 v198, v118, v198
	v_perm_b32 v118, v230, v229, 0x7030c0c
	s_delay_alu instid0(VALU_DEP_2) | instskip(NEXT) | instid1(VALU_DEP_2)
	v_dot4_i32_iu8 v115, v198, v200, v115 neg_lo:[1,1,0]
	v_or_b32_e32 v199, v118, v114
	v_perm_b32 v118, v213, v213, 0xc0c0003
	s_delay_alu instid0(VALU_DEP_2) | instskip(SKIP_2) | instid1(VALU_DEP_2)
	v_dot4_i32_iu8 v114, v199, v201, v115 neg_lo:[1,1,0]
	v_perm_b32 v201, v93, v93, 0x2010003
	v_perm_b32 v115, v234, v231, 0x7030c0c
	v_dot4_i32_iu8 v80, v207, v201, v209 neg_lo:[1,1,0]
	v_dot4_i32_iu8 v103, v208, v201, v103 neg_lo:[1,1,0]
	s_delay_alu instid0(VALU_DEP_3)
	v_or_b32_e32 v200, v115, v118
	v_dot4_i32_iu8 v115, v91, v93, v88 neg_lo:[1,1,0]
	v_mov_b32_e32 v88, v217
	v_dot4_i32_iu8 v80, v84, v124, v80 neg_lo:[1,1,0]
	v_dot4_i32_iu8 v103, v84, v120, v103 neg_lo:[1,1,0]
	v_mov_b32_e32 v118, v83
	v_dot4_i32_iu8 v114, v200, v206, v114 neg_lo:[1,1,0]
	v_pk_mul_f32 v[88:89], v[88:89], v[82:83]
	v_cvt_f32_i32_e32 v141, v80
	v_dot4_i32_iu8 v80, v131, v201, v222 neg_lo:[1,1,0]
	v_cvt_f32_i32_e32 v140, v103
	v_dot4_i32_iu8 v103, v127, v201, v218 neg_lo:[1,1,0]
	v_dot4_i32_iu8 v114, v86, v212, v114 neg_lo:[1,1,0]
	v_pk_mul_f32 v[122:123], v[118:119], v[122:123] op_sel_hi:[0,1]
	v_dot4_i32_iu8 v80, v84, v130, v80 neg_lo:[1,1,0]
	v_cvt_f32_i32_e32 v115, v115
	v_dot4_i32_iu8 v103, v84, v126, v103 neg_lo:[1,1,0]
	v_cvt_f32_i32_e32 v114, v114
	v_pk_fma_f32 v[28:29], v[122:123], v[140:141], v[28:29]
	v_cvt_f32_i32_e32 v127, v80
	v_lshlrev_b32_e32 v80, 8, v107
	v_perm_b32 v107, v107, v107, 0xc0c0003
	v_cvt_f32_i32_e32 v126, v103
	v_lshlrev_b32_e32 v103, 8, v133
	v_pk_mul_f32 v[122:123], v[118:119], v[128:129] op_sel_hi:[0,1]
	v_perm_b32 v80, v80, v143, 0x7030c0c
	v_pk_fma_f32 v[8:9], v[88:89], v[114:115], v[8:9]
	s_delay_alu instid0(VALU_DEP_3) | instskip(NEXT) | instid1(VALU_DEP_3)
	v_pk_fma_f32 v[16:17], v[122:123], v[126:127], v[16:17]
	v_or_b32_e32 v107, v80, v107
	s_delay_alu instid0(VALU_DEP_1) | instskip(NEXT) | instid1(VALU_DEP_1)
	v_dot4_i32_iu8 v80, v107, v206, v188 neg_lo:[1,1,0]
	v_dot4_i32_iu8 v80, v106, v86, v80 neg_lo:[1,1,0]
	s_delay_alu instid0(VALU_DEP_1) | instskip(SKIP_1) | instid1(VALU_DEP_2)
	v_cvt_f32_i32_e32 v95, v80
	v_dot4_i32_iu8 v80, v107, v121, v202 neg_lo:[1,1,0]
	v_pk_fma_f32 v[36:37], v[110:111], v[94:95], v[36:37]
	v_perm_b32 v94, v104, v104, 0xc0c0302
	s_delay_alu instid0(VALU_DEP_3) | instskip(NEXT) | instid1(VALU_DEP_2)
	v_dot4_i32_iu8 v80, v106, v98, v80 neg_lo:[1,1,0]
	v_dot4_i32_iu8 v94, v142, v94, v203 neg_lo:[1,1,0]
	s_delay_alu instid0(VALU_DEP_2) | instskip(SKIP_1) | instid1(VALU_DEP_3)
	v_cvt_f32_i32_e32 v95, v80
	v_dot4_i32_iu8 v80, v107, v125, v204 neg_lo:[1,1,0]
	v_dot4_i32_iu8 v94, v91, v105, v94 neg_lo:[1,1,0]
	s_delay_alu instid0(VALU_DEP_2) | instskip(NEXT) | instid1(VALU_DEP_2)
	v_dot4_i32_iu8 v80, v106, v102, v80 neg_lo:[1,1,0]
	v_cvt_f32_i32_e32 v94, v94
	s_delay_alu instid0(VALU_DEP_1) | instskip(SKIP_1) | instid1(VALU_DEP_1)
	v_pk_fma_f32 v[34:35], v[112:113], v[94:95], v[34:35]
	v_perm_b32 v94, v108, v108, 0xc0c0302
	v_dot4_i32_iu8 v90, v142, v94, v90 neg_lo:[1,1,0]
	s_delay_alu instid0(VALU_DEP_1) | instskip(SKIP_2) | instid1(VALU_DEP_3)
	v_dot4_i32_iu8 v90, v91, v109, v90 neg_lo:[1,1,0]
	v_cvt_f32_i32_e32 v91, v80
	v_mov_b32_e32 v80, v216
	v_cvt_f32_i32_e32 v90, v90
	s_delay_alu instid0(VALU_DEP_2) | instskip(SKIP_2) | instid1(VALU_DEP_4)
	v_pk_mul_f32 v[80:81], v[82:83], v[80:81]
	v_perm_b32 v83, v103, v233, 0x7030c0c
	v_dot4_i32_iu8 v82, v107, v201, v194 neg_lo:[1,1,0]
	v_pk_fma_f32 v[32:33], v[116:117], v[90:91], v[32:33]
	v_perm_b32 v90, v133, v133, 0xc0c0003
	s_delay_alu instid0(VALU_DEP_3) | instskip(NEXT) | instid1(VALU_DEP_2)
	v_dot4_i32_iu8 v82, v84, v106, v82 neg_lo:[1,1,0]
	v_or_b32_e32 v90, v83, v90
	s_delay_alu instid0(VALU_DEP_1) | instskip(NEXT) | instid1(VALU_DEP_1)
	v_dot4_i32_iu8 v83, v90, v206, v235 neg_lo:[1,1,0]
	v_dot4_i32_iu8 v86, v86, v132, v83 neg_lo:[1,1,0]
	s_delay_alu instid0(VALU_DEP_4) | instskip(NEXT) | instid1(VALU_DEP_2)
	v_cvt_f32_i32_e32 v83, v82
	v_cvt_f32_i32_e32 v82, v86
	s_delay_alu instid0(VALU_DEP_1) | instskip(SKIP_4) | instid1(VALU_DEP_4)
	v_pk_fma_f32 v[10:11], v[80:81], v[82:83], v[10:11]
	v_dot4_i32_iu8 v80, v215, v182, 0 neg_lo:[1,1,0]
	v_perm_b32 v82, v233, v133, 0x700030c
	v_perm_b32 v83, v232, v232, 0xc0c0c03
	;; [unrolled: 1-line block ×3, first 2 shown]
	v_dot4_i32_iu8 v80, v196, v183, v80 neg_lo:[1,1,0]
	s_delay_alu instid0(VALU_DEP_3) | instskip(SKIP_1) | instid1(VALU_DEP_3)
	v_or_b32_e32 v82, v82, v83
	v_perm_b32 v83, v132, v103, 0xc0c0403
	v_dot4_i32_iu8 v80, v197, v184, v80 neg_lo:[1,1,0]
	s_delay_alu instid0(VALU_DEP_3) | instskip(SKIP_1) | instid1(VALU_DEP_3)
	v_dot4_i32_iu8 v81, v82, v81, v85 neg_lo:[1,1,0]
	v_perm_b32 v82, v84, v93, 0xc0c0402
	v_dot4_i32_iu8 v80, v119, v185, v80 neg_lo:[1,1,0]
	s_delay_alu instid0(VALU_DEP_2) | instskip(SKIP_1) | instid1(VALU_DEP_3)
	v_dot4_i32_iu8 v81, v83, v82, v81 neg_lo:[1,1,0]
	v_perm_b32 v82, v132, v132, 0xc030201
	v_dot4_i32_iu8 v80, v198, v186, v80 neg_lo:[1,1,0]
	v_perm_b32 v83, v84, v84, 0xc030201
	s_delay_alu instid0(VALU_DEP_2) | instskip(NEXT) | instid1(VALU_DEP_2)
	v_dot4_i32_iu8 v80, v199, v187, v80 neg_lo:[1,1,0]
	v_dot4_i32_iu8 v82, v82, v83, v81 neg_lo:[1,1,0]
	s_delay_alu instid0(VALU_DEP_2) | instskip(NEXT) | instid1(VALU_DEP_2)
	v_dot4_i32_iu8 v80, v200, v201, v80 neg_lo:[1,1,0]
	v_cvt_f32_i32_e32 v82, v82
	s_delay_alu instid0(VALU_DEP_2) | instskip(SKIP_1) | instid1(VALU_DEP_2)
	v_dot4_i32_iu8 v83, v212, v84, v80 neg_lo:[1,1,0]
	v_pk_mul_f32 v[80:81], v[118:119], v[216:217] op_sel_hi:[0,1]
	v_cvt_f32_i32_e32 v83, v83
	s_delay_alu instid0(VALU_DEP_1) | instskip(SKIP_2) | instid1(VALU_DEP_2)
	v_pk_fma_f32 v[6:7], v[80:81], v[82:83], v[6:7]
	v_dot4_i32_iu8 v80, v215, v87, 0 neg_lo:[1,1,0]
	v_dot4_i32_iu8 v81, v90, v121, v205 neg_lo:[1,1,0]
	;; [unrolled: 1-line block ×3, first 2 shown]
	s_delay_alu instid0(VALU_DEP_2) | instskip(NEXT) | instid1(VALU_DEP_2)
	v_dot4_i32_iu8 v82, v132, v98, v81 neg_lo:[1,1,0]
	v_dot4_i32_iu8 v80, v197, v145, v80 neg_lo:[1,1,0]
	s_delay_alu instid0(VALU_DEP_2) | instskip(NEXT) | instid1(VALU_DEP_2)
	v_cvt_f32_i32_e32 v82, v82
	v_dot4_i32_iu8 v80, v119, v146, v80 neg_lo:[1,1,0]
	s_delay_alu instid0(VALU_DEP_1) | instskip(NEXT) | instid1(VALU_DEP_1)
	v_dot4_i32_iu8 v80, v198, v147, v80 neg_lo:[1,1,0]
	v_dot4_i32_iu8 v80, v199, v181, v80 neg_lo:[1,1,0]
	s_delay_alu instid0(VALU_DEP_1) | instskip(NEXT) | instid1(VALU_DEP_1)
	v_dot4_i32_iu8 v80, v200, v121, v80 neg_lo:[1,1,0]
	v_dot4_i32_iu8 v83, v212, v98, v80 neg_lo:[1,1,0]
	v_pk_mul_f32 v[80:81], v[96:97], v[216:217] op_sel_hi:[0,1]
	s_delay_alu instid0(VALU_DEP_2) | instskip(NEXT) | instid1(VALU_DEP_1)
	v_cvt_f32_i32_e32 v83, v83
	v_pk_fma_f32 v[4:5], v[80:81], v[82:83], v[4:5]
	v_dot4_i32_iu8 v80, v215, v99, 0 neg_lo:[1,1,0]
	v_dot4_i32_iu8 v81, v90, v125, v214 neg_lo:[1,1,0]
	s_delay_alu instid0(VALU_DEP_2) | instskip(NEXT) | instid1(VALU_DEP_2)
	v_dot4_i32_iu8 v80, v196, v189, v80 neg_lo:[1,1,0]
	v_dot4_i32_iu8 v82, v132, v102, v81 neg_lo:[1,1,0]
	s_delay_alu instid0(VALU_DEP_2) | instskip(NEXT) | instid1(VALU_DEP_2)
	v_dot4_i32_iu8 v80, v197, v190, v80 neg_lo:[1,1,0]
	v_cvt_f32_i32_e32 v82, v82
	s_delay_alu instid0(VALU_DEP_2) | instskip(NEXT) | instid1(VALU_DEP_1)
	v_dot4_i32_iu8 v80, v119, v191, v80 neg_lo:[1,1,0]
	v_dot4_i32_iu8 v80, v198, v192, v80 neg_lo:[1,1,0]
	s_delay_alu instid0(VALU_DEP_1) | instskip(NEXT) | instid1(VALU_DEP_1)
	v_dot4_i32_iu8 v80, v199, v193, v80 neg_lo:[1,1,0]
	v_dot4_i32_iu8 v80, v200, v125, v80 neg_lo:[1,1,0]
	s_delay_alu instid0(VALU_DEP_1) | instskip(SKIP_2) | instid1(VALU_DEP_3)
	v_dot4_i32_iu8 v83, v212, v102, v80 neg_lo:[1,1,0]
	v_pk_mul_f32 v[80:81], v[100:101], v[216:217] op_sel_hi:[0,1]
	v_add_nc_u32_e32 v101, 32, v101
	v_cvt_f32_i32_e32 v83, v83
	s_delay_alu instid0(VALU_DEP_1)
	v_pk_fma_f32 v[2:3], v[80:81], v[82:83], v[2:3]
	s_cbranch_scc1 .LBB162_8
; %bb.9:                                ;   in Loop: Header=BB162_6 Depth=1
	s_and_b32 s10, s7, -4
	s_delay_alu instid0(SALU_CYCLE_1)
	s_cmp_eq_u32 s10, 4
	s_barrier_signal -1
	s_barrier_wait -1
	s_cbranch_scc1 .LBB162_5
; %bb.10:                               ;   in Loop: Header=BB162_6 Depth=1
	v_dual_add_nc_u32 v88, s4, v160 :: v_dual_add_nc_u32 v80, 4, v97
	v_dual_mov_b32 v181, v179 :: v_dual_mov_b32 v182, v169
	v_dual_mov_b32 v183, v180 :: v_dual_mov_b32 v184, v177
	s_delay_alu instid0(VALU_DEP_3) | instskip(SKIP_3) | instid1(VALU_DEP_4)
	v_dual_add_nc_u32 v86, v88, v159 :: v_dual_add_nc_u32 v92, v88, v156
	v_dual_add_nc_u32 v82, v88, v152 :: v_dual_add_nc_u32 v84, v88, v153
	;; [unrolled: 1-line block ×3, first 2 shown]
	v_mad_nc_u64_u32 v[80:81], v80, 36, s[2:3]
	v_mad_nc_i64_i32 v[86:87], v86, 36, v[0:1]
	s_delay_alu instid0(VALU_DEP_4)
	v_mad_nc_i64_i32 v[82:83], v82, 36, v[0:1]
	v_dual_add_nc_u32 v94, v88, v157 :: v_dual_add_nc_u32 v96, v88, v158
	v_mad_nc_i64_i32 v[84:85], v84, 36, v[0:1]
	v_mad_nc_i64_i32 v[88:89], v89, 36, v[0:1]
	;; [unrolled: 1-line block ×6, first 2 shown]
	s_clause 0x8
	global_load_b32 v98, v[80:81], off
	global_load_b32 v99, v[86:87], off offset:4
	global_load_b32 v100, v[82:83], off offset:4
	;; [unrolled: 1-line block ×8, first 2 shown]
	v_dual_mov_b32 v185, v175 :: v_dual_mov_b32 v186, v173
	v_mov_b32_e32 v187, v171
	s_mov_b32 s10, 12
	s_wait_loadcnt 0x8
	s_wait_xcnt 0x8
	v_cvt_f32_f16_e32 v80, v98
	s_wait_loadcnt 0x7
	ds_store_b32 v167, v99
	s_wait_loadcnt 0x6
	ds_store_b32 v168, v100
	;; [unrolled: 2-line block ×8, first 2 shown]
	ds_store_b32 v151, v80
	s_wait_dscnt 0x0
	s_barrier_signal -1
	s_barrier_wait -1
.LBB162_11:                             ;   Parent Loop BB162_6 Depth=1
                                        ; =>  This Inner Loop Header: Depth=2
	ds_load_2addr_b32 v[122:123], v182 offset0:3 offset1:4
	ds_load_2addr_b32 v[124:125], v182 offset0:5 offset1:6
	ds_load_2addr_b32 v[126:127], v182 offset0:1 offset1:2
	ds_load_2addr_b32 v[118:119], v182 offset1:7
	ds_load_2addr_b32 v[120:121], v181 offset1:32
	;; [unrolled: 1-line block ×3, first 2 shown]
	ds_load_2addr_b32 v[128:129], v183 offset0:2 offset1:3
	ds_load_2addr_b32 v[100:101], v183 offset0:4 offset1:5
	;; [unrolled: 1-line block ×3, first 2 shown]
	ds_load_b32 v130, v184
	ds_load_b32 v131, v185
	;; [unrolled: 1-line block ×4, first 2 shown]
	ds_load_2addr_b32 v[220:221], v181 offset0:192 offset1:224
	ds_load_2addr_b32 v[134:135], v181 offset0:64 offset1:96
	;; [unrolled: 1-line block ×3, first 2 shown]
	v_add_nc_u32_e32 v84, 0x2080, v183
	v_add_nc_u32_e32 v85, 0x2088, v183
	;; [unrolled: 1-line block ×34, first 2 shown]
	s_wait_dscnt 0x2
	v_dual_mov_b32 v230, v221 :: v_dual_mov_b32 v231, v120
	v_mov_b32_e32 v232, v131
	ds_load_2addr_b32 v[86:87], v84 offset1:1
	ds_load_2addr_b32 v[222:223], v85 offset1:1
	;; [unrolled: 1-line block ×15, first 2 shown]
	s_set_vgpr_msb 64                       ;  msbs: dst=1 src0=0 src1=0 src2=0
	ds_load_2addr_b32 v[0:1] /*v[256:257]*/, v108 offset1:1
	ds_load_2addr_b32 v[2:3] /*v[258:259]*/, v109 offset1:1
	s_set_vgpr_msb 0                        ;  msbs: dst=0 src0=0 src1=0 src2=0
	ds_load_2addr_b32 v[140:141], v110 offset1:1
	s_set_vgpr_msb 64                       ;  msbs: dst=1 src0=0 src1=0 src2=0
	ds_load_2addr_b32 v[4:5] /*v[260:261]*/, v111 offset1:1
	ds_load_2addr_b32 v[6:7] /*v[262:263]*/, v112 offset1:1
	s_set_vgpr_msb 0                        ;  msbs: dst=0 src0=0 src1=0 src2=0
	ds_load_2addr_b32 v[138:139], v113 offset1:1
	;; [unrolled: 5-line block ×4, first 2 shown]
	ds_load_2addr_b32 v[116:117], v190 offset1:7
	s_set_vgpr_msb 64                       ;  msbs: dst=1 src0=0 src1=0 src2=0
	ds_load_2addr_b32 v[10:11] /*v[266:267]*/, v193 offset1:1
	ds_load_2addr_b32 v[20:21] /*v[276:277]*/, v188 offset1:1
	;; [unrolled: 1-line block ×5, first 2 shown]
	s_set_vgpr_msb 0                        ;  msbs: dst=0 src0=0 src1=0 src2=0
	ds_load_2addr_b32 v[142:143], v194 offset1:7
	v_dual_lshlrev_b32 v190, 16, v123 :: v_dual_lshlrev_b32 v191, 8, v123
	v_add_nc_u32_e32 v133, 0x800, v182
	v_dual_lshlrev_b32 v195, 16, v126 :: v_dual_lshlrev_b32 v196, 8, v126
	v_dual_lshlrev_b32 v198, 16, v124 :: v_dual_lshlrev_b32 v200, 8, v124
	;; [unrolled: 1-line block ×4, first 2 shown]
	v_perm_b32 v233, v83, v83, 0x2010003
	v_perm_b32 v247, v123, v191, 0x7030c04
	;; [unrolled: 1-line block ×3, first 2 shown]
	v_dual_lshlrev_b32 v209, 16, v122 :: v_dual_lshlrev_b32 v210, 8, v122
	v_pk_mul_f32 v[88:89], v[130:131], v[120:121] op_sel_hi:[0,1]
	v_pk_mul_f32 v[90:91], v[102:103], v[120:121] op_sel_hi:[0,1]
	;; [unrolled: 1-line block ×3, first 2 shown]
	s_wait_dscnt 0x23
	v_pk_mul_f32 v[104:105], v[130:131], v[134:135] op_sel_hi:[0,1]
	v_pk_mul_f32 v[106:107], v[102:103], v[134:135] op_sel_hi:[0,1]
	;; [unrolled: 1-line block ×3, first 2 shown]
	s_wait_dscnt 0x22
	v_pk_mul_f32 v[110:111], v[130:131], v[218:219] op_sel_hi:[0,1]
	v_pk_mul_f32 v[112:113], v[102:103], v[218:219] op_sel_hi:[0,1]
	;; [unrolled: 1-line block ×3, first 2 shown]
	v_mov_b32_e32 v120, v220
	v_perm_b32 v249, v126, v196, 0x7030c04
	v_perm_b32 v250, v195, v195, 0xc0c030c
	s_set_vgpr_msb 64                       ;  msbs: dst=1 src0=0 src1=0 src2=0
	v_perm_b32 v12 /*v268*/, v198, v124, 0xc0c0700
	v_perm_b32 v24 /*v280*/, v124, v200, 0xc0c0703
	;; [unrolled: 1-line block ×3, first 2 shown]
	s_set_vgpr_msb 0                        ;  msbs: dst=0 src0=0 src1=0 src2=0
	v_perm_b32 v201, v127, v203, 0xc0c0703
	v_perm_b32 v195, v204, v125, 0xc0c0700
	;; [unrolled: 1-line block ×3, first 2 shown]
	s_wait_dscnt 0x1d
	s_set_vgpr_msb 64                       ;  msbs: dst=1 src0=0 src1=0 src2=0
	v_dot4_i32_iu8 v51 /*v307*/, v94, v118, 0 neg_lo:[1,1,0]
	s_wait_dscnt 0x1a
	v_dot4_i32_iu8 v57 /*v313*/, v96, v118, 0 neg_lo:[1,1,0]
	s_set_vgpr_msb 0                        ;  msbs: dst=0 src0=0 src1=0 src2=0
	v_pk_mul_f32 v[124:125], v[232:233], v[134:135] op_sel_hi:[0,1]
	v_pk_mul_f32 v[126:127], v[232:233], v[218:219] op_sel_hi:[0,1]
	s_wait_dscnt 0xa
	v_dual_lshlrev_b32 v135, 16, v137 :: v_dual_bitop2_b32 v218, v247, v248 bitop3:0x54
	v_dual_lshlrev_b32 v215, 8, v119 :: v_dual_lshlrev_b32 v216, 8, v146
	v_ashrrev_i32_e32 v217, 24, v83
	v_perm_b32 v235, v129, v129, 0x2010003
	v_perm_b32 v197, v100, v100, 0x2010003
	;; [unrolled: 1-line block ×3, first 2 shown]
	v_dot4_i32_iu8 v236, v82, v118, 0 neg_lo:[1,1,0]
	v_perm_b32 v237, v129, v129, 0xc0c0100
	v_perm_b32 v238, v129, v129, 0xc0c0302
	;; [unrolled: 1-line block ×10, first 2 shown]
	v_pk_mul_f32 v[100:101], v[102:103], v[220:221] op_sel_hi:[0,1]
	v_pk_mul_f32 v[102:103], v[132:133], v[220:221] op_sel_hi:[0,1]
	v_ashrrev_i32_e32 v245, 24, v87
	s_set_vgpr_msb 64                       ;  msbs: dst=1 src0=0 src1=0 src2=0
	v_dual_lshlrev_b32 v27 /*v283*/, 16, v147 :: v_dual_lshlrev_b32 v28 /*v284*/, 8, v147
	v_perm_b32 v44 /*v300*/, v122, v210, 0x7030c04
	v_perm_b32 v45 /*v301*/, v209, v209, 0xc0c030c
	;; [unrolled: 1-line block ×3, first 2 shown]
	s_set_vgpr_msb 0                        ;  msbs: dst=0 src0=0 src1=0 src2=0
	v_perm_b32 v210, v206, v206, 0x2010003
	v_perm_b32 v203, v207, v207, 0x2010003
	s_set_vgpr_msb 64                       ;  msbs: dst=1 src0=0 src1=0 src2=0
	v_perm_b32 v53 /*v309*/, v206, v206, 0xc0c0100
	s_set_vgpr_msb 0                        ;  msbs: dst=0 src0=0 src1=0 src2=0
	v_perm_b32 v209, v206, v206, 0xc0c0302
	v_perm_b32 v204, v207, v207, 0xc0c0100
	;; [unrolled: 1-line block ×3, first 2 shown]
	s_set_vgpr_msb 64                       ;  msbs: dst=1 src0=0 src1=0 src2=0
	v_perm_b32 v54 /*v310*/, v97, v97, 0x2010003
	s_set_vgpr_msb 0                        ;  msbs: dst=0 src0=0 src1=0 src2=0
	v_perm_b32 v214, v228, v228, 0x2010003
	v_perm_b32 v206, v229, v229, 0x2010003
	s_set_vgpr_msb 64                       ;  msbs: dst=1 src0=0 src1=0 src2=0
	v_perm_b32 v61 /*v317*/, v228, v228, 0xc0c0100
	s_set_vgpr_msb 16                       ;  msbs: dst=0 src0=0 src1=0 src2=1
	v_perm_b32 v213, v228, v228, 0xc0c0302
	v_perm_b32 v207, v229, v229, 0xc0c0100
	;; [unrolled: 1-line block ×3, first 2 shown]
	v_dual_lshlrev_b32 v228, 16, v145 :: v_dual_lshlrev_b32 v229, 8, v145
	v_pk_mul_f32 v[122:123], v[130:131], v[120:121]
	v_pk_mul_f32 v[120:121], v[232:233], v[220:221] op_sel_hi:[0,1]
	v_dual_lshlrev_b32 v219, 8, v137 :: v_dual_bitop2_b32 v220, v249, v250 bitop3:0x54
	v_dot4_i32_iu8 v95, v218, v95, v51 /*v307*/ neg_lo:[1,1,0]
	v_dot4_i32_iu8 v97, v218, v97, v57 /*v313*/ neg_lo:[1,1,0]
	s_set_vgpr_msb 64                       ;  msbs: dst=1 src0=0 src1=0 src2=0
	v_dual_lshlrev_b32 v66 /*v322*/, 16, v119 :: v_dual_lshlrev_b32 v30 /*v286*/, 16, v252
	s_set_vgpr_msb 0                        ;  msbs: dst=0 src0=0 src1=0 src2=0
	v_perm_b32 v244, v128, v83, 0x7020100
	v_dot4_i32_iu8 v132, v86, v118, 0 neg_lo:[1,1,0]
	s_set_vgpr_msb 64                       ;  msbs: dst=1 src0=0 src1=0 src2=0
	v_dual_ashrrev_i32 v29 /*v285*/, 24, v147 :: v_dual_lshlrev_b32 v31 /*v287*/, 8, v252
	v_dual_lshlrev_b32 v67 /*v323*/, 16, v146 :: v_dual_ashrrev_i32 v62 /*v318*/, 24, v145
	v_perm_b32 v38 /*v294*/, v147, v147, 0xc0c0003
	v_perm_b32 v49 /*v305*/, v224, v224, 0x2010003
	;; [unrolled: 1-line block ×3, first 2 shown]
	v_dual_lshlrev_b32 v71 /*v327*/, 16, v141 :: v_dual_ashrrev_i32 v73 /*v329*/, 24, v141
	v_perm_b32 v72 /*v328*/, v119, v215, 0x7030c04
	s_set_vgpr_msb 0                        ;  msbs: dst=0 src0=0 src1=0 src2=0
	v_lshlrev_b32_e32 v215, 8, v141
	v_pk_mul_f32 v[118:119], v[230:231], v[130:131]
	v_dual_lshlrev_b32 v130, 16, v139 :: v_dual_lshlrev_b32 v131, 8, v139
	v_dual_ashrrev_i32 v134, 24, v139 :: v_dual_ashrrev_i32 v221, 24, v137
	v_dot4_i32_iu8 v83, v218, v83, v236 neg_lo:[1,1,0]
	s_set_vgpr_msb 1                        ;  msbs: dst=0 src0=1 src1=0 src2=0
	v_perm_b32 v147, v27 /*v283*/, v147, 0xc0c0700
	s_set_vgpr_msb 0                        ;  msbs: dst=0 src0=0 src1=0 src2=0
	v_dot4_i32_iu8 v95, v220, v224, v95 neg_lo:[1,1,0]
	s_set_vgpr_msb 4                        ;  msbs: dst=0 src0=0 src1=1 src2=0
	v_perm_b32 v224, v252, v28 /*v284*/, 0x7030c0c
	s_set_vgpr_msb 0                        ;  msbs: dst=0 src0=0 src1=0 src2=0
	v_perm_b32 v232, v228, v145, 0xc0c0700
	v_dot4_i32_iu8 v97, v220, v226, v97 neg_lo:[1,1,0]
	s_set_vgpr_msb 1                        ;  msbs: dst=0 src0=1 src1=0 src2=0
	v_perm_b32 v226, v0 /*v256*/, v229, 0x7030c0c
	s_set_vgpr_msb 0                        ;  msbs: dst=0 src0=0 src1=0 src2=0
	v_perm_b32 v234, v128, v128, 0x2010003
	v_dot4_i32_iu8 v83, v220, v128, v83 neg_lo:[1,1,0]
	s_wait_dscnt 0x7
	v_lshlrev_b32_e32 v128, 16, v243
	s_set_vgpr_msb 1                        ;  msbs: dst=0 src0=1 src1=0 src2=0
	v_mul_i32_i24_e32 v230, v29 /*v285*/, v245
	v_mul_i32_i24_e32 v231, v62 /*v318*/, v245
	;; [unrolled: 1-line block ×3, first 2 shown]
	v_perm_b32 v247, v71 /*v327*/, v141, 0xc0c0700
	s_set_vgpr_msb 0                        ;  msbs: dst=0 src0=0 src1=0 src2=0
	v_mul_i32_i24_e32 v134, v134, v245
	v_mul_i32_i24_e32 v221, v221, v245
	s_set_vgpr_msb 1                        ;  msbs: dst=0 src0=1 src1=0 src2=0
	v_perm_b32 v245, v4 /*v260*/, v215, 0x7030c0c
	s_set_vgpr_msb 0                        ;  msbs: dst=0 src0=0 src1=0 src2=0
	v_or_b32_e32 v147, v224, v147
	v_perm_b32 v224, v130, v139, 0xc0c0700
	v_or_b32_e32 v226, v226, v232
	s_set_vgpr_msb 1                        ;  msbs: dst=0 src0=1 src1=0 src2=0
	v_perm_b32 v232, v8 /*v264*/, v131, 0x7030c0c
	s_set_vgpr_msb 0                        ;  msbs: dst=0 src0=0 src1=0 src2=0
	v_or_b32_e32 v245, v245, v247
	v_perm_b32 v247, v135, v137, 0xc0c0700
	s_set_vgpr_msb 64                       ;  msbs: dst=1 src0=0 src1=0 src2=0
	v_perm_b32 v41 /*v297*/, v222, v87, 0x7020100
	v_perm_b32 v39 /*v295*/, v252, v252, 0xc0c0003
	s_set_vgpr_msb 0                        ;  msbs: dst=0 src0=0 src1=0 src2=0
	v_or_b32_e32 v224, v232, v224
	s_set_vgpr_msb 1                        ;  msbs: dst=0 src0=1 src1=0 src2=0
	v_perm_b32 v232, v16 /*v272*/, v219, 0x7030c0c
	s_set_vgpr_msb 4                        ;  msbs: dst=0 src0=0 src1=1 src2=0
	v_lshlrev_b32_e32 v249, 8, v4 /*v260*/
	v_dot4_i32_iu8 v147, v147, v41 /*v297*/, v230 neg_lo:[1,1,0]
	s_set_vgpr_msb 0                        ;  msbs: dst=0 src0=0 src1=0 src2=0
	v_ashrrev_i32_e32 v230, 24, v243
	s_set_vgpr_msb 4                        ;  msbs: dst=0 src0=0 src1=1 src2=0
	v_dot4_i32_iu8 v236, v245, v41 /*v297*/, v236 neg_lo:[1,1,0]
	s_set_vgpr_msb 0                        ;  msbs: dst=0 src0=0 src1=0 src2=0
	v_or_b32_e32 v232, v232, v247
	v_lshlrev_b32_e32 v247, 8, v243
	s_set_vgpr_msb 4                        ;  msbs: dst=0 src0=0 src1=1 src2=0
	v_dot4_i32_iu8 v226, v226, v41 /*v297*/, v231 neg_lo:[1,1,0]
	s_wait_dscnt 0x5
	v_dual_lshlrev_b32 v231, 16, v11 /*v267*/ :: v_dual_lshlrev_b32 v245, 8, v11 /*v267*/
	v_dot4_i32_iu8 v134, v224, v41 /*v297*/, v134 neg_lo:[1,1,0]
	v_ashrrev_i32_e32 v224, 24, v11 /*v267*/
	v_dot4_i32_iu8 v221, v232, v41 /*v297*/, v221 neg_lo:[1,1,0]
	s_set_vgpr_msb 0                        ;  msbs: dst=0 src0=0 src1=0 src2=0
	v_perm_b32 v232, v128, v243, 0xc0c0700
	s_wait_dscnt 0x4
	s_set_vgpr_msb 1                        ;  msbs: dst=0 src0=1 src1=0 src2=0
	v_perm_b32 v248, v20 /*v276*/, v247, 0x7030c0c
	s_set_vgpr_msb 0                        ;  msbs: dst=0 src0=0 src1=0 src2=0
	v_mul_i32_i24_e32 v230, v230, v217
	v_mul_i32_i24_e32 v217, v224, v217
	s_set_vgpr_msb 4                        ;  msbs: dst=0 src0=0 src1=1 src2=0
	v_perm_b32 v224, v231, v11 /*v267*/, 0xc0c0700
	s_set_vgpr_msb 0                        ;  msbs: dst=0 src0=0 src1=0 src2=0
	v_perm_b32 v141, v141, v141, 0xc0c0003
	v_or_b32_e32 v232, v248, v232
	s_wait_dscnt 0x2
	s_set_vgpr_msb 1                        ;  msbs: dst=0 src0=1 src1=0 src2=0
	v_perm_b32 v248, v32 /*v288*/, v245, 0x7030c0c
	s_set_vgpr_msb 4                        ;  msbs: dst=0 src0=0 src1=1 src2=0
	v_perm_b32 v215, v215, v71 /*v327*/, 0x7030c0c
	s_set_vgpr_msb 0                        ;  msbs: dst=0 src0=0 src1=0 src2=0
	v_perm_b32 v130, v131, v130, 0x7030c0c
	s_set_vgpr_msb 4                        ;  msbs: dst=0 src0=0 src1=1 src2=0
	v_lshlrev_b32_e32 v131, 16, v8 /*v264*/
	s_set_vgpr_msb 0                        ;  msbs: dst=0 src0=0 src1=0 src2=0
	v_dot4_i32_iu8 v230, v232, v244, v230 neg_lo:[1,1,0]
	v_or_b32_e32 v224, v248, v224
	s_set_vgpr_msb 4                        ;  msbs: dst=0 src0=0 src1=1 src2=0
	v_lshlrev_b32_e32 v232, 16, v4 /*v260*/
	s_set_vgpr_msb 0                        ;  msbs: dst=0 src0=0 src1=0 src2=0
	v_perm_b32 v135, v219, v135, 0x7030c0c
	s_set_vgpr_msb 4                        ;  msbs: dst=0 src0=0 src1=1 src2=0
	v_lshlrev_b32_e32 v219, 8, v8 /*v264*/
	s_set_vgpr_msb 0                        ;  msbs: dst=0 src0=0 src1=0 src2=0
	v_perm_b32 v128, v247, v128, 0x7030c0c
	v_perm_b32 v139, v139, v139, 0xc0c0003
	s_set_vgpr_msb 5                        ;  msbs: dst=0 src0=1 src1=1 src2=0
	v_perm_b32 v247, v31 /*v287*/, v30 /*v286*/, 0x7030c0c
	s_set_vgpr_msb 0                        ;  msbs: dst=0 src0=0 src1=0 src2=0
	v_dot4_i32_iu8 v217, v224, v244, v217 neg_lo:[1,1,0]
	s_set_vgpr_msb 5                        ;  msbs: dst=0 src0=1 src1=1 src2=0
	v_perm_b32 v244, v28 /*v284*/, v27 /*v283*/, 0x7030c0c
	s_set_vgpr_msb 0                        ;  msbs: dst=0 src0=0 src1=0 src2=0
	v_perm_b32 v231, v245, v231, 0x7030c0c
	s_set_vgpr_msb 5                        ;  msbs: dst=0 src0=1 src1=1 src2=0
	v_perm_b32 v245, v8 /*v264*/, v8 /*v264*/, 0xc0c0003
	s_set_vgpr_msb 0                        ;  msbs: dst=0 src0=0 src1=0 src2=0
	v_dot4_i32_iu8 v132, v218, v87, v132 neg_lo:[1,1,0]
	s_set_vgpr_msb 4                        ;  msbs: dst=0 src0=0 src1=1 src2=0
	v_dual_lshlrev_b32 v218, 16, v16 /*v272*/ :: v_dual_bitop2_b32 v244, v244, v38 /*v294*/ bitop3:0x54
	v_dual_lshlrev_b32 v250, 8, v16 /*v272*/ :: v_dual_bitop2_b32 v247, v247, v39 /*v295*/ bitop3:0x54
	s_set_vgpr_msb 0                        ;  msbs: dst=0 src0=0 src1=0 src2=0
	v_perm_b32 v137, v137, v137, 0xc0c0003
	v_or_b32_e32 v141, v215, v141
	v_perm_b32 v215, v249, v232, 0x7030c0c
	s_set_vgpr_msb 4                        ;  msbs: dst=0 src0=0 src1=1 src2=0
	v_perm_b32 v232, v232, v4 /*v260*/, 0xc0c0700
	s_set_vgpr_msb 1                        ;  msbs: dst=0 src0=1 src1=0 src2=0
	v_perm_b32 v249, v6 /*v262*/, v249, 0x7030c0c
	s_set_vgpr_msb 0                        ;  msbs: dst=0 src0=0 src1=0 src2=0
	v_dual_add_nc_u32 v184, 4, v184 :: v_dual_bitop2_b32 v139, v130, v139 bitop3:0x54
	v_perm_b32 v130, v219, v131, 0x7030c0c
	s_set_vgpr_msb 0x44                     ;  msbs: dst=1 src0=0 src1=1 src2=0
	v_dual_lshlrev_b32 v63 /*v319*/, 16, v0 /*v256*/ :: v_dual_lshlrev_b32 v64 /*v320*/, 8, v0 /*v256*/
	s_set_vgpr_msb 0                        ;  msbs: dst=0 src0=0 src1=0 src2=0
	v_perm_b32 v145, v145, v145, 0xc0c0003
	v_perm_b32 v228, v229, v228, 0x7030c0c
	s_set_vgpr_msb 1                        ;  msbs: dst=0 src0=1 src1=0 src2=0
	v_perm_b32 v252, v30 /*v286*/, v252, 0xc0c0700
	s_set_vgpr_msb 0x44                     ;  msbs: dst=1 src0=0 src1=1 src2=0
	v_perm_b32 v27 /*v283*/, v254, v31 /*v287*/, 0x7030c0c
	s_set_vgpr_msb 0                        ;  msbs: dst=0 src0=0 src1=0 src2=0
	v_dual_add_nc_u32 v185, 4, v185 :: v_dual_bitop2_b32 v232, v249, v232 bitop3:0x54
	v_or_b32_e32 v249, v130, v245
	v_or_b32_e32 v135, v135, v137
	v_perm_b32 v137, v250, v218, 0x7030c0c
	s_set_vgpr_msb 4                        ;  msbs: dst=0 src0=0 src1=1 src2=0
	v_perm_b32 v218, v218, v16 /*v272*/, 0xc0c0700
	s_set_vgpr_msb 1                        ;  msbs: dst=0 src0=1 src1=0 src2=0
	v_perm_b32 v245, v18 /*v274*/, v250, 0x7030c0c
	s_set_vgpr_msb 64                       ;  msbs: dst=1 src0=0 src1=0 src2=0
	v_perm_b32 v42 /*v298*/, v223, v222, 0x7020100
	s_set_vgpr_msb 5                        ;  msbs: dst=0 src0=1 src1=1 src2=0
	v_perm_b32 v224, v0 /*v256*/, v0 /*v256*/, 0xc0c0003
	v_perm_b32 v229, v4 /*v260*/, v4 /*v260*/, 0xc0c0003
	s_set_vgpr_msb 1                        ;  msbs: dst=0 src0=1 src1=0 src2=0
	v_dual_add_nc_u32 v187, 4, v187 :: v_dual_bitop2_b32 v252, v27 /*v283*/, v252 bitop3:0x54
	s_set_vgpr_msb 0                        ;  msbs: dst=0 src0=0 src1=0 src2=0
	v_or_b32_e32 v145, v228, v145
	s_set_vgpr_msb 5                        ;  msbs: dst=0 src0=1 src1=1 src2=0
	v_perm_b32 v228, v64 /*v320*/, v63 /*v319*/, 0x7030c0c
	s_set_vgpr_msb 0x45                     ;  msbs: dst=1 src0=1 src1=1 src2=0
	v_perm_b32 v0 /*v256*/, v63 /*v319*/, v0 /*v256*/, 0xc0c0700
	v_perm_b32 v27 /*v283*/, v2 /*v258*/, v64 /*v320*/, 0x7030c0c
	s_set_vgpr_msb 0                        ;  msbs: dst=0 src0=0 src1=0 src2=0
	v_or_b32_e32 v218, v245, v218
	s_set_vgpr_msb 0x44                     ;  msbs: dst=1 src0=0 src1=1 src2=0
	v_lshlrev_b32_e32 v65 /*v321*/, 16, v2 /*v258*/
	s_set_vgpr_msb 0                        ;  msbs: dst=0 src0=0 src1=0 src2=0
	v_dual_add_nc_u32 v186, 4, v186 :: v_dual_bitop2_b32 v224, v228, v224 bitop3:0x54
	s_set_vgpr_msb 5                        ;  msbs: dst=0 src0=1 src1=1 src2=0
	v_perm_b32 v228, v16 /*v272*/, v16 /*v272*/, 0xc0c0003
	s_set_vgpr_msb 0x45                     ;  msbs: dst=1 src0=1 src1=1 src2=0
	v_or_b32_e32 v0 /*v256*/, v27 /*v283*/, v0 /*v256*/
	v_dual_lshlrev_b32 v27 /*v283*/, 16, v20 /*v276*/ :: v_dual_lshlrev_b32 v4 /*v260*/, 16, v1 /*v257*/
	s_set_vgpr_msb 0                        ;  msbs: dst=0 src0=0 src1=0 src2=0
	v_or_b32_e32 v215, v215, v229
	s_set_vgpr_msb 4                        ;  msbs: dst=0 src0=0 src1=1 src2=0
	v_lshlrev_b32_e32 v229, 8, v20 /*v276*/
	v_perm_b32 v131, v131, v8 /*v264*/, 0xc0c0700
	s_set_vgpr_msb 1                        ;  msbs: dst=0 src0=1 src1=0 src2=0
	v_perm_b32 v219, v14 /*v270*/, v219, 0x7030c0c
	s_set_vgpr_msb 4                        ;  msbs: dst=0 src0=0 src1=1 src2=0
	v_dot4_i32_iu8 v218, v218, v42 /*v298*/, v221 neg_lo:[1,1,0]
	s_set_vgpr_msb 0                        ;  msbs: dst=0 src0=0 src1=0 src2=0
	v_dot4_i32_iu8 v221, v139, v233, 0 neg_lo:[1,1,0]
	v_add_nc_u32_e32 v211, 0x4118, v183
	v_add_nc_u32_e32 v208, 0x6198, v183
	s_set_vgpr_msb 5                        ;  msbs: dst=0 src0=1 src1=1 src2=0
	v_perm_b32 v130, v20 /*v276*/, v20 /*v276*/, 0xc0c0003
	s_set_vgpr_msb 0                        ;  msbs: dst=0 src0=0 src1=0 src2=0
	v_dual_add_nc_u32 v181, 4, v181 :: v_dual_bitop2_b32 v131, v219, v131 bitop3:0x54
	s_set_vgpr_msb 4                        ;  msbs: dst=0 src0=0 src1=1 src2=0
	v_lshlrev_b32_e32 v219, 16, v32 /*v288*/
	s_set_vgpr_msb 0                        ;  msbs: dst=0 src0=0 src1=0 src2=0
	v_or_b32_e32 v137, v137, v228
	s_set_vgpr_msb 5                        ;  msbs: dst=0 src0=1 src1=1 src2=0
	v_lshlrev_b32_e32 v228, 8, v32 /*v288*/
	v_perm_b32 v245, v27 /*v283*/, v20 /*v276*/, 0xc0c0700
	s_set_vgpr_msb 0                        ;  msbs: dst=0 src0=0 src1=0 src2=0
	v_add_nc_u32_e32 v183, 32, v183
	s_set_vgpr_msb 64                       ;  msbs: dst=1 src0=0 src1=0 src2=0
	v_dot4_i32_iu8 v30 /*v286*/, v249, v234, v221 neg_lo:[1,1,0]
	s_set_vgpr_msb 4                        ;  msbs: dst=0 src0=0 src1=1 src2=0
	v_lshlrev_b32_e32 v221, 16, v6 /*v262*/
	v_perm_b32 v250, v229, v27 /*v283*/, 0x7030c0c
	s_set_vgpr_msb 1                        ;  msbs: dst=0 src0=1 src1=0 src2=0
	v_perm_b32 v229, v22 /*v278*/, v229, 0x7030c0c
	s_set_vgpr_msb 0                        ;  msbs: dst=0 src0=0 src1=0 src2=0
	v_perm_b32 v243, v243, v243, 0xc0c0003
	v_perm_b32 v251, v223, v223, 0xc0c0100
	s_set_vgpr_msb 64                       ;  msbs: dst=1 src0=0 src1=0 src2=0
	v_perm_b32 v52 /*v308*/, v225, v225, 0xc0c0100
	s_set_vgpr_msb 0                        ;  msbs: dst=0 src0=0 src1=0 src2=0
	v_or_b32_e32 v250, v250, v130
	v_or_b32_e32 v229, v229, v245
	s_set_vgpr_msb 5                        ;  msbs: dst=0 src0=1 src1=1 src2=0
	v_perm_b32 v245, v11 /*v267*/, v11 /*v267*/, 0xc0c0003
	s_set_vgpr_msb 4                        ;  msbs: dst=0 src0=0 src1=1 src2=0
	v_perm_b32 v130, v219, v32 /*v288*/, 0xc0c0700
	s_set_vgpr_msb 0                        ;  msbs: dst=0 src0=0 src1=0 src2=0
	v_perm_b32 v219, v228, v219, 0x7030c0c
	s_wait_dscnt 0x1
	s_set_vgpr_msb 1                        ;  msbs: dst=0 src0=1 src1=0 src2=0
	v_perm_b32 v228, v46 /*v302*/, v228, 0x7030c0c
	s_set_vgpr_msb 0                        ;  msbs: dst=0 src0=0 src1=0 src2=0
	v_or_b32_e32 v128, v128, v243
	s_set_vgpr_msb 5                        ;  msbs: dst=0 src0=1 src1=1 src2=0
	v_perm_b32 v243, v32 /*v288*/, v32 /*v288*/, 0xc0c0003
	s_set_vgpr_msb 0                        ;  msbs: dst=0 src0=0 src1=0 src2=0
	v_or_b32_e32 v231, v231, v245
	v_perm_b32 v87, v87, v87, 0x2010003
	v_or_b32_e32 v228, v228, v130
	v_dot4_i32_iu8 v130, v220, v222, v132 neg_lo:[1,1,0]
	s_set_vgpr_msb 4                        ;  msbs: dst=0 src0=0 src1=1 src2=0
	v_dot4_i32_iu8 v147, v252, v42 /*v298*/, v147 neg_lo:[1,1,0]
	s_set_vgpr_msb 5                        ;  msbs: dst=0 src0=1 src1=1 src2=0
	v_dot4_i32_iu8 v226, v0 /*v256*/, v42 /*v298*/, v226 neg_lo:[1,1,0]
	s_set_vgpr_msb 4                        ;  msbs: dst=0 src0=0 src1=1 src2=0
	v_dot4_i32_iu8 v232, v232, v42 /*v298*/, v236 neg_lo:[1,1,0]
	s_set_vgpr_msb 0                        ;  msbs: dst=0 src0=0 src1=0 src2=0
	v_dot4_i32_iu8 v236, v141, v233, 0 neg_lo:[1,1,0]
	s_set_vgpr_msb 4                        ;  msbs: dst=0 src0=0 src1=1 src2=0
	v_dot4_i32_iu8 v252, v131, v42 /*v298*/, v134 neg_lo:[1,1,0]
	v_dot4_i32_iu8 v134, v141, v48 /*v304*/, 0 neg_lo:[1,1,0]
	;; [unrolled: 1-line block ×3, first 2 shown]
	s_set_vgpr_msb 0x44                     ;  msbs: dst=1 src0=0 src1=1 src2=0
	v_dot4_i32_iu8 v0 /*v256*/, v139, v48 /*v304*/, 0 neg_lo:[1,1,0]
	s_set_vgpr_msb 4                        ;  msbs: dst=0 src0=0 src1=1 src2=0
	v_dot4_i32_iu8 v139, v139, v54 /*v310*/, 0 neg_lo:[1,1,0]
	s_set_vgpr_msb 64                       ;  msbs: dst=1 src0=0 src1=0 src2=0
	v_dual_lshlrev_b32 v34 /*v290*/, 16, v254 :: v_dual_lshlrev_b32 v35 /*v291*/, 8, v254
	v_perm_b32 v50 /*v306*/, v225, v225, 0x2010003
	s_set_vgpr_msb 0                        ;  msbs: dst=0 src0=0 src1=0 src2=0
	v_perm_b32 v225, v225, v225, 0xc0c0302
	s_set_vgpr_msb 64                       ;  msbs: dst=1 src0=0 src1=0 src2=0
	v_perm_b32 v60 /*v316*/, v227, v227, 0xc0c0100
	s_set_vgpr_msb 4                        ;  msbs: dst=0 src0=0 src1=1 src2=0
	v_lshlrev_b32_e32 v248, 8, v2 /*v258*/
	s_set_vgpr_msb 0                        ;  msbs: dst=0 src0=0 src1=0 src2=0
	v_or_b32_e32 v219, v219, v243
	s_set_vgpr_msb 1                        ;  msbs: dst=0 src0=1 src1=0 src2=0
	v_dot4_i32_iu8 v220, v12 /*v268*/, v251, v130 neg_lo:[1,1,0]
	v_dot4_i32_iu8 v83, v12 /*v268*/, v237, v83 neg_lo:[1,1,0]
	s_set_vgpr_msb 5                        ;  msbs: dst=0 src0=1 src1=1 src2=0
	v_dot4_i32_iu8 v95, v12 /*v268*/, v52 /*v308*/, v95 neg_lo:[1,1,0]
	s_set_vgpr_msb 0                        ;  msbs: dst=0 src0=0 src1=0 src2=0
	v_dot4_i32_iu8 v132, v244, v233, 0 neg_lo:[1,1,0]
	s_set_vgpr_msb 4                        ;  msbs: dst=0 src0=0 src1=1 src2=0
	v_dot4_i32_iu8 v237, v244, v48 /*v304*/, 0 neg_lo:[1,1,0]
	v_dot4_i32_iu8 v243, v244, v54 /*v310*/, 0 neg_lo:[1,1,0]
	s_set_vgpr_msb 0                        ;  msbs: dst=0 src0=0 src1=0 src2=0
	v_dot4_i32_iu8 v229, v229, v246, v230 neg_lo:[1,1,0]
	s_set_vgpr_msb 4                        ;  msbs: dst=0 src0=0 src1=1 src2=0
	v_dot4_i32_iu8 v230, v135, v48 /*v304*/, 0 neg_lo:[1,1,0]
	s_set_vgpr_msb 0                        ;  msbs: dst=0 src0=0 src1=0 src2=0
	v_dot4_i32_iu8 v217, v228, v246, v217 neg_lo:[1,1,0]
	v_dot4_i32_iu8 v228, v128, v87, 0 neg_lo:[1,1,0]
	;; [unrolled: 1-line block ×3, first 2 shown]
	s_set_vgpr_msb 0x44                     ;  msbs: dst=1 src0=0 src1=1 src2=0
	v_dot4_i32_iu8 v29 /*v285*/, v215, v55 /*v311*/, v141 neg_lo:[1,1,0]
	s_set_vgpr_msb 0x54                     ;  msbs: dst=1 src0=0 src1=1 src2=1
	v_dot4_i32_iu8 v0 /*v256*/, v249, v49 /*v305*/, v0 /*v256*/ neg_lo:[1,1,0]
	s_set_vgpr_msb 4                        ;  msbs: dst=0 src0=0 src1=1 src2=0
	v_dot4_i32_iu8 v139, v249, v55 /*v311*/, v139 neg_lo:[1,1,0]
	s_set_vgpr_msb 0                        ;  msbs: dst=0 src0=0 src1=0 src2=0
	v_perm_b32 v141, v222, v222, 0x2010003
	v_lshlrev_b32_e32 v249, 8, v140
	v_dot4_i32_iu8 v244, v145, v233, 0 neg_lo:[1,1,0]
	s_set_vgpr_msb 4                        ;  msbs: dst=0 src0=0 src1=1 src2=0
	v_dot4_i32_iu8 v251, v145, v48 /*v304*/, 0 neg_lo:[1,1,0]
	v_dot4_i32_iu8 v145, v145, v54 /*v310*/, 0 neg_lo:[1,1,0]
	s_set_vgpr_msb 0                        ;  msbs: dst=0 src0=0 src1=0 src2=0
	v_dot4_i32_iu8 v233, v135, v233, 0 neg_lo:[1,1,0]
	s_set_vgpr_msb 4                        ;  msbs: dst=0 src0=0 src1=1 src2=0
	v_dot4_i32_iu8 v135, v135, v54 /*v310*/, 0 neg_lo:[1,1,0]
	s_set_vgpr_msb 5                        ;  msbs: dst=0 src0=1 src1=1 src2=0
	v_dot4_i32_iu8 v97, v12 /*v268*/, v60 /*v316*/, v97 neg_lo:[1,1,0]
	s_set_vgpr_msb 0x45                     ;  msbs: dst=1 src0=1 src1=1 src2=0
	v_perm_b32 v12 /*v268*/, v2 /*v258*/, v2 /*v258*/, 0xc0c0003
	s_set_vgpr_msb 64                       ;  msbs: dst=1 src0=0 src1=0 src2=0
	v_dot4_i32_iu8 v16 /*v272*/, v247, v234, v132 neg_lo:[1,1,0]
	v_dot4_i32_iu8 v27 /*v283*/, v224, v234, v244 neg_lo:[1,1,0]
	s_set_vgpr_msb 4                        ;  msbs: dst=0 src0=0 src1=1 src2=0
	v_dot4_i32_iu8 v251, v224, v49 /*v305*/, v251 neg_lo:[1,1,0]
	v_dot4_i32_iu8 v224, v224, v55 /*v311*/, v145 neg_lo:[1,1,0]
	s_set_vgpr_msb 0                        ;  msbs: dst=0 src0=0 src1=0 src2=0
	v_dot4_i32_iu8 v236, v215, v234, v236 neg_lo:[1,1,0]
	v_dot4_i32_iu8 v233, v137, v234, v233 neg_lo:[1,1,0]
	s_set_vgpr_msb 4                        ;  msbs: dst=0 src0=0 src1=1 src2=0
	v_dot4_i32_iu8 v230, v137, v49 /*v305*/, v230 neg_lo:[1,1,0]
	v_dot4_i32_iu8 v234, v137, v55 /*v311*/, v135 neg_lo:[1,1,0]
	s_set_vgpr_msb 64                       ;  msbs: dst=1 src0=0 src1=0 src2=0
	v_dot4_i32_iu8 v31 /*v287*/, v250, v141, v228 neg_lo:[1,1,0]
	s_set_vgpr_msb 4                        ;  msbs: dst=0 src0=0 src1=1 src2=0
	v_dual_lshlrev_b32 v222, 16, v14 /*v270*/ :: v_dual_lshlrev_b32 v228, 8, v14 /*v270*/
	s_set_vgpr_msb 0                        ;  msbs: dst=0 src0=0 src1=0 src2=0
	v_dot4_i32_iu8 v87, v219, v141, v87 neg_lo:[1,1,0]
	s_set_vgpr_msb 1                        ;  msbs: dst=0 src0=1 src1=0 src2=0
	v_perm_b32 v137, v34 /*v290*/, v254, 0xc0c0700
	s_set_vgpr_msb 4                        ;  msbs: dst=0 src0=0 src1=1 src2=0
	v_perm_b32 v141, v253, v35 /*v291*/, 0x7030c0c
	s_set_vgpr_msb 5                        ;  msbs: dst=0 src0=1 src1=1 src2=0
	v_perm_b32 v145, v65 /*v321*/, v2 /*v258*/, 0xc0c0700
	s_set_vgpr_msb 0x41                     ;  msbs: dst=1 src0=1 src1=0 src2=0
	v_dot4_i32_iu8 v2 /*v258*/, v24 /*v280*/, v225, v95 neg_lo:[1,1,0]
	s_set_vgpr_msb 1                        ;  msbs: dst=0 src0=1 src1=0 src2=0
	v_perm_b32 v95, v1 /*v257*/, v248, 0x7030c0c
	s_set_vgpr_msb 64                       ;  msbs: dst=1 src0=0 src1=0 src2=0
	v_perm_b32 v13 /*v269*/, v223, v223, 0xc0c0302
	s_set_vgpr_msb 0                        ;  msbs: dst=0 src0=0 src1=0 src2=0
	v_or_b32_e32 v137, v141, v137
	s_set_vgpr_msb 4                        ;  msbs: dst=0 src0=0 src1=1 src2=0
	v_perm_b32 v141, v222, v14 /*v270*/, 0xc0c0700
	s_set_vgpr_msb 64                       ;  msbs: dst=1 src0=0 src1=0 src2=0
	v_perm_b32 v43 /*v299*/, v240, v223, 0x7020100
	s_set_vgpr_msb 0                        ;  msbs: dst=0 src0=0 src1=0 src2=0
	v_or_b32_e32 v95, v95, v145
	s_set_vgpr_msb 1                        ;  msbs: dst=0 src0=1 src1=0 src2=0
	v_perm_b32 v145, v9 /*v265*/, v228, 0x7030c0c
	s_set_vgpr_msb 4                        ;  msbs: dst=0 src0=0 src1=1 src2=0
	v_dot4_i32_iu8 v246, v128, v48 /*v304*/, 0 neg_lo:[1,1,0]
	s_set_vgpr_msb 0x44                     ;  msbs: dst=1 src0=0 src1=1 src2=0
	v_dot4_i32_iu8 v11 /*v267*/, v231, v48 /*v304*/, 0 neg_lo:[1,1,0]
	s_set_vgpr_msb 4                        ;  msbs: dst=0 src0=0 src1=1 src2=0
	v_dot4_i32_iu8 v231, v231, v54 /*v310*/, 0 neg_lo:[1,1,0]
	v_lshlrev_b32_e32 v135, 8, v6 /*v262*/
	s_set_vgpr_msb 0                        ;  msbs: dst=0 src0=0 src1=0 src2=0
	v_or_b32_e32 v141, v145, v141
	s_set_vgpr_msb 64                       ;  msbs: dst=1 src0=0 src1=0 src2=0
	v_perm_b32 v40 /*v296*/, v254, v254, 0xc0c0003
	s_set_vgpr_msb 0x44                     ;  msbs: dst=1 src0=0 src1=1 src2=0
	v_dot4_i32_iu8 v28 /*v284*/, v215, v49 /*v305*/, v134 neg_lo:[1,1,0]
	v_dot4_i32_iu8 v32 /*v288*/, v250, v49 /*v305*/, v246 neg_lo:[1,1,0]
	s_set_vgpr_msb 0x54                     ;  msbs: dst=1 src0=0 src1=1 src2=1
	v_dot4_i32_iu8 v11 /*v267*/, v219, v49 /*v305*/, v11 /*v267*/ neg_lo:[1,1,0]
	s_set_vgpr_msb 4                        ;  msbs: dst=0 src0=0 src1=1 src2=0
	v_lshlrev_b32_e32 v246, 16, v18 /*v274*/
	s_set_vgpr_msb 0x44                     ;  msbs: dst=1 src0=0 src1=1 src2=0
	v_dot4_i32_iu8 v48 /*v304*/, v219, v55 /*v311*/, v231 neg_lo:[1,1,0]
	s_set_vgpr_msb 5                        ;  msbs: dst=0 src0=1 src1=1 src2=0
	v_lshlrev_b32_e32 v219, 8, v18 /*v274*/
	v_dot4_i32_iu8 v254, v24 /*v280*/, v13 /*v269*/, v220 neg_lo:[1,1,0]
	s_set_vgpr_msb 4                        ;  msbs: dst=0 src0=0 src1=1 src2=0
	v_perm_b32 v215, v221, v6 /*v262*/, 0xc0c0700
	v_dot4_i32_iu8 v141, v141, v43 /*v299*/, v252 neg_lo:[1,1,0]
	v_lshlrev_b32_e32 v252, 16, v5 /*v261*/
	s_set_vgpr_msb 1                        ;  msbs: dst=0 src0=1 src1=0 src2=0
	v_perm_b32 v220, v5 /*v261*/, v135, 0x7030c0c
	v_perm_b32 v145, v17 /*v273*/, v219, 0x7030c0c
	s_set_vgpr_msb 64                       ;  msbs: dst=1 src0=0 src1=0 src2=0
	v_perm_b32 v56 /*v312*/, v227, v227, 0x2010003
	s_set_vgpr_msb 0                        ;  msbs: dst=0 src0=0 src1=0 src2=0
	v_perm_b32 v227, v227, v227, 0xc0c0302
	s_set_vgpr_msb 4                        ;  msbs: dst=0 src0=0 src1=1 src2=0
	v_lshlrev_b32_e32 v225, 8, v22 /*v278*/
	s_set_vgpr_msb 0                        ;  msbs: dst=0 src0=0 src1=0 src2=0
	v_or_b32_e32 v215, v220, v215
	s_set_vgpr_msb 4                        ;  msbs: dst=0 src0=0 src1=1 src2=0
	v_perm_b32 v220, v246, v18 /*v274*/, 0xc0c0700
	s_set_vgpr_msb 0x44                     ;  msbs: dst=1 src0=0 src1=1 src2=0
	v_dot4_i32_iu8 v20 /*v276*/, v247, v55 /*v311*/, v243 neg_lo:[1,1,0]
	s_set_vgpr_msb 1                        ;  msbs: dst=0 src0=1 src1=0 src2=0
	v_dot4_i32_iu8 v97, v24 /*v280*/, v227, v97 neg_lo:[1,1,0]
	s_set_vgpr_msb 4                        ;  msbs: dst=0 src0=0 src1=1 src2=0
	v_dot4_i32_iu8 v244, v137, v43 /*v299*/, v147 neg_lo:[1,1,0]
	v_dot4_i32_iu8 v243, v95, v43 /*v299*/, v226 neg_lo:[1,1,0]
	s_set_vgpr_msb 0                        ;  msbs: dst=0 src0=0 src1=0 src2=0
	v_or_b32_e32 v145, v145, v220
	s_set_vgpr_msb 4                        ;  msbs: dst=0 src0=0 src1=1 src2=0
	v_lshlrev_b32_e32 v220, 16, v22 /*v278*/
	v_dual_lshlrev_b32 v226, 16, v46 /*v302*/ :: v_dual_lshlrev_b32 v227, 8, v46 /*v302*/
	v_dot4_i32_iu8 v147, v215, v43 /*v299*/, v232 neg_lo:[1,1,0]
	v_dot4_i32_iu8 v95, v145, v43 /*v299*/, v218 neg_lo:[1,1,0]
	s_delay_alu instid0(VALU_DEP_4)
	v_perm_b32 v137, v220, v22 /*v278*/, 0xc0c0700
	s_set_vgpr_msb 1                        ;  msbs: dst=0 src0=1 src1=0 src2=0
	v_perm_b32 v145, v21 /*v277*/, v225, 0x7030c0c
	s_set_vgpr_msb 4                        ;  msbs: dst=0 src0=0 src1=1 src2=0
	v_perm_b32 v215, v226, v46 /*v302*/, 0xc0c0700
	v_perm_b32 v218, v248, v65 /*v321*/, 0x7030c0c
	s_set_vgpr_msb 0                        ;  msbs: dst=0 src0=0 src1=0 src2=0
	v_perm_b32 v135, v135, v221, 0x7030c0c
	v_perm_b32 v221, v228, v222, 0x7030c0c
	v_or_b32_e32 v137, v145, v137
	s_set_vgpr_msb 1                        ;  msbs: dst=0 src0=1 src1=0 src2=0
	v_perm_b32 v145, v33 /*v289*/, v227, 0x7030c0c
	s_set_vgpr_msb 0                        ;  msbs: dst=0 src0=0 src1=0 src2=0
	v_perm_b32 v220, v225, v220, 0x7030c0c
	s_set_vgpr_msb 5                        ;  msbs: dst=0 src0=1 src1=1 src2=0
	v_perm_b32 v225, v14 /*v270*/, v14 /*v270*/, 0xc0c0003
	s_set_vgpr_msb 4                        ;  msbs: dst=0 src0=0 src1=1 src2=0
	v_dot4_i32_iu8 v128, v128, v54 /*v310*/, 0 neg_lo:[1,1,0]
	s_set_vgpr_msb 0                        ;  msbs: dst=0 src0=0 src1=0 src2=0
	v_perm_b32 v219, v219, v246, 0x7030c0c
	v_or_b32_e32 v145, v145, v215
	v_dot4_i32_iu8 v215, v137, v129, v229 neg_lo:[1,1,0]
	v_perm_b32 v222, v227, v226, 0x7030c0c
	s_set_vgpr_msb 4                        ;  msbs: dst=0 src0=0 src1=1 src2=0
	v_or_b32_e32 v226, v218, v12 /*v268*/
	s_set_vgpr_msb 5                        ;  msbs: dst=0 src0=1 src1=1 src2=0
	v_perm_b32 v218, v18 /*v274*/, v18 /*v274*/, 0xc0c0003
	s_set_vgpr_msb 0                        ;  msbs: dst=0 src0=0 src1=0 src2=0
	v_dot4_i32_iu8 v145, v145, v129, v217 neg_lo:[1,1,0]
	v_perm_b32 v129, v223, v223, 0x2010003
	s_set_vgpr_msb 5                        ;  msbs: dst=0 src0=1 src1=1 src2=0
	v_perm_b32 v223, v6 /*v262*/, v6 /*v262*/, 0xc0c0003
	v_perm_b32 v217, v35 /*v291*/, v34 /*v290*/, 0x7030c0c
	s_set_vgpr_msb 0                        ;  msbs: dst=0 src0=0 src1=0 src2=0
	v_or_b32_e32 v227, v221, v225
	s_set_vgpr_msb 5                        ;  msbs: dst=0 src0=1 src1=1 src2=0
	v_perm_b32 v221, v46 /*v302*/, v46 /*v302*/, 0xc0c0003
	s_set_vgpr_msb 64                       ;  msbs: dst=1 src0=0 src1=0 src2=0
	v_dual_lshlrev_b32 v36 /*v292*/, 16, v253 :: v_dual_lshlrev_b32 v37 /*v293*/, 8, v253
	s_set_vgpr_msb 0                        ;  msbs: dst=0 src0=0 src1=0 src2=0
	v_or_b32_e32 v223, v135, v223
	s_set_vgpr_msb 5                        ;  msbs: dst=0 src0=1 src1=1 src2=0
	v_perm_b32 v135, v22 /*v278*/, v22 /*v278*/, 0xc0c0003
	s_set_vgpr_msb 4                        ;  msbs: dst=0 src0=0 src1=1 src2=0
	v_dot4_i32_iu8 v237, v247, v49 /*v305*/, v237 neg_lo:[1,1,0]
	v_dot4_i32_iu8 v128, v250, v55 /*v311*/, v128 neg_lo:[1,1,0]
	s_set_vgpr_msb 1                        ;  msbs: dst=0 src0=1 src1=0 src2=0
	v_dot4_i32_iu8 v83, v24 /*v280*/, v238, v83 neg_lo:[1,1,0]
	s_set_vgpr_msb 4                        ;  msbs: dst=0 src0=0 src1=1 src2=0
	v_or_b32_e32 v217, v217, v40 /*v296*/
	s_set_vgpr_msb 16                       ;  msbs: dst=0 src0=0 src1=0 src2=1
	v_or_b32_e32 v229, v219, v218
	v_or_b32_e32 v232, v220, v135
	;; [unrolled: 1-line block ×3, first 2 shown]
	v_perm_b32 v196, v241, v241, 0xc0c0100
	v_perm_b32 v191, v241, v241, 0xc0c0302
	;; [unrolled: 1-line block ×4, first 2 shown]
	v_dot4_i32_iu8 v218, v226, v235, v27 /*v283*/ neg_lo:[1,1,0]
	s_set_vgpr_msb 4                        ;  msbs: dst=0 src0=0 src1=1 src2=0
	v_dot4_i32_iu8 v219, v226, v50 /*v306*/, v251 neg_lo:[1,1,0]
	v_dot4_i32_iu8 v220, v226, v56 /*v312*/, v224 neg_lo:[1,1,0]
	s_set_vgpr_msb 0                        ;  msbs: dst=0 src0=0 src1=0 src2=0
	v_dot4_i32_iu8 v225, v223, v235, v236 neg_lo:[1,1,0]
	s_set_vgpr_msb 20                       ;  msbs: dst=0 src0=0 src1=1 src2=1
	v_dot4_i32_iu8 v221, v223, v50 /*v306*/, v28 /*v284*/ neg_lo:[1,1,0]
	v_dot4_i32_iu8 v222, v223, v56 /*v312*/, v29 /*v285*/ neg_lo:[1,1,0]
	s_set_vgpr_msb 16                       ;  msbs: dst=0 src0=0 src1=0 src2=1
	v_dot4_i32_iu8 v226, v227, v235, v30 /*v286*/ neg_lo:[1,1,0]
	s_set_vgpr_msb 20                       ;  msbs: dst=0 src0=0 src1=1 src2=1
	v_dot4_i32_iu8 v223, v227, v50 /*v306*/, v0 /*v256*/ neg_lo:[1,1,0]
	s_set_vgpr_msb 4                        ;  msbs: dst=0 src0=0 src1=1 src2=0
	v_dot4_i32_iu8 v224, v227, v56 /*v312*/, v139 neg_lo:[1,1,0]
	s_set_vgpr_msb 0                        ;  msbs: dst=0 src0=0 src1=0 src2=0
	v_dot4_i32_iu8 v227, v229, v235, v233 neg_lo:[1,1,0]
	s_set_vgpr_msb 4                        ;  msbs: dst=0 src0=0 src1=1 src2=0
	v_dot4_i32_iu8 v228, v229, v50 /*v306*/, v230 neg_lo:[1,1,0]
	s_set_vgpr_msb 16                       ;  msbs: dst=0 src0=0 src1=0 src2=1
	v_dot4_i32_iu8 v230, v232, v129, v31 /*v287*/ neg_lo:[1,1,0]
	s_set_vgpr_msb 20                       ;  msbs: dst=0 src0=0 src1=1 src2=1
	v_dot4_i32_iu8 v231, v232, v50 /*v306*/, v32 /*v288*/ neg_lo:[1,1,0]
	s_set_vgpr_msb 4                        ;  msbs: dst=0 src0=0 src1=1 src2=0
	v_dot4_i32_iu8 v232, v232, v56 /*v312*/, v128 neg_lo:[1,1,0]
	s_set_vgpr_msb 0                        ;  msbs: dst=0 src0=0 src1=0 src2=0
	v_dot4_i32_iu8 v233, v238, v129, v87 neg_lo:[1,1,0]
	s_set_vgpr_msb 4                        ;  msbs: dst=0 src0=0 src1=1 src2=0
	v_lshlrev_b32_e32 v87, 8, v19 /*v275*/
	s_set_vgpr_msb 16                       ;  msbs: dst=0 src0=0 src1=0 src2=1
	v_dot4_i32_iu8 v246, v217, v235, v16 /*v272*/ neg_lo:[1,1,0]
	s_set_vgpr_msb 4                        ;  msbs: dst=0 src0=0 src1=1 src2=0
	v_dot4_i32_iu8 v247, v217, v50 /*v306*/, v237 neg_lo:[1,1,0]
	s_set_vgpr_msb 20                       ;  msbs: dst=0 src0=0 src1=1 src2=1
	v_dot4_i32_iu8 v248, v217, v56 /*v312*/, v20 /*v276*/ neg_lo:[1,1,0]
	s_set_vgpr_msb 5                        ;  msbs: dst=0 src0=1 src1=1 src2=0
	v_dot4_i32_iu8 v237, v26 /*v282*/, v61 /*v317*/, v97 neg_lo:[1,1,0]
	v_lshlrev_b32_e32 v97, 16, v23 /*v279*/
	s_set_vgpr_msb 0                        ;  msbs: dst=0 src0=0 src1=0 src2=0
	v_perm_b32 v217, v241, v241, 0x2010003
	s_set_vgpr_msb 4                        ;  msbs: dst=0 src0=0 src1=1 src2=0
	v_lshlrev_b32_e32 v241, 8, v23 /*v279*/
	s_set_vgpr_msb 1                        ;  msbs: dst=0 src0=1 src1=0 src2=0
	v_perm_b32 v128, v36 /*v292*/, v253, 0xc0c0700
	s_set_vgpr_msb 4                        ;  msbs: dst=0 src0=0 src1=1 src2=0
	v_perm_b32 v129, v255, v37 /*v293*/, 0x7030c0c
	s_set_vgpr_msb 0x44                     ;  msbs: dst=1 src0=0 src1=1 src2=0
	v_dual_lshlrev_b32 v8 /*v264*/, 8, v1 /*v257*/ :: v_dual_lshlrev_b32 v62 /*v318*/, 16, v3 /*v259*/
	v_perm_b32 v28 /*v284*/, v97, v23 /*v279*/, 0xc0c0700
	s_set_vgpr_msb 64                       ;  msbs: dst=1 src0=0 src1=0 src2=0
	v_perm_b32 v22 /*v278*/, v241, v97, 0x7030c0c
	s_set_vgpr_msb 5                        ;  msbs: dst=0 src0=1 src1=1 src2=0
	v_perm_b32 v97, v66 /*v322*/, v66 /*v322*/, 0xc0c030c
	s_set_vgpr_msb 64                       ;  msbs: dst=1 src0=0 src1=0 src2=0
	v_or_b32_e32 v66 /*v322*/, v129, v128
	s_set_vgpr_msb 0                        ;  msbs: dst=0 src0=0 src1=0 src2=0
	ds_load_2addr_b32 v[128:129], v133 offset1:7
	s_set_vgpr_msb 64                       ;  msbs: dst=1 src0=0 src1=0 src2=0
	v_perm_b32 v25 /*v281*/, v240, v240, 0xc0c0100
	v_dual_lshlrev_b32 v58 /*v314*/, 16, v255 :: v_dual_lshlrev_b32 v59 /*v315*/, 8, v255
	s_set_vgpr_msb 0x44                     ;  msbs: dst=1 src0=0 src1=1 src2=0
	v_dual_lshlrev_b32 v63 /*v319*/, 8, v3 /*v259*/ :: v_dual_lshlrev_b32 v24 /*v280*/, 8, v5 /*v261*/
	s_set_vgpr_msb 5                        ;  msbs: dst=0 src0=1 src1=1 src2=0
	v_perm_b32 v132, v3 /*v259*/, v3 /*v259*/, 0xc0c0003
	s_set_vgpr_msb 0x44                     ;  msbs: dst=1 src0=0 src1=1 src2=0
	v_dual_lshlrev_b32 v6 /*v262*/, 16, v9 /*v265*/ :: v_dual_lshlrev_b32 v49 /*v305*/, 8, v9 /*v265*/
	v_dual_lshlrev_b32 v0 /*v256*/, 16, v17 /*v273*/ :: v_dual_lshlrev_b32 v14 /*v270*/, 8, v17 /*v273*/
	s_set_vgpr_msb 4                        ;  msbs: dst=0 src0=0 src1=1 src2=0
	v_dot4_i32_iu8 v229, v229, v56 /*v312*/, v234 neg_lo:[1,1,0]
	s_set_vgpr_msb 0                        ;  msbs: dst=0 src0=0 src1=0 src2=0
	v_lshlrev_b32_e32 v139, 16, v136
	s_set_vgpr_msb 20                       ;  msbs: dst=0 src0=0 src1=1 src2=1
	v_dot4_i32_iu8 v235, v238, v56 /*v312*/, v48 /*v304*/ neg_lo:[1,1,0]
	s_set_vgpr_msb 0x45                     ;  msbs: dst=1 src0=1 src1=1 src2=0
	v_perm_b32 v56 /*v312*/, v3 /*v259*/, v8 /*v264*/, 0x7030c0c
	v_perm_b32 v55 /*v311*/, v62 /*v318*/, v3 /*v259*/, 0xc0c0700
	v_lshlrev_b32_e32 v3 /*v259*/, 16, v33 /*v289*/
	s_set_vgpr_msb 64                       ;  msbs: dst=1 src0=0 src1=0 src2=0
	v_perm_b32 v68 /*v324*/, v253, v253, 0xc0c0003
	v_perm_b32 v70 /*v326*/, v146, v146, 0xc0c0003
	s_set_vgpr_msb 0                        ;  msbs: dst=0 src0=0 src1=0 src2=0
	v_lshlrev_b32_e32 v130, 16, v144
	s_set_vgpr_msb 5                        ;  msbs: dst=0 src0=1 src1=1 src2=0
	v_perm_b32 v131, v1 /*v257*/, v1 /*v257*/, 0xc0c0003
	s_set_vgpr_msb 0x44                     ;  msbs: dst=1 src0=0 src1=1 src2=0
	v_dual_lshlrev_b32 v71 /*v327*/, 16, v7 /*v263*/ :: v_dual_lshlrev_b32 v73 /*v329*/, 8, v7 /*v263*/
	s_set_vgpr_msb 0                        ;  msbs: dst=0 src0=0 src1=0 src2=0
	v_lshlrev_b32_e32 v137, 16, v140
	s_set_vgpr_msb 0x45                     ;  msbs: dst=1 src0=1 src1=1 src2=0
	v_perm_b32 v41 /*v297*/, v5 /*v261*/, v5 /*v261*/, 0xc0c0003
	v_dual_lshlrev_b32 v74 /*v330*/, 16, v15 /*v271*/ :: v_dual_lshlrev_b32 v75 /*v331*/, 8, v15 /*v271*/
	s_set_vgpr_msb 0                        ;  msbs: dst=0 src0=0 src1=0 src2=0
	v_lshlrev_b32_e32 v135, 16, v138
	s_set_vgpr_msb 0x45                     ;  msbs: dst=1 src0=1 src1=1 src2=0
	v_perm_b32 v38 /*v294*/, v9 /*v265*/, v9 /*v265*/, 0xc0c0003
	v_lshlrev_b32_e32 v76 /*v332*/, 16, v19 /*v275*/
	s_set_vgpr_msb 20                       ;  msbs: dst=0 src0=0 src1=1 src2=1
	v_dot4_i32_iu8 v234, v238, v50 /*v306*/, v11 /*v267*/ neg_lo:[1,1,0]
	s_set_vgpr_msb 0                        ;  msbs: dst=0 src0=0 src1=0 src2=0
	v_lshlrev_b32_e32 v251, 8, v136
	s_set_vgpr_msb 5                        ;  msbs: dst=0 src0=1 src1=1 src2=0
	v_dot4_i32_iu8 v238, v26 /*v282*/, v25 /*v281*/, v254 neg_lo:[1,1,0]
	s_set_vgpr_msb 1                        ;  msbs: dst=0 src0=1 src1=0 src2=0
	v_dot4_i32_iu8 v239, v26 /*v282*/, v239, v83 neg_lo:[1,1,0]
	s_set_vgpr_msb 21                       ;  msbs: dst=0 src0=1 src1=1 src2=1
	v_lshlrev_b32_e32 v254, 16, v21 /*v277*/
	v_dot4_i32_iu8 v236, v26 /*v282*/, v53 /*v309*/, v2 /*v258*/ neg_lo:[1,1,0]
	s_set_vgpr_msb 0x44                     ;  msbs: dst=1 src0=0 src1=1 src2=0
	v_lshlrev_b32_e32 v2 /*v258*/, 8, v21 /*v277*/
	s_set_vgpr_msb 5                        ;  msbs: dst=0 src0=1 src1=1 src2=0
	v_or_b32_e32 v83, v44 /*v300*/, v45 /*v301*/
	v_perm_b32 v253, v37 /*v293*/, v36 /*v292*/, 0x7030c0c
	s_set_vgpr_msb 0x45                     ;  msbs: dst=1 src0=1 src1=1 src2=0
	v_perm_b32 v54 /*v310*/, v4 /*v260*/, v1 /*v257*/, 0xc0c0700
	v_perm_b32 v61 /*v317*/, v8 /*v264*/, v4 /*v260*/, 0x7030c0c
	s_set_vgpr_msb 0x44                     ;  msbs: dst=1 src0=0 src1=1 src2=0
	v_perm_b32 v50 /*v306*/, v252, v5 /*v261*/, 0xc0c0700
	s_set_vgpr_msb 0x41                     ;  msbs: dst=1 src0=1 src1=0 src2=0
	v_perm_b32 v57 /*v313*/, v24 /*v280*/, v252, 0x7030c0c
	s_set_vgpr_msb 0x45                     ;  msbs: dst=1 src0=1 src1=1 src2=0
	v_perm_b32 v52 /*v308*/, v7 /*v263*/, v24 /*v280*/, 0x7030c0c
	v_lshlrev_b32_e32 v4 /*v260*/, 8, v33 /*v289*/
	v_perm_b32 v48 /*v304*/, v6 /*v262*/, v9 /*v265*/, 0xc0c0700
	v_lshlrev_b32_e32 v5 /*v261*/, 16, v47 /*v303*/
	;; [unrolled: 2-line block ×3, first 2 shown]
	v_perm_b32 v36 /*v292*/, v0 /*v256*/, v17 /*v273*/, 0xc0c0700
	v_dual_lshlrev_b32 v24 /*v280*/, 16, v10 /*v266*/ :: v_dual_lshlrev_b32 v77 /*v333*/, 8, v10 /*v266*/
	v_perm_b32 v45 /*v301*/, v14 /*v270*/, v0 /*v256*/, 0x7030c0c
	v_perm_b32 v0 /*v256*/, v33 /*v289*/, v33 /*v289*/, 0xc0c0003
	;; [unrolled: 1-line block ×3, first 2 shown]
	s_set_vgpr_msb 64                       ;  msbs: dst=1 src0=0 src1=0 src2=0
	v_perm_b32 v46 /*v302*/, v136, v136, 0xc0c0003
	s_set_vgpr_msb 0x44                     ;  msbs: dst=1 src0=0 src1=1 src2=0
	v_perm_b32 v65 /*v321*/, v146, v59 /*v315*/, 0x7030c0c
	s_set_vgpr_msb 0x41                     ;  msbs: dst=1 src0=1 src1=0 src2=0
	v_perm_b32 v16 /*v272*/, v67 /*v323*/, v146, 0xc0c0700
	s_wait_dscnt 0x1
	v_lshlrev_b32_e32 v1 /*v257*/, 16, v143
	s_set_vgpr_msb 0                        ;  msbs: dst=0 src0=0 src1=0 src2=0
	v_perm_b32 v146, v142, v81, 0x4020c00
	s_set_vgpr_msb 64                       ;  msbs: dst=1 src0=0 src1=0 src2=0
	v_perm_b32 v33 /*v289*/, v136, v87, 0x7030c0c
	v_perm_b32 v9 /*v265*/, v139, v136, 0xc0c0700
	s_set_vgpr_msb 0                        ;  msbs: dst=0 src0=0 src1=0 src2=0
	v_perm_b32 v136, v81, v81, 0xc0c010c
	s_set_vgpr_msb 64                       ;  msbs: dst=1 src0=0 src1=0 src2=0
	v_perm_b32 v69 /*v325*/, v255, v255, 0xc0c0003
	s_set_vgpr_msb 0                        ;  msbs: dst=0 src0=0 src1=0 src2=0
	v_lshlrev_b32_e32 v245, 8, v144
	v_perm_b32 v134, v144, v144, 0xc0c0003
	s_set_vgpr_msb 0x45                     ;  msbs: dst=1 src0=1 src1=1 src2=0
	v_perm_b32 v42 /*v298*/, v7 /*v263*/, v7 /*v263*/, 0xc0c0003
	s_set_vgpr_msb 64                       ;  msbs: dst=1 src0=0 src1=0 src2=0
	v_perm_b32 v39 /*v295*/, v140, v140, 0xc0c0003
	s_set_vgpr_msb 0                        ;  msbs: dst=0 src0=0 src1=0 src2=0
	v_lshlrev_b32_e32 v250, 8, v138
	s_set_vgpr_msb 0x45                     ;  msbs: dst=1 src0=1 src1=1 src2=0
	v_perm_b32 v40 /*v296*/, v15 /*v271*/, v15 /*v271*/, 0xc0c0003
	s_set_vgpr_msb 64                       ;  msbs: dst=1 src0=0 src1=0 src2=0
	v_perm_b32 v43 /*v299*/, v138, v138, 0xc0c0003
	s_set_vgpr_msb 0x45                     ;  msbs: dst=1 src0=1 src1=1 src2=0
	v_perm_b32 v34 /*v290*/, v17 /*v273*/, v17 /*v273*/, 0xc0c0003
	v_perm_b32 v35 /*v291*/, v19 /*v275*/, v19 /*v275*/, 0xc0c0003
	s_set_vgpr_msb 0x41                     ;  msbs: dst=1 src0=1 src1=0 src2=0
	v_dual_lshlrev_b32 v25 /*v281*/, 16, v242 :: v_dual_lshlrev_b32 v26 /*v282*/, 8, v242
	v_perm_b32 v60 /*v316*/, v58 /*v314*/, v255, 0xc0c0700
	s_set_vgpr_msb 0x45                     ;  msbs: dst=1 src0=1 src1=1 src2=0
	v_perm_b32 v13 /*v269*/, v21 /*v277*/, v21 /*v277*/, 0xc0c0003
	v_perm_b32 v11 /*v267*/, v23 /*v279*/, v23 /*v279*/, 0xc0c0003
	v_perm_b32 v51 /*v307*/, v71 /*v327*/, v7 /*v263*/, 0xc0c0700
	v_perm_b32 v49 /*v305*/, v15 /*v271*/, v49 /*v305*/, 0x7030c0c
	v_perm_b32 v44 /*v300*/, v74 /*v330*/, v15 /*v271*/, 0xc0c0700
	v_perm_b32 v37 /*v293*/, v19 /*v275*/, v14 /*v270*/, 0x7030c0c
	v_perm_b32 v32 /*v288*/, v76 /*v332*/, v19 /*v275*/, 0xc0c0700
	s_set_vgpr_msb 0x44                     ;  msbs: dst=1 src0=0 src1=1 src2=0
	v_perm_b32 v30 /*v286*/, v254, v21 /*v277*/, 0xc0c0700
	s_set_vgpr_msb 0x45                     ;  msbs: dst=1 src0=1 src1=1 src2=0
	v_perm_b32 v31 /*v287*/, v23 /*v279*/, v2 /*v258*/, 0x7030c0c
	s_set_vgpr_msb 64                       ;  msbs: dst=1 src0=0 src1=0 src2=0
	v_perm_b32 v29 /*v285*/, v242, v241, 0x7030c0c
	s_set_vgpr_msb 0x41                     ;  msbs: dst=1 src0=1 src1=0 src2=0
	v_perm_b32 v23 /*v279*/, v2 /*v258*/, v254, 0x7030c0c
	s_set_vgpr_msb 5                        ;  msbs: dst=0 src0=1 src1=1 src2=0
	v_perm_b32 v255, v47 /*v303*/, v47 /*v303*/, 0xc0c0003
	v_perm_b32 v254, v10 /*v266*/, v10 /*v266*/, 0xc0c0003
	s_set_vgpr_msb 0x45                     ;  msbs: dst=1 src0=1 src1=1 src2=0
	v_perm_b32 v21 /*v277*/, v47 /*v303*/, v4 /*v260*/, 0x7030c0c
	v_perm_b32 v18 /*v274*/, v5 /*v261*/, v47 /*v303*/, 0xc0c0700
	;; [unrolled: 1-line block ×4, first 2 shown]
	s_set_vgpr_msb 5                        ;  msbs: dst=0 src0=1 src1=1 src2=0
	v_perm_b32 v241, v59 /*v315*/, v58 /*v314*/, 0x7030c0c
	s_set_vgpr_msb 0x45                     ;  msbs: dst=1 src0=1 src1=1 src2=0
	v_perm_b32 v64 /*v320*/, v63 /*v319*/, v62 /*v318*/, 0x7030c0c
	s_set_vgpr_msb 0x44                     ;  msbs: dst=1 src0=0 src1=1 src2=0
	v_perm_b32 v63 /*v319*/, v144, v63 /*v319*/, 0x7030c0c
	s_set_vgpr_msb 64                       ;  msbs: dst=1 src0=0 src1=0 src2=0
	v_perm_b32 v15 /*v271*/, v130, v144, 0xc0c0700
	v_lshlrev_b32_e32 v2 /*v258*/, 8, v143
	s_set_vgpr_msb 0x44                     ;  msbs: dst=1 src0=0 src1=1 src2=0
	v_perm_b32 v59 /*v315*/, v140, v73 /*v329*/, 0x7030c0c
	s_set_vgpr_msb 64                       ;  msbs: dst=1 src0=0 src1=0 src2=0
	v_perm_b32 v14 /*v270*/, v137, v140, 0xc0c0700
	s_set_vgpr_msb 0x44                     ;  msbs: dst=1 src0=0 src1=1 src2=0
	v_perm_b32 v47 /*v303*/, v138, v75 /*v331*/, 0x7030c0c
	s_set_vgpr_msb 64                       ;  msbs: dst=1 src0=0 src1=0 src2=0
	v_perm_b32 v10 /*v266*/, v135, v138, 0xc0c0700
	s_set_vgpr_msb 0                        ;  msbs: dst=0 src0=0 src1=0 src2=0
	v_perm_b32 v144, v142, v142, 0xc030201
	s_set_vgpr_msb 4                        ;  msbs: dst=0 src0=0 src1=1 src2=0
	v_perm_b32 v138, v87, v76 /*v332*/, 0x7030c0c
	s_set_vgpr_msb 0                        ;  msbs: dst=0 src0=0 src1=0 src2=0
	v_perm_b32 v252, v143, v143, 0xc0c0003
	s_set_vgpr_msb 0x45                     ;  msbs: dst=1 src0=1 src1=1 src2=0
	v_perm_b32 v8 /*v264*/, v4 /*v260*/, v3 /*v259*/, 0x7030c0c
	s_set_vgpr_msb 0                        ;  msbs: dst=0 src0=0 src1=0 src2=0
	v_perm_b32 v140, v142, v142, 0xc0c0100
	s_set_vgpr_msb 0x45                     ;  msbs: dst=1 src0=1 src1=1 src2=0
	v_perm_b32 v7 /*v263*/, v6 /*v262*/, v5 /*v261*/, 0x7030c0c
	;; [unrolled: 4-line block ×3, first 2 shown]
	s_set_vgpr_msb 0x44                     ;  msbs: dst=1 src0=0 src1=1 src2=0
	v_perm_b32 v24 /*v280*/, v143, v77 /*v333*/, 0x7030c0c
	s_set_vgpr_msb 0x41                     ;  msbs: dst=1 src0=1 src1=0 src2=0
	v_perm_b32 v5 /*v261*/, v1 /*v257*/, v143, 0xc0c0700
	s_set_vgpr_msb 0                        ;  msbs: dst=0 src0=0 src1=0 src2=0
	v_perm_b32 v142, v116, v81, 0x4020c00
	v_or_b32_e32 v143, v146, v136
	s_set_vgpr_msb 64                       ;  msbs: dst=1 src0=0 src1=0 src2=0
	v_dual_lshlrev_b32 v3 /*v259*/, 16, v99 :: v_dual_lshlrev_b32 v4 /*v260*/, 8, v99
	s_set_vgpr_msb 4                        ;  msbs: dst=0 src0=0 src1=1 src2=0
	v_perm_b32 v146, v216, v67 /*v323*/, 0x7030c0c
	s_set_vgpr_msb 64                       ;  msbs: dst=1 src0=0 src1=0 src2=0
	v_perm_b32 v12 /*v268*/, v242, v242, 0xc0c0003
	s_set_vgpr_msb 0x41                     ;  msbs: dst=1 src0=1 src1=0 src2=0
	v_perm_b32 v27 /*v283*/, v25 /*v281*/, v242, 0xc0c0700
	s_set_vgpr_msb 0                        ;  msbs: dst=0 src0=0 src1=0 src2=0
	v_or_b32_e32 v142, v142, v136
	s_set_vgpr_msb 4                        ;  msbs: dst=0 src0=0 src1=1 src2=0
	v_or_b32_e32 v242, v241, v69 /*v325*/
	s_set_vgpr_msb 0                        ;  msbs: dst=0 src0=0 src1=0 src2=0
	v_perm_b32 v136, v99, v99, 0xc0c0003
	s_set_vgpr_msb 4                        ;  msbs: dst=0 src0=0 src1=1 src2=0
	v_or_b32_e32 v241, v146, v70 /*v326*/
	s_set_vgpr_msb 5                        ;  msbs: dst=0 src0=1 src1=1 src2=0
	v_perm_b32 v146, v4 /*v260*/, v3 /*v259*/, 0x7030c0c
	s_set_vgpr_msb 0x45                     ;  msbs: dst=1 src0=1 src1=1 src2=0
	v_or_b32_e32 v60 /*v316*/, v65 /*v321*/, v60 /*v316*/
	s_wait_dscnt 0x0
	s_set_vgpr_msb 0x41                     ;  msbs: dst=1 src0=1 src1=0 src2=0
	v_dual_lshlrev_b32 v65 /*v321*/, 16, v129 :: v_dual_bitop2_b32 v61 /*v317*/, v61 /*v317*/, v131 bitop3:0x54
	v_lshlrev_b32_e32 v67 /*v323*/, 8, v129
	s_set_vgpr_msb 0                        ;  msbs: dst=0 src0=0 src1=0 src2=0
	v_perm_b32 v130, v245, v130, 0x7030c0c
	s_set_vgpr_msb 4                        ;  msbs: dst=0 src0=0 src1=1 src2=0
	v_or_b32_e32 v253, v253, v68 /*v324*/
	s_set_vgpr_msb 0                        ;  msbs: dst=0 src0=0 src1=0 src2=0
	v_or_b32_e32 v146, v146, v136
	v_add_nc_u32_e32 v136, 0xc00, v182
	v_perm_b32 v131, v129, v129, 0xc0c0003
	s_set_vgpr_msb 64                       ;  msbs: dst=1 src0=0 src1=0 src2=0
	v_or_b32_e32 v68 /*v324*/, v130, v134
	s_set_vgpr_msb 5                        ;  msbs: dst=0 src0=1 src1=1 src2=0
	v_perm_b32 v130, v67 /*v323*/, v65 /*v321*/, 0x7030c0c
	s_set_vgpr_msb 0x45                     ;  msbs: dst=1 src0=1 src1=1 src2=0
	v_or_b32_e32 v54 /*v310*/, v56 /*v312*/, v54 /*v310*/
	v_or_b32_e32 v41 /*v297*/, v57 /*v313*/, v41 /*v297*/
	s_set_vgpr_msb 0                        ;  msbs: dst=0 src0=0 src1=0 src2=0
	v_perm_b32 v134, v249, v137, 0x7030c0c
	s_set_vgpr_msb 0x45                     ;  msbs: dst=1 src0=1 src1=1 src2=0
	v_perm_b32 v62 /*v318*/, v73 /*v329*/, v71 /*v327*/, 0x7030c0c
	s_set_vgpr_msb 64                       ;  msbs: dst=1 src0=0 src1=0 src2=0
	v_or_b32_e32 v69 /*v325*/, v130, v131
	s_set_vgpr_msb 0                        ;  msbs: dst=0 src0=0 src1=0 src2=0
	ds_load_2addr_b32 v[130:131], v136 offset1:7
	s_set_vgpr_msb 0x41                     ;  msbs: dst=1 src0=1 src1=0 src2=0
	v_or_b32_e32 v64 /*v320*/, v64 /*v320*/, v132
	s_set_vgpr_msb 0                        ;  msbs: dst=0 src0=0 src1=0 src2=0
	v_add_nc_u32_e32 v132, 0x1000, v182
	s_set_vgpr_msb 0x44                     ;  msbs: dst=1 src0=0 src1=1 src2=0
	v_or_b32_e32 v39 /*v295*/, v134, v39 /*v295*/
	s_set_vgpr_msb 0x45                     ;  msbs: dst=1 src0=1 src1=1 src2=0
	v_or_b32_e32 v42 /*v298*/, v62 /*v318*/, v42 /*v298*/
	v_or_b32_e32 v50 /*v306*/, v52 /*v308*/, v50 /*v306*/
	;; [unrolled: 1-line block ×3, first 2 shown]
	s_set_vgpr_msb 0                        ;  msbs: dst=0 src0=0 src1=0 src2=0
	v_perm_b32 v135, v250, v135, 0x7030c0c
	s_set_vgpr_msb 0x45                     ;  msbs: dst=1 src0=1 src1=1 src2=0
	v_perm_b32 v58 /*v314*/, v75 /*v331*/, v74 /*v330*/, 0x7030c0c
	v_or_b32_e32 v34 /*v290*/, v45 /*v301*/, v34 /*v290*/
	s_set_vgpr_msb 0x44                     ;  msbs: dst=1 src0=0 src1=1 src2=0
	v_or_b32_e32 v35 /*v291*/, v138, v35 /*v291*/
	s_set_vgpr_msb 0                        ;  msbs: dst=0 src0=0 src1=0 src2=0
	v_perm_b32 v139, v251, v139, 0x7030c0c
	s_set_vgpr_msb 0x44                     ;  msbs: dst=1 src0=0 src1=1 src2=0
	v_or_b32_e32 v43 /*v299*/, v135, v43 /*v299*/
	s_set_vgpr_msb 0x45                     ;  msbs: dst=1 src0=1 src1=1 src2=0
	v_or_b32_e32 v40 /*v296*/, v58 /*v314*/, v40 /*v296*/
	s_set_vgpr_msb 0                        ;  msbs: dst=0 src0=0 src1=0 src2=0
	v_perm_b32 v202, v240, v240, 0xc0c0302
	v_perm_b32 v240, v240, v240, 0x2010003
	s_set_vgpr_msb 0x44                     ;  msbs: dst=1 src0=0 src1=1 src2=0
	v_or_b32_e32 v46 /*v302*/, v139, v46 /*v302*/
	s_set_vgpr_msb 0x45                     ;  msbs: dst=1 src0=1 src1=1 src2=0
	v_or_b32_e32 v48 /*v304*/, v49 /*v305*/, v48 /*v304*/
	v_or_b32_e32 v30 /*v286*/, v31 /*v287*/, v30 /*v286*/
	;; [unrolled: 1-line block ×3, first 2 shown]
	s_wait_dscnt 0x0
	s_set_vgpr_msb 64                       ;  msbs: dst=1 src0=0 src1=0 src2=0
	v_dual_lshlrev_b32 v56 /*v312*/, 16, v131 :: v_dual_lshlrev_b32 v57 /*v313*/, 8, v131
	s_set_vgpr_msb 0                        ;  msbs: dst=0 src0=0 src1=0 src2=0
	v_perm_b32 v133, v131, v131, 0xc0c0003
	s_set_vgpr_msb 0x45                     ;  msbs: dst=1 src0=1 src1=1 src2=0
	v_or_b32_e32 v20 /*v276*/, v21 /*v277*/, v20 /*v276*/
	v_or_b32_e32 v0 /*v256*/, v8 /*v264*/, v0 /*v256*/
	;; [unrolled: 1-line block ×3, first 2 shown]
	s_set_vgpr_msb 5                        ;  msbs: dst=0 src0=1 src1=1 src2=0
	v_perm_b32 v134, v57 /*v313*/, v56 /*v312*/, 0x7030c0c
	s_set_vgpr_msb 0x45                     ;  msbs: dst=1 src0=1 src1=1 src2=0
	v_or_b32_e32 v51 /*v307*/, v59 /*v315*/, v51 /*v307*/
	v_or_b32_e32 v32 /*v288*/, v33 /*v289*/, v32 /*v288*/
	v_or_b32_e32 v28 /*v284*/, v29 /*v285*/, v28 /*v284*/
	v_perm_b32 v25 /*v281*/, v26 /*v282*/, v25 /*v281*/, 0x7030c0c
	s_set_vgpr_msb 64                       ;  msbs: dst=1 src0=0 src1=0 src2=0
	v_or_b32_e32 v62 /*v318*/, v134, v133
	s_set_vgpr_msb 0                        ;  msbs: dst=0 src0=0 src1=0 src2=0
	ds_load_2addr_b32 v[132:133], v132 offset1:7
	v_add_nc_u32_e32 v134, 0x1400, v182
	s_set_vgpr_msb 0x44                     ;  msbs: dst=1 src0=0 src1=1 src2=0
	v_perm_b32 v26 /*v282*/, v117, v26 /*v282*/, 0x7030c0c
	s_set_vgpr_msb 0x45                     ;  msbs: dst=1 src0=1 src1=1 src2=0
	v_or_b32_e32 v11 /*v267*/, v22 /*v278*/, v11 /*v267*/
	s_set_vgpr_msb 64                       ;  msbs: dst=1 src0=0 src1=0 src2=0
	v_lshlrev_b32_e32 v21 /*v277*/, 16, v117
	s_set_vgpr_msb 0x45                     ;  msbs: dst=1 src0=1 src1=1 src2=0
	v_or_b32_e32 v18 /*v274*/, v19 /*v275*/, v18 /*v274*/
	s_set_vgpr_msb 0                        ;  msbs: dst=0 src0=0 src1=0 src2=0
	v_perm_b32 v216, v99, v216, 0x7030c0c
	v_perm_b32 v249, v131, v249, 0x7030c0c
	s_set_vgpr_msb 1                        ;  msbs: dst=0 src0=1 src1=0 src2=0
	v_or_b32_e32 v255, v7 /*v263*/, v255
	v_perm_b32 v99, v3 /*v259*/, v99, 0xc0c0700
	s_set_vgpr_msb 0x44                     ;  msbs: dst=1 src0=0 src1=1 src2=0
	v_perm_b32 v3 /*v259*/, v98, v4 /*v260*/, 0x4030c0c
	s_set_vgpr_msb 1                        ;  msbs: dst=0 src0=1 src1=0 src2=0
	v_dot4_i32_iu8 v244, v66 /*v322*/, v212, v244 neg_lo:[1,1,0]
	s_set_vgpr_msb 0                        ;  msbs: dst=0 src0=0 src1=0 src2=0
	v_dot4_i32_iu8 v246, v253, v197, v246 neg_lo:[1,1,0]
	v_dot4_i32_iu8 v247, v253, v210, v247 neg_lo:[1,1,0]
	;; [unrolled: 1-line block ×3, first 2 shown]
	s_set_vgpr_msb 1                        ;  msbs: dst=0 src0=1 src1=0 src2=0
	v_dot4_i32_iu8 v243, v54 /*v310*/, v212, v243 neg_lo:[1,1,0]
	v_dot4_i32_iu8 v218, v61 /*v317*/, v197, v218 neg_lo:[1,1,0]
	;; [unrolled: 1-line block ×5, first 2 shown]
	s_wait_dscnt 0x0
	s_set_vgpr_msb 64                       ;  msbs: dst=1 src0=0 src1=0 src2=0
	v_dual_lshlrev_b32 v52 /*v308*/, 16, v133 :: v_dual_lshlrev_b32 v53 /*v309*/, 8, v133
	s_set_vgpr_msb 0                        ;  msbs: dst=0 src0=0 src1=0 src2=0
	v_perm_b32 v136, v133, v133, 0xc0c0003
	v_perm_b32 v250, v133, v250, 0x7030c0c
	s_set_vgpr_msb 1                        ;  msbs: dst=0 src0=1 src1=0 src2=0
	v_dot4_i32_iu8 v147, v50 /*v306*/, v212, v147 neg_lo:[1,1,0]
	v_dot4_i32_iu8 v221, v41 /*v297*/, v210, v221 neg_lo:[1,1,0]
	s_set_vgpr_msb 5                        ;  msbs: dst=0 src0=1 src1=1 src2=0
	v_perm_b32 v135, v53 /*v309*/, v52 /*v308*/, 0x7030c0c
	s_set_vgpr_msb 1                        ;  msbs: dst=0 src0=1 src1=0 src2=0
	v_dot4_i32_iu8 v222, v41 /*v297*/, v214, v222 neg_lo:[1,1,0]
	v_dot4_i32_iu8 v226, v38 /*v294*/, v197, v226 neg_lo:[1,1,0]
	;; [unrolled: 1-line block ×4, first 2 shown]
	s_set_vgpr_msb 64                       ;  msbs: dst=1 src0=0 src1=0 src2=0
	v_or_b32_e32 v58 /*v314*/, v135, v136
	s_set_vgpr_msb 0                        ;  msbs: dst=0 src0=0 src1=0 src2=0
	ds_load_2addr_b32 v[134:135], v134 offset1:7
	ds_load_2addr_b32 v[136:137], v211 offset1:1
	s_set_vgpr_msb 5                        ;  msbs: dst=0 src0=1 src1=1 src2=0
	v_or_b32_e32 v211, v47 /*v303*/, v44 /*v300*/
	s_set_vgpr_msb 1                        ;  msbs: dst=0 src0=1 src1=0 src2=0
	v_dot4_i32_iu8 v224, v38 /*v294*/, v214, v224 neg_lo:[1,1,0]
	v_dot4_i32_iu8 v197, v34 /*v290*/, v197, v227 neg_lo:[1,1,0]
	;; [unrolled: 1-line block ×6, first 2 shown]
	s_set_vgpr_msb 64                       ;  msbs: dst=1 src0=0 src1=0 src2=0
	v_perm_b32 v31 /*v287*/, v81, v80, 0x7020100
	s_set_vgpr_msb 0x45                     ;  msbs: dst=1 src0=1 src1=1 src2=0
	v_or_b32_e32 v26 /*v282*/, v26 /*v282*/, v27 /*v283*/
	v_or_b32_e32 v12 /*v268*/, v25 /*v281*/, v12 /*v268*/
	s_set_vgpr_msb 64                       ;  msbs: dst=1 src0=0 src1=0 src2=0
	v_perm_b32 v19 /*v275*/, v84, v84, 0x2010003
	s_set_vgpr_msb 0x45                     ;  msbs: dst=1 src0=1 src1=1 src2=0
	v_or_b32_e32 v17 /*v273*/, v24 /*v280*/, v17 /*v273*/
	s_set_vgpr_msb 64                       ;  msbs: dst=1 src0=0 src1=0 src2=0
	v_perm_b32 v24 /*v280*/, v85, v84, 0x7020100
	s_set_vgpr_msb 0                        ;  msbs: dst=0 src0=0 src1=0 src2=0
	v_perm_b32 v245, v129, v245, 0x7030c0c
	s_set_vgpr_msb 4                        ;  msbs: dst=0 src0=0 src1=1 src2=0
	v_or_b32_e32 v249, v249, v14 /*v270*/
	s_set_vgpr_msb 1                        ;  msbs: dst=0 src0=1 src1=0 src2=0
	v_perm_b32 v131, v56 /*v312*/, v131, 0xc0c0700
	s_set_vgpr_msb 4                        ;  msbs: dst=0 src0=0 src1=1 src2=0
	v_or_b32_e32 v250, v250, v10 /*v266*/
	s_set_vgpr_msb 1                        ;  msbs: dst=0 src0=1 src1=0 src2=0
	v_perm_b32 v133, v52 /*v308*/, v133, 0xc0c0700
	s_wait_dscnt 0x1
	s_set_vgpr_msb 64                       ;  msbs: dst=1 src0=0 src1=0 src2=0
	v_lshlrev_b32_e32 v44 /*v300*/, 16, v135
	s_set_vgpr_msb 0                        ;  msbs: dst=0 src0=0 src1=0 src2=0
	v_perm_b32 v138, v135, v135, 0xc0c0003
	s_set_vgpr_msb 64                       ;  msbs: dst=1 src0=0 src1=0 src2=0
	v_lshlrev_b32_e32 v45 /*v301*/, 8, v135
	s_set_vgpr_msb 0                        ;  msbs: dst=0 src0=0 src1=0 src2=0
	v_perm_b32 v251, v135, v251, 0x7030c0c
	s_wait_dscnt 0x0
	s_set_vgpr_msb 64                       ;  msbs: dst=1 src0=0 src1=0 src2=0
	v_perm_b32 v27 /*v283*/, v136, v136, 0x2010003
	s_set_vgpr_msb 1                        ;  msbs: dst=0 src0=1 src1=0 src2=0
	v_perm_b32 v135, v44 /*v300*/, v135, 0xc0c0700
	s_set_vgpr_msb 64                       ;  msbs: dst=1 src0=0 src1=0 src2=0
	v_perm_b32 v8 /*v264*/, v117, v117, 0xc0c0003
	s_set_vgpr_msb 5                        ;  msbs: dst=0 src0=1 src1=1 src2=0
	v_perm_b32 v139, v45 /*v301*/, v44 /*v300*/, 0x7030c0c
	s_set_vgpr_msb 4                        ;  msbs: dst=0 src0=0 src1=1 src2=0
	v_or_b32_e32 v251, v251, v9 /*v265*/
	s_set_vgpr_msb 64                       ;  msbs: dst=1 src0=0 src1=0 src2=0
	v_lshlrev_b32_e32 v9 /*v265*/, 8, v117
	s_set_vgpr_msb 1                        ;  msbs: dst=0 src0=1 src1=0 src2=0
	v_or_b32_e32 v254, v6 /*v262*/, v254
	s_set_vgpr_msb 0x45                     ;  msbs: dst=1 src0=1 src1=1 src2=0
	v_perm_b32 v1 /*v257*/, v2 /*v258*/, v1 /*v257*/, 0x7030c0c
	s_set_vgpr_msb 64                       ;  msbs: dst=1 src0=0 src1=0 src2=0
	v_or_b32_e32 v47 /*v303*/, v139, v138
	s_set_vgpr_msb 0                        ;  msbs: dst=0 src0=0 src1=0 src2=0
	ds_load_2addr_b32 v[138:139], v208 offset1:1
	s_set_vgpr_msb 5                        ;  msbs: dst=0 src0=1 src1=1 src2=0
	v_or_b32_e32 v208, v37 /*v293*/, v36 /*v292*/
	s_set_vgpr_msb 64                       ;  msbs: dst=1 src0=0 src1=0 src2=0
	v_perm_b32 v36 /*v292*/, v80, v80, 0x2010003
	s_set_vgpr_msb 0x44                     ;  msbs: dst=1 src0=0 src1=1 src2=0
	v_perm_b32 v37 /*v293*/, v130, v57 /*v313*/, 0x4030c0c
	v_perm_b32 v44 /*v300*/, v134, v45 /*v301*/, 0x4030c0c
	;; [unrolled: 1-line block ×3, first 2 shown]
	s_set_vgpr_msb 0                        ;  msbs: dst=0 src0=0 src1=0 src2=0
	v_dot4_i32_iu8 v95, v208, v212, v95 neg_lo:[1,1,0]
	s_set_vgpr_msb 1                        ;  msbs: dst=0 src0=1 src1=0 src2=0
	v_dot4_i32_iu8 v208, v34 /*v290*/, v210, v228 neg_lo:[1,1,0]
	v_dot4_i32_iu8 v212, v34 /*v290*/, v214, v229 neg_lo:[1,1,0]
	;; [unrolled: 1-line block ×6, first 2 shown]
	s_set_vgpr_msb 0x44                     ;  msbs: dst=1 src0=0 src1=1 src2=0
	v_perm_b32 v2 /*v258*/, v82, v2 /*v258*/, 0x4030c0c
	s_set_vgpr_msb 1                        ;  msbs: dst=0 src0=1 src1=0 src2=0
	v_or_b32_e32 v99, v3 /*v259*/, v99
	v_perm_b32 v117, v21 /*v277*/, v117, 0xc0c0700
	s_set_vgpr_msb 0x45                     ;  msbs: dst=1 src0=1 src1=1 src2=0
	v_perm_b32 v3 /*v259*/, v9 /*v265*/, v21 /*v277*/, 0x7030c0c
	s_set_vgpr_msb 0x44                     ;  msbs: dst=1 src0=0 src1=1 src2=0
	v_perm_b32 v4 /*v260*/, v82, v9 /*v265*/, 0x4030c0c
	s_set_vgpr_msb 0                        ;  msbs: dst=0 src0=0 src1=0 src2=0
	v_dot4_i32_iu8 v202, v201, v202, v238 neg_lo:[1,1,0]
	v_dot4_i32_iu8 v230, v242, v192, v246 neg_lo:[1,1,0]
	s_wait_dscnt 0x0
	s_set_vgpr_msb 64                       ;  msbs: dst=1 src0=0 src1=0 src2=0
	v_perm_b32 v22 /*v278*/, v138, v138, 0x2010003
	s_set_vgpr_msb 0                        ;  msbs: dst=0 src0=0 src1=0 src2=0
	v_dot4_i32_iu8 v194, v201, v194, v239 neg_lo:[1,1,0]
	s_set_vgpr_msb 1                        ;  msbs: dst=0 src0=1 src1=0 src2=0
	v_dot4_i32_iu8 v231, v60 /*v316*/, v205, v244 neg_lo:[1,1,0]
	s_set_vgpr_msb 0                        ;  msbs: dst=0 src0=0 src1=0 src2=0
	v_dot4_i32_iu8 v232, v242, v203, v247 neg_lo:[1,1,0]
	v_dot4_i32_iu8 v209, v201, v209, v236 neg_lo:[1,1,0]
	;; [unrolled: 1-line block ×4, first 2 shown]
	s_set_vgpr_msb 1                        ;  msbs: dst=0 src0=1 src1=0 src2=0
	v_dot4_i32_iu8 v213, v64 /*v320*/, v192, v218 neg_lo:[1,1,0]
	v_dot4_i32_iu8 v218, v55 /*v311*/, v205, v243 neg_lo:[1,1,0]
	;; [unrolled: 1-line block ×8, first 2 shown]
	s_set_vgpr_msb 0                        ;  msbs: dst=0 src0=0 src1=0 src2=0
	v_dot4_i32_iu8 v141, v211, v205, v141 neg_lo:[1,1,0]
	s_set_vgpr_msb 1                        ;  msbs: dst=0 src0=1 src1=0 src2=0
	v_dot4_i32_iu8 v211, v40 /*v296*/, v203, v223 neg_lo:[1,1,0]
	v_dot4_i32_iu8 v223, v40 /*v296*/, v206, v224 neg_lo:[1,1,0]
	;; [unrolled: 1-line block ×11, first 2 shown]
	s_set_vgpr_msb 0                        ;  msbs: dst=0 src0=0 src1=0 src2=0
	v_dot4_i32_iu8 v193, v255, v217, v199 neg_lo:[1,1,0]
	v_dot4_i32_iu8 v199, v255, v203, v210 neg_lo:[1,1,0]
	;; [unrolled: 1-line block ×3, first 2 shown]
	s_set_vgpr_msb 64                       ;  msbs: dst=1 src0=0 src1=0 src2=0
	v_perm_b32 v33 /*v289*/, v81, v81, 0x6010407
	v_perm_b32 v23 /*v279*/, v137, v137, 0x6010407
	;; [unrolled: 1-line block ×3, first 2 shown]
	s_set_vgpr_msb 4                        ;  msbs: dst=0 src0=0 src1=1 src2=0
	v_or_b32_e32 v216, v216, v16 /*v272*/
	s_set_vgpr_msb 64                       ;  msbs: dst=1 src0=0 src1=0 src2=0
	v_perm_b32 v16 /*v272*/, v86, v85, 0x4020100
	s_set_vgpr_msb 4                        ;  msbs: dst=0 src0=0 src1=1 src2=0
	v_or_b32_e32 v245, v245, v15 /*v271*/
	s_set_vgpr_msb 1                        ;  msbs: dst=0 src0=1 src1=0 src2=0
	v_or_b32_e32 v131, v37 /*v293*/, v131
	v_perm_b32 v129, v65 /*v321*/, v129, 0xc0c0700
	s_set_vgpr_msb 0x44                     ;  msbs: dst=1 src0=0 src1=1 src2=0
	v_perm_b32 v49 /*v305*/, v128, v67 /*v323*/, 0x4030c0c
	s_set_vgpr_msb 1                        ;  msbs: dst=0 src0=1 src1=0 src2=0
	v_or_b32_e32 v135, v44 /*v300*/, v135
	v_or_b32_e32 v133, v45 /*v301*/, v133
	s_set_vgpr_msb 64                       ;  msbs: dst=1 src0=0 src1=0 src2=0
	v_perm_b32 v7 /*v263*/, v85, v85, 0x2010003
	s_set_vgpr_msb 0x45                     ;  msbs: dst=1 src0=1 src1=1 src2=0
	v_or_b32_e32 v2 /*v258*/, v2 /*v258*/, v5 /*v261*/
	s_set_vgpr_msb 1                        ;  msbs: dst=0 src0=1 src1=0 src2=0
	v_or_b32_e32 v117, v4 /*v260*/, v117
	s_set_vgpr_msb 0x45                     ;  msbs: dst=1 src0=1 src1=1 src2=0
	v_or_b32_e32 v3 /*v259*/, v3 /*v259*/, v8 /*v264*/
	s_set_vgpr_msb 1                        ;  msbs: dst=0 src0=1 src1=0 src2=0
	v_or_b32_e32 v252, v1 /*v257*/, v252
	v_dot4_i32_iu8 v222, v42 /*v298*/, v206, v222 neg_lo:[1,1,0]
	s_set_vgpr_msb 0                        ;  msbs: dst=0 src0=0 src1=0 src2=0
	v_dot4_i32_iu8 v196, v195, v196, v202 neg_lo:[1,1,0]
	v_dot4_i32_iu8 v189, v195, v189, v194 neg_lo:[1,1,0]
	s_set_vgpr_msb 4                        ;  msbs: dst=0 src0=0 src1=1 src2=0
	v_dot4_i32_iu8 v194, v241, v36 /*v292*/, v230 neg_lo:[1,1,0]
	s_set_vgpr_msb 0                        ;  msbs: dst=0 src0=0 src1=0 src2=0
	v_dot4_i32_iu8 v202, v195, v204, v209 neg_lo:[1,1,0]
	s_set_vgpr_msb 4                        ;  msbs: dst=0 src0=0 src1=1 src2=0
	v_dot4_i32_iu8 v204, v241, v27 /*v283*/, v232 neg_lo:[1,1,0]
	s_set_vgpr_msb 0                        ;  msbs: dst=0 src0=0 src1=0 src2=0
	;; [unrolled: 4-line block ×3, first 2 shown]
	v_dot4_i32_iu8 v206, v68 /*v324*/, v36 /*v292*/, v213 neg_lo:[1,1,0]
	v_dot4_i32_iu8 v207, v68 /*v324*/, v27 /*v283*/, v219 neg_lo:[1,1,0]
	;; [unrolled: 1-line block ×10, first 2 shown]
	s_set_vgpr_msb 4                        ;  msbs: dst=0 src0=0 src1=1 src2=0
	v_dot4_i32_iu8 v147, v249, v24 /*v280*/, v147 neg_lo:[1,1,0]
	v_dot4_i32_iu8 v141, v250, v24 /*v280*/, v141 neg_lo:[1,1,0]
	;; [unrolled: 1-line block ×6, first 2 shown]
	s_set_vgpr_msb 64                       ;  msbs: dst=1 src0=0 src1=0 src2=0
	v_perm_b32 v29 /*v285*/, v82, v82, 0xc030201
	s_set_vgpr_msb 1                        ;  msbs: dst=0 src0=1 src1=0 src2=0
	v_or_b32_e32 v129, v49 /*v305*/, v129
	s_set_vgpr_msb 64                       ;  msbs: dst=1 src0=0 src1=0 src2=0
	v_perm_b32 v6 /*v262*/, v86, v86, 0xc0c0100
	v_perm_b32 v4 /*v260*/, v94, v94, 0xc0c0100
	v_perm_b32 v8 /*v264*/, v116, v116, 0xc0c0100
	s_set_vgpr_msb 0                        ;  msbs: dst=0 src0=0 src1=0 src2=0
	v_perm_b32 v253, v96, v96, 0xc0c0100
	s_set_vgpr_msb 5                        ;  msbs: dst=0 src0=1 src1=1 src2=0
	v_dot4_i32_iu8 v214, v39 /*v295*/, v22 /*v278*/, v222 neg_lo:[1,1,0]
	v_dot4_i32_iu8 v217, v43 /*v299*/, v36 /*v292*/, v226 neg_lo:[1,1,0]
	;; [unrolled: 1-line block ×7, first 2 shown]
	s_set_vgpr_msb 4                        ;  msbs: dst=0 src0=0 src1=1 src2=0
	v_dot4_i32_iu8 v216, v216, v24 /*v280*/, v231 neg_lo:[1,1,0]
	v_dot4_i32_iu8 v218, v245, v24 /*v280*/, v218 neg_lo:[1,1,0]
	s_set_vgpr_msb 0                        ;  msbs: dst=0 src0=0 src1=0 src2=0
	v_dot4_i32_iu8 v191, v190, v191, v196 neg_lo:[1,1,0]
	v_dot4_i32_iu8 v188, v190, v188, v189 neg_lo:[1,1,0]
	s_set_vgpr_msb 4                        ;  msbs: dst=0 src0=0 src1=1 src2=0
	v_dot4_i32_iu8 v189, v146, v33 /*v289*/, v194 neg_lo:[1,1,0]
	s_set_vgpr_msb 0                        ;  msbs: dst=0 src0=0 src1=0 src2=0
	v_dot4_i32_iu8 v194, v190, v198, v202 neg_lo:[1,1,0]
	s_set_vgpr_msb 4                        ;  msbs: dst=0 src0=0 src1=1 src2=0
	v_dot4_i32_iu8 v196, v146, v23 /*v279*/, v204 neg_lo:[1,1,0]
	s_set_vgpr_msb 0                        ;  msbs: dst=0 src0=0 src1=0 src2=0
	;; [unrolled: 4-line block ×3, first 2 shown]
	v_dot4_i32_iu8 v195, v69 /*v325*/, v33 /*v289*/, v206 neg_lo:[1,1,0]
	v_dot4_i32_iu8 v198, v69 /*v325*/, v23 /*v279*/, v207 neg_lo:[1,1,0]
	;; [unrolled: 1-line block ×4, first 2 shown]
	s_set_vgpr_msb 4                        ;  msbs: dst=0 src0=0 src1=1 src2=0
	v_dot4_i32_iu8 v131, v131, v16 /*v272*/, v147 neg_lo:[1,1,0]
	v_dot4_i32_iu8 v95, v135, v16 /*v272*/, v95 neg_lo:[1,1,0]
	v_dot4_i32_iu8 v133, v133, v16 /*v272*/, v141 neg_lo:[1,1,0]
	s_set_vgpr_msb 1                        ;  msbs: dst=0 src0=1 src1=0 src2=0
	v_dot4_i32_iu8 v135, v2 /*v258*/, v143, v145 neg_lo:[1,1,0]
	s_set_vgpr_msb 0                        ;  msbs: dst=0 src0=0 src1=0 src2=0
	v_dot4_i32_iu8 v117, v117, v142, v208 neg_lo:[1,1,0]
	s_set_vgpr_msb 5                        ;  msbs: dst=0 src0=1 src1=1 src2=0
	v_dot4_i32_iu8 v141, v3 /*v259*/, v7 /*v263*/, v212 neg_lo:[1,1,0]
	s_set_vgpr_msb 4                        ;  msbs: dst=0 src0=0 src1=1 src2=0
	v_dot4_i32_iu8 v142, v252, v7 /*v263*/, v193 neg_lo:[1,1,0]
	s_set_vgpr_msb 5                        ;  msbs: dst=0 src0=1 src1=1 src2=0
	v_dot4_i32_iu8 v143, v3 /*v259*/, v23 /*v279*/, v215 neg_lo:[1,1,0]
	s_set_vgpr_msb 4                        ;  msbs: dst=0 src0=0 src1=1 src2=0
	v_dot4_i32_iu8 v145, v252, v23 /*v279*/, v199 neg_lo:[1,1,0]
	;; [unrolled: 4-line block ×3, first 2 shown]
	s_set_vgpr_msb 1                        ;  msbs: dst=0 src0=1 src1=0 src2=0
	v_or_b32_e32 v97, v72 /*v328*/, v97
	s_set_vgpr_msb 64                       ;  msbs: dst=1 src0=0 src1=0 src2=0
	v_perm_b32 v15 /*v271*/, v128, v128, 0xc030201
	v_perm_b32 v14 /*v270*/, v86, v86, 0xc030201
	;; [unrolled: 1-line block ×11, first 2 shown]
	s_set_vgpr_msb 5                        ;  msbs: dst=0 src0=1 src1=1 src2=0
	v_dot4_i32_iu8 v200, v69 /*v325*/, v25 /*v281*/, v209 neg_lo:[1,1,0]
	v_dot4_i32_iu8 v204, v62 /*v318*/, v25 /*v281*/, v214 neg_lo:[1,1,0]
	;; [unrolled: 1-line block ×8, first 2 shown]
	s_set_vgpr_msb 4                        ;  msbs: dst=0 src0=0 src1=1 src2=0
	v_dot4_i32_iu8 v129, v129, v16 /*v272*/, v218 neg_lo:[1,1,0]
	v_dot4_i32_iu8 v99, v99, v16 /*v272*/, v216 neg_lo:[1,1,0]
	s_set_vgpr_msb 0                        ;  msbs: dst=0 src0=0 src1=0 src2=0
	v_dot4_i32_iu8 v188, v83, v80, v188 neg_lo:[1,1,0]
	v_dot4_i32_iu8 v136, v83, v136, v194 neg_lo:[1,1,0]
	;; [unrolled: 1-line block ×8, first 2 shown]
	s_set_vgpr_msb 1                        ;  msbs: dst=0 src0=1 src1=0 src2=0
	v_dot4_i32_iu8 v144, v29 /*v285*/, v144, v135 neg_lo:[1,1,0]
	s_set_vgpr_msb 4                        ;  msbs: dst=0 src0=0 src1=1 src2=0
	v_dot4_i32_iu8 v142, v140, v6 /*v262*/, v142 neg_lo:[1,1,0]
	s_set_vgpr_msb 0                        ;  msbs: dst=0 src0=0 src1=0 src2=0
	v_dot4_i32_iu8 v86, v116, v86, v141 neg_lo:[1,1,0]
	s_set_vgpr_msb 4                        ;  msbs: dst=0 src0=0 src1=1 src2=0
	v_dot4_i32_iu8 v141, v140, v4 /*v260*/, v145 neg_lo:[1,1,0]
	s_set_vgpr_msb 5                        ;  msbs: dst=0 src0=1 src1=1 src2=0
	v_dot4_i32_iu8 v143, v8 /*v264*/, v4 /*v260*/, v143 neg_lo:[1,1,0]
	s_set_vgpr_msb 0                        ;  msbs: dst=0 src0=0 src1=0 src2=0
	v_dot4_i32_iu8 v140, v140, v253, v193 neg_lo:[1,1,0]
	s_set_vgpr_msb 1                        ;  msbs: dst=0 src0=1 src1=0 src2=0
	v_dot4_i32_iu8 v145, v8 /*v264*/, v253, v147 neg_lo:[1,1,0]
	s_set_vgpr_msb 0                        ;  msbs: dst=0 src0=0 src1=0 src2=0
	v_dot4_i32_iu8 v128, v96, v128, v200 neg_lo:[1,1,0]
	v_dot4_i32_iu8 v130, v96, v130, v204 neg_lo:[1,1,0]
	v_dot4_i32_iu8 v198, v82, v132, v206 neg_lo:[1,1,0]
	v_dot4_i32_iu8 v192, v82, v134, v192 neg_lo:[1,1,0]
	v_dot4_i32_iu8 v199, v94, v132, v207 neg_lo:[1,1,0]
	v_dot4_i32_iu8 v197, v94, v134, v197 neg_lo:[1,1,0]
	v_dot4_i32_iu8 v132, v96, v132, v209 neg_lo:[1,1,0]
	v_dot4_i32_iu8 v134, v96, v134, v205 neg_lo:[1,1,0]
	s_set_vgpr_msb 5                        ;  msbs: dst=0 src0=1 src1=1 src2=0
	v_dot4_i32_iu8 v200, v14 /*v270*/, v15 /*v271*/, v129 neg_lo:[1,1,0]
	v_dot4_i32_iu8 v201, v14 /*v270*/, v37 /*v293*/, v131 neg_lo:[1,1,0]
	;; [unrolled: 1-line block ×4, first 2 shown]
	s_set_vgpr_msb 0                        ;  msbs: dst=0 src0=0 src1=0 src2=0
	v_dot4_i32_iu8 v189, v98, v82, v189 neg_lo:[1,1,0]
	v_dot4_i32_iu8 v191, v98, v94, v196 neg_lo:[1,1,0]
	;; [unrolled: 1-line block ×3, first 2 shown]
	s_set_vgpr_msb 5                        ;  msbs: dst=0 src0=1 src1=1 src2=0
	v_dot4_i32_iu8 v146, v29 /*v285*/, v44 /*v300*/, v117 neg_lo:[1,1,0]
	v_dot4_i32_iu8 v196, v14 /*v270*/, v45 /*v301*/, v99 neg_lo:[1,1,0]
	s_set_vgpr_msb 0                        ;  msbs: dst=0 src0=0 src1=0 src2=0
	v_cvt_f32_i32_e32 v83, v190
	v_cvt_f32_i32_e32 v82, v80
	;; [unrolled: 1-line block ×4, first 2 shown]
	v_dot4_i32_iu8 v84, v97, v85, v84 neg_lo:[1,1,0]
	v_cvt_f32_i32_e32 v80, v144
	v_dot4_i32_iu8 v144, v97, v81, v188 neg_lo:[1,1,0]
	v_dot4_i32_iu8 v136, v97, v137, v136 neg_lo:[1,1,0]
	;; [unrolled: 1-line block ×3, first 2 shown]
	s_set_vgpr_msb 4                        ;  msbs: dst=0 src0=0 src1=1 src2=0
	v_dot4_i32_iu8 v142, v87, v5 /*v261*/, v142 neg_lo:[1,1,0]
	s_set_vgpr_msb 5                        ;  msbs: dst=0 src0=1 src1=1 src2=0
	v_dot4_i32_iu8 v143, v1 /*v257*/, v9 /*v265*/, v143 neg_lo:[1,1,0]
	s_set_vgpr_msb 4                        ;  msbs: dst=0 src0=0 src1=1 src2=0
	v_dot4_i32_iu8 v141, v87, v9 /*v265*/, v141 neg_lo:[1,1,0]
	s_set_vgpr_msb 5                        ;  msbs: dst=0 src0=1 src1=1 src2=0
	v_dot4_i32_iu8 v145, v1 /*v257*/, v21 /*v277*/, v145 neg_lo:[1,1,0]
	s_set_vgpr_msb 4                        ;  msbs: dst=0 src0=0 src1=1 src2=0
	v_dot4_i32_iu8 v140, v87, v21 /*v277*/, v140 neg_lo:[1,1,0]
	v_cvt_f32_i32_e32 v99, v130
	v_cvt_f32_i32_e32 v98, v128
	;; [unrolled: 1-line block ×18, first 2 shown]
	s_set_vgpr_msb 0                        ;  msbs: dst=0 src0=0 src1=0 src2=0
	v_pk_fma_f32 v[30:31], v[104:105], v[82:83], v[30:31]
	v_pk_fma_f32 v[26:27], v[106:107], v[94:95], v[26:27]
	v_cvt_f32_i32_e32 v81, v84
	v_cvt_f32_i32_e32 v84, v144
	;; [unrolled: 1-line block ×9, first 2 shown]
	v_add_nc_u32_e32 v182, 32, v182
	v_pk_fma_f32 v[22:23], v[108:109], v[98:99], v[22:23]
	v_pk_fma_f32 v[18:19], v[110:111], v[116:117], v[18:19]
	;; [unrolled: 1-line block ×14, first 2 shown]
	s_add_co_i32 s10, s10, 4
	s_delay_alu instid0(SALU_CYCLE_1)
	s_cmp_lt_u32 s10, 28
	s_cbranch_scc1 .LBB162_11
; %bb.12:                               ;   in Loop: Header=BB162_6 Depth=1
	s_barrier_signal -1
	s_barrier_wait -1
	s_branch .LBB162_5
.LBB162_13:
	v_dual_mov_b32 v1, v21 :: v_dual_mov_b32 v20, v39
.LBB162_14:
	s_wait_xcnt 0x0
	s_mov_b32 s0, exec_lo
	v_cmpx_gt_u32_e64 s6, v41
	s_cbranch_execz .LBB162_65
; %bb.15:
	v_mul_lo_u32 v24, v41, s12
	v_add_nc_u32_e32 v0, s14, v20
	s_delay_alu instid0(VALU_DEP_1)
	v_cmp_gt_u32_e32 vcc_lo, s12, v0
	s_and_saveexec_b32 s1, vcc_lo
	s_cbranch_execz .LBB162_17
; %bb.16:
	v_bfe_u32 v20, v36, 16, 1
	v_cmp_o_f32_e64 s0, v36, v36
	v_add_nc_u32_e32 v21, v0, v24
	s_delay_alu instid0(VALU_DEP_3) | instskip(NEXT) | instid1(VALU_DEP_1)
	v_add3_u32 v20, v36, v20, 0x7fff
	v_lshrrev_b32_e32 v20, 16, v20
	s_delay_alu instid0(VALU_DEP_1)
	v_cndmask_b32_e64 v20, 0x7fc0, v20, s0
	s_wait_kmcnt 0x0
	global_store_b16 v21, v20, s[8:9] scale_offset
.LBB162_17:
	s_wait_xcnt 0x0
	s_or_b32 exec_lo, exec_lo, s1
	v_add_nc_u32_e32 v20, 32, v0
	s_delay_alu instid0(VALU_DEP_1)
	v_cmp_gt_u32_e64 s0, s12, v20
	s_and_saveexec_b32 s2, s0
	s_cbranch_execz .LBB162_19
; %bb.18:
	v_bfe_u32 v21, v9, 16, 1
	v_cmp_o_f32_e64 s1, v9, v9
	s_delay_alu instid0(VALU_DEP_2) | instskip(NEXT) | instid1(VALU_DEP_1)
	v_add3_u32 v21, v9, v21, 0x7fff
	v_lshrrev_b32_e32 v21, 16, v21
	s_delay_alu instid0(VALU_DEP_1)
	v_cndmask_b32_e64 v9, 0x7fc0, v21, s1
	v_add_nc_u32_e32 v21, v20, v24
	s_wait_kmcnt 0x0
	global_store_b16 v21, v9, s[8:9] scale_offset
.LBB162_19:
	s_wait_xcnt 0x0
	s_or_b32 exec_lo, exec_lo, s2
	v_add_nc_u32_e32 v9, 64, v0
	s_delay_alu instid0(VALU_DEP_1)
	v_cmp_gt_u32_e64 s1, s12, v9
	s_and_saveexec_b32 s3, s1
	s_cbranch_execz .LBB162_21
; %bb.20:
	v_bfe_u32 v21, v34, 16, 1
	v_cmp_o_f32_e64 s2, v34, v34
	v_add_nc_u32_e32 v25, v9, v24
	s_delay_alu instid0(VALU_DEP_3) | instskip(NEXT) | instid1(VALU_DEP_1)
	v_add3_u32 v21, v34, v21, 0x7fff
	v_lshrrev_b32_e32 v21, 16, v21
	s_delay_alu instid0(VALU_DEP_1)
	v_cndmask_b32_e64 v21, 0x7fc0, v21, s2
	s_wait_kmcnt 0x0
	global_store_b16 v25, v21, s[8:9] scale_offset
.LBB162_21:
	s_wait_xcnt 0x0
	s_or_b32 exec_lo, exec_lo, s3
	v_add_nc_u32_e32 v21, 0x60, v0
	s_delay_alu instid0(VALU_DEP_1)
	v_cmp_gt_u32_e64 s2, s12, v21
	s_and_saveexec_b32 s4, s2
	s_cbranch_execz .LBB162_23
; %bb.22:
	v_bfe_u32 v25, v32, 16, 1
	v_cmp_o_f32_e64 s3, v32, v32
	v_add_nc_u32_e32 v24, v21, v24
	s_delay_alu instid0(VALU_DEP_3) | instskip(NEXT) | instid1(VALU_DEP_1)
	v_add3_u32 v25, v32, v25, 0x7fff
	v_lshrrev_b32_e32 v25, 16, v25
	s_delay_alu instid0(VALU_DEP_1)
	v_cndmask_b32_e64 v25, 0x7fc0, v25, s3
	s_wait_kmcnt 0x0
	global_store_b16 v24, v25, s[8:9] scale_offset
.LBB162_23:
	s_wait_xcnt 0x0
	s_or_b32 exec_lo, exec_lo, s4
	v_add3_u32 v24, v1, s13, 8
	s_delay_alu instid0(VALU_DEP_1)
	v_cmp_gt_u32_e64 s3, s6, v24
	s_and_b32 exec_lo, exec_lo, s3
	s_cbranch_execz .LBB162_65
; %bb.24:
	v_mul_lo_u32 v24, v24, s12
	s_and_saveexec_b32 s4, vcc_lo
	s_cbranch_execnz .LBB162_66
; %bb.25:
	s_or_b32 exec_lo, exec_lo, s4
	s_and_saveexec_b32 s4, s0
	s_cbranch_execnz .LBB162_67
.LBB162_26:
	s_or_b32 exec_lo, exec_lo, s4
	s_and_saveexec_b32 s4, s1
	s_cbranch_execnz .LBB162_68
.LBB162_27:
	s_or_b32 exec_lo, exec_lo, s4
	s_and_saveexec_b32 s4, s2
	s_cbranch_execz .LBB162_29
.LBB162_28:
	v_bfe_u32 v11, v33, 16, 1
	v_cmp_o_f32_e64 s3, v33, v33
	v_add_nc_u32_e32 v24, v24, v21
	s_delay_alu instid0(VALU_DEP_3) | instskip(NEXT) | instid1(VALU_DEP_1)
	v_add3_u32 v11, v33, v11, 0x7fff
	v_lshrrev_b32_e32 v11, 16, v11
	s_delay_alu instid0(VALU_DEP_1)
	v_cndmask_b32_e64 v11, 0x7fc0, v11, s3
	s_wait_kmcnt 0x0
	global_store_b16 v24, v11, s[8:9] scale_offset
.LBB162_29:
	s_wait_xcnt 0x0
	s_or_b32 exec_lo, exec_lo, s4
	v_add3_u32 v11, v1, s13, 16
	s_delay_alu instid0(VALU_DEP_1)
	v_cmp_gt_u32_e64 s3, s6, v11
	s_and_b32 exec_lo, exec_lo, s3
	s_cbranch_execz .LBB162_65
; %bb.30:
	v_mul_lo_u32 v11, v11, s12
	s_and_saveexec_b32 s4, vcc_lo
	s_cbranch_execnz .LBB162_69
; %bb.31:
	s_or_b32 exec_lo, exec_lo, s4
	s_and_saveexec_b32 s4, s0
	s_cbranch_execnz .LBB162_70
.LBB162_32:
	s_or_b32 exec_lo, exec_lo, s4
	s_and_saveexec_b32 s4, s1
	s_cbranch_execnz .LBB162_71
.LBB162_33:
	s_or_b32 exec_lo, exec_lo, s4
	s_and_saveexec_b32 s4, s2
	s_cbranch_execz .LBB162_35
.LBB162_34:
	v_bfe_u32 v24, v22, 16, 1
	v_cmp_o_f32_e64 s3, v22, v22
	v_add_nc_u32_e32 v11, v11, v21
	s_delay_alu instid0(VALU_DEP_3) | instskip(NEXT) | instid1(VALU_DEP_1)
	v_add3_u32 v24, v22, v24, 0x7fff
	v_lshrrev_b32_e32 v24, 16, v24
	s_delay_alu instid0(VALU_DEP_1)
	v_cndmask_b32_e64 v22, 0x7fc0, v24, s3
	s_wait_kmcnt 0x0
	global_store_b16 v11, v22, s[8:9] scale_offset
.LBB162_35:
	s_wait_xcnt 0x0
	s_or_b32 exec_lo, exec_lo, s4
	v_add3_u32 v11, v1, s13, 24
	s_delay_alu instid0(VALU_DEP_1)
	v_cmp_gt_u32_e64 s3, s6, v11
	s_and_b32 exec_lo, exec_lo, s3
	s_cbranch_execz .LBB162_65
; %bb.36:
	v_mul_lo_u32 v11, v11, s12
	s_and_saveexec_b32 s4, vcc_lo
	s_cbranch_execnz .LBB162_72
; %bb.37:
	s_or_b32 exec_lo, exec_lo, s4
	s_and_saveexec_b32 s4, s0
	s_cbranch_execnz .LBB162_73
.LBB162_38:
	s_or_b32 exec_lo, exec_lo, s4
	s_and_saveexec_b32 s4, s1
	s_cbranch_execnz .LBB162_74
.LBB162_39:
	s_or_b32 exec_lo, exec_lo, s4
	s_and_saveexec_b32 s4, s2
	s_cbranch_execz .LBB162_41
.LBB162_40:
	v_bfe_u32 v22, v23, 16, 1
	v_cmp_o_f32_e64 s3, v23, v23
	v_add_nc_u32_e32 v11, v11, v21
	s_delay_alu instid0(VALU_DEP_3) | instskip(NEXT) | instid1(VALU_DEP_1)
	v_add3_u32 v22, v23, v22, 0x7fff
	v_lshrrev_b32_e32 v22, 16, v22
	s_delay_alu instid0(VALU_DEP_1)
	v_cndmask_b32_e64 v22, 0x7fc0, v22, s3
	s_wait_kmcnt 0x0
	global_store_b16 v11, v22, s[8:9] scale_offset
.LBB162_41:
	s_wait_xcnt 0x0
	s_or_b32 exec_lo, exec_lo, s4
	v_add3_u32 v11, v1, s13, 32
	s_delay_alu instid0(VALU_DEP_1)
	v_cmp_gt_u32_e64 s3, s6, v11
	s_and_b32 exec_lo, exec_lo, s3
	s_cbranch_execz .LBB162_65
; %bb.42:
	v_mul_lo_u32 v11, v11, s12
	s_and_saveexec_b32 s4, vcc_lo
	s_cbranch_execnz .LBB162_75
; %bb.43:
	s_or_b32 exec_lo, exec_lo, s4
	s_and_saveexec_b32 s4, s0
	s_cbranch_execnz .LBB162_76
.LBB162_44:
	s_or_b32 exec_lo, exec_lo, s4
	s_and_saveexec_b32 s4, s1
	s_cbranch_execnz .LBB162_77
.LBB162_45:
	s_or_b32 exec_lo, exec_lo, s4
	s_and_saveexec_b32 s4, s2
	s_cbranch_execz .LBB162_47
.LBB162_46:
	v_bfe_u32 v14, v12, 16, 1
	v_cmp_o_f32_e64 s3, v12, v12
	v_add_nc_u32_e32 v11, v11, v21
	s_delay_alu instid0(VALU_DEP_3) | instskip(NEXT) | instid1(VALU_DEP_1)
	v_add3_u32 v14, v12, v14, 0x7fff
	v_lshrrev_b32_e32 v14, 16, v14
	s_delay_alu instid0(VALU_DEP_1)
	v_cndmask_b32_e64 v12, 0x7fc0, v14, s3
	s_wait_kmcnt 0x0
	global_store_b16 v11, v12, s[8:9] scale_offset
.LBB162_47:
	s_wait_xcnt 0x0
	s_or_b32 exec_lo, exec_lo, s4
	v_add3_u32 v11, v1, s13, 40
	s_delay_alu instid0(VALU_DEP_1)
	v_cmp_gt_u32_e64 s3, s6, v11
	s_and_b32 exec_lo, exec_lo, s3
	s_cbranch_execz .LBB162_65
; %bb.48:
	v_mul_lo_u32 v11, v11, s12
	s_and_saveexec_b32 s4, vcc_lo
	s_cbranch_execnz .LBB162_78
; %bb.49:
	s_or_b32 exec_lo, exec_lo, s4
	s_and_saveexec_b32 s4, s0
	s_cbranch_execnz .LBB162_79
.LBB162_50:
	s_or_b32 exec_lo, exec_lo, s4
	s_and_saveexec_b32 s4, s1
	s_cbranch_execnz .LBB162_80
.LBB162_51:
	s_or_b32 exec_lo, exec_lo, s4
	s_and_saveexec_b32 s4, s2
	s_cbranch_execz .LBB162_53
.LBB162_52:
	v_bfe_u32 v12, v13, 16, 1
	v_cmp_o_f32_e64 s3, v13, v13
	v_add_nc_u32_e32 v11, v11, v21
	s_delay_alu instid0(VALU_DEP_3) | instskip(NEXT) | instid1(VALU_DEP_1)
	v_add3_u32 v12, v13, v12, 0x7fff
	v_lshrrev_b32_e32 v12, 16, v12
	s_delay_alu instid0(VALU_DEP_1)
	v_cndmask_b32_e64 v12, 0x7fc0, v12, s3
	s_wait_kmcnt 0x0
	global_store_b16 v11, v12, s[8:9] scale_offset
.LBB162_53:
	s_wait_xcnt 0x0
	s_or_b32 exec_lo, exec_lo, s4
	v_add3_u32 v11, v1, s13, 48
	s_delay_alu instid0(VALU_DEP_1)
	v_cmp_gt_u32_e64 s3, s6, v11
	s_and_b32 exec_lo, exec_lo, s3
	s_cbranch_execz .LBB162_65
; %bb.54:
	v_mul_lo_u32 v11, v11, s12
	s_and_saveexec_b32 s4, vcc_lo
	s_cbranch_execnz .LBB162_81
; %bb.55:
	s_or_b32 exec_lo, exec_lo, s4
	s_and_saveexec_b32 s4, s0
	s_cbranch_execnz .LBB162_82
.LBB162_56:
	s_or_b32 exec_lo, exec_lo, s4
	s_and_saveexec_b32 s4, s1
	s_cbranch_execnz .LBB162_83
.LBB162_57:
	s_or_b32 exec_lo, exec_lo, s4
	s_and_saveexec_b32 s4, s2
	s_cbranch_execz .LBB162_59
.LBB162_58:
	v_bfe_u32 v4, v2, 16, 1
	v_cmp_o_f32_e64 s3, v2, v2
	s_delay_alu instid0(VALU_DEP_2) | instskip(NEXT) | instid1(VALU_DEP_1)
	v_add3_u32 v4, v2, v4, 0x7fff
	v_lshrrev_b32_e32 v4, 16, v4
	s_delay_alu instid0(VALU_DEP_1)
	v_cndmask_b32_e64 v2, 0x7fc0, v4, s3
	v_add_nc_u32_e32 v4, v11, v21
	s_wait_kmcnt 0x0
	global_store_b16 v4, v2, s[8:9] scale_offset
.LBB162_59:
	s_wait_xcnt 0x0
	s_or_b32 exec_lo, exec_lo, s4
	v_add3_u32 v1, v1, s13, 56
	s_delay_alu instid0(VALU_DEP_1)
	v_cmp_gt_u32_e64 s3, s6, v1
	s_and_b32 exec_lo, exec_lo, s3
	s_cbranch_execz .LBB162_65
; %bb.60:
	v_mul_lo_u32 v1, v1, s12
	s_and_saveexec_b32 s3, vcc_lo
	s_cbranch_execnz .LBB162_84
; %bb.61:
	s_or_b32 exec_lo, exec_lo, s3
	s_and_saveexec_b32 s3, s0
	s_cbranch_execnz .LBB162_85
.LBB162_62:
	s_or_b32 exec_lo, exec_lo, s3
	s_and_saveexec_b32 s0, s1
	s_cbranch_execnz .LBB162_86
.LBB162_63:
	s_or_b32 exec_lo, exec_lo, s0
	s_delay_alu instid0(SALU_CYCLE_1)
	s_and_b32 exec_lo, exec_lo, s2
	s_cbranch_execz .LBB162_65
.LBB162_64:
	v_bfe_u32 v0, v3, 16, 1
	v_cmp_o_f32_e32 vcc_lo, v3, v3
	v_add_nc_u32_e32 v1, v1, v21
	s_delay_alu instid0(VALU_DEP_3) | instskip(NEXT) | instid1(VALU_DEP_1)
	v_add3_u32 v0, v3, v0, 0x7fff
	v_lshrrev_b32_e32 v0, 16, v0
	s_delay_alu instid0(VALU_DEP_1)
	v_cndmask_b32_e32 v0, 0x7fc0, v0, vcc_lo
	s_wait_kmcnt 0x0
	global_store_b16 v1, v0, s[8:9] scale_offset
.LBB162_65:
	s_sendmsg sendmsg(MSG_DEALLOC_VGPRS)
	s_endpgm
.LBB162_66:
	v_bfe_u32 v25, v37, 16, 1
	v_cmp_o_f32_e64 s3, v37, v37
	s_delay_alu instid0(VALU_DEP_3) | instskip(NEXT) | instid1(VALU_DEP_3)
	v_add_nc_u32_e32 v32, v24, v0
	v_add3_u32 v25, v37, v25, 0x7fff
	s_delay_alu instid0(VALU_DEP_1) | instskip(NEXT) | instid1(VALU_DEP_1)
	v_lshrrev_b32_e32 v25, 16, v25
	v_cndmask_b32_e64 v25, 0x7fc0, v25, s3
	s_wait_kmcnt 0x0
	global_store_b16 v32, v25, s[8:9] scale_offset
	s_wait_xcnt 0x0
	s_or_b32 exec_lo, exec_lo, s4
	s_and_saveexec_b32 s4, s0
	s_cbranch_execz .LBB162_26
.LBB162_67:
	v_bfe_u32 v25, v11, 16, 1
	v_cmp_o_f32_e64 s3, v11, v11
	s_delay_alu instid0(VALU_DEP_2) | instskip(NEXT) | instid1(VALU_DEP_1)
	v_add3_u32 v25, v11, v25, 0x7fff
	v_lshrrev_b32_e32 v25, 16, v25
	s_delay_alu instid0(VALU_DEP_1)
	v_cndmask_b32_e64 v11, 0x7fc0, v25, s3
	v_add_nc_u32_e32 v25, v24, v20
	s_wait_kmcnt 0x0
	global_store_b16 v25, v11, s[8:9] scale_offset
	s_wait_xcnt 0x0
	s_or_b32 exec_lo, exec_lo, s4
	s_and_saveexec_b32 s4, s1
	s_cbranch_execz .LBB162_27
.LBB162_68:
	v_bfe_u32 v11, v35, 16, 1
	v_cmp_o_f32_e64 s3, v35, v35
	v_add_nc_u32_e32 v25, v24, v9
	s_delay_alu instid0(VALU_DEP_3) | instskip(NEXT) | instid1(VALU_DEP_1)
	v_add3_u32 v11, v35, v11, 0x7fff
	v_lshrrev_b32_e32 v11, 16, v11
	s_delay_alu instid0(VALU_DEP_1)
	v_cndmask_b32_e64 v11, 0x7fc0, v11, s3
	s_wait_kmcnt 0x0
	global_store_b16 v25, v11, s[8:9] scale_offset
	s_wait_xcnt 0x0
	s_or_b32 exec_lo, exec_lo, s4
	s_and_saveexec_b32 s4, s2
	s_cbranch_execnz .LBB162_28
	s_branch .LBB162_29
.LBB162_69:
	v_bfe_u32 v24, v30, 16, 1
	v_cmp_o_f32_e64 s3, v30, v30
	s_delay_alu instid0(VALU_DEP_3) | instskip(NEXT) | instid1(VALU_DEP_3)
	v_add_nc_u32_e32 v25, v11, v0
	v_add3_u32 v24, v30, v24, 0x7fff
	s_delay_alu instid0(VALU_DEP_1) | instskip(NEXT) | instid1(VALU_DEP_1)
	v_lshrrev_b32_e32 v24, 16, v24
	v_cndmask_b32_e64 v24, 0x7fc0, v24, s3
	s_wait_kmcnt 0x0
	global_store_b16 v25, v24, s[8:9] scale_offset
	s_wait_xcnt 0x0
	s_or_b32 exec_lo, exec_lo, s4
	s_and_saveexec_b32 s4, s0
	s_cbranch_execz .LBB162_32
.LBB162_70:
	v_bfe_u32 v24, v28, 16, 1
	v_cmp_o_f32_e64 s3, v28, v28
	s_delay_alu instid0(VALU_DEP_3) | instskip(NEXT) | instid1(VALU_DEP_3)
	v_add_nc_u32_e32 v25, v11, v20
	v_add3_u32 v24, v28, v24, 0x7fff
	s_delay_alu instid0(VALU_DEP_1) | instskip(NEXT) | instid1(VALU_DEP_1)
	v_lshrrev_b32_e32 v24, 16, v24
	v_cndmask_b32_e64 v24, 0x7fc0, v24, s3
	s_wait_kmcnt 0x0
	global_store_b16 v25, v24, s[8:9] scale_offset
	s_wait_xcnt 0x0
	s_or_b32 exec_lo, exec_lo, s4
	s_and_saveexec_b32 s4, s1
	s_cbranch_execz .LBB162_33
.LBB162_71:
	v_bfe_u32 v24, v26, 16, 1
	v_cmp_o_f32_e64 s3, v26, v26
	v_add_nc_u32_e32 v25, v11, v9
	s_delay_alu instid0(VALU_DEP_3) | instskip(NEXT) | instid1(VALU_DEP_1)
	v_add3_u32 v24, v26, v24, 0x7fff
	v_lshrrev_b32_e32 v24, 16, v24
	s_delay_alu instid0(VALU_DEP_1)
	v_cndmask_b32_e64 v24, 0x7fc0, v24, s3
	s_wait_kmcnt 0x0
	global_store_b16 v25, v24, s[8:9] scale_offset
	s_wait_xcnt 0x0
	s_or_b32 exec_lo, exec_lo, s4
	s_and_saveexec_b32 s4, s2
	s_cbranch_execnz .LBB162_34
	s_branch .LBB162_35
.LBB162_72:
	v_bfe_u32 v22, v31, 16, 1
	v_cmp_o_f32_e64 s3, v31, v31
	s_delay_alu instid0(VALU_DEP_3) | instskip(NEXT) | instid1(VALU_DEP_3)
	v_add_nc_u32_e32 v24, v11, v0
	v_add3_u32 v22, v31, v22, 0x7fff
	s_delay_alu instid0(VALU_DEP_1) | instskip(NEXT) | instid1(VALU_DEP_1)
	v_lshrrev_b32_e32 v22, 16, v22
	v_cndmask_b32_e64 v22, 0x7fc0, v22, s3
	s_wait_kmcnt 0x0
	global_store_b16 v24, v22, s[8:9] scale_offset
	s_wait_xcnt 0x0
	s_or_b32 exec_lo, exec_lo, s4
	s_and_saveexec_b32 s4, s0
	s_cbranch_execz .LBB162_38
.LBB162_73:
	v_bfe_u32 v22, v29, 16, 1
	v_cmp_o_f32_e64 s3, v29, v29
	s_delay_alu instid0(VALU_DEP_3) | instskip(NEXT) | instid1(VALU_DEP_3)
	v_add_nc_u32_e32 v24, v11, v20
	v_add3_u32 v22, v29, v22, 0x7fff
	s_delay_alu instid0(VALU_DEP_1) | instskip(NEXT) | instid1(VALU_DEP_1)
	v_lshrrev_b32_e32 v22, 16, v22
	v_cndmask_b32_e64 v22, 0x7fc0, v22, s3
	s_wait_kmcnt 0x0
	global_store_b16 v24, v22, s[8:9] scale_offset
	s_wait_xcnt 0x0
	s_or_b32 exec_lo, exec_lo, s4
	s_and_saveexec_b32 s4, s1
	s_cbranch_execz .LBB162_39
.LBB162_74:
	v_bfe_u32 v22, v27, 16, 1
	v_cmp_o_f32_e64 s3, v27, v27
	v_add_nc_u32_e32 v24, v11, v9
	s_delay_alu instid0(VALU_DEP_3) | instskip(NEXT) | instid1(VALU_DEP_1)
	v_add3_u32 v22, v27, v22, 0x7fff
	v_lshrrev_b32_e32 v22, 16, v22
	s_delay_alu instid0(VALU_DEP_1)
	v_cndmask_b32_e64 v22, 0x7fc0, v22, s3
	s_wait_kmcnt 0x0
	global_store_b16 v24, v22, s[8:9] scale_offset
	s_wait_xcnt 0x0
	s_or_b32 exec_lo, exec_lo, s4
	s_and_saveexec_b32 s4, s2
	s_cbranch_execnz .LBB162_40
	s_branch .LBB162_41
.LBB162_75:
	v_bfe_u32 v22, v18, 16, 1
	v_cmp_o_f32_e64 s3, v18, v18
	s_delay_alu instid0(VALU_DEP_2) | instskip(NEXT) | instid1(VALU_DEP_1)
	v_add3_u32 v22, v18, v22, 0x7fff
	v_lshrrev_b32_e32 v22, 16, v22
	s_delay_alu instid0(VALU_DEP_1)
	v_cndmask_b32_e64 v18, 0x7fc0, v22, s3
	v_add_nc_u32_e32 v22, v11, v0
	s_wait_kmcnt 0x0
	global_store_b16 v22, v18, s[8:9] scale_offset
	s_wait_xcnt 0x0
	s_or_b32 exec_lo, exec_lo, s4
	s_and_saveexec_b32 s4, s0
	s_cbranch_execz .LBB162_44
.LBB162_76:
	v_bfe_u32 v18, v16, 16, 1
	v_cmp_o_f32_e64 s3, v16, v16
	s_delay_alu instid0(VALU_DEP_2) | instskip(NEXT) | instid1(VALU_DEP_1)
	v_add3_u32 v18, v16, v18, 0x7fff
	v_lshrrev_b32_e32 v18, 16, v18
	s_delay_alu instid0(VALU_DEP_1)
	v_cndmask_b32_e64 v16, 0x7fc0, v18, s3
	v_add_nc_u32_e32 v18, v11, v20
	s_wait_kmcnt 0x0
	global_store_b16 v18, v16, s[8:9] scale_offset
	s_wait_xcnt 0x0
	s_or_b32 exec_lo, exec_lo, s4
	s_and_saveexec_b32 s4, s1
	s_cbranch_execz .LBB162_45
.LBB162_77:
	v_bfe_u32 v16, v14, 16, 1
	v_cmp_o_f32_e64 s3, v14, v14
	s_delay_alu instid0(VALU_DEP_2) | instskip(NEXT) | instid1(VALU_DEP_1)
	v_add3_u32 v16, v14, v16, 0x7fff
	v_lshrrev_b32_e32 v16, 16, v16
	s_delay_alu instid0(VALU_DEP_1)
	v_cndmask_b32_e64 v14, 0x7fc0, v16, s3
	v_add_nc_u32_e32 v16, v11, v9
	s_wait_kmcnt 0x0
	global_store_b16 v16, v14, s[8:9] scale_offset
	s_wait_xcnt 0x0
	s_or_b32 exec_lo, exec_lo, s4
	s_and_saveexec_b32 s4, s2
	s_cbranch_execnz .LBB162_46
	s_branch .LBB162_47
.LBB162_78:
	v_bfe_u32 v12, v19, 16, 1
	v_cmp_o_f32_e64 s3, v19, v19
	s_delay_alu instid0(VALU_DEP_3) | instskip(NEXT) | instid1(VALU_DEP_3)
	v_add_nc_u32_e32 v14, v11, v0
	v_add3_u32 v12, v19, v12, 0x7fff
	s_delay_alu instid0(VALU_DEP_1) | instskip(NEXT) | instid1(VALU_DEP_1)
	v_lshrrev_b32_e32 v12, 16, v12
	v_cndmask_b32_e64 v12, 0x7fc0, v12, s3
	s_wait_kmcnt 0x0
	global_store_b16 v14, v12, s[8:9] scale_offset
	s_wait_xcnt 0x0
	s_or_b32 exec_lo, exec_lo, s4
	s_and_saveexec_b32 s4, s0
	s_cbranch_execz .LBB162_50
.LBB162_79:
	v_bfe_u32 v12, v17, 16, 1
	v_cmp_o_f32_e64 s3, v17, v17
	s_delay_alu instid0(VALU_DEP_3) | instskip(NEXT) | instid1(VALU_DEP_3)
	v_add_nc_u32_e32 v14, v11, v20
	v_add3_u32 v12, v17, v12, 0x7fff
	s_delay_alu instid0(VALU_DEP_1) | instskip(NEXT) | instid1(VALU_DEP_1)
	v_lshrrev_b32_e32 v12, 16, v12
	v_cndmask_b32_e64 v12, 0x7fc0, v12, s3
	s_wait_kmcnt 0x0
	global_store_b16 v14, v12, s[8:9] scale_offset
	s_wait_xcnt 0x0
	s_or_b32 exec_lo, exec_lo, s4
	s_and_saveexec_b32 s4, s1
	s_cbranch_execz .LBB162_51
.LBB162_80:
	v_bfe_u32 v12, v15, 16, 1
	v_cmp_o_f32_e64 s3, v15, v15
	v_add_nc_u32_e32 v14, v11, v9
	s_delay_alu instid0(VALU_DEP_3) | instskip(NEXT) | instid1(VALU_DEP_1)
	v_add3_u32 v12, v15, v12, 0x7fff
	v_lshrrev_b32_e32 v12, 16, v12
	s_delay_alu instid0(VALU_DEP_1)
	v_cndmask_b32_e64 v12, 0x7fc0, v12, s3
	s_wait_kmcnt 0x0
	global_store_b16 v14, v12, s[8:9] scale_offset
	s_wait_xcnt 0x0
	s_or_b32 exec_lo, exec_lo, s4
	s_and_saveexec_b32 s4, s2
	s_cbranch_execnz .LBB162_52
	s_branch .LBB162_53
.LBB162_81:
	v_bfe_u32 v12, v10, 16, 1
	v_cmp_o_f32_e64 s3, v10, v10
	s_delay_alu instid0(VALU_DEP_2) | instskip(NEXT) | instid1(VALU_DEP_1)
	v_add3_u32 v12, v10, v12, 0x7fff
	v_lshrrev_b32_e32 v12, 16, v12
	s_delay_alu instid0(VALU_DEP_1)
	v_cndmask_b32_e64 v10, 0x7fc0, v12, s3
	v_add_nc_u32_e32 v12, v11, v0
	s_wait_kmcnt 0x0
	global_store_b16 v12, v10, s[8:9] scale_offset
	s_wait_xcnt 0x0
	s_or_b32 exec_lo, exec_lo, s4
	s_and_saveexec_b32 s4, s0
	s_cbranch_execz .LBB162_56
.LBB162_82:
	v_bfe_u32 v10, v6, 16, 1
	v_cmp_o_f32_e64 s3, v6, v6
	s_delay_alu instid0(VALU_DEP_2) | instskip(NEXT) | instid1(VALU_DEP_1)
	v_add3_u32 v10, v6, v10, 0x7fff
	v_lshrrev_b32_e32 v10, 16, v10
	s_delay_alu instid0(VALU_DEP_1)
	v_cndmask_b32_e64 v6, 0x7fc0, v10, s3
	v_add_nc_u32_e32 v10, v11, v20
	s_wait_kmcnt 0x0
	global_store_b16 v10, v6, s[8:9] scale_offset
	s_wait_xcnt 0x0
	s_or_b32 exec_lo, exec_lo, s4
	s_and_saveexec_b32 s4, s1
	s_cbranch_execz .LBB162_57
.LBB162_83:
	v_bfe_u32 v6, v4, 16, 1
	v_cmp_o_f32_e64 s3, v4, v4
	s_delay_alu instid0(VALU_DEP_2) | instskip(NEXT) | instid1(VALU_DEP_1)
	v_add3_u32 v6, v4, v6, 0x7fff
	v_lshrrev_b32_e32 v6, 16, v6
	s_delay_alu instid0(VALU_DEP_1)
	v_cndmask_b32_e64 v4, 0x7fc0, v6, s3
	v_add_nc_u32_e32 v6, v11, v9
	s_wait_kmcnt 0x0
	global_store_b16 v6, v4, s[8:9] scale_offset
	s_wait_xcnt 0x0
	s_or_b32 exec_lo, exec_lo, s4
	s_and_saveexec_b32 s4, s2
	s_cbranch_execnz .LBB162_58
	s_branch .LBB162_59
.LBB162_84:
	v_bfe_u32 v2, v8, 16, 1
	v_cmp_o_f32_e32 vcc_lo, v8, v8
	s_delay_alu instid0(VALU_DEP_3) | instskip(NEXT) | instid1(VALU_DEP_3)
	v_add_nc_u32_e32 v0, v1, v0
	v_add3_u32 v2, v8, v2, 0x7fff
	s_delay_alu instid0(VALU_DEP_1) | instskip(NEXT) | instid1(VALU_DEP_1)
	v_lshrrev_b32_e32 v2, 16, v2
	v_cndmask_b32_e32 v2, 0x7fc0, v2, vcc_lo
	s_wait_kmcnt 0x0
	global_store_b16 v0, v2, s[8:9] scale_offset
	s_wait_xcnt 0x0
	s_or_b32 exec_lo, exec_lo, s3
	s_and_saveexec_b32 s3, s0
	s_cbranch_execz .LBB162_62
.LBB162_85:
	v_bfe_u32 v0, v7, 16, 1
	v_cmp_o_f32_e32 vcc_lo, v7, v7
	s_delay_alu instid0(VALU_DEP_3) | instskip(NEXT) | instid1(VALU_DEP_3)
	v_add_nc_u32_e32 v2, v1, v20
	v_add3_u32 v0, v7, v0, 0x7fff
	s_delay_alu instid0(VALU_DEP_1) | instskip(NEXT) | instid1(VALU_DEP_1)
	v_lshrrev_b32_e32 v0, 16, v0
	v_cndmask_b32_e32 v0, 0x7fc0, v0, vcc_lo
	s_wait_kmcnt 0x0
	global_store_b16 v2, v0, s[8:9] scale_offset
	s_wait_xcnt 0x0
	s_or_b32 exec_lo, exec_lo, s3
	s_and_saveexec_b32 s0, s1
	s_cbranch_execz .LBB162_63
.LBB162_86:
	v_bfe_u32 v0, v5, 16, 1
	v_cmp_o_f32_e32 vcc_lo, v5, v5
	v_add_nc_u32_e32 v2, v1, v9
	s_delay_alu instid0(VALU_DEP_3) | instskip(NEXT) | instid1(VALU_DEP_1)
	v_add3_u32 v0, v5, v0, 0x7fff
	v_lshrrev_b32_e32 v0, 16, v0
	s_delay_alu instid0(VALU_DEP_1) | instskip(SKIP_4) | instid1(SALU_CYCLE_1)
	v_cndmask_b32_e32 v0, 0x7fc0, v0, vcc_lo
	s_wait_kmcnt 0x0
	global_store_b16 v2, v0, s[8:9] scale_offset
	s_wait_xcnt 0x0
	s_or_b32 exec_lo, exec_lo, s0
	s_and_b32 exec_lo, exec_lo, s2
	s_cbranch_execnz .LBB162_64
	s_branch .LBB162_65
	.section	.rodata,"a",@progbits
	.p2align	6, 0x0
	.amdhsa_kernel _ZL12mul_mat_q5_0IN3c108BFloat16ELb1EEvPKvS3_PT_iiiii
		.amdhsa_group_segment_fixed_size 46720
		.amdhsa_private_segment_fixed_size 0
		.amdhsa_kernarg_size 44
		.amdhsa_user_sgpr_count 2
		.amdhsa_user_sgpr_dispatch_ptr 0
		.amdhsa_user_sgpr_queue_ptr 0
		.amdhsa_user_sgpr_kernarg_segment_ptr 1
		.amdhsa_user_sgpr_dispatch_id 0
		.amdhsa_user_sgpr_kernarg_preload_length 0
		.amdhsa_user_sgpr_kernarg_preload_offset 0
		.amdhsa_user_sgpr_private_segment_size 0
		.amdhsa_wavefront_size32 1
		.amdhsa_uses_dynamic_stack 0
		.amdhsa_enable_private_segment 0
		.amdhsa_system_sgpr_workgroup_id_x 1
		.amdhsa_system_sgpr_workgroup_id_y 1
		.amdhsa_system_sgpr_workgroup_id_z 0
		.amdhsa_system_sgpr_workgroup_info 0
		.amdhsa_system_vgpr_workitem_id 1
		.amdhsa_next_free_vgpr 334
		.amdhsa_next_free_sgpr 17
		.amdhsa_named_barrier_count 0
		.amdhsa_reserve_vcc 1
		.amdhsa_float_round_mode_32 0
		.amdhsa_float_round_mode_16_64 0
		.amdhsa_float_denorm_mode_32 3
		.amdhsa_float_denorm_mode_16_64 3
		.amdhsa_fp16_overflow 0
		.amdhsa_memory_ordered 1
		.amdhsa_forward_progress 1
		.amdhsa_inst_pref_size 246
		.amdhsa_round_robin_scheduling 0
		.amdhsa_exception_fp_ieee_invalid_op 0
		.amdhsa_exception_fp_denorm_src 0
		.amdhsa_exception_fp_ieee_div_zero 0
		.amdhsa_exception_fp_ieee_overflow 0
		.amdhsa_exception_fp_ieee_underflow 0
		.amdhsa_exception_fp_ieee_inexact 0
		.amdhsa_exception_int_div_zero 0
	.end_amdhsa_kernel
	.section	.text._ZL12mul_mat_q5_0IN3c108BFloat16ELb1EEvPKvS3_PT_iiiii,"axG",@progbits,_ZL12mul_mat_q5_0IN3c108BFloat16ELb1EEvPKvS3_PT_iiiii,comdat
.Lfunc_end162:
	.size	_ZL12mul_mat_q5_0IN3c108BFloat16ELb1EEvPKvS3_PT_iiiii, .Lfunc_end162-_ZL12mul_mat_q5_0IN3c108BFloat16ELb1EEvPKvS3_PT_iiiii
                                        ; -- End function
	.set _ZL12mul_mat_q5_0IN3c108BFloat16ELb1EEvPKvS3_PT_iiiii.num_vgpr, 334
	.set _ZL12mul_mat_q5_0IN3c108BFloat16ELb1EEvPKvS3_PT_iiiii.num_agpr, 0
	.set _ZL12mul_mat_q5_0IN3c108BFloat16ELb1EEvPKvS3_PT_iiiii.numbered_sgpr, 17
	.set _ZL12mul_mat_q5_0IN3c108BFloat16ELb1EEvPKvS3_PT_iiiii.num_named_barrier, 0
	.set _ZL12mul_mat_q5_0IN3c108BFloat16ELb1EEvPKvS3_PT_iiiii.private_seg_size, 0
	.set _ZL12mul_mat_q5_0IN3c108BFloat16ELb1EEvPKvS3_PT_iiiii.uses_vcc, 1
	.set _ZL12mul_mat_q5_0IN3c108BFloat16ELb1EEvPKvS3_PT_iiiii.uses_flat_scratch, 0
	.set _ZL12mul_mat_q5_0IN3c108BFloat16ELb1EEvPKvS3_PT_iiiii.has_dyn_sized_stack, 0
	.set _ZL12mul_mat_q5_0IN3c108BFloat16ELb1EEvPKvS3_PT_iiiii.has_recursion, 0
	.set _ZL12mul_mat_q5_0IN3c108BFloat16ELb1EEvPKvS3_PT_iiiii.has_indirect_call, 0
	.section	.AMDGPU.csdata,"",@progbits
; Kernel info:
; codeLenInByte = 31420
; TotalNumSgprs: 19
; NumVgprs: 334
; ScratchSize: 0
; MemoryBound: 0
; FloatMode: 240
; IeeeMode: 1
; LDSByteSize: 46720 bytes/workgroup (compile time only)
; SGPRBlocks: 0
; VGPRBlocks: 20
; NumSGPRsForWavesPerEU: 19
; NumVGPRsForWavesPerEU: 334
; NamedBarCnt: 0
; Occupancy: 3
; WaveLimiterHint : 0
; COMPUTE_PGM_RSRC2:SCRATCH_EN: 0
; COMPUTE_PGM_RSRC2:USER_SGPR: 2
; COMPUTE_PGM_RSRC2:TRAP_HANDLER: 0
; COMPUTE_PGM_RSRC2:TGID_X_EN: 1
; COMPUTE_PGM_RSRC2:TGID_Y_EN: 1
; COMPUTE_PGM_RSRC2:TGID_Z_EN: 0
; COMPUTE_PGM_RSRC2:TIDIG_COMP_CNT: 1
	.section	.text._ZL12mul_mat_q5_1IN3c108BFloat16ELb0EEvPKvS3_PT_iiiii,"axG",@progbits,_ZL12mul_mat_q5_1IN3c108BFloat16ELb0EEvPKvS3_PT_iiiii,comdat
	.globl	_ZL12mul_mat_q5_1IN3c108BFloat16ELb0EEvPKvS3_PT_iiiii ; -- Begin function _ZL12mul_mat_q5_1IN3c108BFloat16ELb0EEvPKvS3_PT_iiiii
	.p2align	8
	.type	_ZL12mul_mat_q5_1IN3c108BFloat16ELb0EEvPKvS3_PT_iiiii,@function
_ZL12mul_mat_q5_1IN3c108BFloat16ELb0EEvPKvS3_PT_iiiii: ; @_ZL12mul_mat_q5_1IN3c108BFloat16ELb0EEvPKvS3_PT_iiiii
; %bb.0:
	s_clause 0x1
	s_load_b32 s10, s[0:1], 0x18
	s_load_b96 s[4:6], s[0:1], 0x20
	s_bfe_u32 s2, ttmp6, 0x4000c
	s_bfe_u32 s7, ttmp6, 0x40010
	s_add_co_i32 s2, s2, 1
	s_and_b32 s3, ttmp6, 15
	s_mul_i32 s2, ttmp9, s2
	s_add_co_i32 s7, s7, 1
	s_add_co_i32 s3, s3, s2
	s_mul_i32 s2, ttmp7, s7
	s_bfe_u32 s7, ttmp6, 0x40004
	s_getreg_b32 s8, hwreg(HW_REG_IB_STS2, 6, 4)
	s_add_co_i32 s7, s7, s2
	s_cmp_eq_u32 s8, 0
	v_bfe_u32 v25, v0, 10, 10
	s_cselect_b32 s7, ttmp7, s7
	v_and_b32_e32 v29, 0x3ff, v0
	s_cselect_b32 s2, ttmp9, s3
	s_lshl_b32 s7, s7, 6
	s_mov_b32 s3, 0
	s_wait_kmcnt 0x0
	s_cmp_gt_i32 s10, 31
	s_cbranch_scc1 .LBB163_4
; %bb.1:
	v_bfe_u32 v24, v0, 10, 10
	v_and_b32_e32 v26, 0x3ff, v0
	s_delay_alu instid0(VALU_DEP_2)
	v_add_nc_u32_e32 v39, s7, v24
	s_load_b64 s[8:9], s[0:1], 0x10
	s_and_not1_b32 vcc_lo, exec_lo, s3
	s_lshl_b32 s14, s2, 7
	s_cbranch_vccz .LBB163_5
; %bb.2:
	v_dual_mov_b32 v9, 0 :: v_dual_mov_b32 v17, 0
	v_mov_b64_e32 v[0:1], 0
	v_mov_b64_e32 v[32:33], 0
	;; [unrolled: 1-line block ×7, first 2 shown]
	v_dual_mov_b32 v16, 0 :: v_dual_mov_b32 v11, 0
	v_dual_mov_b32 v10, 0 :: v_dual_mov_b32 v19, 0
	;; [unrolled: 1-line block ×8, first 2 shown]
	s_wait_xcnt 0x0
	s_mov_b32 s0, exec_lo
	v_cmpx_gt_u32_e64 s4, v39
	s_cbranch_execnz .LBB163_15
.LBB163_3:
	s_sendmsg sendmsg(MSG_DEALLOC_VGPRS)
	s_endpgm
.LBB163_4:
                                        ; implicit-def: $vgpr24
                                        ; implicit-def: $vgpr26
                                        ; implicit-def: $vgpr39
	s_load_b64 s[8:9], s[0:1], 0x10
	s_lshl_b32 s14, s2, 7
.LBB163_5:
	v_add_nc_u32_e32 v39, s7, v25
	s_add_co_i32 s16, s4, -1
	s_ashr_i32 s11, s10, 31
	v_cvt_f64_i32_e32 v[2:3], s16
	s_ashr_i32 s12, s5, 31
	v_add_nc_u32_e32 v1, 8, v39
	s_lshr_b32 s11, s11, 27
	s_lshr_b32 s12, s12, 27
	s_add_co_i32 s17, s10, s11
	s_add_co_i32 s10, s5, s12
	v_cvt_f64_u32_e32 v[6:7], v1
	v_add_nc_u32_e32 v1, 40, v39
	s_ashr_i32 s5, s17, 5
	v_bfe_u32 v24, v0, 2, 8
	v_mul_lo_u32 v38, s5, v25
	v_dual_mov_b32 v27, 0 :: v_dual_lshlrev_b32 v20, 3, v29
	v_cvt_f64_u32_e32 v[14:15], v1
	v_dual_add_nc_u32 v8, 16, v39 :: v_dual_bitop2_b32 v1, 3, v0 bitop3:0x40
	v_dual_add_nc_u32 v10, 24, v39 :: v_dual_add_nc_u32 v12, 32, v39
	v_add_nc_u32_e32 v16, 48, v39
	v_cvt_f64_u32_e32 v[4:5], v39
	s_delay_alu instid0(VALU_DEP_4)
	v_cvt_f64_u32_e32 v[8:9], v8
	v_dual_lshlrev_b32 v21, 2, v29 :: v_dual_bitop2_b32 v28, 7, v0 bitop3:0x40
	v_cvt_f64_u32_e32 v[12:13], v12
	v_cvt_f64_u32_e32 v[16:17], v16
	s_lshl_b32 s18, s5, 3
	v_cvt_f64_u32_e32 v[10:11], v10
	v_mad_u32_u24 v43, 0x104, v25, v20
	v_and_b32_e32 v20, 28, v21
	v_lshl_add_u32 v32, v25, 3, v24
	v_dual_add_nc_u32 v40, s18, v38 :: v_dual_bitop2_b32 v22, 31, v0 bitop3:0x40
	v_add_nc_u32_e32 v18, 56, v39
	s_ashr_i32 s19, s10, 5
	v_bfe_u32 v41, v0, 3, 7
	v_dual_lshlrev_b32 v23, 7, v25 :: v_dual_lshlrev_b32 v31, 2, v28
	s_delay_alu instid0(VALU_DEP_3) | instskip(SKIP_1) | instid1(VALU_DEP_4)
	v_cvt_f64_u32_e32 v[18:19], v18
	v_min_num_f64_e32 v[6:7], v[6:7], v[2:3]
	v_lshl_add_u32 v30, v25, 2, v41
	v_dual_mov_b32 v21, v27 :: v_dual_lshlrev_b32 v26, 2, v1
	v_lshl_or_b32 v22, v22, 2, 0x8200
	v_add_nc_u32_e32 v33, 0x400, v23
	s_wait_xcnt 0x0
	s_load_b128 s[0:3], s[0:1], 0x0
	v_min_num_f64_e32 v[14:15], v[14:15], v[2:3]
	v_mul_lo_u32 v62, s5, v30
	s_and_not1_b32 s17, s17, 31
	v_add_nc_u32_e32 v42, s18, v40
	v_and_b32_e32 v0, 0xfc, v0
	v_add_nc_u32_e32 v34, 0x800, v23
	v_min_num_f64_e32 v[4:5], v[4:5], v[2:3]
	v_min_num_f64_e32 v[8:9], v[8:9], v[2:3]
	s_mul_i32 s10, s5, s14
	v_add_nc_u32_e32 v208, 0x8200, v23
	v_min_num_f64_e32 v[12:13], v[12:13], v[2:3]
	v_min_num_f64_e32 v[16:17], v[16:17], v[2:3]
	s_ashr_i32 s11, s10, 31
	v_mov_b64_e32 v[36:37], 0
	s_mul_u64 s[12:13], s[10:11], 24
	s_movk_i32 s10, 0x80
	v_add_nc_u32_e32 v45, 0x820, v43
	v_add_nc_u32_e32 v47, 0x1040, v43
	;; [unrolled: 1-line block ×3, first 2 shown]
	s_wait_kmcnt 0x0
	v_add_nc_u64_e32 v[52:53], s[2:3], v[20:21]
	v_mov_b64_e32 v[20:21], 0
	v_add_nc_u32_e32 v51, 0x2080, v43
	v_add_nc_u32_e32 v55, 0x28a0, v43
	;; [unrolled: 1-line block ×12, first 2 shown]
	v_mul_u32_u24_e32 v214, 0x104, v29
	v_lshl_add_u32 v215, v25, 4, 0xb280
	v_mad_u32_u24 v216, 0x104, v29, s10
	s_mov_b32 s11, 0
	s_add_co_i32 s15, s5, 3
	v_cvt_i32_f64_e32 v4, v[4:5]
	v_cvt_i32_f64_e32 v5, v[6:7]
	;; [unrolled: 1-line block ×3, first 2 shown]
	v_and_b32_e32 v9, 0x7fc, v30
	v_cvt_i32_f64_e32 v8, v[12:13]
	v_cvt_i32_f64_e32 v13, v[16:17]
	v_dual_min_num_f64 v[10:11], v[10:11], v[2:3] :: v_dual_bitop2_b32 v16, 63, v32 bitop3:0x40
	v_min_num_f64_e32 v[2:3], v[18:19], v[2:3]
	v_add3_u32 v9, v9, v31, 0xa200
	s_add_nc_u64 s[0:1], s[0:1], s[12:13]
	s_delay_alu instid0(VALU_DEP_3) | instskip(SKIP_3) | instid1(VALU_DEP_2)
	v_or_b32_e32 v19, s7, v16
	s_mov_b32 s10, s11
	v_dual_add_nc_u32 v12, 32, v30 :: v_dual_add_nc_u32 v207, v22, v23
	v_dual_add_nc_u32 v200, v22, v33 :: v_dual_add_nc_u32 v70, s17, v62
	v_and_b32_e32 v17, 0xffc, v12
	s_delay_alu instid0(VALU_DEP_2) | instskip(NEXT) | instid1(VALU_DEP_2)
	v_dual_lshlrev_b32 v12, 5, v12 :: v_dual_add_nc_u32 v74, s17, v70
	v_add3_u32 v17, v17, v31, 0xa200
	s_delay_alu instid0(VALU_DEP_1)
	v_dual_add_nc_u32 v78, s17, v74 :: v_dual_add_nc_u32 v194, v17, v12
	v_mul_lo_u32 v79, s19, v4
	v_mul_lo_u32 v184, s19, v5
	;; [unrolled: 1-line block ×3, first 2 shown]
	v_add_nc_u32_e32 v6, 64, v29
	v_add_nc_u32_e32 v5, 0x60, v29
	v_mul_lo_u32 v189, s19, v13
	v_mul_lo_u32 v187, s19, v8
	v_cvt_i32_f64_e32 v7, v[10:11]
	v_cvt_i32_f64_e32 v11, v[14:15]
	v_and_b32_e32 v5, 0x1fc, v5
	v_lshlrev_b32_e32 v10, 5, v30
	v_and_b32_e32 v6, 0x1fc, v6
	v_add_nc_u32_e32 v15, 0x60, v30
	v_add_nc_u32_e32 v14, 64, v30
	;; [unrolled: 1-line block ×4, first 2 shown]
	s_delay_alu instid0(VALU_DEP_4) | instskip(SKIP_2) | instid1(VALU_DEP_4)
	v_and_b32_e32 v32, 0xffc, v15
	v_lshlrev_b32_e32 v15, 5, v15
	v_and_b32_e32 v18, 0xffc, v14
	v_dual_lshlrev_b32 v14, 5, v14 :: v_dual_add_nc_u32 v205, v22, v8
	s_delay_alu instid0(VALU_DEP_2)
	v_add3_u32 v18, v18, v31, 0xa200
	v_mul_lo_u32 v186, s19, v7
	v_mul_lo_u32 v188, s19, v11
	v_lshlrev_b32_e32 v11, 5, v29
	v_cvt_i32_f64_e32 v2, v[2:3]
	v_dual_add_nc_u32 v44, s18, v42 :: v_dual_add_nc_u32 v7, 32, v29
	v_lshl_or_b32 v3, v16, 4, v26
	v_min_i32_e32 v16, s16, v19
	v_add3_u32 v19, v32, v31, 0xa200
	s_delay_alu instid0(VALU_DEP_4)
	v_dual_add_nc_u32 v0, v11, v0 :: v_dual_lshrrev_b32 v191, 3, v7
	v_and_b32_e32 v13, 0x1fc, v7
	v_add_nc_u32_e32 v75, 0xb280, v3
	v_add_nc_u32_e32 v3, 0x1000, v23
	v_mad_u32 v77, v16, s19, v1
	v_add_nc_u32_e32 v1, 0xc00, v23
	v_dual_add_nc_u32 v192, v9, v10 :: v_dual_add_nc_u32 v198, v19, v15
	v_add_nc_u32_e32 v199, 0xa200, v0
	s_delay_alu instid0(VALU_DEP_3)
	v_dual_add_nc_u32 v201, v22, v34 :: v_dual_add_nc_u32 v202, v22, v1
	v_add_nc_u32_e32 v212, 0xa210, v0
	v_mov_b64_e32 v[34:35], 0
	v_mov_b64_e32 v[32:33], 0
	;; [unrolled: 1-line block ×6, first 2 shown]
	v_mul_lo_u32 v190, s19, v2
	v_dual_add_nc_u32 v2, v11, v5 :: v_dual_add_nc_u32 v46, s18, v44
	s_delay_alu instid0(VALU_DEP_1) | instskip(NEXT) | instid1(VALU_DEP_2)
	v_add_nc_u32_e32 v193, 0xae00, v2
	v_add_nc_u32_e32 v48, s18, v46
	v_dual_add_nc_u32 v5, v11, v6 :: v_dual_add_nc_u32 v6, v11, v13
	v_add_nc_u32_e32 v11, 0x1c00, v23
	v_add_nc_u32_e32 v204, v22, v4
	s_delay_alu instid0(VALU_DEP_4) | instskip(NEXT) | instid1(VALU_DEP_4)
	v_add_nc_u32_e32 v50, s18, v48
	v_add_nc_u32_e32 v195, 0xaa00, v5
	;; [unrolled: 1-line block ×8, first 2 shown]
	v_mov_b64_e32 v[6:7], 0
	v_mov_b64_e32 v[4:5], 0
	v_add_nc_u32_e32 v56, s18, v54
	v_add_nc_u32_e32 v196, v18, v14
	v_mov_b64_e32 v[12:13], 0
	v_mov_b64_e32 v[18:19], 0
	;; [unrolled: 1-line block ×3, first 2 shown]
	v_dual_add_nc_u32 v58, s18, v56 :: v_dual_add_nc_u32 v203, v22, v3
	v_mov_b64_e32 v[2:3], 0
	v_mov_b64_e32 v[22:23], 0
	;; [unrolled: 1-line block ×3, first 2 shown]
	s_delay_alu instid0(VALU_DEP_4) | instskip(NEXT) | instid1(VALU_DEP_1)
	v_add_nc_u32_e32 v60, s18, v58
	v_add_nc_u32_e32 v64, s18, v60
	s_delay_alu instid0(VALU_DEP_1) | instskip(NEXT) | instid1(VALU_DEP_1)
	v_add_nc_u32_e32 v66, s18, v64
	v_add_nc_u32_e32 v68, s18, v66
	s_delay_alu instid0(VALU_DEP_1) | instskip(NEXT) | instid1(VALU_DEP_1)
	v_add_nc_u32_e32 v72, s18, v68
	v_add_nc_u32_e32 v76, s18, v72
	s_branch .LBB163_7
.LBB163_6:                              ;   in Loop: Header=BB163_7 Depth=1
	s_add_co_i32 s10, s10, 8
	s_add_co_i32 s15, s15, -8
	s_cmp_ge_i32 s10, s5
	s_cbranch_scc1 .LBB163_14
.LBB163_7:                              ; =>This Loop Header: Depth=1
                                        ;     Child Loop BB163_9 Depth 2
                                        ;     Child Loop BB163_12 Depth 2
	s_mul_u64 s[12:13], s[10:11], 24
	s_cmp_gt_u32 s15, 3
	s_add_nc_u64 s[12:13], s[0:1], s[12:13]
	s_delay_alu instid0(SALU_CYCLE_1) | instskip(NEXT) | instid1(VALU_DEP_1)
	v_mad_nc_u64_u32 v[80:81], v24, 24, s[12:13]
	v_mad_nc_u64_u32 v[82:83], v38, 24, v[80:81]
	;; [unrolled: 1-line block ×9, first 2 shown]
	v_add_nc_u64_e32 v[92:93], v[82:83], v[26:27]
	v_add_nc_u64_e32 v[94:95], v[84:85], v[26:27]
	;; [unrolled: 1-line block ×4, first 2 shown]
	s_clause 0x7
	global_load_b32 v106, v[92:93], off offset:8
	global_load_b32 v107, v[94:95], off offset:8
	;; [unrolled: 1-line block ×8, first 2 shown]
	s_wait_xcnt 0x0
	v_mad_nc_u64_u32 v[82:83], v56, 24, v[80:81]
	v_mad_nc_u64_u32 v[84:85], v58, 24, v[80:81]
	;; [unrolled: 1-line block ×4, first 2 shown]
	v_add_nc_u64_e32 v[92:93], v[90:91], v[26:27]
	v_add_nc_u64_e32 v[94:95], v[100:101], v[26:27]
	;; [unrolled: 1-line block ×4, first 2 shown]
	s_clause 0x7
	global_load_b32 v114, v[104:105], off offset:4
	global_load_b32 v115, v[102:103], off offset:4
	;; [unrolled: 1-line block ×8, first 2 shown]
	s_wait_xcnt 0x4
	v_add_nc_u64_e32 v[90:91], v[82:83], v[26:27]
	s_wait_xcnt 0x3
	v_add_nc_u64_e32 v[92:93], v[84:85], v[26:27]
	;; [unrolled: 2-line block ×3, first 2 shown]
	s_clause 0x6
	global_load_b32 v104, v[88:89], off offset:4
	global_load_b32 v105, v[86:87], off offset:4
	;; [unrolled: 1-line block ×7, first 2 shown]
	s_wait_xcnt 0x3
	v_mad_nc_u64_u32 v[82:83], v28, 24, s[12:13]
	v_add_nc_u64_e32 v[88:89], v[88:89], v[26:27]
	v_mad_nc_u64_u32 v[84:85], v66, 24, v[80:81]
	v_mad_nc_u64_u32 v[86:87], v68, 24, v[80:81]
	s_wait_xcnt 0x2
	v_mad_nc_u64_u32 v[90:91], v72, 24, v[80:81]
	v_mad_nc_u64_u32 v[80:81], v76, 24, v[80:81]
	global_load_b32 v127, v[88:89], off offset:8
	s_wait_xcnt 0x2
	v_mad_nc_u64_u32 v[92:93], v62, 24, v[82:83]
	s_wait_xcnt 0x1
	v_mad_nc_u64_u32 v[94:95], v70, 24, v[82:83]
	v_mad_nc_u64_u32 v[96:97], v74, 24, v[82:83]
	;; [unrolled: 1-line block ×3, first 2 shown]
	s_wait_xcnt 0x0
	v_add_nc_u64_e32 v[88:89], v[84:85], v[26:27]
	v_add_nc_u64_e32 v[98:99], v[86:87], v[26:27]
	;; [unrolled: 1-line block ×4, first 2 shown]
	s_clause 0xb
	global_load_b32 v128, v[92:93], off
	global_load_b32 v129, v[94:95], off
	;; [unrolled: 1-line block ×4, first 2 shown]
	global_load_b32 v132, v[88:89], off offset:8
	global_load_b32 v133, v[98:99], off offset:8
	;; [unrolled: 1-line block ×8, first 2 shown]
	s_wait_loadcnt 0x23
	s_wait_xcnt 0x8
	v_and_b32_e32 v82, 0xf0f0f0f, v106
	s_wait_loadcnt 0x22
	s_wait_xcnt 0x0
	v_and_b32_e32 v85, 0xf0f0f0f, v107
	s_wait_loadcnt 0x21
	v_and_b32_e32 v88, 0xf0f0f0f, v108
	s_wait_loadcnt 0x20
	;; [unrolled: 2-line block ×3, first 2 shown]
	v_dual_ashrrev_i32 v89, v26, v110 :: v_dual_lshrrev_b32 v90, 4, v109
	s_wait_loadcnt 0x1d
	v_dual_ashrrev_i32 v83, v26, v112 :: v_dual_lshrrev_b32 v84, 4, v107
	s_wait_loadcnt 0x1c
	v_dual_ashrrev_i32 v80, v26, v113 :: v_dual_lshrrev_b32 v81, 4, v106
	v_dual_ashrrev_i32 v86, v26, v111 :: v_dual_lshrrev_b32 v87, 4, v108
	s_wait_loadcnt 0x17
	v_dual_ashrrev_i32 v92, v26, v117 :: v_dual_lshrrev_b32 v93, 4, v118
	s_wait_loadcnt 0x16
	;; [unrolled: 2-line block ×7, first 2 shown]
	v_dual_ashrrev_i32 v105, v26, v105 :: v_dual_lshrrev_b32 v112, 4, v126
	v_dual_lshlrev_b32 v114, 4, v80 :: v_dual_lshlrev_b32 v115, 11, v80
	v_dual_lshrrev_b32 v116, 12, v80 :: v_dual_lshrrev_b32 v117, 5, v80
	v_and_b32_e32 v103, 0xf0f0f0f, v121
	v_dual_ashrrev_i32 v104, v26, v104 :: v_dual_lshlrev_b32 v121, 4, v83
	v_dual_lshlrev_b32 v122, 11, v83 :: v_dual_lshrrev_b32 v123, 12, v83
	v_and_b32_e32 v108, 0xf0f0f0f, v124
	v_and_b32_e32 v111, 0xf0f0f0f, v125
	;; [unrolled: 1-line block ×3, first 2 shown]
	v_dual_lshrrev_b32 v124, 5, v83 :: v_dual_lshlrev_b32 v125, 2, v83
	v_dual_lshlrev_b32 v126, 18, v83 :: v_dual_lshlrev_b32 v140, 9, v83
	v_dual_lshlrev_b32 v83, 25, v83 :: v_dual_lshlrev_b32 v141, 4, v86
	v_dual_lshlrev_b32 v142, 11, v86 :: v_dual_lshrrev_b32 v143, 12, v86
	v_dual_lshrrev_b32 v144, 5, v86 :: v_dual_lshlrev_b32 v145, 2, v86
	v_dual_lshlrev_b32 v146, 18, v86 :: v_dual_lshlrev_b32 v147, 9, v86
	v_dual_lshlrev_b32 v86, 25, v86 :: v_dual_lshlrev_b32 v148, 4, v89
	v_dual_lshlrev_b32 v149, 11, v89 :: v_dual_lshrrev_b32 v150, 12, v89
	;; [unrolled: 4-line block ×3, first 2 shown]
	v_and_b32_e32 v81, 0xf0f0f0f, v81
	v_dual_lshrrev_b32 v158, 5, v92 :: v_dual_lshlrev_b32 v159, 2, v92
	v_dual_lshlrev_b32 v160, 18, v92 :: v_dual_lshlrev_b32 v161, 9, v92
	v_dual_lshlrev_b32 v92, 25, v92 :: v_dual_lshlrev_b32 v162, 4, v95
	v_dual_lshlrev_b32 v163, 11, v95 :: v_dual_lshrrev_b32 v164, 12, v95
	v_dual_lshrrev_b32 v165, 5, v95 :: v_dual_lshlrev_b32 v166, 2, v95
	v_dual_lshlrev_b32 v167, 18, v95 :: v_dual_lshlrev_b32 v168, 9, v95
	v_dual_lshlrev_b32 v95, 25, v95 :: v_dual_lshlrev_b32 v169, 4, v98
	v_dual_lshlrev_b32 v170, 11, v98 :: v_dual_lshrrev_b32 v171, 12, v98
	;; [unrolled: 4-line block ×5, first 2 shown]
	v_dual_lshrrev_b32 v226, 5, v109 :: v_dual_lshlrev_b32 v227, 2, v109
	v_dual_lshlrev_b32 v228, 18, v109 :: v_dual_lshlrev_b32 v229, 9, v109
	v_dual_lshlrev_b32 v109, 25, v109 :: v_dual_bitop2_b32 v116, 16, v116 bitop3:0x40
	v_dual_lshlrev_b32 v236, 9, v105 :: v_dual_bitop2_b32 v114, 16, v114 bitop3:0x40
	v_and_b32_e32 v84, 0xf0f0f0f, v84
	v_and_b32_e32 v123, 16, v123
	;; [unrolled: 1-line block ×15, first 2 shown]
	v_dual_lshlrev_b32 v118, 2, v80 :: v_dual_lshlrev_b32 v119, 18, v80
	v_and_b32_e32 v96, 0xf0f0f0f, v96
	v_and_b32_e32 v99, 0xf0f0f0f, v99
	;; [unrolled: 1-line block ×14, first 2 shown]
	v_or_b32_e32 v81, v116, v81
	v_or_b32_e32 v82, v114, v82
	v_and_b32_e32 v124, 0x1000, v124
	v_and_b32_e32 v122, 0x1000, v122
	v_or_b32_e32 v84, v123, v84
	v_or_b32_e32 v85, v121, v85
	v_and_b32_e32 v144, 0x1000, v144
	v_and_b32_e32 v142, 0x1000, v142
	;; [unrolled: 4-line block ×4, first 2 shown]
	v_or_b32_e32 v93, v157, v93
	v_dual_lshlrev_b32 v120, 9, v80 :: v_dual_bitop2_b32 v94, v155, v94 bitop3:0x54
	v_lshlrev_b32_e32 v80, 25, v80
	v_and_b32_e32 v118, 0x100000, v118
	v_and_b32_e32 v119, 0x100000, v119
	;; [unrolled: 1-line block ×10, first 2 shown]
	v_or_b32_e32 v96, v164, v96
	v_or_b32_e32 v97, v162, v97
	;; [unrolled: 1-line block ×9, first 2 shown]
	v_dual_lshlrev_b32 v230, 4, v105 :: v_dual_bitop2_b32 v82, v82, v115 bitop3:0x54
	v_dual_lshlrev_b32 v231, 11, v105 :: v_dual_lshrrev_b32 v232, 12, v105
	v_lshrrev_b32_e32 v233, 5, v105
	v_and_b32_e32 v125, 0x100000, v125
	v_and_b32_e32 v126, 0x100000, v126
	v_or_b32_e32 v84, v84, v124
	v_or_b32_e32 v85, v85, v122
	v_and_b32_e32 v145, 0x100000, v145
	v_and_b32_e32 v146, 0x100000, v146
	v_or_b32_e32 v87, v87, v144
	v_or_b32_e32 v88, v88, v142
	;; [unrolled: 4-line block ×4, first 2 shown]
	v_and_b32_e32 v110, 0xf0f0f0f, v110
	v_and_b32_e32 v120, 0x10000000, v120
	;; [unrolled: 1-line block ×13, first 2 shown]
	v_or_b32_e32 v96, v96, v165
	v_or_b32_e32 v97, v97, v163
	;; [unrolled: 1-line block ×10, first 2 shown]
	v_and_b32_e32 v112, 0xf0f0f0f, v112
	v_and_b32_e32 v140, 0x10000000, v140
	;; [unrolled: 1-line block ×5, first 2 shown]
	v_or_b32_e32 v84, v84, v125
	v_or_b32_e32 v85, v85, v126
	v_and_b32_e32 v147, 0x10000000, v147
	v_and_b32_e32 v86, 0x10000000, v86
	v_or_b32_e32 v87, v87, v145
	v_or_b32_e32 v88, v88, v146
	v_and_b32_e32 v154, 0x10000000, v154
	v_and_b32_e32 v89, 0x10000000, v89
	;; [unrolled: 4-line block ×4, first 2 shown]
	v_and_b32_e32 v175, 0x10000000, v175
	v_and_b32_e32 v98, 0x10000000, v98
	;; [unrolled: 1-line block ×8, first 2 shown]
	v_or_b32_e32 v110, v225, v110
	v_or_b32_e32 v111, v223, v111
	;; [unrolled: 1-line block ×11, first 2 shown]
	v_dual_lshlrev_b32 v234, 2, v105 :: v_dual_bitop2_b32 v80, v82, v80 bitop3:0x54
	v_lshlrev_b32_e32 v235, 18, v105
	v_and_b32_e32 v233, 0x1000, v233
	v_and_b32_e32 v231, 0x1000, v231
	v_or_b32_e32 v112, v232, v112
	v_or_b32_e32 v113, v230, v113
	;; [unrolled: 1-line block ×10, first 2 shown]
	v_and_b32_e32 v227, 0x100000, v227
	v_and_b32_e32 v228, 0x100000, v228
	v_or_b32_e32 v110, v110, v226
	v_or_b32_e32 v111, v111, v224
	;; [unrolled: 1-line block ×10, first 2 shown]
	ds_store_2addr_b32 v43, v80, v81 offset1:1
	ds_store_2addr_b32 v45, v83, v82 offset1:1
	;; [unrolled: 1-line block ×9, first 2 shown]
	s_wait_loadcnt 0xc
	v_dual_lshrrev_b32 v81, 4, v127 :: v_dual_lshrrev_b32 v83, 12, v104
	v_lshlrev_b32_e32 v84, 4, v104
	v_and_b32_e32 v234, 0x100000, v234
	v_and_b32_e32 v235, 0x100000, v235
	v_or_b32_e32 v112, v112, v233
	v_dual_lshlrev_b32 v80, 25, v105 :: v_dual_bitop2_b32 v113, v113, v231 bitop3:0x54
	v_and_b32_e32 v229, 0x10000000, v229
	v_and_b32_e32 v109, 0x10000000, v109
	v_or_b32_e32 v110, v110, v227
	v_or_b32_e32 v111, v111, v228
	v_and_b32_e32 v81, 0xf0f0f0f, v81
	v_and_b32_e32 v85, 0xf0f0f0f, v127
	;; [unrolled: 1-line block ×4, first 2 shown]
	v_dual_lshlrev_b32 v87, 11, v104 :: v_dual_bitop2_b32 v112, v112, v234 bitop3:0x54
	v_or_b32_e32 v113, v113, v235
	v_and_b32_e32 v82, 0x10000000, v236
	v_and_b32_e32 v80, 0x10000000, v80
	v_or_b32_e32 v98, v110, v229
	v_dual_lshrrev_b32 v86, 5, v104 :: v_dual_bitop2_b32 v99, v111, v109 bitop3:0x54
	v_or_b32_e32 v81, v83, v81
	v_or_b32_e32 v83, v84, v85
	v_and_b32_e32 v85, 0x1000, v87
	v_dual_lshlrev_b32 v87, 18, v104 :: v_dual_bitop2_b32 v82, v112, v82 bitop3:0x54
	v_or_b32_e32 v80, v113, v80
	v_and_b32_e32 v84, 0x1000, v86
	s_delay_alu instid0(VALU_DEP_4) | instskip(NEXT) | instid1(VALU_DEP_4)
	v_dual_lshlrev_b32 v86, 2, v104 :: v_dual_bitop2_b32 v83, v83, v85 bitop3:0x54
	v_and_b32_e32 v85, 0x100000, v87
	ds_store_2addr_b32 v63, v99, v98 offset1:1
	ds_store_2addr_b32 v65, v80, v82 offset1:1
	s_wait_loadcnt 0x0
	v_dual_ashrrev_i32 v80, v26, v139 :: v_dual_bitop2_b32 v81, v81, v84 bitop3:0x54
	v_and_b32_e32 v84, 0x100000, v86
	v_dual_lshrrev_b32 v83, 4, v132 :: v_dual_bitop2_b32 v82, v83, v85 bitop3:0x54
	s_delay_alu instid0(VALU_DEP_3) | instskip(NEXT) | instid1(VALU_DEP_3)
	v_dual_lshrrev_b32 v85, 12, v80 :: v_dual_lshlrev_b32 v86, 4, v80
	v_or_b32_e32 v81, v81, v84
	v_lshlrev_b32_e32 v84, 9, v104
	s_delay_alu instid0(VALU_DEP_4)
	v_and_b32_e32 v83, 0xf0f0f0f, v83
	v_and_b32_e32 v88, 0xf0f0f0f, v132
	;; [unrolled: 1-line block ×3, first 2 shown]
	v_dual_lshrrev_b32 v89, 5, v80 :: v_dual_bitop2_b32 v86, 16, v86 bitop3:0x40
	v_lshlrev_b32_e32 v90, 11, v80
	v_and_b32_e32 v84, 0x10000000, v84
	s_delay_alu instid0(VALU_DEP_4) | instskip(NEXT) | instid1(VALU_DEP_4)
	v_or_b32_e32 v83, v85, v83
	v_or_b32_e32 v85, v86, v88
	v_and_b32_e32 v86, 0x1000, v89
	v_and_b32_e32 v88, 0x1000, v90
	v_dual_lshlrev_b32 v89, 2, v80 :: v_dual_lshlrev_b32 v90, 18, v80
	s_delay_alu instid0(VALU_DEP_3) | instskip(NEXT) | instid1(VALU_DEP_3)
	v_dual_lshlrev_b32 v87, 25, v104 :: v_dual_bitop2_b32 v83, v83, v86 bitop3:0x54
	v_or_b32_e32 v85, v85, v88
	s_delay_alu instid0(VALU_DEP_3) | instskip(NEXT) | instid1(VALU_DEP_4)
	v_and_b32_e32 v86, 0x100000, v89
	v_and_b32_e32 v88, 0x100000, v90
	v_dual_ashrrev_i32 v84, v26, v138 :: v_dual_bitop2_b32 v81, v81, v84 bitop3:0x54
	v_and_b32_e32 v87, 0x10000000, v87
	s_delay_alu instid0(VALU_DEP_4) | instskip(NEXT) | instid1(VALU_DEP_4)
	v_or_b32_e32 v83, v83, v86
	v_dual_lshrrev_b32 v86, 4, v133 :: v_dual_bitop2_b32 v85, v85, v88 bitop3:0x54
	s_delay_alu instid0(VALU_DEP_4) | instskip(NEXT) | instid1(VALU_DEP_4)
	v_dual_lshrrev_b32 v88, 12, v84 :: v_dual_lshlrev_b32 v89, 4, v84
	v_dual_lshlrev_b32 v87, 9, v80 :: v_dual_bitop2_b32 v82, v82, v87 bitop3:0x54
	v_lshlrev_b32_e32 v80, 25, v80
	s_delay_alu instid0(VALU_DEP_4)
	v_and_b32_e32 v86, 0xf0f0f0f, v86
	v_and_b32_e32 v90, 0xf0f0f0f, v133
	;; [unrolled: 1-line block ×3, first 2 shown]
	v_dual_lshlrev_b32 v92, 11, v84 :: v_dual_bitop2_b32 v89, 16, v89 bitop3:0x40
	v_lshrrev_b32_e32 v91, 5, v84
	v_and_b32_e32 v80, 0x10000000, v80
	s_delay_alu instid0(VALU_DEP_4) | instskip(NEXT) | instid1(VALU_DEP_4)
	v_or_b32_e32 v86, v88, v86
	v_or_b32_e32 v88, v89, v90
	v_and_b32_e32 v90, 0x1000, v92
	v_lshlrev_b32_e32 v92, 18, v84
	v_and_b32_e32 v87, 0x10000000, v87
	v_and_b32_e32 v89, 0x1000, v91
	s_delay_alu instid0(VALU_DEP_4) | instskip(NEXT) | instid1(VALU_DEP_4)
	v_dual_lshlrev_b32 v91, 2, v84 :: v_dual_bitop2_b32 v88, v88, v90 bitop3:0x54
	v_and_b32_e32 v90, 0x100000, v92
	v_dual_ashrrev_i32 v85, v26, v137 :: v_dual_bitop2_b32 v80, v85, v80 bitop3:0x54
	s_delay_alu instid0(VALU_DEP_4) | instskip(NEXT) | instid1(VALU_DEP_4)
	v_or_b32_e32 v86, v86, v89
	v_and_b32_e32 v89, 0x100000, v91
	v_or_b32_e32 v83, v83, v87
	v_or_b32_e32 v87, v88, v90
	v_dual_lshrrev_b32 v88, 4, v134 :: v_dual_lshrrev_b32 v90, 12, v85
	v_lshlrev_b32_e32 v91, 4, v85
	v_and_b32_e32 v92, 0xf0f0f0f, v134
	v_lshrrev_b32_e32 v93, 5, v85
	s_delay_alu instid0(VALU_DEP_4) | instskip(SKIP_3) | instid1(VALU_DEP_3)
	v_and_b32_e32 v88, 0xf0f0f0f, v88
	v_and_b32_e32 v90, 16, v90
	v_dual_lshlrev_b32 v94, 11, v85 :: v_dual_bitop2_b32 v91, 16, v91 bitop3:0x40
	v_dual_lshlrev_b32 v89, 9, v84 :: v_dual_bitop2_b32 v86, v86, v89 bitop3:0x54
	v_or_b32_e32 v88, v90, v88
	s_delay_alu instid0(VALU_DEP_3)
	v_or_b32_e32 v90, v91, v92
	v_and_b32_e32 v91, 0x1000, v93
	v_lshlrev_b32_e32 v92, 2, v85
	v_and_b32_e32 v93, 0x1000, v94
	v_lshlrev_b32_e32 v94, 18, v85
	v_and_b32_e32 v89, 0x10000000, v89
	v_or_b32_e32 v88, v88, v91
	v_and_b32_e32 v91, 0x100000, v92
	v_or_b32_e32 v90, v90, v93
	v_and_b32_e32 v92, 0x100000, v94
	v_ashrrev_i32_e32 v93, v26, v136
	v_or_b32_e32 v86, v86, v89
	v_or_b32_e32 v88, v88, v91
	s_delay_alu instid0(VALU_DEP_4) | instskip(NEXT) | instid1(VALU_DEP_4)
	v_dual_lshrrev_b32 v89, 4, v135 :: v_dual_bitop2_b32 v90, v90, v92 bitop3:0x54
	v_dual_lshrrev_b32 v91, 12, v93 :: v_dual_lshlrev_b32 v92, 4, v93
	v_and_b32_e32 v95, 0xf0f0f0f, v135
	s_delay_alu instid0(VALU_DEP_3) | instskip(NEXT) | instid1(VALU_DEP_3)
	v_and_b32_e32 v89, 0xf0f0f0f, v89
	v_dual_lshrrev_b32 v96, 5, v93 :: v_dual_bitop2_b32 v91, 16, v91 bitop3:0x40
	s_delay_alu instid0(VALU_DEP_4) | instskip(SKIP_1) | instid1(VALU_DEP_3)
	v_dual_lshlrev_b32 v97, 11, v93 :: v_dual_bitop2_b32 v92, 16, v92 bitop3:0x40
	v_dual_lshlrev_b32 v84, 25, v84 :: v_dual_lshlrev_b32 v94, 9, v85
	v_or_b32_e32 v89, v91, v89
	s_delay_alu instid0(VALU_DEP_3) | instskip(SKIP_3) | instid1(VALU_DEP_3)
	v_or_b32_e32 v91, v92, v95
	v_and_b32_e32 v92, 0x1000, v96
	v_and_b32_e32 v95, 0x1000, v97
	v_dual_lshlrev_b32 v96, 2, v93 :: v_dual_lshlrev_b32 v97, 18, v93
	v_dual_lshlrev_b32 v85, 25, v85 :: v_dual_bitop2_b32 v89, v89, v92 bitop3:0x54
	s_delay_alu instid0(VALU_DEP_3) | instskip(NEXT) | instid1(VALU_DEP_3)
	v_or_b32_e32 v91, v91, v95
	v_and_b32_e32 v92, 0x100000, v96
	s_delay_alu instid0(VALU_DEP_4)
	v_and_b32_e32 v95, 0x100000, v97
	v_dual_lshlrev_b32 v96, 9, v93 :: v_dual_lshlrev_b32 v93, 25, v93
	v_and_b32_e32 v84, 0x10000000, v84
	v_and_b32_e32 v94, 0x10000000, v94
	;; [unrolled: 1-line block ×3, first 2 shown]
	v_or_b32_e32 v89, v89, v92
	v_or_b32_e32 v91, v91, v95
	v_and_b32_e32 v92, 0x10000000, v96
	v_and_b32_e32 v93, 0x10000000, v93
	v_or_b32_e32 v84, v87, v84
	v_or_b32_e32 v87, v88, v94
	;; [unrolled: 1-line block ×5, first 2 shown]
	ds_store_2addr_b32 v67, v82, v81 offset1:1
	ds_store_2addr_b32 v69, v80, v83 offset1:1
	;; [unrolled: 1-line block ×5, first 2 shown]
	ds_store_b32 v192, v128
	ds_store_b32 v194, v129
	;; [unrolled: 1-line block ×4, first 2 shown]
	s_cbranch_scc0 .LBB163_6
; %bb.8:                                ;   in Loop: Header=BB163_7 Depth=1
	v_dual_add_nc_u32 v82, s10, v41 :: v_dual_mov_b32 v218, v208
	v_dual_add_nc_u32 v217, s10, v77 :: v_dual_mov_b32 v219, v214
	s_mov_b32 s12, -4
	s_delay_alu instid0(VALU_DEP_2) | instskip(SKIP_2) | instid1(VALU_DEP_3)
	v_dual_add_nc_u32 v80, v82, v79 :: v_dual_mov_b32 v220, v215
	v_dual_mov_b32 v221, v199 :: v_dual_mov_b32 v222, v197
	v_mov_b32_e32 v223, v195
	v_mad_nc_i64_i32 v[80:81], v80, 36, v[52:53]
	v_mov_b32_e32 v224, v193
	global_load_b32 v80, v[80:81], off offset:4
	s_wait_loadcnt 0x0
	ds_store_b32 v207, v80
	v_add_nc_u32_e32 v80, v82, v184
	s_delay_alu instid0(VALU_DEP_1) | instskip(SKIP_4) | instid1(VALU_DEP_1)
	v_mad_nc_i64_i32 v[80:81], v80, 36, v[52:53]
	global_load_b32 v80, v[80:81], off offset:4
	s_wait_loadcnt 0x0
	ds_store_b32 v200, v80
	v_add_nc_u32_e32 v80, v82, v185
	v_mad_nc_i64_i32 v[80:81], v80, 36, v[52:53]
	global_load_b32 v80, v[80:81], off offset:4
	s_wait_loadcnt 0x0
	ds_store_b32 v201, v80
	v_add_nc_u32_e32 v80, v82, v186
	s_delay_alu instid0(VALU_DEP_1) | instskip(SKIP_4) | instid1(VALU_DEP_1)
	v_mad_nc_i64_i32 v[80:81], v80, 36, v[52:53]
	global_load_b32 v80, v[80:81], off offset:4
	s_wait_loadcnt 0x0
	ds_store_b32 v202, v80
	v_add_nc_u32_e32 v80, v82, v187
	v_mad_nc_i64_i32 v[80:81], v80, 36, v[52:53]
	;; [unrolled: 11-line block ×3, first 2 shown]
	global_load_b32 v80, v[80:81], off offset:4
	s_wait_loadcnt 0x0
	ds_store_b32 v205, v80
	v_add_nc_u32_e32 v80, v82, v190
	s_delay_alu instid0(VALU_DEP_1)
	v_mad_nc_i64_i32 v[80:81], v80, 36, v[52:53]
	global_load_b32 v80, v[80:81], off offset:4
	s_wait_loadcnt 0x0
	ds_store_b32 v206, v80
	v_mad_nc_u64_u32 v[80:81], v217, 36, s[2:3]
	global_load_b32 v80, v[80:81], off
	s_wait_loadcnt 0x0
	ds_store_b32 v75, v80
	s_wait_dscnt 0x0
	s_barrier_signal -1
	s_barrier_wait -1
.LBB163_9:                              ;   Parent Loop BB163_7 Depth=1
                                        ; =>  This Inner Loop Header: Depth=2
	ds_load_b32 v226, v223
	ds_load_b32 v225, v224
	ds_load_2addr_b32 v[82:83], v220 offset0:64 offset1:96
	ds_load_2addr_b32 v[104:105], v220 offset0:128 offset1:160
	ds_load_b32 v233, v222
	ds_load_2addr_b32 v[116:117], v220 offset1:32
	ds_load_b32 v234, v221
	ds_load_2addr_b32 v[126:127], v220 offset0:192 offset1:224
	ds_load_2addr_b32 v[80:81], v219 offset1:1
	ds_load_2addr_b32 v[106:107], v219 offset0:2 offset1:3
	ds_load_2addr_b32 v[136:137], v219 offset0:4 offset1:5
	;; [unrolled: 1-line block ×6, first 2 shown]
	ds_load_2addr_b32 v[112:113], v218 offset1:7
	v_add_nc_u32_e32 v84, 0x6180, v219
	v_add_nc_u32_e32 v91, 0x80c, v218
	;; [unrolled: 1-line block ×40, first 2 shown]
	ds_load_2addr_b32 v[84:85], v84 offset1:1
	ds_load_2addr_b32 v[118:119], v91 offset1:1
	;; [unrolled: 1-line block ×40, first 2 shown]
	s_wait_dscnt 0x2a
	s_set_vgpr_msb 64                       ;  msbs: dst=1 src0=0 src1=0 src2=0
	v_dual_lshlrev_b32 v23 /*v279*/, 8, v158 :: v_dual_lshlrev_b32 v24 /*v280*/, 16, v159
	v_dual_lshlrev_b32 v25 /*v281*/, 8, v159 :: v_dual_lshlrev_b32 v26 /*v282*/, 16, v158
	s_wait_dscnt 0x26
	v_dual_ashrrev_i32 v38 /*v294*/, 24, v85 :: v_dual_lshlrev_b32 v41 /*v297*/, 8, v119
	s_wait_dscnt 0x24
	v_dual_ashrrev_i32 v42 /*v298*/, 24, v119 :: v_dual_lshlrev_b32 v43 /*v299*/, 16, v166
	v_dual_lshlrev_b32 v15 /*v271*/, 8, v165 :: v_dual_lshlrev_b32 v16 /*v272*/, 16, v164
	v_dual_lshlrev_b32 v17 /*v273*/, 8, v164 :: v_dual_lshlrev_b32 v18 /*v274*/, 16, v165
	v_bfe_i32 v37 /*v293*/, v85, 0, 8
	v_bfe_i32 v39 /*v295*/, v119, 0, 8
	s_wait_dscnt 0x1a
	v_dual_lshlrev_b32 v55 /*v311*/, 16, v171 :: v_dual_ashrrev_i32 v59 /*v315*/, 24, v121
	s_wait_dscnt 0x13
	v_dual_ashrrev_i32 v58 /*v314*/, 24, v91 :: v_dual_ashrrev_i32 v64 /*v320*/, 24, v89
	s_set_vgpr_msb 0x44                     ;  msbs: dst=1 src0=0 src1=1 src2=0
	v_perm_b32 v23 /*v279*/, v158, v23 /*v279*/, 0x7030c04
	s_set_vgpr_msb 4                        ;  msbs: dst=0 src0=0 src1=1 src2=0
	v_perm_b32 v158, v159, v25 /*v281*/, 0xc0c0703
	s_set_vgpr_msb 0x45                     ;  msbs: dst=1 src0=1 src1=1 src2=0
	v_mul_i32_i24_e32 v25 /*v281*/, v42 /*v298*/, v38 /*v294*/
	s_set_vgpr_msb 64                       ;  msbs: dst=1 src0=0 src1=0 src2=0
	v_dual_lshlrev_b32 v19 /*v275*/, 8, v160 :: v_dual_lshlrev_b32 v20 /*v276*/, 16, v161
	v_bfe_i32 v60 /*v316*/, v91, 0, 8
	v_bfe_i32 v61 /*v317*/, v121, 0, 8
	s_wait_dscnt 0x10
	v_dual_ashrrev_i32 v67 /*v323*/, 24, v125 :: v_dual_lshlrev_b32 v69 /*v325*/, 8, v125
	v_dual_lshlrev_b32 v70 /*v326*/, 16, v125 :: v_dual_ashrrev_i32 v71 /*v327*/, 24, v115
	s_set_vgpr_msb 0x44                     ;  msbs: dst=1 src0=0 src1=1 src2=0
	v_perm_b32 v15 /*v271*/, v165, v15 /*v271*/, 0x7030c04
	s_set_vgpr_msb 1                        ;  msbs: dst=0 src0=1 src1=0 src2=0
	v_perm_b32 v165, v16 /*v272*/, v164, 0xc0c0700
	s_set_vgpr_msb 4                        ;  msbs: dst=0 src0=0 src1=1 src2=0
	v_perm_b32 v164, v164, v17 /*v273*/, 0xc0c0703
	s_wait_dscnt 0xc
	s_set_vgpr_msb 64                       ;  msbs: dst=1 src0=0 src1=0 src2=0
	v_ashrrev_i32_e32 v17 /*v273*/, 24, v123
	s_set_vgpr_msb 0x55                     ;  msbs: dst=1 src0=1 src1=1 src2=1
	v_mad_i32_i24 v25 /*v281*/, v39 /*v295*/, v37 /*v293*/, v25 /*v281*/
	v_mul_i32_i24_e32 v37 /*v293*/, v59 /*v315*/, v58 /*v314*/
	v_mul_i32_i24_e32 v38 /*v294*/, v42 /*v298*/, v58 /*v314*/
	s_set_vgpr_msb 64                       ;  msbs: dst=1 src0=0 src1=0 src2=0
	v_pk_mul_f16 v12 /*v268*/, v225, v82
	v_pk_mul_f16 v6 /*v262*/, v116, v234
	;; [unrolled: 1-line block ×5, first 2 shown]
	s_set_vgpr_msb 0                        ;  msbs: dst=0 src0=0 src1=0 src2=0
	v_pk_mul_f16 v227, v234, v82
	v_pk_mul_f16 v230, v234, v83
	;; [unrolled: 1-line block ×8, first 2 shown]
	s_set_vgpr_msb 64                       ;  msbs: dst=1 src0=0 src1=0 src2=0
	v_pk_mul_f16 v0 /*v256*/, v234, v127
	s_set_vgpr_msb 0                        ;  msbs: dst=0 src0=0 src1=0 src2=0
	v_pk_mul_f16 v245, v225, v126
	v_pk_mul_f16 v246, v225, v127
	s_set_vgpr_msb 64                       ;  msbs: dst=1 src0=0 src1=0 src2=0
	v_dual_lshlrev_b32 v21 /*v277*/, 8, v161 :: v_dual_lshlrev_b32 v22 /*v278*/, 16, v160
	s_set_vgpr_msb 0                        ;  msbs: dst=0 src0=0 src1=0 src2=0
	v_perm_b32 v241, v135, v134, 0x7020100
	s_set_vgpr_msb 64                       ;  msbs: dst=1 src0=0 src1=0 src2=0
	v_perm_b32 v34 /*v290*/, v80, v135, 0x4020c0c
	v_perm_b32 v35 /*v291*/, v135, v135, 0xc0c0100
	s_set_vgpr_msb 0                        ;  msbs: dst=0 src0=0 src1=0 src2=0
	v_perm_b32 v238, v135, v135, 0x6010007
	s_set_vgpr_msb 64                       ;  msbs: dst=1 src0=0 src1=0 src2=0
	v_dual_lshlrev_b32 v36 /*v292*/, 8, v113 :: v_dual_lshlrev_b32 v40 /*v296*/, 16, v119
	s_set_vgpr_msb 0                        ;  msbs: dst=0 src0=0 src1=0 src2=0
	v_bfe_i32 v234, v135, 0, 8
	v_perm_b32 v225, v135, v135, 0xc070601
	s_set_vgpr_msb 64                       ;  msbs: dst=1 src0=0 src1=0 src2=0
	v_dual_lshlrev_b32 v48 /*v304*/, 8, v167 :: v_dual_lshlrev_b32 v49 /*v305*/, 16, v121
	v_dual_lshlrev_b32 v11 /*v267*/, 8, v147 :: v_dual_lshlrev_b32 v50 /*v306*/, 8, v121
	v_bfe_i32 v65 /*v321*/, v89, 0, 8
	v_bfe_i32 v68 /*v324*/, v125, 0, 8
	;; [unrolled: 1-line block ×3, first 2 shown]
	s_set_vgpr_msb 4                        ;  msbs: dst=0 src0=0 src1=1 src2=0
	v_perm_b32 v160, v160, v19 /*v275*/, 0x7030c04
	s_set_vgpr_msb 0x41                     ;  msbs: dst=1 src0=1 src1=0 src2=0
	v_perm_b32 v19 /*v275*/, v20 /*v276*/, v161, 0xc0c0700
	s_set_vgpr_msb 64                       ;  msbs: dst=1 src0=0 src1=0 src2=0
	v_bfe_i32 v20 /*v276*/, v123, 0, 8
	s_set_vgpr_msb 1                        ;  msbs: dst=0 src0=1 src1=0 src2=0
	v_perm_b32 v135, v24 /*v280*/, v159, 0xc0c0700
	s_set_vgpr_msb 64                       ;  msbs: dst=1 src0=0 src1=0 src2=0
	v_lshlrev_b32_e32 v24 /*v280*/, 8, v123
	s_set_vgpr_msb 0x55                     ;  msbs: dst=1 src0=1 src1=1 src2=1
	v_mad_i32_i24 v37 /*v293*/, v61 /*v317*/, v60 /*v316*/, v37 /*v293*/
	v_mad_i32_i24 v38 /*v294*/, v39 /*v295*/, v60 /*v316*/, v38 /*v294*/
	v_mul_i32_i24_e32 v42 /*v298*/, v42 /*v298*/, v64 /*v320*/
	v_mul_i32_i24_e32 v60 /*v316*/, v67 /*v323*/, v64 /*v320*/
	;; [unrolled: 1-line block ×5, first 2 shown]
	s_set_vgpr_msb 0                        ;  msbs: dst=0 src0=0 src1=0 src2=0
	v_add_nc_u32_e32 v218, 32, v218
	s_set_vgpr_msb 64                       ;  msbs: dst=1 src0=0 src1=0 src2=0
	v_pk_mul_f16 v10 /*v266*/, v233, v82
	s_set_vgpr_msb 0                        ;  msbs: dst=0 src0=0 src1=0 src2=0
	v_pk_mul_f16 v252, v116, v233
	s_set_vgpr_msb 64                       ;  msbs: dst=1 src0=0 src1=0 src2=0
	v_pk_mul_f16 v2 /*v258*/, v116, v226
	s_set_vgpr_msb 0                        ;  msbs: dst=0 src0=0 src1=0 src2=0
	v_pk_mul_f16 v116, v226, v82
	v_ashrrev_i32_e32 v82, 24, v81
	s_set_vgpr_msb 4                        ;  msbs: dst=0 src0=0 src1=1 src2=0
	v_perm_b32 v161, v161, v21 /*v277*/, 0xc0c0703
	s_set_vgpr_msb 64                       ;  msbs: dst=1 src0=0 src1=0 src2=0
	v_lshlrev_b32_e32 v21 /*v277*/, 8, v115
	s_set_vgpr_msb 0                        ;  msbs: dst=0 src0=0 src1=0 src2=0
	v_lshlrev_b32_e32 v159, 16, v115
	s_set_vgpr_msb 0x55                     ;  msbs: dst=1 src0=1 src1=1 src2=1
	v_mad_i32_i24 v39 /*v295*/, v39 /*v295*/, v65 /*v321*/, v42 /*v298*/
	s_wait_dscnt 0x9
	s_set_vgpr_msb 64                       ;  msbs: dst=1 src0=0 src1=0 src2=0
	v_ashrrev_i32_e32 v42 /*v298*/, 24, v109
	s_set_vgpr_msb 0x55                     ;  msbs: dst=1 src0=1 src1=1 src2=1
	v_mad_i32_i24 v60 /*v316*/, v68 /*v324*/, v65 /*v321*/, v60 /*v316*/
	s_set_vgpr_msb 0x44                     ;  msbs: dst=1 src0=0 src1=1 src2=0
	v_perm_b32 v68 /*v324*/, v166, v41 /*v297*/, 0x407030c
	s_set_vgpr_msb 0x55                     ;  msbs: dst=1 src0=1 src1=1 src2=1
	v_mad_i32_i24 v16 /*v272*/, v16 /*v272*/, v65 /*v321*/, v67 /*v323*/
	v_perm_b32 v67 /*v323*/, v40 /*v296*/, v40 /*v296*/, 0xc0c0c03
	v_mad_i32_i24 v17 /*v273*/, v20 /*v276*/, v65 /*v321*/, v17 /*v273*/
	s_set_vgpr_msb 0x44                     ;  msbs: dst=1 src0=0 src1=1 src2=0
	v_perm_b32 v20 /*v276*/, v170, v50 /*v306*/, 0x407030c
	s_set_vgpr_msb 0x55                     ;  msbs: dst=1 src0=1 src1=1 src2=1
	v_mad_i32_i24 v59 /*v315*/, v61 /*v317*/, v65 /*v321*/, v59 /*v315*/
	v_perm_b32 v61 /*v317*/, v49 /*v305*/, v49 /*v305*/, 0xc0c0c03
	s_set_vgpr_msb 64                       ;  msbs: dst=1 src0=0 src1=0 src2=0
	v_perm_b32 v56 /*v312*/, v180, v85, 0x4070201
	v_lshlrev_b32_e32 v58 /*v314*/, 16, v123
	s_set_vgpr_msb 0x44                     ;  msbs: dst=1 src0=0 src1=1 src2=0
	v_perm_b32 v65 /*v321*/, v178, v69 /*v325*/, 0x407030c
	s_set_vgpr_msb 1                        ;  msbs: dst=0 src0=1 src1=0 src2=0
	v_mul_i32_i24_e32 v82, v42 /*v298*/, v82
	s_set_vgpr_msb 0x45                     ;  msbs: dst=1 src0=1 src1=1 src2=0
	v_mul_i32_i24_e32 v42 /*v298*/, v42 /*v298*/, v64 /*v320*/
	v_perm_b32 v64 /*v320*/, v70 /*v326*/, v70 /*v326*/, 0xc0c0c03
	v_or_b32_e32 v67 /*v323*/, v68 /*v324*/, v67 /*v323*/
	s_set_vgpr_msb 0x44                     ;  msbs: dst=1 src0=0 src1=1 src2=0
	v_perm_b32 v68 /*v324*/, v168, v21 /*v277*/, 0x407030c
	s_set_vgpr_msb 0x45                     ;  msbs: dst=1 src0=1 src1=1 src2=0
	v_or_b32_e32 v20 /*v276*/, v20 /*v276*/, v61 /*v317*/
	s_set_vgpr_msb 64                       ;  msbs: dst=1 src0=0 src1=0 src2=0
	v_perm_b32 v61 /*v317*/, v159, v159, 0xc0c0c03
	v_pk_mul_f16 v13 /*v269*/, v226, v105
	v_perm_b32 v62 /*v318*/, v182, v91, 0x4070201
	v_perm_b32 v66 /*v322*/, v176, v89, 0x4070201
	s_set_vgpr_msb 0x45                     ;  msbs: dst=1 src0=1 src1=1 src2=0
	v_or_b32_e32 v64 /*v320*/, v65 /*v321*/, v64 /*v320*/
	s_set_vgpr_msb 0x44                     ;  msbs: dst=1 src0=0 src1=1 src2=0
	v_perm_b32 v65 /*v321*/, v174, v24 /*v280*/, 0x407030c
	s_set_vgpr_msb 0x55                     ;  msbs: dst=1 src0=1 src1=1 src2=1
	v_or_b32_e32 v61 /*v317*/, v68 /*v324*/, v61 /*v317*/
	v_dot4_i32_iu8 v25 /*v281*/, v67 /*v323*/, v56 /*v312*/, v25 /*v281*/ neg_lo:[1,1,0]
	s_set_vgpr_msb 64                       ;  msbs: dst=1 src0=0 src1=0 src2=0
	v_lshlrev_b32_e32 v56 /*v312*/, 8, v178
	s_set_vgpr_msb 0x55                     ;  msbs: dst=1 src0=1 src1=1 src2=1
	v_perm_b32 v68 /*v324*/, v58 /*v314*/, v58 /*v314*/, 0xc0c0c03
	v_dot4_i32_iu8 v37 /*v293*/, v20 /*v276*/, v62 /*v318*/, v37 /*v293*/ neg_lo:[1,1,0]
	v_dot4_i32_iu8 v38 /*v294*/, v67 /*v323*/, v62 /*v318*/, v38 /*v294*/ neg_lo:[1,1,0]
	s_set_vgpr_msb 64                       ;  msbs: dst=1 src0=0 src1=0 src2=0
	v_lshlrev_b32_e32 v62 /*v318*/, 16, v178
	s_set_vgpr_msb 0x55                     ;  msbs: dst=1 src0=1 src1=1 src2=1
	v_dot4_i32_iu8 v39 /*v295*/, v67 /*v323*/, v66 /*v322*/, v39 /*v295*/ neg_lo:[1,1,0]
	v_or_b32_e32 v65 /*v321*/, v65 /*v321*/, v68 /*v324*/
	s_set_vgpr_msb 64                       ;  msbs: dst=1 src0=0 src1=0 src2=0
	v_lshlrev_b32_e32 v67 /*v323*/, 16, v109
	s_set_vgpr_msb 0x55                     ;  msbs: dst=1 src0=1 src1=1 src2=1
	v_dot4_i32_iu8 v60 /*v316*/, v64 /*v320*/, v66 /*v322*/, v60 /*v316*/ neg_lo:[1,1,0]
	s_set_vgpr_msb 64                       ;  msbs: dst=1 src0=0 src1=0 src2=0
	v_lshlrev_b32_e32 v64 /*v320*/, 8, v109
	s_set_vgpr_msb 0x55                     ;  msbs: dst=1 src0=1 src1=1 src2=1
	v_dot4_i32_iu8 v16 /*v272*/, v61 /*v317*/, v66 /*v322*/, v16 /*v272*/ neg_lo:[1,1,0]
	v_dot4_i32_iu8 v17 /*v273*/, v65 /*v321*/, v66 /*v322*/, v17 /*v273*/ neg_lo:[1,1,0]
	s_set_vgpr_msb 64                       ;  msbs: dst=1 src0=0 src1=0 src2=0
	v_lshlrev_b32_e32 v65 /*v321*/, 8, v168
	s_set_vgpr_msb 0x55                     ;  msbs: dst=1 src0=1 src1=1 src2=1
	v_dot4_i32_iu8 v20 /*v276*/, v20 /*v276*/, v66 /*v322*/, v59 /*v315*/ neg_lo:[1,1,0]
	s_set_vgpr_msb 0x41                     ;  msbs: dst=1 src0=1 src1=0 src2=0
	v_perm_b32 v59 /*v315*/, v67 /*v323*/, v109, 0xc0c0700
	s_wait_dscnt 0x8
	s_set_vgpr_msb 0x44                     ;  msbs: dst=1 src0=0 src1=1 src2=0
	v_perm_b32 v66 /*v322*/, v148, v64 /*v320*/, 0x7030c0c
	s_set_vgpr_msb 64                       ;  msbs: dst=1 src0=0 src1=0 src2=0
	v_pk_mul_f16 v9 /*v265*/, v233, v117
	v_pk_mul_f16 v7 /*v263*/, v226, v117
	s_set_vgpr_msb 0                        ;  msbs: dst=0 src0=0 src1=0 src2=0
	v_pk_mul_f16 v117, v233, v83
	v_pk_mul_f16 v254, v226, v83
	v_perm_b32 v83, v106, v81, 0x7020100
	s_set_vgpr_msb 0x45                     ;  msbs: dst=1 src0=1 src1=1 src2=0
	v_or_b32_e32 v59 /*v315*/, v66 /*v322*/, v59 /*v315*/
	s_set_vgpr_msb 64                       ;  msbs: dst=1 src0=0 src1=0 src2=0
	v_dual_lshlrev_b32 v44 /*v300*/, 8, v166 :: v_dual_lshlrev_b32 v47 /*v303*/, 16, v167
	s_set_vgpr_msb 0x45                     ;  msbs: dst=1 src0=1 src1=1 src2=0
	v_perm_b32 v40 /*v296*/, v41 /*v297*/, v40 /*v296*/, 0x7030c0c
	s_set_vgpr_msb 64                       ;  msbs: dst=1 src0=0 src1=0 src2=0
	v_lshlrev_b32_e32 v41 /*v297*/, 8, v139
	s_set_vgpr_msb 1                        ;  msbs: dst=0 src0=1 src1=0 src2=0
	v_dot4_i32_iu8 v82, v59 /*v315*/, v83, v82 neg_lo:[1,1,0]
	v_lshlrev_b32_e32 v83, 8, v174
	v_perm_b32 v159, v21 /*v277*/, v159, 0x7030c0c
	s_wait_dscnt 0x5
	s_set_vgpr_msb 64                       ;  msbs: dst=1 src0=0 src1=0 src2=0
	v_lshlrev_b32_e32 v21 /*v277*/, 16, v172
	s_set_vgpr_msb 0x45                     ;  msbs: dst=1 src0=1 src1=1 src2=0
	v_perm_b32 v24 /*v280*/, v24 /*v280*/, v58 /*v314*/, 0x7030c0c
	s_set_vgpr_msb 64                       ;  msbs: dst=1 src0=0 src1=0 src2=0
	v_dual_lshlrev_b32 v58 /*v314*/, 8, v172 :: v_dual_lshlrev_b32 v51 /*v307*/, 16, v170
	v_lshlrev_b32_e32 v52 /*v308*/, 8, v170
	v_perm_b32 v61 /*v317*/, v176, v89, 0x7020100
	v_lshlrev_b32_e32 v66 /*v322*/, 16, v168
	s_set_vgpr_msb 0x45                     ;  msbs: dst=1 src0=1 src1=1 src2=0
	v_perm_b32 v21 /*v277*/, v58 /*v314*/, v21 /*v277*/, 0x7030c0c
	v_perm_b32 v58 /*v314*/, v64 /*v320*/, v67 /*v323*/, 0x7030c0c
	s_set_vgpr_msb 0x44                     ;  msbs: dst=1 src0=0 src1=1 src2=0
	v_perm_b32 v64 /*v320*/, v146, v44 /*v300*/, 0x407030c
	s_set_vgpr_msb 0x55                     ;  msbs: dst=1 src0=1 src1=1 src2=1
	v_perm_b32 v44 /*v300*/, v44 /*v300*/, v43 /*v299*/, 0x7030c0c
	v_perm_b32 v43 /*v299*/, v43 /*v299*/, v43 /*v299*/, 0xc0c0c03
	v_dot4_i32_iu8 v42 /*v298*/, v59 /*v315*/, v61 /*v317*/, v42 /*v298*/ neg_lo:[1,1,0]
	s_set_vgpr_msb 64                       ;  msbs: dst=1 src0=0 src1=0 src2=0
	v_lshlrev_b32_e32 v59 /*v315*/, 16, v174
	s_set_vgpr_msb 0                        ;  msbs: dst=0 src0=0 src1=0 src2=0
	v_perm_b32 v115, v115, v115, 0xc0c0003
	s_set_vgpr_msb 64                       ;  msbs: dst=1 src0=0 src1=0 src2=0
	v_lshlrev_b32_e32 v61 /*v317*/, 16, v148
	s_set_vgpr_msb 0x45                     ;  msbs: dst=1 src0=1 src1=1 src2=0
	v_or_b32_e32 v43 /*v299*/, v64 /*v320*/, v43 /*v299*/
	s_set_vgpr_msb 0x44                     ;  msbs: dst=1 src0=0 src1=1 src2=0
	v_perm_b32 v64 /*v320*/, v150, v52 /*v308*/, 0x407030c
	s_set_vgpr_msb 0x45                     ;  msbs: dst=1 src0=1 src1=1 src2=0
	v_perm_b32 v52 /*v308*/, v52 /*v308*/, v51 /*v307*/, 0x7030c0c
	v_perm_b32 v51 /*v307*/, v51 /*v307*/, v51 /*v307*/, 0xc0c0c03
	;; [unrolled: 1-line block ×3, first 2 shown]
	s_set_vgpr_msb 64                       ;  msbs: dst=1 src0=0 src1=0 src2=0
	v_lshlrev_b32_e32 v50 /*v306*/, 8, v148
	s_set_vgpr_msb 0                        ;  msbs: dst=0 src0=0 src1=0 src2=0
	v_or_b32_e32 v115, v159, v115
	v_perm_b32 v159, v174, v174, 0xc0c0003
	s_set_vgpr_msb 0x45                     ;  msbs: dst=1 src0=1 src1=1 src2=0
	v_or_b32_e32 v51 /*v307*/, v64 /*v320*/, v51 /*v307*/
	s_set_vgpr_msb 0x44                     ;  msbs: dst=1 src0=0 src1=1 src2=0
	v_perm_b32 v64 /*v320*/, v156, v56 /*v312*/, 0x407030c
	s_set_vgpr_msb 0x45                     ;  msbs: dst=1 src0=1 src1=1 src2=0
	v_perm_b32 v56 /*v312*/, v56 /*v312*/, v62 /*v318*/, 0x7030c0c
	v_perm_b32 v62 /*v318*/, v62 /*v318*/, v62 /*v318*/, 0xc0c0c03
	;; [unrolled: 1-line block ×3, first 2 shown]
	s_set_vgpr_msb 64                       ;  msbs: dst=1 src0=0 src1=0 src2=0
	v_lshlrev_b32_e32 v70 /*v326*/, 16, v139
	s_set_vgpr_msb 0                        ;  msbs: dst=0 src0=0 src1=0 src2=0
	v_perm_b32 v123, v123, v123, 0xc0c0003
	v_perm_b32 v121, v121, v121, 0xc0c0003
	s_set_vgpr_msb 0x45                     ;  msbs: dst=1 src0=1 src1=1 src2=0
	v_or_b32_e32 v62 /*v318*/, v64 /*v320*/, v62 /*v318*/
	s_set_vgpr_msb 0x44                     ;  msbs: dst=1 src0=0 src1=1 src2=0
	v_perm_b32 v64 /*v320*/, v162, v65 /*v321*/, 0x407030c
	s_set_vgpr_msb 0x45                     ;  msbs: dst=1 src0=1 src1=1 src2=0
	v_perm_b32 v65 /*v321*/, v65 /*v321*/, v66 /*v322*/, 0x7030c0c
	v_perm_b32 v66 /*v322*/, v66 /*v322*/, v66 /*v322*/, 0xc0c0c03
	s_set_vgpr_msb 64                       ;  msbs: dst=1 src0=0 src1=0 src2=0
	v_pk_mul_f16 v5 /*v261*/, v233, v104
	s_set_vgpr_msb 0                        ;  msbs: dst=0 src0=0 src1=0 src2=0
	v_pk_mul_f16 v255, v226, v104
	s_set_vgpr_msb 64                       ;  msbs: dst=1 src0=0 src1=0 src2=0
	v_pk_mul_f16 v4 /*v260*/, v233, v105
	s_set_vgpr_msb 0                        ;  msbs: dst=0 src0=0 src1=0 src2=0
	v_perm_b32 v104, v107, v106, 0x7020100
	s_set_vgpr_msb 0x45                     ;  msbs: dst=1 src0=1 src1=1 src2=0
	v_or_b32_e32 v64 /*v320*/, v64 /*v320*/, v66 /*v322*/
	s_set_vgpr_msb 64                       ;  msbs: dst=1 src0=0 src1=0 src2=0
	v_perm_b32 v66 /*v322*/, v154, v83, 0x407030c
	s_set_vgpr_msb 4                        ;  msbs: dst=0 src0=0 src1=1 src2=0
	v_perm_b32 v83, v83, v59 /*v315*/, 0x7030c0c
	s_set_vgpr_msb 0x45                     ;  msbs: dst=1 src0=1 src1=1 src2=0
	v_perm_b32 v59 /*v315*/, v59 /*v315*/, v59 /*v315*/, 0xc0c0c03
	s_set_vgpr_msb 0                        ;  msbs: dst=0 src0=0 src1=0 src2=0
	v_perm_b32 v105, v81, v81, 0x2010003
	s_set_vgpr_msb 64                       ;  msbs: dst=1 src0=0 src1=0 src2=0
	v_perm_b32 v57 /*v313*/, v181, v180, 0x4070201
	s_set_vgpr_msb 0x45                     ;  msbs: dst=1 src0=1 src1=1 src2=0
	v_perm_b32 v41 /*v297*/, v41 /*v297*/, v70 /*v326*/, 0x7030c0c
	s_set_vgpr_msb 0                        ;  msbs: dst=0 src0=0 src1=0 src2=0
	v_or_b32_e32 v83, v83, v159
	s_set_vgpr_msb 0x45                     ;  msbs: dst=1 src0=1 src1=1 src2=0
	v_or_b32_e32 v59 /*v315*/, v66 /*v322*/, v59 /*v315*/
	s_set_vgpr_msb 0x41                     ;  msbs: dst=1 src0=1 src1=0 src2=0
	v_perm_b32 v66 /*v322*/, v61 /*v317*/, v148, 0xc0c0700
	s_set_vgpr_msb 0x45                     ;  msbs: dst=1 src0=1 src1=1 src2=0
	v_perm_b32 v61 /*v317*/, v50 /*v306*/, v61 /*v317*/, 0x7030c0c
	s_set_vgpr_msb 0x44                     ;  msbs: dst=1 src0=0 src1=1 src2=0
	v_perm_b32 v50 /*v306*/, v110, v50 /*v306*/, 0x7030c0c
	s_set_vgpr_msb 0                        ;  msbs: dst=0 src0=0 src1=0 src2=0
	v_perm_b32 v159, v172, v172, 0xc0c0003
	v_perm_b32 v125, v125, v125, 0xc0c0003
	;; [unrolled: 1-line block ×3, first 2 shown]
	s_set_vgpr_msb 1                        ;  msbs: dst=0 src0=1 src1=0 src2=0
	v_or_b32_e32 v123, v24 /*v280*/, v123
	s_set_vgpr_msb 0x45                     ;  msbs: dst=1 src0=1 src1=1 src2=0
	v_or_b32_e32 v50 /*v306*/, v50 /*v306*/, v66 /*v322*/
	s_set_vgpr_msb 0                        ;  msbs: dst=0 src0=0 src1=0 src2=0
	v_perm_b32 v170, v170, v170, 0xc0c0003
	v_perm_b32 v139, v139, v139, 0xc0c0003
	s_set_vgpr_msb 1                        ;  msbs: dst=0 src0=1 src1=0 src2=0
	v_or_b32_e32 v121, v49 /*v305*/, v121
	v_or_b32_e32 v159, v21 /*v277*/, v159
	s_set_vgpr_msb 0                        ;  msbs: dst=0 src0=0 src1=0 src2=0
	v_perm_b32 v172, v177, v176, 0x7020100
	v_perm_b32 v174, v91, v91, 0x2010003
	s_set_vgpr_msb 64                       ;  msbs: dst=1 src0=0 src1=0 src2=0
	v_perm_b32 v21 /*v277*/, v85, v85, 0x2010003
	v_perm_b32 v14 /*v270*/, v106, v106, 0x2010003
	s_set_vgpr_msb 0                        ;  msbs: dst=0 src0=0 src1=0 src2=0
	v_perm_b32 v178, v178, v178, 0xc0c0003
	s_set_vgpr_msb 1                        ;  msbs: dst=0 src0=1 src1=0 src2=0
	v_or_b32_e32 v125, v69 /*v325*/, v125
	s_set_vgpr_msb 0                        ;  msbs: dst=0 src0=0 src1=0 src2=0
	v_perm_b32 v166, v166, v166, 0xc0c0003
	s_set_vgpr_msb 1                        ;  msbs: dst=0 src0=1 src1=0 src2=0
	v_or_b32_e32 v119, v40 /*v296*/, v119
	s_set_vgpr_msb 0                        ;  msbs: dst=0 src0=0 src1=0 src2=0
	v_perm_b32 v168, v168, v168, 0xc0c0003
	s_set_vgpr_msb 1                        ;  msbs: dst=0 src0=1 src1=0 src2=0
	v_or_b32_e32 v170, v52 /*v308*/, v170
	s_set_vgpr_msb 0                        ;  msbs: dst=0 src0=0 src1=0 src2=0
	v_perm_b32 v109, v109, v109, 0xc0c0003
	s_set_vgpr_msb 1                        ;  msbs: dst=0 src0=1 src1=0 src2=0
	v_or_b32_e32 v139, v41 /*v297*/, v139
	s_set_vgpr_msb 0x55                     ;  msbs: dst=1 src0=1 src1=1 src2=1
	v_dot4_i32_iu8 v24 /*v280*/, v43 /*v299*/, v57 /*v313*/, v25 /*v281*/ neg_lo:[1,1,0]
	s_set_vgpr_msb 64                       ;  msbs: dst=1 src0=0 src1=0 src2=0
	v_perm_b32 v25 /*v281*/, v89, v89, 0x2010003
	v_perm_b32 v40 /*v296*/, v182, v182, 0x2010003
	;; [unrolled: 1-line block ×3, first 2 shown]
	s_set_vgpr_msb 1                        ;  msbs: dst=0 src0=1 src1=0 src2=0
	v_dot4_i32_iu8 v104, v50 /*v306*/, v104, v82 neg_lo:[1,1,0]
	s_set_vgpr_msb 0                        ;  msbs: dst=0 src0=0 src1=0 src2=0
	v_dot4_i32_iu8 v82, v123, v174, 0 neg_lo:[1,1,0]
	s_set_vgpr_msb 17                       ;  msbs: dst=0 src0=1 src1=0 src2=1
	v_dot4_i32_iu8 v172, v50 /*v306*/, v172, v42 /*v298*/ neg_lo:[1,1,0]
	s_set_vgpr_msb 64                       ;  msbs: dst=1 src0=0 src1=0 src2=0
	v_dot4_i32_iu8 v42 /*v298*/, v121, v105, 0 neg_lo:[1,1,0]
	s_set_vgpr_msb 4                        ;  msbs: dst=0 src0=0 src1=1 src2=0
	v_dot4_i32_iu8 v121, v121, v21 /*v277*/, 0 neg_lo:[1,1,0]
	s_set_vgpr_msb 64                       ;  msbs: dst=1 src0=0 src1=0 src2=0
	v_perm_b32 v63 /*v319*/, v183, v182, 0x4070201
	v_perm_b32 v68 /*v324*/, v177, v176, 0x4070201
	s_set_vgpr_msb 1                        ;  msbs: dst=0 src0=1 src1=0 src2=0
	v_or_b32_e32 v178, v56 /*v312*/, v178
	v_or_b32_e32 v166, v44 /*v300*/, v166
	;; [unrolled: 1-line block ×3, first 2 shown]
	s_set_vgpr_msb 0                        ;  msbs: dst=0 src0=0 src1=0 src2=0
	v_perm_b32 v148, v148, v148, 0xc0c0003
	s_set_vgpr_msb 1                        ;  msbs: dst=0 src0=1 src1=0 src2=0
	v_or_b32_e32 v109, v58 /*v314*/, v109
	s_set_vgpr_msb 64                       ;  msbs: dst=1 src0=0 src1=0 src2=0
	v_dot4_i32_iu8 v44 /*v300*/, v125, v105, 0 neg_lo:[1,1,0]
	v_dot4_i32_iu8 v52 /*v308*/, v115, v105, 0 neg_lo:[1,1,0]
	;; [unrolled: 1-line block ×3, first 2 shown]
	s_set_vgpr_msb 0x44                     ;  msbs: dst=1 src0=0 src1=1 src2=0
	v_dot4_i32_iu8 v25 /*v281*/, v139, v25 /*v281*/, 0 neg_lo:[1,1,0]
	s_set_vgpr_msb 64                       ;  msbs: dst=1 src0=0 src1=0 src2=0
	v_dot4_i32_iu8 v50 /*v306*/, v139, v174, 0 neg_lo:[1,1,0]
	s_set_vgpr_msb 0x44                     ;  msbs: dst=1 src0=0 src1=1 src2=0
	v_dot4_i32_iu8 v57 /*v313*/, v83, v40 /*v296*/, v82 neg_lo:[1,1,0]
	s_set_vgpr_msb 0                        ;  msbs: dst=0 src0=0 src1=0 src2=0
	v_perm_b32 v82, v176, v176, 0x2010003
	s_set_vgpr_msb 0x54                     ;  msbs: dst=1 src0=0 src1=1 src2=1
	v_dot4_i32_iu8 v42 /*v298*/, v170, v14 /*v270*/, v42 /*v298*/ neg_lo:[1,1,0]
	s_set_vgpr_msb 4                        ;  msbs: dst=0 src0=0 src1=1 src2=0
	v_dot4_i32_iu8 v121, v170, v41 /*v297*/, v121 neg_lo:[1,1,0]
	s_set_vgpr_msb 0                        ;  msbs: dst=0 src0=0 src1=0 src2=0
	v_lshlrev_b32_e32 v170, 8, v156
	v_dot4_i32_iu8 v119, v119, v105, 0 neg_lo:[1,1,0]
	v_dot4_i32_iu8 v105, v139, v105, 0 neg_lo:[1,1,0]
	s_set_vgpr_msb 4                        ;  msbs: dst=0 src0=0 src1=1 src2=0
	v_dot4_i32_iu8 v139, v139, v21 /*v277*/, 0 neg_lo:[1,1,0]
	s_set_vgpr_msb 0                        ;  msbs: dst=0 src0=0 src1=0 src2=0
	v_pk_mul_f16 v253, v233, v127
	v_pk_mul_f16 v247, v226, v126
	;; [unrolled: 1-line block ×3, first 2 shown]
	v_perm_b32 v127, v134, v137, 0x7020100
	v_perm_b32 v240, v134, v134, 0x2010003
	;; [unrolled: 1-line block ×4, first 2 shown]
	v_bfe_i32 v226, v113, 0, 8
	s_set_vgpr_msb 1                        ;  msbs: dst=0 src0=1 src1=0 src2=0
	v_dual_lshlrev_b32 v134, 16, v113 :: v_dual_bitop2_b32 v148, v61 /*v317*/, v148 bitop3:0x54
	s_set_vgpr_msb 0x55                     ;  msbs: dst=1 src0=1 src1=1 src2=1
	v_dot4_i32_iu8 v37 /*v293*/, v51 /*v307*/, v63 /*v319*/, v37 /*v293*/ neg_lo:[1,1,0]
	s_set_vgpr_msb 64                       ;  msbs: dst=1 src0=0 src1=0 src2=0
	v_dot4_i32_iu8 v49 /*v305*/, v125, v174, 0 neg_lo:[1,1,0]
	s_set_vgpr_msb 0x55                     ;  msbs: dst=1 src0=1 src1=1 src2=1
	v_dot4_i32_iu8 v20 /*v276*/, v51 /*v307*/, v68 /*v324*/, v20 /*v276*/ neg_lo:[1,1,0]
	s_set_vgpr_msb 4                        ;  msbs: dst=0 src0=0 src1=1 src2=0
	v_dot4_i32_iu8 v119, v166, v14 /*v270*/, v119 neg_lo:[1,1,0]
	s_set_vgpr_msb 0                        ;  msbs: dst=0 src0=0 src1=0 src2=0
	v_lshlrev_b32_e32 v166, 8, v151
	s_set_vgpr_msb 0x54                     ;  msbs: dst=1 src0=0 src1=1 src2=1
	v_dot4_i32_iu8 v44 /*v300*/, v178, v14 /*v270*/, v44 /*v300*/ neg_lo:[1,1,0]
	v_dot4_i32_iu8 v56 /*v312*/, v83, v14 /*v270*/, v56 /*v312*/ neg_lo:[1,1,0]
	s_set_vgpr_msb 4                        ;  msbs: dst=0 src0=0 src1=1 src2=0
	v_dot4_i32_iu8 v105, v159, v14 /*v270*/, v105 neg_lo:[1,1,0]
	s_set_vgpr_msb 0x54                     ;  msbs: dst=1 src0=0 src1=1 src2=1
	v_dot4_i32_iu8 v50 /*v306*/, v159, v40 /*v296*/, v50 /*v306*/ neg_lo:[1,1,0]
	s_set_vgpr_msb 4                        ;  msbs: dst=0 src0=0 src1=1 src2=0
	v_dot4_i32_iu8 v139, v159, v41 /*v297*/, v139 neg_lo:[1,1,0]
	s_set_vgpr_msb 0x44                     ;  msbs: dst=1 src0=0 src1=1 src2=0
	v_perm_b32 v36 /*v292*/, v113, v36 /*v292*/, 0xc07030c
	s_set_vgpr_msb 0                        ;  msbs: dst=0 src0=0 src1=0 src2=0
	v_lshlrev_b32_e32 v113, 8, v154
	s_set_vgpr_msb 0x54                     ;  msbs: dst=1 src0=0 src1=1 src2=1
	v_dot4_i32_iu8 v52 /*v308*/, v168, v14 /*v270*/, v52 /*v308*/ neg_lo:[1,1,0]
	s_set_vgpr_msb 0x50                     ;  msbs: dst=1 src0=0 src1=0 src2=1
	v_dot4_i32_iu8 v14 /*v270*/, v159, v82, v25 /*v281*/ neg_lo:[1,1,0]
	s_set_vgpr_msb 0                        ;  msbs: dst=0 src0=0 src1=0 src2=0
	v_lshlrev_b32_e32 v159, 8, v162
	s_set_vgpr_msb 64                       ;  msbs: dst=1 src0=0 src1=0 src2=0
	v_dot4_i32_iu8 v51 /*v307*/, v115, v174, 0 neg_lo:[1,1,0]
	s_set_vgpr_msb 0                        ;  msbs: dst=0 src0=0 src1=0 src2=0
	v_dot4_i32_iu8 v174, v109, v174, 0 neg_lo:[1,1,0]
	s_set_vgpr_msb 4                        ;  msbs: dst=0 src0=0 src1=1 src2=0
	v_dot4_i32_iu8 v109, v109, v21 /*v277*/, 0 neg_lo:[1,1,0]
	s_set_vgpr_msb 5                        ;  msbs: dst=0 src0=1 src1=1 src2=0
	v_perm_b32 v82, v18 /*v274*/, v18 /*v274*/, 0xc0c030c
	s_set_vgpr_msb 64                       ;  msbs: dst=1 src0=0 src1=0 src2=0
	v_dot4_i32_iu8 v27 /*v283*/, v80, v112, 0 neg_lo:[1,1,0]
	v_lshlrev_b32_e32 v25 /*v281*/, 16, v156
	s_set_vgpr_msb 4                        ;  msbs: dst=0 src0=0 src1=1 src2=0
	v_dot4_i32_iu8 v174, v148, v40 /*v296*/, v174 neg_lo:[1,1,0]
	s_set_vgpr_msb 0x45                     ;  msbs: dst=1 src0=1 src1=1 src2=0
	v_perm_b32 v18 /*v274*/, v22 /*v278*/, v22 /*v278*/, 0xc0c030c
	s_set_vgpr_msb 4                        ;  msbs: dst=0 src0=0 src1=1 src2=0
	v_dot4_i32_iu8 v109, v148, v41 /*v297*/, v109 neg_lo:[1,1,0]
	s_set_vgpr_msb 0                        ;  msbs: dst=0 src0=0 src1=0 src2=0
	v_dot4_i32_iu8 v148, v88, v112, 0 neg_lo:[1,1,0]
	s_set_vgpr_msb 64                       ;  msbs: dst=1 src0=0 src1=0 src2=0
	v_dot4_i32_iu8 v22 /*v278*/, v90, v112, 0 neg_lo:[1,1,0]
	s_set_vgpr_msb 0                        ;  msbs: dst=0 src0=0 src1=0 src2=0
	v_dot4_i32_iu8 v112, v84, v112, 0 neg_lo:[1,1,0]
	s_set_vgpr_msb 0x41                     ;  msbs: dst=1 src0=1 src1=0 src2=0
	v_or_b32_e32 v15 /*v271*/, v15 /*v271*/, v82
	s_set_vgpr_msb 0x45                     ;  msbs: dst=1 src0=1 src1=1 src2=0
	v_perm_b32 v26 /*v282*/, v26 /*v282*/, v26 /*v282*/, 0xc0c030c
	s_set_vgpr_msb 4                        ;  msbs: dst=0 src0=0 src1=1 src2=0
	v_or_b32_e32 v160, v160, v18 /*v274*/
	s_set_vgpr_msb 64                       ;  msbs: dst=1 src0=0 src1=0 src2=0
	v_dual_lshlrev_b32 v45 /*v301*/, 16, v146 :: v_dual_lshlrev_b32 v46 /*v302*/, 8, v146
	s_set_vgpr_msb 1                        ;  msbs: dst=0 src0=1 src1=0 src2=0
	v_dot4_i32_iu8 v85, v15 /*v271*/, v85, v112 neg_lo:[1,1,0]
	s_set_vgpr_msb 0x45                     ;  msbs: dst=1 src0=1 src1=1 src2=0
	v_or_b32_e32 v23 /*v279*/, v23 /*v279*/, v26 /*v282*/
	s_set_vgpr_msb 17                       ;  msbs: dst=0 src0=1 src1=0 src2=1
	v_dot4_i32_iu8 v81, v15 /*v271*/, v81, v27 /*v283*/ neg_lo:[1,1,0]
	v_dot4_i32_iu8 v91, v15 /*v271*/, v91, v22 /*v278*/ neg_lo:[1,1,0]
	s_set_vgpr_msb 4                        ;  msbs: dst=0 src0=0 src1=1 src2=0
	v_dot4_i32_iu8 v123, v123, v21 /*v277*/, 0 neg_lo:[1,1,0]
	s_set_vgpr_msb 0                        ;  msbs: dst=0 src0=0 src1=0 src2=0
	v_dot4_i32_iu8 v85, v160, v180, v85 neg_lo:[1,1,0]
	s_set_vgpr_msb 4                        ;  msbs: dst=0 src0=0 src1=1 src2=0
	v_perm_b32 v82, v167, v46 /*v302*/, 0x407030c
	s_set_vgpr_msb 0                        ;  msbs: dst=0 src0=0 src1=0 src2=0
	v_dot4_i32_iu8 v81, v160, v106, v81 neg_lo:[1,1,0]
	s_set_vgpr_msb 5                        ;  msbs: dst=0 src0=1 src1=1 src2=0
	v_perm_b32 v106, v45 /*v301*/, v45 /*v301*/, 0xc0c0c03
	s_set_vgpr_msb 0                        ;  msbs: dst=0 src0=0 src1=0 src2=0
	v_dot4_i32_iu8 v91, v160, v182, v91 neg_lo:[1,1,0]
	s_set_vgpr_msb 1                        ;  msbs: dst=0 src0=1 src1=0 src2=0
	v_dot4_i32_iu8 v112, v23 /*v279*/, v181, v85 neg_lo:[1,1,0]
	s_set_vgpr_msb 0                        ;  msbs: dst=0 src0=0 src1=0 src2=0
	v_perm_b32 v85, v179, v170, 0x407030c
	s_set_vgpr_msb 5                        ;  msbs: dst=0 src0=1 src1=1 src2=0
	v_perm_b32 v180, v25 /*v281*/, v25 /*v281*/, 0xc0c0c03
	s_set_vgpr_msb 1                        ;  msbs: dst=0 src0=1 src1=0 src2=0
	v_dot4_i32_iu8 v89, v15 /*v271*/, v89, v148 neg_lo:[1,1,0]
	s_set_vgpr_msb 64                       ;  msbs: dst=1 src0=0 src1=0 src2=0
	v_perm_b32 v29 /*v285*/, v136, v107, 0x7020100
	v_perm_b32 v30 /*v286*/, v107, v107, 0x2010003
	s_set_vgpr_msb 0x55                     ;  msbs: dst=1 src0=1 src1=1 src2=1
	v_dot4_i32_iu8 v38 /*v294*/, v43 /*v299*/, v63 /*v319*/, v38 /*v294*/ neg_lo:[1,1,0]
	v_dot4_i32_iu8 v39 /*v295*/, v43 /*v299*/, v68 /*v324*/, v39 /*v295*/ neg_lo:[1,1,0]
	;; [unrolled: 1-line block ×3, first 2 shown]
	s_set_vgpr_msb 4                        ;  msbs: dst=0 src0=0 src1=1 src2=0
	v_dot4_i32_iu8 v123, v83, v41 /*v297*/, v123 neg_lo:[1,1,0]
	s_set_vgpr_msb 0                        ;  msbs: dst=0 src0=0 src1=0 src2=0
	v_perm_b32 v83, v142, v183, 0x4070201
	s_set_vgpr_msb 64                       ;  msbs: dst=1 src0=0 src1=0 src2=0
	v_perm_b32 v18 /*v274*/, v183, v183, 0x2010003
	s_set_vgpr_msb 1                        ;  msbs: dst=0 src0=1 src1=0 src2=0
	v_dot4_i32_iu8 v81, v23 /*v279*/, v107, v81 neg_lo:[1,1,0]
	v_dot4_i32_iu8 v107, v23 /*v279*/, v183, v91 neg_lo:[1,1,0]
	s_set_vgpr_msb 0                        ;  msbs: dst=0 src0=0 src1=0 src2=0
	v_or_b32_e32 v82, v82, v106
	v_or_b32_e32 v180, v85, v180
	v_perm_b32 v183, v144, v177, 0x4070201
	v_dot4_i32_iu8 v89, v160, v176, v89 neg_lo:[1,1,0]
	s_set_vgpr_msb 0x50                     ;  msbs: dst=1 src0=0 src1=0 src2=1
	v_perm_b32 v28 /*v284*/, v136, v136, 0xc0c0100
	v_dual_lshlrev_b32 v53 /*v309*/, 16, v150 :: v_dual_lshlrev_b32 v54 /*v310*/, 8, v150
	v_dot4_i32_iu8 v27 /*v283*/, v82, v183, v39 /*v295*/ neg_lo:[1,1,0]
	s_set_vgpr_msb 16                       ;  msbs: dst=0 src0=0 src1=0 src2=1
	v_dot4_i32_iu8 v180, v180, v183, v43 /*v299*/ neg_lo:[1,1,0]
	s_set_vgpr_msb 1                        ;  msbs: dst=0 src0=1 src1=0 src2=0
	v_dot4_i32_iu8 v89, v23 /*v279*/, v177, v89 neg_lo:[1,1,0]
	s_set_vgpr_msb 64                       ;  msbs: dst=1 src0=0 src1=0 src2=0
	v_perm_b32 v39 /*v295*/, v144, v144, 0xc0c0100
	v_perm_b32 v43 /*v299*/, v142, v142, 0xc0c0100
	s_set_vgpr_msb 0x45                     ;  msbs: dst=1 src0=1 src1=1 src2=0
	v_dot4_i32_iu8 v28 /*v284*/, v19 /*v275*/, v28 /*v284*/, v81 neg_lo:[1,1,0]
	s_set_vgpr_msb 0                        ;  msbs: dst=0 src0=0 src1=0 src2=0
	v_perm_b32 v81, v140, v140, 0xc0c0100
	s_set_vgpr_msb 4                        ;  msbs: dst=0 src0=0 src1=1 src2=0
	v_dot4_i32_iu8 v125, v125, v21 /*v277*/, 0 neg_lo:[1,1,0]
	s_set_vgpr_msb 5                        ;  msbs: dst=0 src0=1 src1=1 src2=0
	v_dot4_i32_iu8 v89, v19 /*v275*/, v39 /*v295*/, v89 neg_lo:[1,1,0]
	s_set_vgpr_msb 64                       ;  msbs: dst=1 src0=0 src1=0 src2=0
	v_lshlrev_b32_e32 v39 /*v295*/, 16, v110
	s_set_vgpr_msb 5                        ;  msbs: dst=0 src0=1 src1=1 src2=0
	v_dot4_i32_iu8 v107, v19 /*v275*/, v43 /*v299*/, v107 neg_lo:[1,1,0]
	s_set_vgpr_msb 64                       ;  msbs: dst=1 src0=0 src1=0 src2=0
	v_lshlrev_b32_e32 v43 /*v299*/, 8, v110
	s_set_vgpr_msb 1                        ;  msbs: dst=0 src0=1 src1=0 src2=0
	v_dot4_i32_iu8 v112, v19 /*v275*/, v81, v112 neg_lo:[1,1,0]
	s_set_vgpr_msb 4                        ;  msbs: dst=0 src0=0 src1=1 src2=0
	v_dot4_i32_iu8 v115, v115, v21 /*v277*/, 0 neg_lo:[1,1,0]
	s_set_vgpr_msb 1                        ;  msbs: dst=0 src0=1 src1=0 src2=0
	v_perm_b32 v81, v39 /*v295*/, v110, 0xc0c0700
	s_set_vgpr_msb 0x54                     ;  msbs: dst=1 src0=0 src1=1 src2=1
	v_dot4_i32_iu8 v49 /*v305*/, v178, v40 /*v296*/, v49 /*v305*/ neg_lo:[1,1,0]
	v_perm_b32 v19 /*v275*/, v149, v43 /*v299*/, 0x7030c0c
	v_dot4_i32_iu8 v51 /*v307*/, v168, v40 /*v296*/, v51 /*v307*/ neg_lo:[1,1,0]
	s_set_vgpr_msb 64                       ;  msbs: dst=1 src0=0 src1=0 src2=0
	v_lshlrev_b32_e32 v40 /*v296*/, 16, v162
	s_set_vgpr_msb 4                        ;  msbs: dst=0 src0=0 src1=1 src2=0
	v_perm_b32 v91, v171, v54 /*v310*/, 0x407030c
	s_set_vgpr_msb 5                        ;  msbs: dst=0 src0=1 src1=1 src2=0
	v_perm_b32 v182, v53 /*v309*/, v53 /*v309*/, 0xc0c0c03
	s_set_vgpr_msb 0                        ;  msbs: dst=0 src0=0 src1=0 src2=0
	v_perm_b32 v148, v144, v177, 0x7020100
	s_set_vgpr_msb 1                        ;  msbs: dst=0 src0=1 src1=0 src2=0
	v_or_b32_e32 v81, v19 /*v275*/, v81
	s_set_vgpr_msb 4                        ;  msbs: dst=0 src0=0 src1=1 src2=0
	v_dot4_i32_iu8 v125, v178, v41 /*v297*/, v125 neg_lo:[1,1,0]
	v_dot4_i32_iu8 v115, v168, v41 /*v297*/, v115 neg_lo:[1,1,0]
	s_set_vgpr_msb 0                        ;  msbs: dst=0 src0=0 src1=0 src2=0
	v_perm_b32 v168, v140, v181, 0x4070201
	s_set_vgpr_msb 64                       ;  msbs: dst=1 src0=0 src1=0 src2=0
	v_dual_lshlrev_b32 v41 /*v297*/, 16, v154 :: v_dual_lshlrev_b32 v15 /*v271*/, 16, v169
	v_perm_b32 v26 /*v282*/, v181, v181, 0x2010003
	s_set_vgpr_msb 0                        ;  msbs: dst=0 src0=0 src1=0 src2=0
	v_perm_b32 v106, v169, v159, 0x407030c
	v_or_b32_e32 v181, v91, v182
	s_set_vgpr_msb 5                        ;  msbs: dst=0 src0=1 src1=1 src2=0
	v_perm_b32 v91, v40 /*v296*/, v40 /*v296*/, 0xc0c0c03
	s_set_vgpr_msb 4                        ;  msbs: dst=0 src0=0 src1=1 src2=0
	v_dot4_i32_iu8 v104, v81, v29 /*v285*/, v104 neg_lo:[1,1,0]
	s_set_vgpr_msb 0                        ;  msbs: dst=0 src0=0 src1=0 src2=0
	v_dot4_i32_iu8 v172, v81, v148, v172 neg_lo:[1,1,0]
	s_set_vgpr_msb 4                        ;  msbs: dst=0 src0=0 src1=1 src2=0
	v_perm_b32 v81, v170, v25 /*v281*/, 0x7030c0c
	s_set_vgpr_msb 0x45                     ;  msbs: dst=1 src0=1 src1=1 src2=0
	v_perm_b32 v25 /*v281*/, v46 /*v302*/, v45 /*v301*/, 0x7030c0c
	s_wait_dscnt 0x4
	s_set_vgpr_msb 64                       ;  msbs: dst=1 src0=0 src1=0 src2=0
	v_lshlrev_b32_e32 v45 /*v301*/, 16, v152
	s_set_vgpr_msb 4                        ;  msbs: dst=0 src0=0 src1=1 src2=0
	v_perm_b32 v159, v159, v40 /*v296*/, 0x7030c0c
	s_set_vgpr_msb 64                       ;  msbs: dst=1 src0=0 src1=0 src2=0
	v_lshlrev_b32_e32 v40 /*v296*/, 8, v152
	s_set_vgpr_msb 0                        ;  msbs: dst=0 src0=0 src1=0 src2=0
	v_perm_b32 v156, v156, v156, 0xc0c0003
	v_perm_b32 v85, v175, v113, 0x407030c
	v_or_b32_e32 v106, v106, v91
	s_set_vgpr_msb 5                        ;  msbs: dst=0 src0=1 src1=1 src2=0
	v_perm_b32 v91, v41 /*v297*/, v41 /*v297*/, 0xc0c0c03
	s_set_vgpr_msb 4                        ;  msbs: dst=0 src0=0 src1=1 src2=0
	v_perm_b32 v113, v113, v41 /*v297*/, 0x7030c0c
	s_set_vgpr_msb 0x45                     ;  msbs: dst=1 src0=1 src1=1 src2=0
	v_perm_b32 v46 /*v302*/, v54 /*v310*/, v53 /*v309*/, 0x7030c0c
	v_perm_b32 v40 /*v296*/, v40 /*v296*/, v45 /*v301*/, 0x7030c0c
	;; [unrolled: 1-line block ×3, first 2 shown]
	s_set_vgpr_msb 0                        ;  msbs: dst=0 src0=0 src1=0 src2=0
	v_perm_b32 v162, v162, v162, 0xc0c0003
	v_or_b32_e32 v156, v81, v156
	v_perm_b32 v81, v154, v154, 0xc0c0003
	v_perm_b32 v150, v150, v150, 0xc0c0003
	;; [unrolled: 1-line block ×4, first 2 shown]
	s_set_vgpr_msb 0x55                     ;  msbs: dst=1 src0=1 src1=1 src2=1
	v_dot4_i32_iu8 v16 /*v272*/, v64 /*v320*/, v68 /*v324*/, v16 /*v272*/ neg_lo:[1,1,0]
	v_dot4_i32_iu8 v17 /*v273*/, v59 /*v315*/, v68 /*v324*/, v17 /*v273*/ neg_lo:[1,1,0]
	s_set_vgpr_msb 64                       ;  msbs: dst=1 src0=0 src1=0 src2=0
	v_lshlrev_b32_e32 v21 /*v277*/, 8, v171
	s_set_vgpr_msb 0                        ;  msbs: dst=0 src0=0 src1=0 src2=0
	v_or_b32_e32 v182, v85, v91
	v_perm_b32 v176, v177, v177, 0x2010003
	v_or_b32_e32 v154, v159, v162
	v_or_b32_e32 v113, v113, v81
	s_set_vgpr_msb 1                        ;  msbs: dst=0 src0=1 src1=0 src2=0
	v_or_b32_e32 v150, v46 /*v302*/, v150
	v_or_b32_e32 v152, v40 /*v296*/, v152
	;; [unrolled: 1-line block ×3, first 2 shown]
	s_set_vgpr_msb 0x50                     ;  msbs: dst=1 src0=0 src1=0 src2=1
	v_dot4_i32_iu8 v22 /*v278*/, v181, v83, v37 /*v293*/ neg_lo:[1,1,0]
	s_set_vgpr_msb 16                       ;  msbs: dst=0 src0=0 src1=0 src2=1
	v_dot4_i32_iu8 v106, v106, v183, v16 /*v272*/ neg_lo:[1,1,0]
	v_dot4_i32_iu8 v182, v182, v183, v17 /*v273*/ neg_lo:[1,1,0]
	;; [unrolled: 1-line block ×3, first 2 shown]
	v_dual_lshlrev_b32 v183, 8, v179 :: v_dual_lshlrev_b32 v160, 16, v179
	v_lshlrev_b32_e32 v177, 8, v169
	v_perm_b32 v146, v146, v146, 0xc0c0003
	s_set_vgpr_msb 0x54                     ;  msbs: dst=1 src0=0 src1=1 src2=1
	v_dot4_i32_iu8 v39 /*v295*/, v156, v18 /*v274*/, v49 /*v305*/ neg_lo:[1,1,0]
	v_dot4_i32_iu8 v40 /*v296*/, v154, v30 /*v286*/, v52 /*v308*/ neg_lo:[1,1,0]
	v_dot4_i32_iu8 v43 /*v299*/, v154, v18 /*v274*/, v51 /*v307*/ neg_lo:[1,1,0]
	s_set_vgpr_msb 4                        ;  msbs: dst=0 src0=0 src1=1 src2=0
	v_dot4_i32_iu8 v115, v154, v26 /*v282*/, v115 neg_lo:[1,1,0]
	s_set_vgpr_msb 0x54                     ;  msbs: dst=1 src0=0 src1=1 src2=1
	v_dot4_i32_iu8 v46 /*v302*/, v113, v18 /*v274*/, v57 /*v313*/ neg_lo:[1,1,0]
	v_dot4_i32_iu8 v42 /*v298*/, v150, v30 /*v286*/, v42 /*v298*/ neg_lo:[1,1,0]
	s_set_vgpr_msb 4                        ;  msbs: dst=0 src0=0 src1=1 src2=0
	v_dot4_i32_iu8 v121, v150, v26 /*v282*/, v121 neg_lo:[1,1,0]
	v_dot4_i32_iu8 v105, v152, v30 /*v286*/, v105 neg_lo:[1,1,0]
	v_perm_b32 v150, v147, v48 /*v304*/, 0x407030c
	s_set_vgpr_msb 16                       ;  msbs: dst=0 src0=0 src1=0 src2=1
	v_dot4_i32_iu8 v176, v152, v176, v14 /*v270*/ neg_lo:[1,1,0]
	s_set_vgpr_msb 5                        ;  msbs: dst=0 src0=1 src1=1 src2=0
	v_perm_b32 v154, v47 /*v303*/, v47 /*v303*/, 0xc0c0c03
	s_set_vgpr_msb 0x54                     ;  msbs: dst=1 src0=0 src1=1 src2=1
	v_dot4_i32_iu8 v14 /*v270*/, v152, v18 /*v274*/, v50 /*v306*/ neg_lo:[1,1,0]
	s_set_vgpr_msb 4                        ;  msbs: dst=0 src0=0 src1=1 src2=0
	v_dot4_i32_iu8 v139, v152, v26 /*v282*/, v139 neg_lo:[1,1,0]
	v_perm_b32 v152, v151, v21 /*v277*/, 0x407030c
	v_dot4_i32_iu8 v174, v110, v18 /*v274*/, v174 neg_lo:[1,1,0]
	s_set_vgpr_msb 0x45                     ;  msbs: dst=1 src0=1 src1=1 src2=0
	v_perm_b32 v18 /*v274*/, v55 /*v311*/, v55 /*v311*/, 0xc0c0c03
	s_set_vgpr_msb 64                       ;  msbs: dst=1 src0=0 src1=0 src2=0
	v_dual_lshlrev_b32 v20 /*v276*/, 8, v175 :: v_dual_lshlrev_b32 v23 /*v279*/, 16, v175
	s_set_vgpr_msb 1                        ;  msbs: dst=0 src0=1 src1=0 src2=0
	v_or_b32_e32 v146, v25 /*v281*/, v146
	s_set_vgpr_msb 4                        ;  msbs: dst=0 src0=0 src1=1 src2=0
	v_dot4_i32_iu8 v125, v156, v26 /*v282*/, v125 neg_lo:[1,1,0]
	s_set_vgpr_msb 0x54                     ;  msbs: dst=1 src0=0 src1=1 src2=1
	v_dot4_i32_iu8 v45 /*v301*/, v113, v30 /*v286*/, v56 /*v312*/ neg_lo:[1,1,0]
	s_set_vgpr_msb 4                        ;  msbs: dst=0 src0=0 src1=1 src2=0
	v_dot4_i32_iu8 v113, v113, v26 /*v282*/, v123 neg_lo:[1,1,0]
	v_dot4_i32_iu8 v109, v110, v26 /*v282*/, v109 neg_lo:[1,1,0]
	s_set_vgpr_msb 0                        ;  msbs: dst=0 src0=0 src1=0 src2=0
	v_perm_b32 v110, v157, v183, 0x407030c
	s_set_vgpr_msb 64                       ;  msbs: dst=1 src0=0 src1=0 src2=0
	v_perm_b32 v26 /*v282*/, v160, v160, 0xc0c0c03
	s_set_vgpr_msb 0                        ;  msbs: dst=0 src0=0 src1=0 src2=0
	v_or_b32_e32 v150, v150, v154
	v_perm_b32 v154, v163, v177, 0x407030c
	s_set_vgpr_msb 4                        ;  msbs: dst=0 src0=0 src1=1 src2=0
	v_or_b32_e32 v152, v152, v18 /*v274*/
	s_set_vgpr_msb 0x45                     ;  msbs: dst=1 src0=1 src1=1 src2=0
	v_perm_b32 v18 /*v274*/, v15 /*v271*/, v15 /*v271*/, 0xc0c0c03
	s_set_vgpr_msb 16                       ;  msbs: dst=0 src0=0 src1=0 src2=1
	v_dot4_i32_iu8 v168, v82, v168, v24 /*v280*/ neg_lo:[1,1,0]
	s_set_vgpr_msb 0x50                     ;  msbs: dst=1 src0=0 src1=0 src2=1
	v_dot4_i32_iu8 v24 /*v280*/, v82, v83, v38 /*v294*/ neg_lo:[1,1,0]
	s_set_vgpr_msb 0                        ;  msbs: dst=0 src0=0 src1=0 src2=0
	v_perm_b32 v148, v141, v140, 0x4070201
	s_set_vgpr_msb 64                       ;  msbs: dst=1 src0=0 src1=0 src2=0
	v_perm_b32 v41 /*v297*/, v143, v142, 0x4070201
	s_set_vgpr_msb 4                        ;  msbs: dst=0 src0=0 src1=1 src2=0
	v_dot4_i32_iu8 v119, v146, v30 /*v286*/, v119 neg_lo:[1,1,0]
	s_set_vgpr_msb 0                        ;  msbs: dst=0 src0=0 src1=0 src2=0
	v_perm_b32 v146, v145, v144, 0x4070201
	s_set_vgpr_msb 4                        ;  msbs: dst=0 src0=0 src1=1 src2=0
	v_or_b32_e32 v110, v110, v26 /*v282*/
	s_set_vgpr_msb 0x44                     ;  msbs: dst=1 src0=0 src1=1 src2=0
	v_perm_b32 v26 /*v282*/, v155, v20 /*v276*/, 0x407030c
	s_set_vgpr_msb 4                        ;  msbs: dst=0 src0=0 src1=1 src2=0
	v_or_b32_e32 v154, v154, v18 /*v274*/
	s_set_vgpr_msb 0x45                     ;  msbs: dst=1 src0=1 src1=1 src2=0
	v_perm_b32 v18 /*v274*/, v23 /*v279*/, v23 /*v279*/, 0xc0c0c03
	s_set_vgpr_msb 64                       ;  msbs: dst=1 src0=0 src1=0 src2=0
	v_perm_b32 v31 /*v287*/, v136, v136, 0xc0c0302
	s_set_vgpr_msb 0x54                     ;  msbs: dst=1 src0=0 src1=1 src2=1
	v_dot4_i32_iu8 v25 /*v281*/, v156, v30 /*v286*/, v44 /*v300*/ neg_lo:[1,1,0]
	s_set_vgpr_msb 0                        ;  msbs: dst=0 src0=0 src1=0 src2=0
	v_dot4_i32_iu8 v168, v150, v148, v168 neg_lo:[1,1,0]
	v_perm_b32 v148, v142, v142, 0xc0c0302
	s_set_vgpr_msb 0x45                     ;  msbs: dst=1 src0=1 src1=1 src2=0
	v_or_b32_e32 v18 /*v274*/, v26 /*v282*/, v18 /*v274*/
	s_set_vgpr_msb 64                       ;  msbs: dst=1 src0=0 src1=0 src2=0
	v_perm_b32 v26 /*v282*/, v144, v144, 0xc0c0302
	s_set_vgpr_msb 0x54                     ;  msbs: dst=1 src0=0 src1=1 src2=1
	v_dot4_i32_iu8 v24 /*v280*/, v150, v41 /*v297*/, v24 /*v280*/ neg_lo:[1,1,0]
	s_set_vgpr_msb 0x50                     ;  msbs: dst=1 src0=0 src1=0 src2=1
	v_perm_b32 v30 /*v286*/, v140, v140, 0xc0c0302
	v_dot4_i32_iu8 v27 /*v283*/, v150, v146, v27 /*v283*/ neg_lo:[1,1,0]
	s_set_vgpr_msb 0                        ;  msbs: dst=0 src0=0 src1=0 src2=0
	v_lshlrev_b32_e32 v150, 16, v149
	v_dot4_i32_iu8 v110, v110, v146, v180 neg_lo:[1,1,0]
	v_lshlrev_b32_e32 v180, 8, v149
	s_set_vgpr_msb 0x54                     ;  msbs: dst=1 src0=0 src1=1 src2=1
	v_dot4_i32_iu8 v28 /*v284*/, v161, v31 /*v287*/, v28 /*v284*/ neg_lo:[1,1,0]
	s_set_vgpr_msb 0x44                     ;  msbs: dst=1 src0=0 src1=1 src2=0
	v_dot4_i32_iu8 v26 /*v282*/, v161, v26 /*v282*/, v89 neg_lo:[1,1,0]
	s_set_vgpr_msb 64                       ;  msbs: dst=1 src0=0 src1=0 src2=0
	v_dot4_i32_iu8 v60 /*v316*/, v161, v148, v107 neg_lo:[1,1,0]
	s_set_vgpr_msb 4                        ;  msbs: dst=0 src0=0 src1=1 src2=0
	v_dot4_i32_iu8 v161, v161, v30 /*v286*/, v112 neg_lo:[1,1,0]
	s_set_vgpr_msb 0                        ;  msbs: dst=0 src0=0 src1=0 src2=0
	v_perm_b32 v89, v150, v149, 0xc0c0700
	v_perm_b32 v112, v111, v180, 0x7030c0c
	s_set_vgpr_msb 64                       ;  msbs: dst=1 src0=0 src1=0 src2=0
	v_perm_b32 v32 /*v288*/, v137, v136, 0x7020100
	v_perm_b32 v33 /*v289*/, v136, v136, 0x2010003
	s_set_vgpr_msb 0                        ;  msbs: dst=0 src0=0 src1=0 src2=0
	v_perm_b32 v136, v137, v137, 0xc0c0100
	v_perm_b32 v179, v179, v179, 0xc0c0003
	v_or_b32_e32 v89, v112, v89
	v_perm_b32 v167, v167, v167, 0xc0c0003
	v_perm_b32 v169, v169, v169, 0xc0c0003
	;; [unrolled: 1-line block ×3, first 2 shown]
	s_set_vgpr_msb 64                       ;  msbs: dst=1 src0=0 src1=0 src2=0
	v_dual_lshlrev_b32 v58 /*v314*/, 16, v173 :: v_dual_lshlrev_b32 v59 /*v315*/, 8, v173
	s_set_vgpr_msb 0                        ;  msbs: dst=0 src0=0 src1=0 src2=0
	v_dot4_i32_iu8 v106, v154, v146, v106 neg_lo:[1,1,0]
	v_perm_b32 v154, v145, v144, 0x7020100
	s_set_vgpr_msb 64                       ;  msbs: dst=1 src0=0 src1=0 src2=0
	v_dual_lshlrev_b32 v30 /*v286*/, 16, v153 :: v_dual_lshlrev_b32 v62 /*v318*/, 8, v153
	v_lshlrev_b32_e32 v66 /*v322*/, 16, v138
	v_perm_b32 v63 /*v319*/, v153, v153, 0xc0c0003
	s_set_vgpr_msb 0x44                     ;  msbs: dst=1 src0=0 src1=1 src2=0
	v_dot4_i32_iu8 v32 /*v288*/, v89, v32 /*v288*/, v104 neg_lo:[1,1,0]
	s_set_vgpr_msb 0                        ;  msbs: dst=0 src0=0 src1=0 src2=0
	v_perm_b32 v104, v183, v160, 0x7030c0c
	s_set_vgpr_msb 5                        ;  msbs: dst=0 src0=1 src1=1 src2=0
	v_perm_b32 v112, v48 /*v304*/, v47 /*v303*/, 0x7030c0c
	v_perm_b32 v153, v20 /*v276*/, v23 /*v279*/, 0x7030c0c
	s_set_vgpr_msb 0x50                     ;  msbs: dst=1 src0=0 src1=0 src2=1
	v_dot4_i32_iu8 v28 /*v284*/, v135, v136, v28 /*v284*/ neg_lo:[1,1,0]
	s_set_vgpr_msb 4                        ;  msbs: dst=0 src0=0 src1=1 src2=0
	v_lshrrev_b32_e32 v136, 16, v8 /*v264*/
	s_set_vgpr_msb 0x54                     ;  msbs: dst=1 src0=0 src1=1 src2=1
	v_dot4_i32_iu8 v22 /*v278*/, v152, v41 /*v297*/, v22 /*v278*/ neg_lo:[1,1,0]
	s_set_vgpr_msb 0                        ;  msbs: dst=0 src0=0 src1=0 src2=0
	v_dot4_i32_iu8 v181, v152, v146, v181 neg_lo:[1,1,0]
	s_set_vgpr_msb 64                       ;  msbs: dst=1 src0=0 src1=0 src2=0
	v_lshlrev_b32_e32 v41 /*v297*/, 16, v163
	s_set_vgpr_msb 4                        ;  msbs: dst=0 src0=0 src1=1 src2=0
	v_perm_b32 v152, v177, v15 /*v271*/, 0x7030c0c
	s_set_vgpr_msb 0                        ;  msbs: dst=0 src0=0 src1=0 src2=0
	v_pk_mul_f16 v250, v233, v126
	v_perm_b32 v126, v137, v137, 0x2010003
	v_perm_b32 v242, v137, v137, 0xc0c0302
	v_lshlrev_b32_e32 v137, 16, v147
	v_perm_b32 v171, v171, v171, 0xc0c0003
	v_perm_b32 v173, v173, v173, 0xc0c0003
	;; [unrolled: 1-line block ×5, first 2 shown]
	v_dot4_i32_iu8 v172, v89, v154, v172 neg_lo:[1,1,0]
	s_set_vgpr_msb 5                        ;  msbs: dst=0 src0=1 src1=1 src2=0
	v_perm_b32 v154, v21 /*v277*/, v55 /*v311*/, 0x7030c0c
	v_perm_b32 v160, v59 /*v315*/, v58 /*v314*/, 0x7030c0c
	s_set_vgpr_msb 0                        ;  msbs: dst=0 src0=0 src1=0 src2=0
	v_perm_b32 v180, v180, v150, 0x7030c0c
	v_or_b32_e32 v104, v104, v179
	v_or_b32_e32 v112, v112, v167
	;; [unrolled: 1-line block ×4, first 2 shown]
	v_lshlrev_b32_e32 v178, 16, v151
	v_or_b32_e32 v171, v154, v171
	v_or_b32_e32 v160, v160, v173
	;; [unrolled: 1-line block ×3, first 2 shown]
	s_set_vgpr_msb 20                       ;  msbs: dst=0 src0=0 src1=1 src2=1
	v_dot4_i32_iu8 v179, v104, v33 /*v289*/, v25 /*v281*/ neg_lo:[1,1,0]
	s_set_vgpr_msb 16                       ;  msbs: dst=0 src0=0 src1=0 src2=1
	v_dot4_i32_iu8 v180, v104, v142, v39 /*v295*/ neg_lo:[1,1,0]
	s_set_vgpr_msb 0                        ;  msbs: dst=0 src0=0 src1=0 src2=0
	v_dot4_i32_iu8 v125, v104, v140, v125 neg_lo:[1,1,0]
	s_set_vgpr_msb 0x54                     ;  msbs: dst=1 src0=0 src1=1 src2=1
	v_dot4_i32_iu8 v25 /*v281*/, v167, v33 /*v289*/, v40 /*v296*/ neg_lo:[1,1,0]
	v_dot4_i32_iu8 v39 /*v295*/, v169, v33 /*v289*/, v45 /*v301*/ neg_lo:[1,1,0]
	s_set_vgpr_msb 0x50                     ;  msbs: dst=1 src0=0 src1=0 src2=1
	v_dot4_i32_iu8 v40 /*v296*/, v169, v142, v46 /*v302*/ neg_lo:[1,1,0]
	s_set_vgpr_msb 0                        ;  msbs: dst=0 src0=0 src1=0 src2=0
	v_dot4_i32_iu8 v169, v169, v140, v113 neg_lo:[1,1,0]
	s_set_vgpr_msb 4                        ;  msbs: dst=0 src0=0 src1=1 src2=0
	v_perm_b32 v104, v118, v11 /*v267*/, 0x407030c
	s_set_vgpr_msb 0                        ;  msbs: dst=0 src0=0 src1=0 src2=0
	v_perm_b32 v113, v137, v137, 0xc0c0c03
	v_lshlrev_b32_e32 v123, 8, v157
	s_set_vgpr_msb 64                       ;  msbs: dst=1 src0=0 src1=0 src2=0
	v_lshlrev_b32_e32 v49 /*v305*/, 16, v157
	s_set_vgpr_msb 0x44                     ;  msbs: dst=1 src0=0 src1=1 src2=0
	v_dot4_i32_iu8 v23 /*v279*/, v112, v33 /*v289*/, v119 neg_lo:[1,1,0]
	s_set_vgpr_msb 0x54                     ;  msbs: dst=1 src0=0 src1=1 src2=1
	v_dot4_i32_iu8 v42 /*v298*/, v171, v33 /*v289*/, v42 /*v298*/ neg_lo:[1,1,0]
	s_set_vgpr_msb 0x44                     ;  msbs: dst=1 src0=0 src1=1 src2=0
	v_dot4_i32_iu8 v33 /*v289*/, v160, v33 /*v289*/, v105 neg_lo:[1,1,0]
	s_set_vgpr_msb 0                        ;  msbs: dst=0 src0=0 src1=0 src2=0
	v_perm_b32 v105, v120, v166, 0x407030c
	v_or_b32_e32 v104, v104, v113
	v_perm_b32 v113, v178, v178, 0xc0c0c03
	v_perm_b32 v162, v132, v132, 0xc0c0201
	s_set_vgpr_msb 64                       ;  msbs: dst=1 src0=0 src1=0 src2=0
	v_perm_b32 v44 /*v300*/, v132, v145, 0x4070201
	s_set_vgpr_msb 1                        ;  msbs: dst=0 src0=1 src1=0 src2=0
	v_dot4_i32_iu8 v182, v18 /*v274*/, v146, v182 neg_lo:[1,1,0]
	s_set_vgpr_msb 64                       ;  msbs: dst=1 src0=0 src1=0 src2=0
	v_lshlrev_b32_e32 v18 /*v274*/, 8, v163
	v_dual_lshlrev_b32 v51 /*v307*/, 8, v155 :: v_dual_lshlrev_b32 v52 /*v308*/, 16, v155
	v_perm_b32 v53 /*v309*/, v155, v155, 0xc0c0003
	v_perm_b32 v61 /*v317*/, v132, v145, 0x7020100
	s_set_vgpr_msb 5                        ;  msbs: dst=0 src0=1 src1=1 src2=0
	v_or_b32_e32 v89, v34 /*v290*/, v35 /*v291*/
	s_set_vgpr_msb 64                       ;  msbs: dst=1 src0=0 src1=0 src2=0
	v_perm_b32 v20 /*v276*/, v133, v132, 0x7020100
	s_set_vgpr_msb 0                        ;  msbs: dst=0 src0=0 src1=0 src2=0
	v_perm_b32 v155, v132, v132, 0x2010003
	v_perm_b32 v152, v132, v132, 0xc0c0100
	s_set_vgpr_msb 0x50                     ;  msbs: dst=1 src0=0 src1=0 src2=1
	v_dot4_i32_iu8 v35 /*v291*/, v167, v142, v43 /*v299*/ neg_lo:[1,1,0]
	s_set_vgpr_msb 0                        ;  msbs: dst=0 src0=0 src1=0 src2=0
	v_dot4_i32_iu8 v167, v167, v140, v115 neg_lo:[1,1,0]
	v_dot4_i32_iu8 v171, v171, v140, v121 neg_lo:[1,1,0]
	;; [unrolled: 1-line block ×3, first 2 shown]
	s_set_vgpr_msb 64                       ;  msbs: dst=1 src0=0 src1=0 src2=0
	v_perm_b32 v47 /*v303*/, v132, v132, 0xc0c0302
	s_set_vgpr_msb 0                        ;  msbs: dst=0 src0=0 src1=0 src2=0
	v_dot4_i32_iu8 v132, v107, v142, v174 neg_lo:[1,1,0]
	v_dot4_i32_iu8 v140, v107, v140, v109 neg_lo:[1,1,0]
	v_perm_b32 v107, v124, v123, 0x407030c
	v_or_b32_e32 v105, v105, v113
	s_set_vgpr_msb 5                        ;  msbs: dst=0 src0=1 src1=1 src2=0
	v_perm_b32 v113, v49 /*v305*/, v49 /*v305*/, 0xc0c0c03
	s_set_vgpr_msb 4                        ;  msbs: dst=0 src0=0 src1=1 src2=0
	v_perm_b32 v109, v114, v18 /*v274*/, 0x407030c
	s_set_vgpr_msb 64                       ;  msbs: dst=1 src0=0 src1=0 src2=0
	v_perm_b32 v37 /*v293*/, v128, v128, 0xc0c0201
	v_perm_b32 v38 /*v294*/, v129, v129, 0x4030c0c
	s_set_vgpr_msb 4                        ;  msbs: dst=0 src0=0 src1=1 src2=0
	v_perm_b32 v112, v122, v51 /*v307*/, 0x407030c
	s_set_vgpr_msb 0                        ;  msbs: dst=0 src0=0 src1=0 src2=0
	v_or_b32_e32 v107, v107, v113
	s_set_vgpr_msb 5                        ;  msbs: dst=0 src0=1 src1=1 src2=0
	v_perm_b32 v113, v41 /*v297*/, v41 /*v297*/, 0xc0c0c03
	s_set_vgpr_msb 0                        ;  msbs: dst=0 src0=0 src1=0 src2=0
	v_dual_lshlrev_b32 v85, 16, v120 :: v_dual_lshlrev_b32 v91, 8, v120
	s_set_vgpr_msb 0x45                     ;  msbs: dst=1 src0=1 src1=1 src2=0
	v_or_b32_e32 v37 /*v293*/, v38 /*v294*/, v37 /*v293*/
	s_set_vgpr_msb 64                       ;  msbs: dst=1 src0=0 src1=0 src2=0
	v_perm_b32 v38 /*v294*/, v120, v120, 0xc0c0003
	s_set_vgpr_msb 0                        ;  msbs: dst=0 src0=0 src1=0 src2=0
	v_or_b32_e32 v109, v109, v113
	s_set_vgpr_msb 5                        ;  msbs: dst=0 src0=1 src1=1 src2=0
	v_perm_b32 v113, v52 /*v308*/, v52 /*v308*/, 0xc0c0c03
	s_set_vgpr_msb 0x44                     ;  msbs: dst=1 src0=0 src1=1 src2=0
	v_dot4_i32_iu8 v78 /*v334*/, v107, v44 /*v300*/, v110 neg_lo:[1,1,0]
	s_set_vgpr_msb 4                        ;  msbs: dst=0 src0=0 src1=1 src2=0
	v_lshrrev_b32_e32 v110, 16, v9 /*v265*/
	s_set_vgpr_msb 0                        ;  msbs: dst=0 src0=0 src1=0 src2=0
	v_lshlrev_b32_e32 v120, 16, v111
	s_set_vgpr_msb 0x44                     ;  msbs: dst=1 src0=0 src1=1 src2=0
	v_dot4_i32_iu8 v80 /*v336*/, v109, v44 /*v300*/, v106 neg_lo:[1,1,0]
	s_set_vgpr_msb 0                        ;  msbs: dst=0 src0=0 src1=0 src2=0
	v_or_b32_e32 v112, v112, v113
	s_set_vgpr_msb 4                        ;  msbs: dst=0 src0=0 src1=1 src2=0
	v_lshrrev_b32_e32 v109, 16, v10 /*v266*/
	s_set_vgpr_msb 64                       ;  msbs: dst=1 src0=0 src1=0 src2=0
	v_perm_b32 v16 /*v272*/, v130, v130, 0xc0c0201
	v_perm_b32 v17 /*v273*/, v131, v131, 0x4030c0c
	s_set_vgpr_msb 0                        ;  msbs: dst=0 src0=0 src1=0 src2=0
	v_perm_b32 v170, v130, v141, 0x4070201
	v_perm_b32 v159, v128, v143, 0x4070201
	s_set_vgpr_msb 64                       ;  msbs: dst=1 src0=0 src1=0 src2=0
	v_perm_b32 v50 /*v306*/, v147, v147, 0xc0c0003
	s_set_vgpr_msb 0                        ;  msbs: dst=0 src0=0 src1=0 src2=0
	v_perm_b32 v163, v163, v163, 0xc0c0003
	v_perm_b32 v144, v144, v144, 0x2010003
	s_set_vgpr_msb 64                       ;  msbs: dst=1 src0=0 src1=0 src2=0
	v_perm_b32 v65 /*v321*/, v133, v133, 0xc0c0c01
	v_dual_lshlrev_b32 v67 /*v323*/, 8, v138 :: v_dual_lshlrev_b32 v69 /*v325*/, 8, v124
	v_perm_b32 v68 /*v324*/, v138, v138, 0xc0c0003
	v_dual_lshlrev_b32 v34 /*v290*/, 16, v124 :: v_dual_lshlrev_b32 v15 /*v271*/, 8, v122
	s_set_vgpr_msb 0                        ;  msbs: dst=0 src0=0 src1=0 src2=0
	v_perm_b32 v138, v94, v133, 0x504020c
	s_set_vgpr_msb 64                       ;  msbs: dst=1 src0=0 src1=0 src2=0
	v_lshlrev_b32_e32 v74 /*v330*/, 16, v122
	v_perm_b32 v75 /*v331*/, v124, v124, 0xc0c0003
	v_perm_b32 v77 /*v333*/, v122, v122, 0xc0c0003
	s_set_vgpr_msb 4                        ;  msbs: dst=0 src0=0 src1=1 src2=0
	v_dot4_i32_iu8 v182, v112, v44 /*v300*/, v182 neg_lo:[1,1,0]
	s_set_vgpr_msb 0                        ;  msbs: dst=0 src0=0 src1=0 src2=0
	v_lshlrev_b32_e32 v121, 8, v111
	v_cvt_f32_f16_e32 v113, v109
	v_cvt_f32_f16_e32 v112, v110
	v_perm_b32 v122, v111, v111, 0xc0c0003
	v_perm_b32 v109, v120, v111, 0xc0c0700
	s_set_vgpr_msb 4                        ;  msbs: dst=0 src0=0 src1=1 src2=0
	v_perm_b32 v110, v123, v49 /*v305*/, 0x7030c0c
	s_set_vgpr_msb 1                        ;  msbs: dst=0 src0=1 src1=0 src2=0
	v_perm_b32 v111, v11 /*v267*/, v137, 0x7030c0c
	s_set_vgpr_msb 5                        ;  msbs: dst=0 src0=1 src1=1 src2=0
	v_perm_b32 v123, v18 /*v274*/, v41 /*v297*/, 0x7030c0c
	v_perm_b32 v124, v51 /*v307*/, v52 /*v308*/, 0x7030c0c
	s_set_vgpr_msb 1                        ;  msbs: dst=0 src0=1 src1=0 src2=0
	v_dual_lshlrev_b32 v243, 16, v118 :: v_dual_lshlrev_b32 v244, 8, v118
	v_cvt_f32_f16_e64 v83, v12 /*v268*/
	s_set_vgpr_msb 0x44                     ;  msbs: dst=1 src0=0 src1=1 src2=0
	v_lshrrev_b32_e32 v12 /*v268*/, 16, v12 /*v268*/
	s_set_vgpr_msb 64                       ;  msbs: dst=1 src0=0 src1=0 src2=0
	v_perm_b32 v19 /*v275*/, v84, v131, 0x504020c
	v_perm_b32 v29 /*v285*/, v131, v131, 0xc0c0c01
	s_set_vgpr_msb 0                        ;  msbs: dst=0 src0=0 src1=0 src2=0
	v_perm_b32 v81, v129, v129, 0xc0c0601
	v_perm_b32 v156, v133, v133, 0x4030c0c
	;; [unrolled: 1-line block ×3, first 2 shown]
	s_set_vgpr_msb 64                       ;  msbs: dst=1 src0=0 src1=0 src2=0
	v_perm_b32 v54 /*v310*/, v151, v151, 0xc0c0003
	v_perm_b32 v56 /*v312*/, v145, v145, 0xc0c0100
	;; [unrolled: 1-line block ×5, first 2 shown]
	s_set_vgpr_msb 0                        ;  msbs: dst=0 src0=0 src1=0 src2=0
	v_perm_b32 v146, v145, v145, 0xc0c0302
	v_perm_b32 v145, v143, v143, 0x2010003
	;; [unrolled: 1-line block ×6, first 2 shown]
	v_dual_lshlrev_b32 v183, 8, v114 :: v_dual_lshlrev_b32 v177, 16, v114
	v_perm_b32 v149, v128, v128, 0x2010003
	v_perm_b32 v150, v130, v130, 0x2010003
	;; [unrolled: 1-line block ×6, first 2 shown]
	s_wait_dscnt 0x2
	s_set_vgpr_msb 64                       ;  msbs: dst=1 src0=0 src1=0 src2=0
	v_perm_b32 v21 /*v277*/, v98, v133, 0x504020c
	s_set_vgpr_msb 0                        ;  msbs: dst=0 src0=0 src1=0 src2=0
	v_perm_b32 v119, v96, v133, 0x504020c
	v_dot4_i32_iu8 v144, v160, v144, v176 neg_lo:[1,1,0]
	v_perm_b32 v176, v129, v129, 0x6010007
	v_perm_b32 v174, v128, v128, 0xc0c0302
	s_set_vgpr_msb 64                       ;  msbs: dst=1 src0=0 src1=0 src2=0
	v_perm_b32 v48 /*v304*/, v130, v130, 0xc0c0302
	v_bfe_i32 v59 /*v315*/, v129, 0, 8
	v_perm_b32 v70 /*v326*/, v129, v129, 0xc070601
	v_perm_b32 v73 /*v329*/, v118, v118, 0xc0c0003
	;; [unrolled: 1-line block ×3, first 2 shown]
	s_set_vgpr_msb 0                        ;  msbs: dst=0 src0=0 src1=0 src2=0
	v_lshlrev_b32_e32 v114, 16, v87
	v_dot4_i32_iu8 v168, v104, v170, v168 neg_lo:[1,1,0]
	v_lshlrev_b32_e32 v118, 8, v87
	s_set_vgpr_msb 16                       ;  msbs: dst=0 src0=0 src1=0 src2=1
	v_dot4_i32_iu8 v170, v105, v159, v22 /*v278*/ neg_lo:[1,1,0]
	v_dot4_i32_iu8 v159, v104, v159, v24 /*v280*/ neg_lo:[1,1,0]
	s_set_vgpr_msb 0x54                     ;  msbs: dst=1 src0=0 src1=1 src2=1
	v_dot4_i32_iu8 v24 /*v280*/, v104, v44 /*v300*/, v27 /*v283*/ neg_lo:[1,1,0]
	s_set_vgpr_msb 1                        ;  msbs: dst=0 src0=1 src1=0 src2=0
	v_cvt_f32_f16_e64 v104, v9 /*v265*/
	s_set_vgpr_msb 0x45                     ;  msbs: dst=1 src0=1 src1=1 src2=0
	v_or_b32_e32 v9 /*v265*/, v17 /*v273*/, v16 /*v272*/
	s_set_vgpr_msb 64                       ;  msbs: dst=1 src0=0 src1=0 src2=0
	v_dual_lshlrev_b32 v17 /*v273*/, 16, v108 :: v_dual_lshlrev_b32 v18 /*v274*/, 8, v108
	s_set_vgpr_msb 0                        ;  msbs: dst=0 src0=0 src1=0 src2=0
	v_perm_b32 v128, v166, v178, 0x7030c0c
	s_set_vgpr_msb 5                        ;  msbs: dst=0 src0=1 src1=1 src2=0
	v_perm_b32 v129, v62 /*v318*/, v30 /*v286*/, 0x7030c0c
	s_set_vgpr_msb 0                        ;  msbs: dst=0 src0=0 src1=0 src2=0
	v_perm_b32 v130, v121, v120, 0x7030c0c
	v_perm_b32 v120, v108, v121, 0x7030c0c
	s_set_vgpr_msb 0x44                     ;  msbs: dst=1 src0=0 src1=1 src2=0
	v_or_b32_e32 v51 /*v307*/, v138, v65 /*v321*/
	s_set_vgpr_msb 4                        ;  msbs: dst=0 src0=0 src1=1 src2=0
	v_or_b32_e32 v138, v111, v50 /*v306*/
	s_set_vgpr_msb 0                        ;  msbs: dst=0 src0=0 src1=0 src2=0
	v_or_b32_e32 v123, v123, v163
	s_set_vgpr_msb 4                        ;  msbs: dst=0 src0=0 src1=1 src2=0
	v_or_b32_e32 v124, v124, v53 /*v309*/
	s_set_vgpr_msb 1                        ;  msbs: dst=0 src0=1 src1=0 src2=0
	v_cvt_f32_f16_e64 v82, v13 /*v269*/
	s_set_vgpr_msb 0x44                     ;  msbs: dst=1 src0=0 src1=1 src2=0
	v_lshrrev_b32_e32 v13 /*v269*/, 16, v13 /*v269*/
	s_wait_dscnt 0x1
	s_set_vgpr_msb 0                        ;  msbs: dst=0 src0=0 src1=0 src2=0
	v_perm_b32 v115, v102, v133, 0x4020c0c
	s_set_vgpr_msb 0x50                     ;  msbs: dst=1 src0=0 src1=0 src2=1
	v_perm_b32 v43 /*v299*/, v133, v133, 0xc0c0100
	v_perm_b32 v45 /*v301*/, v131, v131, 0x6010007
	v_dot4_i32_iu8 v14 /*v270*/, v160, v142, v14 /*v270*/ neg_lo:[1,1,0]
	v_bfe_i32 v71 /*v327*/, v131, 0, 8
	v_perm_b32 v72 /*v328*/, v131, v131, 0xc070601
	s_set_vgpr_msb 4                        ;  msbs: dst=0 src0=0 src1=1 src2=0
	v_dot4_i32_iu8 v181, v105, v44 /*v300*/, v181 neg_lo:[1,1,0]
	s_set_vgpr_msb 1                        ;  msbs: dst=0 src0=1 src1=0 src2=0
	v_cvt_f32_f16_e64 v105, v10 /*v266*/
	v_cvt_f32_f16_e64 v107, v12 /*v268*/
	s_set_vgpr_msb 0x45                     ;  msbs: dst=1 src0=1 src1=1 src2=0
	v_or_b32_e32 v10 /*v266*/, v19 /*v275*/, v29 /*v285*/
	s_set_vgpr_msb 64                       ;  msbs: dst=1 src0=0 src1=0 src2=0
	v_or_b32_e32 v12 /*v268*/, v156, v162
	s_set_vgpr_msb 0                        ;  msbs: dst=0 src0=0 src1=0 src2=0
	v_perm_b32 v178, v108, v108, 0xc0c0003
	s_set_vgpr_msb 0x41                     ;  msbs: dst=1 src0=1 src1=0 src2=0
	v_perm_b32 v29 /*v285*/, v17 /*v273*/, v108, 0xc0c0700
	s_set_vgpr_msb 0x45                     ;  msbs: dst=1 src0=1 src1=1 src2=0
	v_perm_b32 v41 /*v297*/, v67 /*v323*/, v66 /*v322*/, 0x7030c0c
	s_set_vgpr_msb 0x44                     ;  msbs: dst=1 src0=0 src1=1 src2=0
	v_or_b32_e32 v49 /*v305*/, v141, v65 /*v321*/
	s_set_vgpr_msb 0x45                     ;  msbs: dst=1 src0=1 src1=1 src2=0
	v_or_b32_e32 v21 /*v277*/, v21 /*v277*/, v65 /*v321*/
	s_set_vgpr_msb 0x44                     ;  msbs: dst=1 src0=0 src1=1 src2=0
	v_or_b32_e32 v52 /*v308*/, v119, v65 /*v321*/
	s_set_vgpr_msb 64                       ;  msbs: dst=1 src0=0 src1=0 src2=0
	v_perm_b32 v65 /*v321*/, v118, v114, 0xc0c0703
	v_perm_b32 v66 /*v322*/, v118, v114, 0x7030c0c
	s_set_vgpr_msb 0                        ;  msbs: dst=0 src0=0 src1=0 src2=0
	v_or_b32_e32 v118, v120, v109
	v_or_b32_e32 v131, v110, v157
	s_set_vgpr_msb 4                        ;  msbs: dst=0 src0=0 src1=1 src2=0
	v_or_b32_e32 v128, v128, v54 /*v310*/
	s_set_vgpr_msb 1                        ;  msbs: dst=0 src0=1 src1=0 src2=0
	v_cvt_f32_f16_e64 v108, v6 /*v262*/
	s_set_vgpr_msb 4                        ;  msbs: dst=0 src0=0 src1=1 src2=0
	v_lshrrev_b32_e32 v141, 16, v6 /*v262*/
	s_set_vgpr_msb 0x54                     ;  msbs: dst=1 src0=0 src1=1 src2=1
	v_dot4_i32_iu8 v6 /*v262*/, v135, v56 /*v312*/, v26 /*v282*/ neg_lo:[1,1,0]
	s_set_vgpr_msb 1                        ;  msbs: dst=0 src0=1 src1=0 src2=0
	v_cvt_f32_f16_e64 v111, v7 /*v263*/
	v_cvt_f32_f16_e64 v110, v2 /*v258*/
	s_set_vgpr_msb 4                        ;  msbs: dst=0 src0=0 src1=1 src2=0
	v_dual_lshrrev_b32 v142, 16, v7 /*v263*/ :: v_dual_lshrrev_b32 v156, 16, v2 /*v258*/
	v_or_b32_e32 v129, v129, v63 /*v319*/
	s_set_vgpr_msb 0x44                     ;  msbs: dst=1 src0=0 src1=1 src2=0
	v_dot4_i32_iu8 v2 /*v258*/, v135, v57 /*v313*/, v161 neg_lo:[1,1,0]
	s_set_vgpr_msb 4                        ;  msbs: dst=0 src0=0 src1=1 src2=0
	v_lshrrev_b32_e32 v160, 16, v1 /*v257*/
	s_set_vgpr_msb 1                        ;  msbs: dst=0 src0=1 src1=0 src2=0
	v_cvt_f32_f16_e64 v121, v5 /*v261*/
	s_set_vgpr_msb 4                        ;  msbs: dst=0 src0=0 src1=1 src2=0
	v_lshrrev_b32_e32 v161, 16, v5 /*v261*/
	s_set_vgpr_msb 0x50                     ;  msbs: dst=1 src0=0 src1=0 src2=1
	v_dot4_i32_iu8 v5 /*v261*/, v138, v126, v23 /*v279*/ neg_lo:[1,1,0]
	v_dot4_i32_iu8 v7 /*v263*/, v123, v126, v25 /*v281*/ neg_lo:[1,1,0]
	;; [unrolled: 1-line block ×3, first 2 shown]
	s_set_vgpr_msb 64                       ;  msbs: dst=1 src0=0 src1=0 src2=0
	v_dot4_i32_iu8 v25 /*v281*/, v123, v143, v167 neg_lo:[1,1,0]
	s_set_vgpr_msb 16                       ;  msbs: dst=0 src0=0 src1=0 src2=1
	v_cvt_f32_f16_e64 v123, v255
	v_lshrrev_b32_e32 v167, 16, v255
	v_dot4_i32_iu8 v255, v124, v126, v39 /*v295*/ neg_lo:[1,1,0]
	s_set_vgpr_msb 0x50                     ;  msbs: dst=1 src0=0 src1=0 src2=1
	v_dot4_i32_iu8 v26 /*v282*/, v124, v145, v40 /*v296*/ neg_lo:[1,1,0]
	s_set_vgpr_msb 0                        ;  msbs: dst=0 src0=0 src1=0 src2=0
	v_dot4_i32_iu8 v169, v124, v143, v169 neg_lo:[1,1,0]
	v_cvt_f32_f16_e64 v124, v248
	v_lshrrev_b32_e32 v248, 16, v248
	v_perm_b32 v151, v133, v133, 0xc0c0601
	s_set_vgpr_msb 64                       ;  msbs: dst=1 src0=0 src1=0 src2=0
	v_perm_b32 v46 /*v302*/, v133, v133, 0x6010007
	v_bfe_i32 v55 /*v311*/, v133, 0, 8
	v_perm_b32 v58 /*v314*/, v133, v133, 0xc070601
	v_dual_lshlrev_b32 v27 /*v283*/, 16, v93 :: v_dual_lshlrev_b32 v82 /*v338*/, 8, v95
	s_set_vgpr_msb 1                        ;  msbs: dst=0 src0=1 src1=0 src2=0
	v_cvt_f32_f16_e64 v106, v13 /*v269*/
	s_set_vgpr_msb 64                       ;  msbs: dst=1 src0=0 src1=0 src2=0
	v_lshlrev_b32_e32 v13 /*v269*/, 16, v95
	s_set_vgpr_msb 0x44                     ;  msbs: dst=1 src0=0 src1=1 src2=0
	v_or_b32_e32 v43 /*v299*/, v115, v43 /*v299*/
	s_wait_dscnt 0x0
	s_set_vgpr_msb 0                        ;  msbs: dst=0 src0=0 src1=0 src2=0
	v_dual_lshlrev_b32 v133, 16, v101 :: v_dual_lshlrev_b32 v137, 8, v101
	s_set_vgpr_msb 64                       ;  msbs: dst=1 src0=0 src1=0 src2=0
	v_perm_b32 v53 /*v309*/, v95, v95, 0xc0c0003
	s_set_vgpr_msb 1                        ;  msbs: dst=0 src0=1 src1=0 src2=0
	v_cvt_f32_f16_e64 v109, v8 /*v264*/
	s_set_vgpr_msb 0x54                     ;  msbs: dst=1 src0=0 src1=1 src2=1
	v_dot4_i32_iu8 v8 /*v264*/, v135, v31 /*v287*/, v60 /*v316*/ neg_lo:[1,1,0]
	s_set_vgpr_msb 1                        ;  msbs: dst=0 src0=1 src1=0 src2=0
	v_cvt_f32_f16_e64 v115, v3 /*v259*/
	v_cvt_f32_f16_e64 v114, v1 /*v257*/
	s_set_vgpr_msb 4                        ;  msbs: dst=0 src0=0 src1=1 src2=0
	v_lshrrev_b32_e32 v157, 16, v3 /*v259*/
	s_set_vgpr_msb 0x50                     ;  msbs: dst=1 src0=0 src1=0 src2=1
	v_dot4_i32_iu8 v1 /*v257*/, v118, v127, v32 /*v288*/ neg_lo:[1,1,0]
	v_perm_b32 v3 /*v259*/, v134, v134, 0xc0c0c03
	s_set_vgpr_msb 0                        ;  msbs: dst=0 src0=0 src1=0 src2=0
	v_dot4_i32_iu8 v179, v131, v126, v179 neg_lo:[1,1,0]
	s_set_vgpr_msb 0x50                     ;  msbs: dst=1 src0=0 src1=0 src2=1
	v_dot4_i32_iu8 v31 /*v287*/, v128, v126, v42 /*v298*/ neg_lo:[1,1,0]
	v_dot4_i32_iu8 v32 /*v288*/, v129, v126, v33 /*v289*/ neg_lo:[1,1,0]
	s_set_vgpr_msb 0                        ;  msbs: dst=0 src0=0 src1=0 src2=0
	v_cvt_f32_f16_e64 v126, v250
	v_lshrrev_b32_e32 v250, 16, v250
	v_cvt_f32_f16_e64 v134, v156
	v_cvt_f32_f16_e64 v156, v248
	s_set_vgpr_msb 4                        ;  msbs: dst=0 src0=0 src1=1 src2=0
	v_perm_b32 v95, v95, v69 /*v325*/, 0x407030c
	s_set_vgpr_msb 5                        ;  msbs: dst=0 src0=1 src1=1 src2=0
	v_perm_b32 v248, v34 /*v290*/, v34 /*v290*/, 0xc0c0c03
	s_set_vgpr_msb 64                       ;  msbs: dst=1 src0=0 src1=0 src2=0
	v_perm_b32 v42 /*v298*/, v137, v133, 0x7030c0c
	s_set_vgpr_msb 0                        ;  msbs: dst=0 src0=0 src1=0 src2=0
	v_cvt_f32_f16_e64 v133, v136
	v_cvt_f32_f16_e64 v136, v160
	;; [unrolled: 1-line block ×3, first 2 shown]
	v_or_b32_e32 v95, v95, v248
	s_set_vgpr_msb 4                        ;  msbs: dst=0 src0=0 src1=1 src2=0
	v_perm_b32 v248, v88, v82 /*v338*/, 0x504030c
	s_set_vgpr_msb 5                        ;  msbs: dst=0 src0=1 src1=1 src2=0
	v_perm_b32 v250, v13 /*v269*/, v13 /*v269*/, 0xc0c0c03
	s_set_vgpr_msb 0                        ;  msbs: dst=0 src0=0 src1=0 src2=0
	v_cvt_f32_f16_e32 v119, v116
	v_dual_lshrrev_b32 v163, 16, v116 :: v_dual_bitop2_b32 v130, v130, v122 bitop3:0x54
	v_cvt_f32_f16_e64 v116, v252
	v_lshrrev_b32_e32 v252, 16, v252
	v_cvt_f32_f16_e64 v127, v253
	v_dual_lshrrev_b32 v253, 16, v253 :: v_dual_bitop2_b32 v248, v248, v250 bitop3:0x54
	v_perm_b32 v250, v97, v183, 0x407030c
	v_perm_b32 v183, v183, v177, 0x7030c0c
	;; [unrolled: 1-line block ×3, first 2 shown]
	s_set_vgpr_msb 64                       ;  msbs: dst=1 src0=0 src1=0 src2=0
	v_dual_lshlrev_b32 v22 /*v278*/, 8, v93 :: v_dual_lshlrev_b32 v44 /*v300*/, 8, v99
	v_lshlrev_b32_e32 v62 /*v318*/, 8, v97
	s_set_vgpr_msb 0                        ;  msbs: dst=0 src0=0 src1=0 src2=0
	v_or_b32_e32 v173, v173, v175
	v_lshlrev_b32_e32 v175, 16, v99
	s_set_vgpr_msb 64                       ;  msbs: dst=1 src0=0 src1=0 src2=0
	v_perm_b32 v50 /*v306*/, v87, v87, 0xc0c0003
	s_set_vgpr_msb 0                        ;  msbs: dst=0 src0=0 src1=0 src2=0
	v_lshrrev_b32_e32 v162, 16, v117
	s_set_vgpr_msb 4                        ;  msbs: dst=0 src0=0 src1=1 src2=0
	v_dot4_i32_iu8 v172, v118, v61 /*v317*/, v172 neg_lo:[1,1,0]
	s_set_vgpr_msb 1                        ;  msbs: dst=0 src0=1 src1=0 src2=0
	v_cvt_f32_f16_e64 v118, v4 /*v260*/
	s_set_vgpr_msb 4                        ;  msbs: dst=0 src0=0 src1=1 src2=0
	v_lshrrev_b32_e32 v166, 16, v4 /*v260*/
	s_set_vgpr_msb 0                        ;  msbs: dst=0 src0=0 src1=0 src2=0
	v_dot4_i32_iu8 v180, v131, v145, v180 neg_lo:[1,1,0]
	s_set_vgpr_msb 64                       ;  msbs: dst=1 src0=0 src1=0 src2=0
	v_dot4_i32_iu8 v4 /*v260*/, v131, v143, v125 neg_lo:[1,1,0]
	s_set_vgpr_msb 0                        ;  msbs: dst=0 src0=0 src1=0 src2=0
	v_dot4_i32_iu8 v171, v128, v143, v171 neg_lo:[1,1,0]
	s_set_vgpr_msb 64                       ;  msbs: dst=1 src0=0 src1=0 src2=0
	v_dot4_i32_iu8 v35 /*v291*/, v129, v143, v139 neg_lo:[1,1,0]
	v_dot4_i32_iu8 v39 /*v295*/, v130, v145, v132 neg_lo:[1,1,0]
	s_set_vgpr_msb 0                        ;  msbs: dst=0 src0=0 src1=0 src2=0
	v_cvt_f32_f16_e64 v128, v247
	v_lshrrev_b32_e32 v247, 16, v247
	s_set_vgpr_msb 64                       ;  msbs: dst=1 src0=0 src1=0 src2=0
	v_dot4_i32_iu8 v40 /*v296*/, v130, v143, v140 neg_lo:[1,1,0]
	s_set_vgpr_msb 0                        ;  msbs: dst=0 src0=0 src1=0 src2=0
	v_cvt_f32_f16_e64 v131, v246
	v_cvt_f32_f16_e64 v130, v245
	v_dual_lshrrev_b32 v246, 16, v246 :: v_dual_lshrrev_b32 v245, 16, v245
	v_cvt_f32_f16_e64 v143, v161
	v_cvt_f32_f16_e64 v140, v252
	;; [unrolled: 1-line block ×3, first 2 shown]
	v_perm_b32 v87, v87, v91, 0x407030c
	v_perm_b32 v91, v91, v85, 0x7030c0c
	;; [unrolled: 1-line block ×3, first 2 shown]
	v_or_b32_e32 v177, v250, v177
	s_set_vgpr_msb 4                        ;  msbs: dst=0 src0=0 src1=1 src2=0
	v_perm_b32 v250, v99, v15 /*v271*/, 0x407030c
	s_set_vgpr_msb 5                        ;  msbs: dst=0 src0=1 src1=1 src2=0
	v_perm_b32 v252, v74 /*v330*/, v74 /*v330*/, 0xc0c0c03
	s_set_vgpr_msb 4                        ;  msbs: dst=0 src0=0 src1=1 src2=0
	v_perm_b32 v253, v103, v18 /*v274*/, 0x7030c0c
	s_set_vgpr_msb 64                       ;  msbs: dst=1 src0=0 src1=0 src2=0
	v_dual_lshlrev_b32 v19 /*v275*/, 8, v103 :: v_dual_lshlrev_b32 v30 /*v286*/, 16, v103
	s_set_vgpr_msb 0                        ;  msbs: dst=0 src0=0 src1=0 src2=0
	v_cvt_f32_f16_e64 v122, v254
	v_lshrrev_b32_e32 v254, 16, v254
	v_cvt_f32_f16_e64 v125, v251
	v_lshrrev_b32_e32 v251, 16, v251
	s_set_vgpr_msb 0x50                     ;  msbs: dst=1 src0=0 src1=0 src2=1
	v_dot4_i32_iu8 v14 /*v270*/, v129, v145, v14 /*v270*/ neg_lo:[1,1,0]
	s_set_vgpr_msb 0                        ;  msbs: dst=0 src0=0 src1=0 src2=0
	v_cvt_f32_f16_e64 v135, v142
	v_cvt_f32_f16_e64 v142, v162
	;; [unrolled: 1-line block ×5, first 2 shown]
	v_or_b32_e32 v85, v87, v85
	s_set_vgpr_msb 5                        ;  msbs: dst=0 src0=1 src1=1 src2=0
	v_perm_b32 v87, v27 /*v283*/, v27 /*v283*/, 0xc0c0c03
	v_perm_b32 v246, v22 /*v278*/, v27 /*v283*/, 0x7030c0c
	s_set_vgpr_msb 4                        ;  msbs: dst=0 src0=0 src1=1 src2=0
	v_perm_b32 v247, v88, v22 /*v278*/, 0x504030c
	s_set_vgpr_msb 0                        ;  msbs: dst=0 src0=0 src1=0 src2=0
	v_or_b32_e32 v250, v250, v252
	s_set_vgpr_msb 5                        ;  msbs: dst=0 src0=1 src1=1 src2=0
	v_perm_b32 v252, v18 /*v274*/, v17 /*v273*/, 0x7030c0c
	s_set_vgpr_msb 4                        ;  msbs: dst=0 src0=0 src1=1 src2=0
	v_or_b32_e32 v253, v253, v29 /*v285*/
	v_cvt_f32_f16_e64 v138, v166
	v_cvt_f32_f16_e64 v166, v245
	v_perm_b32 v245, v92, v22 /*v278*/, 0x504030c
	s_set_vgpr_msb 0x44                     ;  msbs: dst=1 src0=0 src1=1 src2=0
	v_perm_b32 v18 /*v274*/, v88, v44 /*v300*/, 0x504030c
	s_set_vgpr_msb 0x41                     ;  msbs: dst=1 src0=1 src1=0 src2=0
	v_perm_b32 v22 /*v278*/, v44 /*v300*/, v175, 0x7030c0c
	s_set_vgpr_msb 0                        ;  msbs: dst=0 src0=0 src1=0 src2=0
	v_perm_b32 v175, v175, v175, 0xc0c0c03
	s_set_vgpr_msb 0x44                     ;  msbs: dst=1 src0=0 src1=1 src2=0
	v_dot4_i32_iu8 v33 /*v289*/, v129, v64 /*v320*/, v144 neg_lo:[1,1,0]
	s_set_vgpr_msb 0                        ;  msbs: dst=0 src0=0 src1=0 src2=0
	v_cvt_f32_f16_e64 v137, v157
	s_set_vgpr_msb 64                       ;  msbs: dst=1 src0=0 src1=0 src2=0
	v_perm_b32 v54 /*v310*/, v93, v244, 0x407030c
	s_set_vgpr_msb 0                        ;  msbs: dst=0 src0=0 src1=0 src2=0
	v_perm_b32 v244, v244, v243, 0x7030c0c
	v_perm_b32 v243, v243, v243, 0xc0c0c03
	v_cvt_f32_f16_e64 v144, v254
	v_cvt_f32_f16_e64 v157, v251
	v_or_b32_e32 v245, v245, v87
	v_or_b32_e32 v87, v247, v87
	s_set_vgpr_msb 5                        ;  msbs: dst=0 src0=1 src1=1 src2=0
	v_perm_b32 v247, v69 /*v325*/, v34 /*v290*/, 0x7030c0c
	v_perm_b32 v251, v15 /*v271*/, v74 /*v330*/, 0x7030c0c
	s_set_vgpr_msb 0                        ;  msbs: dst=0 src0=0 src1=0 src2=0
	v_perm_b32 v254, v103, v103, 0xc0c0003
	s_set_vgpr_msb 1                        ;  msbs: dst=0 src0=1 src1=0 src2=0
	v_or_b32_e32 v175, v18 /*v274*/, v175
	s_set_vgpr_msb 0x44                     ;  msbs: dst=1 src0=0 src1=1 src2=0
	v_perm_b32 v18 /*v274*/, v102, v19 /*v275*/, 0x4030c0c
	s_set_vgpr_msb 1                        ;  msbs: dst=0 src0=1 src1=0 src2=0
	v_perm_b32 v103, v30 /*v286*/, v103, 0xc0c0700
	s_set_vgpr_msb 64                       ;  msbs: dst=1 src0=0 src1=0 src2=0
	v_lshlrev_b32_e32 v67 /*v323*/, 16, v97
	s_set_vgpr_msb 0                        ;  msbs: dst=0 src0=0 src1=0 src2=0
	v_perm_b32 v101, v101, v101, 0xc0c0003
	v_cvt_f32_f16_e64 v129, v249
	s_set_vgpr_msb 1                        ;  msbs: dst=0 src0=1 src1=0 src2=0
	v_dual_lshrrev_b32 v249, 16, v249 :: v_dual_bitop2_b32 v243, v54 /*v310*/, v243 bitop3:0x54
	s_set_vgpr_msb 0                        ;  msbs: dst=0 src0=0 src1=0 src2=0
	v_perm_b32 v93, v93, v93, 0xc0c0003
	s_set_vgpr_msb 4                        ;  msbs: dst=0 src0=0 src1=1 src2=0
	v_or_b32_e32 v247, v247, v75 /*v331*/
	v_or_b32_e32 v244, v244, v73 /*v329*/
	;; [unrolled: 1-line block ×4, first 2 shown]
	s_set_vgpr_msb 0x45                     ;  msbs: dst=1 src0=1 src1=1 src2=0
	v_or_b32_e32 v17 /*v273*/, v41 /*v297*/, v68 /*v324*/
	s_set_vgpr_msb 0                        ;  msbs: dst=0 src0=0 src1=0 src2=0
	v_or_b32_e32 v178, v252, v178
	s_set_vgpr_msb 4                        ;  msbs: dst=0 src0=0 src1=1 src2=0
	v_perm_b32 v252, v88, v62 /*v318*/, 0x504030c
	s_set_vgpr_msb 0x41                     ;  msbs: dst=1 src0=1 src1=0 src2=0
	v_or_b32_e32 v18 /*v274*/, v18 /*v274*/, v103
	s_set_vgpr_msb 0x45                     ;  msbs: dst=1 src0=1 src1=1 src2=0
	v_perm_b32 v29 /*v285*/, v67 /*v323*/, v67 /*v323*/, 0xc0c0c03
	s_set_vgpr_msb 0                        ;  msbs: dst=0 src0=0 src1=0 src2=0
	v_cvt_f32_f16_e32 v120, v117
	s_set_vgpr_msb 1                        ;  msbs: dst=0 src0=1 src1=0 src2=0
	v_cvt_f32_f16_e64 v117, v0 /*v256*/
	s_set_vgpr_msb 0x44                     ;  msbs: dst=1 src0=0 src1=1 src2=0
	v_lshrrev_b32_e32 v0 /*v256*/, 16, v0 /*v256*/
	s_set_vgpr_msb 0                        ;  msbs: dst=0 src0=0 src1=0 src2=0
	v_cvt_f32_f16_e64 v139, v163
	v_cvt_f32_f16_e64 v163, v249
	s_set_vgpr_msb 5                        ;  msbs: dst=0 src0=1 src1=1 src2=0
	v_perm_b32 v249, v82 /*v338*/, v13 /*v269*/, 0x7030c0c
	s_set_vgpr_msb 0                        ;  msbs: dst=0 src0=0 src1=0 src2=0
	v_perm_b32 v97, v97, v97, 0xc0c0003
	v_perm_b32 v99, v99, v99, 0xc0c0003
	s_set_vgpr_msb 4                        ;  msbs: dst=0 src0=0 src1=1 src2=0
	v_or_b32_e32 v183, v183, v76 /*v332*/
	s_set_vgpr_msb 0x45                     ;  msbs: dst=1 src0=1 src1=1 src2=0
	v_perm_b32 v27 /*v283*/, v62 /*v318*/, v67 /*v323*/, 0x7030c0c
	s_set_vgpr_msb 4                        ;  msbs: dst=0 src0=0 src1=1 src2=0
	v_or_b32_e32 v252, v252, v29 /*v285*/
	s_set_vgpr_msb 0x45                     ;  msbs: dst=1 src0=1 src1=1 src2=0
	v_perm_b32 v29 /*v285*/, v19 /*v275*/, v30 /*v286*/, 0x7030c0c
	s_set_vgpr_msb 0x44                     ;  msbs: dst=1 src0=0 src1=1 src2=0
	v_perm_b32 v19 /*v275*/, v88, v19 /*v275*/, 0x4030c0c
	s_set_vgpr_msb 1                        ;  msbs: dst=0 src0=1 src1=0 src2=0
	v_or_b32_e32 v101, v42 /*v298*/, v101
	s_set_vgpr_msb 0                        ;  msbs: dst=0 src0=0 src1=0 src2=0
	v_or_b32_e32 v93, v246, v93
	s_set_vgpr_msb 4                        ;  msbs: dst=0 src0=0 src1=1 src2=0
	v_dot4_i32_iu8 v168, v243, v9 /*v265*/, v168 neg_lo:[1,1,0]
	v_dot4_i32_iu8 v170, v85, v37 /*v293*/, v170 neg_lo:[1,1,0]
	s_set_vgpr_msb 0x54                     ;  msbs: dst=1 src0=0 src1=1 src2=1
	v_dot4_i32_iu8 v9 /*v265*/, v243, v12 /*v268*/, v24 /*v280*/ neg_lo:[1,1,0]
	s_set_vgpr_msb 20                       ;  msbs: dst=0 src0=0 src1=1 src2=1
	v_dot4_i32_iu8 v95, v95, v12 /*v268*/, v78 /*v334*/ neg_lo:[1,1,0]
	s_set_vgpr_msb 4                        ;  msbs: dst=0 src0=0 src1=1 src2=0
	v_dot4_i32_iu8 v159, v243, v37 /*v293*/, v159 neg_lo:[1,1,0]
	s_set_vgpr_msb 16                       ;  msbs: dst=0 src0=0 src1=0 src2=1
	v_dot4_i32_iu8 v242, v158, v242, v28 /*v284*/ neg_lo:[1,1,0]
	v_dot4_i32_iu8 v146, v158, v146, v6 /*v262*/ neg_lo:[1,1,0]
	;; [unrolled: 1-line block ×4, first 2 shown]
	s_set_vgpr_msb 4                        ;  msbs: dst=0 src0=0 src1=1 src2=0
	v_dot4_i32_iu8 v85, v85, v12 /*v268*/, v181 neg_lo:[1,1,0]
	s_set_vgpr_msb 20                       ;  msbs: dst=0 src0=0 src1=1 src2=1
	v_dot4_i32_iu8 v158, v177, v12 /*v268*/, v80 /*v336*/ neg_lo:[1,1,0]
	s_set_vgpr_msb 4                        ;  msbs: dst=0 src0=0 src1=1 src2=0
	v_dot4_i32_iu8 v177, v250, v12 /*v268*/, v182 neg_lo:[1,1,0]
	s_set_vgpr_msb 16                       ;  msbs: dst=0 src0=0 src1=0 src2=1
	v_dot4_i32_iu8 v181, v253, v241, v1 /*v257*/ neg_lo:[1,1,0]
	s_set_vgpr_msb 0                        ;  msbs: dst=0 src0=0 src1=0 src2=0
	v_dot4_i32_iu8 v179, v247, v240, v179 neg_lo:[1,1,0]
	v_dot4_i32_iu8 v180, v247, v149, v180 neg_lo:[1,1,0]
	s_set_vgpr_msb 16                       ;  msbs: dst=0 src0=0 src1=0 src2=1
	v_dot4_i32_iu8 v182, v247, v150, v4 /*v260*/ neg_lo:[1,1,0]
	v_dot4_i32_iu8 v241, v244, v240, v5 /*v261*/ neg_lo:[1,1,0]
	s_set_vgpr_msb 0                        ;  msbs: dst=0 src0=0 src1=0 src2=0
	v_dot4_i32_iu8 v247, v251, v240, v255 neg_lo:[1,1,0]
	s_set_vgpr_msb 16                       ;  msbs: dst=0 src0=0 src1=0 src2=1
	v_dot4_i32_iu8 v250, v251, v149, v26 /*v282*/ neg_lo:[1,1,0]
	s_set_vgpr_msb 0                        ;  msbs: dst=0 src0=0 src1=0 src2=0
	v_dot4_i32_iu8 v169, v251, v150, v169 neg_lo:[1,1,0]
	s_set_vgpr_msb 16                       ;  msbs: dst=0 src0=0 src1=0 src2=1
	;; [unrolled: 4-line block ×3, first 2 shown]
	v_dot4_i32_iu8 v171, v17 /*v273*/, v240, v32 /*v288*/ neg_lo:[1,1,0]
	s_set_vgpr_msb 0                        ;  msbs: dst=0 src0=0 src1=0 src2=0
	v_perm_b32 v237, v80, v80, 0xc0c0100
	s_set_vgpr_msb 64                       ;  msbs: dst=1 src0=0 src1=0 src2=0
	v_perm_b32 v79 /*v335*/, v84, v84, 0xc0c0302
	v_perm_b32 v81 /*v337*/, v92, v92, 0xc0c0302
	;; [unrolled: 1-line block ×4, first 2 shown]
	s_set_vgpr_msb 0                        ;  msbs: dst=0 src0=0 src1=0 src2=0
	v_cvt_f32_f16_e64 v132, v141
	s_set_vgpr_msb 1                        ;  msbs: dst=0 src0=1 src1=0 src2=0
	v_cvt_f32_f16_e64 v141, v0 /*v256*/
	s_set_vgpr_msb 64                       ;  msbs: dst=1 src0=0 src1=0 src2=0
	v_perm_b32 v0 /*v256*/, v100, v100, 0xc0c0100
	s_set_vgpr_msb 1                        ;  msbs: dst=0 src0=1 src1=0 src2=0
	v_or_b32_e32 v103, v19 /*v275*/, v103
	s_set_vgpr_msb 0x45                     ;  msbs: dst=1 src0=1 src1=1 src2=0
	v_or_b32_e32 v30 /*v286*/, v66 /*v322*/, v50 /*v306*/
	s_set_vgpr_msb 4                        ;  msbs: dst=0 src0=0 src1=1 src2=0
	v_or_b32_e32 v249, v249, v53 /*v309*/
	s_set_vgpr_msb 1                        ;  msbs: dst=0 src0=1 src1=0 src2=0
	v_or_b32_e32 v97, v27 /*v283*/, v97
	v_or_b32_e32 v99, v22 /*v278*/, v99
	;; [unrolled: 1-line block ×3, first 2 shown]
	s_set_vgpr_msb 4                        ;  msbs: dst=0 src0=0 src1=1 src2=0
	v_dot4_i32_iu8 v172, v253, v20 /*v276*/, v172 neg_lo:[1,1,0]
	s_set_vgpr_msb 16                       ;  msbs: dst=0 src0=0 src1=0 src2=1
	v_dot4_i32_iu8 v243, v183, v240, v7 /*v263*/ neg_lo:[1,1,0]
	v_dot4_i32_iu8 v244, v183, v149, v23 /*v279*/ neg_lo:[1,1,0]
	;; [unrolled: 1-line block ×3, first 2 shown]
	s_set_vgpr_msb 17                       ;  msbs: dst=0 src0=1 src1=0 src2=1
	v_dot4_i32_iu8 v155, v17 /*v273*/, v155, v33 /*v289*/ neg_lo:[1,1,0]
	v_dot4_i32_iu8 v240, v17 /*v273*/, v149, v14 /*v270*/ neg_lo:[1,1,0]
	v_dot4_i32_iu8 v253, v17 /*v273*/, v150, v35 /*v291*/ neg_lo:[1,1,0]
	s_set_vgpr_msb 16                       ;  msbs: dst=0 src0=0 src1=0 src2=1
	v_dot4_i32_iu8 v149, v178, v149, v39 /*v295*/ neg_lo:[1,1,0]
	v_dot4_i32_iu8 v150, v178, v150, v40 /*v296*/ neg_lo:[1,1,0]
	s_set_vgpr_msb 1                        ;  msbs: dst=0 src0=1 src1=0 src2=0
	v_dot4_i32_iu8 v81, v65 /*v321*/, v81, v170 neg_lo:[1,1,0]
	s_set_vgpr_msb 4                        ;  msbs: dst=0 src0=0 src1=1 src2=0
	v_dot4_i32_iu8 v168, v245, v10 /*v266*/, v168 neg_lo:[1,1,0]
	s_set_vgpr_msb 20                       ;  msbs: dst=0 src0=0 src1=1 src2=1
	v_dot4_i32_iu8 v87, v87, v49 /*v305*/, v9 /*v265*/ neg_lo:[1,1,0]
	s_set_vgpr_msb 4                        ;  msbs: dst=0 src0=0 src1=1 src2=0
	v_dot4_i32_iu8 v95, v248, v51 /*v307*/, v95 neg_lo:[1,1,0]
	s_set_vgpr_msb 1                        ;  msbs: dst=0 src0=1 src1=0 src2=0
	v_dot4_i32_iu8 v85, v65 /*v321*/, v151, v85 neg_lo:[1,1,0]
	s_set_vgpr_msb 0                        ;  msbs: dst=0 src0=0 src1=0 src2=0
	v_dot4_i32_iu8 v151, v165, v239, v242 neg_lo:[1,1,0]
	v_dot4_i32_iu8 v146, v165, v152, v146 neg_lo:[1,1,0]
	;; [unrolled: 1-line block ×7, first 2 shown]
	v_perm_b32 v233, v80, v80, 0xc0c0302
	v_perm_b32 v235, v80, v80, 0xc030201
	s_set_vgpr_msb 64                       ;  msbs: dst=1 src0=0 src1=0 src2=0
	v_perm_b32 v13 /*v269*/, v86, v86, 0xc0c0100
	v_perm_b32 v15 /*v271*/, v88, v88, 0xc0c0100
	;; [unrolled: 1-line block ×5, first 2 shown]
	s_set_vgpr_msb 0                        ;  msbs: dst=0 src0=0 src1=0 src2=0
	v_perm_b32 v246, v98, v98, 0xc0c0302
	s_set_vgpr_msb 64                       ;  msbs: dst=1 src0=0 src1=0 src2=0
	v_perm_b32 v27 /*v283*/, v100, v100, 0xc0c0302
	v_perm_b32 v22 /*v278*/, v88, v88, 0xc030201
	s_set_vgpr_msb 1                        ;  msbs: dst=0 src0=1 src1=0 src2=0
	v_dot4_i32_iu8 v89, v18 /*v274*/, v89, v181 neg_lo:[1,1,0]
	s_set_vgpr_msb 4                        ;  msbs: dst=0 src0=0 src1=1 src2=0
	v_dot4_i32_iu8 v153, v175, v21 /*v277*/, v177 neg_lo:[1,1,0]
	v_dot4_i32_iu8 v154, v252, v52 /*v308*/, v158 neg_lo:[1,1,0]
	;; [unrolled: 1-line block ×3, first 2 shown]
	s_set_vgpr_msb 1                        ;  msbs: dst=0 src0=1 src1=0 src2=0
	v_dot4_i32_iu8 v158, v30 /*v286*/, v238, v251 neg_lo:[1,1,0]
	s_set_vgpr_msb 5                        ;  msbs: dst=0 src0=1 src1=1 src2=0
	v_dot4_i32_iu8 v91, v30 /*v286*/, v45 /*v301*/, v91 neg_lo:[1,1,0]
	s_set_vgpr_msb 4                        ;  msbs: dst=0 src0=0 src1=1 src2=0
	v_dot4_i32_iu8 v155, v101, v46 /*v302*/, v155 neg_lo:[1,1,0]
	s_set_vgpr_msb 0                        ;  msbs: dst=0 src0=0 src1=0 src2=0
	v_dot4_i32_iu8 v165, v101, v176, v240 neg_lo:[1,1,0]
	s_set_vgpr_msb 4                        ;  msbs: dst=0 src0=0 src1=1 src2=0
	v_dot4_i32_iu8 v101, v101, v45 /*v301*/, v253 neg_lo:[1,1,0]
	s_set_vgpr_msb 0                        ;  msbs: dst=0 src0=0 src1=0 src2=0
	v_dot4_i32_iu8 v170, v249, v238, v179 neg_lo:[1,1,0]
	v_dot4_i32_iu8 v171, v249, v176, v180 neg_lo:[1,1,0]
	s_set_vgpr_msb 4                        ;  msbs: dst=0 src0=0 src1=1 src2=0
	v_dot4_i32_iu8 v172, v249, v45 /*v301*/, v182 neg_lo:[1,1,0]
	s_set_vgpr_msb 0                        ;  msbs: dst=0 src0=0 src1=0 src2=0
	v_dot4_i32_iu8 v173, v97, v238, v243 neg_lo:[1,1,0]
	v_dot4_i32_iu8 v175, v99, v238, v247 neg_lo:[1,1,0]
	v_dot4_i32_iu8 v177, v99, v176, v250 neg_lo:[1,1,0]
	s_set_vgpr_msb 4                        ;  msbs: dst=0 src0=0 src1=1 src2=0
	v_dot4_i32_iu8 v99, v99, v45 /*v301*/, v169 neg_lo:[1,1,0]
	s_set_vgpr_msb 0                        ;  msbs: dst=0 src0=0 src1=0 src2=0
	v_dot4_i32_iu8 v169, v97, v176, v244 neg_lo:[1,1,0]
	s_set_vgpr_msb 4                        ;  msbs: dst=0 src0=0 src1=1 src2=0
	v_dot4_i32_iu8 v97, v97, v45 /*v301*/, v183 neg_lo:[1,1,0]
	s_set_vgpr_msb 0                        ;  msbs: dst=0 src0=0 src1=0 src2=0
	v_dot4_i32_iu8 v149, v254, v176, v149 neg_lo:[1,1,0]
	s_set_vgpr_msb 4                        ;  msbs: dst=0 src0=0 src1=1 src2=0
	v_dot4_i32_iu8 v150, v254, v45 /*v301*/, v150 neg_lo:[1,1,0]
	s_set_vgpr_msb 5                        ;  msbs: dst=0 src0=1 src1=1 src2=0
	v_dot4_i32_iu8 v168, v81 /*v337*/, v79 /*v335*/, v168 neg_lo:[1,1,0]
	s_set_vgpr_msb 0                        ;  msbs: dst=0 src0=0 src1=0 src2=0
	v_dot4_i32_iu8 v176, v86, v90, v81 neg_lo:[1,1,0]
	s_set_vgpr_msb 5                        ;  msbs: dst=0 src0=1 src1=1 src2=0
	v_dot4_i32_iu8 v95, v16 /*v272*/, v11 /*v267*/, v95 neg_lo:[1,1,0]
	v_dot4_i32_iu8 v87, v16 /*v272*/, v81 /*v337*/, v87 neg_lo:[1,1,0]
	s_set_vgpr_msb 4                        ;  msbs: dst=0 src0=0 src1=1 src2=0
	v_dot4_i32_iu8 v159, v237, v0 /*v256*/, v159 neg_lo:[1,1,0]
	s_set_vgpr_msb 0                        ;  msbs: dst=0 src0=0 src1=0 src2=0
	v_dot4_i32_iu8 v92, v92, v80, v93 neg_lo:[1,1,0]
	v_dot4_i32_iu8 v93, v164, v236, v151 neg_lo:[1,1,0]
	s_set_vgpr_msb 4                        ;  msbs: dst=0 src0=0 src1=1 src2=0
	v_dot4_i32_iu8 v146, v164, v47 /*v303*/, v146 neg_lo:[1,1,0]
	s_set_vgpr_msb 0                        ;  msbs: dst=0 src0=0 src1=0 src2=0
	v_dot4_i32_iu8 v147, v164, v174, v147 neg_lo:[1,1,0]
	s_set_vgpr_msb 4                        ;  msbs: dst=0 src0=0 src1=1 src2=0
	v_dot4_i32_iu8 v148, v164, v48 /*v304*/, v148 neg_lo:[1,1,0]
	s_set_vgpr_msb 0x45                     ;  msbs: dst=1 src0=1 src1=1 src2=0
	v_or_b32_e32 v3 /*v259*/, v36 /*v292*/, v3 /*v259*/
	s_set_vgpr_msb 64                       ;  msbs: dst=1 src0=0 src1=0 src2=0
	v_perm_b32 v36 /*v292*/, v86, v86, 0xc0c0302
	s_set_vgpr_msb 0                        ;  msbs: dst=0 src0=0 src1=0 src2=0
	v_dot4_i32_iu8 v151, v94, v80, v170 neg_lo:[1,1,0]
	v_dot4_i32_iu8 v164, v94, v90, v171 neg_lo:[1,1,0]
	;; [unrolled: 1-line block ×3, first 2 shown]
	s_set_vgpr_msb 5                        ;  msbs: dst=0 src0=1 src1=1 src2=0
	v_dot4_i32_iu8 v170, v13 /*v269*/, v15 /*v271*/, v85 neg_lo:[1,1,0]
	v_dot4_i32_iu8 v152, v81 /*v337*/, v19 /*v275*/, v152 neg_lo:[1,1,0]
	s_set_vgpr_msb 0                        ;  msbs: dst=0 src0=0 src1=0 src2=0
	v_dot4_i32_iu8 v169, v90, v96, v169 neg_lo:[1,1,0]
	v_dot4_i32_iu8 v171, v90, v98, v177 neg_lo:[1,1,0]
	;; [unrolled: 1-line block ×13, first 2 shown]
	s_set_vgpr_msb 4                        ;  msbs: dst=0 src0=0 src1=1 src2=0
	v_dot4_i32_iu8 v89, v235, v34 /*v290*/, v89 neg_lo:[1,1,0]
	s_set_vgpr_msb 5                        ;  msbs: dst=0 src0=1 src1=1 src2=0
	v_dot4_i32_iu8 v100, v34 /*v290*/, v22 /*v278*/, v103 neg_lo:[1,1,0]
	v_dot4_i32_iu8 v98, v16 /*v272*/, v38 /*v294*/, v154 neg_lo:[1,1,0]
	s_set_vgpr_msb 1                        ;  msbs: dst=0 src0=1 src1=0 src2=0
	v_dot4_i32_iu8 v99, v16 /*v272*/, v246, v153 neg_lo:[1,1,0]
	s_set_vgpr_msb 4                        ;  msbs: dst=0 src0=0 src1=1 src2=0
	v_cvt_f32_i32_e32 v81, v168
	v_cvt_f32_i32_e32 v80, v176
	;; [unrolled: 1-line block ×4, first 2 shown]
	v_dot4_i32_iu8 v153, v233, v27 /*v283*/, v159 neg_lo:[1,1,0]
	v_mad_i32_i24 v154, v226, v55 /*v311*/, v146
	s_set_vgpr_msb 0                        ;  msbs: dst=0 src0=0 src1=0 src2=0
	v_mad_i32_i24 v155, v226, v234, v93
	s_set_vgpr_msb 4                        ;  msbs: dst=0 src0=0 src1=1 src2=0
	v_mad_i32_i24 v159, v226, v59 /*v315*/, v147
	v_mad_i32_i24 v148, v226, v71 /*v327*/, v148
	v_cvt_f32_i32_e32 v92, v92
	s_set_vgpr_msb 5                        ;  msbs: dst=0 src0=1 src1=1 src2=0
	v_dot4_i32_iu8 v168, v36 /*v292*/, v16 /*v272*/, v170 neg_lo:[1,1,0]
	s_set_vgpr_msb 0                        ;  msbs: dst=0 src0=0 src1=0 src2=0
	v_cvt_f32_i32_e32 v87, v89
	v_cvt_f32_i32_e32 v89, v151
	;; [unrolled: 1-line block ×11, first 2 shown]
	v_pk_fma_f32 v[80:81], v[82:83], v[80:81], v[106:107]
	v_pk_fma_f32 v[82:83], v[104:105], v[84:85], v[112:113]
	s_set_vgpr_msb 5                        ;  msbs: dst=0 src0=1 src1=1 src2=0
	v_dot4_i32_iu8 v90, v3 /*v259*/, v58 /*v314*/, v154 neg_lo:[1,1,0]
	s_set_vgpr_msb 1                        ;  msbs: dst=0 src0=1 src1=0 src2=0
	v_dot4_i32_iu8 v150, v3 /*v259*/, v225, v155 neg_lo:[1,1,0]
	s_set_vgpr_msb 5                        ;  msbs: dst=0 src0=1 src1=1 src2=0
	v_dot4_i32_iu8 v152, v3 /*v259*/, v70 /*v326*/, v159 neg_lo:[1,1,0]
	v_dot4_i32_iu8 v154, v3 /*v259*/, v72 /*v328*/, v148 neg_lo:[1,1,0]
	s_set_vgpr_msb 0                        ;  msbs: dst=0 src0=0 src1=0 src2=0
	v_fma_mix_f32 v84, v227, v92, v227 op_sel:[0,0,1] op_sel_hi:[1,0,1]
	v_cvt_f32_i32_e32 v92, v153
	v_cvt_f32_i32_e32 v91, v164
	;; [unrolled: 1-line block ×11, first 2 shown]
	v_fma_mix_f32 v85, v230, v151, v230 op_sel:[0,0,1] op_sel_hi:[1,0,1]
	v_fma_mix_f32 v107, v232, v86, v232 op_sel:[0,0,1] op_sel_hi:[1,0,1]
	v_cvt_f32_i32_e32 v148, v168
	v_fma_mix_f32 v104, v228, v88, v228 op_sel:[0,0,1] op_sel_hi:[1,0,1]
	v_fma_mix_f32 v106, v229, v92, v229 op_sel:[0,0,1] op_sel_hi:[1,0,1]
	v_cvt_f32_i32_e32 v86, v90
	v_cvt_f32_i32_e32 v88, v150
	;; [unrolled: 1-line block ×4, first 2 shown]
	v_fma_mix_f32 v105, v231, v158, v231 op_sel:[0,0,1] op_sel_hi:[1,0,1]
	v_pk_fma_f32 v[94:95], v[122:123], v[94:95], v[144:145]
	v_pk_fma_f32 v[96:97], v[124:125], v[96:97], v[156:157]
	;; [unrolled: 1-line block ×7, first 2 shown]
	v_pk_add_f32 v[10:11], v[10:11], v[80:81]
	v_pk_add_f32 v[30:31], v[30:31], v[82:83]
	;; [unrolled: 1-line block ×3, first 2 shown]
	v_pk_fma_f32 v[80:81], v[116:117], v[86:87], v[140:141]
	v_pk_fma_f32 v[82:83], v[108:109], v[88:89], v[132:133]
	;; [unrolled: 1-line block ×4, first 2 shown]
	v_dual_add_nc_u32 v224, 4, v224 :: v_dual_add_nc_u32 v223, 4, v223
	v_dual_add_nc_u32 v222, 4, v222 :: v_dual_add_nc_u32 v221, 4, v221
	;; [unrolled: 1-line block ×3, first 2 shown]
	v_pk_add_f32 v[14:15], v[14:15], v[104:105]
	v_pk_add_f32 v[18:19], v[18:19], v[94:95]
	;; [unrolled: 1-line block ×13, first 2 shown]
	s_add_co_i32 s12, s12, 4
	s_delay_alu instid0(SALU_CYCLE_1)
	s_cmp_lt_u32 s12, 12
	s_cbranch_scc1 .LBB163_9
; %bb.10:                               ;   in Loop: Header=BB163_7 Depth=1
	s_and_b32 s12, s15, -4
	s_delay_alu instid0(SALU_CYCLE_1)
	s_cmp_eq_u32 s12, 4
	s_barrier_signal -1
	s_barrier_wait -1
	s_cbranch_scc1 .LBB163_6
; %bb.11:                               ;   in Loop: Header=BB163_7 Depth=1
	v_dual_add_nc_u32 v80, s10, v191 :: v_dual_add_nc_u32 v96, 4, v217
	v_dual_mov_b32 v110, v215 :: v_dual_mov_b32 v111, v208
	v_dual_mov_b32 v112, v216 :: v_dual_mov_b32 v113, v212
	s_delay_alu instid0(VALU_DEP_3) | instskip(SKIP_3) | instid1(VALU_DEP_4)
	v_dual_add_nc_u32 v86, v80, v185 :: v_dual_add_nc_u32 v81, v80, v190
	v_dual_add_nc_u32 v82, v80, v79 :: v_dual_add_nc_u32 v84, v80, v184
	;; [unrolled: 1-line block ×4, first 2 shown]
	v_mad_nc_i64_i32 v[80:81], v81, 36, v[52:53]
	s_delay_alu instid0(VALU_DEP_4)
	v_mad_nc_i64_i32 v[82:83], v82, 36, v[52:53]
	v_mad_nc_i64_i32 v[84:85], v84, 36, v[52:53]
	;; [unrolled: 1-line block ×7, first 2 shown]
	v_mad_nc_u64_u32 v[96:97], v96, 36, s[2:3]
	s_clause 0x8
	global_load_b32 v98, v[80:81], off offset:4
	global_load_b32 v99, v[82:83], off offset:4
	;; [unrolled: 1-line block ×8, first 2 shown]
	global_load_b32 v106, v[96:97], off
	v_dual_mov_b32 v114, v211 :: v_dual_mov_b32 v115, v210
	v_mov_b32_e32 v116, v209
	s_mov_b32 s12, 12
	s_wait_loadcnt 0x8
	ds_store_b32 v206, v98
	s_wait_loadcnt 0x7
	ds_store_b32 v207, v99
	;; [unrolled: 2-line block ×9, first 2 shown]
	s_wait_dscnt 0x0
	s_barrier_signal -1
	s_barrier_wait -1
.LBB163_12:                             ;   Parent Loop BB163_7 Depth=1
                                        ; =>  This Inner Loop Header: Depth=2
	v_add_nc_u32_e32 v80, 0x2080, v112
	ds_load_2addr_b32 v[92:93], v111 offset0:3 offset1:4
	ds_load_2addr_b32 v[86:87], v111 offset0:1 offset1:2
	;; [unrolled: 1-line block ×3, first 2 shown]
	ds_load_2addr_b32 v[96:97], v111 offset1:7
	ds_load_2addr_b32 v[94:95], v110 offset1:32
	ds_load_b32 v117, v113
	ds_load_2addr_b32 v[82:83], v112 offset1:1
	ds_load_2addr_b32 v[98:99], v112 offset0:2 offset1:3
	ds_load_2addr_b32 v[100:101], v112 offset0:4 offset1:5
	;; [unrolled: 1-line block ×3, first 2 shown]
	s_add_co_i32 s12, s12, 4
	ds_load_b32 v118, v114
	ds_load_2addr_b32 v[80:81], v80 offset1:1
	v_dual_add_nc_u32 v114, 4, v114 :: v_dual_add_nc_u32 v113, 4, v113
	s_cmp_lt_u32 s12, 28
	s_wait_dscnt 0xb
	v_dual_lshlrev_b32 v90, 16, v93 :: v_dual_lshlrev_b32 v91, 8, v93
	s_wait_dscnt 0xa
	v_dual_lshlrev_b32 v108, 16, v86 :: v_dual_lshlrev_b32 v109, 8, v86
	s_wait_dscnt 0x8
	v_bfe_i32 v156, v96, 0, 8
	v_bfe_i32 v157, v96, 8, 8
	v_perm_b32 v158, v90, v93, 0x7000c0c
	s_wait_dscnt 0x0
	v_bfe_i32 v84, v80, 0, 8
	v_bfe_i32 v85, v80, 8, 8
	v_perm_b32 v90, v80, v80, 0xc0c0302
	v_dual_lshlrev_b32 v119, 16, v88 :: v_dual_lshlrev_b32 v120, 8, v88
	s_delay_alu instid0(VALU_DEP_4) | instskip(SKIP_1) | instid1(VALU_DEP_4)
	v_mul_i32_i24_e32 v84, v84, v156
	v_perm_b32 v127, v81, v96, 0x5040302
	v_or_b32_e32 v90, v158, v90
	v_perm_b32 v91, v93, v91, 0xc0c0703
	v_perm_b32 v93, v108, v86, 0x7000c0c
	v_mad_i32_i24 v126, v85, v157, v84
	v_add_nc_u32_e32 v84, 0x2088, v112
	v_perm_b32 v86, v86, v109, 0xc0c0703
	v_dual_lshlrev_b32 v121, 16, v87 :: v_dual_lshlrev_b32 v122, 8, v87
	s_delay_alu instid0(VALU_DEP_4)
	v_dot4_i32_iu8 v90, v90, v127, v126 neg_lo:[1,1,0]
	ds_load_2addr_b32 v[104:105], v84 offset1:1
	v_add_nc_u32_e32 v84, 0x2090, v112
	v_or_b32_e32 v159, v93, v91
	v_perm_b32 v93, v119, v88, 0x7000c0c
	v_perm_b32 v161, v88, v120, 0xc0c0703
	;; [unrolled: 1-line block ×3, first 2 shown]
	ds_load_2addr_b32 v[106:107], v84 offset1:1
	v_add_nc_u32_e32 v84, 0x2098, v112
	v_dual_lshlrev_b32 v123, 16, v89 :: v_dual_bitop2_b32 v160, v93, v86 bitop3:0x54
	v_lshlrev_b32_e32 v124, 8, v89
	v_perm_b32 v163, v87, v122, 0xc0c0703
	ds_load_2addr_b32 v[84:85], v84 offset1:1
	v_dual_lshlrev_b32 v125, 16, v92 :: v_dual_lshlrev_b32 v132, 8, v92
	v_perm_b32 v164, v123, v89, 0xc0c0700
	v_perm_b32 v165, v89, v124, 0xc0c0703
	v_pk_mul_f16 v135, v94, v117
	s_delay_alu instid0(VALU_DEP_4)
	v_perm_b32 v166, v125, v92, 0xc0c0700
	v_pk_mul_f16 v119, v94, v118
	s_wait_dscnt 0x2
	v_perm_b32 v126, v104, v81, 0x5040302
	v_perm_b32 v91, v105, v104, 0x5040302
	;; [unrolled: 1-line block ×4, first 2 shown]
	v_dual_lshlrev_b32 v133, 16, v97 :: v_dual_lshlrev_b32 v134, 8, v97
	v_dot4_i32_iu8 v90, v159, v126, v90 neg_lo:[1,1,0]
	s_wait_dscnt 0x1
	v_perm_b32 v88, v106, v106, 0xc0c0100
	v_perm_b32 v87, v107, v107, 0xc0c0100
	s_delay_alu instid0(VALU_DEP_3) | instskip(SKIP_1) | instid1(VALU_DEP_1)
	v_dot4_i32_iu8 v86, v160, v91, v90 neg_lo:[1,1,0]
	v_perm_b32 v90, v105, v105, 0xc0c0302
	v_dot4_i32_iu8 v86, v161, v90, v86 neg_lo:[1,1,0]
	v_add_nc_u32_e32 v90, 0x6188, v112
	s_delay_alu instid0(VALU_DEP_2) | instskip(SKIP_1) | instid1(VALU_DEP_1)
	v_dot4_i32_iu8 v86, v162, v88, v86 neg_lo:[1,1,0]
	v_perm_b32 v88, v106, v106, 0xc0c0302
	v_dot4_i32_iu8 v86, v163, v88, v86 neg_lo:[1,1,0]
	v_add_nc_u32_e32 v88, 0x4108, v112
	s_delay_alu instid0(VALU_DEP_2) | instskip(SKIP_1) | instid1(VALU_DEP_1)
	v_dot4_i32_iu8 v86, v164, v87, v86 neg_lo:[1,1,0]
	v_perm_b32 v87, v107, v107, 0xc0c0302
	v_dot4_i32_iu8 v86, v165, v87, v86 neg_lo:[1,1,0]
	s_wait_dscnt 0x0
	v_perm_b32 v87, v84, v84, 0xc0c0100
	s_delay_alu instid0(VALU_DEP_1)
	v_dot4_i32_iu8 v120, v166, v87, v86 neg_lo:[1,1,0]
	v_add_nc_u32_e32 v86, 0x4100, v112
	ds_load_b32 v121, v115
	ds_load_2addr_b32 v[86:87], v86 offset1:1
	ds_load_2addr_b32 v[108:109], v88 offset1:1
	v_add_nc_u32_e32 v88, 0x4110, v112
	v_add_nc_u32_e32 v115, 4, v115
	ds_load_2addr_b32 v[144:145], v88 offset1:1
	v_add_nc_u32_e32 v88, 0x4118, v112
	ds_load_2addr_b32 v[146:147], v88 offset1:1
	v_add_nc_u32_e32 v88, 0x6180, v112
	ds_load_b32 v122, v116
	ds_load_2addr_b32 v[88:89], v88 offset1:1
	ds_load_2addr_b32 v[150:151], v90 offset1:1
	v_add_nc_u32_e32 v90, 0x6190, v112
	s_wait_dscnt 0x7
	v_pk_mul_f16 v143, v94, v121
	v_add_nc_u32_e32 v116, 4, v116
	ds_load_2addr_b32 v[152:153], v90 offset1:1
	v_add_nc_u32_e32 v90, 0x6198, v112
	v_add_nc_u32_e32 v112, 32, v112
	ds_load_2addr_b32 v[154:155], v90 offset1:1
	v_add_nc_u32_e32 v90, 0x40c, v111
	ds_load_2addr_b32 v[130:131], v90 offset1:1
	v_add_nc_u32_e32 v90, 0x404, v111
	s_wait_dscnt 0x5
	v_pk_mul_f16 v167, v94, v122
	ds_load_2addr_b32 v[126:127], v90 offset1:1
	v_add_nc_u32_e32 v90, 0x414, v111
	ds_load_2addr_b32 v[128:129], v90 offset1:1
	v_add_nc_u32_e32 v90, 0x400, v111
	ds_load_2addr_b32 v[90:91], v90 offset1:7
	s_wait_dscnt 0x3
	v_dual_lshlrev_b32 v93, 16, v131 :: v_dual_lshlrev_b32 v94, 8, v131
	v_dual_lshlrev_b32 v148, 16, v130 :: v_dual_lshlrev_b32 v149, 8, v130
	s_wait_dscnt 0x2
	v_dual_lshlrev_b32 v125, 16, v126 :: v_dual_lshlrev_b32 v136, 8, v126
	s_delay_alu instid0(VALU_DEP_3) | instskip(SKIP_4) | instid1(VALU_DEP_3)
	v_perm_b32 v93, v94, v93, 0x7030c0c
	v_perm_b32 v94, v131, v131, 0xc0c0003
	v_dual_lshlrev_b32 v139, 16, v127 :: v_dual_lshlrev_b32 v140, 8, v127
	s_wait_dscnt 0x1
	v_dual_lshlrev_b32 v141, 16, v129 :: v_dual_lshlrev_b32 v137, 16, v128
	v_dual_lshlrev_b32 v138, 8, v128 :: v_dual_bitop2_b32 v170, v93, v94 bitop3:0x54
	v_perm_b32 v94, v136, v125, 0x7030c0c
	v_perm_b32 v125, v126, v126, 0xc0c0003
	s_wait_dscnt 0x0
	v_lshlrev_b32_e32 v169, 8, v91
	v_perm_b32 v126, v128, v128, 0xc0c0003
	v_lshlrev_b32_e32 v142, 8, v129
	v_perm_b32 v127, v127, v127, 0xc0c0003
	v_or_b32_e32 v171, v94, v125
	v_perm_b32 v94, v138, v137, 0x7030c0c
	v_perm_b32 v128, v129, v129, 0xc0c0003
	v_lshlrev_b32_e32 v168, 16, v91
	v_perm_b32 v129, v130, v130, 0xc0c0003
	v_bfe_i32 v130, v82, 8, 8
	v_or_b32_e32 v172, v94, v126
	v_perm_b32 v94, v140, v139, 0x7030c0c
	v_perm_b32 v131, v82, v82, 0xc0c0302
	v_dot4_i32_iu8 v93, v170, v123, 0 neg_lo:[1,1,0]
	v_perm_b32 v125, v99, v99, 0x6010007
	v_perm_b32 v126, v100, v100, 0x2010003
	v_or_b32_e32 v173, v94, v127
	v_perm_b32 v94, v142, v141, 0x7030c0c
	v_or_b32_e32 v131, v158, v131
	v_dot4_i32_iu8 v93, v171, v124, v93 neg_lo:[1,1,0]
	v_perm_b32 v127, v101, v101, 0x2010003
	v_perm_b32 v91, v91, v91, 0xc0c0003
	v_or_b32_e32 v174, v94, v128
	v_perm_b32 v94, v149, v148, 0x7030c0c
	v_dot4_i32_iu8 v93, v172, v125, v93 neg_lo:[1,1,0]
	v_perm_b32 v128, v102, v102, 0x2010003
	v_perm_b32 v140, v103, v103, 0x2010003
	;; [unrolled: 1-line block ×3, first 2 shown]
	v_or_b32_e32 v175, v94, v129
	v_bfe_i32 v129, v82, 0, 8
	v_dot4_i32_iu8 v93, v173, v126, v93 neg_lo:[1,1,0]
	v_pk_mul_f16 v94, v117, v95
	v_perm_b32 v92, v97, v134, 0x7030c04
	v_perm_b32 v132, v81, v81, 0x2010003
	v_mul_i32_i24_e32 v129, v129, v156
	v_dot4_i32_iu8 v93, v174, v127, v93 neg_lo:[1,1,0]
	v_perm_b32 v134, v104, v104, 0x2010003
	v_bfe_i32 v97, v86, 0, 8
	v_dot4_i32_iu8 v81, v170, v132, 0 neg_lo:[1,1,0]
	v_mad_i32_i24 v129, v130, v157, v129
	v_perm_b32 v130, v83, v96, 0x5040302
	v_perm_b32 v83, v98, v83, 0x5040302
	v_perm_b32 v98, v99, v98, 0x5040302
	v_dot4_i32_iu8 v93, v175, v128, v93 neg_lo:[1,1,0]
	v_mul_i32_i24_e32 v97, v97, v156
	v_dot4_i32_iu8 v129, v131, v130, v129 neg_lo:[1,1,0]
	v_perm_b32 v136, v106, v106, 0x2010003
	v_perm_b32 v137, v107, v107, 0x2010003
	;; [unrolled: 1-line block ×4, first 2 shown]
	v_dot4_i32_iu8 v83, v159, v83, v129 neg_lo:[1,1,0]
	v_perm_b32 v129, v109, v109, 0x6010007
	v_perm_b32 v131, v145, v145, 0x2010003
	;; [unrolled: 1-line block ×4, first 2 shown]
	v_dot4_i32_iu8 v83, v160, v98, v83 neg_lo:[1,1,0]
	v_perm_b32 v98, v99, v99, 0xc0c0302
	s_delay_alu instid0(VALU_DEP_3) | instskip(NEXT) | instid1(VALU_DEP_2)
	v_dot4_i32_iu8 v84, v141, v84, v120 neg_lo:[1,1,0]
	v_dot4_i32_iu8 v83, v161, v98, v83 neg_lo:[1,1,0]
	v_perm_b32 v98, v100, v100, 0xc0c0100
	s_delay_alu instid0(VALU_DEP_1) | instskip(SKIP_1) | instid1(VALU_DEP_1)
	v_dot4_i32_iu8 v83, v162, v98, v83 neg_lo:[1,1,0]
	v_perm_b32 v98, v100, v100, 0xc0c0302
	v_dot4_i32_iu8 v83, v163, v98, v83 neg_lo:[1,1,0]
	v_perm_b32 v98, v101, v101, 0xc0c0100
	s_delay_alu instid0(VALU_DEP_1) | instskip(SKIP_1) | instid1(VALU_DEP_1)
	v_dot4_i32_iu8 v83, v164, v98, v83 neg_lo:[1,1,0]
	v_perm_b32 v98, v101, v101, 0xc0c0302
	;; [unrolled: 5-line block ×3, first 2 shown]
	v_or_b32_e32 v138, v98, v91
	s_delay_alu instid0(VALU_DEP_1) | instskip(SKIP_1) | instid1(VALU_DEP_2)
	v_dot4_i32_iu8 v91, v138, v140, v93 neg_lo:[1,1,0]
	v_perm_b32 v93, v102, v102, 0xc0c0302
	v_dot4_i32_iu8 v91, v90, v82, v91 neg_lo:[1,1,0]
	s_delay_alu instid0(VALU_DEP_2) | instskip(SKIP_2) | instid1(VALU_DEP_4)
	v_dot4_i32_iu8 v83, v141, v93, v83 neg_lo:[1,1,0]
	v_perm_b32 v93, v133, v133, 0xc0c030c
	v_perm_b32 v133, v146, v146, 0x2010003
	v_cvt_f32_i32_e32 v101, v91
	s_delay_alu instid0(VALU_DEP_3)
	v_or_b32_e32 v142, v92, v93
	v_cvt_f32_f16_e32 v93, v94
	v_lshrrev_b32_e32 v94, 16, v94
	v_cvt_f32_f16_e64 v92, v135
	v_dot4_i32_iu8 v81, v171, v134, v81 neg_lo:[1,1,0]
	v_dot4_i32_iu8 v83, v142, v103, v83 neg_lo:[1,1,0]
	s_delay_alu instid0(VALU_DEP_4) | instskip(SKIP_2) | instid1(VALU_DEP_4)
	v_cvt_f32_f16_e32 v99, v94
	v_lshrrev_b32_e32 v94, 16, v135
	v_perm_b32 v135, v105, v105, 0x6010007
	v_cvt_f32_i32_e32 v100, v83
	v_perm_b32 v83, v108, v108, 0x2010003
	s_delay_alu instid0(VALU_DEP_4) | instskip(NEXT) | instid1(VALU_DEP_4)
	v_cvt_f32_f16_e32 v98, v94
	v_dot4_i32_iu8 v81, v172, v135, v81 neg_lo:[1,1,0]
	s_delay_alu instid0(VALU_DEP_2) | instskip(SKIP_1) | instid1(VALU_DEP_3)
	v_pk_fma_f32 v[92:93], v[92:93], v[100:101], v[98:99]
	v_bfe_i32 v98, v86, 8, 8
	v_dot4_i32_iu8 v81, v173, v136, v81 neg_lo:[1,1,0]
	v_perm_b32 v99, v87, v96, 0x5040302
	v_perm_b32 v96, v89, v96, 0x5040302
	v_pk_add_f32 v[36:37], v[36:37], v[92:93]
	v_mad_i32_i24 v97, v98, v157, v97
	v_perm_b32 v98, v86, v86, 0xc0c0302
	v_pk_mul_f16 v93, v121, v95
	s_delay_alu instid0(VALU_DEP_2) | instskip(NEXT) | instid1(VALU_DEP_1)
	v_or_b32_e32 v98, v158, v98
	v_dot4_i32_iu8 v97, v98, v99, v97 neg_lo:[1,1,0]
	s_delay_alu instid0(VALU_DEP_3) | instskip(SKIP_3) | instid1(VALU_DEP_3)
	v_cvt_f32_f16_e32 v99, v93
	v_lshrrev_b32_e32 v93, 16, v93
	v_dot4_i32_iu8 v81, v174, v137, v81 neg_lo:[1,1,0]
	v_perm_b32 v98, v146, v146, 0xc0c0302
	v_cvt_f32_f16_e32 v101, v93
	v_lshrrev_b32_e32 v93, 16, v143
	s_delay_alu instid0(VALU_DEP_4) | instskip(SKIP_1) | instid1(VALU_DEP_3)
	v_dot4_i32_iu8 v149, v175, v139, v81 neg_lo:[1,1,0]
	v_pk_mul_f16 v81, v118, v95
	v_cvt_f32_f16_e32 v100, v93
	v_pk_mul_f16 v93, v122, v95
	s_delay_alu instid0(VALU_DEP_3) | instskip(SKIP_2) | instid1(VALU_DEP_2)
	v_cvt_f32_f16_e32 v92, v81
	v_lshrrev_b32_e32 v81, 16, v81
	v_bfe_i32 v95, v88, 0, 8
	v_cvt_f32_f16_e32 v94, v81
	v_perm_b32 v81, v87, v87, 0x2010003
	v_perm_b32 v87, v108, v87, 0x5040302
	s_delay_alu instid0(VALU_DEP_4) | instskip(NEXT) | instid1(VALU_DEP_3)
	v_mul_i32_i24_e32 v95, v95, v156
	v_dot4_i32_iu8 v91, v170, v81, 0 neg_lo:[1,1,0]
	s_delay_alu instid0(VALU_DEP_3) | instskip(SKIP_1) | instid1(VALU_DEP_3)
	v_dot4_i32_iu8 v87, v159, v87, v97 neg_lo:[1,1,0]
	v_perm_b32 v97, v109, v108, 0x5040302
	v_dot4_i32_iu8 v91, v171, v83, v91 neg_lo:[1,1,0]
	s_delay_alu instid0(VALU_DEP_2) | instskip(SKIP_1) | instid1(VALU_DEP_3)
	v_dot4_i32_iu8 v87, v160, v97, v87 neg_lo:[1,1,0]
	v_perm_b32 v97, v109, v109, 0xc0c0302
	v_dot4_i32_iu8 v91, v172, v129, v91 neg_lo:[1,1,0]
	s_delay_alu instid0(VALU_DEP_2) | instskip(SKIP_1) | instid1(VALU_DEP_3)
	;; [unrolled: 4-line block ×3, first 2 shown]
	v_dot4_i32_iu8 v87, v162, v97, v87 neg_lo:[1,1,0]
	v_perm_b32 v97, v144, v144, 0xc0c0302
	v_dot4_i32_iu8 v91, v174, v131, v91 neg_lo:[1,1,0]
	v_perm_b32 v144, v150, v150, 0x2010003
	s_delay_alu instid0(VALU_DEP_3) | instskip(SKIP_1) | instid1(VALU_DEP_4)
	v_dot4_i32_iu8 v87, v163, v97, v87 neg_lo:[1,1,0]
	v_perm_b32 v97, v145, v145, 0xc0c0100
	v_dot4_i32_iu8 v91, v175, v133, v91 neg_lo:[1,1,0]
	s_delay_alu instid0(VALU_DEP_2) | instskip(SKIP_2) | instid1(VALU_DEP_2)
	v_dot4_i32_iu8 v87, v164, v97, v87 neg_lo:[1,1,0]
	v_perm_b32 v97, v145, v145, 0xc0c0302
	v_perm_b32 v145, v151, v151, 0x6010007
	v_dot4_i32_iu8 v87, v165, v97, v87 neg_lo:[1,1,0]
	v_perm_b32 v97, v146, v146, 0xc0c0100
	v_perm_b32 v146, v152, v152, 0x2010003
	s_delay_alu instid0(VALU_DEP_2) | instskip(SKIP_1) | instid1(VALU_DEP_2)
	v_dot4_i32_iu8 v97, v166, v97, v87 neg_lo:[1,1,0]
	v_perm_b32 v87, v147, v147, 0x2010003
	v_dot4_i32_iu8 v97, v141, v98, v97 neg_lo:[1,1,0]
	v_cvt_f32_f16_e64 v98, v143
	v_perm_b32 v143, v89, v89, 0x2010003
	v_perm_b32 v89, v150, v89, 0x5040302
	v_dot4_i32_iu8 v91, v138, v87, v91 neg_lo:[1,1,0]
	v_dot4_i32_iu8 v97, v142, v147, v97 neg_lo:[1,1,0]
	v_perm_b32 v147, v153, v153, 0x2010003
	s_delay_alu instid0(VALU_DEP_3) | instskip(NEXT) | instid1(VALU_DEP_3)
	v_dot4_i32_iu8 v91, v90, v86, v91 neg_lo:[1,1,0]
	v_cvt_f32_i32_e32 v102, v97
	v_bfe_i32 v97, v88, 8, 8
	s_delay_alu instid0(VALU_DEP_3) | instskip(SKIP_1) | instid1(VALU_DEP_3)
	v_cvt_f32_i32_e32 v103, v91
	v_dot4_i32_iu8 v91, v170, v143, 0 neg_lo:[1,1,0]
	v_mad_i32_i24 v95, v97, v157, v95
	v_perm_b32 v97, v88, v88, 0xc0c0302
	s_delay_alu instid0(VALU_DEP_4) | instskip(NEXT) | instid1(VALU_DEP_4)
	v_pk_fma_f32 v[98:99], v[98:99], v[102:103], v[100:101]
	v_dot4_i32_iu8 v91, v171, v144, v91 neg_lo:[1,1,0]
	s_delay_alu instid0(VALU_DEP_3) | instskip(NEXT) | instid1(VALU_DEP_3)
	v_or_b32_e32 v97, v158, v97
	v_pk_add_f32 v[34:35], v[34:35], v[98:99]
	s_delay_alu instid0(VALU_DEP_3) | instskip(NEXT) | instid1(VALU_DEP_3)
	v_dot4_i32_iu8 v91, v172, v145, v91 neg_lo:[1,1,0]
	v_dot4_i32_iu8 v95, v97, v96, v95 neg_lo:[1,1,0]
	v_perm_b32 v96, v154, v154, 0xc0c0302
	v_cvt_f32_f16_e32 v97, v93
	s_delay_alu instid0(VALU_DEP_4) | instskip(SKIP_3) | instid1(VALU_DEP_4)
	v_dot4_i32_iu8 v91, v173, v146, v91 neg_lo:[1,1,0]
	v_lshrrev_b32_e32 v93, 16, v93
	v_dot4_i32_iu8 v89, v159, v89, v95 neg_lo:[1,1,0]
	v_perm_b32 v95, v151, v150, 0x5040302
	v_dot4_i32_iu8 v91, v174, v147, v91 neg_lo:[1,1,0]
	s_delay_alu instid0(VALU_DEP_4) | instskip(SKIP_1) | instid1(VALU_DEP_4)
	v_cvt_f32_f16_e32 v99, v93
	v_lshrrev_b32_e32 v93, 16, v167
	v_dot4_i32_iu8 v89, v160, v95, v89 neg_lo:[1,1,0]
	v_perm_b32 v95, v151, v151, 0xc0c0302
	v_dot4_i32_iu8 v91, v175, v148, v91 neg_lo:[1,1,0]
	v_dot4_i32_iu8 v84, v142, v85, v84 neg_lo:[1,1,0]
	v_cvt_f32_f16_e32 v98, v93
	s_delay_alu instid0(VALU_DEP_4) | instskip(SKIP_1) | instid1(VALU_DEP_1)
	v_dot4_i32_iu8 v89, v161, v95, v89 neg_lo:[1,1,0]
	v_perm_b32 v95, v152, v152, 0xc0c0100
	v_dot4_i32_iu8 v89, v162, v95, v89 neg_lo:[1,1,0]
	v_perm_b32 v95, v152, v152, 0xc0c0302
	s_delay_alu instid0(VALU_DEP_1) | instskip(SKIP_1) | instid1(VALU_DEP_1)
	v_dot4_i32_iu8 v89, v163, v95, v89 neg_lo:[1,1,0]
	v_perm_b32 v95, v153, v153, 0xc0c0100
	v_dot4_i32_iu8 v89, v164, v95, v89 neg_lo:[1,1,0]
	v_perm_b32 v95, v153, v153, 0xc0c0302
	s_delay_alu instid0(VALU_DEP_1) | instskip(SKIP_1) | instid1(VALU_DEP_1)
	v_dot4_i32_iu8 v89, v165, v95, v89 neg_lo:[1,1,0]
	v_perm_b32 v95, v154, v154, 0xc0c0100
	v_dot4_i32_iu8 v95, v166, v95, v89 neg_lo:[1,1,0]
	v_perm_b32 v89, v155, v155, 0x2010003
	s_delay_alu instid0(VALU_DEP_2) | instskip(NEXT) | instid1(VALU_DEP_2)
	v_dot4_i32_iu8 v95, v141, v96, v95 neg_lo:[1,1,0]
	v_dot4_i32_iu8 v91, v138, v89, v91 neg_lo:[1,1,0]
	v_cvt_f32_f16_e64 v96, v167
	s_delay_alu instid0(VALU_DEP_3) | instskip(NEXT) | instid1(VALU_DEP_3)
	v_dot4_i32_iu8 v95, v142, v155, v95 neg_lo:[1,1,0]
	v_dot4_i32_iu8 v91, v90, v88, v91 neg_lo:[1,1,0]
	s_delay_alu instid0(VALU_DEP_2) | instskip(NEXT) | instid1(VALU_DEP_2)
	v_cvt_f32_i32_e32 v100, v95
	v_cvt_f32_i32_e32 v101, v91
	v_add_nc_u32_e32 v91, 0x80c, v111
	s_delay_alu instid0(VALU_DEP_2)
	v_pk_fma_f32 v[96:97], v[96:97], v[100:101], v[98:99]
	ds_load_2addr_b32 v[98:99], v91 offset1:1
	v_add_nc_u32_e32 v91, 0x804, v111
	v_pk_add_f32 v[32:33], v[32:33], v[96:97]
	ds_load_2addr_b32 v[100:101], v91 offset1:1
	v_add_nc_u32_e32 v91, 0x814, v111
	ds_load_2addr_b32 v[102:103], v91 offset1:1
	v_add_nc_u32_e32 v91, 0x800, v111
	ds_load_2addr_b32 v[96:97], v91 offset1:7
	ds_load_2addr_b32 v[104:105], v110 offset0:64 offset1:96
	s_wait_dscnt 0x4
	v_dual_lshlrev_b32 v91, 16, v99 :: v_dual_lshlrev_b32 v93, 8, v99
	v_dual_lshlrev_b32 v153, 16, v98 :: v_dual_lshlrev_b32 v154, 8, v98
	s_wait_dscnt 0x3
	v_dual_lshlrev_b32 v95, 16, v100 :: v_dual_lshlrev_b32 v106, 8, v100
	s_delay_alu instid0(VALU_DEP_3) | instskip(SKIP_4) | instid1(VALU_DEP_3)
	v_perm_b32 v91, v93, v91, 0x7030c0c
	v_perm_b32 v93, v99, v99, 0xc0c0003
	v_dual_lshlrev_b32 v109, 16, v101 :: v_dual_lshlrev_b32 v150, 8, v101
	s_wait_dscnt 0x2
	v_dual_lshlrev_b32 v151, 16, v103 :: v_dual_lshlrev_b32 v107, 16, v102
	v_dual_lshlrev_b32 v108, 8, v102 :: v_dual_bitop2_b32 v99, v91, v93 bitop3:0x54
	v_perm_b32 v93, v106, v95, 0x7030c0c
	v_perm_b32 v95, v100, v100, 0xc0c0003
	s_wait_dscnt 0x1
	v_dual_lshlrev_b32 v156, 8, v97 :: v_dual_lshlrev_b32 v152, 8, v103
	v_dot4_i32_iu8 v91, v99, v123, 0 neg_lo:[1,1,0]
	s_delay_alu instid0(VALU_DEP_3)
	v_dual_lshlrev_b32 v155, 16, v97 :: v_dual_bitop2_b32 v106, v93, v95 bitop3:0x54
	v_perm_b32 v93, v108, v107, 0x7030c0c
	v_perm_b32 v95, v102, v102, 0xc0c0003
	s_wait_dscnt 0x0
	v_pk_mul_f16 v107, v121, v104
	v_dot4_i32_iu8 v91, v106, v124, v91 neg_lo:[1,1,0]
	s_delay_alu instid0(VALU_DEP_3) | instskip(SKIP_2) | instid1(VALU_DEP_3)
	v_or_b32_e32 v102, v93, v95
	v_perm_b32 v93, v150, v109, 0x7030c0c
	v_perm_b32 v95, v101, v101, 0xc0c0003
	v_dot4_i32_iu8 v91, v102, v125, v91 neg_lo:[1,1,0]
	s_delay_alu instid0(VALU_DEP_2) | instskip(SKIP_2) | instid1(VALU_DEP_3)
	v_or_b32_e32 v101, v93, v95
	v_perm_b32 v93, v152, v151, 0x7030c0c
	v_perm_b32 v95, v103, v103, 0xc0c0003
	v_dot4_i32_iu8 v91, v101, v126, v91 neg_lo:[1,1,0]
	s_delay_alu instid0(VALU_DEP_2) | instskip(SKIP_2) | instid1(VALU_DEP_3)
	;; [unrolled: 5-line block ×3, first 2 shown]
	v_or_b32_e32 v98, v93, v95
	v_perm_b32 v93, v156, v155, 0x7030c0c
	v_perm_b32 v95, v97, v97, 0xc0c0003
	v_dot4_i32_iu8 v91, v98, v128, v91 neg_lo:[1,1,0]
	s_delay_alu instid0(VALU_DEP_2) | instskip(SKIP_1) | instid1(VALU_DEP_2)
	v_or_b32_e32 v97, v93, v95
	v_pk_mul_f16 v93, v117, v104
	v_dot4_i32_iu8 v91, v97, v140, v91 neg_lo:[1,1,0]
	s_delay_alu instid0(VALU_DEP_1) | instskip(NEXT) | instid1(VALU_DEP_1)
	v_dot4_i32_iu8 v91, v82, v96, v91 neg_lo:[1,1,0]
	v_cvt_f32_i32_e32 v91, v91
	s_delay_alu instid0(VALU_DEP_1) | instskip(SKIP_1) | instid1(VALU_DEP_1)
	v_fma_mix_f32 v100, v93, v91, v93 op_sel:[0,0,1] op_sel_hi:[1,0,1]
	v_dot4_i32_iu8 v91, v99, v132, 0 neg_lo:[1,1,0]
	v_dot4_i32_iu8 v91, v106, v134, v91 neg_lo:[1,1,0]
	s_delay_alu instid0(VALU_DEP_1) | instskip(NEXT) | instid1(VALU_DEP_1)
	v_dot4_i32_iu8 v91, v102, v135, v91 neg_lo:[1,1,0]
	v_dot4_i32_iu8 v91, v101, v136, v91 neg_lo:[1,1,0]
	s_delay_alu instid0(VALU_DEP_1) | instskip(NEXT) | instid1(VALU_DEP_1)
	v_dot4_i32_iu8 v91, v103, v137, v91 neg_lo:[1,1,0]
	v_dot4_i32_iu8 v150, v98, v139, v91 neg_lo:[1,1,0]
	v_pk_mul_f16 v91, v118, v104
	s_delay_alu instid0(VALU_DEP_1) | instskip(SKIP_1) | instid1(VALU_DEP_1)
	v_cvt_f32_f16_e32 v93, v91
	v_lshrrev_b32_e32 v91, 16, v91
	v_cvt_f32_f16_e32 v95, v91
	v_dot4_i32_iu8 v91, v99, v81, 0 neg_lo:[1,1,0]
	v_dot4_i32_iu8 v99, v99, v143, 0 neg_lo:[1,1,0]
	s_delay_alu instid0(VALU_DEP_2) | instskip(NEXT) | instid1(VALU_DEP_2)
	v_dot4_i32_iu8 v91, v106, v83, v91 neg_lo:[1,1,0]
	v_dot4_i32_iu8 v99, v106, v144, v99 neg_lo:[1,1,0]
	s_delay_alu instid0(VALU_DEP_2) | instskip(NEXT) | instid1(VALU_DEP_2)
	;; [unrolled: 3-line block ×5, first 2 shown]
	v_dot4_i32_iu8 v91, v98, v133, v91 neg_lo:[1,1,0]
	v_dot4_i32_iu8 v98, v98, v148, v99 neg_lo:[1,1,0]
	v_pk_mul_f16 v99, v122, v104
	s_delay_alu instid0(VALU_DEP_3) | instskip(NEXT) | instid1(VALU_DEP_3)
	v_dot4_i32_iu8 v91, v97, v87, v91 neg_lo:[1,1,0]
	v_dot4_i32_iu8 v98, v97, v89, v98 neg_lo:[1,1,0]
	s_delay_alu instid0(VALU_DEP_2) | instskip(NEXT) | instid1(VALU_DEP_2)
	v_dot4_i32_iu8 v91, v86, v96, v91 neg_lo:[1,1,0]
	v_dot4_i32_iu8 v98, v88, v96, v98 neg_lo:[1,1,0]
	s_delay_alu instid0(VALU_DEP_2) | instskip(NEXT) | instid1(VALU_DEP_2)
	v_cvt_f32_i32_e32 v91, v91
	v_cvt_f32_i32_e32 v98, v98
	s_delay_alu instid0(VALU_DEP_2) | instskip(NEXT) | instid1(VALU_DEP_2)
	v_fma_mix_f32 v91, v107, v91, v107 op_sel:[0,0,1] op_sel_hi:[1,0,1]
	v_fma_mix_f32 v107, v99, v98, v99 op_sel:[0,0,1] op_sel_hi:[1,0,1]
	v_add_nc_u32_e32 v98, 0xc0c, v111
	ds_load_2addr_b32 v[102:103], v98 offset1:1
	v_add_nc_u32_e32 v98, 0xc04, v111
	ds_load_2addr_b32 v[108:109], v98 offset1:1
	v_add_nc_u32_e32 v98, 0xc14, v111
	ds_load_2addr_b32 v[152:153], v98 offset1:1
	v_add_nc_u32_e32 v98, 0xc00, v111
	ds_load_2addr_b32 v[98:99], v98 offset1:7
	s_wait_dscnt 0x3
	v_dual_lshlrev_b32 v101, 16, v103 :: v_dual_lshlrev_b32 v104, 8, v103
	v_perm_b32 v103, v103, v103, 0xc0c0003
	v_dual_lshlrev_b32 v160, 16, v102 :: v_dual_lshlrev_b32 v161, 8, v102
	v_perm_b32 v102, v102, v102, 0xc0c0003
	s_wait_dscnt 0x2
	v_dual_lshlrev_b32 v106, 16, v108 :: v_dual_lshlrev_b32 v151, 8, v108
	v_perm_b32 v101, v104, v101, 0x7030c0c
	v_dual_lshlrev_b32 v156, 16, v109 :: v_dual_lshlrev_b32 v157, 8, v109
	v_perm_b32 v109, v109, v109, 0xc0c0003
	s_wait_dscnt 0x1
	v_dual_lshlrev_b32 v154, 16, v152 :: v_dual_lshlrev_b32 v155, 8, v152
	v_or_b32_e32 v103, v101, v103
	v_perm_b32 v104, v151, v106, 0x7030c0c
	v_perm_b32 v106, v108, v108, 0xc0c0003
	;; [unrolled: 1-line block ×3, first 2 shown]
	s_wait_dscnt 0x0
	v_lshlrev_b32_e32 v163, 8, v99
	v_dot4_i32_iu8 v101, v103, v123, 0 neg_lo:[1,1,0]
	v_dual_lshlrev_b32 v158, 16, v153 :: v_dual_lshlrev_b32 v159, 8, v153
	v_or_b32_e32 v104, v104, v106
	v_perm_b32 v106, v155, v154, 0x7030c0c
	v_perm_b32 v151, v153, v153, 0xc0c0003
	v_lshlrev_b32_e32 v162, 16, v99
	v_perm_b32 v99, v99, v99, 0xc0c0003
	v_dot4_i32_iu8 v101, v104, v124, v101 neg_lo:[1,1,0]
	v_or_b32_e32 v106, v106, v108
	v_perm_b32 v108, v157, v156, 0x7030c0c
	s_delay_alu instid0(VALU_DEP_2) | instskip(NEXT) | instid1(VALU_DEP_2)
	v_dot4_i32_iu8 v101, v106, v125, v101 neg_lo:[1,1,0]
	v_or_b32_e32 v109, v108, v109
	v_perm_b32 v108, v159, v158, 0x7030c0c
	s_delay_alu instid0(VALU_DEP_2) | instskip(NEXT) | instid1(VALU_DEP_2)
	;; [unrolled: 4-line block ×4, first 2 shown]
	v_dot4_i32_iu8 v101, v152, v128, v101 neg_lo:[1,1,0]
	v_or_b32_e32 v162, v102, v99
	s_delay_alu instid0(VALU_DEP_1) | instskip(SKIP_1) | instid1(VALU_DEP_2)
	v_dot4_i32_iu8 v99, v162, v140, v101 neg_lo:[1,1,0]
	v_pk_mul_f16 v101, v117, v105
	v_dot4_i32_iu8 v99, v82, v98, v99 neg_lo:[1,1,0]
	s_delay_alu instid0(VALU_DEP_1) | instskip(NEXT) | instid1(VALU_DEP_1)
	v_cvt_f32_i32_e32 v99, v99
	v_fma_mix_f32 v101, v101, v99, v101 op_sel:[0,0,1] op_sel_hi:[1,0,1]
	v_dot4_i32_iu8 v99, v103, v132, 0 neg_lo:[1,1,0]
	s_delay_alu instid0(VALU_DEP_2) | instskip(NEXT) | instid1(VALU_DEP_2)
	v_pk_add_f32 v[22:23], v[22:23], v[100:101]
	v_dot4_i32_iu8 v99, v104, v134, v99 neg_lo:[1,1,0]
	v_pk_mul_f16 v101, v121, v105
	s_delay_alu instid0(VALU_DEP_2) | instskip(NEXT) | instid1(VALU_DEP_1)
	v_dot4_i32_iu8 v99, v106, v135, v99 neg_lo:[1,1,0]
	v_dot4_i32_iu8 v99, v109, v136, v99 neg_lo:[1,1,0]
	s_delay_alu instid0(VALU_DEP_1) | instskip(NEXT) | instid1(VALU_DEP_1)
	v_dot4_i32_iu8 v99, v151, v137, v99 neg_lo:[1,1,0]
	v_dot4_i32_iu8 v163, v152, v139, v99 neg_lo:[1,1,0]
	v_pk_mul_f16 v99, v118, v105
	s_delay_alu instid0(VALU_DEP_1) | instskip(SKIP_1) | instid1(VALU_DEP_1)
	v_cvt_f32_f16_e32 v100, v99
	v_lshrrev_b32_e32 v99, 16, v99
	v_cvt_f32_f16_e32 v102, v99
	v_dot4_i32_iu8 v99, v103, v81, 0 neg_lo:[1,1,0]
	s_delay_alu instid0(VALU_DEP_1) | instskip(NEXT) | instid1(VALU_DEP_1)
	v_dot4_i32_iu8 v99, v104, v83, v99 neg_lo:[1,1,0]
	v_dot4_i32_iu8 v99, v106, v129, v99 neg_lo:[1,1,0]
	s_delay_alu instid0(VALU_DEP_1) | instskip(NEXT) | instid1(VALU_DEP_1)
	v_dot4_i32_iu8 v99, v109, v130, v99 neg_lo:[1,1,0]
	;; [unrolled: 3-line block ×4, first 2 shown]
	v_cvt_f32_i32_e32 v99, v99
	s_delay_alu instid0(VALU_DEP_1) | instskip(SKIP_2) | instid1(VALU_DEP_2)
	v_fma_mix_f32 v108, v101, v99, v101 op_sel:[0,0,1] op_sel_hi:[1,0,1]
	v_dot4_i32_iu8 v99, v103, v143, 0 neg_lo:[1,1,0]
	v_pk_mul_f16 v101, v122, v105
	v_dot4_i32_iu8 v99, v104, v144, v99 neg_lo:[1,1,0]
	s_delay_alu instid0(VALU_DEP_1) | instskip(NEXT) | instid1(VALU_DEP_1)
	v_dot4_i32_iu8 v99, v106, v145, v99 neg_lo:[1,1,0]
	v_dot4_i32_iu8 v99, v109, v146, v99 neg_lo:[1,1,0]
	s_delay_alu instid0(VALU_DEP_1) | instskip(NEXT) | instid1(VALU_DEP_1)
	v_dot4_i32_iu8 v99, v151, v147, v99 neg_lo:[1,1,0]
	;; [unrolled: 3-line block ×3, first 2 shown]
	v_dot4_i32_iu8 v99, v88, v98, v99 neg_lo:[1,1,0]
	s_delay_alu instid0(VALU_DEP_1) | instskip(NEXT) | instid1(VALU_DEP_1)
	v_cvt_f32_i32_e32 v99, v99
	v_fma_mix_f32 v152, v101, v99, v101 op_sel:[0,0,1] op_sel_hi:[1,0,1]
	v_add_nc_u32_e32 v99, 0x100c, v111
	ds_load_2addr_b32 v[154:155], v99 offset1:1
	v_add_nc_u32_e32 v99, 0x1004, v111
	ds_load_2addr_b32 v[156:157], v99 offset1:1
	v_add_nc_u32_e32 v99, 0x1014, v111
	ds_load_2addr_b32 v[158:159], v99 offset1:1
	v_add_nc_u32_e32 v99, 0x1000, v111
	ds_load_2addr_b32 v[104:105], v99 offset1:7
	ds_load_2addr_b32 v[160:161], v110 offset0:128 offset1:160
	s_wait_dscnt 0x4
	v_dual_lshlrev_b32 v99, 16, v155 :: v_dual_lshlrev_b32 v101, 8, v155
	v_dual_lshlrev_b32 v167, 16, v154 :: v_dual_lshlrev_b32 v168, 8, v154
	s_wait_dscnt 0x3
	v_dual_lshlrev_b32 v103, 16, v156 :: v_dual_lshlrev_b32 v106, 8, v156
	s_delay_alu instid0(VALU_DEP_3) | instskip(SKIP_4) | instid1(VALU_DEP_3)
	v_perm_b32 v99, v101, v99, 0x7030c0c
	v_perm_b32 v101, v155, v155, 0xc0c0003
	v_dual_lshlrev_b32 v153, 16, v157 :: v_dual_lshlrev_b32 v164, 8, v157
	s_wait_dscnt 0x2
	v_dual_lshlrev_b32 v165, 16, v159 :: v_dual_lshlrev_b32 v109, 16, v158
	v_dual_lshlrev_b32 v151, 8, v158 :: v_dual_bitop2_b32 v99, v99, v101 bitop3:0x54
	v_perm_b32 v103, v106, v103, 0x7030c0c
	v_perm_b32 v106, v156, v156, 0xc0c0003
	s_wait_dscnt 0x1
	v_dual_lshlrev_b32 v170, 8, v105 :: v_dual_lshlrev_b32 v166, 8, v159
	v_dot4_i32_iu8 v101, v99, v123, 0 neg_lo:[1,1,0]
	s_delay_alu instid0(VALU_DEP_3) | instskip(SKIP_3) | instid1(VALU_DEP_4)
	v_dual_lshlrev_b32 v169, 16, v105 :: v_dual_bitop2_b32 v106, v103, v106 bitop3:0x54
	v_perm_b32 v103, v151, v109, 0x7030c0c
	v_perm_b32 v109, v158, v158, 0xc0c0003
	;; [unrolled: 1-line block ×3, first 2 shown]
	v_dot4_i32_iu8 v101, v106, v124, v101 neg_lo:[1,1,0]
	s_delay_alu instid0(VALU_DEP_3)
	v_or_b32_e32 v151, v103, v109
	v_perm_b32 v103, v164, v153, 0x7030c0c
	v_perm_b32 v109, v157, v157, 0xc0c0003
	s_wait_dscnt 0x0
	v_pk_mul_f16 v157, v121, v160
	v_dot4_i32_iu8 v101, v151, v125, v101 neg_lo:[1,1,0]
	s_delay_alu instid0(VALU_DEP_3) | instskip(SKIP_2) | instid1(VALU_DEP_3)
	v_or_b32_e32 v153, v103, v109
	v_perm_b32 v103, v166, v165, 0x7030c0c
	v_perm_b32 v109, v159, v159, 0xc0c0003
	v_dot4_i32_iu8 v101, v153, v126, v101 neg_lo:[1,1,0]
	s_delay_alu instid0(VALU_DEP_2) | instskip(SKIP_2) | instid1(VALU_DEP_3)
	v_or_b32_e32 v155, v103, v109
	v_perm_b32 v103, v168, v167, 0x7030c0c
	v_perm_b32 v109, v154, v154, 0xc0c0003
	v_dot4_i32_iu8 v101, v155, v127, v101 neg_lo:[1,1,0]
	s_delay_alu instid0(VALU_DEP_2) | instskip(SKIP_1) | instid1(VALU_DEP_2)
	v_or_b32_e32 v156, v103, v109
	v_perm_b32 v103, v170, v169, 0x7030c0c
	v_dot4_i32_iu8 v101, v156, v128, v101 neg_lo:[1,1,0]
	s_delay_alu instid0(VALU_DEP_2) | instskip(SKIP_1) | instid1(VALU_DEP_2)
	v_or_b32_e32 v105, v103, v105
	v_pk_mul_f16 v103, v117, v160
	v_dot4_i32_iu8 v101, v105, v140, v101 neg_lo:[1,1,0]
	s_delay_alu instid0(VALU_DEP_1) | instskip(NEXT) | instid1(VALU_DEP_1)
	v_dot4_i32_iu8 v101, v82, v104, v101 neg_lo:[1,1,0]
	v_cvt_f32_i32_e32 v101, v101
	s_delay_alu instid0(VALU_DEP_1) | instskip(SKIP_2) | instid1(VALU_DEP_2)
	v_fma_mix_f32 v154, v103, v101, v103 op_sel:[0,0,1] op_sel_hi:[1,0,1]
	v_dot4_i32_iu8 v101, v99, v132, 0 neg_lo:[1,1,0]
	v_pk_mul_f16 v103, v118, v160
	v_dot4_i32_iu8 v101, v106, v134, v101 neg_lo:[1,1,0]
	s_delay_alu instid0(VALU_DEP_1) | instskip(NEXT) | instid1(VALU_DEP_1)
	v_dot4_i32_iu8 v101, v151, v135, v101 neg_lo:[1,1,0]
	v_dot4_i32_iu8 v101, v153, v136, v101 neg_lo:[1,1,0]
	s_delay_alu instid0(VALU_DEP_1) | instskip(NEXT) | instid1(VALU_DEP_1)
	v_dot4_i32_iu8 v101, v155, v137, v101 neg_lo:[1,1,0]
	v_dot4_i32_iu8 v164, v156, v139, v101 neg_lo:[1,1,0]
	v_cvt_f32_f16_e32 v101, v103
	v_lshrrev_b32_e32 v103, 16, v103
	v_dot4_i32_iu8 v109, v99, v81, 0 neg_lo:[1,1,0]
	v_dot4_i32_iu8 v99, v99, v143, 0 neg_lo:[1,1,0]
	s_delay_alu instid0(VALU_DEP_3) | instskip(NEXT) | instid1(VALU_DEP_3)
	v_cvt_f32_f16_e32 v103, v103
	v_dot4_i32_iu8 v109, v106, v83, v109 neg_lo:[1,1,0]
	s_delay_alu instid0(VALU_DEP_3) | instskip(SKIP_1) | instid1(VALU_DEP_3)
	v_dot4_i32_iu8 v99, v106, v144, v99 neg_lo:[1,1,0]
	v_pk_mul_f16 v106, v122, v160
	v_dot4_i32_iu8 v109, v151, v129, v109 neg_lo:[1,1,0]
	s_delay_alu instid0(VALU_DEP_3) | instskip(NEXT) | instid1(VALU_DEP_2)
	v_dot4_i32_iu8 v99, v151, v145, v99 neg_lo:[1,1,0]
	v_dot4_i32_iu8 v109, v153, v130, v109 neg_lo:[1,1,0]
	s_delay_alu instid0(VALU_DEP_2) | instskip(NEXT) | instid1(VALU_DEP_2)
	v_dot4_i32_iu8 v99, v153, v146, v99 neg_lo:[1,1,0]
	v_dot4_i32_iu8 v109, v155, v131, v109 neg_lo:[1,1,0]
	s_delay_alu instid0(VALU_DEP_2) | instskip(NEXT) | instid1(VALU_DEP_2)
	;; [unrolled: 3-line block ×5, first 2 shown]
	v_dot4_i32_iu8 v99, v88, v104, v99 neg_lo:[1,1,0]
	v_cvt_f32_i32_e32 v109, v109
	s_delay_alu instid0(VALU_DEP_2) | instskip(NEXT) | instid1(VALU_DEP_2)
	v_cvt_f32_i32_e32 v99, v99
	v_fma_mix_f32 v109, v157, v109, v157 op_sel:[0,0,1] op_sel_hi:[1,0,1]
	s_delay_alu instid0(VALU_DEP_2) | instskip(SKIP_1) | instid1(VALU_DEP_3)
	v_fma_mix_f32 v153, v106, v99, v106 op_sel:[0,0,1] op_sel_hi:[1,0,1]
	v_add_nc_u32_e32 v99, 0x140c, v111
	v_pk_add_f32 v[18:19], v[18:19], v[108:109]
	s_delay_alu instid0(VALU_DEP_3)
	v_pk_add_f32 v[16:17], v[16:17], v[152:153]
	ds_load_2addr_b32 v[152:153], v99 offset1:1
	v_add_nc_u32_e32 v99, 0x1404, v111
	ds_load_2addr_b32 v[156:157], v99 offset1:1
	v_add_nc_u32_e32 v99, 0x1414, v111
	;; [unrolled: 2-line block ×3, first 2 shown]
	ds_load_2addr_b32 v[108:109], v99 offset1:7
	s_wait_dscnt 0x3
	v_dual_lshlrev_b32 v99, 16, v153 :: v_dual_lshlrev_b32 v106, 8, v153
	v_dual_lshlrev_b32 v170, 16, v152 :: v_dual_lshlrev_b32 v171, 8, v152
	v_perm_b32 v152, v152, v152, 0xc0c0003
	s_wait_dscnt 0x2
	v_dual_lshlrev_b32 v151, 16, v156 :: v_dual_lshlrev_b32 v155, 8, v156
	v_perm_b32 v99, v106, v99, 0x7030c0c
	v_perm_b32 v106, v153, v153, 0xc0c0003
	;; [unrolled: 1-line block ×3, first 2 shown]
	v_dual_lshlrev_b32 v166, 16, v157 :: v_dual_lshlrev_b32 v167, 8, v157
	s_wait_dscnt 0x1
	v_dual_lshlrev_b32 v160, 16, v158 :: v_dual_lshlrev_b32 v165, 8, v158
	v_or_b32_e32 v99, v99, v106
	v_perm_b32 v151, v155, v151, 0x7030c0c
	v_perm_b32 v155, v158, v158, 0xc0c0003
	s_wait_dscnt 0x0
	v_dual_lshlrev_b32 v173, 8, v109 :: v_dual_lshlrev_b32 v168, 16, v159
	v_dot4_i32_iu8 v106, v99, v123, 0 neg_lo:[1,1,0]
	v_or_b32_e32 v151, v151, v153
	v_perm_b32 v153, v165, v160, 0x7030c0c
	v_lshlrev_b32_e32 v169, 8, v159
	v_perm_b32 v156, v157, v157, 0xc0c0003
	v_perm_b32 v157, v159, v159, 0xc0c0003
	v_dot4_i32_iu8 v106, v151, v124, v106 neg_lo:[1,1,0]
	v_or_b32_e32 v153, v153, v155
	v_perm_b32 v155, v167, v166, 0x7030c0c
	v_lshlrev_b32_e32 v172, 16, v109
	v_perm_b32 v109, v109, v109, 0xc0c0003
	v_pk_mul_f16 v166, v118, v161
	v_dot4_i32_iu8 v106, v153, v125, v106 neg_lo:[1,1,0]
	v_or_b32_e32 v156, v155, v156
	v_perm_b32 v155, v169, v168, 0x7030c0c
	s_delay_alu instid0(VALU_DEP_2) | instskip(NEXT) | instid1(VALU_DEP_2)
	v_dot4_i32_iu8 v106, v156, v126, v106 neg_lo:[1,1,0]
	v_or_b32_e32 v157, v155, v157
	v_perm_b32 v155, v171, v170, 0x7030c0c
	s_delay_alu instid0(VALU_DEP_2) | instskip(NEXT) | instid1(VALU_DEP_2)
	;; [unrolled: 4-line block ×3, first 2 shown]
	v_dot4_i32_iu8 v106, v152, v128, v106 neg_lo:[1,1,0]
	v_or_b32_e32 v109, v155, v109
	v_pk_mul_f16 v155, v117, v161
	s_delay_alu instid0(VALU_DEP_2) | instskip(NEXT) | instid1(VALU_DEP_1)
	v_dot4_i32_iu8 v106, v109, v140, v106 neg_lo:[1,1,0]
	v_dot4_i32_iu8 v106, v82, v108, v106 neg_lo:[1,1,0]
	s_delay_alu instid0(VALU_DEP_1) | instskip(NEXT) | instid1(VALU_DEP_1)
	v_cvt_f32_i32_e32 v106, v106
	v_fma_mix_f32 v155, v155, v106, v155 op_sel:[0,0,1] op_sel_hi:[1,0,1]
	v_dot4_i32_iu8 v106, v99, v132, 0 neg_lo:[1,1,0]
	s_delay_alu instid0(VALU_DEP_2) | instskip(NEXT) | instid1(VALU_DEP_2)
	v_pk_add_f32 v[14:15], v[14:15], v[154:155]
	v_dot4_i32_iu8 v106, v151, v134, v106 neg_lo:[1,1,0]
	v_pk_mul_f16 v154, v121, v161
	s_delay_alu instid0(VALU_DEP_2) | instskip(NEXT) | instid1(VALU_DEP_1)
	v_dot4_i32_iu8 v106, v153, v135, v106 neg_lo:[1,1,0]
	v_dot4_i32_iu8 v106, v156, v136, v106 neg_lo:[1,1,0]
	s_delay_alu instid0(VALU_DEP_1) | instskip(NEXT) | instid1(VALU_DEP_1)
	v_dot4_i32_iu8 v106, v157, v137, v106 neg_lo:[1,1,0]
	v_dot4_i32_iu8 v165, v152, v139, v106 neg_lo:[1,1,0]
	;; [unrolled: 1-line block ×4, first 2 shown]
	s_delay_alu instid0(VALU_DEP_2) | instskip(NEXT) | instid1(VALU_DEP_2)
	v_dot4_i32_iu8 v106, v151, v83, v106 neg_lo:[1,1,0]
	v_dot4_i32_iu8 v99, v151, v144, v99 neg_lo:[1,1,0]
	v_add_nc_u32_e32 v151, 0x1804, v111
	s_delay_alu instid0(VALU_DEP_3) | instskip(NEXT) | instid1(VALU_DEP_3)
	v_dot4_i32_iu8 v106, v153, v129, v106 neg_lo:[1,1,0]
	v_dot4_i32_iu8 v99, v153, v145, v99 neg_lo:[1,1,0]
	s_delay_alu instid0(VALU_DEP_2) | instskip(NEXT) | instid1(VALU_DEP_2)
	v_dot4_i32_iu8 v106, v156, v130, v106 neg_lo:[1,1,0]
	v_dot4_i32_iu8 v99, v156, v146, v99 neg_lo:[1,1,0]
	s_delay_alu instid0(VALU_DEP_2) | instskip(NEXT) | instid1(VALU_DEP_2)
	;; [unrolled: 3-line block ×3, first 2 shown]
	v_dot4_i32_iu8 v106, v152, v133, v106 neg_lo:[1,1,0]
	v_dot4_i32_iu8 v99, v152, v148, v99 neg_lo:[1,1,0]
	ds_load_2addr_b32 v[152:153], v151 offset1:1
	v_add_nc_u32_e32 v151, 0x1814, v111
	v_dot4_i32_iu8 v106, v109, v87, v106 neg_lo:[1,1,0]
	v_dot4_i32_iu8 v99, v109, v89, v99 neg_lo:[1,1,0]
	s_delay_alu instid0(VALU_DEP_2) | instskip(NEXT) | instid1(VALU_DEP_2)
	v_dot4_i32_iu8 v106, v86, v108, v106 neg_lo:[1,1,0]
	v_dot4_i32_iu8 v99, v88, v108, v99 neg_lo:[1,1,0]
	s_delay_alu instid0(VALU_DEP_2) | instskip(NEXT) | instid1(VALU_DEP_2)
	v_cvt_f32_i32_e32 v106, v106
	v_cvt_f32_i32_e32 v99, v99
	s_delay_alu instid0(VALU_DEP_2)
	v_fma_mix_f32 v106, v154, v106, v154 op_sel:[0,0,1] op_sel_hi:[1,0,1]
	ds_load_2addr_b32 v[154:155], v151 offset1:1
	v_add_nc_u32_e32 v151, 0x1800, v111
	s_wait_dscnt 0x1
	v_dual_lshlrev_b32 v167, 8, v152 :: v_dual_lshlrev_b32 v170, 16, v153
	v_lshlrev_b32_e32 v171, 8, v153
	v_pk_add_f32 v[10:11], v[10:11], v[106:107]
	v_pk_mul_f16 v106, v122, v161
	v_lshlrev_b32_e32 v161, 16, v152
	v_perm_b32 v152, v152, v152, 0xc0c0003
	v_perm_b32 v153, v153, v153, 0xc0c0003
	s_delay_alu instid0(VALU_DEP_4)
	v_fma_mix_f32 v99, v106, v99, v106 op_sel:[0,0,1] op_sel_hi:[1,0,1]
	v_add_nc_u32_e32 v106, 0x180c, v111
	ds_load_2addr_b32 v[106:107], v106 offset1:1
	ds_load_2addr_b32 v[156:157], v151 offset1:7
	ds_load_2addr_b32 v[158:159], v110 offset0:192 offset1:224
	v_add_nc_u32_e32 v110, 4, v110
	s_wait_dscnt 0x3
	v_dual_lshlrev_b32 v168, 16, v154 :: v_dual_lshlrev_b32 v169, 8, v154
	v_perm_b32 v154, v154, v154, 0xc0c0003
	v_dual_lshlrev_b32 v172, 16, v155 :: v_dual_lshlrev_b32 v173, 8, v155
	v_perm_b32 v155, v155, v155, 0xc0c0003
	s_wait_dscnt 0x2
	v_dual_lshlrev_b32 v151, 16, v107 :: v_dual_lshlrev_b32 v160, 8, v107
	v_dual_lshlrev_b32 v174, 16, v106 :: v_dual_lshlrev_b32 v175, 8, v106
	s_wait_dscnt 0x1
	v_dual_lshlrev_b32 v176, 16, v157 :: v_dual_lshlrev_b32 v177, 8, v157
	s_delay_alu instid0(VALU_DEP_3)
	v_perm_b32 v151, v160, v151, 0x7030c0c
	v_perm_b32 v160, v167, v161, 0x7030c0c
	;; [unrolled: 1-line block ×5, first 2 shown]
	s_wait_dscnt 0x0
	v_pk_mul_f16 v167, v117, v158
	v_or_b32_e32 v152, v160, v152
	v_perm_b32 v160, v169, v168, 0x7030c0c
	v_or_b32_e32 v107, v151, v107
	v_pk_mul_f16 v117, v117, v159
	v_pk_mul_f16 v169, v118, v158
	s_delay_alu instid0(VALU_DEP_4) | instskip(SKIP_4) | instid1(VALU_DEP_4)
	v_or_b32_e32 v154, v160, v154
	v_perm_b32 v160, v171, v170, 0x7030c0c
	v_dot4_i32_iu8 v151, v107, v123, 0 neg_lo:[1,1,0]
	v_pk_mul_f16 v171, v121, v158
	v_pk_mul_f16 v158, v122, v158
	v_or_b32_e32 v153, v160, v153
	v_perm_b32 v160, v173, v172, 0x7030c0c
	v_dot4_i32_iu8 v151, v152, v124, v151 neg_lo:[1,1,0]
	s_delay_alu instid0(VALU_DEP_2) | instskip(SKIP_1) | instid1(VALU_DEP_3)
	v_or_b32_e32 v155, v160, v155
	v_perm_b32 v160, v175, v174, 0x7030c0c
	v_dot4_i32_iu8 v151, v154, v125, v151 neg_lo:[1,1,0]
	s_delay_alu instid0(VALU_DEP_2) | instskip(SKIP_1) | instid1(VALU_DEP_3)
	v_or_b32_e32 v106, v160, v106
	v_perm_b32 v160, v177, v176, 0x7030c0c
	v_dot4_i32_iu8 v151, v153, v126, v151 neg_lo:[1,1,0]
	s_delay_alu instid0(VALU_DEP_2) | instskip(SKIP_1) | instid1(VALU_DEP_3)
	v_or_b32_e32 v157, v160, v157
	v_dot4_i32_iu8 v160, v107, v132, 0 neg_lo:[1,1,0]
	v_dot4_i32_iu8 v151, v155, v127, v151 neg_lo:[1,1,0]
	s_delay_alu instid0(VALU_DEP_2) | instskip(NEXT) | instid1(VALU_DEP_2)
	v_dot4_i32_iu8 v160, v152, v134, v160 neg_lo:[1,1,0]
	v_dot4_i32_iu8 v151, v106, v128, v151 neg_lo:[1,1,0]
	s_delay_alu instid0(VALU_DEP_2) | instskip(NEXT) | instid1(VALU_DEP_1)
	v_dot4_i32_iu8 v160, v154, v135, v160 neg_lo:[1,1,0]
	v_dot4_i32_iu8 v160, v153, v136, v160 neg_lo:[1,1,0]
	s_delay_alu instid0(VALU_DEP_1) | instskip(NEXT) | instid1(VALU_DEP_1)
	v_dot4_i32_iu8 v160, v155, v137, v160 neg_lo:[1,1,0]
	v_dot4_i32_iu8 v168, v106, v139, v160 neg_lo:[1,1,0]
	;; [unrolled: 1-line block ×4, first 2 shown]
	s_delay_alu instid0(VALU_DEP_2) | instskip(NEXT) | instid1(VALU_DEP_2)
	v_dot4_i32_iu8 v160, v152, v83, v160 neg_lo:[1,1,0]
	v_dot4_i32_iu8 v107, v152, v144, v107 neg_lo:[1,1,0]
	v_add_nc_u32_e32 v152, 0x1c04, v111
	s_delay_alu instid0(VALU_DEP_3) | instskip(NEXT) | instid1(VALU_DEP_3)
	v_dot4_i32_iu8 v160, v154, v129, v160 neg_lo:[1,1,0]
	v_dot4_i32_iu8 v107, v154, v145, v107 neg_lo:[1,1,0]
	v_add_nc_u32_e32 v154, 0x1c14, v111
	s_delay_alu instid0(VALU_DEP_3) | instskip(NEXT) | instid1(VALU_DEP_3)
	v_dot4_i32_iu8 v160, v153, v130, v160 neg_lo:[1,1,0]
	v_dot4_i32_iu8 v107, v153, v146, v107 neg_lo:[1,1,0]
	s_delay_alu instid0(VALU_DEP_2) | instskip(NEXT) | instid1(VALU_DEP_2)
	v_dot4_i32_iu8 v160, v155, v131, v160 neg_lo:[1,1,0]
	v_dot4_i32_iu8 v107, v155, v147, v107 neg_lo:[1,1,0]
	s_delay_alu instid0(VALU_DEP_2) | instskip(NEXT) | instid1(VALU_DEP_2)
	v_dot4_i32_iu8 v170, v106, v133, v160 neg_lo:[1,1,0]
	v_dot4_i32_iu8 v172, v106, v148, v107 neg_lo:[1,1,0]
	v_add_nc_u32_e32 v106, 0x1c0c, v111
	ds_load_2addr_b32 v[106:107], v106 offset1:1
	ds_load_2addr_b32 v[152:153], v152 offset1:1
	ds_load_2addr_b32 v[154:155], v154 offset1:1
	v_add_nc_u32_e32 v160, 0x1c00, v111
	v_add_nc_u32_e32 v111, 32, v111
	ds_load_2addr_b32 v[160:161], v160 offset1:7
	s_wait_dscnt 0x3
	v_dual_lshlrev_b32 v173, 16, v107 :: v_dual_lshlrev_b32 v174, 8, v107
	v_perm_b32 v107, v107, v107, 0xc0c0003
	s_wait_dscnt 0x2
	v_dual_lshlrev_b32 v175, 16, v152 :: v_dual_lshlrev_b32 v176, 8, v152
	v_perm_b32 v152, v152, v152, 0xc0c0003
	v_perm_b32 v173, v174, v173, 0x7030c0c
	s_wait_dscnt 0x0
	v_dual_lshlrev_b32 v177, 16, v154 :: v_dual_lshlrev_b32 v219, 8, v161
	v_dual_lshlrev_b32 v178, 8, v154 :: v_dual_lshlrev_b32 v179, 16, v153
	s_delay_alu instid0(VALU_DEP_3) | instskip(SKIP_2) | instid1(VALU_DEP_3)
	v_dual_lshlrev_b32 v180, 8, v153 :: v_dual_bitop2_b32 v173, v173, v107 bitop3:0x54
	v_dual_lshlrev_b32 v181, 16, v155 :: v_dual_lshlrev_b32 v182, 8, v155
	v_lshlrev_b32_e32 v183, 16, v106
	v_dot4_i32_iu8 v107, v173, v123, 0 neg_lo:[1,1,0]
	v_perm_b32 v123, v176, v175, 0x7030c0c
	v_dual_lshlrev_b32 v217, 8, v106 :: v_dual_lshlrev_b32 v218, 16, v161
	v_perm_b32 v106, v106, v106, 0xc0c0003
	v_dot4_i32_iu8 v151, v157, v140, v151 neg_lo:[1,1,0]
	s_delay_alu instid0(VALU_DEP_4) | instskip(SKIP_1) | instid1(VALU_DEP_2)
	v_or_b32_e32 v123, v123, v152
	v_perm_b32 v152, v154, v154, 0xc0c0003
	v_dot4_i32_iu8 v107, v123, v124, v107 neg_lo:[1,1,0]
	v_perm_b32 v124, v178, v177, 0x7030c0c
	s_delay_alu instid0(VALU_DEP_1) | instskip(SKIP_1) | instid1(VALU_DEP_2)
	v_or_b32_e32 v152, v124, v152
	v_perm_b32 v124, v180, v179, 0x7030c0c
	v_dot4_i32_iu8 v107, v152, v125, v107 neg_lo:[1,1,0]
	v_perm_b32 v125, v153, v153, 0xc0c0003
	s_delay_alu instid0(VALU_DEP_1) | instskip(SKIP_2) | instid1(VALU_DEP_3)
	v_or_b32_e32 v153, v124, v125
	v_perm_b32 v124, v182, v181, 0x7030c0c
	v_perm_b32 v125, v155, v155, 0xc0c0003
	v_dot4_i32_iu8 v107, v153, v126, v107 neg_lo:[1,1,0]
	v_cvt_f32_i32_e32 v126, v84
	s_delay_alu instid0(VALU_DEP_3) | instskip(SKIP_1) | instid1(VALU_DEP_2)
	v_or_b32_e32 v154, v124, v125
	v_perm_b32 v124, v217, v183, 0x7030c0c
	v_dot4_i32_iu8 v107, v154, v127, v107 neg_lo:[1,1,0]
	s_delay_alu instid0(VALU_DEP_2) | instskip(SKIP_1) | instid1(VALU_DEP_2)
	v_or_b32_e32 v155, v124, v106
	v_perm_b32 v124, v161, v161, 0xc0c0003
	v_dot4_i32_iu8 v106, v155, v128, v107 neg_lo:[1,1,0]
	v_perm_b32 v107, v219, v218, 0x7030c0c
	s_delay_alu instid0(VALU_DEP_1) | instskip(SKIP_2) | instid1(VALU_DEP_3)
	v_or_b32_e32 v128, v107, v124
	v_cvt_f32_f16_e32 v107, v117
	v_lshrrev_b32_e32 v117, 16, v117
	v_dot4_i32_iu8 v106, v128, v140, v106 neg_lo:[1,1,0]
	s_delay_alu instid0(VALU_DEP_2) | instskip(SKIP_1) | instid1(VALU_DEP_3)
	v_cvt_f32_f16_e32 v125, v117
	v_lshrrev_b32_e32 v117, 16, v119
	v_dot4_i32_iu8 v120, v82, v160, v106 neg_lo:[1,1,0]
	v_dot4_i32_iu8 v82, v82, v156, v151 neg_lo:[1,1,0]
	v_cvt_f32_f16_e32 v106, v119
	s_delay_alu instid0(VALU_DEP_4) | instskip(SKIP_3) | instid1(VALU_DEP_3)
	v_cvt_f32_f16_e32 v124, v117
	v_perm_b32 v117, v85, v85, 0x2010003
	v_cvt_f32_i32_e32 v127, v120
	v_cvt_f32_i32_e32 v82, v82
	v_dot4_i32_iu8 v84, v97, v117, v150 neg_lo:[1,1,0]
	v_dot4_i32_iu8 v85, v138, v117, v149 neg_lo:[1,1,0]
	s_delay_alu instid0(VALU_DEP_4) | instskip(NEXT) | instid1(VALU_DEP_3)
	v_pk_fma_f32 v[106:107], v[106:107], v[126:127], v[124:125]
	v_dot4_i32_iu8 v84, v96, v80, v84 neg_lo:[1,1,0]
	s_delay_alu instid0(VALU_DEP_3) | instskip(NEXT) | instid1(VALU_DEP_3)
	v_dot4_i32_iu8 v90, v90, v80, v85 neg_lo:[1,1,0]
	v_pk_add_f32 v[6:7], v[6:7], v[106:107]
	s_delay_alu instid0(VALU_DEP_3) | instskip(NEXT) | instid1(VALU_DEP_3)
	v_cvt_f32_i32_e32 v85, v84
	v_cvt_f32_i32_e32 v84, v90
	s_delay_alu instid0(VALU_DEP_1) | instskip(NEXT) | instid1(VALU_DEP_1)
	v_pk_fma_f32 v[84:85], v[92:93], v[84:85], v[94:95]
	v_pk_add_f32 v[30:31], v[30:31], v[84:85]
	v_dot4_i32_iu8 v84, v105, v117, v164 neg_lo:[1,1,0]
	v_dot4_i32_iu8 v85, v162, v117, v163 neg_lo:[1,1,0]
	s_delay_alu instid0(VALU_DEP_2) | instskip(NEXT) | instid1(VALU_DEP_2)
	v_dot4_i32_iu8 v84, v104, v80, v84 neg_lo:[1,1,0]
	v_dot4_i32_iu8 v90, v98, v80, v85 neg_lo:[1,1,0]
	v_fma_mix_f32 v98, v167, v82, v167 op_sel:[0,0,1] op_sel_hi:[1,0,1]
	v_dot4_i32_iu8 v82, v173, v132, 0 neg_lo:[1,1,0]
	s_delay_alu instid0(VALU_DEP_4) | instskip(NEXT) | instid1(VALU_DEP_4)
	v_cvt_f32_i32_e32 v85, v84
	v_cvt_f32_i32_e32 v84, v90
	s_delay_alu instid0(VALU_DEP_4) | instskip(NEXT) | instid1(VALU_DEP_4)
	v_pk_add_f32 v[8:9], v[8:9], v[98:99]
	v_dot4_i32_iu8 v82, v123, v134, v82 neg_lo:[1,1,0]
	s_delay_alu instid0(VALU_DEP_3) | instskip(NEXT) | instid1(VALU_DEP_2)
	v_pk_fma_f32 v[84:85], v[100:101], v[84:85], v[102:103]
	v_dot4_i32_iu8 v82, v152, v135, v82 neg_lo:[1,1,0]
	s_delay_alu instid0(VALU_DEP_2) | instskip(SKIP_1) | instid1(VALU_DEP_3)
	v_pk_add_f32 v[20:21], v[20:21], v[84:85]
	v_dot4_i32_iu8 v84, v109, v117, v165 neg_lo:[1,1,0]
	v_dot4_i32_iu8 v82, v153, v136, v82 neg_lo:[1,1,0]
	s_delay_alu instid0(VALU_DEP_2) | instskip(NEXT) | instid1(VALU_DEP_2)
	v_dot4_i32_iu8 v84, v108, v80, v84 neg_lo:[1,1,0]
	v_dot4_i32_iu8 v82, v154, v137, v82 neg_lo:[1,1,0]
	s_delay_alu instid0(VALU_DEP_2) | instskip(NEXT) | instid1(VALU_DEP_2)
	v_cvt_f32_i32_e32 v84, v84
	v_dot4_i32_iu8 v82, v155, v139, v82 neg_lo:[1,1,0]
	s_delay_alu instid0(VALU_DEP_2) | instskip(NEXT) | instid1(VALU_DEP_2)
	v_fma_mix_f32 v90, v166, v84, v166 op_sel:[0,0,1] op_sel_hi:[1,0,1]
	v_dot4_i32_iu8 v82, v128, v117, v82 neg_lo:[1,1,0]
	v_dot4_i32_iu8 v84, v157, v117, v168 neg_lo:[1,1,0]
	s_delay_alu instid0(VALU_DEP_3) | instskip(SKIP_1) | instid1(VALU_DEP_3)
	v_pk_add_f32 v[12:13], v[12:13], v[90:91]
	v_pk_mul_f16 v90, v118, v159
	v_dot4_i32_iu8 v92, v156, v80, v84 neg_lo:[1,1,0]
	v_dot4_i32_iu8 v80, v160, v80, v82 neg_lo:[1,1,0]
	v_cvt_f32_f16_e64 v84, v169
	s_delay_alu instid0(VALU_DEP_4) | instskip(SKIP_1) | instid1(VALU_DEP_4)
	v_lshrrev_b32_e32 v82, 16, v90
	v_cvt_f32_f16_e32 v85, v90
	v_cvt_f32_i32_e32 v93, v80
	v_dot4_i32_iu8 v80, v173, v81, 0 neg_lo:[1,1,0]
	v_cvt_f32_i32_e32 v92, v92
	v_cvt_f32_f16_e32 v91, v82
	v_lshrrev_b32_e32 v82, 16, v169
	v_dot4_i32_iu8 v81, v157, v87, v170 neg_lo:[1,1,0]
	v_dot4_i32_iu8 v80, v123, v83, v80 neg_lo:[1,1,0]
	s_delay_alu instid0(VALU_DEP_3) | instskip(SKIP_1) | instid1(VALU_DEP_3)
	v_cvt_f32_f16_e32 v90, v82
	v_pk_mul_f16 v82, v121, v159
	v_dot4_i32_iu8 v80, v152, v129, v80 neg_lo:[1,1,0]
	s_delay_alu instid0(VALU_DEP_3) | instskip(NEXT) | instid1(VALU_DEP_2)
	v_pk_fma_f32 v[84:85], v[84:85], v[92:93], v[90:91]
	v_dot4_i32_iu8 v80, v153, v130, v80 neg_lo:[1,1,0]
	s_delay_alu instid0(VALU_DEP_2) | instskip(SKIP_4) | instid1(VALU_DEP_4)
	v_pk_add_f32 v[4:5], v[4:5], v[84:85]
	v_dot4_i32_iu8 v84, v156, v86, v81 neg_lo:[1,1,0]
	v_cvt_f32_f16_e32 v81, v82
	v_lshrrev_b32_e32 v82, 16, v82
	v_dot4_i32_iu8 v80, v154, v131, v80 neg_lo:[1,1,0]
	v_cvt_f32_i32_e32 v84, v84
	s_delay_alu instid0(VALU_DEP_3) | instskip(NEXT) | instid1(VALU_DEP_3)
	v_cvt_f32_f16_e32 v83, v82
	v_dot4_i32_iu8 v80, v155, v133, v80 neg_lo:[1,1,0]
	v_lshrrev_b32_e32 v82, 16, v171
	s_delay_alu instid0(VALU_DEP_2) | instskip(NEXT) | instid1(VALU_DEP_2)
	v_dot4_i32_iu8 v80, v128, v87, v80 neg_lo:[1,1,0]
	v_cvt_f32_f16_e32 v82, v82
	s_delay_alu instid0(VALU_DEP_2) | instskip(SKIP_1) | instid1(VALU_DEP_2)
	v_dot4_i32_iu8 v85, v160, v86, v80 neg_lo:[1,1,0]
	v_cvt_f32_f16_e64 v80, v171
	v_cvt_f32_i32_e32 v85, v85
	s_delay_alu instid0(VALU_DEP_1) | instskip(SKIP_1) | instid1(VALU_DEP_2)
	v_pk_fma_f32 v[80:81], v[80:81], v[84:85], v[82:83]
	v_pk_mul_f16 v82, v122, v159
	v_pk_add_f32 v[2:3], v[2:3], v[80:81]
	v_dot4_i32_iu8 v80, v173, v143, 0 neg_lo:[1,1,0]
	v_dot4_i32_iu8 v81, v157, v89, v172 neg_lo:[1,1,0]
	s_delay_alu instid0(VALU_DEP_2) | instskip(NEXT) | instid1(VALU_DEP_2)
	v_dot4_i32_iu8 v80, v123, v144, v80 neg_lo:[1,1,0]
	v_dot4_i32_iu8 v84, v156, v88, v81 neg_lo:[1,1,0]
	v_cvt_f32_f16_e32 v81, v82
	v_lshrrev_b32_e32 v82, 16, v82
	s_delay_alu instid0(VALU_DEP_4) | instskip(NEXT) | instid1(VALU_DEP_4)
	v_dot4_i32_iu8 v80, v152, v145, v80 neg_lo:[1,1,0]
	v_cvt_f32_i32_e32 v84, v84
	s_delay_alu instid0(VALU_DEP_3) | instskip(SKIP_1) | instid1(VALU_DEP_4)
	v_cvt_f32_f16_e32 v83, v82
	v_lshrrev_b32_e32 v82, 16, v158
	v_dot4_i32_iu8 v80, v153, v146, v80 neg_lo:[1,1,0]
	s_delay_alu instid0(VALU_DEP_2) | instskip(NEXT) | instid1(VALU_DEP_2)
	v_cvt_f32_f16_e32 v82, v82
	v_dot4_i32_iu8 v80, v154, v147, v80 neg_lo:[1,1,0]
	s_delay_alu instid0(VALU_DEP_1) | instskip(NEXT) | instid1(VALU_DEP_1)
	v_dot4_i32_iu8 v80, v155, v148, v80 neg_lo:[1,1,0]
	v_dot4_i32_iu8 v80, v128, v89, v80 neg_lo:[1,1,0]
	s_delay_alu instid0(VALU_DEP_1) | instskip(SKIP_1) | instid1(VALU_DEP_2)
	v_dot4_i32_iu8 v85, v160, v88, v80 neg_lo:[1,1,0]
	v_cvt_f32_f16_e64 v80, v158
	v_cvt_f32_i32_e32 v85, v85
	s_delay_alu instid0(VALU_DEP_1) | instskip(NEXT) | instid1(VALU_DEP_1)
	v_pk_fma_f32 v[80:81], v[80:81], v[84:85], v[82:83]
	v_pk_add_f32 v[0:1], v[0:1], v[80:81]
	s_cbranch_scc1 .LBB163_12
; %bb.13:                               ;   in Loop: Header=BB163_7 Depth=1
	s_barrier_signal -1
	s_barrier_wait -1
	s_branch .LBB163_6
.LBB163_14:
	v_dual_mov_b32 v24, v25 :: v_dual_mov_b32 v26, v29
	s_mov_b32 s0, exec_lo
	v_cmpx_gt_u32_e64 s4, v39
	s_cbranch_execz .LBB163_3
.LBB163_15:
	v_mul_lo_u32 v28, v39, s6
	v_add_nc_u32_e32 v25, s14, v26
	s_delay_alu instid0(VALU_DEP_1)
	v_cmp_gt_u32_e32 vcc_lo, s6, v25
	s_and_saveexec_b32 s1, vcc_lo
	s_cbranch_execz .LBB163_17
; %bb.16:
	v_bfe_u32 v26, v36, 16, 1
	v_cmp_o_f32_e64 s0, v36, v36
	v_add_nc_u32_e32 v27, v25, v28
	s_delay_alu instid0(VALU_DEP_3) | instskip(NEXT) | instid1(VALU_DEP_1)
	v_add3_u32 v26, v36, v26, 0x7fff
	v_lshrrev_b32_e32 v26, 16, v26
	s_delay_alu instid0(VALU_DEP_1)
	v_cndmask_b32_e64 v26, 0x7fc0, v26, s0
	s_wait_kmcnt 0x0
	global_store_b16 v27, v26, s[8:9] scale_offset
.LBB163_17:
	s_wait_xcnt 0x0
	s_or_b32 exec_lo, exec_lo, s1
	v_add_nc_u32_e32 v26, 32, v25
	s_delay_alu instid0(VALU_DEP_1)
	v_cmp_gt_u32_e64 s0, s6, v26
	s_and_saveexec_b32 s2, s0
	s_cbranch_execz .LBB163_19
; %bb.18:
	v_bfe_u32 v27, v6, 16, 1
	v_cmp_o_f32_e64 s1, v6, v6
	s_delay_alu instid0(VALU_DEP_2) | instskip(NEXT) | instid1(VALU_DEP_1)
	v_add3_u32 v27, v6, v27, 0x7fff
	v_lshrrev_b32_e32 v27, 16, v27
	s_delay_alu instid0(VALU_DEP_1)
	v_cndmask_b32_e64 v6, 0x7fc0, v27, s1
	v_add_nc_u32_e32 v27, v26, v28
	s_wait_kmcnt 0x0
	global_store_b16 v27, v6, s[8:9] scale_offset
.LBB163_19:
	s_wait_xcnt 0x0
	s_or_b32 exec_lo, exec_lo, s2
	v_add_nc_u32_e32 v6, 64, v25
	s_delay_alu instid0(VALU_DEP_1)
	v_cmp_gt_u32_e64 s1, s6, v6
	s_and_saveexec_b32 s3, s1
	s_cbranch_execz .LBB163_21
; %bb.20:
	v_bfe_u32 v27, v34, 16, 1
	v_cmp_o_f32_e64 s2, v34, v34
	v_add_nc_u32_e32 v29, v6, v28
	s_delay_alu instid0(VALU_DEP_3) | instskip(NEXT) | instid1(VALU_DEP_1)
	v_add3_u32 v27, v34, v27, 0x7fff
	v_lshrrev_b32_e32 v27, 16, v27
	s_delay_alu instid0(VALU_DEP_1)
	v_cndmask_b32_e64 v27, 0x7fc0, v27, s2
	s_wait_kmcnt 0x0
	global_store_b16 v29, v27, s[8:9] scale_offset
.LBB163_21:
	s_wait_xcnt 0x0
	s_or_b32 exec_lo, exec_lo, s3
	v_add_nc_u32_e32 v27, 0x60, v25
	s_delay_alu instid0(VALU_DEP_1)
	v_cmp_gt_u32_e64 s2, s6, v27
	s_and_saveexec_b32 s5, s2
	s_cbranch_execz .LBB163_23
; %bb.22:
	v_bfe_u32 v29, v32, 16, 1
	v_cmp_o_f32_e64 s3, v32, v32
	v_add_nc_u32_e32 v28, v27, v28
	s_delay_alu instid0(VALU_DEP_3) | instskip(NEXT) | instid1(VALU_DEP_1)
	v_add3_u32 v29, v32, v29, 0x7fff
	v_lshrrev_b32_e32 v29, 16, v29
	s_delay_alu instid0(VALU_DEP_1)
	v_cndmask_b32_e64 v29, 0x7fc0, v29, s3
	s_wait_kmcnt 0x0
	global_store_b16 v28, v29, s[8:9] scale_offset
.LBB163_23:
	s_wait_xcnt 0x0
	s_or_b32 exec_lo, exec_lo, s5
	v_add3_u32 v28, v24, s7, 8
	s_delay_alu instid0(VALU_DEP_1)
	v_cmp_gt_u32_e64 s3, s4, v28
	s_and_b32 exec_lo, exec_lo, s3
	s_cbranch_execz .LBB163_3
; %bb.24:
	v_mul_lo_u32 v28, v28, s6
	s_and_saveexec_b32 s5, vcc_lo
	s_cbranch_execnz .LBB163_64
; %bb.25:
	s_or_b32 exec_lo, exec_lo, s5
	s_and_saveexec_b32 s5, s0
	s_cbranch_execnz .LBB163_65
.LBB163_26:
	s_or_b32 exec_lo, exec_lo, s5
	s_and_saveexec_b32 s5, s1
	s_cbranch_execnz .LBB163_66
.LBB163_27:
	s_or_b32 exec_lo, exec_lo, s5
	s_and_saveexec_b32 s5, s2
	s_cbranch_execz .LBB163_29
.LBB163_28:
	v_bfe_u32 v29, v33, 16, 1
	v_cmp_o_f32_e64 s3, v33, v33
	v_add_nc_u32_e32 v28, v28, v27
	s_delay_alu instid0(VALU_DEP_3) | instskip(NEXT) | instid1(VALU_DEP_1)
	v_add3_u32 v29, v33, v29, 0x7fff
	v_lshrrev_b32_e32 v29, 16, v29
	s_delay_alu instid0(VALU_DEP_1)
	v_cndmask_b32_e64 v29, 0x7fc0, v29, s3
	s_wait_kmcnt 0x0
	global_store_b16 v28, v29, s[8:9] scale_offset
.LBB163_29:
	s_wait_xcnt 0x0
	s_or_b32 exec_lo, exec_lo, s5
	v_add3_u32 v28, v24, s7, 16
	s_delay_alu instid0(VALU_DEP_1)
	v_cmp_gt_u32_e64 s3, s4, v28
	s_and_b32 exec_lo, exec_lo, s3
	s_cbranch_execz .LBB163_3
; %bb.30:
	v_mul_lo_u32 v28, v28, s6
	s_and_saveexec_b32 s5, vcc_lo
	s_cbranch_execnz .LBB163_67
; %bb.31:
	s_or_b32 exec_lo, exec_lo, s5
	s_and_saveexec_b32 s5, s0
	s_cbranch_execnz .LBB163_68
.LBB163_32:
	s_or_b32 exec_lo, exec_lo, s5
	s_and_saveexec_b32 s5, s1
	s_cbranch_execnz .LBB163_69
.LBB163_33:
	s_or_b32 exec_lo, exec_lo, s5
	s_and_saveexec_b32 s5, s2
	s_cbranch_execz .LBB163_35
.LBB163_34:
	v_bfe_u32 v13, v11, 16, 1
	v_cmp_o_f32_e64 s3, v11, v11
	s_delay_alu instid0(VALU_DEP_2) | instskip(NEXT) | instid1(VALU_DEP_1)
	v_add3_u32 v13, v11, v13, 0x7fff
	v_lshrrev_b32_e32 v13, 16, v13
	s_delay_alu instid0(VALU_DEP_1)
	v_cndmask_b32_e64 v11, 0x7fc0, v13, s3
	v_add_nc_u32_e32 v13, v28, v27
	s_wait_kmcnt 0x0
	global_store_b16 v13, v11, s[8:9] scale_offset
.LBB163_35:
	s_wait_xcnt 0x0
	s_or_b32 exec_lo, exec_lo, s5
	v_add3_u32 v11, v24, s7, 24
	s_delay_alu instid0(VALU_DEP_1)
	v_cmp_gt_u32_e64 s3, s4, v11
	s_and_b32 exec_lo, exec_lo, s3
	s_cbranch_execz .LBB163_3
; %bb.36:
	v_mul_lo_u32 v11, v11, s6
	s_and_saveexec_b32 s5, vcc_lo
	s_cbranch_execnz .LBB163_70
; %bb.37:
	s_or_b32 exec_lo, exec_lo, s5
	s_and_saveexec_b32 s5, s0
	s_cbranch_execnz .LBB163_71
.LBB163_38:
	s_or_b32 exec_lo, exec_lo, s5
	s_and_saveexec_b32 s5, s1
	s_cbranch_execnz .LBB163_72
.LBB163_39:
	s_or_b32 exec_lo, exec_lo, s5
	s_and_saveexec_b32 s5, s2
	s_cbranch_execz .LBB163_41
.LBB163_40:
	v_bfe_u32 v13, v16, 16, 1
	v_cmp_o_f32_e64 s3, v16, v16
	v_add_nc_u32_e32 v11, v11, v27
	s_delay_alu instid0(VALU_DEP_3) | instskip(NEXT) | instid1(VALU_DEP_1)
	v_add3_u32 v13, v16, v13, 0x7fff
	v_lshrrev_b32_e32 v13, 16, v13
	s_delay_alu instid0(VALU_DEP_1)
	v_cndmask_b32_e64 v13, 0x7fc0, v13, s3
	s_wait_kmcnt 0x0
	global_store_b16 v11, v13, s[8:9] scale_offset
.LBB163_41:
	s_wait_xcnt 0x0
	s_or_b32 exec_lo, exec_lo, s5
	v_add3_u32 v11, v24, s7, 32
	s_delay_alu instid0(VALU_DEP_1)
	v_cmp_gt_u32_e64 s3, s4, v11
	s_and_b32 exec_lo, exec_lo, s3
	s_cbranch_execz .LBB163_3
; %bb.42:
	v_mul_lo_u32 v11, v11, s6
	s_and_saveexec_b32 s5, vcc_lo
	s_cbranch_execnz .LBB163_73
; %bb.43:
	s_or_b32 exec_lo, exec_lo, s5
	s_and_saveexec_b32 s5, s0
	s_cbranch_execnz .LBB163_74
.LBB163_44:
	s_or_b32 exec_lo, exec_lo, s5
	s_and_saveexec_b32 s5, s1
	s_cbranch_execnz .LBB163_75
.LBB163_45:
	s_or_b32 exec_lo, exec_lo, s5
	s_and_saveexec_b32 s5, s2
	s_cbranch_execz .LBB163_47
.LBB163_46:
	v_bfe_u32 v13, v17, 16, 1
	v_cmp_o_f32_e64 s3, v17, v17
	v_add_nc_u32_e32 v11, v11, v27
	s_delay_alu instid0(VALU_DEP_3) | instskip(NEXT) | instid1(VALU_DEP_1)
	v_add3_u32 v13, v17, v13, 0x7fff
	v_lshrrev_b32_e32 v13, 16, v13
	s_delay_alu instid0(VALU_DEP_1)
	v_cndmask_b32_e64 v13, 0x7fc0, v13, s3
	s_wait_kmcnt 0x0
	global_store_b16 v11, v13, s[8:9] scale_offset
.LBB163_47:
	s_wait_xcnt 0x0
	s_or_b32 exec_lo, exec_lo, s5
	v_add3_u32 v11, v24, s7, 40
	s_delay_alu instid0(VALU_DEP_1)
	v_cmp_gt_u32_e64 s3, s4, v11
	s_and_b32 exec_lo, exec_lo, s3
	s_cbranch_execz .LBB163_3
; %bb.48:
	v_mul_lo_u32 v11, v11, s6
	s_and_saveexec_b32 s5, vcc_lo
	s_cbranch_execnz .LBB163_76
; %bb.49:
	s_or_b32 exec_lo, exec_lo, s5
	s_and_saveexec_b32 s5, s0
	s_cbranch_execnz .LBB163_77
.LBB163_50:
	s_or_b32 exec_lo, exec_lo, s5
	s_and_saveexec_b32 s5, s1
	s_cbranch_execnz .LBB163_78
.LBB163_51:
	s_or_b32 exec_lo, exec_lo, s5
	s_and_saveexec_b32 s5, s2
	s_cbranch_execz .LBB163_53
.LBB163_52:
	v_bfe_u32 v10, v9, 16, 1
	v_cmp_o_f32_e64 s3, v9, v9
	s_delay_alu instid0(VALU_DEP_2) | instskip(NEXT) | instid1(VALU_DEP_1)
	v_add3_u32 v10, v9, v10, 0x7fff
	v_lshrrev_b32_e32 v10, 16, v10
	s_delay_alu instid0(VALU_DEP_1)
	v_cndmask_b32_e64 v9, 0x7fc0, v10, s3
	v_add_nc_u32_e32 v10, v11, v27
	s_wait_kmcnt 0x0
	global_store_b16 v10, v9, s[8:9] scale_offset
.LBB163_53:
	s_wait_xcnt 0x0
	s_or_b32 exec_lo, exec_lo, s5
	v_add3_u32 v9, v24, s7, 48
	s_delay_alu instid0(VALU_DEP_1)
	v_cmp_gt_u32_e64 s3, s4, v9
	s_and_b32 exec_lo, exec_lo, s3
	s_cbranch_execz .LBB163_3
; %bb.54:
	v_mul_lo_u32 v9, v9, s6
	s_and_saveexec_b32 s5, vcc_lo
	s_cbranch_execnz .LBB163_79
; %bb.55:
	s_or_b32 exec_lo, exec_lo, s5
	s_and_saveexec_b32 s5, s0
	s_cbranch_execnz .LBB163_80
.LBB163_56:
	s_or_b32 exec_lo, exec_lo, s5
	s_and_saveexec_b32 s5, s1
	s_cbranch_execnz .LBB163_81
.LBB163_57:
	s_or_b32 exec_lo, exec_lo, s5
	s_and_saveexec_b32 s5, s2
	s_cbranch_execz .LBB163_59
.LBB163_58:
	v_bfe_u32 v2, v0, 16, 1
	v_cmp_o_f32_e64 s3, v0, v0
	s_delay_alu instid0(VALU_DEP_2) | instskip(NEXT) | instid1(VALU_DEP_1)
	v_add3_u32 v2, v0, v2, 0x7fff
	v_lshrrev_b32_e32 v2, 16, v2
	s_delay_alu instid0(VALU_DEP_1)
	v_cndmask_b32_e64 v0, 0x7fc0, v2, s3
	v_add_nc_u32_e32 v2, v9, v27
	s_wait_kmcnt 0x0
	global_store_b16 v2, v0, s[8:9] scale_offset
.LBB163_59:
	s_wait_xcnt 0x0
	s_or_b32 exec_lo, exec_lo, s5
	v_add3_u32 v0, v24, s7, 56
	s_delay_alu instid0(VALU_DEP_1)
	v_cmp_gt_u32_e64 s3, s4, v0
	s_and_b32 exec_lo, exec_lo, s3
	s_cbranch_execz .LBB163_3
; %bb.60:
	v_mul_lo_u32 v0, v0, s6
	s_and_saveexec_b32 s3, vcc_lo
	s_cbranch_execnz .LBB163_82
; %bb.61:
	s_or_b32 exec_lo, exec_lo, s3
	s_and_saveexec_b32 s3, s0
	s_cbranch_execnz .LBB163_83
.LBB163_62:
	s_or_b32 exec_lo, exec_lo, s3
	s_and_saveexec_b32 s0, s1
	s_cbranch_execnz .LBB163_84
.LBB163_63:
	s_or_b32 exec_lo, exec_lo, s0
	s_delay_alu instid0(SALU_CYCLE_1)
	s_and_b32 exec_lo, exec_lo, s2
	s_cbranch_execz .LBB163_3
	s_branch .LBB163_85
.LBB163_64:
	v_bfe_u32 v29, v37, 16, 1
	v_cmp_o_f32_e64 s3, v37, v37
	s_delay_alu instid0(VALU_DEP_3) | instskip(NEXT) | instid1(VALU_DEP_3)
	v_add_nc_u32_e32 v32, v28, v25
	v_add3_u32 v29, v37, v29, 0x7fff
	s_delay_alu instid0(VALU_DEP_1) | instskip(NEXT) | instid1(VALU_DEP_1)
	v_lshrrev_b32_e32 v29, 16, v29
	v_cndmask_b32_e64 v29, 0x7fc0, v29, s3
	s_wait_kmcnt 0x0
	global_store_b16 v32, v29, s[8:9] scale_offset
	s_wait_xcnt 0x0
	s_or_b32 exec_lo, exec_lo, s5
	s_and_saveexec_b32 s5, s0
	s_cbranch_execz .LBB163_26
.LBB163_65:
	v_bfe_u32 v29, v30, 16, 1
	v_cmp_o_f32_e64 s3, v30, v30
	s_delay_alu instid0(VALU_DEP_2) | instskip(NEXT) | instid1(VALU_DEP_1)
	v_add3_u32 v29, v30, v29, 0x7fff
	v_dual_add_nc_u32 v30, v28, v26 :: v_dual_lshrrev_b32 v29, 16, v29
	s_delay_alu instid0(VALU_DEP_1)
	v_cndmask_b32_e64 v29, 0x7fc0, v29, s3
	s_wait_kmcnt 0x0
	global_store_b16 v30, v29, s[8:9] scale_offset
	s_wait_xcnt 0x0
	s_or_b32 exec_lo, exec_lo, s5
	s_and_saveexec_b32 s5, s1
	s_cbranch_execz .LBB163_27
.LBB163_66:
	v_bfe_u32 v29, v35, 16, 1
	v_cmp_o_f32_e64 s3, v35, v35
	v_add_nc_u32_e32 v30, v28, v6
	s_delay_alu instid0(VALU_DEP_3) | instskip(NEXT) | instid1(VALU_DEP_1)
	v_add3_u32 v29, v35, v29, 0x7fff
	v_lshrrev_b32_e32 v29, 16, v29
	s_delay_alu instid0(VALU_DEP_1)
	v_cndmask_b32_e64 v29, 0x7fc0, v29, s3
	s_wait_kmcnt 0x0
	global_store_b16 v30, v29, s[8:9] scale_offset
	s_wait_xcnt 0x0
	s_or_b32 exec_lo, exec_lo, s5
	s_and_saveexec_b32 s5, s2
	s_cbranch_execnz .LBB163_28
	s_branch .LBB163_29
.LBB163_67:
	v_bfe_u32 v29, v22, 16, 1
	v_cmp_o_f32_e64 s3, v22, v22
	s_delay_alu instid0(VALU_DEP_2) | instskip(NEXT) | instid1(VALU_DEP_1)
	v_add3_u32 v29, v22, v29, 0x7fff
	v_lshrrev_b32_e32 v29, 16, v29
	s_delay_alu instid0(VALU_DEP_1)
	v_cndmask_b32_e64 v22, 0x7fc0, v29, s3
	v_add_nc_u32_e32 v29, v28, v25
	s_wait_kmcnt 0x0
	global_store_b16 v29, v22, s[8:9] scale_offset
	s_wait_xcnt 0x0
	s_or_b32 exec_lo, exec_lo, s5
	s_and_saveexec_b32 s5, s0
	s_cbranch_execz .LBB163_32
.LBB163_68:
	v_bfe_u32 v22, v31, 16, 1
	v_cmp_o_f32_e64 s3, v31, v31
	s_delay_alu instid0(VALU_DEP_3) | instskip(NEXT) | instid1(VALU_DEP_3)
	v_add_nc_u32_e32 v29, v28, v26
	v_add3_u32 v22, v31, v22, 0x7fff
	s_delay_alu instid0(VALU_DEP_1) | instskip(NEXT) | instid1(VALU_DEP_1)
	v_lshrrev_b32_e32 v22, 16, v22
	v_cndmask_b32_e64 v22, 0x7fc0, v22, s3
	s_wait_kmcnt 0x0
	global_store_b16 v29, v22, s[8:9] scale_offset
	s_wait_xcnt 0x0
	s_or_b32 exec_lo, exec_lo, s5
	s_and_saveexec_b32 s5, s1
	s_cbranch_execz .LBB163_33
.LBB163_69:
	v_bfe_u32 v22, v13, 16, 1
	v_cmp_o_f32_e64 s3, v13, v13
	s_delay_alu instid0(VALU_DEP_2) | instskip(NEXT) | instid1(VALU_DEP_1)
	v_add3_u32 v22, v13, v22, 0x7fff
	v_lshrrev_b32_e32 v22, 16, v22
	s_delay_alu instid0(VALU_DEP_1)
	v_cndmask_b32_e64 v13, 0x7fc0, v22, s3
	v_add_nc_u32_e32 v22, v28, v6
	s_wait_kmcnt 0x0
	global_store_b16 v22, v13, s[8:9] scale_offset
	s_wait_xcnt 0x0
	s_or_b32 exec_lo, exec_lo, s5
	s_and_saveexec_b32 s5, s2
	s_cbranch_execnz .LBB163_34
	s_branch .LBB163_35
.LBB163_70:
	v_bfe_u32 v13, v23, 16, 1
	v_cmp_o_f32_e64 s3, v23, v23
	s_delay_alu instid0(VALU_DEP_3) | instskip(NEXT) | instid1(VALU_DEP_3)
	v_add_nc_u32_e32 v22, v11, v25
	v_add3_u32 v13, v23, v13, 0x7fff
	s_delay_alu instid0(VALU_DEP_1) | instskip(NEXT) | instid1(VALU_DEP_1)
	v_lshrrev_b32_e32 v13, 16, v13
	v_cndmask_b32_e64 v13, 0x7fc0, v13, s3
	s_wait_kmcnt 0x0
	global_store_b16 v22, v13, s[8:9] scale_offset
	s_wait_xcnt 0x0
	s_or_b32 exec_lo, exec_lo, s5
	s_and_saveexec_b32 s5, s0
	s_cbranch_execz .LBB163_38
.LBB163_71:
	v_bfe_u32 v13, v20, 16, 1
	v_cmp_o_f32_e64 s3, v20, v20
	s_delay_alu instid0(VALU_DEP_2) | instskip(NEXT) | instid1(VALU_DEP_1)
	v_add3_u32 v13, v20, v13, 0x7fff
	v_dual_add_nc_u32 v20, v11, v26 :: v_dual_lshrrev_b32 v13, 16, v13
	s_delay_alu instid0(VALU_DEP_1)
	v_cndmask_b32_e64 v13, 0x7fc0, v13, s3
	s_wait_kmcnt 0x0
	global_store_b16 v20, v13, s[8:9] scale_offset
	s_wait_xcnt 0x0
	s_or_b32 exec_lo, exec_lo, s5
	s_and_saveexec_b32 s5, s1
	s_cbranch_execz .LBB163_39
.LBB163_72:
	v_bfe_u32 v13, v18, 16, 1
	v_cmp_o_f32_e64 s3, v18, v18
	s_delay_alu instid0(VALU_DEP_2) | instskip(NEXT) | instid1(VALU_DEP_1)
	v_add3_u32 v13, v18, v13, 0x7fff
	v_dual_add_nc_u32 v18, v11, v6 :: v_dual_lshrrev_b32 v13, 16, v13
	s_delay_alu instid0(VALU_DEP_1)
	v_cndmask_b32_e64 v13, 0x7fc0, v13, s3
	s_wait_kmcnt 0x0
	global_store_b16 v18, v13, s[8:9] scale_offset
	s_wait_xcnt 0x0
	s_or_b32 exec_lo, exec_lo, s5
	s_and_saveexec_b32 s5, s2
	s_cbranch_execnz .LBB163_40
	s_branch .LBB163_41
.LBB163_73:
	v_bfe_u32 v13, v14, 16, 1
	v_cmp_o_f32_e64 s3, v14, v14
	s_delay_alu instid0(VALU_DEP_2) | instskip(NEXT) | instid1(VALU_DEP_4)
	v_add3_u32 v13, v14, v13, 0x7fff
	v_add_nc_u32_e32 v14, v11, v25
	s_delay_alu instid0(VALU_DEP_2) | instskip(NEXT) | instid1(VALU_DEP_1)
	v_lshrrev_b32_e32 v13, 16, v13
	v_cndmask_b32_e64 v13, 0x7fc0, v13, s3
	s_wait_kmcnt 0x0
	global_store_b16 v14, v13, s[8:9] scale_offset
	s_wait_xcnt 0x0
	s_or_b32 exec_lo, exec_lo, s5
	s_and_saveexec_b32 s5, s0
	s_cbranch_execz .LBB163_44
.LBB163_74:
	v_bfe_u32 v13, v21, 16, 1
	v_cmp_o_f32_e64 s3, v21, v21
	s_delay_alu instid0(VALU_DEP_3) | instskip(NEXT) | instid1(VALU_DEP_3)
	v_add_nc_u32_e32 v14, v11, v26
	v_add3_u32 v13, v21, v13, 0x7fff
	s_delay_alu instid0(VALU_DEP_1) | instskip(NEXT) | instid1(VALU_DEP_1)
	v_lshrrev_b32_e32 v13, 16, v13
	v_cndmask_b32_e64 v13, 0x7fc0, v13, s3
	s_wait_kmcnt 0x0
	global_store_b16 v14, v13, s[8:9] scale_offset
	s_wait_xcnt 0x0
	s_or_b32 exec_lo, exec_lo, s5
	s_and_saveexec_b32 s5, s1
	s_cbranch_execz .LBB163_45
.LBB163_75:
	v_bfe_u32 v13, v19, 16, 1
	v_cmp_o_f32_e64 s3, v19, v19
	v_add_nc_u32_e32 v14, v11, v6
	s_delay_alu instid0(VALU_DEP_3) | instskip(NEXT) | instid1(VALU_DEP_1)
	v_add3_u32 v13, v19, v13, 0x7fff
	v_lshrrev_b32_e32 v13, 16, v13
	s_delay_alu instid0(VALU_DEP_1)
	v_cndmask_b32_e64 v13, 0x7fc0, v13, s3
	s_wait_kmcnt 0x0
	global_store_b16 v14, v13, s[8:9] scale_offset
	s_wait_xcnt 0x0
	s_or_b32 exec_lo, exec_lo, s5
	s_and_saveexec_b32 s5, s2
	s_cbranch_execnz .LBB163_46
	s_branch .LBB163_47
.LBB163_76:
	v_bfe_u32 v13, v15, 16, 1
	v_cmp_o_f32_e64 s3, v15, v15
	s_delay_alu instid0(VALU_DEP_3) | instskip(NEXT) | instid1(VALU_DEP_3)
	v_add_nc_u32_e32 v14, v11, v25
	v_add3_u32 v13, v15, v13, 0x7fff
	s_delay_alu instid0(VALU_DEP_1) | instskip(NEXT) | instid1(VALU_DEP_1)
	v_lshrrev_b32_e32 v13, 16, v13
	v_cndmask_b32_e64 v13, 0x7fc0, v13, s3
	s_wait_kmcnt 0x0
	global_store_b16 v14, v13, s[8:9] scale_offset
	s_wait_xcnt 0x0
	s_or_b32 exec_lo, exec_lo, s5
	s_and_saveexec_b32 s5, s0
	s_cbranch_execz .LBB163_50
.LBB163_77:
	v_bfe_u32 v13, v12, 16, 1
	v_cmp_o_f32_e64 s3, v12, v12
	s_delay_alu instid0(VALU_DEP_2) | instskip(NEXT) | instid1(VALU_DEP_1)
	v_add3_u32 v13, v12, v13, 0x7fff
	v_lshrrev_b32_e32 v13, 16, v13
	s_delay_alu instid0(VALU_DEP_1)
	v_cndmask_b32_e64 v12, 0x7fc0, v13, s3
	v_add_nc_u32_e32 v13, v11, v26
	s_wait_kmcnt 0x0
	global_store_b16 v13, v12, s[8:9] scale_offset
	s_wait_xcnt 0x0
	s_or_b32 exec_lo, exec_lo, s5
	s_and_saveexec_b32 s5, s1
	s_cbranch_execz .LBB163_51
.LBB163_78:
	v_bfe_u32 v12, v10, 16, 1
	v_cmp_o_f32_e64 s3, v10, v10
	s_delay_alu instid0(VALU_DEP_2) | instskip(NEXT) | instid1(VALU_DEP_1)
	v_add3_u32 v12, v10, v12, 0x7fff
	v_lshrrev_b32_e32 v12, 16, v12
	s_delay_alu instid0(VALU_DEP_1)
	v_cndmask_b32_e64 v10, 0x7fc0, v12, s3
	v_add_nc_u32_e32 v12, v11, v6
	s_wait_kmcnt 0x0
	global_store_b16 v12, v10, s[8:9] scale_offset
	s_wait_xcnt 0x0
	s_or_b32 exec_lo, exec_lo, s5
	s_and_saveexec_b32 s5, s2
	s_cbranch_execnz .LBB163_52
	s_branch .LBB163_53
.LBB163_79:
	v_bfe_u32 v10, v8, 16, 1
	v_cmp_o_f32_e64 s3, v8, v8
	s_delay_alu instid0(VALU_DEP_2) | instskip(NEXT) | instid1(VALU_DEP_1)
	v_add3_u32 v10, v8, v10, 0x7fff
	v_lshrrev_b32_e32 v10, 16, v10
	s_delay_alu instid0(VALU_DEP_1)
	v_cndmask_b32_e64 v8, 0x7fc0, v10, s3
	v_add_nc_u32_e32 v10, v9, v25
	s_wait_kmcnt 0x0
	global_store_b16 v10, v8, s[8:9] scale_offset
	s_wait_xcnt 0x0
	s_or_b32 exec_lo, exec_lo, s5
	s_and_saveexec_b32 s5, s0
	s_cbranch_execz .LBB163_56
.LBB163_80:
	v_bfe_u32 v8, v4, 16, 1
	v_cmp_o_f32_e64 s3, v4, v4
	s_delay_alu instid0(VALU_DEP_2) | instskip(NEXT) | instid1(VALU_DEP_1)
	v_add3_u32 v8, v4, v8, 0x7fff
	v_lshrrev_b32_e32 v8, 16, v8
	s_delay_alu instid0(VALU_DEP_1)
	v_cndmask_b32_e64 v4, 0x7fc0, v8, s3
	v_add_nc_u32_e32 v8, v9, v26
	s_wait_kmcnt 0x0
	global_store_b16 v8, v4, s[8:9] scale_offset
	s_wait_xcnt 0x0
	s_or_b32 exec_lo, exec_lo, s5
	s_and_saveexec_b32 s5, s1
	s_cbranch_execz .LBB163_57
.LBB163_81:
	v_bfe_u32 v4, v2, 16, 1
	v_cmp_o_f32_e64 s3, v2, v2
	s_delay_alu instid0(VALU_DEP_2) | instskip(NEXT) | instid1(VALU_DEP_1)
	v_add3_u32 v4, v2, v4, 0x7fff
	v_lshrrev_b32_e32 v4, 16, v4
	s_delay_alu instid0(VALU_DEP_1)
	v_cndmask_b32_e64 v2, 0x7fc0, v4, s3
	v_add_nc_u32_e32 v4, v9, v6
	s_wait_kmcnt 0x0
	global_store_b16 v4, v2, s[8:9] scale_offset
	s_wait_xcnt 0x0
	s_or_b32 exec_lo, exec_lo, s5
	s_and_saveexec_b32 s5, s2
	s_cbranch_execnz .LBB163_58
	s_branch .LBB163_59
.LBB163_82:
	v_bfe_u32 v2, v7, 16, 1
	v_cmp_o_f32_e32 vcc_lo, v7, v7
	s_delay_alu instid0(VALU_DEP_3) | instskip(NEXT) | instid1(VALU_DEP_3)
	v_add_nc_u32_e32 v4, v0, v25
	v_add3_u32 v2, v7, v2, 0x7fff
	s_delay_alu instid0(VALU_DEP_1) | instskip(NEXT) | instid1(VALU_DEP_1)
	v_lshrrev_b32_e32 v2, 16, v2
	v_cndmask_b32_e32 v2, 0x7fc0, v2, vcc_lo
	s_wait_kmcnt 0x0
	global_store_b16 v4, v2, s[8:9] scale_offset
	s_wait_xcnt 0x0
	s_or_b32 exec_lo, exec_lo, s3
	s_and_saveexec_b32 s3, s0
	s_cbranch_execz .LBB163_62
.LBB163_83:
	v_bfe_u32 v2, v5, 16, 1
	v_cmp_o_f32_e32 vcc_lo, v5, v5
	s_delay_alu instid0(VALU_DEP_3) | instskip(NEXT) | instid1(VALU_DEP_3)
	v_add_nc_u32_e32 v4, v0, v26
	v_add3_u32 v2, v5, v2, 0x7fff
	s_delay_alu instid0(VALU_DEP_1) | instskip(NEXT) | instid1(VALU_DEP_1)
	v_lshrrev_b32_e32 v2, 16, v2
	v_cndmask_b32_e32 v2, 0x7fc0, v2, vcc_lo
	s_wait_kmcnt 0x0
	global_store_b16 v4, v2, s[8:9] scale_offset
	s_wait_xcnt 0x0
	s_or_b32 exec_lo, exec_lo, s3
	s_and_saveexec_b32 s0, s1
	s_cbranch_execz .LBB163_63
.LBB163_84:
	v_bfe_u32 v2, v3, 16, 1
	v_cmp_o_f32_e32 vcc_lo, v3, v3
	s_delay_alu instid0(VALU_DEP_2) | instskip(SKIP_1) | instid1(VALU_DEP_2)
	v_add3_u32 v2, v3, v2, 0x7fff
	v_add_nc_u32_e32 v3, v0, v6
	v_lshrrev_b32_e32 v2, 16, v2
	s_delay_alu instid0(VALU_DEP_1) | instskip(SKIP_4) | instid1(SALU_CYCLE_1)
	v_cndmask_b32_e32 v2, 0x7fc0, v2, vcc_lo
	s_wait_kmcnt 0x0
	global_store_b16 v3, v2, s[8:9] scale_offset
	s_wait_xcnt 0x0
	s_or_b32 exec_lo, exec_lo, s0
	s_and_b32 exec_lo, exec_lo, s2
	s_cbranch_execz .LBB163_3
.LBB163_85:
	v_bfe_u32 v2, v1, 16, 1
	v_cmp_o_f32_e32 vcc_lo, v1, v1
	v_add_nc_u32_e32 v0, v0, v27
	s_delay_alu instid0(VALU_DEP_3) | instskip(NEXT) | instid1(VALU_DEP_1)
	v_add3_u32 v2, v1, v2, 0x7fff
	v_lshrrev_b32_e32 v2, 16, v2
	s_delay_alu instid0(VALU_DEP_1)
	v_cndmask_b32_e32 v1, 0x7fc0, v2, vcc_lo
	s_wait_kmcnt 0x0
	global_store_b16 v0, v1, s[8:9] scale_offset
	s_sendmsg sendmsg(MSG_DEALLOC_VGPRS)
	s_endpgm
	.section	.rodata,"a",@progbits
	.p2align	6, 0x0
	.amdhsa_kernel _ZL12mul_mat_q5_1IN3c108BFloat16ELb0EEvPKvS3_PT_iiiii
		.amdhsa_group_segment_fixed_size 46720
		.amdhsa_private_segment_fixed_size 0
		.amdhsa_kernarg_size 44
		.amdhsa_user_sgpr_count 2
		.amdhsa_user_sgpr_dispatch_ptr 0
		.amdhsa_user_sgpr_queue_ptr 0
		.amdhsa_user_sgpr_kernarg_segment_ptr 1
		.amdhsa_user_sgpr_dispatch_id 0
		.amdhsa_user_sgpr_kernarg_preload_length 0
		.amdhsa_user_sgpr_kernarg_preload_offset 0
		.amdhsa_user_sgpr_private_segment_size 0
		.amdhsa_wavefront_size32 1
		.amdhsa_uses_dynamic_stack 0
		.amdhsa_enable_private_segment 0
		.amdhsa_system_sgpr_workgroup_id_x 1
		.amdhsa_system_sgpr_workgroup_id_y 1
		.amdhsa_system_sgpr_workgroup_id_z 0
		.amdhsa_system_sgpr_workgroup_info 0
		.amdhsa_system_vgpr_workitem_id 1
		.amdhsa_next_free_vgpr 339
		.amdhsa_next_free_sgpr 20
		.amdhsa_named_barrier_count 0
		.amdhsa_reserve_vcc 1
		.amdhsa_float_round_mode_32 0
		.amdhsa_float_round_mode_16_64 0
		.amdhsa_float_denorm_mode_32 3
		.amdhsa_float_denorm_mode_16_64 3
		.amdhsa_fp16_overflow 0
		.amdhsa_memory_ordered 1
		.amdhsa_forward_progress 1
		.amdhsa_inst_pref_size 228
		.amdhsa_round_robin_scheduling 0
		.amdhsa_exception_fp_ieee_invalid_op 0
		.amdhsa_exception_fp_denorm_src 0
		.amdhsa_exception_fp_ieee_div_zero 0
		.amdhsa_exception_fp_ieee_overflow 0
		.amdhsa_exception_fp_ieee_underflow 0
		.amdhsa_exception_fp_ieee_inexact 0
		.amdhsa_exception_int_div_zero 0
	.end_amdhsa_kernel
	.section	.text._ZL12mul_mat_q5_1IN3c108BFloat16ELb0EEvPKvS3_PT_iiiii,"axG",@progbits,_ZL12mul_mat_q5_1IN3c108BFloat16ELb0EEvPKvS3_PT_iiiii,comdat
.Lfunc_end163:
	.size	_ZL12mul_mat_q5_1IN3c108BFloat16ELb0EEvPKvS3_PT_iiiii, .Lfunc_end163-_ZL12mul_mat_q5_1IN3c108BFloat16ELb0EEvPKvS3_PT_iiiii
                                        ; -- End function
	.set _ZL12mul_mat_q5_1IN3c108BFloat16ELb0EEvPKvS3_PT_iiiii.num_vgpr, 339
	.set _ZL12mul_mat_q5_1IN3c108BFloat16ELb0EEvPKvS3_PT_iiiii.num_agpr, 0
	.set _ZL12mul_mat_q5_1IN3c108BFloat16ELb0EEvPKvS3_PT_iiiii.numbered_sgpr, 20
	.set _ZL12mul_mat_q5_1IN3c108BFloat16ELb0EEvPKvS3_PT_iiiii.num_named_barrier, 0
	.set _ZL12mul_mat_q5_1IN3c108BFloat16ELb0EEvPKvS3_PT_iiiii.private_seg_size, 0
	.set _ZL12mul_mat_q5_1IN3c108BFloat16ELb0EEvPKvS3_PT_iiiii.uses_vcc, 1
	.set _ZL12mul_mat_q5_1IN3c108BFloat16ELb0EEvPKvS3_PT_iiiii.uses_flat_scratch, 0
	.set _ZL12mul_mat_q5_1IN3c108BFloat16ELb0EEvPKvS3_PT_iiiii.has_dyn_sized_stack, 0
	.set _ZL12mul_mat_q5_1IN3c108BFloat16ELb0EEvPKvS3_PT_iiiii.has_recursion, 0
	.set _ZL12mul_mat_q5_1IN3c108BFloat16ELb0EEvPKvS3_PT_iiiii.has_indirect_call, 0
	.section	.AMDGPU.csdata,"",@progbits
; Kernel info:
; codeLenInByte = 29096
; TotalNumSgprs: 22
; NumVgprs: 339
; ScratchSize: 0
; MemoryBound: 0
; FloatMode: 240
; IeeeMode: 1
; LDSByteSize: 46720 bytes/workgroup (compile time only)
; SGPRBlocks: 0
; VGPRBlocks: 21
; NumSGPRsForWavesPerEU: 22
; NumVGPRsForWavesPerEU: 339
; NamedBarCnt: 0
; Occupancy: 2
; WaveLimiterHint : 0
; COMPUTE_PGM_RSRC2:SCRATCH_EN: 0
; COMPUTE_PGM_RSRC2:USER_SGPR: 2
; COMPUTE_PGM_RSRC2:TRAP_HANDLER: 0
; COMPUTE_PGM_RSRC2:TGID_X_EN: 1
; COMPUTE_PGM_RSRC2:TGID_Y_EN: 1
; COMPUTE_PGM_RSRC2:TGID_Z_EN: 0
; COMPUTE_PGM_RSRC2:TIDIG_COMP_CNT: 1
	.section	.text._ZL12mul_mat_q5_1IN3c108BFloat16ELb1EEvPKvS3_PT_iiiii,"axG",@progbits,_ZL12mul_mat_q5_1IN3c108BFloat16ELb1EEvPKvS3_PT_iiiii,comdat
	.globl	_ZL12mul_mat_q5_1IN3c108BFloat16ELb1EEvPKvS3_PT_iiiii ; -- Begin function _ZL12mul_mat_q5_1IN3c108BFloat16ELb1EEvPKvS3_PT_iiiii
	.p2align	8
	.type	_ZL12mul_mat_q5_1IN3c108BFloat16ELb1EEvPKvS3_PT_iiiii,@function
_ZL12mul_mat_q5_1IN3c108BFloat16ELb1EEvPKvS3_PT_iiiii: ; @_ZL12mul_mat_q5_1IN3c108BFloat16ELb1EEvPKvS3_PT_iiiii
; %bb.0:
	s_clause 0x1
	s_load_b128 s[4:7], s[0:1], 0x18
	s_load_b32 s12, s[0:1], 0x28
	s_bfe_u32 s2, ttmp6, 0x4000c
	s_bfe_u32 s8, ttmp6, 0x40010
	s_add_co_i32 s2, s2, 1
	s_and_b32 s3, ttmp6, 15
	s_mul_i32 s2, ttmp9, s2
	s_add_co_i32 s8, s8, 1
	s_add_co_i32 s3, s3, s2
	s_mul_i32 s2, ttmp7, s8
	s_bfe_u32 s8, ttmp6, 0x40004
	s_getreg_b32 s9, hwreg(HW_REG_IB_STS2, 6, 4)
	s_add_co_i32 s8, s8, s2
	s_cmp_eq_u32 s9, 0
	v_bfe_u32 v21, v0, 10, 10
	s_cselect_b32 s8, ttmp7, s8
	v_and_b32_e32 v37, 0x3ff, v0
	s_cselect_b32 s2, ttmp9, s3
	s_lshl_b32 s13, s8, 6
	s_mov_b32 s3, 0
	s_wait_kmcnt 0x0
	s_cmp_gt_i32 s4, 31
	s_cbranch_scc1 .LBB164_4
; %bb.1:
	v_bfe_u32 v20, v0, 10, 10
	v_and_b32_e32 v22, 0x3ff, v0
	s_delay_alu instid0(VALU_DEP_2)
	v_add_nc_u32_e32 v41, s13, v20
	s_load_b64 s[8:9], s[0:1], 0x10
	s_and_not1_b32 vcc_lo, exec_lo, s3
	s_lshl_b32 s14, s2, 7
	s_cbranch_vccz .LBB164_5
; %bb.2:
	v_dual_mov_b32 v9, 0 :: v_dual_mov_b32 v17, 0
	v_mov_b64_e32 v[0:1], 0
	v_mov_b64_e32 v[30:31], 0
	;; [unrolled: 1-line block ×7, first 2 shown]
	v_dual_mov_b32 v16, 0 :: v_dual_mov_b32 v11, 0
	v_dual_mov_b32 v10, 0 :: v_dual_mov_b32 v19, 0
	;; [unrolled: 1-line block ×8, first 2 shown]
	s_wait_xcnt 0x0
	s_mov_b32 s0, exec_lo
	v_cmpx_gt_u32_e64 s6, v41
	s_cbranch_execnz .LBB164_15
.LBB164_3:
	s_sendmsg sendmsg(MSG_DEALLOC_VGPRS)
	s_endpgm
.LBB164_4:
                                        ; implicit-def: $vgpr20
                                        ; implicit-def: $vgpr22
                                        ; implicit-def: $vgpr41
	s_load_b64 s[8:9], s[0:1], 0x10
	s_lshl_b32 s14, s2, 7
.LBB164_5:
	v_dual_add_nc_u32 v28, 16, v21 :: v_dual_add_nc_u32 v41, s13, v21
	s_ashr_i32 s10, s4, 31
	s_ashr_i32 s11, s7, 31
	s_lshr_b32 s10, s10, 27
	s_lshr_b32 s11, s11, 27
	v_dual_add_nc_u32 v6, 8, v41 :: v_dual_add_nc_u32 v8, 16, v41
	s_add_co_i32 s4, s4, s10
	s_not_b32 s16, s14
	s_ashr_i32 s15, s4, 5
	s_add_co_i32 s4, s7, s11
	s_add_co_i32 s7, s6, -1
	s_add_co_i32 s5, s5, s16
	v_cvt_f64_i32_e32 v[2:3], s7
	v_cvt_f64_u32_e32 v[4:5], v41
	v_cvt_f64_u32_e32 v[6:7], v6
	v_dual_add_nc_u32 v10, 24, v41 :: v_dual_add_nc_u32 v12, 32, v41
	v_dual_add_nc_u32 v14, 40, v41 :: v_dual_add_nc_u32 v16, 48, v41
	v_cvt_f64_u32_e32 v[8:9], v8
	v_dual_add_nc_u32 v30, 24, v21 :: v_dual_add_nc_u32 v32, 32, v21
	v_add_nc_u32_e32 v18, 56, v41
	v_cvt_f64_u32_e32 v[10:11], v10
	v_cvt_f64_u32_e32 v[12:13], v12
	;; [unrolled: 1-line block ×4, first 2 shown]
	v_min_i32_e32 v35, s5, v30
	v_cvt_f64_u32_e32 v[18:19], v18
	v_bfe_u32 v47, v0, 3, 7
	v_dual_mov_b32 v23, 0 :: v_dual_bitop2_b32 v1, 3, v0 bitop3:0x40
	v_dual_add_nc_u32 v25, 8, v21 :: v_dual_min_i32 v26, s5, v21
	s_delay_alu instid0(VALU_DEP_3) | instskip(NEXT) | instid1(VALU_DEP_3)
	v_lshl_add_u32 v31, v21, 2, v47
	v_lshlrev_b32_e32 v22, 2, v1
	v_dual_add_nc_u32 v33, 40, v21 :: v_dual_min_i32 v48, s5, v32
	v_dual_add_nc_u32 v38, 48, v21 :: v_dual_add_nc_u32 v40, 56, v21
	s_delay_alu instid0(VALU_DEP_4)
	v_min_i32_e32 v34, s5, v31
	v_min_i32_e32 v27, s5, v25
	v_add_min_i32_e64 v74, v31, 32, s5
	v_add_min_i32_e64 v76, v31, 64, s5
	v_bfe_u32 v20, v0, 2, 8
	v_dual_ashrrev_i32 v36, 31, v34 :: v_dual_min_i32 v50, s5, v33
	s_delay_alu instid0(VALU_DEP_3) | instskip(NEXT) | instid1(VALU_DEP_2)
	v_dual_ashrrev_i32 v42, 31, v74 :: v_dual_ashrrev_i32 v44, 31, v76
	v_dual_min_num_f64 v[4:5], v[4:5], v[2:3] :: v_dual_lshrrev_b32 v39, 30, v36
	v_dual_min_num_f64 v[6:7], v[6:7], v[2:3] :: v_dual_bitop2_b32 v36, 7, v0 bitop3:0x40
	v_min_num_f64_e32 v[8:9], v[8:9], v[2:3]
	v_add_min_i32_e64 v31, 0x60, v31, s5
	v_min_num_f64_e32 v[10:11], v[10:11], v[2:3]
	v_dual_min_num_f64 v[12:13], v[12:13], v[2:3] :: v_dual_min_i32 v56, s5, v40
	v_min_num_f64_e32 v[14:15], v[14:15], v[2:3]
	v_min_num_f64_e32 v[16:17], v[16:17], v[2:3]
	v_min_num_f64_e32 v[2:3], v[18:19], v[2:3]
	v_dual_add_nc_u32 v39, v34, v39 :: v_dual_min_i32 v52, s5, v38
	v_dual_ashrrev_i32 v46, 31, v31 :: v_dual_lshrrev_b32 v42, 30, v42
	v_lshl_add_u32 v54, v21, 3, v20
	s_delay_alu instid0(VALU_DEP_3) | instskip(NEXT) | instid1(VALU_DEP_3)
	v_dual_lshrrev_b32 v18, 30, v44 :: v_dual_bitop2_b32 v39, -4, v39 bitop3:0x40
	v_dual_lshrrev_b32 v19, 30, v46 :: v_dual_lshlrev_b32 v46, 2, v36
	s_delay_alu instid0(VALU_DEP_3) | instskip(NEXT) | instid1(VALU_DEP_3)
	v_and_b32_e32 v44, 63, v54
	v_add_nc_u32_e32 v18, v76, v18
	s_ashr_i32 s4, s4, 5
	s_delay_alu instid0(VALU_DEP_3) | instskip(NEXT) | instid1(VALU_DEP_3)
	v_dual_add_nc_u32 v19, v31, v19 :: v_dual_add_nc_u32 v42, v74, v42
	v_or_b32_e32 v54, s13, v44
	s_wait_xcnt 0x0
	s_load_b128 s[0:3], s[0:1], 0x0
	v_add3_u32 v39, v39, v46, 0xa200
	v_dual_lshlrev_b32 v24, 3, v37 :: v_dual_bitop2_b32 v19, -4, v19 bitop3:0x40
	v_min_i32_e32 v29, s5, v28
	v_cvt_i32_f64_e32 v4, v[4:5]
	v_add_min_i32_e64 v58, v21, 64, s5
	s_delay_alu instid0(VALU_DEP_4)
	v_add3_u32 v19, v19, v46, 0xa200
	v_cvt_i32_f64_e32 v5, v[6:7]
	v_cvt_i32_f64_e32 v6, v[8:9]
	v_add_min_i32_e64 v68, 0x70, v21, s5
	v_cvt_i32_f64_e32 v7, v[10:11]
	v_cvt_i32_f64_e32 v8, v[12:13]
	v_add_nc_u32_e32 v12, 64, v37
	v_cvt_i32_f64_e32 v9, v[14:15]
	v_add_nc_u32_e32 v13, 32, v37
	v_cvt_i32_f64_e32 v2, v[2:3]
	v_cvt_i32_f64_e32 v10, v[16:17]
	v_add_nc_u32_e32 v11, 0x60, v37
	v_lshlrev_b32_e32 v3, 5, v37
	v_and_b32_e32 v12, 0x1fc, v12
	v_and_b32_e32 v14, 0x1fc, v13
	;; [unrolled: 1-line block ×3, first 2 shown]
	v_min_i32_e32 v54, s7, v54
	v_and_b32_e32 v11, 0x1fc, v11
	v_and_b32_e32 v42, -4, v42
	v_dual_add_nc_u32 v12, v3, v12 :: v_dual_bitop2_b32 v18, -4, v18 bitop3:0x40
	s_delay_alu instid0(VALU_DEP_3) | instskip(NEXT) | instid1(VALU_DEP_3)
	v_dual_lshlrev_b32 v16, 5, v74 :: v_dual_add_nc_u32 v11, v3, v11
	v_add3_u32 v42, v42, v46, 0xa200
	v_dual_add_nc_u32 v14, v3, v14 :: v_dual_add_nc_u32 v3, v3, v15
	v_mad_u32 v57, v54, s4, v1
	s_delay_alu instid0(VALU_DEP_3) | instskip(SKIP_3) | instid1(VALU_DEP_4)
	v_dual_lshlrev_b32 v1, 5, v34 :: v_dual_add_nc_u32 v61, v42, v16
	v_add3_u32 v18, v18, v46, 0xa200
	v_lshlrev_b32_e32 v15, 5, v76
	v_add_min_i32_e64 v16, 0x48, v21, s5
	v_dual_add_nc_u32 v59, v39, v1 :: v_dual_lshlrev_b32 v1, 5, v31
	v_add_min_i32_e64 v17, 0x58, v21, s5
	s_delay_alu instid0(VALU_DEP_4)
	v_add_nc_u32_e32 v63, v18, v15
	v_add_min_i32_e64 v15, 0x50, v21, s5
	v_add_min_i32_e64 v18, 0x60, v21, s5
	v_add_nc_u32_e32 v65, v19, v1
	v_add_min_i32_e64 v19, 0x68, v21, s5
	v_add_min_i32_e64 v70, 0x78, v21, s5
	v_dual_lshlrev_b32 v1, 2, v37 :: v_dual_bitop2_b32 v39, 31, v0 bitop3:0x40
	v_mad_u32 v43, 0x104, v26, v24
	v_mad_u32 v45, 0x104, v27, v24
	v_mad_u32 v49, 0x104, v29, v24
	v_mad_u32 v51, 0x104, v35, v24
	v_mad_u32 v53, 0x104, v48, v24
	v_mad_u32 v55, 0x104, v50, v24
	v_mad_u32 v67, 0x104, v52, v24
	v_mad_u32 v69, 0x104, v56, v24
	v_mad_u32 v71, 0x104, v58, v24
	v_mad_u32 v73, 0x104, v16, v24
	v_mad_u32 v75, 0x104, v15, v24
	v_mad_u32 v77, 0x104, v17, v24
	v_mad_u32 v79, 0x104, v18, v24
	v_mad_u32 v184, 0x104, v19, v24
	v_mad_u32 v185, 0x104, v68, v24
	v_mad_u32 v186, 0x104, v70, v24
	v_dual_mov_b32 v1, v23 :: v_dual_bitop2_b32 v0, 28, v1 bitop3:0x40
	v_lshl_or_b32 v24, v39, 2, 0x8200
	v_mul_lo_u32 v190, s4, v6
	v_lshlrev_b32_e32 v6, 7, v30
	v_lshl_or_b32 v42, v44, 4, v22
	v_mul_lo_u32 v188, s4, v4
	v_mul_lo_u32 v189, s4, v5
	v_dual_lshlrev_b32 v4, 7, v25 :: v_dual_lshlrev_b32 v5, 7, v28
	v_mul_lo_u32 v191, s4, v7
	v_mul_lo_u32 v192, s4, v8
	v_lshlrev_b32_e32 v7, 7, v32
	v_mul_lo_u32 v193, s4, v9
	v_dual_lshlrev_b32 v8, 7, v33 :: v_dual_lshlrev_b32 v9, 7, v38
	v_mul_lo_u32 v195, s4, v2
	v_dual_lshlrev_b32 v2, 7, v40 :: v_dual_lshrrev_b32 v196, 3, v13
	s_wait_kmcnt 0x0
	v_add_nc_u64_e32 v[38:39], s[2:3], v[0:1]
	v_dual_add_nc_u32 v199, v24, v6 :: v_dual_lshlrev_b32 v0, 7, v21
	v_add_nc_u32_e32 v187, 0xb280, v42
	v_mul_lo_u32 v194, s4, v10
	v_mul_lo_u32 v40, v26, s15
	;; [unrolled: 1-line block ×21, first 2 shown]
	s_mul_i32 s10, s15, s14
	v_dual_add_nc_u32 v197, v24, v4 :: v_dual_add_nc_u32 v198, v24, v5
	v_dual_add_nc_u32 v200, v24, v7 :: v_dual_add_nc_u32 v201, v24, v8
	v_dual_add_nc_u32 v202, v24, v9 :: v_dual_add_nc_u32 v203, v24, v2
	v_add_nc_u32_e32 v204, v24, v0
	v_add_nc_u32_e32 v205, 0x8200, v0
	;; [unrolled: 1-line block ×10, first 2 shown]
	s_movk_i32 s4, 0x80
	v_mov_b64_e32 v[34:35], 0
	v_mov_b64_e32 v[6:7], 0
	;; [unrolled: 1-line block ×16, first 2 shown]
	s_ashr_i32 s11, s10, 31
	v_mul_u32_u24_e32 v214, 0x104, v37
	v_lshl_add_u32 v215, v21, 4, 0xb280
	v_mad_u32_u24 v216, 0x104, v37, s4
	s_mul_u64 s[10:11], s[10:11], 24
	s_mov_b32 s5, 0
	s_add_nc_u64 s[0:1], s[0:1], s[10:11]
	s_add_co_i32 s7, s15, 3
	s_mov_b32 s4, s5
	s_branch .LBB164_7
.LBB164_6:                              ;   in Loop: Header=BB164_7 Depth=1
	s_add_co_i32 s4, s4, 8
	s_add_co_i32 s7, s7, -8
	s_cmp_ge_i32 s4, s15
	s_cbranch_scc1 .LBB164_14
.LBB164_7:                              ; =>This Loop Header: Depth=1
                                        ;     Child Loop BB164_9 Depth 2
                                        ;     Child Loop BB164_12 Depth 2
	s_mul_u64 s[10:11], s[4:5], 24
	s_cmp_gt_u32 s7, 3
	s_add_nc_u64 s[10:11], s[0:1], s[10:11]
	s_delay_alu instid0(SALU_CYCLE_1) | instskip(NEXT) | instid1(VALU_DEP_1)
	v_mad_nc_u64_u32 v[80:81], v20, 24, s[10:11]
	v_mad_nc_i64_i32 v[82:83], v40, 24, v[80:81]
	v_mad_nc_i64_i32 v[84:85], v42, 24, v[80:81]
	;; [unrolled: 1-line block ×8, first 2 shown]
	v_add_nc_u64_e32 v[92:93], v[82:83], v[22:23]
	v_add_nc_u64_e32 v[94:95], v[84:85], v[22:23]
	;; [unrolled: 1-line block ×4, first 2 shown]
	s_clause 0x7
	global_load_b32 v106, v[92:93], off offset:8
	global_load_b32 v107, v[94:95], off offset:8
	;; [unrolled: 1-line block ×8, first 2 shown]
	s_wait_xcnt 0x0
	v_mad_nc_i64_i32 v[82:83], v56, 24, v[80:81]
	v_mad_nc_i64_i32 v[84:85], v58, 24, v[80:81]
	;; [unrolled: 1-line block ×4, first 2 shown]
	v_add_nc_u64_e32 v[92:93], v[90:91], v[22:23]
	v_add_nc_u64_e32 v[94:95], v[100:101], v[22:23]
	;; [unrolled: 1-line block ×4, first 2 shown]
	s_clause 0x7
	global_load_b32 v114, v[104:105], off offset:4
	global_load_b32 v115, v[102:103], off offset:4
	global_load_b32 v116, v[100:101], off offset:4
	global_load_b32 v117, v[90:91], off offset:4
	global_load_b32 v118, v[92:93], off offset:8
	global_load_b32 v119, v[94:95], off offset:8
	global_load_b32 v120, v[96:97], off offset:8
	global_load_b32 v121, v[98:99], off offset:8
	s_wait_xcnt 0x4
	v_add_nc_u64_e32 v[90:91], v[82:83], v[22:23]
	s_wait_xcnt 0x3
	v_add_nc_u64_e32 v[92:93], v[84:85], v[22:23]
	;; [unrolled: 2-line block ×3, first 2 shown]
	s_clause 0x6
	global_load_b32 v104, v[88:89], off offset:4
	global_load_b32 v105, v[86:87], off offset:4
	;; [unrolled: 1-line block ×7, first 2 shown]
	s_wait_xcnt 0x3
	v_mad_nc_u64_u32 v[82:83], v36, 24, s[10:11]
	v_add_nc_u64_e32 v[88:89], v[88:89], v[22:23]
	v_mad_nc_i64_i32 v[84:85], v64, 24, v[80:81]
	v_mad_nc_i64_i32 v[86:87], v66, 24, v[80:81]
	s_wait_xcnt 0x2
	v_mad_nc_i64_i32 v[90:91], v68, 24, v[80:81]
	v_mad_nc_i64_i32 v[80:81], v70, 24, v[80:81]
	global_load_b32 v127, v[88:89], off offset:8
	s_wait_xcnt 0x2
	v_mad_nc_i64_i32 v[92:93], v72, 24, v[82:83]
	s_wait_xcnt 0x1
	v_mad_nc_i64_i32 v[94:95], v74, 24, v[82:83]
	v_mad_nc_i64_i32 v[96:97], v76, 24, v[82:83]
	;; [unrolled: 1-line block ×3, first 2 shown]
	s_wait_xcnt 0x0
	v_add_nc_u64_e32 v[88:89], v[84:85], v[22:23]
	v_add_nc_u64_e32 v[98:99], v[86:87], v[22:23]
	v_add_nc_u64_e32 v[100:101], v[90:91], v[22:23]
	v_add_nc_u64_e32 v[102:103], v[80:81], v[22:23]
	s_clause 0xb
	global_load_b32 v128, v[92:93], off
	global_load_b32 v129, v[94:95], off
	;; [unrolled: 1-line block ×4, first 2 shown]
	global_load_b32 v132, v[88:89], off offset:8
	global_load_b32 v133, v[98:99], off offset:8
	;; [unrolled: 1-line block ×8, first 2 shown]
	s_wait_loadcnt 0x23
	s_wait_xcnt 0x8
	v_and_b32_e32 v82, 0xf0f0f0f, v106
	s_wait_loadcnt 0x22
	s_wait_xcnt 0x0
	v_and_b32_e32 v85, 0xf0f0f0f, v107
	s_wait_loadcnt 0x21
	v_and_b32_e32 v88, 0xf0f0f0f, v108
	s_wait_loadcnt 0x20
	;; [unrolled: 2-line block ×3, first 2 shown]
	v_dual_ashrrev_i32 v89, v22, v110 :: v_dual_lshrrev_b32 v90, 4, v109
	s_wait_loadcnt 0x1d
	v_dual_ashrrev_i32 v83, v22, v112 :: v_dual_lshrrev_b32 v84, 4, v107
	s_wait_loadcnt 0x1c
	v_dual_ashrrev_i32 v80, v22, v113 :: v_dual_lshrrev_b32 v81, 4, v106
	v_dual_ashrrev_i32 v86, v22, v111 :: v_dual_lshrrev_b32 v87, 4, v108
	s_wait_loadcnt 0x17
	v_dual_ashrrev_i32 v92, v22, v117 :: v_dual_lshrrev_b32 v93, 4, v118
	s_wait_loadcnt 0x16
	v_dual_ashrrev_i32 v95, v22, v116 :: v_dual_lshrrev_b32 v96, 4, v119
	s_wait_loadcnt 0x15
	v_dual_ashrrev_i32 v98, v22, v115 :: v_dual_lshrrev_b32 v99, 4, v120
	s_wait_loadcnt 0x14
	v_dual_ashrrev_i32 v101, v22, v114 :: v_dual_lshrrev_b32 v102, 4, v121
	s_wait_loadcnt 0xf
	v_dual_ashrrev_i32 v106, v22, v123 :: v_dual_lshrrev_b32 v107, 4, v124
	s_wait_loadcnt 0xe
	v_dual_ashrrev_i32 v109, v22, v122 :: v_dual_lshrrev_b32 v110, 4, v125
	s_wait_loadcnt 0xd
	v_dual_ashrrev_i32 v105, v22, v105 :: v_dual_lshrrev_b32 v112, 4, v126
	v_dual_lshlrev_b32 v114, 4, v80 :: v_dual_lshlrev_b32 v115, 11, v80
	v_dual_lshrrev_b32 v116, 12, v80 :: v_dual_lshrrev_b32 v117, 5, v80
	v_and_b32_e32 v103, 0xf0f0f0f, v121
	v_dual_ashrrev_i32 v104, v22, v104 :: v_dual_lshlrev_b32 v121, 4, v83
	v_dual_lshlrev_b32 v122, 11, v83 :: v_dual_lshrrev_b32 v123, 12, v83
	v_and_b32_e32 v108, 0xf0f0f0f, v124
	v_and_b32_e32 v111, 0xf0f0f0f, v125
	v_and_b32_e32 v113, 0xf0f0f0f, v126
	v_dual_lshrrev_b32 v124, 5, v83 :: v_dual_lshlrev_b32 v125, 2, v83
	v_dual_lshlrev_b32 v126, 18, v83 :: v_dual_lshlrev_b32 v140, 9, v83
	v_dual_lshlrev_b32 v83, 25, v83 :: v_dual_lshlrev_b32 v141, 4, v86
	v_dual_lshlrev_b32 v142, 11, v86 :: v_dual_lshrrev_b32 v143, 12, v86
	v_dual_lshrrev_b32 v144, 5, v86 :: v_dual_lshlrev_b32 v145, 2, v86
	v_dual_lshlrev_b32 v146, 18, v86 :: v_dual_lshlrev_b32 v147, 9, v86
	v_dual_lshlrev_b32 v86, 25, v86 :: v_dual_lshlrev_b32 v148, 4, v89
	v_dual_lshlrev_b32 v149, 11, v89 :: v_dual_lshrrev_b32 v150, 12, v89
	;; [unrolled: 4-line block ×3, first 2 shown]
	v_and_b32_e32 v81, 0xf0f0f0f, v81
	v_dual_lshrrev_b32 v158, 5, v92 :: v_dual_lshlrev_b32 v159, 2, v92
	v_dual_lshlrev_b32 v160, 18, v92 :: v_dual_lshlrev_b32 v161, 9, v92
	v_dual_lshlrev_b32 v92, 25, v92 :: v_dual_lshlrev_b32 v162, 4, v95
	v_dual_lshlrev_b32 v163, 11, v95 :: v_dual_lshrrev_b32 v164, 12, v95
	v_dual_lshrrev_b32 v165, 5, v95 :: v_dual_lshlrev_b32 v166, 2, v95
	v_dual_lshlrev_b32 v167, 18, v95 :: v_dual_lshlrev_b32 v168, 9, v95
	v_dual_lshlrev_b32 v95, 25, v95 :: v_dual_lshlrev_b32 v169, 4, v98
	v_dual_lshlrev_b32 v170, 11, v98 :: v_dual_lshrrev_b32 v171, 12, v98
	;; [unrolled: 4-line block ×5, first 2 shown]
	v_dual_lshrrev_b32 v226, 5, v109 :: v_dual_lshlrev_b32 v227, 2, v109
	v_dual_lshlrev_b32 v228, 18, v109 :: v_dual_lshlrev_b32 v229, 9, v109
	v_dual_lshlrev_b32 v109, 25, v109 :: v_dual_bitop2_b32 v116, 16, v116 bitop3:0x40
	v_dual_lshlrev_b32 v236, 9, v105 :: v_dual_bitop2_b32 v114, 16, v114 bitop3:0x40
	v_and_b32_e32 v84, 0xf0f0f0f, v84
	v_and_b32_e32 v123, 16, v123
	;; [unrolled: 1-line block ×15, first 2 shown]
	v_dual_lshlrev_b32 v118, 2, v80 :: v_dual_lshlrev_b32 v119, 18, v80
	v_and_b32_e32 v96, 0xf0f0f0f, v96
	v_and_b32_e32 v99, 0xf0f0f0f, v99
	;; [unrolled: 1-line block ×14, first 2 shown]
	v_or_b32_e32 v81, v116, v81
	v_or_b32_e32 v82, v114, v82
	v_and_b32_e32 v124, 0x1000, v124
	v_and_b32_e32 v122, 0x1000, v122
	v_or_b32_e32 v84, v123, v84
	v_or_b32_e32 v85, v121, v85
	v_and_b32_e32 v144, 0x1000, v144
	v_and_b32_e32 v142, 0x1000, v142
	;; [unrolled: 4-line block ×4, first 2 shown]
	v_or_b32_e32 v93, v157, v93
	v_dual_lshlrev_b32 v120, 9, v80 :: v_dual_bitop2_b32 v94, v155, v94 bitop3:0x54
	v_lshlrev_b32_e32 v80, 25, v80
	v_and_b32_e32 v118, 0x100000, v118
	v_and_b32_e32 v119, 0x100000, v119
	;; [unrolled: 1-line block ×10, first 2 shown]
	v_or_b32_e32 v96, v164, v96
	v_or_b32_e32 v97, v162, v97
	;; [unrolled: 1-line block ×9, first 2 shown]
	v_dual_lshlrev_b32 v230, 4, v105 :: v_dual_bitop2_b32 v82, v82, v115 bitop3:0x54
	v_dual_lshlrev_b32 v231, 11, v105 :: v_dual_lshrrev_b32 v232, 12, v105
	v_lshrrev_b32_e32 v233, 5, v105
	v_and_b32_e32 v125, 0x100000, v125
	v_and_b32_e32 v126, 0x100000, v126
	v_or_b32_e32 v84, v84, v124
	v_or_b32_e32 v85, v85, v122
	v_and_b32_e32 v145, 0x100000, v145
	v_and_b32_e32 v146, 0x100000, v146
	v_or_b32_e32 v87, v87, v144
	v_or_b32_e32 v88, v88, v142
	;; [unrolled: 4-line block ×4, first 2 shown]
	v_and_b32_e32 v110, 0xf0f0f0f, v110
	v_and_b32_e32 v120, 0x10000000, v120
	;; [unrolled: 1-line block ×13, first 2 shown]
	v_or_b32_e32 v96, v96, v165
	v_or_b32_e32 v97, v97, v163
	;; [unrolled: 1-line block ×10, first 2 shown]
	v_and_b32_e32 v112, 0xf0f0f0f, v112
	v_and_b32_e32 v140, 0x10000000, v140
	;; [unrolled: 1-line block ×5, first 2 shown]
	v_or_b32_e32 v84, v84, v125
	v_or_b32_e32 v85, v85, v126
	v_and_b32_e32 v147, 0x10000000, v147
	v_and_b32_e32 v86, 0x10000000, v86
	v_or_b32_e32 v87, v87, v145
	v_or_b32_e32 v88, v88, v146
	v_and_b32_e32 v154, 0x10000000, v154
	v_and_b32_e32 v89, 0x10000000, v89
	;; [unrolled: 4-line block ×4, first 2 shown]
	v_and_b32_e32 v175, 0x10000000, v175
	v_and_b32_e32 v98, 0x10000000, v98
	;; [unrolled: 1-line block ×8, first 2 shown]
	v_or_b32_e32 v110, v225, v110
	v_or_b32_e32 v111, v223, v111
	;; [unrolled: 1-line block ×11, first 2 shown]
	v_dual_lshlrev_b32 v234, 2, v105 :: v_dual_bitop2_b32 v80, v82, v80 bitop3:0x54
	v_lshlrev_b32_e32 v235, 18, v105
	v_and_b32_e32 v233, 0x1000, v233
	v_and_b32_e32 v231, 0x1000, v231
	v_or_b32_e32 v112, v232, v112
	v_or_b32_e32 v113, v230, v113
	v_or_b32_e32 v82, v84, v140
	v_or_b32_e32 v83, v85, v83
	v_or_b32_e32 v84, v87, v147
	v_or_b32_e32 v85, v88, v86
	v_or_b32_e32 v86, v90, v154
	v_or_b32_e32 v87, v91, v89
	v_or_b32_e32 v88, v93, v161
	v_or_b32_e32 v89, v94, v92
	v_and_b32_e32 v227, 0x100000, v227
	v_and_b32_e32 v228, 0x100000, v228
	v_or_b32_e32 v110, v110, v226
	v_or_b32_e32 v111, v111, v224
	;; [unrolled: 1-line block ×10, first 2 shown]
	ds_store_2addr_b32 v43, v80, v81 offset1:1
	ds_store_2addr_b32 v45, v83, v82 offset1:1
	;; [unrolled: 1-line block ×9, first 2 shown]
	s_wait_loadcnt 0xc
	v_dual_lshrrev_b32 v81, 4, v127 :: v_dual_lshrrev_b32 v83, 12, v104
	v_lshlrev_b32_e32 v84, 4, v104
	v_and_b32_e32 v234, 0x100000, v234
	v_and_b32_e32 v235, 0x100000, v235
	v_or_b32_e32 v112, v112, v233
	v_dual_lshlrev_b32 v80, 25, v105 :: v_dual_bitop2_b32 v113, v113, v231 bitop3:0x54
	v_and_b32_e32 v229, 0x10000000, v229
	v_and_b32_e32 v109, 0x10000000, v109
	v_or_b32_e32 v110, v110, v227
	v_or_b32_e32 v111, v111, v228
	v_and_b32_e32 v81, 0xf0f0f0f, v81
	v_and_b32_e32 v85, 0xf0f0f0f, v127
	;; [unrolled: 1-line block ×4, first 2 shown]
	v_dual_lshlrev_b32 v87, 11, v104 :: v_dual_bitop2_b32 v112, v112, v234 bitop3:0x54
	v_or_b32_e32 v113, v113, v235
	v_and_b32_e32 v82, 0x10000000, v236
	v_and_b32_e32 v80, 0x10000000, v80
	v_or_b32_e32 v98, v110, v229
	v_dual_lshrrev_b32 v86, 5, v104 :: v_dual_bitop2_b32 v99, v111, v109 bitop3:0x54
	v_or_b32_e32 v81, v83, v81
	v_or_b32_e32 v83, v84, v85
	v_and_b32_e32 v85, 0x1000, v87
	v_dual_lshlrev_b32 v87, 18, v104 :: v_dual_bitop2_b32 v82, v112, v82 bitop3:0x54
	v_or_b32_e32 v80, v113, v80
	v_and_b32_e32 v84, 0x1000, v86
	s_delay_alu instid0(VALU_DEP_4) | instskip(NEXT) | instid1(VALU_DEP_4)
	v_dual_lshlrev_b32 v86, 2, v104 :: v_dual_bitop2_b32 v83, v83, v85 bitop3:0x54
	v_and_b32_e32 v85, 0x100000, v87
	ds_store_2addr_b32 v73, v99, v98 offset1:1
	ds_store_2addr_b32 v75, v80, v82 offset1:1
	s_wait_loadcnt 0x0
	v_dual_ashrrev_i32 v80, v22, v139 :: v_dual_bitop2_b32 v81, v81, v84 bitop3:0x54
	v_and_b32_e32 v84, 0x100000, v86
	v_dual_lshrrev_b32 v83, 4, v132 :: v_dual_bitop2_b32 v82, v83, v85 bitop3:0x54
	s_delay_alu instid0(VALU_DEP_3) | instskip(NEXT) | instid1(VALU_DEP_3)
	v_dual_lshrrev_b32 v85, 12, v80 :: v_dual_lshlrev_b32 v86, 4, v80
	v_or_b32_e32 v81, v81, v84
	v_lshlrev_b32_e32 v84, 9, v104
	s_delay_alu instid0(VALU_DEP_4)
	v_and_b32_e32 v83, 0xf0f0f0f, v83
	v_and_b32_e32 v88, 0xf0f0f0f, v132
	;; [unrolled: 1-line block ×3, first 2 shown]
	v_dual_lshrrev_b32 v89, 5, v80 :: v_dual_bitop2_b32 v86, 16, v86 bitop3:0x40
	v_lshlrev_b32_e32 v90, 11, v80
	v_and_b32_e32 v84, 0x10000000, v84
	s_delay_alu instid0(VALU_DEP_4) | instskip(NEXT) | instid1(VALU_DEP_4)
	v_or_b32_e32 v83, v85, v83
	v_or_b32_e32 v85, v86, v88
	v_and_b32_e32 v86, 0x1000, v89
	v_and_b32_e32 v88, 0x1000, v90
	v_dual_lshlrev_b32 v89, 2, v80 :: v_dual_lshlrev_b32 v90, 18, v80
	s_delay_alu instid0(VALU_DEP_3) | instskip(NEXT) | instid1(VALU_DEP_3)
	v_dual_lshlrev_b32 v87, 25, v104 :: v_dual_bitop2_b32 v83, v83, v86 bitop3:0x54
	v_or_b32_e32 v85, v85, v88
	s_delay_alu instid0(VALU_DEP_3) | instskip(NEXT) | instid1(VALU_DEP_4)
	v_and_b32_e32 v86, 0x100000, v89
	v_and_b32_e32 v88, 0x100000, v90
	v_dual_ashrrev_i32 v84, v22, v138 :: v_dual_bitop2_b32 v81, v81, v84 bitop3:0x54
	v_and_b32_e32 v87, 0x10000000, v87
	s_delay_alu instid0(VALU_DEP_4) | instskip(NEXT) | instid1(VALU_DEP_4)
	v_or_b32_e32 v83, v83, v86
	v_dual_lshrrev_b32 v86, 4, v133 :: v_dual_bitop2_b32 v85, v85, v88 bitop3:0x54
	s_delay_alu instid0(VALU_DEP_4) | instskip(NEXT) | instid1(VALU_DEP_4)
	v_dual_lshrrev_b32 v88, 12, v84 :: v_dual_lshlrev_b32 v89, 4, v84
	v_dual_lshlrev_b32 v87, 9, v80 :: v_dual_bitop2_b32 v82, v82, v87 bitop3:0x54
	v_lshlrev_b32_e32 v80, 25, v80
	s_delay_alu instid0(VALU_DEP_4)
	v_and_b32_e32 v86, 0xf0f0f0f, v86
	v_and_b32_e32 v90, 0xf0f0f0f, v133
	;; [unrolled: 1-line block ×3, first 2 shown]
	v_dual_lshlrev_b32 v92, 11, v84 :: v_dual_bitop2_b32 v89, 16, v89 bitop3:0x40
	v_lshrrev_b32_e32 v91, 5, v84
	v_and_b32_e32 v80, 0x10000000, v80
	s_delay_alu instid0(VALU_DEP_4) | instskip(NEXT) | instid1(VALU_DEP_4)
	v_or_b32_e32 v86, v88, v86
	v_or_b32_e32 v88, v89, v90
	v_and_b32_e32 v90, 0x1000, v92
	v_lshlrev_b32_e32 v92, 18, v84
	v_and_b32_e32 v87, 0x10000000, v87
	v_and_b32_e32 v89, 0x1000, v91
	s_delay_alu instid0(VALU_DEP_4) | instskip(NEXT) | instid1(VALU_DEP_4)
	v_dual_lshlrev_b32 v91, 2, v84 :: v_dual_bitop2_b32 v88, v88, v90 bitop3:0x54
	v_and_b32_e32 v90, 0x100000, v92
	v_dual_ashrrev_i32 v85, v22, v137 :: v_dual_bitop2_b32 v80, v85, v80 bitop3:0x54
	s_delay_alu instid0(VALU_DEP_4) | instskip(NEXT) | instid1(VALU_DEP_4)
	v_or_b32_e32 v86, v86, v89
	v_and_b32_e32 v89, 0x100000, v91
	v_or_b32_e32 v83, v83, v87
	v_or_b32_e32 v87, v88, v90
	v_dual_lshrrev_b32 v88, 4, v134 :: v_dual_lshrrev_b32 v90, 12, v85
	v_lshlrev_b32_e32 v91, 4, v85
	v_and_b32_e32 v92, 0xf0f0f0f, v134
	v_lshrrev_b32_e32 v93, 5, v85
	s_delay_alu instid0(VALU_DEP_4) | instskip(SKIP_3) | instid1(VALU_DEP_3)
	v_and_b32_e32 v88, 0xf0f0f0f, v88
	v_and_b32_e32 v90, 16, v90
	v_dual_lshlrev_b32 v94, 11, v85 :: v_dual_bitop2_b32 v91, 16, v91 bitop3:0x40
	v_dual_lshlrev_b32 v89, 9, v84 :: v_dual_bitop2_b32 v86, v86, v89 bitop3:0x54
	v_or_b32_e32 v88, v90, v88
	s_delay_alu instid0(VALU_DEP_3)
	v_or_b32_e32 v90, v91, v92
	v_and_b32_e32 v91, 0x1000, v93
	v_lshlrev_b32_e32 v92, 2, v85
	v_and_b32_e32 v93, 0x1000, v94
	v_lshlrev_b32_e32 v94, 18, v85
	v_and_b32_e32 v89, 0x10000000, v89
	v_or_b32_e32 v88, v88, v91
	v_and_b32_e32 v91, 0x100000, v92
	v_or_b32_e32 v90, v90, v93
	v_and_b32_e32 v92, 0x100000, v94
	v_ashrrev_i32_e32 v93, v22, v136
	v_or_b32_e32 v86, v86, v89
	v_or_b32_e32 v88, v88, v91
	s_delay_alu instid0(VALU_DEP_4) | instskip(NEXT) | instid1(VALU_DEP_4)
	v_dual_lshrrev_b32 v89, 4, v135 :: v_dual_bitop2_b32 v90, v90, v92 bitop3:0x54
	v_dual_lshrrev_b32 v91, 12, v93 :: v_dual_lshlrev_b32 v92, 4, v93
	v_and_b32_e32 v95, 0xf0f0f0f, v135
	s_delay_alu instid0(VALU_DEP_3) | instskip(NEXT) | instid1(VALU_DEP_3)
	v_and_b32_e32 v89, 0xf0f0f0f, v89
	v_dual_lshrrev_b32 v96, 5, v93 :: v_dual_bitop2_b32 v91, 16, v91 bitop3:0x40
	s_delay_alu instid0(VALU_DEP_4) | instskip(SKIP_1) | instid1(VALU_DEP_3)
	v_dual_lshlrev_b32 v97, 11, v93 :: v_dual_bitop2_b32 v92, 16, v92 bitop3:0x40
	v_dual_lshlrev_b32 v84, 25, v84 :: v_dual_lshlrev_b32 v94, 9, v85
	v_or_b32_e32 v89, v91, v89
	s_delay_alu instid0(VALU_DEP_3) | instskip(SKIP_3) | instid1(VALU_DEP_3)
	v_or_b32_e32 v91, v92, v95
	v_and_b32_e32 v92, 0x1000, v96
	v_and_b32_e32 v95, 0x1000, v97
	v_dual_lshlrev_b32 v96, 2, v93 :: v_dual_lshlrev_b32 v97, 18, v93
	v_dual_lshlrev_b32 v85, 25, v85 :: v_dual_bitop2_b32 v89, v89, v92 bitop3:0x54
	s_delay_alu instid0(VALU_DEP_3) | instskip(NEXT) | instid1(VALU_DEP_3)
	v_or_b32_e32 v91, v91, v95
	v_and_b32_e32 v92, 0x100000, v96
	s_delay_alu instid0(VALU_DEP_4)
	v_and_b32_e32 v95, 0x100000, v97
	v_dual_lshlrev_b32 v96, 9, v93 :: v_dual_lshlrev_b32 v93, 25, v93
	v_and_b32_e32 v84, 0x10000000, v84
	v_and_b32_e32 v94, 0x10000000, v94
	;; [unrolled: 1-line block ×3, first 2 shown]
	v_or_b32_e32 v89, v89, v92
	v_or_b32_e32 v91, v91, v95
	v_and_b32_e32 v92, 0x10000000, v96
	v_and_b32_e32 v93, 0x10000000, v93
	v_or_b32_e32 v84, v87, v84
	v_or_b32_e32 v87, v88, v94
	;; [unrolled: 1-line block ×5, first 2 shown]
	ds_store_2addr_b32 v77, v82, v81 offset1:1
	ds_store_2addr_b32 v79, v80, v83 offset1:1
	;; [unrolled: 1-line block ×5, first 2 shown]
	ds_store_b32 v59, v128
	ds_store_b32 v61, v129
	;; [unrolled: 1-line block ×4, first 2 shown]
	s_cbranch_scc0 .LBB164_6
; %bb.8:                                ;   in Loop: Header=BB164_7 Depth=1
	v_dual_add_nc_u32 v217, s4, v57 :: v_dual_add_nc_u32 v82, s4, v47
	v_dual_mov_b32 v219, v214 :: v_dual_mov_b32 v222, v210
	v_dual_mov_b32 v224, v206 :: v_dual_mov_b32 v218, v205
	s_delay_alu instid0(VALU_DEP_3) | instskip(SKIP_3) | instid1(VALU_DEP_3)
	v_add_nc_u32_e32 v80, v82, v188
	s_mov_b32 s10, -4
	v_dual_mov_b32 v220, v215 :: v_dual_mov_b32 v221, v212
	v_mov_b32_e32 v223, v208
	v_mad_nc_i64_i32 v[80:81], v80, 36, v[38:39]
	global_load_b32 v80, v[80:81], off offset:4
	s_wait_loadcnt 0x0
	ds_store_b32 v204, v80
	v_add_nc_u32_e32 v80, v82, v189
	s_delay_alu instid0(VALU_DEP_1) | instskip(SKIP_4) | instid1(VALU_DEP_1)
	v_mad_nc_i64_i32 v[80:81], v80, 36, v[38:39]
	global_load_b32 v80, v[80:81], off offset:4
	s_wait_loadcnt 0x0
	ds_store_b32 v197, v80
	v_add_nc_u32_e32 v80, v82, v190
	v_mad_nc_i64_i32 v[80:81], v80, 36, v[38:39]
	global_load_b32 v80, v[80:81], off offset:4
	s_wait_loadcnt 0x0
	ds_store_b32 v198, v80
	v_add_nc_u32_e32 v80, v82, v191
	s_delay_alu instid0(VALU_DEP_1) | instskip(SKIP_4) | instid1(VALU_DEP_1)
	v_mad_nc_i64_i32 v[80:81], v80, 36, v[38:39]
	global_load_b32 v80, v[80:81], off offset:4
	s_wait_loadcnt 0x0
	ds_store_b32 v199, v80
	v_add_nc_u32_e32 v80, v82, v192
	v_mad_nc_i64_i32 v[80:81], v80, 36, v[38:39]
	global_load_b32 v80, v[80:81], off offset:4
	s_wait_loadcnt 0x0
	ds_store_b32 v200, v80
	v_add_nc_u32_e32 v80, v82, v193
	s_delay_alu instid0(VALU_DEP_1) | instskip(SKIP_4) | instid1(VALU_DEP_1)
	v_mad_nc_i64_i32 v[80:81], v80, 36, v[38:39]
	global_load_b32 v80, v[80:81], off offset:4
	s_wait_loadcnt 0x0
	ds_store_b32 v201, v80
	v_add_nc_u32_e32 v80, v82, v194
	v_mad_nc_i64_i32 v[80:81], v80, 36, v[38:39]
	global_load_b32 v80, v[80:81], off offset:4
	s_wait_loadcnt 0x0
	ds_store_b32 v202, v80
	v_add_nc_u32_e32 v80, v82, v195
	s_delay_alu instid0(VALU_DEP_1)
	v_mad_nc_i64_i32 v[80:81], v80, 36, v[38:39]
	global_load_b32 v80, v[80:81], off offset:4
	s_wait_loadcnt 0x0
	ds_store_b32 v203, v80
	v_mad_nc_u64_u32 v[80:81], v217, 36, s[2:3]
	global_load_b32 v80, v[80:81], off
	s_wait_loadcnt 0x0
	ds_store_b32 v187, v80
	s_wait_dscnt 0x0
	s_barrier_signal -1
	s_barrier_wait -1
.LBB164_9:                              ;   Parent Loop BB164_7 Depth=1
                                        ; =>  This Inner Loop Header: Depth=2
	ds_load_b32 v226, v223
	ds_load_b32 v225, v224
	ds_load_2addr_b32 v[82:83], v220 offset0:64 offset1:96
	ds_load_2addr_b32 v[104:105], v220 offset0:128 offset1:160
	ds_load_b32 v233, v222
	ds_load_2addr_b32 v[116:117], v220 offset1:32
	ds_load_b32 v234, v221
	ds_load_2addr_b32 v[126:127], v220 offset0:192 offset1:224
	ds_load_2addr_b32 v[80:81], v219 offset1:1
	ds_load_2addr_b32 v[106:107], v219 offset0:2 offset1:3
	ds_load_2addr_b32 v[136:137], v219 offset0:4 offset1:5
	ds_load_2addr_b32 v[134:135], v219 offset0:6 offset1:7
	ds_load_2addr_b32 v[164:165], v218 offset0:3 offset1:4
	ds_load_2addr_b32 v[158:159], v218 offset0:5 offset1:6
	ds_load_2addr_b32 v[160:161], v218 offset0:1 offset1:2
	ds_load_2addr_b32 v[112:113], v218 offset1:7
	v_add_nc_u32_e32 v84, 0x6180, v219
	v_add_nc_u32_e32 v91, 0x80c, v218
	;; [unrolled: 1-line block ×40, first 2 shown]
	ds_load_2addr_b32 v[84:85], v84 offset1:1
	ds_load_2addr_b32 v[118:119], v91 offset1:1
	;; [unrolled: 1-line block ×40, first 2 shown]
	s_wait_dscnt 0x2a
	s_set_vgpr_msb 64                       ;  msbs: dst=1 src0=0 src1=0 src2=0
	v_dual_lshlrev_b32 v23 /*v279*/, 8, v158 :: v_dual_lshlrev_b32 v24 /*v280*/, 16, v159
	v_dual_lshlrev_b32 v25 /*v281*/, 8, v159 :: v_dual_lshlrev_b32 v26 /*v282*/, 16, v158
	s_wait_dscnt 0x26
	v_dual_ashrrev_i32 v38 /*v294*/, 24, v85 :: v_dual_lshlrev_b32 v41 /*v297*/, 8, v119
	s_wait_dscnt 0x24
	v_dual_ashrrev_i32 v42 /*v298*/, 24, v119 :: v_dual_lshlrev_b32 v43 /*v299*/, 16, v166
	v_dual_lshlrev_b32 v15 /*v271*/, 8, v165 :: v_dual_lshlrev_b32 v16 /*v272*/, 16, v164
	v_dual_lshlrev_b32 v17 /*v273*/, 8, v164 :: v_dual_lshlrev_b32 v18 /*v274*/, 16, v165
	v_bfe_i32 v37 /*v293*/, v85, 0, 8
	v_bfe_i32 v39 /*v295*/, v119, 0, 8
	s_wait_dscnt 0x1a
	v_dual_lshlrev_b32 v55 /*v311*/, 16, v171 :: v_dual_ashrrev_i32 v59 /*v315*/, 24, v121
	s_wait_dscnt 0x13
	v_dual_ashrrev_i32 v58 /*v314*/, 24, v91 :: v_dual_ashrrev_i32 v64 /*v320*/, 24, v89
	s_set_vgpr_msb 0x44                     ;  msbs: dst=1 src0=0 src1=1 src2=0
	v_perm_b32 v23 /*v279*/, v158, v23 /*v279*/, 0x7030c04
	s_set_vgpr_msb 4                        ;  msbs: dst=0 src0=0 src1=1 src2=0
	v_perm_b32 v158, v159, v25 /*v281*/, 0xc0c0703
	s_set_vgpr_msb 0x45                     ;  msbs: dst=1 src0=1 src1=1 src2=0
	v_mul_i32_i24_e32 v25 /*v281*/, v42 /*v298*/, v38 /*v294*/
	s_set_vgpr_msb 64                       ;  msbs: dst=1 src0=0 src1=0 src2=0
	v_dual_lshlrev_b32 v19 /*v275*/, 8, v160 :: v_dual_lshlrev_b32 v20 /*v276*/, 16, v161
	v_bfe_i32 v60 /*v316*/, v91, 0, 8
	v_bfe_i32 v61 /*v317*/, v121, 0, 8
	s_wait_dscnt 0x10
	v_dual_ashrrev_i32 v67 /*v323*/, 24, v125 :: v_dual_lshlrev_b32 v69 /*v325*/, 8, v125
	v_dual_lshlrev_b32 v70 /*v326*/, 16, v125 :: v_dual_ashrrev_i32 v71 /*v327*/, 24, v115
	s_set_vgpr_msb 0x44                     ;  msbs: dst=1 src0=0 src1=1 src2=0
	v_perm_b32 v15 /*v271*/, v165, v15 /*v271*/, 0x7030c04
	s_set_vgpr_msb 1                        ;  msbs: dst=0 src0=1 src1=0 src2=0
	v_perm_b32 v165, v16 /*v272*/, v164, 0xc0c0700
	s_set_vgpr_msb 4                        ;  msbs: dst=0 src0=0 src1=1 src2=0
	v_perm_b32 v164, v164, v17 /*v273*/, 0xc0c0703
	s_wait_dscnt 0xc
	s_set_vgpr_msb 64                       ;  msbs: dst=1 src0=0 src1=0 src2=0
	v_ashrrev_i32_e32 v17 /*v273*/, 24, v123
	s_set_vgpr_msb 0x55                     ;  msbs: dst=1 src0=1 src1=1 src2=1
	v_mad_i32_i24 v25 /*v281*/, v39 /*v295*/, v37 /*v293*/, v25 /*v281*/
	v_mul_i32_i24_e32 v37 /*v293*/, v59 /*v315*/, v58 /*v314*/
	v_mul_i32_i24_e32 v38 /*v294*/, v42 /*v298*/, v58 /*v314*/
	s_set_vgpr_msb 64                       ;  msbs: dst=1 src0=0 src1=0 src2=0
	v_pk_mul_f16 v12 /*v268*/, v225, v82
	v_pk_mul_f16 v6 /*v262*/, v116, v234
	;; [unrolled: 1-line block ×5, first 2 shown]
	s_set_vgpr_msb 0                        ;  msbs: dst=0 src0=0 src1=0 src2=0
	v_pk_mul_f16 v227, v234, v82
	v_pk_mul_f16 v230, v234, v83
	;; [unrolled: 1-line block ×8, first 2 shown]
	s_set_vgpr_msb 64                       ;  msbs: dst=1 src0=0 src1=0 src2=0
	v_pk_mul_f16 v0 /*v256*/, v234, v127
	s_set_vgpr_msb 0                        ;  msbs: dst=0 src0=0 src1=0 src2=0
	v_pk_mul_f16 v245, v225, v126
	v_pk_mul_f16 v246, v225, v127
	s_set_vgpr_msb 64                       ;  msbs: dst=1 src0=0 src1=0 src2=0
	v_dual_lshlrev_b32 v21 /*v277*/, 8, v161 :: v_dual_lshlrev_b32 v22 /*v278*/, 16, v160
	s_set_vgpr_msb 0                        ;  msbs: dst=0 src0=0 src1=0 src2=0
	v_perm_b32 v241, v135, v134, 0x7020100
	s_set_vgpr_msb 64                       ;  msbs: dst=1 src0=0 src1=0 src2=0
	v_perm_b32 v34 /*v290*/, v80, v135, 0x4020c0c
	v_perm_b32 v35 /*v291*/, v135, v135, 0xc0c0100
	s_set_vgpr_msb 0                        ;  msbs: dst=0 src0=0 src1=0 src2=0
	v_perm_b32 v238, v135, v135, 0x6010007
	s_set_vgpr_msb 64                       ;  msbs: dst=1 src0=0 src1=0 src2=0
	v_dual_lshlrev_b32 v36 /*v292*/, 8, v113 :: v_dual_lshlrev_b32 v40 /*v296*/, 16, v119
	s_set_vgpr_msb 0                        ;  msbs: dst=0 src0=0 src1=0 src2=0
	v_bfe_i32 v234, v135, 0, 8
	v_perm_b32 v225, v135, v135, 0xc070601
	s_set_vgpr_msb 64                       ;  msbs: dst=1 src0=0 src1=0 src2=0
	v_dual_lshlrev_b32 v48 /*v304*/, 8, v167 :: v_dual_lshlrev_b32 v49 /*v305*/, 16, v121
	v_dual_lshlrev_b32 v11 /*v267*/, 8, v147 :: v_dual_lshlrev_b32 v50 /*v306*/, 8, v121
	v_bfe_i32 v65 /*v321*/, v89, 0, 8
	v_bfe_i32 v68 /*v324*/, v125, 0, 8
	;; [unrolled: 1-line block ×3, first 2 shown]
	s_set_vgpr_msb 4                        ;  msbs: dst=0 src0=0 src1=1 src2=0
	v_perm_b32 v160, v160, v19 /*v275*/, 0x7030c04
	s_set_vgpr_msb 0x41                     ;  msbs: dst=1 src0=1 src1=0 src2=0
	v_perm_b32 v19 /*v275*/, v20 /*v276*/, v161, 0xc0c0700
	s_set_vgpr_msb 64                       ;  msbs: dst=1 src0=0 src1=0 src2=0
	v_bfe_i32 v20 /*v276*/, v123, 0, 8
	s_set_vgpr_msb 1                        ;  msbs: dst=0 src0=1 src1=0 src2=0
	v_perm_b32 v135, v24 /*v280*/, v159, 0xc0c0700
	s_set_vgpr_msb 64                       ;  msbs: dst=1 src0=0 src1=0 src2=0
	v_lshlrev_b32_e32 v24 /*v280*/, 8, v123
	s_set_vgpr_msb 0x55                     ;  msbs: dst=1 src0=1 src1=1 src2=1
	v_mad_i32_i24 v37 /*v293*/, v61 /*v317*/, v60 /*v316*/, v37 /*v293*/
	v_mad_i32_i24 v38 /*v294*/, v39 /*v295*/, v60 /*v316*/, v38 /*v294*/
	v_mul_i32_i24_e32 v42 /*v298*/, v42 /*v298*/, v64 /*v320*/
	v_mul_i32_i24_e32 v60 /*v316*/, v67 /*v323*/, v64 /*v320*/
	;; [unrolled: 1-line block ×5, first 2 shown]
	s_set_vgpr_msb 0                        ;  msbs: dst=0 src0=0 src1=0 src2=0
	v_add_nc_u32_e32 v218, 32, v218
	s_set_vgpr_msb 64                       ;  msbs: dst=1 src0=0 src1=0 src2=0
	v_pk_mul_f16 v10 /*v266*/, v233, v82
	s_set_vgpr_msb 0                        ;  msbs: dst=0 src0=0 src1=0 src2=0
	v_pk_mul_f16 v252, v116, v233
	s_set_vgpr_msb 64                       ;  msbs: dst=1 src0=0 src1=0 src2=0
	v_pk_mul_f16 v2 /*v258*/, v116, v226
	s_set_vgpr_msb 0                        ;  msbs: dst=0 src0=0 src1=0 src2=0
	v_pk_mul_f16 v116, v226, v82
	v_ashrrev_i32_e32 v82, 24, v81
	s_set_vgpr_msb 4                        ;  msbs: dst=0 src0=0 src1=1 src2=0
	v_perm_b32 v161, v161, v21 /*v277*/, 0xc0c0703
	s_set_vgpr_msb 64                       ;  msbs: dst=1 src0=0 src1=0 src2=0
	v_lshlrev_b32_e32 v21 /*v277*/, 8, v115
	s_set_vgpr_msb 0                        ;  msbs: dst=0 src0=0 src1=0 src2=0
	v_lshlrev_b32_e32 v159, 16, v115
	s_set_vgpr_msb 0x55                     ;  msbs: dst=1 src0=1 src1=1 src2=1
	v_mad_i32_i24 v39 /*v295*/, v39 /*v295*/, v65 /*v321*/, v42 /*v298*/
	s_wait_dscnt 0x9
	s_set_vgpr_msb 64                       ;  msbs: dst=1 src0=0 src1=0 src2=0
	v_ashrrev_i32_e32 v42 /*v298*/, 24, v109
	s_set_vgpr_msb 0x55                     ;  msbs: dst=1 src0=1 src1=1 src2=1
	v_mad_i32_i24 v60 /*v316*/, v68 /*v324*/, v65 /*v321*/, v60 /*v316*/
	s_set_vgpr_msb 0x44                     ;  msbs: dst=1 src0=0 src1=1 src2=0
	v_perm_b32 v68 /*v324*/, v166, v41 /*v297*/, 0x407030c
	s_set_vgpr_msb 0x55                     ;  msbs: dst=1 src0=1 src1=1 src2=1
	v_mad_i32_i24 v16 /*v272*/, v16 /*v272*/, v65 /*v321*/, v67 /*v323*/
	v_perm_b32 v67 /*v323*/, v40 /*v296*/, v40 /*v296*/, 0xc0c0c03
	v_mad_i32_i24 v17 /*v273*/, v20 /*v276*/, v65 /*v321*/, v17 /*v273*/
	s_set_vgpr_msb 0x44                     ;  msbs: dst=1 src0=0 src1=1 src2=0
	v_perm_b32 v20 /*v276*/, v170, v50 /*v306*/, 0x407030c
	s_set_vgpr_msb 0x55                     ;  msbs: dst=1 src0=1 src1=1 src2=1
	v_mad_i32_i24 v59 /*v315*/, v61 /*v317*/, v65 /*v321*/, v59 /*v315*/
	v_perm_b32 v61 /*v317*/, v49 /*v305*/, v49 /*v305*/, 0xc0c0c03
	s_set_vgpr_msb 64                       ;  msbs: dst=1 src0=0 src1=0 src2=0
	v_perm_b32 v56 /*v312*/, v180, v85, 0x4070201
	v_lshlrev_b32_e32 v58 /*v314*/, 16, v123
	s_set_vgpr_msb 0x44                     ;  msbs: dst=1 src0=0 src1=1 src2=0
	v_perm_b32 v65 /*v321*/, v178, v69 /*v325*/, 0x407030c
	s_set_vgpr_msb 1                        ;  msbs: dst=0 src0=1 src1=0 src2=0
	v_mul_i32_i24_e32 v82, v42 /*v298*/, v82
	s_set_vgpr_msb 0x45                     ;  msbs: dst=1 src0=1 src1=1 src2=0
	v_mul_i32_i24_e32 v42 /*v298*/, v42 /*v298*/, v64 /*v320*/
	v_perm_b32 v64 /*v320*/, v70 /*v326*/, v70 /*v326*/, 0xc0c0c03
	v_or_b32_e32 v67 /*v323*/, v68 /*v324*/, v67 /*v323*/
	s_set_vgpr_msb 0x44                     ;  msbs: dst=1 src0=0 src1=1 src2=0
	v_perm_b32 v68 /*v324*/, v168, v21 /*v277*/, 0x407030c
	s_set_vgpr_msb 0x45                     ;  msbs: dst=1 src0=1 src1=1 src2=0
	v_or_b32_e32 v20 /*v276*/, v20 /*v276*/, v61 /*v317*/
	s_set_vgpr_msb 64                       ;  msbs: dst=1 src0=0 src1=0 src2=0
	v_perm_b32 v61 /*v317*/, v159, v159, 0xc0c0c03
	v_pk_mul_f16 v13 /*v269*/, v226, v105
	v_perm_b32 v62 /*v318*/, v182, v91, 0x4070201
	v_perm_b32 v66 /*v322*/, v176, v89, 0x4070201
	s_set_vgpr_msb 0x45                     ;  msbs: dst=1 src0=1 src1=1 src2=0
	v_or_b32_e32 v64 /*v320*/, v65 /*v321*/, v64 /*v320*/
	s_set_vgpr_msb 0x44                     ;  msbs: dst=1 src0=0 src1=1 src2=0
	v_perm_b32 v65 /*v321*/, v174, v24 /*v280*/, 0x407030c
	s_set_vgpr_msb 0x55                     ;  msbs: dst=1 src0=1 src1=1 src2=1
	v_or_b32_e32 v61 /*v317*/, v68 /*v324*/, v61 /*v317*/
	v_dot4_i32_iu8 v25 /*v281*/, v67 /*v323*/, v56 /*v312*/, v25 /*v281*/ neg_lo:[1,1,0]
	s_set_vgpr_msb 64                       ;  msbs: dst=1 src0=0 src1=0 src2=0
	v_lshlrev_b32_e32 v56 /*v312*/, 8, v178
	s_set_vgpr_msb 0x55                     ;  msbs: dst=1 src0=1 src1=1 src2=1
	v_perm_b32 v68 /*v324*/, v58 /*v314*/, v58 /*v314*/, 0xc0c0c03
	v_dot4_i32_iu8 v37 /*v293*/, v20 /*v276*/, v62 /*v318*/, v37 /*v293*/ neg_lo:[1,1,0]
	v_dot4_i32_iu8 v38 /*v294*/, v67 /*v323*/, v62 /*v318*/, v38 /*v294*/ neg_lo:[1,1,0]
	s_set_vgpr_msb 64                       ;  msbs: dst=1 src0=0 src1=0 src2=0
	v_lshlrev_b32_e32 v62 /*v318*/, 16, v178
	s_set_vgpr_msb 0x55                     ;  msbs: dst=1 src0=1 src1=1 src2=1
	v_dot4_i32_iu8 v39 /*v295*/, v67 /*v323*/, v66 /*v322*/, v39 /*v295*/ neg_lo:[1,1,0]
	v_or_b32_e32 v65 /*v321*/, v65 /*v321*/, v68 /*v324*/
	s_set_vgpr_msb 64                       ;  msbs: dst=1 src0=0 src1=0 src2=0
	v_lshlrev_b32_e32 v67 /*v323*/, 16, v109
	s_set_vgpr_msb 0x55                     ;  msbs: dst=1 src0=1 src1=1 src2=1
	v_dot4_i32_iu8 v60 /*v316*/, v64 /*v320*/, v66 /*v322*/, v60 /*v316*/ neg_lo:[1,1,0]
	s_set_vgpr_msb 64                       ;  msbs: dst=1 src0=0 src1=0 src2=0
	v_lshlrev_b32_e32 v64 /*v320*/, 8, v109
	s_set_vgpr_msb 0x55                     ;  msbs: dst=1 src0=1 src1=1 src2=1
	v_dot4_i32_iu8 v16 /*v272*/, v61 /*v317*/, v66 /*v322*/, v16 /*v272*/ neg_lo:[1,1,0]
	v_dot4_i32_iu8 v17 /*v273*/, v65 /*v321*/, v66 /*v322*/, v17 /*v273*/ neg_lo:[1,1,0]
	s_set_vgpr_msb 64                       ;  msbs: dst=1 src0=0 src1=0 src2=0
	v_lshlrev_b32_e32 v65 /*v321*/, 8, v168
	s_set_vgpr_msb 0x55                     ;  msbs: dst=1 src0=1 src1=1 src2=1
	v_dot4_i32_iu8 v20 /*v276*/, v20 /*v276*/, v66 /*v322*/, v59 /*v315*/ neg_lo:[1,1,0]
	s_set_vgpr_msb 0x41                     ;  msbs: dst=1 src0=1 src1=0 src2=0
	v_perm_b32 v59 /*v315*/, v67 /*v323*/, v109, 0xc0c0700
	s_wait_dscnt 0x8
	s_set_vgpr_msb 0x44                     ;  msbs: dst=1 src0=0 src1=1 src2=0
	v_perm_b32 v66 /*v322*/, v148, v64 /*v320*/, 0x7030c0c
	s_set_vgpr_msb 64                       ;  msbs: dst=1 src0=0 src1=0 src2=0
	v_pk_mul_f16 v9 /*v265*/, v233, v117
	v_pk_mul_f16 v7 /*v263*/, v226, v117
	s_set_vgpr_msb 0                        ;  msbs: dst=0 src0=0 src1=0 src2=0
	v_pk_mul_f16 v117, v233, v83
	v_pk_mul_f16 v254, v226, v83
	v_perm_b32 v83, v106, v81, 0x7020100
	s_set_vgpr_msb 0x45                     ;  msbs: dst=1 src0=1 src1=1 src2=0
	v_or_b32_e32 v59 /*v315*/, v66 /*v322*/, v59 /*v315*/
	s_set_vgpr_msb 64                       ;  msbs: dst=1 src0=0 src1=0 src2=0
	v_dual_lshlrev_b32 v44 /*v300*/, 8, v166 :: v_dual_lshlrev_b32 v47 /*v303*/, 16, v167
	s_set_vgpr_msb 0x45                     ;  msbs: dst=1 src0=1 src1=1 src2=0
	v_perm_b32 v40 /*v296*/, v41 /*v297*/, v40 /*v296*/, 0x7030c0c
	s_set_vgpr_msb 64                       ;  msbs: dst=1 src0=0 src1=0 src2=0
	v_lshlrev_b32_e32 v41 /*v297*/, 8, v139
	s_set_vgpr_msb 1                        ;  msbs: dst=0 src0=1 src1=0 src2=0
	v_dot4_i32_iu8 v82, v59 /*v315*/, v83, v82 neg_lo:[1,1,0]
	v_lshlrev_b32_e32 v83, 8, v174
	v_perm_b32 v159, v21 /*v277*/, v159, 0x7030c0c
	s_wait_dscnt 0x5
	s_set_vgpr_msb 64                       ;  msbs: dst=1 src0=0 src1=0 src2=0
	v_lshlrev_b32_e32 v21 /*v277*/, 16, v172
	s_set_vgpr_msb 0x45                     ;  msbs: dst=1 src0=1 src1=1 src2=0
	v_perm_b32 v24 /*v280*/, v24 /*v280*/, v58 /*v314*/, 0x7030c0c
	s_set_vgpr_msb 64                       ;  msbs: dst=1 src0=0 src1=0 src2=0
	v_dual_lshlrev_b32 v58 /*v314*/, 8, v172 :: v_dual_lshlrev_b32 v51 /*v307*/, 16, v170
	v_lshlrev_b32_e32 v52 /*v308*/, 8, v170
	v_perm_b32 v61 /*v317*/, v176, v89, 0x7020100
	v_lshlrev_b32_e32 v66 /*v322*/, 16, v168
	s_set_vgpr_msb 0x45                     ;  msbs: dst=1 src0=1 src1=1 src2=0
	v_perm_b32 v21 /*v277*/, v58 /*v314*/, v21 /*v277*/, 0x7030c0c
	v_perm_b32 v58 /*v314*/, v64 /*v320*/, v67 /*v323*/, 0x7030c0c
	s_set_vgpr_msb 0x44                     ;  msbs: dst=1 src0=0 src1=1 src2=0
	v_perm_b32 v64 /*v320*/, v146, v44 /*v300*/, 0x407030c
	s_set_vgpr_msb 0x55                     ;  msbs: dst=1 src0=1 src1=1 src2=1
	v_perm_b32 v44 /*v300*/, v44 /*v300*/, v43 /*v299*/, 0x7030c0c
	v_perm_b32 v43 /*v299*/, v43 /*v299*/, v43 /*v299*/, 0xc0c0c03
	v_dot4_i32_iu8 v42 /*v298*/, v59 /*v315*/, v61 /*v317*/, v42 /*v298*/ neg_lo:[1,1,0]
	s_set_vgpr_msb 64                       ;  msbs: dst=1 src0=0 src1=0 src2=0
	v_lshlrev_b32_e32 v59 /*v315*/, 16, v174
	s_set_vgpr_msb 0                        ;  msbs: dst=0 src0=0 src1=0 src2=0
	v_perm_b32 v115, v115, v115, 0xc0c0003
	s_set_vgpr_msb 64                       ;  msbs: dst=1 src0=0 src1=0 src2=0
	v_lshlrev_b32_e32 v61 /*v317*/, 16, v148
	s_set_vgpr_msb 0x45                     ;  msbs: dst=1 src0=1 src1=1 src2=0
	v_or_b32_e32 v43 /*v299*/, v64 /*v320*/, v43 /*v299*/
	s_set_vgpr_msb 0x44                     ;  msbs: dst=1 src0=0 src1=1 src2=0
	v_perm_b32 v64 /*v320*/, v150, v52 /*v308*/, 0x407030c
	s_set_vgpr_msb 0x45                     ;  msbs: dst=1 src0=1 src1=1 src2=0
	v_perm_b32 v52 /*v308*/, v52 /*v308*/, v51 /*v307*/, 0x7030c0c
	v_perm_b32 v51 /*v307*/, v51 /*v307*/, v51 /*v307*/, 0xc0c0c03
	;; [unrolled: 1-line block ×3, first 2 shown]
	s_set_vgpr_msb 64                       ;  msbs: dst=1 src0=0 src1=0 src2=0
	v_lshlrev_b32_e32 v50 /*v306*/, 8, v148
	s_set_vgpr_msb 0                        ;  msbs: dst=0 src0=0 src1=0 src2=0
	v_or_b32_e32 v115, v159, v115
	v_perm_b32 v159, v174, v174, 0xc0c0003
	s_set_vgpr_msb 0x45                     ;  msbs: dst=1 src0=1 src1=1 src2=0
	v_or_b32_e32 v51 /*v307*/, v64 /*v320*/, v51 /*v307*/
	s_set_vgpr_msb 0x44                     ;  msbs: dst=1 src0=0 src1=1 src2=0
	v_perm_b32 v64 /*v320*/, v156, v56 /*v312*/, 0x407030c
	s_set_vgpr_msb 0x45                     ;  msbs: dst=1 src0=1 src1=1 src2=0
	v_perm_b32 v56 /*v312*/, v56 /*v312*/, v62 /*v318*/, 0x7030c0c
	v_perm_b32 v62 /*v318*/, v62 /*v318*/, v62 /*v318*/, 0xc0c0c03
	;; [unrolled: 1-line block ×3, first 2 shown]
	s_set_vgpr_msb 64                       ;  msbs: dst=1 src0=0 src1=0 src2=0
	v_lshlrev_b32_e32 v70 /*v326*/, 16, v139
	s_set_vgpr_msb 0                        ;  msbs: dst=0 src0=0 src1=0 src2=0
	v_perm_b32 v123, v123, v123, 0xc0c0003
	v_perm_b32 v121, v121, v121, 0xc0c0003
	s_set_vgpr_msb 0x45                     ;  msbs: dst=1 src0=1 src1=1 src2=0
	v_or_b32_e32 v62 /*v318*/, v64 /*v320*/, v62 /*v318*/
	s_set_vgpr_msb 0x44                     ;  msbs: dst=1 src0=0 src1=1 src2=0
	v_perm_b32 v64 /*v320*/, v162, v65 /*v321*/, 0x407030c
	s_set_vgpr_msb 0x45                     ;  msbs: dst=1 src0=1 src1=1 src2=0
	v_perm_b32 v65 /*v321*/, v65 /*v321*/, v66 /*v322*/, 0x7030c0c
	v_perm_b32 v66 /*v322*/, v66 /*v322*/, v66 /*v322*/, 0xc0c0c03
	s_set_vgpr_msb 64                       ;  msbs: dst=1 src0=0 src1=0 src2=0
	v_pk_mul_f16 v5 /*v261*/, v233, v104
	s_set_vgpr_msb 0                        ;  msbs: dst=0 src0=0 src1=0 src2=0
	v_pk_mul_f16 v255, v226, v104
	s_set_vgpr_msb 64                       ;  msbs: dst=1 src0=0 src1=0 src2=0
	v_pk_mul_f16 v4 /*v260*/, v233, v105
	s_set_vgpr_msb 0                        ;  msbs: dst=0 src0=0 src1=0 src2=0
	v_perm_b32 v104, v107, v106, 0x7020100
	s_set_vgpr_msb 0x45                     ;  msbs: dst=1 src0=1 src1=1 src2=0
	v_or_b32_e32 v64 /*v320*/, v64 /*v320*/, v66 /*v322*/
	s_set_vgpr_msb 64                       ;  msbs: dst=1 src0=0 src1=0 src2=0
	v_perm_b32 v66 /*v322*/, v154, v83, 0x407030c
	s_set_vgpr_msb 4                        ;  msbs: dst=0 src0=0 src1=1 src2=0
	v_perm_b32 v83, v83, v59 /*v315*/, 0x7030c0c
	s_set_vgpr_msb 0x45                     ;  msbs: dst=1 src0=1 src1=1 src2=0
	v_perm_b32 v59 /*v315*/, v59 /*v315*/, v59 /*v315*/, 0xc0c0c03
	s_set_vgpr_msb 0                        ;  msbs: dst=0 src0=0 src1=0 src2=0
	v_perm_b32 v105, v81, v81, 0x2010003
	s_set_vgpr_msb 64                       ;  msbs: dst=1 src0=0 src1=0 src2=0
	v_perm_b32 v57 /*v313*/, v181, v180, 0x4070201
	s_set_vgpr_msb 0x45                     ;  msbs: dst=1 src0=1 src1=1 src2=0
	v_perm_b32 v41 /*v297*/, v41 /*v297*/, v70 /*v326*/, 0x7030c0c
	s_set_vgpr_msb 0                        ;  msbs: dst=0 src0=0 src1=0 src2=0
	v_or_b32_e32 v83, v83, v159
	s_set_vgpr_msb 0x45                     ;  msbs: dst=1 src0=1 src1=1 src2=0
	v_or_b32_e32 v59 /*v315*/, v66 /*v322*/, v59 /*v315*/
	s_set_vgpr_msb 0x41                     ;  msbs: dst=1 src0=1 src1=0 src2=0
	v_perm_b32 v66 /*v322*/, v61 /*v317*/, v148, 0xc0c0700
	s_set_vgpr_msb 0x45                     ;  msbs: dst=1 src0=1 src1=1 src2=0
	v_perm_b32 v61 /*v317*/, v50 /*v306*/, v61 /*v317*/, 0x7030c0c
	s_set_vgpr_msb 0x44                     ;  msbs: dst=1 src0=0 src1=1 src2=0
	v_perm_b32 v50 /*v306*/, v110, v50 /*v306*/, 0x7030c0c
	s_set_vgpr_msb 0                        ;  msbs: dst=0 src0=0 src1=0 src2=0
	v_perm_b32 v159, v172, v172, 0xc0c0003
	v_perm_b32 v125, v125, v125, 0xc0c0003
	;; [unrolled: 1-line block ×3, first 2 shown]
	s_set_vgpr_msb 1                        ;  msbs: dst=0 src0=1 src1=0 src2=0
	v_or_b32_e32 v123, v24 /*v280*/, v123
	s_set_vgpr_msb 0x45                     ;  msbs: dst=1 src0=1 src1=1 src2=0
	v_or_b32_e32 v50 /*v306*/, v50 /*v306*/, v66 /*v322*/
	s_set_vgpr_msb 0                        ;  msbs: dst=0 src0=0 src1=0 src2=0
	v_perm_b32 v170, v170, v170, 0xc0c0003
	v_perm_b32 v139, v139, v139, 0xc0c0003
	s_set_vgpr_msb 1                        ;  msbs: dst=0 src0=1 src1=0 src2=0
	v_or_b32_e32 v121, v49 /*v305*/, v121
	v_or_b32_e32 v159, v21 /*v277*/, v159
	s_set_vgpr_msb 0                        ;  msbs: dst=0 src0=0 src1=0 src2=0
	v_perm_b32 v172, v177, v176, 0x7020100
	v_perm_b32 v174, v91, v91, 0x2010003
	s_set_vgpr_msb 64                       ;  msbs: dst=1 src0=0 src1=0 src2=0
	v_perm_b32 v21 /*v277*/, v85, v85, 0x2010003
	v_perm_b32 v14 /*v270*/, v106, v106, 0x2010003
	s_set_vgpr_msb 0                        ;  msbs: dst=0 src0=0 src1=0 src2=0
	v_perm_b32 v178, v178, v178, 0xc0c0003
	s_set_vgpr_msb 1                        ;  msbs: dst=0 src0=1 src1=0 src2=0
	v_or_b32_e32 v125, v69 /*v325*/, v125
	s_set_vgpr_msb 0                        ;  msbs: dst=0 src0=0 src1=0 src2=0
	v_perm_b32 v166, v166, v166, 0xc0c0003
	s_set_vgpr_msb 1                        ;  msbs: dst=0 src0=1 src1=0 src2=0
	v_or_b32_e32 v119, v40 /*v296*/, v119
	;; [unrolled: 4-line block ×4, first 2 shown]
	s_set_vgpr_msb 0x55                     ;  msbs: dst=1 src0=1 src1=1 src2=1
	v_dot4_i32_iu8 v24 /*v280*/, v43 /*v299*/, v57 /*v313*/, v25 /*v281*/ neg_lo:[1,1,0]
	s_set_vgpr_msb 64                       ;  msbs: dst=1 src0=0 src1=0 src2=0
	v_perm_b32 v25 /*v281*/, v89, v89, 0x2010003
	v_perm_b32 v40 /*v296*/, v182, v182, 0x2010003
	;; [unrolled: 1-line block ×3, first 2 shown]
	s_set_vgpr_msb 1                        ;  msbs: dst=0 src0=1 src1=0 src2=0
	v_dot4_i32_iu8 v104, v50 /*v306*/, v104, v82 neg_lo:[1,1,0]
	s_set_vgpr_msb 0                        ;  msbs: dst=0 src0=0 src1=0 src2=0
	v_dot4_i32_iu8 v82, v123, v174, 0 neg_lo:[1,1,0]
	s_set_vgpr_msb 17                       ;  msbs: dst=0 src0=1 src1=0 src2=1
	v_dot4_i32_iu8 v172, v50 /*v306*/, v172, v42 /*v298*/ neg_lo:[1,1,0]
	s_set_vgpr_msb 64                       ;  msbs: dst=1 src0=0 src1=0 src2=0
	v_dot4_i32_iu8 v42 /*v298*/, v121, v105, 0 neg_lo:[1,1,0]
	s_set_vgpr_msb 4                        ;  msbs: dst=0 src0=0 src1=1 src2=0
	v_dot4_i32_iu8 v121, v121, v21 /*v277*/, 0 neg_lo:[1,1,0]
	s_set_vgpr_msb 64                       ;  msbs: dst=1 src0=0 src1=0 src2=0
	v_perm_b32 v63 /*v319*/, v183, v182, 0x4070201
	v_perm_b32 v68 /*v324*/, v177, v176, 0x4070201
	s_set_vgpr_msb 1                        ;  msbs: dst=0 src0=1 src1=0 src2=0
	v_or_b32_e32 v178, v56 /*v312*/, v178
	v_or_b32_e32 v166, v44 /*v300*/, v166
	;; [unrolled: 1-line block ×3, first 2 shown]
	s_set_vgpr_msb 0                        ;  msbs: dst=0 src0=0 src1=0 src2=0
	v_perm_b32 v148, v148, v148, 0xc0c0003
	s_set_vgpr_msb 1                        ;  msbs: dst=0 src0=1 src1=0 src2=0
	v_or_b32_e32 v109, v58 /*v314*/, v109
	s_set_vgpr_msb 64                       ;  msbs: dst=1 src0=0 src1=0 src2=0
	v_dot4_i32_iu8 v44 /*v300*/, v125, v105, 0 neg_lo:[1,1,0]
	v_dot4_i32_iu8 v52 /*v308*/, v115, v105, 0 neg_lo:[1,1,0]
	;; [unrolled: 1-line block ×3, first 2 shown]
	s_set_vgpr_msb 0x44                     ;  msbs: dst=1 src0=0 src1=1 src2=0
	v_dot4_i32_iu8 v25 /*v281*/, v139, v25 /*v281*/, 0 neg_lo:[1,1,0]
	s_set_vgpr_msb 64                       ;  msbs: dst=1 src0=0 src1=0 src2=0
	v_dot4_i32_iu8 v50 /*v306*/, v139, v174, 0 neg_lo:[1,1,0]
	s_set_vgpr_msb 0x44                     ;  msbs: dst=1 src0=0 src1=1 src2=0
	v_dot4_i32_iu8 v57 /*v313*/, v83, v40 /*v296*/, v82 neg_lo:[1,1,0]
	s_set_vgpr_msb 0                        ;  msbs: dst=0 src0=0 src1=0 src2=0
	v_perm_b32 v82, v176, v176, 0x2010003
	s_set_vgpr_msb 0x54                     ;  msbs: dst=1 src0=0 src1=1 src2=1
	v_dot4_i32_iu8 v42 /*v298*/, v170, v14 /*v270*/, v42 /*v298*/ neg_lo:[1,1,0]
	s_set_vgpr_msb 4                        ;  msbs: dst=0 src0=0 src1=1 src2=0
	v_dot4_i32_iu8 v121, v170, v41 /*v297*/, v121 neg_lo:[1,1,0]
	s_set_vgpr_msb 0                        ;  msbs: dst=0 src0=0 src1=0 src2=0
	v_lshlrev_b32_e32 v170, 8, v156
	v_dot4_i32_iu8 v119, v119, v105, 0 neg_lo:[1,1,0]
	v_dot4_i32_iu8 v105, v139, v105, 0 neg_lo:[1,1,0]
	s_set_vgpr_msb 4                        ;  msbs: dst=0 src0=0 src1=1 src2=0
	v_dot4_i32_iu8 v139, v139, v21 /*v277*/, 0 neg_lo:[1,1,0]
	s_set_vgpr_msb 0                        ;  msbs: dst=0 src0=0 src1=0 src2=0
	v_pk_mul_f16 v253, v233, v127
	v_pk_mul_f16 v247, v226, v126
	;; [unrolled: 1-line block ×3, first 2 shown]
	v_perm_b32 v127, v134, v137, 0x7020100
	v_perm_b32 v240, v134, v134, 0x2010003
	;; [unrolled: 1-line block ×4, first 2 shown]
	v_bfe_i32 v226, v113, 0, 8
	s_set_vgpr_msb 1                        ;  msbs: dst=0 src0=1 src1=0 src2=0
	v_dual_lshlrev_b32 v134, 16, v113 :: v_dual_bitop2_b32 v148, v61 /*v317*/, v148 bitop3:0x54
	s_set_vgpr_msb 0x55                     ;  msbs: dst=1 src0=1 src1=1 src2=1
	v_dot4_i32_iu8 v37 /*v293*/, v51 /*v307*/, v63 /*v319*/, v37 /*v293*/ neg_lo:[1,1,0]
	s_set_vgpr_msb 64                       ;  msbs: dst=1 src0=0 src1=0 src2=0
	v_dot4_i32_iu8 v49 /*v305*/, v125, v174, 0 neg_lo:[1,1,0]
	s_set_vgpr_msb 0x55                     ;  msbs: dst=1 src0=1 src1=1 src2=1
	v_dot4_i32_iu8 v20 /*v276*/, v51 /*v307*/, v68 /*v324*/, v20 /*v276*/ neg_lo:[1,1,0]
	s_set_vgpr_msb 4                        ;  msbs: dst=0 src0=0 src1=1 src2=0
	v_dot4_i32_iu8 v119, v166, v14 /*v270*/, v119 neg_lo:[1,1,0]
	s_set_vgpr_msb 0                        ;  msbs: dst=0 src0=0 src1=0 src2=0
	v_lshlrev_b32_e32 v166, 8, v151
	s_set_vgpr_msb 0x54                     ;  msbs: dst=1 src0=0 src1=1 src2=1
	v_dot4_i32_iu8 v44 /*v300*/, v178, v14 /*v270*/, v44 /*v300*/ neg_lo:[1,1,0]
	v_dot4_i32_iu8 v56 /*v312*/, v83, v14 /*v270*/, v56 /*v312*/ neg_lo:[1,1,0]
	s_set_vgpr_msb 4                        ;  msbs: dst=0 src0=0 src1=1 src2=0
	v_dot4_i32_iu8 v105, v159, v14 /*v270*/, v105 neg_lo:[1,1,0]
	s_set_vgpr_msb 0x54                     ;  msbs: dst=1 src0=0 src1=1 src2=1
	v_dot4_i32_iu8 v50 /*v306*/, v159, v40 /*v296*/, v50 /*v306*/ neg_lo:[1,1,0]
	s_set_vgpr_msb 4                        ;  msbs: dst=0 src0=0 src1=1 src2=0
	v_dot4_i32_iu8 v139, v159, v41 /*v297*/, v139 neg_lo:[1,1,0]
	s_set_vgpr_msb 0x44                     ;  msbs: dst=1 src0=0 src1=1 src2=0
	v_perm_b32 v36 /*v292*/, v113, v36 /*v292*/, 0xc07030c
	s_set_vgpr_msb 0                        ;  msbs: dst=0 src0=0 src1=0 src2=0
	v_lshlrev_b32_e32 v113, 8, v154
	s_set_vgpr_msb 0x54                     ;  msbs: dst=1 src0=0 src1=1 src2=1
	v_dot4_i32_iu8 v52 /*v308*/, v168, v14 /*v270*/, v52 /*v308*/ neg_lo:[1,1,0]
	s_set_vgpr_msb 0x50                     ;  msbs: dst=1 src0=0 src1=0 src2=1
	v_dot4_i32_iu8 v14 /*v270*/, v159, v82, v25 /*v281*/ neg_lo:[1,1,0]
	s_set_vgpr_msb 0                        ;  msbs: dst=0 src0=0 src1=0 src2=0
	v_lshlrev_b32_e32 v159, 8, v162
	s_set_vgpr_msb 64                       ;  msbs: dst=1 src0=0 src1=0 src2=0
	v_dot4_i32_iu8 v51 /*v307*/, v115, v174, 0 neg_lo:[1,1,0]
	s_set_vgpr_msb 0                        ;  msbs: dst=0 src0=0 src1=0 src2=0
	v_dot4_i32_iu8 v174, v109, v174, 0 neg_lo:[1,1,0]
	s_set_vgpr_msb 4                        ;  msbs: dst=0 src0=0 src1=1 src2=0
	v_dot4_i32_iu8 v109, v109, v21 /*v277*/, 0 neg_lo:[1,1,0]
	s_set_vgpr_msb 5                        ;  msbs: dst=0 src0=1 src1=1 src2=0
	v_perm_b32 v82, v18 /*v274*/, v18 /*v274*/, 0xc0c030c
	s_set_vgpr_msb 64                       ;  msbs: dst=1 src0=0 src1=0 src2=0
	v_dot4_i32_iu8 v27 /*v283*/, v80, v112, 0 neg_lo:[1,1,0]
	v_lshlrev_b32_e32 v25 /*v281*/, 16, v156
	s_set_vgpr_msb 4                        ;  msbs: dst=0 src0=0 src1=1 src2=0
	v_dot4_i32_iu8 v174, v148, v40 /*v296*/, v174 neg_lo:[1,1,0]
	s_set_vgpr_msb 0x45                     ;  msbs: dst=1 src0=1 src1=1 src2=0
	v_perm_b32 v18 /*v274*/, v22 /*v278*/, v22 /*v278*/, 0xc0c030c
	s_set_vgpr_msb 4                        ;  msbs: dst=0 src0=0 src1=1 src2=0
	v_dot4_i32_iu8 v109, v148, v41 /*v297*/, v109 neg_lo:[1,1,0]
	s_set_vgpr_msb 0                        ;  msbs: dst=0 src0=0 src1=0 src2=0
	v_dot4_i32_iu8 v148, v88, v112, 0 neg_lo:[1,1,0]
	s_set_vgpr_msb 64                       ;  msbs: dst=1 src0=0 src1=0 src2=0
	v_dot4_i32_iu8 v22 /*v278*/, v90, v112, 0 neg_lo:[1,1,0]
	s_set_vgpr_msb 0                        ;  msbs: dst=0 src0=0 src1=0 src2=0
	v_dot4_i32_iu8 v112, v84, v112, 0 neg_lo:[1,1,0]
	s_set_vgpr_msb 0x41                     ;  msbs: dst=1 src0=1 src1=0 src2=0
	v_or_b32_e32 v15 /*v271*/, v15 /*v271*/, v82
	s_set_vgpr_msb 0x45                     ;  msbs: dst=1 src0=1 src1=1 src2=0
	v_perm_b32 v26 /*v282*/, v26 /*v282*/, v26 /*v282*/, 0xc0c030c
	s_set_vgpr_msb 4                        ;  msbs: dst=0 src0=0 src1=1 src2=0
	v_or_b32_e32 v160, v160, v18 /*v274*/
	s_set_vgpr_msb 64                       ;  msbs: dst=1 src0=0 src1=0 src2=0
	v_dual_lshlrev_b32 v45 /*v301*/, 16, v146 :: v_dual_lshlrev_b32 v46 /*v302*/, 8, v146
	s_set_vgpr_msb 1                        ;  msbs: dst=0 src0=1 src1=0 src2=0
	v_dot4_i32_iu8 v85, v15 /*v271*/, v85, v112 neg_lo:[1,1,0]
	s_set_vgpr_msb 0x45                     ;  msbs: dst=1 src0=1 src1=1 src2=0
	v_or_b32_e32 v23 /*v279*/, v23 /*v279*/, v26 /*v282*/
	s_set_vgpr_msb 17                       ;  msbs: dst=0 src0=1 src1=0 src2=1
	v_dot4_i32_iu8 v81, v15 /*v271*/, v81, v27 /*v283*/ neg_lo:[1,1,0]
	v_dot4_i32_iu8 v91, v15 /*v271*/, v91, v22 /*v278*/ neg_lo:[1,1,0]
	s_set_vgpr_msb 4                        ;  msbs: dst=0 src0=0 src1=1 src2=0
	v_dot4_i32_iu8 v123, v123, v21 /*v277*/, 0 neg_lo:[1,1,0]
	s_set_vgpr_msb 0                        ;  msbs: dst=0 src0=0 src1=0 src2=0
	v_dot4_i32_iu8 v85, v160, v180, v85 neg_lo:[1,1,0]
	s_set_vgpr_msb 4                        ;  msbs: dst=0 src0=0 src1=1 src2=0
	v_perm_b32 v82, v167, v46 /*v302*/, 0x407030c
	s_set_vgpr_msb 0                        ;  msbs: dst=0 src0=0 src1=0 src2=0
	v_dot4_i32_iu8 v81, v160, v106, v81 neg_lo:[1,1,0]
	s_set_vgpr_msb 5                        ;  msbs: dst=0 src0=1 src1=1 src2=0
	v_perm_b32 v106, v45 /*v301*/, v45 /*v301*/, 0xc0c0c03
	s_set_vgpr_msb 0                        ;  msbs: dst=0 src0=0 src1=0 src2=0
	v_dot4_i32_iu8 v91, v160, v182, v91 neg_lo:[1,1,0]
	s_set_vgpr_msb 1                        ;  msbs: dst=0 src0=1 src1=0 src2=0
	v_dot4_i32_iu8 v112, v23 /*v279*/, v181, v85 neg_lo:[1,1,0]
	s_set_vgpr_msb 0                        ;  msbs: dst=0 src0=0 src1=0 src2=0
	v_perm_b32 v85, v179, v170, 0x407030c
	s_set_vgpr_msb 5                        ;  msbs: dst=0 src0=1 src1=1 src2=0
	v_perm_b32 v180, v25 /*v281*/, v25 /*v281*/, 0xc0c0c03
	s_set_vgpr_msb 1                        ;  msbs: dst=0 src0=1 src1=0 src2=0
	v_dot4_i32_iu8 v89, v15 /*v271*/, v89, v148 neg_lo:[1,1,0]
	s_set_vgpr_msb 64                       ;  msbs: dst=1 src0=0 src1=0 src2=0
	v_perm_b32 v29 /*v285*/, v136, v107, 0x7020100
	v_perm_b32 v30 /*v286*/, v107, v107, 0x2010003
	s_set_vgpr_msb 0x55                     ;  msbs: dst=1 src0=1 src1=1 src2=1
	v_dot4_i32_iu8 v38 /*v294*/, v43 /*v299*/, v63 /*v319*/, v38 /*v294*/ neg_lo:[1,1,0]
	v_dot4_i32_iu8 v39 /*v295*/, v43 /*v299*/, v68 /*v324*/, v39 /*v295*/ neg_lo:[1,1,0]
	;; [unrolled: 1-line block ×3, first 2 shown]
	s_set_vgpr_msb 4                        ;  msbs: dst=0 src0=0 src1=1 src2=0
	v_dot4_i32_iu8 v123, v83, v41 /*v297*/, v123 neg_lo:[1,1,0]
	s_set_vgpr_msb 0                        ;  msbs: dst=0 src0=0 src1=0 src2=0
	v_perm_b32 v83, v142, v183, 0x4070201
	s_set_vgpr_msb 64                       ;  msbs: dst=1 src0=0 src1=0 src2=0
	v_perm_b32 v18 /*v274*/, v183, v183, 0x2010003
	s_set_vgpr_msb 1                        ;  msbs: dst=0 src0=1 src1=0 src2=0
	v_dot4_i32_iu8 v81, v23 /*v279*/, v107, v81 neg_lo:[1,1,0]
	v_dot4_i32_iu8 v107, v23 /*v279*/, v183, v91 neg_lo:[1,1,0]
	s_set_vgpr_msb 0                        ;  msbs: dst=0 src0=0 src1=0 src2=0
	v_or_b32_e32 v82, v82, v106
	v_or_b32_e32 v180, v85, v180
	v_perm_b32 v183, v144, v177, 0x4070201
	v_dot4_i32_iu8 v89, v160, v176, v89 neg_lo:[1,1,0]
	s_set_vgpr_msb 0x50                     ;  msbs: dst=1 src0=0 src1=0 src2=1
	v_perm_b32 v28 /*v284*/, v136, v136, 0xc0c0100
	v_dual_lshlrev_b32 v53 /*v309*/, 16, v150 :: v_dual_lshlrev_b32 v54 /*v310*/, 8, v150
	v_dot4_i32_iu8 v27 /*v283*/, v82, v183, v39 /*v295*/ neg_lo:[1,1,0]
	s_set_vgpr_msb 16                       ;  msbs: dst=0 src0=0 src1=0 src2=1
	v_dot4_i32_iu8 v180, v180, v183, v43 /*v299*/ neg_lo:[1,1,0]
	s_set_vgpr_msb 1                        ;  msbs: dst=0 src0=1 src1=0 src2=0
	v_dot4_i32_iu8 v89, v23 /*v279*/, v177, v89 neg_lo:[1,1,0]
	s_set_vgpr_msb 64                       ;  msbs: dst=1 src0=0 src1=0 src2=0
	v_perm_b32 v39 /*v295*/, v144, v144, 0xc0c0100
	v_perm_b32 v43 /*v299*/, v142, v142, 0xc0c0100
	s_set_vgpr_msb 0x45                     ;  msbs: dst=1 src0=1 src1=1 src2=0
	v_dot4_i32_iu8 v28 /*v284*/, v19 /*v275*/, v28 /*v284*/, v81 neg_lo:[1,1,0]
	s_set_vgpr_msb 0                        ;  msbs: dst=0 src0=0 src1=0 src2=0
	v_perm_b32 v81, v140, v140, 0xc0c0100
	s_set_vgpr_msb 4                        ;  msbs: dst=0 src0=0 src1=1 src2=0
	v_dot4_i32_iu8 v125, v125, v21 /*v277*/, 0 neg_lo:[1,1,0]
	s_set_vgpr_msb 5                        ;  msbs: dst=0 src0=1 src1=1 src2=0
	v_dot4_i32_iu8 v89, v19 /*v275*/, v39 /*v295*/, v89 neg_lo:[1,1,0]
	s_set_vgpr_msb 64                       ;  msbs: dst=1 src0=0 src1=0 src2=0
	v_lshlrev_b32_e32 v39 /*v295*/, 16, v110
	s_set_vgpr_msb 5                        ;  msbs: dst=0 src0=1 src1=1 src2=0
	v_dot4_i32_iu8 v107, v19 /*v275*/, v43 /*v299*/, v107 neg_lo:[1,1,0]
	s_set_vgpr_msb 64                       ;  msbs: dst=1 src0=0 src1=0 src2=0
	v_lshlrev_b32_e32 v43 /*v299*/, 8, v110
	s_set_vgpr_msb 1                        ;  msbs: dst=0 src0=1 src1=0 src2=0
	v_dot4_i32_iu8 v112, v19 /*v275*/, v81, v112 neg_lo:[1,1,0]
	s_set_vgpr_msb 4                        ;  msbs: dst=0 src0=0 src1=1 src2=0
	v_dot4_i32_iu8 v115, v115, v21 /*v277*/, 0 neg_lo:[1,1,0]
	s_set_vgpr_msb 1                        ;  msbs: dst=0 src0=1 src1=0 src2=0
	v_perm_b32 v81, v39 /*v295*/, v110, 0xc0c0700
	s_set_vgpr_msb 0x54                     ;  msbs: dst=1 src0=0 src1=1 src2=1
	v_dot4_i32_iu8 v49 /*v305*/, v178, v40 /*v296*/, v49 /*v305*/ neg_lo:[1,1,0]
	v_perm_b32 v19 /*v275*/, v149, v43 /*v299*/, 0x7030c0c
	v_dot4_i32_iu8 v51 /*v307*/, v168, v40 /*v296*/, v51 /*v307*/ neg_lo:[1,1,0]
	s_set_vgpr_msb 64                       ;  msbs: dst=1 src0=0 src1=0 src2=0
	v_lshlrev_b32_e32 v40 /*v296*/, 16, v162
	s_set_vgpr_msb 4                        ;  msbs: dst=0 src0=0 src1=1 src2=0
	v_perm_b32 v91, v171, v54 /*v310*/, 0x407030c
	s_set_vgpr_msb 5                        ;  msbs: dst=0 src0=1 src1=1 src2=0
	v_perm_b32 v182, v53 /*v309*/, v53 /*v309*/, 0xc0c0c03
	s_set_vgpr_msb 0                        ;  msbs: dst=0 src0=0 src1=0 src2=0
	v_perm_b32 v148, v144, v177, 0x7020100
	s_set_vgpr_msb 1                        ;  msbs: dst=0 src0=1 src1=0 src2=0
	v_or_b32_e32 v81, v19 /*v275*/, v81
	s_set_vgpr_msb 4                        ;  msbs: dst=0 src0=0 src1=1 src2=0
	v_dot4_i32_iu8 v125, v178, v41 /*v297*/, v125 neg_lo:[1,1,0]
	v_dot4_i32_iu8 v115, v168, v41 /*v297*/, v115 neg_lo:[1,1,0]
	s_set_vgpr_msb 0                        ;  msbs: dst=0 src0=0 src1=0 src2=0
	v_perm_b32 v168, v140, v181, 0x4070201
	s_set_vgpr_msb 64                       ;  msbs: dst=1 src0=0 src1=0 src2=0
	v_dual_lshlrev_b32 v41 /*v297*/, 16, v154 :: v_dual_lshlrev_b32 v15 /*v271*/, 16, v169
	v_perm_b32 v26 /*v282*/, v181, v181, 0x2010003
	s_set_vgpr_msb 0                        ;  msbs: dst=0 src0=0 src1=0 src2=0
	v_perm_b32 v106, v169, v159, 0x407030c
	v_or_b32_e32 v181, v91, v182
	s_set_vgpr_msb 5                        ;  msbs: dst=0 src0=1 src1=1 src2=0
	v_perm_b32 v91, v40 /*v296*/, v40 /*v296*/, 0xc0c0c03
	s_set_vgpr_msb 4                        ;  msbs: dst=0 src0=0 src1=1 src2=0
	v_dot4_i32_iu8 v104, v81, v29 /*v285*/, v104 neg_lo:[1,1,0]
	s_set_vgpr_msb 0                        ;  msbs: dst=0 src0=0 src1=0 src2=0
	v_dot4_i32_iu8 v172, v81, v148, v172 neg_lo:[1,1,0]
	s_set_vgpr_msb 4                        ;  msbs: dst=0 src0=0 src1=1 src2=0
	v_perm_b32 v81, v170, v25 /*v281*/, 0x7030c0c
	s_set_vgpr_msb 0x45                     ;  msbs: dst=1 src0=1 src1=1 src2=0
	v_perm_b32 v25 /*v281*/, v46 /*v302*/, v45 /*v301*/, 0x7030c0c
	s_wait_dscnt 0x4
	s_set_vgpr_msb 64                       ;  msbs: dst=1 src0=0 src1=0 src2=0
	v_lshlrev_b32_e32 v45 /*v301*/, 16, v152
	s_set_vgpr_msb 4                        ;  msbs: dst=0 src0=0 src1=1 src2=0
	v_perm_b32 v159, v159, v40 /*v296*/, 0x7030c0c
	s_set_vgpr_msb 64                       ;  msbs: dst=1 src0=0 src1=0 src2=0
	v_lshlrev_b32_e32 v40 /*v296*/, 8, v152
	s_set_vgpr_msb 0                        ;  msbs: dst=0 src0=0 src1=0 src2=0
	v_perm_b32 v156, v156, v156, 0xc0c0003
	v_perm_b32 v85, v175, v113, 0x407030c
	v_or_b32_e32 v106, v106, v91
	s_set_vgpr_msb 5                        ;  msbs: dst=0 src0=1 src1=1 src2=0
	v_perm_b32 v91, v41 /*v297*/, v41 /*v297*/, 0xc0c0c03
	s_set_vgpr_msb 4                        ;  msbs: dst=0 src0=0 src1=1 src2=0
	v_perm_b32 v113, v113, v41 /*v297*/, 0x7030c0c
	s_set_vgpr_msb 0x45                     ;  msbs: dst=1 src0=1 src1=1 src2=0
	v_perm_b32 v46 /*v302*/, v54 /*v310*/, v53 /*v309*/, 0x7030c0c
	v_perm_b32 v40 /*v296*/, v40 /*v296*/, v45 /*v301*/, 0x7030c0c
	;; [unrolled: 1-line block ×3, first 2 shown]
	s_set_vgpr_msb 0                        ;  msbs: dst=0 src0=0 src1=0 src2=0
	v_perm_b32 v162, v162, v162, 0xc0c0003
	v_or_b32_e32 v156, v81, v156
	v_perm_b32 v81, v154, v154, 0xc0c0003
	v_perm_b32 v150, v150, v150, 0xc0c0003
	;; [unrolled: 1-line block ×4, first 2 shown]
	s_set_vgpr_msb 0x55                     ;  msbs: dst=1 src0=1 src1=1 src2=1
	v_dot4_i32_iu8 v16 /*v272*/, v64 /*v320*/, v68 /*v324*/, v16 /*v272*/ neg_lo:[1,1,0]
	v_dot4_i32_iu8 v17 /*v273*/, v59 /*v315*/, v68 /*v324*/, v17 /*v273*/ neg_lo:[1,1,0]
	s_set_vgpr_msb 64                       ;  msbs: dst=1 src0=0 src1=0 src2=0
	v_lshlrev_b32_e32 v21 /*v277*/, 8, v171
	s_set_vgpr_msb 0                        ;  msbs: dst=0 src0=0 src1=0 src2=0
	v_or_b32_e32 v182, v85, v91
	v_perm_b32 v176, v177, v177, 0x2010003
	v_or_b32_e32 v154, v159, v162
	v_or_b32_e32 v113, v113, v81
	s_set_vgpr_msb 1                        ;  msbs: dst=0 src0=1 src1=0 src2=0
	v_or_b32_e32 v150, v46 /*v302*/, v150
	v_or_b32_e32 v152, v40 /*v296*/, v152
	;; [unrolled: 1-line block ×3, first 2 shown]
	s_set_vgpr_msb 0x50                     ;  msbs: dst=1 src0=0 src1=0 src2=1
	v_dot4_i32_iu8 v22 /*v278*/, v181, v83, v37 /*v293*/ neg_lo:[1,1,0]
	s_set_vgpr_msb 16                       ;  msbs: dst=0 src0=0 src1=0 src2=1
	v_dot4_i32_iu8 v106, v106, v183, v16 /*v272*/ neg_lo:[1,1,0]
	v_dot4_i32_iu8 v182, v182, v183, v17 /*v273*/ neg_lo:[1,1,0]
	;; [unrolled: 1-line block ×3, first 2 shown]
	v_dual_lshlrev_b32 v183, 8, v179 :: v_dual_lshlrev_b32 v160, 16, v179
	v_lshlrev_b32_e32 v177, 8, v169
	v_perm_b32 v146, v146, v146, 0xc0c0003
	s_set_vgpr_msb 0x54                     ;  msbs: dst=1 src0=0 src1=1 src2=1
	v_dot4_i32_iu8 v39 /*v295*/, v156, v18 /*v274*/, v49 /*v305*/ neg_lo:[1,1,0]
	v_dot4_i32_iu8 v40 /*v296*/, v154, v30 /*v286*/, v52 /*v308*/ neg_lo:[1,1,0]
	;; [unrolled: 1-line block ×3, first 2 shown]
	s_set_vgpr_msb 4                        ;  msbs: dst=0 src0=0 src1=1 src2=0
	v_dot4_i32_iu8 v115, v154, v26 /*v282*/, v115 neg_lo:[1,1,0]
	s_set_vgpr_msb 0x54                     ;  msbs: dst=1 src0=0 src1=1 src2=1
	v_dot4_i32_iu8 v46 /*v302*/, v113, v18 /*v274*/, v57 /*v313*/ neg_lo:[1,1,0]
	v_dot4_i32_iu8 v42 /*v298*/, v150, v30 /*v286*/, v42 /*v298*/ neg_lo:[1,1,0]
	s_set_vgpr_msb 4                        ;  msbs: dst=0 src0=0 src1=1 src2=0
	v_dot4_i32_iu8 v121, v150, v26 /*v282*/, v121 neg_lo:[1,1,0]
	v_dot4_i32_iu8 v105, v152, v30 /*v286*/, v105 neg_lo:[1,1,0]
	v_perm_b32 v150, v147, v48 /*v304*/, 0x407030c
	s_set_vgpr_msb 16                       ;  msbs: dst=0 src0=0 src1=0 src2=1
	v_dot4_i32_iu8 v176, v152, v176, v14 /*v270*/ neg_lo:[1,1,0]
	s_set_vgpr_msb 5                        ;  msbs: dst=0 src0=1 src1=1 src2=0
	v_perm_b32 v154, v47 /*v303*/, v47 /*v303*/, 0xc0c0c03
	s_set_vgpr_msb 0x54                     ;  msbs: dst=1 src0=0 src1=1 src2=1
	v_dot4_i32_iu8 v14 /*v270*/, v152, v18 /*v274*/, v50 /*v306*/ neg_lo:[1,1,0]
	s_set_vgpr_msb 4                        ;  msbs: dst=0 src0=0 src1=1 src2=0
	v_dot4_i32_iu8 v139, v152, v26 /*v282*/, v139 neg_lo:[1,1,0]
	v_perm_b32 v152, v151, v21 /*v277*/, 0x407030c
	v_dot4_i32_iu8 v174, v110, v18 /*v274*/, v174 neg_lo:[1,1,0]
	s_set_vgpr_msb 0x45                     ;  msbs: dst=1 src0=1 src1=1 src2=0
	v_perm_b32 v18 /*v274*/, v55 /*v311*/, v55 /*v311*/, 0xc0c0c03
	s_set_vgpr_msb 64                       ;  msbs: dst=1 src0=0 src1=0 src2=0
	v_dual_lshlrev_b32 v20 /*v276*/, 8, v175 :: v_dual_lshlrev_b32 v23 /*v279*/, 16, v175
	s_set_vgpr_msb 1                        ;  msbs: dst=0 src0=1 src1=0 src2=0
	v_or_b32_e32 v146, v25 /*v281*/, v146
	s_set_vgpr_msb 4                        ;  msbs: dst=0 src0=0 src1=1 src2=0
	v_dot4_i32_iu8 v125, v156, v26 /*v282*/, v125 neg_lo:[1,1,0]
	s_set_vgpr_msb 0x54                     ;  msbs: dst=1 src0=0 src1=1 src2=1
	v_dot4_i32_iu8 v45 /*v301*/, v113, v30 /*v286*/, v56 /*v312*/ neg_lo:[1,1,0]
	s_set_vgpr_msb 4                        ;  msbs: dst=0 src0=0 src1=1 src2=0
	v_dot4_i32_iu8 v113, v113, v26 /*v282*/, v123 neg_lo:[1,1,0]
	v_dot4_i32_iu8 v109, v110, v26 /*v282*/, v109 neg_lo:[1,1,0]
	s_set_vgpr_msb 0                        ;  msbs: dst=0 src0=0 src1=0 src2=0
	v_perm_b32 v110, v157, v183, 0x407030c
	s_set_vgpr_msb 64                       ;  msbs: dst=1 src0=0 src1=0 src2=0
	v_perm_b32 v26 /*v282*/, v160, v160, 0xc0c0c03
	s_set_vgpr_msb 0                        ;  msbs: dst=0 src0=0 src1=0 src2=0
	v_or_b32_e32 v150, v150, v154
	v_perm_b32 v154, v163, v177, 0x407030c
	s_set_vgpr_msb 4                        ;  msbs: dst=0 src0=0 src1=1 src2=0
	v_or_b32_e32 v152, v152, v18 /*v274*/
	s_set_vgpr_msb 0x45                     ;  msbs: dst=1 src0=1 src1=1 src2=0
	v_perm_b32 v18 /*v274*/, v15 /*v271*/, v15 /*v271*/, 0xc0c0c03
	s_set_vgpr_msb 16                       ;  msbs: dst=0 src0=0 src1=0 src2=1
	v_dot4_i32_iu8 v168, v82, v168, v24 /*v280*/ neg_lo:[1,1,0]
	s_set_vgpr_msb 0x50                     ;  msbs: dst=1 src0=0 src1=0 src2=1
	v_dot4_i32_iu8 v24 /*v280*/, v82, v83, v38 /*v294*/ neg_lo:[1,1,0]
	s_set_vgpr_msb 0                        ;  msbs: dst=0 src0=0 src1=0 src2=0
	v_perm_b32 v148, v141, v140, 0x4070201
	s_set_vgpr_msb 64                       ;  msbs: dst=1 src0=0 src1=0 src2=0
	v_perm_b32 v41 /*v297*/, v143, v142, 0x4070201
	s_set_vgpr_msb 4                        ;  msbs: dst=0 src0=0 src1=1 src2=0
	v_dot4_i32_iu8 v119, v146, v30 /*v286*/, v119 neg_lo:[1,1,0]
	s_set_vgpr_msb 0                        ;  msbs: dst=0 src0=0 src1=0 src2=0
	v_perm_b32 v146, v145, v144, 0x4070201
	s_set_vgpr_msb 4                        ;  msbs: dst=0 src0=0 src1=1 src2=0
	v_or_b32_e32 v110, v110, v26 /*v282*/
	s_set_vgpr_msb 0x44                     ;  msbs: dst=1 src0=0 src1=1 src2=0
	v_perm_b32 v26 /*v282*/, v155, v20 /*v276*/, 0x407030c
	s_set_vgpr_msb 4                        ;  msbs: dst=0 src0=0 src1=1 src2=0
	v_or_b32_e32 v154, v154, v18 /*v274*/
	s_set_vgpr_msb 0x45                     ;  msbs: dst=1 src0=1 src1=1 src2=0
	v_perm_b32 v18 /*v274*/, v23 /*v279*/, v23 /*v279*/, 0xc0c0c03
	s_set_vgpr_msb 64                       ;  msbs: dst=1 src0=0 src1=0 src2=0
	v_perm_b32 v31 /*v287*/, v136, v136, 0xc0c0302
	s_set_vgpr_msb 0x54                     ;  msbs: dst=1 src0=0 src1=1 src2=1
	v_dot4_i32_iu8 v25 /*v281*/, v156, v30 /*v286*/, v44 /*v300*/ neg_lo:[1,1,0]
	s_set_vgpr_msb 0                        ;  msbs: dst=0 src0=0 src1=0 src2=0
	v_dot4_i32_iu8 v168, v150, v148, v168 neg_lo:[1,1,0]
	v_perm_b32 v148, v142, v142, 0xc0c0302
	s_set_vgpr_msb 0x45                     ;  msbs: dst=1 src0=1 src1=1 src2=0
	v_or_b32_e32 v18 /*v274*/, v26 /*v282*/, v18 /*v274*/
	s_set_vgpr_msb 64                       ;  msbs: dst=1 src0=0 src1=0 src2=0
	v_perm_b32 v26 /*v282*/, v144, v144, 0xc0c0302
	s_set_vgpr_msb 0x54                     ;  msbs: dst=1 src0=0 src1=1 src2=1
	v_dot4_i32_iu8 v24 /*v280*/, v150, v41 /*v297*/, v24 /*v280*/ neg_lo:[1,1,0]
	s_set_vgpr_msb 0x50                     ;  msbs: dst=1 src0=0 src1=0 src2=1
	v_perm_b32 v30 /*v286*/, v140, v140, 0xc0c0302
	v_dot4_i32_iu8 v27 /*v283*/, v150, v146, v27 /*v283*/ neg_lo:[1,1,0]
	s_set_vgpr_msb 0                        ;  msbs: dst=0 src0=0 src1=0 src2=0
	v_lshlrev_b32_e32 v150, 16, v149
	v_dot4_i32_iu8 v110, v110, v146, v180 neg_lo:[1,1,0]
	v_lshlrev_b32_e32 v180, 8, v149
	s_set_vgpr_msb 0x54                     ;  msbs: dst=1 src0=0 src1=1 src2=1
	v_dot4_i32_iu8 v28 /*v284*/, v161, v31 /*v287*/, v28 /*v284*/ neg_lo:[1,1,0]
	s_set_vgpr_msb 0x44                     ;  msbs: dst=1 src0=0 src1=1 src2=0
	v_dot4_i32_iu8 v26 /*v282*/, v161, v26 /*v282*/, v89 neg_lo:[1,1,0]
	s_set_vgpr_msb 64                       ;  msbs: dst=1 src0=0 src1=0 src2=0
	v_dot4_i32_iu8 v60 /*v316*/, v161, v148, v107 neg_lo:[1,1,0]
	s_set_vgpr_msb 4                        ;  msbs: dst=0 src0=0 src1=1 src2=0
	v_dot4_i32_iu8 v161, v161, v30 /*v286*/, v112 neg_lo:[1,1,0]
	s_set_vgpr_msb 0                        ;  msbs: dst=0 src0=0 src1=0 src2=0
	v_perm_b32 v89, v150, v149, 0xc0c0700
	v_perm_b32 v112, v111, v180, 0x7030c0c
	s_set_vgpr_msb 64                       ;  msbs: dst=1 src0=0 src1=0 src2=0
	v_perm_b32 v32 /*v288*/, v137, v136, 0x7020100
	v_perm_b32 v33 /*v289*/, v136, v136, 0x2010003
	s_set_vgpr_msb 0                        ;  msbs: dst=0 src0=0 src1=0 src2=0
	v_perm_b32 v136, v137, v137, 0xc0c0100
	v_perm_b32 v179, v179, v179, 0xc0c0003
	v_or_b32_e32 v89, v112, v89
	v_perm_b32 v167, v167, v167, 0xc0c0003
	v_perm_b32 v169, v169, v169, 0xc0c0003
	;; [unrolled: 1-line block ×3, first 2 shown]
	s_set_vgpr_msb 64                       ;  msbs: dst=1 src0=0 src1=0 src2=0
	v_dual_lshlrev_b32 v58 /*v314*/, 16, v173 :: v_dual_lshlrev_b32 v59 /*v315*/, 8, v173
	s_set_vgpr_msb 0                        ;  msbs: dst=0 src0=0 src1=0 src2=0
	v_dot4_i32_iu8 v106, v154, v146, v106 neg_lo:[1,1,0]
	v_perm_b32 v154, v145, v144, 0x7020100
	s_set_vgpr_msb 64                       ;  msbs: dst=1 src0=0 src1=0 src2=0
	v_dual_lshlrev_b32 v30 /*v286*/, 16, v153 :: v_dual_lshlrev_b32 v62 /*v318*/, 8, v153
	v_lshlrev_b32_e32 v66 /*v322*/, 16, v138
	v_perm_b32 v63 /*v319*/, v153, v153, 0xc0c0003
	s_set_vgpr_msb 0x44                     ;  msbs: dst=1 src0=0 src1=1 src2=0
	v_dot4_i32_iu8 v32 /*v288*/, v89, v32 /*v288*/, v104 neg_lo:[1,1,0]
	s_set_vgpr_msb 0                        ;  msbs: dst=0 src0=0 src1=0 src2=0
	v_perm_b32 v104, v183, v160, 0x7030c0c
	s_set_vgpr_msb 5                        ;  msbs: dst=0 src0=1 src1=1 src2=0
	v_perm_b32 v112, v48 /*v304*/, v47 /*v303*/, 0x7030c0c
	v_perm_b32 v153, v20 /*v276*/, v23 /*v279*/, 0x7030c0c
	s_set_vgpr_msb 0x50                     ;  msbs: dst=1 src0=0 src1=0 src2=1
	v_dot4_i32_iu8 v28 /*v284*/, v135, v136, v28 /*v284*/ neg_lo:[1,1,0]
	s_set_vgpr_msb 4                        ;  msbs: dst=0 src0=0 src1=1 src2=0
	v_lshrrev_b32_e32 v136, 16, v8 /*v264*/
	s_set_vgpr_msb 0x54                     ;  msbs: dst=1 src0=0 src1=1 src2=1
	v_dot4_i32_iu8 v22 /*v278*/, v152, v41 /*v297*/, v22 /*v278*/ neg_lo:[1,1,0]
	s_set_vgpr_msb 0                        ;  msbs: dst=0 src0=0 src1=0 src2=0
	v_dot4_i32_iu8 v181, v152, v146, v181 neg_lo:[1,1,0]
	s_set_vgpr_msb 64                       ;  msbs: dst=1 src0=0 src1=0 src2=0
	v_lshlrev_b32_e32 v41 /*v297*/, 16, v163
	s_set_vgpr_msb 4                        ;  msbs: dst=0 src0=0 src1=1 src2=0
	v_perm_b32 v152, v177, v15 /*v271*/, 0x7030c0c
	s_set_vgpr_msb 0                        ;  msbs: dst=0 src0=0 src1=0 src2=0
	v_pk_mul_f16 v250, v233, v126
	v_perm_b32 v126, v137, v137, 0x2010003
	v_perm_b32 v242, v137, v137, 0xc0c0302
	v_lshlrev_b32_e32 v137, 16, v147
	v_perm_b32 v171, v171, v171, 0xc0c0003
	v_perm_b32 v173, v173, v173, 0xc0c0003
	;; [unrolled: 1-line block ×5, first 2 shown]
	v_dot4_i32_iu8 v172, v89, v154, v172 neg_lo:[1,1,0]
	s_set_vgpr_msb 5                        ;  msbs: dst=0 src0=1 src1=1 src2=0
	v_perm_b32 v154, v21 /*v277*/, v55 /*v311*/, 0x7030c0c
	v_perm_b32 v160, v59 /*v315*/, v58 /*v314*/, 0x7030c0c
	s_set_vgpr_msb 0                        ;  msbs: dst=0 src0=0 src1=0 src2=0
	v_perm_b32 v180, v180, v150, 0x7030c0c
	v_or_b32_e32 v104, v104, v179
	v_or_b32_e32 v112, v112, v167
	v_or_b32_e32 v167, v152, v169
	v_or_b32_e32 v169, v153, v175
	v_lshlrev_b32_e32 v178, 16, v151
	v_or_b32_e32 v171, v154, v171
	v_or_b32_e32 v160, v160, v173
	;; [unrolled: 1-line block ×3, first 2 shown]
	s_set_vgpr_msb 20                       ;  msbs: dst=0 src0=0 src1=1 src2=1
	v_dot4_i32_iu8 v179, v104, v33 /*v289*/, v25 /*v281*/ neg_lo:[1,1,0]
	s_set_vgpr_msb 16                       ;  msbs: dst=0 src0=0 src1=0 src2=1
	v_dot4_i32_iu8 v180, v104, v142, v39 /*v295*/ neg_lo:[1,1,0]
	s_set_vgpr_msb 0                        ;  msbs: dst=0 src0=0 src1=0 src2=0
	v_dot4_i32_iu8 v125, v104, v140, v125 neg_lo:[1,1,0]
	s_set_vgpr_msb 0x54                     ;  msbs: dst=1 src0=0 src1=1 src2=1
	v_dot4_i32_iu8 v25 /*v281*/, v167, v33 /*v289*/, v40 /*v296*/ neg_lo:[1,1,0]
	v_dot4_i32_iu8 v39 /*v295*/, v169, v33 /*v289*/, v45 /*v301*/ neg_lo:[1,1,0]
	s_set_vgpr_msb 0x50                     ;  msbs: dst=1 src0=0 src1=0 src2=1
	v_dot4_i32_iu8 v40 /*v296*/, v169, v142, v46 /*v302*/ neg_lo:[1,1,0]
	s_set_vgpr_msb 0                        ;  msbs: dst=0 src0=0 src1=0 src2=0
	v_dot4_i32_iu8 v169, v169, v140, v113 neg_lo:[1,1,0]
	s_set_vgpr_msb 4                        ;  msbs: dst=0 src0=0 src1=1 src2=0
	v_perm_b32 v104, v118, v11 /*v267*/, 0x407030c
	s_set_vgpr_msb 0                        ;  msbs: dst=0 src0=0 src1=0 src2=0
	v_perm_b32 v113, v137, v137, 0xc0c0c03
	v_lshlrev_b32_e32 v123, 8, v157
	s_set_vgpr_msb 64                       ;  msbs: dst=1 src0=0 src1=0 src2=0
	v_lshlrev_b32_e32 v49 /*v305*/, 16, v157
	s_set_vgpr_msb 0x44                     ;  msbs: dst=1 src0=0 src1=1 src2=0
	v_dot4_i32_iu8 v23 /*v279*/, v112, v33 /*v289*/, v119 neg_lo:[1,1,0]
	s_set_vgpr_msb 0x54                     ;  msbs: dst=1 src0=0 src1=1 src2=1
	v_dot4_i32_iu8 v42 /*v298*/, v171, v33 /*v289*/, v42 /*v298*/ neg_lo:[1,1,0]
	s_set_vgpr_msb 0x44                     ;  msbs: dst=1 src0=0 src1=1 src2=0
	v_dot4_i32_iu8 v33 /*v289*/, v160, v33 /*v289*/, v105 neg_lo:[1,1,0]
	s_set_vgpr_msb 0                        ;  msbs: dst=0 src0=0 src1=0 src2=0
	v_perm_b32 v105, v120, v166, 0x407030c
	v_or_b32_e32 v104, v104, v113
	v_perm_b32 v113, v178, v178, 0xc0c0c03
	v_perm_b32 v162, v132, v132, 0xc0c0201
	s_set_vgpr_msb 64                       ;  msbs: dst=1 src0=0 src1=0 src2=0
	v_perm_b32 v44 /*v300*/, v132, v145, 0x4070201
	s_set_vgpr_msb 1                        ;  msbs: dst=0 src0=1 src1=0 src2=0
	v_dot4_i32_iu8 v182, v18 /*v274*/, v146, v182 neg_lo:[1,1,0]
	s_set_vgpr_msb 64                       ;  msbs: dst=1 src0=0 src1=0 src2=0
	v_lshlrev_b32_e32 v18 /*v274*/, 8, v163
	v_dual_lshlrev_b32 v51 /*v307*/, 8, v155 :: v_dual_lshlrev_b32 v52 /*v308*/, 16, v155
	v_perm_b32 v53 /*v309*/, v155, v155, 0xc0c0003
	v_perm_b32 v61 /*v317*/, v132, v145, 0x7020100
	s_set_vgpr_msb 5                        ;  msbs: dst=0 src0=1 src1=1 src2=0
	v_or_b32_e32 v89, v34 /*v290*/, v35 /*v291*/
	s_set_vgpr_msb 64                       ;  msbs: dst=1 src0=0 src1=0 src2=0
	v_perm_b32 v20 /*v276*/, v133, v132, 0x7020100
	s_set_vgpr_msb 0                        ;  msbs: dst=0 src0=0 src1=0 src2=0
	v_perm_b32 v155, v132, v132, 0x2010003
	v_perm_b32 v152, v132, v132, 0xc0c0100
	s_set_vgpr_msb 0x50                     ;  msbs: dst=1 src0=0 src1=0 src2=1
	v_dot4_i32_iu8 v35 /*v291*/, v167, v142, v43 /*v299*/ neg_lo:[1,1,0]
	s_set_vgpr_msb 0                        ;  msbs: dst=0 src0=0 src1=0 src2=0
	v_dot4_i32_iu8 v167, v167, v140, v115 neg_lo:[1,1,0]
	v_dot4_i32_iu8 v171, v171, v140, v121 neg_lo:[1,1,0]
	v_dot4_i32_iu8 v139, v160, v140, v139 neg_lo:[1,1,0]
	s_set_vgpr_msb 64                       ;  msbs: dst=1 src0=0 src1=0 src2=0
	v_perm_b32 v47 /*v303*/, v132, v132, 0xc0c0302
	s_set_vgpr_msb 0                        ;  msbs: dst=0 src0=0 src1=0 src2=0
	v_dot4_i32_iu8 v132, v107, v142, v174 neg_lo:[1,1,0]
	v_dot4_i32_iu8 v140, v107, v140, v109 neg_lo:[1,1,0]
	v_perm_b32 v107, v124, v123, 0x407030c
	v_or_b32_e32 v105, v105, v113
	s_set_vgpr_msb 5                        ;  msbs: dst=0 src0=1 src1=1 src2=0
	v_perm_b32 v113, v49 /*v305*/, v49 /*v305*/, 0xc0c0c03
	s_set_vgpr_msb 4                        ;  msbs: dst=0 src0=0 src1=1 src2=0
	v_perm_b32 v109, v114, v18 /*v274*/, 0x407030c
	s_set_vgpr_msb 64                       ;  msbs: dst=1 src0=0 src1=0 src2=0
	v_perm_b32 v37 /*v293*/, v128, v128, 0xc0c0201
	v_perm_b32 v38 /*v294*/, v129, v129, 0x4030c0c
	s_set_vgpr_msb 4                        ;  msbs: dst=0 src0=0 src1=1 src2=0
	v_perm_b32 v112, v122, v51 /*v307*/, 0x407030c
	s_set_vgpr_msb 0                        ;  msbs: dst=0 src0=0 src1=0 src2=0
	v_or_b32_e32 v107, v107, v113
	s_set_vgpr_msb 5                        ;  msbs: dst=0 src0=1 src1=1 src2=0
	v_perm_b32 v113, v41 /*v297*/, v41 /*v297*/, 0xc0c0c03
	s_set_vgpr_msb 0                        ;  msbs: dst=0 src0=0 src1=0 src2=0
	v_dual_lshlrev_b32 v85, 16, v120 :: v_dual_lshlrev_b32 v91, 8, v120
	s_set_vgpr_msb 0x45                     ;  msbs: dst=1 src0=1 src1=1 src2=0
	v_or_b32_e32 v37 /*v293*/, v38 /*v294*/, v37 /*v293*/
	s_set_vgpr_msb 64                       ;  msbs: dst=1 src0=0 src1=0 src2=0
	v_perm_b32 v38 /*v294*/, v120, v120, 0xc0c0003
	s_set_vgpr_msb 0                        ;  msbs: dst=0 src0=0 src1=0 src2=0
	v_or_b32_e32 v109, v109, v113
	s_set_vgpr_msb 5                        ;  msbs: dst=0 src0=1 src1=1 src2=0
	v_perm_b32 v113, v52 /*v308*/, v52 /*v308*/, 0xc0c0c03
	s_set_vgpr_msb 0x44                     ;  msbs: dst=1 src0=0 src1=1 src2=0
	v_dot4_i32_iu8 v78 /*v334*/, v107, v44 /*v300*/, v110 neg_lo:[1,1,0]
	s_set_vgpr_msb 4                        ;  msbs: dst=0 src0=0 src1=1 src2=0
	v_lshrrev_b32_e32 v110, 16, v9 /*v265*/
	s_set_vgpr_msb 0                        ;  msbs: dst=0 src0=0 src1=0 src2=0
	v_lshlrev_b32_e32 v120, 16, v111
	s_set_vgpr_msb 0x44                     ;  msbs: dst=1 src0=0 src1=1 src2=0
	v_dot4_i32_iu8 v80 /*v336*/, v109, v44 /*v300*/, v106 neg_lo:[1,1,0]
	s_set_vgpr_msb 0                        ;  msbs: dst=0 src0=0 src1=0 src2=0
	v_or_b32_e32 v112, v112, v113
	s_set_vgpr_msb 4                        ;  msbs: dst=0 src0=0 src1=1 src2=0
	v_lshrrev_b32_e32 v109, 16, v10 /*v266*/
	s_set_vgpr_msb 64                       ;  msbs: dst=1 src0=0 src1=0 src2=0
	v_perm_b32 v16 /*v272*/, v130, v130, 0xc0c0201
	v_perm_b32 v17 /*v273*/, v131, v131, 0x4030c0c
	s_set_vgpr_msb 0                        ;  msbs: dst=0 src0=0 src1=0 src2=0
	v_perm_b32 v170, v130, v141, 0x4070201
	v_perm_b32 v159, v128, v143, 0x4070201
	s_set_vgpr_msb 64                       ;  msbs: dst=1 src0=0 src1=0 src2=0
	v_perm_b32 v50 /*v306*/, v147, v147, 0xc0c0003
	s_set_vgpr_msb 0                        ;  msbs: dst=0 src0=0 src1=0 src2=0
	v_perm_b32 v163, v163, v163, 0xc0c0003
	v_perm_b32 v144, v144, v144, 0x2010003
	s_set_vgpr_msb 64                       ;  msbs: dst=1 src0=0 src1=0 src2=0
	v_perm_b32 v65 /*v321*/, v133, v133, 0xc0c0c01
	v_dual_lshlrev_b32 v67 /*v323*/, 8, v138 :: v_dual_lshlrev_b32 v69 /*v325*/, 8, v124
	v_perm_b32 v68 /*v324*/, v138, v138, 0xc0c0003
	v_dual_lshlrev_b32 v34 /*v290*/, 16, v124 :: v_dual_lshlrev_b32 v15 /*v271*/, 8, v122
	s_set_vgpr_msb 0                        ;  msbs: dst=0 src0=0 src1=0 src2=0
	v_perm_b32 v138, v94, v133, 0x504020c
	s_set_vgpr_msb 64                       ;  msbs: dst=1 src0=0 src1=0 src2=0
	v_lshlrev_b32_e32 v74 /*v330*/, 16, v122
	v_perm_b32 v75 /*v331*/, v124, v124, 0xc0c0003
	v_perm_b32 v77 /*v333*/, v122, v122, 0xc0c0003
	s_set_vgpr_msb 4                        ;  msbs: dst=0 src0=0 src1=1 src2=0
	v_dot4_i32_iu8 v182, v112, v44 /*v300*/, v182 neg_lo:[1,1,0]
	s_set_vgpr_msb 0                        ;  msbs: dst=0 src0=0 src1=0 src2=0
	v_lshlrev_b32_e32 v121, 8, v111
	v_cvt_f32_f16_e32 v113, v109
	v_cvt_f32_f16_e32 v112, v110
	v_perm_b32 v122, v111, v111, 0xc0c0003
	v_perm_b32 v109, v120, v111, 0xc0c0700
	s_set_vgpr_msb 4                        ;  msbs: dst=0 src0=0 src1=1 src2=0
	v_perm_b32 v110, v123, v49 /*v305*/, 0x7030c0c
	s_set_vgpr_msb 1                        ;  msbs: dst=0 src0=1 src1=0 src2=0
	v_perm_b32 v111, v11 /*v267*/, v137, 0x7030c0c
	s_set_vgpr_msb 5                        ;  msbs: dst=0 src0=1 src1=1 src2=0
	v_perm_b32 v123, v18 /*v274*/, v41 /*v297*/, 0x7030c0c
	v_perm_b32 v124, v51 /*v307*/, v52 /*v308*/, 0x7030c0c
	s_set_vgpr_msb 1                        ;  msbs: dst=0 src0=1 src1=0 src2=0
	v_dual_lshlrev_b32 v243, 16, v118 :: v_dual_lshlrev_b32 v244, 8, v118
	v_cvt_f32_f16_e64 v83, v12 /*v268*/
	s_set_vgpr_msb 0x44                     ;  msbs: dst=1 src0=0 src1=1 src2=0
	v_lshrrev_b32_e32 v12 /*v268*/, 16, v12 /*v268*/
	s_set_vgpr_msb 64                       ;  msbs: dst=1 src0=0 src1=0 src2=0
	v_perm_b32 v19 /*v275*/, v84, v131, 0x504020c
	v_perm_b32 v29 /*v285*/, v131, v131, 0xc0c0c01
	s_set_vgpr_msb 0                        ;  msbs: dst=0 src0=0 src1=0 src2=0
	v_perm_b32 v81, v129, v129, 0xc0c0601
	v_perm_b32 v156, v133, v133, 0x4030c0c
	;; [unrolled: 1-line block ×3, first 2 shown]
	s_set_vgpr_msb 64                       ;  msbs: dst=1 src0=0 src1=0 src2=0
	v_perm_b32 v54 /*v310*/, v151, v151, 0xc0c0003
	v_perm_b32 v56 /*v312*/, v145, v145, 0xc0c0100
	;; [unrolled: 1-line block ×5, first 2 shown]
	s_set_vgpr_msb 0                        ;  msbs: dst=0 src0=0 src1=0 src2=0
	v_perm_b32 v146, v145, v145, 0xc0c0302
	v_perm_b32 v145, v143, v143, 0x2010003
	;; [unrolled: 1-line block ×6, first 2 shown]
	v_dual_lshlrev_b32 v183, 8, v114 :: v_dual_lshlrev_b32 v177, 16, v114
	v_perm_b32 v149, v128, v128, 0x2010003
	v_perm_b32 v150, v130, v130, 0x2010003
	;; [unrolled: 1-line block ×6, first 2 shown]
	s_wait_dscnt 0x2
	s_set_vgpr_msb 64                       ;  msbs: dst=1 src0=0 src1=0 src2=0
	v_perm_b32 v21 /*v277*/, v98, v133, 0x504020c
	s_set_vgpr_msb 0                        ;  msbs: dst=0 src0=0 src1=0 src2=0
	v_perm_b32 v119, v96, v133, 0x504020c
	v_dot4_i32_iu8 v144, v160, v144, v176 neg_lo:[1,1,0]
	v_perm_b32 v176, v129, v129, 0x6010007
	v_perm_b32 v174, v128, v128, 0xc0c0302
	s_set_vgpr_msb 64                       ;  msbs: dst=1 src0=0 src1=0 src2=0
	v_perm_b32 v48 /*v304*/, v130, v130, 0xc0c0302
	v_bfe_i32 v59 /*v315*/, v129, 0, 8
	v_perm_b32 v70 /*v326*/, v129, v129, 0xc070601
	v_perm_b32 v73 /*v329*/, v118, v118, 0xc0c0003
	;; [unrolled: 1-line block ×3, first 2 shown]
	s_set_vgpr_msb 0                        ;  msbs: dst=0 src0=0 src1=0 src2=0
	v_lshlrev_b32_e32 v114, 16, v87
	v_dot4_i32_iu8 v168, v104, v170, v168 neg_lo:[1,1,0]
	v_lshlrev_b32_e32 v118, 8, v87
	s_set_vgpr_msb 16                       ;  msbs: dst=0 src0=0 src1=0 src2=1
	v_dot4_i32_iu8 v170, v105, v159, v22 /*v278*/ neg_lo:[1,1,0]
	v_dot4_i32_iu8 v159, v104, v159, v24 /*v280*/ neg_lo:[1,1,0]
	s_set_vgpr_msb 0x54                     ;  msbs: dst=1 src0=0 src1=1 src2=1
	v_dot4_i32_iu8 v24 /*v280*/, v104, v44 /*v300*/, v27 /*v283*/ neg_lo:[1,1,0]
	s_set_vgpr_msb 1                        ;  msbs: dst=0 src0=1 src1=0 src2=0
	v_cvt_f32_f16_e64 v104, v9 /*v265*/
	s_set_vgpr_msb 0x45                     ;  msbs: dst=1 src0=1 src1=1 src2=0
	v_or_b32_e32 v9 /*v265*/, v17 /*v273*/, v16 /*v272*/
	s_set_vgpr_msb 64                       ;  msbs: dst=1 src0=0 src1=0 src2=0
	v_dual_lshlrev_b32 v17 /*v273*/, 16, v108 :: v_dual_lshlrev_b32 v18 /*v274*/, 8, v108
	s_set_vgpr_msb 0                        ;  msbs: dst=0 src0=0 src1=0 src2=0
	v_perm_b32 v128, v166, v178, 0x7030c0c
	s_set_vgpr_msb 5                        ;  msbs: dst=0 src0=1 src1=1 src2=0
	v_perm_b32 v129, v62 /*v318*/, v30 /*v286*/, 0x7030c0c
	s_set_vgpr_msb 0                        ;  msbs: dst=0 src0=0 src1=0 src2=0
	v_perm_b32 v130, v121, v120, 0x7030c0c
	v_perm_b32 v120, v108, v121, 0x7030c0c
	s_set_vgpr_msb 0x44                     ;  msbs: dst=1 src0=0 src1=1 src2=0
	v_or_b32_e32 v51 /*v307*/, v138, v65 /*v321*/
	s_set_vgpr_msb 4                        ;  msbs: dst=0 src0=0 src1=1 src2=0
	v_or_b32_e32 v138, v111, v50 /*v306*/
	s_set_vgpr_msb 0                        ;  msbs: dst=0 src0=0 src1=0 src2=0
	v_or_b32_e32 v123, v123, v163
	s_set_vgpr_msb 4                        ;  msbs: dst=0 src0=0 src1=1 src2=0
	v_or_b32_e32 v124, v124, v53 /*v309*/
	s_set_vgpr_msb 1                        ;  msbs: dst=0 src0=1 src1=0 src2=0
	v_cvt_f32_f16_e64 v82, v13 /*v269*/
	s_set_vgpr_msb 0x44                     ;  msbs: dst=1 src0=0 src1=1 src2=0
	v_lshrrev_b32_e32 v13 /*v269*/, 16, v13 /*v269*/
	s_wait_dscnt 0x1
	s_set_vgpr_msb 0                        ;  msbs: dst=0 src0=0 src1=0 src2=0
	v_perm_b32 v115, v102, v133, 0x4020c0c
	s_set_vgpr_msb 0x50                     ;  msbs: dst=1 src0=0 src1=0 src2=1
	v_perm_b32 v43 /*v299*/, v133, v133, 0xc0c0100
	v_perm_b32 v45 /*v301*/, v131, v131, 0x6010007
	v_dot4_i32_iu8 v14 /*v270*/, v160, v142, v14 /*v270*/ neg_lo:[1,1,0]
	v_bfe_i32 v71 /*v327*/, v131, 0, 8
	v_perm_b32 v72 /*v328*/, v131, v131, 0xc070601
	s_set_vgpr_msb 4                        ;  msbs: dst=0 src0=0 src1=1 src2=0
	v_dot4_i32_iu8 v181, v105, v44 /*v300*/, v181 neg_lo:[1,1,0]
	s_set_vgpr_msb 1                        ;  msbs: dst=0 src0=1 src1=0 src2=0
	v_cvt_f32_f16_e64 v105, v10 /*v266*/
	v_cvt_f32_f16_e64 v107, v12 /*v268*/
	s_set_vgpr_msb 0x45                     ;  msbs: dst=1 src0=1 src1=1 src2=0
	v_or_b32_e32 v10 /*v266*/, v19 /*v275*/, v29 /*v285*/
	s_set_vgpr_msb 64                       ;  msbs: dst=1 src0=0 src1=0 src2=0
	v_or_b32_e32 v12 /*v268*/, v156, v162
	s_set_vgpr_msb 0                        ;  msbs: dst=0 src0=0 src1=0 src2=0
	v_perm_b32 v178, v108, v108, 0xc0c0003
	s_set_vgpr_msb 0x41                     ;  msbs: dst=1 src0=1 src1=0 src2=0
	v_perm_b32 v29 /*v285*/, v17 /*v273*/, v108, 0xc0c0700
	s_set_vgpr_msb 0x45                     ;  msbs: dst=1 src0=1 src1=1 src2=0
	v_perm_b32 v41 /*v297*/, v67 /*v323*/, v66 /*v322*/, 0x7030c0c
	s_set_vgpr_msb 0x44                     ;  msbs: dst=1 src0=0 src1=1 src2=0
	v_or_b32_e32 v49 /*v305*/, v141, v65 /*v321*/
	s_set_vgpr_msb 0x45                     ;  msbs: dst=1 src0=1 src1=1 src2=0
	v_or_b32_e32 v21 /*v277*/, v21 /*v277*/, v65 /*v321*/
	s_set_vgpr_msb 0x44                     ;  msbs: dst=1 src0=0 src1=1 src2=0
	v_or_b32_e32 v52 /*v308*/, v119, v65 /*v321*/
	s_set_vgpr_msb 64                       ;  msbs: dst=1 src0=0 src1=0 src2=0
	v_perm_b32 v65 /*v321*/, v118, v114, 0xc0c0703
	v_perm_b32 v66 /*v322*/, v118, v114, 0x7030c0c
	s_set_vgpr_msb 0                        ;  msbs: dst=0 src0=0 src1=0 src2=0
	v_or_b32_e32 v118, v120, v109
	v_or_b32_e32 v131, v110, v157
	s_set_vgpr_msb 4                        ;  msbs: dst=0 src0=0 src1=1 src2=0
	v_or_b32_e32 v128, v128, v54 /*v310*/
	s_set_vgpr_msb 1                        ;  msbs: dst=0 src0=1 src1=0 src2=0
	v_cvt_f32_f16_e64 v108, v6 /*v262*/
	s_set_vgpr_msb 4                        ;  msbs: dst=0 src0=0 src1=1 src2=0
	v_lshrrev_b32_e32 v141, 16, v6 /*v262*/
	s_set_vgpr_msb 0x54                     ;  msbs: dst=1 src0=0 src1=1 src2=1
	v_dot4_i32_iu8 v6 /*v262*/, v135, v56 /*v312*/, v26 /*v282*/ neg_lo:[1,1,0]
	s_set_vgpr_msb 1                        ;  msbs: dst=0 src0=1 src1=0 src2=0
	v_cvt_f32_f16_e64 v111, v7 /*v263*/
	v_cvt_f32_f16_e64 v110, v2 /*v258*/
	s_set_vgpr_msb 4                        ;  msbs: dst=0 src0=0 src1=1 src2=0
	v_dual_lshrrev_b32 v142, 16, v7 /*v263*/ :: v_dual_lshrrev_b32 v156, 16, v2 /*v258*/
	v_or_b32_e32 v129, v129, v63 /*v319*/
	s_set_vgpr_msb 0x44                     ;  msbs: dst=1 src0=0 src1=1 src2=0
	v_dot4_i32_iu8 v2 /*v258*/, v135, v57 /*v313*/, v161 neg_lo:[1,1,0]
	s_set_vgpr_msb 4                        ;  msbs: dst=0 src0=0 src1=1 src2=0
	v_lshrrev_b32_e32 v160, 16, v1 /*v257*/
	s_set_vgpr_msb 1                        ;  msbs: dst=0 src0=1 src1=0 src2=0
	v_cvt_f32_f16_e64 v121, v5 /*v261*/
	s_set_vgpr_msb 4                        ;  msbs: dst=0 src0=0 src1=1 src2=0
	v_lshrrev_b32_e32 v161, 16, v5 /*v261*/
	s_set_vgpr_msb 0x50                     ;  msbs: dst=1 src0=0 src1=0 src2=1
	v_dot4_i32_iu8 v5 /*v261*/, v138, v126, v23 /*v279*/ neg_lo:[1,1,0]
	v_dot4_i32_iu8 v7 /*v263*/, v123, v126, v25 /*v281*/ neg_lo:[1,1,0]
	;; [unrolled: 1-line block ×3, first 2 shown]
	s_set_vgpr_msb 64                       ;  msbs: dst=1 src0=0 src1=0 src2=0
	v_dot4_i32_iu8 v25 /*v281*/, v123, v143, v167 neg_lo:[1,1,0]
	s_set_vgpr_msb 16                       ;  msbs: dst=0 src0=0 src1=0 src2=1
	v_cvt_f32_f16_e64 v123, v255
	v_lshrrev_b32_e32 v167, 16, v255
	v_dot4_i32_iu8 v255, v124, v126, v39 /*v295*/ neg_lo:[1,1,0]
	s_set_vgpr_msb 0x50                     ;  msbs: dst=1 src0=0 src1=0 src2=1
	v_dot4_i32_iu8 v26 /*v282*/, v124, v145, v40 /*v296*/ neg_lo:[1,1,0]
	s_set_vgpr_msb 0                        ;  msbs: dst=0 src0=0 src1=0 src2=0
	v_dot4_i32_iu8 v169, v124, v143, v169 neg_lo:[1,1,0]
	v_cvt_f32_f16_e64 v124, v248
	v_lshrrev_b32_e32 v248, 16, v248
	v_perm_b32 v151, v133, v133, 0xc0c0601
	s_set_vgpr_msb 64                       ;  msbs: dst=1 src0=0 src1=0 src2=0
	v_perm_b32 v46 /*v302*/, v133, v133, 0x6010007
	v_bfe_i32 v55 /*v311*/, v133, 0, 8
	v_perm_b32 v58 /*v314*/, v133, v133, 0xc070601
	v_dual_lshlrev_b32 v27 /*v283*/, 16, v93 :: v_dual_lshlrev_b32 v82 /*v338*/, 8, v95
	s_set_vgpr_msb 1                        ;  msbs: dst=0 src0=1 src1=0 src2=0
	v_cvt_f32_f16_e64 v106, v13 /*v269*/
	s_set_vgpr_msb 64                       ;  msbs: dst=1 src0=0 src1=0 src2=0
	v_lshlrev_b32_e32 v13 /*v269*/, 16, v95
	s_set_vgpr_msb 0x44                     ;  msbs: dst=1 src0=0 src1=1 src2=0
	v_or_b32_e32 v43 /*v299*/, v115, v43 /*v299*/
	s_wait_dscnt 0x0
	s_set_vgpr_msb 0                        ;  msbs: dst=0 src0=0 src1=0 src2=0
	v_dual_lshlrev_b32 v133, 16, v101 :: v_dual_lshlrev_b32 v137, 8, v101
	s_set_vgpr_msb 64                       ;  msbs: dst=1 src0=0 src1=0 src2=0
	v_perm_b32 v53 /*v309*/, v95, v95, 0xc0c0003
	s_set_vgpr_msb 1                        ;  msbs: dst=0 src0=1 src1=0 src2=0
	v_cvt_f32_f16_e64 v109, v8 /*v264*/
	s_set_vgpr_msb 0x54                     ;  msbs: dst=1 src0=0 src1=1 src2=1
	v_dot4_i32_iu8 v8 /*v264*/, v135, v31 /*v287*/, v60 /*v316*/ neg_lo:[1,1,0]
	s_set_vgpr_msb 1                        ;  msbs: dst=0 src0=1 src1=0 src2=0
	v_cvt_f32_f16_e64 v115, v3 /*v259*/
	v_cvt_f32_f16_e64 v114, v1 /*v257*/
	s_set_vgpr_msb 4                        ;  msbs: dst=0 src0=0 src1=1 src2=0
	v_lshrrev_b32_e32 v157, 16, v3 /*v259*/
	s_set_vgpr_msb 0x50                     ;  msbs: dst=1 src0=0 src1=0 src2=1
	v_dot4_i32_iu8 v1 /*v257*/, v118, v127, v32 /*v288*/ neg_lo:[1,1,0]
	v_perm_b32 v3 /*v259*/, v134, v134, 0xc0c0c03
	s_set_vgpr_msb 0                        ;  msbs: dst=0 src0=0 src1=0 src2=0
	v_dot4_i32_iu8 v179, v131, v126, v179 neg_lo:[1,1,0]
	s_set_vgpr_msb 0x50                     ;  msbs: dst=1 src0=0 src1=0 src2=1
	v_dot4_i32_iu8 v31 /*v287*/, v128, v126, v42 /*v298*/ neg_lo:[1,1,0]
	v_dot4_i32_iu8 v32 /*v288*/, v129, v126, v33 /*v289*/ neg_lo:[1,1,0]
	s_set_vgpr_msb 0                        ;  msbs: dst=0 src0=0 src1=0 src2=0
	v_cvt_f32_f16_e64 v126, v250
	v_lshrrev_b32_e32 v250, 16, v250
	v_cvt_f32_f16_e64 v134, v156
	v_cvt_f32_f16_e64 v156, v248
	s_set_vgpr_msb 4                        ;  msbs: dst=0 src0=0 src1=1 src2=0
	v_perm_b32 v95, v95, v69 /*v325*/, 0x407030c
	s_set_vgpr_msb 5                        ;  msbs: dst=0 src0=1 src1=1 src2=0
	v_perm_b32 v248, v34 /*v290*/, v34 /*v290*/, 0xc0c0c03
	s_set_vgpr_msb 64                       ;  msbs: dst=1 src0=0 src1=0 src2=0
	v_perm_b32 v42 /*v298*/, v137, v133, 0x7030c0c
	s_set_vgpr_msb 0                        ;  msbs: dst=0 src0=0 src1=0 src2=0
	v_cvt_f32_f16_e64 v133, v136
	v_cvt_f32_f16_e64 v136, v160
	;; [unrolled: 1-line block ×3, first 2 shown]
	v_or_b32_e32 v95, v95, v248
	s_set_vgpr_msb 4                        ;  msbs: dst=0 src0=0 src1=1 src2=0
	v_perm_b32 v248, v88, v82 /*v338*/, 0x504030c
	s_set_vgpr_msb 5                        ;  msbs: dst=0 src0=1 src1=1 src2=0
	v_perm_b32 v250, v13 /*v269*/, v13 /*v269*/, 0xc0c0c03
	s_set_vgpr_msb 0                        ;  msbs: dst=0 src0=0 src1=0 src2=0
	v_cvt_f32_f16_e32 v119, v116
	v_dual_lshrrev_b32 v163, 16, v116 :: v_dual_bitop2_b32 v130, v130, v122 bitop3:0x54
	v_cvt_f32_f16_e64 v116, v252
	v_lshrrev_b32_e32 v252, 16, v252
	v_cvt_f32_f16_e64 v127, v253
	v_dual_lshrrev_b32 v253, 16, v253 :: v_dual_bitop2_b32 v248, v248, v250 bitop3:0x54
	v_perm_b32 v250, v97, v183, 0x407030c
	v_perm_b32 v183, v183, v177, 0x7030c0c
	;; [unrolled: 1-line block ×3, first 2 shown]
	s_set_vgpr_msb 64                       ;  msbs: dst=1 src0=0 src1=0 src2=0
	v_dual_lshlrev_b32 v22 /*v278*/, 8, v93 :: v_dual_lshlrev_b32 v44 /*v300*/, 8, v99
	v_lshlrev_b32_e32 v62 /*v318*/, 8, v97
	s_set_vgpr_msb 0                        ;  msbs: dst=0 src0=0 src1=0 src2=0
	v_or_b32_e32 v173, v173, v175
	v_lshlrev_b32_e32 v175, 16, v99
	s_set_vgpr_msb 64                       ;  msbs: dst=1 src0=0 src1=0 src2=0
	v_perm_b32 v50 /*v306*/, v87, v87, 0xc0c0003
	s_set_vgpr_msb 0                        ;  msbs: dst=0 src0=0 src1=0 src2=0
	v_lshrrev_b32_e32 v162, 16, v117
	s_set_vgpr_msb 4                        ;  msbs: dst=0 src0=0 src1=1 src2=0
	v_dot4_i32_iu8 v172, v118, v61 /*v317*/, v172 neg_lo:[1,1,0]
	s_set_vgpr_msb 1                        ;  msbs: dst=0 src0=1 src1=0 src2=0
	v_cvt_f32_f16_e64 v118, v4 /*v260*/
	s_set_vgpr_msb 4                        ;  msbs: dst=0 src0=0 src1=1 src2=0
	v_lshrrev_b32_e32 v166, 16, v4 /*v260*/
	s_set_vgpr_msb 0                        ;  msbs: dst=0 src0=0 src1=0 src2=0
	v_dot4_i32_iu8 v180, v131, v145, v180 neg_lo:[1,1,0]
	s_set_vgpr_msb 64                       ;  msbs: dst=1 src0=0 src1=0 src2=0
	v_dot4_i32_iu8 v4 /*v260*/, v131, v143, v125 neg_lo:[1,1,0]
	s_set_vgpr_msb 0                        ;  msbs: dst=0 src0=0 src1=0 src2=0
	v_dot4_i32_iu8 v171, v128, v143, v171 neg_lo:[1,1,0]
	s_set_vgpr_msb 64                       ;  msbs: dst=1 src0=0 src1=0 src2=0
	v_dot4_i32_iu8 v35 /*v291*/, v129, v143, v139 neg_lo:[1,1,0]
	v_dot4_i32_iu8 v39 /*v295*/, v130, v145, v132 neg_lo:[1,1,0]
	s_set_vgpr_msb 0                        ;  msbs: dst=0 src0=0 src1=0 src2=0
	v_cvt_f32_f16_e64 v128, v247
	v_lshrrev_b32_e32 v247, 16, v247
	s_set_vgpr_msb 64                       ;  msbs: dst=1 src0=0 src1=0 src2=0
	v_dot4_i32_iu8 v40 /*v296*/, v130, v143, v140 neg_lo:[1,1,0]
	s_set_vgpr_msb 0                        ;  msbs: dst=0 src0=0 src1=0 src2=0
	v_cvt_f32_f16_e64 v131, v246
	v_cvt_f32_f16_e64 v130, v245
	v_dual_lshrrev_b32 v246, 16, v246 :: v_dual_lshrrev_b32 v245, 16, v245
	v_cvt_f32_f16_e64 v143, v161
	v_cvt_f32_f16_e64 v140, v252
	;; [unrolled: 1-line block ×3, first 2 shown]
	v_perm_b32 v87, v87, v91, 0x407030c
	v_perm_b32 v91, v91, v85, 0x7030c0c
	;; [unrolled: 1-line block ×3, first 2 shown]
	v_or_b32_e32 v177, v250, v177
	s_set_vgpr_msb 4                        ;  msbs: dst=0 src0=0 src1=1 src2=0
	v_perm_b32 v250, v99, v15 /*v271*/, 0x407030c
	s_set_vgpr_msb 5                        ;  msbs: dst=0 src0=1 src1=1 src2=0
	v_perm_b32 v252, v74 /*v330*/, v74 /*v330*/, 0xc0c0c03
	s_set_vgpr_msb 4                        ;  msbs: dst=0 src0=0 src1=1 src2=0
	v_perm_b32 v253, v103, v18 /*v274*/, 0x7030c0c
	s_set_vgpr_msb 64                       ;  msbs: dst=1 src0=0 src1=0 src2=0
	v_dual_lshlrev_b32 v19 /*v275*/, 8, v103 :: v_dual_lshlrev_b32 v30 /*v286*/, 16, v103
	s_set_vgpr_msb 0                        ;  msbs: dst=0 src0=0 src1=0 src2=0
	v_cvt_f32_f16_e64 v122, v254
	v_lshrrev_b32_e32 v254, 16, v254
	v_cvt_f32_f16_e64 v125, v251
	v_lshrrev_b32_e32 v251, 16, v251
	s_set_vgpr_msb 0x50                     ;  msbs: dst=1 src0=0 src1=0 src2=1
	v_dot4_i32_iu8 v14 /*v270*/, v129, v145, v14 /*v270*/ neg_lo:[1,1,0]
	s_set_vgpr_msb 0                        ;  msbs: dst=0 src0=0 src1=0 src2=0
	v_cvt_f32_f16_e64 v135, v142
	v_cvt_f32_f16_e64 v142, v162
	;; [unrolled: 1-line block ×5, first 2 shown]
	v_or_b32_e32 v85, v87, v85
	s_set_vgpr_msb 5                        ;  msbs: dst=0 src0=1 src1=1 src2=0
	v_perm_b32 v87, v27 /*v283*/, v27 /*v283*/, 0xc0c0c03
	v_perm_b32 v246, v22 /*v278*/, v27 /*v283*/, 0x7030c0c
	s_set_vgpr_msb 4                        ;  msbs: dst=0 src0=0 src1=1 src2=0
	v_perm_b32 v247, v88, v22 /*v278*/, 0x504030c
	s_set_vgpr_msb 0                        ;  msbs: dst=0 src0=0 src1=0 src2=0
	v_or_b32_e32 v250, v250, v252
	s_set_vgpr_msb 5                        ;  msbs: dst=0 src0=1 src1=1 src2=0
	v_perm_b32 v252, v18 /*v274*/, v17 /*v273*/, 0x7030c0c
	s_set_vgpr_msb 4                        ;  msbs: dst=0 src0=0 src1=1 src2=0
	v_or_b32_e32 v253, v253, v29 /*v285*/
	v_cvt_f32_f16_e64 v138, v166
	v_cvt_f32_f16_e64 v166, v245
	v_perm_b32 v245, v92, v22 /*v278*/, 0x504030c
	s_set_vgpr_msb 0x44                     ;  msbs: dst=1 src0=0 src1=1 src2=0
	v_perm_b32 v18 /*v274*/, v88, v44 /*v300*/, 0x504030c
	s_set_vgpr_msb 0x41                     ;  msbs: dst=1 src0=1 src1=0 src2=0
	v_perm_b32 v22 /*v278*/, v44 /*v300*/, v175, 0x7030c0c
	s_set_vgpr_msb 0                        ;  msbs: dst=0 src0=0 src1=0 src2=0
	v_perm_b32 v175, v175, v175, 0xc0c0c03
	s_set_vgpr_msb 0x44                     ;  msbs: dst=1 src0=0 src1=1 src2=0
	v_dot4_i32_iu8 v33 /*v289*/, v129, v64 /*v320*/, v144 neg_lo:[1,1,0]
	s_set_vgpr_msb 0                        ;  msbs: dst=0 src0=0 src1=0 src2=0
	v_cvt_f32_f16_e64 v137, v157
	s_set_vgpr_msb 64                       ;  msbs: dst=1 src0=0 src1=0 src2=0
	v_perm_b32 v54 /*v310*/, v93, v244, 0x407030c
	s_set_vgpr_msb 0                        ;  msbs: dst=0 src0=0 src1=0 src2=0
	v_perm_b32 v244, v244, v243, 0x7030c0c
	v_perm_b32 v243, v243, v243, 0xc0c0c03
	v_cvt_f32_f16_e64 v144, v254
	v_cvt_f32_f16_e64 v157, v251
	v_or_b32_e32 v245, v245, v87
	v_or_b32_e32 v87, v247, v87
	s_set_vgpr_msb 5                        ;  msbs: dst=0 src0=1 src1=1 src2=0
	v_perm_b32 v247, v69 /*v325*/, v34 /*v290*/, 0x7030c0c
	v_perm_b32 v251, v15 /*v271*/, v74 /*v330*/, 0x7030c0c
	s_set_vgpr_msb 0                        ;  msbs: dst=0 src0=0 src1=0 src2=0
	v_perm_b32 v254, v103, v103, 0xc0c0003
	s_set_vgpr_msb 1                        ;  msbs: dst=0 src0=1 src1=0 src2=0
	v_or_b32_e32 v175, v18 /*v274*/, v175
	s_set_vgpr_msb 0x44                     ;  msbs: dst=1 src0=0 src1=1 src2=0
	v_perm_b32 v18 /*v274*/, v102, v19 /*v275*/, 0x4030c0c
	s_set_vgpr_msb 1                        ;  msbs: dst=0 src0=1 src1=0 src2=0
	v_perm_b32 v103, v30 /*v286*/, v103, 0xc0c0700
	s_set_vgpr_msb 64                       ;  msbs: dst=1 src0=0 src1=0 src2=0
	v_lshlrev_b32_e32 v67 /*v323*/, 16, v97
	s_set_vgpr_msb 0                        ;  msbs: dst=0 src0=0 src1=0 src2=0
	v_perm_b32 v101, v101, v101, 0xc0c0003
	v_cvt_f32_f16_e64 v129, v249
	s_set_vgpr_msb 1                        ;  msbs: dst=0 src0=1 src1=0 src2=0
	v_dual_lshrrev_b32 v249, 16, v249 :: v_dual_bitop2_b32 v243, v54 /*v310*/, v243 bitop3:0x54
	s_set_vgpr_msb 0                        ;  msbs: dst=0 src0=0 src1=0 src2=0
	v_perm_b32 v93, v93, v93, 0xc0c0003
	s_set_vgpr_msb 4                        ;  msbs: dst=0 src0=0 src1=1 src2=0
	v_or_b32_e32 v247, v247, v75 /*v331*/
	v_or_b32_e32 v244, v244, v73 /*v329*/
	;; [unrolled: 1-line block ×4, first 2 shown]
	s_set_vgpr_msb 0x45                     ;  msbs: dst=1 src0=1 src1=1 src2=0
	v_or_b32_e32 v17 /*v273*/, v41 /*v297*/, v68 /*v324*/
	s_set_vgpr_msb 0                        ;  msbs: dst=0 src0=0 src1=0 src2=0
	v_or_b32_e32 v178, v252, v178
	s_set_vgpr_msb 4                        ;  msbs: dst=0 src0=0 src1=1 src2=0
	v_perm_b32 v252, v88, v62 /*v318*/, 0x504030c
	s_set_vgpr_msb 0x41                     ;  msbs: dst=1 src0=1 src1=0 src2=0
	v_or_b32_e32 v18 /*v274*/, v18 /*v274*/, v103
	s_set_vgpr_msb 0x45                     ;  msbs: dst=1 src0=1 src1=1 src2=0
	v_perm_b32 v29 /*v285*/, v67 /*v323*/, v67 /*v323*/, 0xc0c0c03
	s_set_vgpr_msb 0                        ;  msbs: dst=0 src0=0 src1=0 src2=0
	v_cvt_f32_f16_e32 v120, v117
	s_set_vgpr_msb 1                        ;  msbs: dst=0 src0=1 src1=0 src2=0
	v_cvt_f32_f16_e64 v117, v0 /*v256*/
	s_set_vgpr_msb 0x44                     ;  msbs: dst=1 src0=0 src1=1 src2=0
	v_lshrrev_b32_e32 v0 /*v256*/, 16, v0 /*v256*/
	s_set_vgpr_msb 0                        ;  msbs: dst=0 src0=0 src1=0 src2=0
	v_cvt_f32_f16_e64 v139, v163
	v_cvt_f32_f16_e64 v163, v249
	s_set_vgpr_msb 5                        ;  msbs: dst=0 src0=1 src1=1 src2=0
	v_perm_b32 v249, v82 /*v338*/, v13 /*v269*/, 0x7030c0c
	s_set_vgpr_msb 0                        ;  msbs: dst=0 src0=0 src1=0 src2=0
	v_perm_b32 v97, v97, v97, 0xc0c0003
	v_perm_b32 v99, v99, v99, 0xc0c0003
	s_set_vgpr_msb 4                        ;  msbs: dst=0 src0=0 src1=1 src2=0
	v_or_b32_e32 v183, v183, v76 /*v332*/
	s_set_vgpr_msb 0x45                     ;  msbs: dst=1 src0=1 src1=1 src2=0
	v_perm_b32 v27 /*v283*/, v62 /*v318*/, v67 /*v323*/, 0x7030c0c
	s_set_vgpr_msb 4                        ;  msbs: dst=0 src0=0 src1=1 src2=0
	v_or_b32_e32 v252, v252, v29 /*v285*/
	s_set_vgpr_msb 0x45                     ;  msbs: dst=1 src0=1 src1=1 src2=0
	v_perm_b32 v29 /*v285*/, v19 /*v275*/, v30 /*v286*/, 0x7030c0c
	s_set_vgpr_msb 0x44                     ;  msbs: dst=1 src0=0 src1=1 src2=0
	v_perm_b32 v19 /*v275*/, v88, v19 /*v275*/, 0x4030c0c
	s_set_vgpr_msb 1                        ;  msbs: dst=0 src0=1 src1=0 src2=0
	v_or_b32_e32 v101, v42 /*v298*/, v101
	s_set_vgpr_msb 0                        ;  msbs: dst=0 src0=0 src1=0 src2=0
	v_or_b32_e32 v93, v246, v93
	s_set_vgpr_msb 4                        ;  msbs: dst=0 src0=0 src1=1 src2=0
	v_dot4_i32_iu8 v168, v243, v9 /*v265*/, v168 neg_lo:[1,1,0]
	v_dot4_i32_iu8 v170, v85, v37 /*v293*/, v170 neg_lo:[1,1,0]
	s_set_vgpr_msb 0x54                     ;  msbs: dst=1 src0=0 src1=1 src2=1
	v_dot4_i32_iu8 v9 /*v265*/, v243, v12 /*v268*/, v24 /*v280*/ neg_lo:[1,1,0]
	s_set_vgpr_msb 20                       ;  msbs: dst=0 src0=0 src1=1 src2=1
	v_dot4_i32_iu8 v95, v95, v12 /*v268*/, v78 /*v334*/ neg_lo:[1,1,0]
	s_set_vgpr_msb 4                        ;  msbs: dst=0 src0=0 src1=1 src2=0
	v_dot4_i32_iu8 v159, v243, v37 /*v293*/, v159 neg_lo:[1,1,0]
	s_set_vgpr_msb 16                       ;  msbs: dst=0 src0=0 src1=0 src2=1
	v_dot4_i32_iu8 v242, v158, v242, v28 /*v284*/ neg_lo:[1,1,0]
	v_dot4_i32_iu8 v146, v158, v146, v6 /*v262*/ neg_lo:[1,1,0]
	;; [unrolled: 1-line block ×4, first 2 shown]
	s_set_vgpr_msb 4                        ;  msbs: dst=0 src0=0 src1=1 src2=0
	v_dot4_i32_iu8 v85, v85, v12 /*v268*/, v181 neg_lo:[1,1,0]
	s_set_vgpr_msb 20                       ;  msbs: dst=0 src0=0 src1=1 src2=1
	v_dot4_i32_iu8 v158, v177, v12 /*v268*/, v80 /*v336*/ neg_lo:[1,1,0]
	s_set_vgpr_msb 4                        ;  msbs: dst=0 src0=0 src1=1 src2=0
	v_dot4_i32_iu8 v177, v250, v12 /*v268*/, v182 neg_lo:[1,1,0]
	s_set_vgpr_msb 16                       ;  msbs: dst=0 src0=0 src1=0 src2=1
	v_dot4_i32_iu8 v181, v253, v241, v1 /*v257*/ neg_lo:[1,1,0]
	s_set_vgpr_msb 0                        ;  msbs: dst=0 src0=0 src1=0 src2=0
	v_dot4_i32_iu8 v179, v247, v240, v179 neg_lo:[1,1,0]
	v_dot4_i32_iu8 v180, v247, v149, v180 neg_lo:[1,1,0]
	s_set_vgpr_msb 16                       ;  msbs: dst=0 src0=0 src1=0 src2=1
	v_dot4_i32_iu8 v182, v247, v150, v4 /*v260*/ neg_lo:[1,1,0]
	v_dot4_i32_iu8 v241, v244, v240, v5 /*v261*/ neg_lo:[1,1,0]
	s_set_vgpr_msb 0                        ;  msbs: dst=0 src0=0 src1=0 src2=0
	v_dot4_i32_iu8 v247, v251, v240, v255 neg_lo:[1,1,0]
	s_set_vgpr_msb 16                       ;  msbs: dst=0 src0=0 src1=0 src2=1
	v_dot4_i32_iu8 v250, v251, v149, v26 /*v282*/ neg_lo:[1,1,0]
	s_set_vgpr_msb 0                        ;  msbs: dst=0 src0=0 src1=0 src2=0
	v_dot4_i32_iu8 v169, v251, v150, v169 neg_lo:[1,1,0]
	s_set_vgpr_msb 16                       ;  msbs: dst=0 src0=0 src1=0 src2=1
	v_dot4_i32_iu8 v251, v91, v240, v31 /*v287*/ neg_lo:[1,1,0]
	s_set_vgpr_msb 0                        ;  msbs: dst=0 src0=0 src1=0 src2=0
	v_dot4_i32_iu8 v91, v91, v150, v171 neg_lo:[1,1,0]
	s_set_vgpr_msb 17                       ;  msbs: dst=0 src0=1 src1=0 src2=1
	v_dot4_i32_iu8 v171, v17 /*v273*/, v240, v32 /*v288*/ neg_lo:[1,1,0]
	s_set_vgpr_msb 0                        ;  msbs: dst=0 src0=0 src1=0 src2=0
	v_perm_b32 v237, v80, v80, 0xc0c0100
	s_set_vgpr_msb 64                       ;  msbs: dst=1 src0=0 src1=0 src2=0
	v_perm_b32 v79 /*v335*/, v84, v84, 0xc0c0302
	v_perm_b32 v81 /*v337*/, v92, v92, 0xc0c0302
	;; [unrolled: 1-line block ×4, first 2 shown]
	s_set_vgpr_msb 0                        ;  msbs: dst=0 src0=0 src1=0 src2=0
	v_cvt_f32_f16_e64 v132, v141
	s_set_vgpr_msb 1                        ;  msbs: dst=0 src0=1 src1=0 src2=0
	v_cvt_f32_f16_e64 v141, v0 /*v256*/
	s_set_vgpr_msb 64                       ;  msbs: dst=1 src0=0 src1=0 src2=0
	v_perm_b32 v0 /*v256*/, v100, v100, 0xc0c0100
	s_set_vgpr_msb 1                        ;  msbs: dst=0 src0=1 src1=0 src2=0
	v_or_b32_e32 v103, v19 /*v275*/, v103
	s_set_vgpr_msb 0x45                     ;  msbs: dst=1 src0=1 src1=1 src2=0
	v_or_b32_e32 v30 /*v286*/, v66 /*v322*/, v50 /*v306*/
	s_set_vgpr_msb 4                        ;  msbs: dst=0 src0=0 src1=1 src2=0
	v_or_b32_e32 v249, v249, v53 /*v309*/
	s_set_vgpr_msb 1                        ;  msbs: dst=0 src0=1 src1=0 src2=0
	v_or_b32_e32 v97, v27 /*v283*/, v97
	v_or_b32_e32 v99, v22 /*v278*/, v99
	;; [unrolled: 1-line block ×3, first 2 shown]
	s_set_vgpr_msb 4                        ;  msbs: dst=0 src0=0 src1=1 src2=0
	v_dot4_i32_iu8 v172, v253, v20 /*v276*/, v172 neg_lo:[1,1,0]
	s_set_vgpr_msb 16                       ;  msbs: dst=0 src0=0 src1=0 src2=1
	v_dot4_i32_iu8 v243, v183, v240, v7 /*v263*/ neg_lo:[1,1,0]
	v_dot4_i32_iu8 v244, v183, v149, v23 /*v279*/ neg_lo:[1,1,0]
	;; [unrolled: 1-line block ×3, first 2 shown]
	s_set_vgpr_msb 17                       ;  msbs: dst=0 src0=1 src1=0 src2=1
	v_dot4_i32_iu8 v155, v17 /*v273*/, v155, v33 /*v289*/ neg_lo:[1,1,0]
	v_dot4_i32_iu8 v240, v17 /*v273*/, v149, v14 /*v270*/ neg_lo:[1,1,0]
	;; [unrolled: 1-line block ×3, first 2 shown]
	s_set_vgpr_msb 16                       ;  msbs: dst=0 src0=0 src1=0 src2=1
	v_dot4_i32_iu8 v149, v178, v149, v39 /*v295*/ neg_lo:[1,1,0]
	v_dot4_i32_iu8 v150, v178, v150, v40 /*v296*/ neg_lo:[1,1,0]
	s_set_vgpr_msb 1                        ;  msbs: dst=0 src0=1 src1=0 src2=0
	v_dot4_i32_iu8 v81, v65 /*v321*/, v81, v170 neg_lo:[1,1,0]
	s_set_vgpr_msb 4                        ;  msbs: dst=0 src0=0 src1=1 src2=0
	v_dot4_i32_iu8 v168, v245, v10 /*v266*/, v168 neg_lo:[1,1,0]
	s_set_vgpr_msb 20                       ;  msbs: dst=0 src0=0 src1=1 src2=1
	v_dot4_i32_iu8 v87, v87, v49 /*v305*/, v9 /*v265*/ neg_lo:[1,1,0]
	s_set_vgpr_msb 4                        ;  msbs: dst=0 src0=0 src1=1 src2=0
	v_dot4_i32_iu8 v95, v248, v51 /*v307*/, v95 neg_lo:[1,1,0]
	s_set_vgpr_msb 1                        ;  msbs: dst=0 src0=1 src1=0 src2=0
	v_dot4_i32_iu8 v85, v65 /*v321*/, v151, v85 neg_lo:[1,1,0]
	s_set_vgpr_msb 0                        ;  msbs: dst=0 src0=0 src1=0 src2=0
	v_dot4_i32_iu8 v151, v165, v239, v242 neg_lo:[1,1,0]
	v_dot4_i32_iu8 v146, v165, v152, v146 neg_lo:[1,1,0]
	;; [unrolled: 1-line block ×7, first 2 shown]
	v_perm_b32 v233, v80, v80, 0xc0c0302
	v_perm_b32 v235, v80, v80, 0xc030201
	s_set_vgpr_msb 64                       ;  msbs: dst=1 src0=0 src1=0 src2=0
	v_perm_b32 v13 /*v269*/, v86, v86, 0xc0c0100
	v_perm_b32 v15 /*v271*/, v88, v88, 0xc0c0100
	v_perm_b32 v19 /*v275*/, v90, v90, 0xc0c0302
	v_perm_b32 v34 /*v290*/, v102, v102, 0xc030201
	v_perm_b32 v38 /*v294*/, v96, v96, 0xc0c0302
	s_set_vgpr_msb 0                        ;  msbs: dst=0 src0=0 src1=0 src2=0
	v_perm_b32 v246, v98, v98, 0xc0c0302
	s_set_vgpr_msb 64                       ;  msbs: dst=1 src0=0 src1=0 src2=0
	v_perm_b32 v27 /*v283*/, v100, v100, 0xc0c0302
	v_perm_b32 v22 /*v278*/, v88, v88, 0xc030201
	s_set_vgpr_msb 1                        ;  msbs: dst=0 src0=1 src1=0 src2=0
	v_dot4_i32_iu8 v89, v18 /*v274*/, v89, v181 neg_lo:[1,1,0]
	s_set_vgpr_msb 4                        ;  msbs: dst=0 src0=0 src1=1 src2=0
	v_dot4_i32_iu8 v153, v175, v21 /*v277*/, v177 neg_lo:[1,1,0]
	v_dot4_i32_iu8 v154, v252, v52 /*v308*/, v158 neg_lo:[1,1,0]
	;; [unrolled: 1-line block ×3, first 2 shown]
	s_set_vgpr_msb 1                        ;  msbs: dst=0 src0=1 src1=0 src2=0
	v_dot4_i32_iu8 v158, v30 /*v286*/, v238, v251 neg_lo:[1,1,0]
	s_set_vgpr_msb 5                        ;  msbs: dst=0 src0=1 src1=1 src2=0
	v_dot4_i32_iu8 v91, v30 /*v286*/, v45 /*v301*/, v91 neg_lo:[1,1,0]
	s_set_vgpr_msb 4                        ;  msbs: dst=0 src0=0 src1=1 src2=0
	v_dot4_i32_iu8 v155, v101, v46 /*v302*/, v155 neg_lo:[1,1,0]
	s_set_vgpr_msb 0                        ;  msbs: dst=0 src0=0 src1=0 src2=0
	v_dot4_i32_iu8 v165, v101, v176, v240 neg_lo:[1,1,0]
	s_set_vgpr_msb 4                        ;  msbs: dst=0 src0=0 src1=1 src2=0
	v_dot4_i32_iu8 v101, v101, v45 /*v301*/, v253 neg_lo:[1,1,0]
	s_set_vgpr_msb 0                        ;  msbs: dst=0 src0=0 src1=0 src2=0
	v_dot4_i32_iu8 v170, v249, v238, v179 neg_lo:[1,1,0]
	v_dot4_i32_iu8 v171, v249, v176, v180 neg_lo:[1,1,0]
	s_set_vgpr_msb 4                        ;  msbs: dst=0 src0=0 src1=1 src2=0
	v_dot4_i32_iu8 v172, v249, v45 /*v301*/, v182 neg_lo:[1,1,0]
	s_set_vgpr_msb 0                        ;  msbs: dst=0 src0=0 src1=0 src2=0
	v_dot4_i32_iu8 v173, v97, v238, v243 neg_lo:[1,1,0]
	v_dot4_i32_iu8 v175, v99, v238, v247 neg_lo:[1,1,0]
	;; [unrolled: 1-line block ×3, first 2 shown]
	s_set_vgpr_msb 4                        ;  msbs: dst=0 src0=0 src1=1 src2=0
	v_dot4_i32_iu8 v99, v99, v45 /*v301*/, v169 neg_lo:[1,1,0]
	s_set_vgpr_msb 0                        ;  msbs: dst=0 src0=0 src1=0 src2=0
	v_dot4_i32_iu8 v169, v97, v176, v244 neg_lo:[1,1,0]
	s_set_vgpr_msb 4                        ;  msbs: dst=0 src0=0 src1=1 src2=0
	v_dot4_i32_iu8 v97, v97, v45 /*v301*/, v183 neg_lo:[1,1,0]
	s_set_vgpr_msb 0                        ;  msbs: dst=0 src0=0 src1=0 src2=0
	v_dot4_i32_iu8 v149, v254, v176, v149 neg_lo:[1,1,0]
	s_set_vgpr_msb 4                        ;  msbs: dst=0 src0=0 src1=1 src2=0
	v_dot4_i32_iu8 v150, v254, v45 /*v301*/, v150 neg_lo:[1,1,0]
	s_set_vgpr_msb 5                        ;  msbs: dst=0 src0=1 src1=1 src2=0
	v_dot4_i32_iu8 v168, v81 /*v337*/, v79 /*v335*/, v168 neg_lo:[1,1,0]
	s_set_vgpr_msb 0                        ;  msbs: dst=0 src0=0 src1=0 src2=0
	v_dot4_i32_iu8 v176, v86, v90, v81 neg_lo:[1,1,0]
	s_set_vgpr_msb 5                        ;  msbs: dst=0 src0=1 src1=1 src2=0
	v_dot4_i32_iu8 v95, v16 /*v272*/, v11 /*v267*/, v95 neg_lo:[1,1,0]
	v_dot4_i32_iu8 v87, v16 /*v272*/, v81 /*v337*/, v87 neg_lo:[1,1,0]
	s_set_vgpr_msb 4                        ;  msbs: dst=0 src0=0 src1=1 src2=0
	v_dot4_i32_iu8 v159, v237, v0 /*v256*/, v159 neg_lo:[1,1,0]
	s_set_vgpr_msb 0                        ;  msbs: dst=0 src0=0 src1=0 src2=0
	v_dot4_i32_iu8 v92, v92, v80, v93 neg_lo:[1,1,0]
	v_dot4_i32_iu8 v93, v164, v236, v151 neg_lo:[1,1,0]
	s_set_vgpr_msb 4                        ;  msbs: dst=0 src0=0 src1=1 src2=0
	v_dot4_i32_iu8 v146, v164, v47 /*v303*/, v146 neg_lo:[1,1,0]
	s_set_vgpr_msb 0                        ;  msbs: dst=0 src0=0 src1=0 src2=0
	v_dot4_i32_iu8 v147, v164, v174, v147 neg_lo:[1,1,0]
	s_set_vgpr_msb 4                        ;  msbs: dst=0 src0=0 src1=1 src2=0
	v_dot4_i32_iu8 v148, v164, v48 /*v304*/, v148 neg_lo:[1,1,0]
	s_set_vgpr_msb 0x45                     ;  msbs: dst=1 src0=1 src1=1 src2=0
	v_or_b32_e32 v3 /*v259*/, v36 /*v292*/, v3 /*v259*/
	s_set_vgpr_msb 64                       ;  msbs: dst=1 src0=0 src1=0 src2=0
	v_perm_b32 v36 /*v292*/, v86, v86, 0xc0c0302
	s_set_vgpr_msb 0                        ;  msbs: dst=0 src0=0 src1=0 src2=0
	v_dot4_i32_iu8 v151, v94, v80, v170 neg_lo:[1,1,0]
	v_dot4_i32_iu8 v164, v94, v90, v171 neg_lo:[1,1,0]
	;; [unrolled: 1-line block ×3, first 2 shown]
	s_set_vgpr_msb 5                        ;  msbs: dst=0 src0=1 src1=1 src2=0
	v_dot4_i32_iu8 v170, v13 /*v269*/, v15 /*v271*/, v85 neg_lo:[1,1,0]
	v_dot4_i32_iu8 v152, v81 /*v337*/, v19 /*v275*/, v152 neg_lo:[1,1,0]
	s_set_vgpr_msb 0                        ;  msbs: dst=0 src0=0 src1=0 src2=0
	v_dot4_i32_iu8 v169, v90, v96, v169 neg_lo:[1,1,0]
	v_dot4_i32_iu8 v171, v90, v98, v177 neg_lo:[1,1,0]
	;; [unrolled: 1-line block ×13, first 2 shown]
	s_set_vgpr_msb 4                        ;  msbs: dst=0 src0=0 src1=1 src2=0
	v_dot4_i32_iu8 v89, v235, v34 /*v290*/, v89 neg_lo:[1,1,0]
	s_set_vgpr_msb 5                        ;  msbs: dst=0 src0=1 src1=1 src2=0
	v_dot4_i32_iu8 v100, v34 /*v290*/, v22 /*v278*/, v103 neg_lo:[1,1,0]
	v_dot4_i32_iu8 v98, v16 /*v272*/, v38 /*v294*/, v154 neg_lo:[1,1,0]
	s_set_vgpr_msb 1                        ;  msbs: dst=0 src0=1 src1=0 src2=0
	v_dot4_i32_iu8 v99, v16 /*v272*/, v246, v153 neg_lo:[1,1,0]
	s_set_vgpr_msb 4                        ;  msbs: dst=0 src0=0 src1=1 src2=0
	v_cvt_f32_i32_e32 v81, v168
	v_cvt_f32_i32_e32 v80, v176
	;; [unrolled: 1-line block ×4, first 2 shown]
	v_dot4_i32_iu8 v153, v233, v27 /*v283*/, v159 neg_lo:[1,1,0]
	v_mad_i32_i24 v154, v226, v55 /*v311*/, v146
	s_set_vgpr_msb 0                        ;  msbs: dst=0 src0=0 src1=0 src2=0
	v_mad_i32_i24 v155, v226, v234, v93
	s_set_vgpr_msb 4                        ;  msbs: dst=0 src0=0 src1=1 src2=0
	v_mad_i32_i24 v159, v226, v59 /*v315*/, v147
	v_mad_i32_i24 v148, v226, v71 /*v327*/, v148
	v_cvt_f32_i32_e32 v92, v92
	s_set_vgpr_msb 5                        ;  msbs: dst=0 src0=1 src1=1 src2=0
	v_dot4_i32_iu8 v168, v36 /*v292*/, v16 /*v272*/, v170 neg_lo:[1,1,0]
	s_set_vgpr_msb 0                        ;  msbs: dst=0 src0=0 src1=0 src2=0
	v_cvt_f32_i32_e32 v87, v89
	v_cvt_f32_i32_e32 v89, v151
	;; [unrolled: 1-line block ×11, first 2 shown]
	v_pk_fma_f32 v[80:81], v[82:83], v[80:81], v[106:107]
	v_pk_fma_f32 v[82:83], v[104:105], v[84:85], v[112:113]
	s_set_vgpr_msb 5                        ;  msbs: dst=0 src0=1 src1=1 src2=0
	v_dot4_i32_iu8 v90, v3 /*v259*/, v58 /*v314*/, v154 neg_lo:[1,1,0]
	s_set_vgpr_msb 1                        ;  msbs: dst=0 src0=1 src1=0 src2=0
	v_dot4_i32_iu8 v150, v3 /*v259*/, v225, v155 neg_lo:[1,1,0]
	s_set_vgpr_msb 5                        ;  msbs: dst=0 src0=1 src1=1 src2=0
	v_dot4_i32_iu8 v152, v3 /*v259*/, v70 /*v326*/, v159 neg_lo:[1,1,0]
	v_dot4_i32_iu8 v154, v3 /*v259*/, v72 /*v328*/, v148 neg_lo:[1,1,0]
	s_set_vgpr_msb 0                        ;  msbs: dst=0 src0=0 src1=0 src2=0
	v_fma_mix_f32 v84, v227, v92, v227 op_sel:[0,0,1] op_sel_hi:[1,0,1]
	v_cvt_f32_i32_e32 v92, v153
	v_cvt_f32_i32_e32 v91, v164
	;; [unrolled: 1-line block ×11, first 2 shown]
	v_fma_mix_f32 v85, v230, v151, v230 op_sel:[0,0,1] op_sel_hi:[1,0,1]
	v_fma_mix_f32 v107, v232, v86, v232 op_sel:[0,0,1] op_sel_hi:[1,0,1]
	v_cvt_f32_i32_e32 v148, v168
	v_fma_mix_f32 v104, v228, v88, v228 op_sel:[0,0,1] op_sel_hi:[1,0,1]
	v_fma_mix_f32 v106, v229, v92, v229 op_sel:[0,0,1] op_sel_hi:[1,0,1]
	v_cvt_f32_i32_e32 v86, v90
	v_cvt_f32_i32_e32 v88, v150
	;; [unrolled: 1-line block ×4, first 2 shown]
	v_fma_mix_f32 v105, v231, v158, v231 op_sel:[0,0,1] op_sel_hi:[1,0,1]
	v_pk_fma_f32 v[94:95], v[122:123], v[94:95], v[144:145]
	v_pk_fma_f32 v[96:97], v[124:125], v[96:97], v[156:157]
	;; [unrolled: 1-line block ×7, first 2 shown]
	v_pk_add_f32 v[10:11], v[10:11], v[80:81]
	v_pk_add_f32 v[28:29], v[28:29], v[82:83]
	v_pk_add_f32 v[26:27], v[26:27], v[84:85]
	v_pk_fma_f32 v[80:81], v[116:117], v[86:87], v[140:141]
	v_pk_fma_f32 v[82:83], v[108:109], v[88:89], v[132:133]
	;; [unrolled: 1-line block ×4, first 2 shown]
	v_dual_add_nc_u32 v224, 4, v224 :: v_dual_add_nc_u32 v223, 4, v223
	v_dual_add_nc_u32 v222, 4, v222 :: v_dual_add_nc_u32 v221, 4, v221
	v_dual_add_nc_u32 v220, 4, v220 :: v_dual_add_nc_u32 v219, 32, v219
	v_pk_add_f32 v[14:15], v[14:15], v[104:105]
	v_pk_add_f32 v[18:19], v[18:19], v[94:95]
	;; [unrolled: 1-line block ×13, first 2 shown]
	s_add_co_i32 s10, s10, 4
	s_delay_alu instid0(SALU_CYCLE_1)
	s_cmp_lt_u32 s10, 12
	s_cbranch_scc1 .LBB164_9
; %bb.10:                               ;   in Loop: Header=BB164_7 Depth=1
	s_and_b32 s10, s7, -4
	s_delay_alu instid0(SALU_CYCLE_1)
	s_cmp_eq_u32 s10, 4
	s_barrier_signal -1
	s_barrier_wait -1
	s_cbranch_scc1 .LBB164_6
; %bb.11:                               ;   in Loop: Header=BB164_7 Depth=1
	v_dual_add_nc_u32 v80, s4, v196 :: v_dual_add_nc_u32 v96, 4, v217
	v_dual_mov_b32 v110, v215 :: v_dual_mov_b32 v111, v205
	v_dual_mov_b32 v112, v216 :: v_dual_mov_b32 v113, v213
	s_delay_alu instid0(VALU_DEP_3) | instskip(SKIP_3) | instid1(VALU_DEP_4)
	v_dual_add_nc_u32 v86, v80, v190 :: v_dual_add_nc_u32 v81, v80, v195
	v_dual_add_nc_u32 v82, v80, v188 :: v_dual_add_nc_u32 v84, v80, v189
	;; [unrolled: 1-line block ×4, first 2 shown]
	v_mad_nc_i64_i32 v[80:81], v81, 36, v[38:39]
	s_delay_alu instid0(VALU_DEP_4)
	v_mad_nc_i64_i32 v[82:83], v82, 36, v[38:39]
	v_mad_nc_i64_i32 v[84:85], v84, 36, v[38:39]
	;; [unrolled: 1-line block ×7, first 2 shown]
	v_mad_nc_u64_u32 v[96:97], v96, 36, s[2:3]
	s_clause 0x8
	global_load_b32 v98, v[80:81], off offset:4
	global_load_b32 v99, v[82:83], off offset:4
	;; [unrolled: 1-line block ×8, first 2 shown]
	global_load_b32 v106, v[96:97], off
	v_dual_mov_b32 v114, v211 :: v_dual_mov_b32 v115, v209
	v_mov_b32_e32 v116, v207
	s_mov_b32 s10, 12
	s_wait_loadcnt 0x8
	ds_store_b32 v203, v98
	s_wait_loadcnt 0x7
	ds_store_b32 v204, v99
	s_wait_loadcnt 0x6
	ds_store_b32 v197, v100
	s_wait_loadcnt 0x5
	ds_store_b32 v198, v101
	s_wait_loadcnt 0x4
	ds_store_b32 v199, v102
	s_wait_loadcnt 0x3
	ds_store_b32 v200, v103
	s_wait_loadcnt 0x2
	ds_store_b32 v201, v104
	s_wait_loadcnt 0x1
	ds_store_b32 v202, v105
	s_wait_loadcnt 0x0
	ds_store_b32 v187, v106
	s_wait_dscnt 0x0
	s_barrier_signal -1
	s_barrier_wait -1
.LBB164_12:                             ;   Parent Loop BB164_7 Depth=1
                                        ; =>  This Inner Loop Header: Depth=2
	v_add_nc_u32_e32 v80, 0x2080, v112
	ds_load_2addr_b32 v[92:93], v111 offset0:3 offset1:4
	ds_load_2addr_b32 v[86:87], v111 offset0:1 offset1:2
	ds_load_2addr_b32 v[88:89], v111 offset0:5 offset1:6
	ds_load_2addr_b32 v[96:97], v111 offset1:7
	ds_load_2addr_b32 v[94:95], v110 offset1:32
	ds_load_b32 v117, v113
	ds_load_2addr_b32 v[82:83], v112 offset1:1
	ds_load_2addr_b32 v[98:99], v112 offset0:2 offset1:3
	ds_load_2addr_b32 v[100:101], v112 offset0:4 offset1:5
	;; [unrolled: 1-line block ×3, first 2 shown]
	s_add_co_i32 s10, s10, 4
	ds_load_b32 v118, v114
	ds_load_2addr_b32 v[80:81], v80 offset1:1
	v_dual_add_nc_u32 v114, 4, v114 :: v_dual_add_nc_u32 v113, 4, v113
	s_cmp_lt_u32 s10, 28
	s_wait_dscnt 0xb
	v_dual_lshlrev_b32 v90, 16, v93 :: v_dual_lshlrev_b32 v91, 8, v93
	s_wait_dscnt 0xa
	v_dual_lshlrev_b32 v108, 16, v86 :: v_dual_lshlrev_b32 v109, 8, v86
	s_wait_dscnt 0x8
	v_bfe_i32 v156, v96, 0, 8
	v_bfe_i32 v157, v96, 8, 8
	v_perm_b32 v158, v90, v93, 0x7000c0c
	s_wait_dscnt 0x0
	v_bfe_i32 v84, v80, 0, 8
	v_bfe_i32 v85, v80, 8, 8
	v_perm_b32 v90, v80, v80, 0xc0c0302
	v_dual_lshlrev_b32 v119, 16, v88 :: v_dual_lshlrev_b32 v120, 8, v88
	s_delay_alu instid0(VALU_DEP_4) | instskip(SKIP_1) | instid1(VALU_DEP_4)
	v_mul_i32_i24_e32 v84, v84, v156
	v_perm_b32 v127, v81, v96, 0x5040302
	v_or_b32_e32 v90, v158, v90
	v_perm_b32 v91, v93, v91, 0xc0c0703
	v_perm_b32 v93, v108, v86, 0x7000c0c
	v_mad_i32_i24 v126, v85, v157, v84
	v_add_nc_u32_e32 v84, 0x2088, v112
	v_perm_b32 v86, v86, v109, 0xc0c0703
	v_dual_lshlrev_b32 v121, 16, v87 :: v_dual_lshlrev_b32 v122, 8, v87
	s_delay_alu instid0(VALU_DEP_4)
	v_dot4_i32_iu8 v90, v90, v127, v126 neg_lo:[1,1,0]
	ds_load_2addr_b32 v[104:105], v84 offset1:1
	v_add_nc_u32_e32 v84, 0x2090, v112
	v_or_b32_e32 v159, v93, v91
	v_perm_b32 v93, v119, v88, 0x7000c0c
	v_perm_b32 v161, v88, v120, 0xc0c0703
	;; [unrolled: 1-line block ×3, first 2 shown]
	ds_load_2addr_b32 v[106:107], v84 offset1:1
	v_add_nc_u32_e32 v84, 0x2098, v112
	v_dual_lshlrev_b32 v123, 16, v89 :: v_dual_bitop2_b32 v160, v93, v86 bitop3:0x54
	v_lshlrev_b32_e32 v124, 8, v89
	v_perm_b32 v163, v87, v122, 0xc0c0703
	ds_load_2addr_b32 v[84:85], v84 offset1:1
	v_dual_lshlrev_b32 v125, 16, v92 :: v_dual_lshlrev_b32 v132, 8, v92
	v_perm_b32 v164, v123, v89, 0xc0c0700
	v_perm_b32 v165, v89, v124, 0xc0c0703
	v_pk_mul_f16 v135, v94, v117
	s_delay_alu instid0(VALU_DEP_4)
	v_perm_b32 v166, v125, v92, 0xc0c0700
	v_pk_mul_f16 v119, v94, v118
	s_wait_dscnt 0x2
	v_perm_b32 v126, v104, v81, 0x5040302
	v_perm_b32 v91, v105, v104, 0x5040302
	;; [unrolled: 1-line block ×4, first 2 shown]
	v_dual_lshlrev_b32 v133, 16, v97 :: v_dual_lshlrev_b32 v134, 8, v97
	v_dot4_i32_iu8 v90, v159, v126, v90 neg_lo:[1,1,0]
	s_wait_dscnt 0x1
	v_perm_b32 v88, v106, v106, 0xc0c0100
	v_perm_b32 v87, v107, v107, 0xc0c0100
	s_delay_alu instid0(VALU_DEP_3) | instskip(SKIP_1) | instid1(VALU_DEP_1)
	v_dot4_i32_iu8 v86, v160, v91, v90 neg_lo:[1,1,0]
	v_perm_b32 v90, v105, v105, 0xc0c0302
	v_dot4_i32_iu8 v86, v161, v90, v86 neg_lo:[1,1,0]
	v_add_nc_u32_e32 v90, 0x6188, v112
	s_delay_alu instid0(VALU_DEP_2) | instskip(SKIP_1) | instid1(VALU_DEP_1)
	v_dot4_i32_iu8 v86, v162, v88, v86 neg_lo:[1,1,0]
	v_perm_b32 v88, v106, v106, 0xc0c0302
	v_dot4_i32_iu8 v86, v163, v88, v86 neg_lo:[1,1,0]
	v_add_nc_u32_e32 v88, 0x4108, v112
	s_delay_alu instid0(VALU_DEP_2) | instskip(SKIP_1) | instid1(VALU_DEP_1)
	v_dot4_i32_iu8 v86, v164, v87, v86 neg_lo:[1,1,0]
	v_perm_b32 v87, v107, v107, 0xc0c0302
	v_dot4_i32_iu8 v86, v165, v87, v86 neg_lo:[1,1,0]
	s_wait_dscnt 0x0
	v_perm_b32 v87, v84, v84, 0xc0c0100
	s_delay_alu instid0(VALU_DEP_1)
	v_dot4_i32_iu8 v120, v166, v87, v86 neg_lo:[1,1,0]
	v_add_nc_u32_e32 v86, 0x4100, v112
	ds_load_b32 v121, v115
	ds_load_2addr_b32 v[86:87], v86 offset1:1
	ds_load_2addr_b32 v[108:109], v88 offset1:1
	v_add_nc_u32_e32 v88, 0x4110, v112
	v_add_nc_u32_e32 v115, 4, v115
	ds_load_2addr_b32 v[144:145], v88 offset1:1
	v_add_nc_u32_e32 v88, 0x4118, v112
	ds_load_2addr_b32 v[146:147], v88 offset1:1
	v_add_nc_u32_e32 v88, 0x6180, v112
	ds_load_b32 v122, v116
	ds_load_2addr_b32 v[88:89], v88 offset1:1
	ds_load_2addr_b32 v[150:151], v90 offset1:1
	v_add_nc_u32_e32 v90, 0x6190, v112
	s_wait_dscnt 0x7
	v_pk_mul_f16 v143, v94, v121
	v_add_nc_u32_e32 v116, 4, v116
	ds_load_2addr_b32 v[152:153], v90 offset1:1
	v_add_nc_u32_e32 v90, 0x6198, v112
	v_add_nc_u32_e32 v112, 32, v112
	ds_load_2addr_b32 v[154:155], v90 offset1:1
	v_add_nc_u32_e32 v90, 0x40c, v111
	ds_load_2addr_b32 v[130:131], v90 offset1:1
	v_add_nc_u32_e32 v90, 0x404, v111
	s_wait_dscnt 0x5
	v_pk_mul_f16 v167, v94, v122
	ds_load_2addr_b32 v[126:127], v90 offset1:1
	v_add_nc_u32_e32 v90, 0x414, v111
	ds_load_2addr_b32 v[128:129], v90 offset1:1
	v_add_nc_u32_e32 v90, 0x400, v111
	ds_load_2addr_b32 v[90:91], v90 offset1:7
	s_wait_dscnt 0x3
	v_dual_lshlrev_b32 v93, 16, v131 :: v_dual_lshlrev_b32 v94, 8, v131
	v_dual_lshlrev_b32 v148, 16, v130 :: v_dual_lshlrev_b32 v149, 8, v130
	s_wait_dscnt 0x2
	v_dual_lshlrev_b32 v125, 16, v126 :: v_dual_lshlrev_b32 v136, 8, v126
	s_delay_alu instid0(VALU_DEP_3) | instskip(SKIP_4) | instid1(VALU_DEP_3)
	v_perm_b32 v93, v94, v93, 0x7030c0c
	v_perm_b32 v94, v131, v131, 0xc0c0003
	v_dual_lshlrev_b32 v139, 16, v127 :: v_dual_lshlrev_b32 v140, 8, v127
	s_wait_dscnt 0x1
	v_dual_lshlrev_b32 v141, 16, v129 :: v_dual_lshlrev_b32 v137, 16, v128
	v_dual_lshlrev_b32 v138, 8, v128 :: v_dual_bitop2_b32 v170, v93, v94 bitop3:0x54
	v_perm_b32 v94, v136, v125, 0x7030c0c
	v_perm_b32 v125, v126, v126, 0xc0c0003
	s_wait_dscnt 0x0
	v_lshlrev_b32_e32 v169, 8, v91
	v_perm_b32 v126, v128, v128, 0xc0c0003
	v_lshlrev_b32_e32 v142, 8, v129
	v_perm_b32 v127, v127, v127, 0xc0c0003
	v_or_b32_e32 v171, v94, v125
	v_perm_b32 v94, v138, v137, 0x7030c0c
	v_perm_b32 v128, v129, v129, 0xc0c0003
	v_lshlrev_b32_e32 v168, 16, v91
	v_perm_b32 v129, v130, v130, 0xc0c0003
	v_bfe_i32 v130, v82, 8, 8
	v_or_b32_e32 v172, v94, v126
	v_perm_b32 v94, v140, v139, 0x7030c0c
	v_perm_b32 v131, v82, v82, 0xc0c0302
	v_dot4_i32_iu8 v93, v170, v123, 0 neg_lo:[1,1,0]
	v_perm_b32 v125, v99, v99, 0x6010007
	v_perm_b32 v126, v100, v100, 0x2010003
	v_or_b32_e32 v173, v94, v127
	v_perm_b32 v94, v142, v141, 0x7030c0c
	v_or_b32_e32 v131, v158, v131
	v_dot4_i32_iu8 v93, v171, v124, v93 neg_lo:[1,1,0]
	v_perm_b32 v127, v101, v101, 0x2010003
	v_perm_b32 v91, v91, v91, 0xc0c0003
	v_or_b32_e32 v174, v94, v128
	v_perm_b32 v94, v149, v148, 0x7030c0c
	v_dot4_i32_iu8 v93, v172, v125, v93 neg_lo:[1,1,0]
	v_perm_b32 v128, v102, v102, 0x2010003
	v_perm_b32 v140, v103, v103, 0x2010003
	;; [unrolled: 1-line block ×3, first 2 shown]
	v_or_b32_e32 v175, v94, v129
	v_bfe_i32 v129, v82, 0, 8
	v_dot4_i32_iu8 v93, v173, v126, v93 neg_lo:[1,1,0]
	v_pk_mul_f16 v94, v117, v95
	v_perm_b32 v92, v97, v134, 0x7030c04
	v_perm_b32 v132, v81, v81, 0x2010003
	v_mul_i32_i24_e32 v129, v129, v156
	v_dot4_i32_iu8 v93, v174, v127, v93 neg_lo:[1,1,0]
	v_perm_b32 v134, v104, v104, 0x2010003
	v_bfe_i32 v97, v86, 0, 8
	v_dot4_i32_iu8 v81, v170, v132, 0 neg_lo:[1,1,0]
	v_mad_i32_i24 v129, v130, v157, v129
	v_perm_b32 v130, v83, v96, 0x5040302
	v_perm_b32 v83, v98, v83, 0x5040302
	;; [unrolled: 1-line block ×3, first 2 shown]
	v_dot4_i32_iu8 v93, v175, v128, v93 neg_lo:[1,1,0]
	v_mul_i32_i24_e32 v97, v97, v156
	v_dot4_i32_iu8 v129, v131, v130, v129 neg_lo:[1,1,0]
	v_perm_b32 v136, v106, v106, 0x2010003
	v_perm_b32 v137, v107, v107, 0x2010003
	;; [unrolled: 1-line block ×4, first 2 shown]
	v_dot4_i32_iu8 v83, v159, v83, v129 neg_lo:[1,1,0]
	v_perm_b32 v129, v109, v109, 0x6010007
	v_perm_b32 v131, v145, v145, 0x2010003
	;; [unrolled: 1-line block ×4, first 2 shown]
	v_dot4_i32_iu8 v83, v160, v98, v83 neg_lo:[1,1,0]
	v_perm_b32 v98, v99, v99, 0xc0c0302
	s_delay_alu instid0(VALU_DEP_3) | instskip(NEXT) | instid1(VALU_DEP_2)
	v_dot4_i32_iu8 v84, v141, v84, v120 neg_lo:[1,1,0]
	v_dot4_i32_iu8 v83, v161, v98, v83 neg_lo:[1,1,0]
	v_perm_b32 v98, v100, v100, 0xc0c0100
	s_delay_alu instid0(VALU_DEP_1) | instskip(SKIP_1) | instid1(VALU_DEP_1)
	v_dot4_i32_iu8 v83, v162, v98, v83 neg_lo:[1,1,0]
	v_perm_b32 v98, v100, v100, 0xc0c0302
	v_dot4_i32_iu8 v83, v163, v98, v83 neg_lo:[1,1,0]
	v_perm_b32 v98, v101, v101, 0xc0c0100
	s_delay_alu instid0(VALU_DEP_1) | instskip(SKIP_1) | instid1(VALU_DEP_1)
	v_dot4_i32_iu8 v83, v164, v98, v83 neg_lo:[1,1,0]
	v_perm_b32 v98, v101, v101, 0xc0c0302
	;; [unrolled: 5-line block ×3, first 2 shown]
	v_or_b32_e32 v138, v98, v91
	s_delay_alu instid0(VALU_DEP_1) | instskip(SKIP_1) | instid1(VALU_DEP_2)
	v_dot4_i32_iu8 v91, v138, v140, v93 neg_lo:[1,1,0]
	v_perm_b32 v93, v102, v102, 0xc0c0302
	v_dot4_i32_iu8 v91, v90, v82, v91 neg_lo:[1,1,0]
	s_delay_alu instid0(VALU_DEP_2) | instskip(SKIP_2) | instid1(VALU_DEP_4)
	v_dot4_i32_iu8 v83, v141, v93, v83 neg_lo:[1,1,0]
	v_perm_b32 v93, v133, v133, 0xc0c030c
	v_perm_b32 v133, v146, v146, 0x2010003
	v_cvt_f32_i32_e32 v101, v91
	s_delay_alu instid0(VALU_DEP_3)
	v_or_b32_e32 v142, v92, v93
	v_cvt_f32_f16_e32 v93, v94
	v_lshrrev_b32_e32 v94, 16, v94
	v_cvt_f32_f16_e64 v92, v135
	v_dot4_i32_iu8 v81, v171, v134, v81 neg_lo:[1,1,0]
	v_dot4_i32_iu8 v83, v142, v103, v83 neg_lo:[1,1,0]
	s_delay_alu instid0(VALU_DEP_4) | instskip(SKIP_2) | instid1(VALU_DEP_4)
	v_cvt_f32_f16_e32 v99, v94
	v_lshrrev_b32_e32 v94, 16, v135
	v_perm_b32 v135, v105, v105, 0x6010007
	v_cvt_f32_i32_e32 v100, v83
	v_perm_b32 v83, v108, v108, 0x2010003
	s_delay_alu instid0(VALU_DEP_4) | instskip(NEXT) | instid1(VALU_DEP_4)
	v_cvt_f32_f16_e32 v98, v94
	v_dot4_i32_iu8 v81, v172, v135, v81 neg_lo:[1,1,0]
	s_delay_alu instid0(VALU_DEP_2) | instskip(SKIP_1) | instid1(VALU_DEP_3)
	v_pk_fma_f32 v[92:93], v[92:93], v[100:101], v[98:99]
	v_bfe_i32 v98, v86, 8, 8
	v_dot4_i32_iu8 v81, v173, v136, v81 neg_lo:[1,1,0]
	v_perm_b32 v99, v87, v96, 0x5040302
	v_perm_b32 v96, v89, v96, 0x5040302
	v_pk_add_f32 v[34:35], v[34:35], v[92:93]
	v_mad_i32_i24 v97, v98, v157, v97
	v_perm_b32 v98, v86, v86, 0xc0c0302
	v_pk_mul_f16 v93, v121, v95
	s_delay_alu instid0(VALU_DEP_2) | instskip(NEXT) | instid1(VALU_DEP_1)
	v_or_b32_e32 v98, v158, v98
	v_dot4_i32_iu8 v97, v98, v99, v97 neg_lo:[1,1,0]
	s_delay_alu instid0(VALU_DEP_3) | instskip(SKIP_3) | instid1(VALU_DEP_3)
	v_cvt_f32_f16_e32 v99, v93
	v_lshrrev_b32_e32 v93, 16, v93
	v_dot4_i32_iu8 v81, v174, v137, v81 neg_lo:[1,1,0]
	v_perm_b32 v98, v146, v146, 0xc0c0302
	v_cvt_f32_f16_e32 v101, v93
	v_lshrrev_b32_e32 v93, 16, v143
	s_delay_alu instid0(VALU_DEP_4) | instskip(SKIP_1) | instid1(VALU_DEP_3)
	v_dot4_i32_iu8 v149, v175, v139, v81 neg_lo:[1,1,0]
	v_pk_mul_f16 v81, v118, v95
	v_cvt_f32_f16_e32 v100, v93
	v_pk_mul_f16 v93, v122, v95
	s_delay_alu instid0(VALU_DEP_3) | instskip(SKIP_2) | instid1(VALU_DEP_2)
	v_cvt_f32_f16_e32 v92, v81
	v_lshrrev_b32_e32 v81, 16, v81
	v_bfe_i32 v95, v88, 0, 8
	v_cvt_f32_f16_e32 v94, v81
	v_perm_b32 v81, v87, v87, 0x2010003
	v_perm_b32 v87, v108, v87, 0x5040302
	s_delay_alu instid0(VALU_DEP_4) | instskip(NEXT) | instid1(VALU_DEP_3)
	v_mul_i32_i24_e32 v95, v95, v156
	v_dot4_i32_iu8 v91, v170, v81, 0 neg_lo:[1,1,0]
	s_delay_alu instid0(VALU_DEP_3) | instskip(SKIP_1) | instid1(VALU_DEP_3)
	v_dot4_i32_iu8 v87, v159, v87, v97 neg_lo:[1,1,0]
	v_perm_b32 v97, v109, v108, 0x5040302
	v_dot4_i32_iu8 v91, v171, v83, v91 neg_lo:[1,1,0]
	s_delay_alu instid0(VALU_DEP_2) | instskip(SKIP_1) | instid1(VALU_DEP_3)
	v_dot4_i32_iu8 v87, v160, v97, v87 neg_lo:[1,1,0]
	v_perm_b32 v97, v109, v109, 0xc0c0302
	v_dot4_i32_iu8 v91, v172, v129, v91 neg_lo:[1,1,0]
	s_delay_alu instid0(VALU_DEP_2) | instskip(SKIP_1) | instid1(VALU_DEP_3)
	;; [unrolled: 4-line block ×3, first 2 shown]
	v_dot4_i32_iu8 v87, v162, v97, v87 neg_lo:[1,1,0]
	v_perm_b32 v97, v144, v144, 0xc0c0302
	v_dot4_i32_iu8 v91, v174, v131, v91 neg_lo:[1,1,0]
	v_perm_b32 v144, v150, v150, 0x2010003
	s_delay_alu instid0(VALU_DEP_3) | instskip(SKIP_1) | instid1(VALU_DEP_4)
	v_dot4_i32_iu8 v87, v163, v97, v87 neg_lo:[1,1,0]
	v_perm_b32 v97, v145, v145, 0xc0c0100
	v_dot4_i32_iu8 v91, v175, v133, v91 neg_lo:[1,1,0]
	s_delay_alu instid0(VALU_DEP_2) | instskip(SKIP_2) | instid1(VALU_DEP_2)
	v_dot4_i32_iu8 v87, v164, v97, v87 neg_lo:[1,1,0]
	v_perm_b32 v97, v145, v145, 0xc0c0302
	v_perm_b32 v145, v151, v151, 0x6010007
	v_dot4_i32_iu8 v87, v165, v97, v87 neg_lo:[1,1,0]
	v_perm_b32 v97, v146, v146, 0xc0c0100
	v_perm_b32 v146, v152, v152, 0x2010003
	s_delay_alu instid0(VALU_DEP_2) | instskip(SKIP_1) | instid1(VALU_DEP_2)
	v_dot4_i32_iu8 v97, v166, v97, v87 neg_lo:[1,1,0]
	v_perm_b32 v87, v147, v147, 0x2010003
	v_dot4_i32_iu8 v97, v141, v98, v97 neg_lo:[1,1,0]
	v_cvt_f32_f16_e64 v98, v143
	v_perm_b32 v143, v89, v89, 0x2010003
	v_perm_b32 v89, v150, v89, 0x5040302
	v_dot4_i32_iu8 v91, v138, v87, v91 neg_lo:[1,1,0]
	v_dot4_i32_iu8 v97, v142, v147, v97 neg_lo:[1,1,0]
	v_perm_b32 v147, v153, v153, 0x2010003
	s_delay_alu instid0(VALU_DEP_3) | instskip(NEXT) | instid1(VALU_DEP_3)
	v_dot4_i32_iu8 v91, v90, v86, v91 neg_lo:[1,1,0]
	v_cvt_f32_i32_e32 v102, v97
	v_bfe_i32 v97, v88, 8, 8
	s_delay_alu instid0(VALU_DEP_3) | instskip(SKIP_1) | instid1(VALU_DEP_3)
	v_cvt_f32_i32_e32 v103, v91
	v_dot4_i32_iu8 v91, v170, v143, 0 neg_lo:[1,1,0]
	v_mad_i32_i24 v95, v97, v157, v95
	v_perm_b32 v97, v88, v88, 0xc0c0302
	s_delay_alu instid0(VALU_DEP_4) | instskip(NEXT) | instid1(VALU_DEP_4)
	v_pk_fma_f32 v[98:99], v[98:99], v[102:103], v[100:101]
	v_dot4_i32_iu8 v91, v171, v144, v91 neg_lo:[1,1,0]
	s_delay_alu instid0(VALU_DEP_3) | instskip(NEXT) | instid1(VALU_DEP_3)
	v_or_b32_e32 v97, v158, v97
	v_pk_add_f32 v[32:33], v[32:33], v[98:99]
	s_delay_alu instid0(VALU_DEP_3) | instskip(NEXT) | instid1(VALU_DEP_3)
	v_dot4_i32_iu8 v91, v172, v145, v91 neg_lo:[1,1,0]
	v_dot4_i32_iu8 v95, v97, v96, v95 neg_lo:[1,1,0]
	v_perm_b32 v96, v154, v154, 0xc0c0302
	v_cvt_f32_f16_e32 v97, v93
	s_delay_alu instid0(VALU_DEP_4) | instskip(SKIP_3) | instid1(VALU_DEP_4)
	v_dot4_i32_iu8 v91, v173, v146, v91 neg_lo:[1,1,0]
	v_lshrrev_b32_e32 v93, 16, v93
	v_dot4_i32_iu8 v89, v159, v89, v95 neg_lo:[1,1,0]
	v_perm_b32 v95, v151, v150, 0x5040302
	v_dot4_i32_iu8 v91, v174, v147, v91 neg_lo:[1,1,0]
	s_delay_alu instid0(VALU_DEP_4) | instskip(SKIP_1) | instid1(VALU_DEP_4)
	v_cvt_f32_f16_e32 v99, v93
	v_lshrrev_b32_e32 v93, 16, v167
	v_dot4_i32_iu8 v89, v160, v95, v89 neg_lo:[1,1,0]
	v_perm_b32 v95, v151, v151, 0xc0c0302
	v_dot4_i32_iu8 v91, v175, v148, v91 neg_lo:[1,1,0]
	v_dot4_i32_iu8 v84, v142, v85, v84 neg_lo:[1,1,0]
	v_cvt_f32_f16_e32 v98, v93
	s_delay_alu instid0(VALU_DEP_4) | instskip(SKIP_1) | instid1(VALU_DEP_1)
	v_dot4_i32_iu8 v89, v161, v95, v89 neg_lo:[1,1,0]
	v_perm_b32 v95, v152, v152, 0xc0c0100
	v_dot4_i32_iu8 v89, v162, v95, v89 neg_lo:[1,1,0]
	v_perm_b32 v95, v152, v152, 0xc0c0302
	s_delay_alu instid0(VALU_DEP_1) | instskip(SKIP_1) | instid1(VALU_DEP_1)
	v_dot4_i32_iu8 v89, v163, v95, v89 neg_lo:[1,1,0]
	v_perm_b32 v95, v153, v153, 0xc0c0100
	v_dot4_i32_iu8 v89, v164, v95, v89 neg_lo:[1,1,0]
	v_perm_b32 v95, v153, v153, 0xc0c0302
	s_delay_alu instid0(VALU_DEP_1) | instskip(SKIP_1) | instid1(VALU_DEP_1)
	v_dot4_i32_iu8 v89, v165, v95, v89 neg_lo:[1,1,0]
	v_perm_b32 v95, v154, v154, 0xc0c0100
	v_dot4_i32_iu8 v95, v166, v95, v89 neg_lo:[1,1,0]
	v_perm_b32 v89, v155, v155, 0x2010003
	s_delay_alu instid0(VALU_DEP_2) | instskip(NEXT) | instid1(VALU_DEP_2)
	v_dot4_i32_iu8 v95, v141, v96, v95 neg_lo:[1,1,0]
	v_dot4_i32_iu8 v91, v138, v89, v91 neg_lo:[1,1,0]
	v_cvt_f32_f16_e64 v96, v167
	s_delay_alu instid0(VALU_DEP_3) | instskip(NEXT) | instid1(VALU_DEP_3)
	v_dot4_i32_iu8 v95, v142, v155, v95 neg_lo:[1,1,0]
	v_dot4_i32_iu8 v91, v90, v88, v91 neg_lo:[1,1,0]
	s_delay_alu instid0(VALU_DEP_2) | instskip(NEXT) | instid1(VALU_DEP_2)
	v_cvt_f32_i32_e32 v100, v95
	v_cvt_f32_i32_e32 v101, v91
	v_add_nc_u32_e32 v91, 0x80c, v111
	s_delay_alu instid0(VALU_DEP_2)
	v_pk_fma_f32 v[96:97], v[96:97], v[100:101], v[98:99]
	ds_load_2addr_b32 v[98:99], v91 offset1:1
	v_add_nc_u32_e32 v91, 0x804, v111
	v_pk_add_f32 v[30:31], v[30:31], v[96:97]
	ds_load_2addr_b32 v[100:101], v91 offset1:1
	v_add_nc_u32_e32 v91, 0x814, v111
	ds_load_2addr_b32 v[102:103], v91 offset1:1
	v_add_nc_u32_e32 v91, 0x800, v111
	ds_load_2addr_b32 v[96:97], v91 offset1:7
	ds_load_2addr_b32 v[104:105], v110 offset0:64 offset1:96
	s_wait_dscnt 0x4
	v_dual_lshlrev_b32 v91, 16, v99 :: v_dual_lshlrev_b32 v93, 8, v99
	v_dual_lshlrev_b32 v153, 16, v98 :: v_dual_lshlrev_b32 v154, 8, v98
	s_wait_dscnt 0x3
	v_dual_lshlrev_b32 v95, 16, v100 :: v_dual_lshlrev_b32 v106, 8, v100
	s_delay_alu instid0(VALU_DEP_3) | instskip(SKIP_4) | instid1(VALU_DEP_3)
	v_perm_b32 v91, v93, v91, 0x7030c0c
	v_perm_b32 v93, v99, v99, 0xc0c0003
	v_dual_lshlrev_b32 v109, 16, v101 :: v_dual_lshlrev_b32 v150, 8, v101
	s_wait_dscnt 0x2
	v_dual_lshlrev_b32 v151, 16, v103 :: v_dual_lshlrev_b32 v107, 16, v102
	v_dual_lshlrev_b32 v108, 8, v102 :: v_dual_bitop2_b32 v99, v91, v93 bitop3:0x54
	v_perm_b32 v93, v106, v95, 0x7030c0c
	v_perm_b32 v95, v100, v100, 0xc0c0003
	s_wait_dscnt 0x1
	v_dual_lshlrev_b32 v156, 8, v97 :: v_dual_lshlrev_b32 v152, 8, v103
	v_dot4_i32_iu8 v91, v99, v123, 0 neg_lo:[1,1,0]
	s_delay_alu instid0(VALU_DEP_3)
	v_dual_lshlrev_b32 v155, 16, v97 :: v_dual_bitop2_b32 v106, v93, v95 bitop3:0x54
	v_perm_b32 v93, v108, v107, 0x7030c0c
	v_perm_b32 v95, v102, v102, 0xc0c0003
	s_wait_dscnt 0x0
	v_pk_mul_f16 v107, v121, v104
	v_dot4_i32_iu8 v91, v106, v124, v91 neg_lo:[1,1,0]
	s_delay_alu instid0(VALU_DEP_3) | instskip(SKIP_2) | instid1(VALU_DEP_3)
	v_or_b32_e32 v102, v93, v95
	v_perm_b32 v93, v150, v109, 0x7030c0c
	v_perm_b32 v95, v101, v101, 0xc0c0003
	v_dot4_i32_iu8 v91, v102, v125, v91 neg_lo:[1,1,0]
	s_delay_alu instid0(VALU_DEP_2) | instskip(SKIP_2) | instid1(VALU_DEP_3)
	v_or_b32_e32 v101, v93, v95
	v_perm_b32 v93, v152, v151, 0x7030c0c
	v_perm_b32 v95, v103, v103, 0xc0c0003
	v_dot4_i32_iu8 v91, v101, v126, v91 neg_lo:[1,1,0]
	s_delay_alu instid0(VALU_DEP_2) | instskip(SKIP_2) | instid1(VALU_DEP_3)
	;; [unrolled: 5-line block ×3, first 2 shown]
	v_or_b32_e32 v98, v93, v95
	v_perm_b32 v93, v156, v155, 0x7030c0c
	v_perm_b32 v95, v97, v97, 0xc0c0003
	v_dot4_i32_iu8 v91, v98, v128, v91 neg_lo:[1,1,0]
	s_delay_alu instid0(VALU_DEP_2) | instskip(SKIP_1) | instid1(VALU_DEP_2)
	v_or_b32_e32 v97, v93, v95
	v_pk_mul_f16 v93, v117, v104
	v_dot4_i32_iu8 v91, v97, v140, v91 neg_lo:[1,1,0]
	s_delay_alu instid0(VALU_DEP_1) | instskip(NEXT) | instid1(VALU_DEP_1)
	v_dot4_i32_iu8 v91, v82, v96, v91 neg_lo:[1,1,0]
	v_cvt_f32_i32_e32 v91, v91
	s_delay_alu instid0(VALU_DEP_1) | instskip(SKIP_1) | instid1(VALU_DEP_1)
	v_fma_mix_f32 v100, v93, v91, v93 op_sel:[0,0,1] op_sel_hi:[1,0,1]
	v_dot4_i32_iu8 v91, v99, v132, 0 neg_lo:[1,1,0]
	v_dot4_i32_iu8 v91, v106, v134, v91 neg_lo:[1,1,0]
	s_delay_alu instid0(VALU_DEP_1) | instskip(NEXT) | instid1(VALU_DEP_1)
	v_dot4_i32_iu8 v91, v102, v135, v91 neg_lo:[1,1,0]
	v_dot4_i32_iu8 v91, v101, v136, v91 neg_lo:[1,1,0]
	s_delay_alu instid0(VALU_DEP_1) | instskip(NEXT) | instid1(VALU_DEP_1)
	v_dot4_i32_iu8 v91, v103, v137, v91 neg_lo:[1,1,0]
	v_dot4_i32_iu8 v150, v98, v139, v91 neg_lo:[1,1,0]
	v_pk_mul_f16 v91, v118, v104
	s_delay_alu instid0(VALU_DEP_1) | instskip(SKIP_1) | instid1(VALU_DEP_1)
	v_cvt_f32_f16_e32 v93, v91
	v_lshrrev_b32_e32 v91, 16, v91
	v_cvt_f32_f16_e32 v95, v91
	v_dot4_i32_iu8 v91, v99, v81, 0 neg_lo:[1,1,0]
	v_dot4_i32_iu8 v99, v99, v143, 0 neg_lo:[1,1,0]
	s_delay_alu instid0(VALU_DEP_2) | instskip(NEXT) | instid1(VALU_DEP_2)
	v_dot4_i32_iu8 v91, v106, v83, v91 neg_lo:[1,1,0]
	v_dot4_i32_iu8 v99, v106, v144, v99 neg_lo:[1,1,0]
	s_delay_alu instid0(VALU_DEP_2) | instskip(NEXT) | instid1(VALU_DEP_2)
	v_dot4_i32_iu8 v91, v102, v129, v91 neg_lo:[1,1,0]
	v_dot4_i32_iu8 v99, v102, v145, v99 neg_lo:[1,1,0]
	s_delay_alu instid0(VALU_DEP_2) | instskip(NEXT) | instid1(VALU_DEP_2)
	v_dot4_i32_iu8 v91, v101, v130, v91 neg_lo:[1,1,0]
	v_dot4_i32_iu8 v99, v101, v146, v99 neg_lo:[1,1,0]
	s_delay_alu instid0(VALU_DEP_2) | instskip(NEXT) | instid1(VALU_DEP_2)
	v_dot4_i32_iu8 v91, v103, v131, v91 neg_lo:[1,1,0]
	v_dot4_i32_iu8 v99, v103, v147, v99 neg_lo:[1,1,0]
	s_delay_alu instid0(VALU_DEP_2) | instskip(NEXT) | instid1(VALU_DEP_2)
	v_dot4_i32_iu8 v91, v98, v133, v91 neg_lo:[1,1,0]
	v_dot4_i32_iu8 v98, v98, v148, v99 neg_lo:[1,1,0]
	v_pk_mul_f16 v99, v122, v104
	s_delay_alu instid0(VALU_DEP_3) | instskip(NEXT) | instid1(VALU_DEP_3)
	v_dot4_i32_iu8 v91, v97, v87, v91 neg_lo:[1,1,0]
	v_dot4_i32_iu8 v98, v97, v89, v98 neg_lo:[1,1,0]
	s_delay_alu instid0(VALU_DEP_2) | instskip(NEXT) | instid1(VALU_DEP_2)
	v_dot4_i32_iu8 v91, v86, v96, v91 neg_lo:[1,1,0]
	v_dot4_i32_iu8 v98, v88, v96, v98 neg_lo:[1,1,0]
	s_delay_alu instid0(VALU_DEP_2) | instskip(NEXT) | instid1(VALU_DEP_2)
	v_cvt_f32_i32_e32 v91, v91
	v_cvt_f32_i32_e32 v98, v98
	s_delay_alu instid0(VALU_DEP_2) | instskip(NEXT) | instid1(VALU_DEP_2)
	v_fma_mix_f32 v91, v107, v91, v107 op_sel:[0,0,1] op_sel_hi:[1,0,1]
	v_fma_mix_f32 v107, v99, v98, v99 op_sel:[0,0,1] op_sel_hi:[1,0,1]
	v_add_nc_u32_e32 v98, 0xc0c, v111
	ds_load_2addr_b32 v[102:103], v98 offset1:1
	v_add_nc_u32_e32 v98, 0xc04, v111
	ds_load_2addr_b32 v[108:109], v98 offset1:1
	;; [unrolled: 2-line block ×4, first 2 shown]
	s_wait_dscnt 0x3
	v_dual_lshlrev_b32 v101, 16, v103 :: v_dual_lshlrev_b32 v104, 8, v103
	v_perm_b32 v103, v103, v103, 0xc0c0003
	v_dual_lshlrev_b32 v160, 16, v102 :: v_dual_lshlrev_b32 v161, 8, v102
	v_perm_b32 v102, v102, v102, 0xc0c0003
	s_wait_dscnt 0x2
	v_dual_lshlrev_b32 v106, 16, v108 :: v_dual_lshlrev_b32 v151, 8, v108
	v_perm_b32 v101, v104, v101, 0x7030c0c
	v_dual_lshlrev_b32 v156, 16, v109 :: v_dual_lshlrev_b32 v157, 8, v109
	v_perm_b32 v109, v109, v109, 0xc0c0003
	s_wait_dscnt 0x1
	v_dual_lshlrev_b32 v154, 16, v152 :: v_dual_lshlrev_b32 v155, 8, v152
	v_or_b32_e32 v103, v101, v103
	v_perm_b32 v104, v151, v106, 0x7030c0c
	v_perm_b32 v106, v108, v108, 0xc0c0003
	;; [unrolled: 1-line block ×3, first 2 shown]
	s_wait_dscnt 0x0
	v_lshlrev_b32_e32 v163, 8, v99
	v_dot4_i32_iu8 v101, v103, v123, 0 neg_lo:[1,1,0]
	v_dual_lshlrev_b32 v158, 16, v153 :: v_dual_lshlrev_b32 v159, 8, v153
	v_or_b32_e32 v104, v104, v106
	v_perm_b32 v106, v155, v154, 0x7030c0c
	v_perm_b32 v151, v153, v153, 0xc0c0003
	v_lshlrev_b32_e32 v162, 16, v99
	v_perm_b32 v99, v99, v99, 0xc0c0003
	v_dot4_i32_iu8 v101, v104, v124, v101 neg_lo:[1,1,0]
	v_or_b32_e32 v106, v106, v108
	v_perm_b32 v108, v157, v156, 0x7030c0c
	s_delay_alu instid0(VALU_DEP_2) | instskip(NEXT) | instid1(VALU_DEP_2)
	v_dot4_i32_iu8 v101, v106, v125, v101 neg_lo:[1,1,0]
	v_or_b32_e32 v109, v108, v109
	v_perm_b32 v108, v159, v158, 0x7030c0c
	s_delay_alu instid0(VALU_DEP_2) | instskip(NEXT) | instid1(VALU_DEP_2)
	;; [unrolled: 4-line block ×4, first 2 shown]
	v_dot4_i32_iu8 v101, v152, v128, v101 neg_lo:[1,1,0]
	v_or_b32_e32 v162, v102, v99
	s_delay_alu instid0(VALU_DEP_1) | instskip(SKIP_1) | instid1(VALU_DEP_2)
	v_dot4_i32_iu8 v99, v162, v140, v101 neg_lo:[1,1,0]
	v_pk_mul_f16 v101, v117, v105
	v_dot4_i32_iu8 v99, v82, v98, v99 neg_lo:[1,1,0]
	s_delay_alu instid0(VALU_DEP_1) | instskip(NEXT) | instid1(VALU_DEP_1)
	v_cvt_f32_i32_e32 v99, v99
	v_fma_mix_f32 v101, v101, v99, v101 op_sel:[0,0,1] op_sel_hi:[1,0,1]
	v_dot4_i32_iu8 v99, v103, v132, 0 neg_lo:[1,1,0]
	s_delay_alu instid0(VALU_DEP_2) | instskip(NEXT) | instid1(VALU_DEP_2)
	v_pk_add_f32 v[26:27], v[26:27], v[100:101]
	v_dot4_i32_iu8 v99, v104, v134, v99 neg_lo:[1,1,0]
	v_pk_mul_f16 v101, v121, v105
	s_delay_alu instid0(VALU_DEP_2) | instskip(NEXT) | instid1(VALU_DEP_1)
	v_dot4_i32_iu8 v99, v106, v135, v99 neg_lo:[1,1,0]
	v_dot4_i32_iu8 v99, v109, v136, v99 neg_lo:[1,1,0]
	s_delay_alu instid0(VALU_DEP_1) | instskip(NEXT) | instid1(VALU_DEP_1)
	v_dot4_i32_iu8 v99, v151, v137, v99 neg_lo:[1,1,0]
	v_dot4_i32_iu8 v163, v152, v139, v99 neg_lo:[1,1,0]
	v_pk_mul_f16 v99, v118, v105
	s_delay_alu instid0(VALU_DEP_1) | instskip(SKIP_1) | instid1(VALU_DEP_1)
	v_cvt_f32_f16_e32 v100, v99
	v_lshrrev_b32_e32 v99, 16, v99
	v_cvt_f32_f16_e32 v102, v99
	v_dot4_i32_iu8 v99, v103, v81, 0 neg_lo:[1,1,0]
	s_delay_alu instid0(VALU_DEP_1) | instskip(NEXT) | instid1(VALU_DEP_1)
	v_dot4_i32_iu8 v99, v104, v83, v99 neg_lo:[1,1,0]
	v_dot4_i32_iu8 v99, v106, v129, v99 neg_lo:[1,1,0]
	s_delay_alu instid0(VALU_DEP_1) | instskip(NEXT) | instid1(VALU_DEP_1)
	v_dot4_i32_iu8 v99, v109, v130, v99 neg_lo:[1,1,0]
	;; [unrolled: 3-line block ×4, first 2 shown]
	v_cvt_f32_i32_e32 v99, v99
	s_delay_alu instid0(VALU_DEP_1) | instskip(SKIP_2) | instid1(VALU_DEP_2)
	v_fma_mix_f32 v108, v101, v99, v101 op_sel:[0,0,1] op_sel_hi:[1,0,1]
	v_dot4_i32_iu8 v99, v103, v143, 0 neg_lo:[1,1,0]
	v_pk_mul_f16 v101, v122, v105
	v_dot4_i32_iu8 v99, v104, v144, v99 neg_lo:[1,1,0]
	s_delay_alu instid0(VALU_DEP_1) | instskip(NEXT) | instid1(VALU_DEP_1)
	v_dot4_i32_iu8 v99, v106, v145, v99 neg_lo:[1,1,0]
	v_dot4_i32_iu8 v99, v109, v146, v99 neg_lo:[1,1,0]
	s_delay_alu instid0(VALU_DEP_1) | instskip(NEXT) | instid1(VALU_DEP_1)
	v_dot4_i32_iu8 v99, v151, v147, v99 neg_lo:[1,1,0]
	;; [unrolled: 3-line block ×3, first 2 shown]
	v_dot4_i32_iu8 v99, v88, v98, v99 neg_lo:[1,1,0]
	s_delay_alu instid0(VALU_DEP_1) | instskip(NEXT) | instid1(VALU_DEP_1)
	v_cvt_f32_i32_e32 v99, v99
	v_fma_mix_f32 v152, v101, v99, v101 op_sel:[0,0,1] op_sel_hi:[1,0,1]
	v_add_nc_u32_e32 v99, 0x100c, v111
	ds_load_2addr_b32 v[154:155], v99 offset1:1
	v_add_nc_u32_e32 v99, 0x1004, v111
	ds_load_2addr_b32 v[156:157], v99 offset1:1
	;; [unrolled: 2-line block ×4, first 2 shown]
	ds_load_2addr_b32 v[160:161], v110 offset0:128 offset1:160
	s_wait_dscnt 0x4
	v_dual_lshlrev_b32 v99, 16, v155 :: v_dual_lshlrev_b32 v101, 8, v155
	v_dual_lshlrev_b32 v167, 16, v154 :: v_dual_lshlrev_b32 v168, 8, v154
	s_wait_dscnt 0x3
	v_dual_lshlrev_b32 v103, 16, v156 :: v_dual_lshlrev_b32 v106, 8, v156
	s_delay_alu instid0(VALU_DEP_3) | instskip(SKIP_4) | instid1(VALU_DEP_3)
	v_perm_b32 v99, v101, v99, 0x7030c0c
	v_perm_b32 v101, v155, v155, 0xc0c0003
	v_dual_lshlrev_b32 v153, 16, v157 :: v_dual_lshlrev_b32 v164, 8, v157
	s_wait_dscnt 0x2
	v_dual_lshlrev_b32 v165, 16, v159 :: v_dual_lshlrev_b32 v109, 16, v158
	v_dual_lshlrev_b32 v151, 8, v158 :: v_dual_bitop2_b32 v99, v99, v101 bitop3:0x54
	v_perm_b32 v103, v106, v103, 0x7030c0c
	v_perm_b32 v106, v156, v156, 0xc0c0003
	s_wait_dscnt 0x1
	v_dual_lshlrev_b32 v170, 8, v105 :: v_dual_lshlrev_b32 v166, 8, v159
	v_dot4_i32_iu8 v101, v99, v123, 0 neg_lo:[1,1,0]
	s_delay_alu instid0(VALU_DEP_3) | instskip(SKIP_3) | instid1(VALU_DEP_4)
	v_dual_lshlrev_b32 v169, 16, v105 :: v_dual_bitop2_b32 v106, v103, v106 bitop3:0x54
	v_perm_b32 v103, v151, v109, 0x7030c0c
	v_perm_b32 v109, v158, v158, 0xc0c0003
	;; [unrolled: 1-line block ×3, first 2 shown]
	v_dot4_i32_iu8 v101, v106, v124, v101 neg_lo:[1,1,0]
	s_delay_alu instid0(VALU_DEP_3)
	v_or_b32_e32 v151, v103, v109
	v_perm_b32 v103, v164, v153, 0x7030c0c
	v_perm_b32 v109, v157, v157, 0xc0c0003
	s_wait_dscnt 0x0
	v_pk_mul_f16 v157, v121, v160
	v_dot4_i32_iu8 v101, v151, v125, v101 neg_lo:[1,1,0]
	s_delay_alu instid0(VALU_DEP_3) | instskip(SKIP_2) | instid1(VALU_DEP_3)
	v_or_b32_e32 v153, v103, v109
	v_perm_b32 v103, v166, v165, 0x7030c0c
	v_perm_b32 v109, v159, v159, 0xc0c0003
	v_dot4_i32_iu8 v101, v153, v126, v101 neg_lo:[1,1,0]
	s_delay_alu instid0(VALU_DEP_2) | instskip(SKIP_2) | instid1(VALU_DEP_3)
	v_or_b32_e32 v155, v103, v109
	v_perm_b32 v103, v168, v167, 0x7030c0c
	v_perm_b32 v109, v154, v154, 0xc0c0003
	v_dot4_i32_iu8 v101, v155, v127, v101 neg_lo:[1,1,0]
	s_delay_alu instid0(VALU_DEP_2) | instskip(SKIP_1) | instid1(VALU_DEP_2)
	v_or_b32_e32 v156, v103, v109
	v_perm_b32 v103, v170, v169, 0x7030c0c
	v_dot4_i32_iu8 v101, v156, v128, v101 neg_lo:[1,1,0]
	s_delay_alu instid0(VALU_DEP_2) | instskip(SKIP_1) | instid1(VALU_DEP_2)
	v_or_b32_e32 v105, v103, v105
	v_pk_mul_f16 v103, v117, v160
	v_dot4_i32_iu8 v101, v105, v140, v101 neg_lo:[1,1,0]
	s_delay_alu instid0(VALU_DEP_1) | instskip(NEXT) | instid1(VALU_DEP_1)
	v_dot4_i32_iu8 v101, v82, v104, v101 neg_lo:[1,1,0]
	v_cvt_f32_i32_e32 v101, v101
	s_delay_alu instid0(VALU_DEP_1) | instskip(SKIP_2) | instid1(VALU_DEP_2)
	v_fma_mix_f32 v154, v103, v101, v103 op_sel:[0,0,1] op_sel_hi:[1,0,1]
	v_dot4_i32_iu8 v101, v99, v132, 0 neg_lo:[1,1,0]
	v_pk_mul_f16 v103, v118, v160
	v_dot4_i32_iu8 v101, v106, v134, v101 neg_lo:[1,1,0]
	s_delay_alu instid0(VALU_DEP_1) | instskip(NEXT) | instid1(VALU_DEP_1)
	v_dot4_i32_iu8 v101, v151, v135, v101 neg_lo:[1,1,0]
	v_dot4_i32_iu8 v101, v153, v136, v101 neg_lo:[1,1,0]
	s_delay_alu instid0(VALU_DEP_1) | instskip(NEXT) | instid1(VALU_DEP_1)
	v_dot4_i32_iu8 v101, v155, v137, v101 neg_lo:[1,1,0]
	v_dot4_i32_iu8 v164, v156, v139, v101 neg_lo:[1,1,0]
	v_cvt_f32_f16_e32 v101, v103
	v_lshrrev_b32_e32 v103, 16, v103
	v_dot4_i32_iu8 v109, v99, v81, 0 neg_lo:[1,1,0]
	v_dot4_i32_iu8 v99, v99, v143, 0 neg_lo:[1,1,0]
	s_delay_alu instid0(VALU_DEP_3) | instskip(NEXT) | instid1(VALU_DEP_3)
	v_cvt_f32_f16_e32 v103, v103
	v_dot4_i32_iu8 v109, v106, v83, v109 neg_lo:[1,1,0]
	s_delay_alu instid0(VALU_DEP_3) | instskip(SKIP_1) | instid1(VALU_DEP_3)
	v_dot4_i32_iu8 v99, v106, v144, v99 neg_lo:[1,1,0]
	v_pk_mul_f16 v106, v122, v160
	v_dot4_i32_iu8 v109, v151, v129, v109 neg_lo:[1,1,0]
	s_delay_alu instid0(VALU_DEP_3) | instskip(NEXT) | instid1(VALU_DEP_2)
	v_dot4_i32_iu8 v99, v151, v145, v99 neg_lo:[1,1,0]
	v_dot4_i32_iu8 v109, v153, v130, v109 neg_lo:[1,1,0]
	s_delay_alu instid0(VALU_DEP_2) | instskip(NEXT) | instid1(VALU_DEP_2)
	v_dot4_i32_iu8 v99, v153, v146, v99 neg_lo:[1,1,0]
	v_dot4_i32_iu8 v109, v155, v131, v109 neg_lo:[1,1,0]
	s_delay_alu instid0(VALU_DEP_2) | instskip(NEXT) | instid1(VALU_DEP_2)
	;; [unrolled: 3-line block ×5, first 2 shown]
	v_dot4_i32_iu8 v99, v88, v104, v99 neg_lo:[1,1,0]
	v_cvt_f32_i32_e32 v109, v109
	s_delay_alu instid0(VALU_DEP_2) | instskip(NEXT) | instid1(VALU_DEP_2)
	v_cvt_f32_i32_e32 v99, v99
	v_fma_mix_f32 v109, v157, v109, v157 op_sel:[0,0,1] op_sel_hi:[1,0,1]
	s_delay_alu instid0(VALU_DEP_2) | instskip(SKIP_1) | instid1(VALU_DEP_3)
	v_fma_mix_f32 v153, v106, v99, v106 op_sel:[0,0,1] op_sel_hi:[1,0,1]
	v_add_nc_u32_e32 v99, 0x140c, v111
	v_pk_add_f32 v[18:19], v[18:19], v[108:109]
	s_delay_alu instid0(VALU_DEP_3)
	v_pk_add_f32 v[16:17], v[16:17], v[152:153]
	ds_load_2addr_b32 v[152:153], v99 offset1:1
	v_add_nc_u32_e32 v99, 0x1404, v111
	ds_load_2addr_b32 v[156:157], v99 offset1:1
	v_add_nc_u32_e32 v99, 0x1414, v111
	;; [unrolled: 2-line block ×3, first 2 shown]
	ds_load_2addr_b32 v[108:109], v99 offset1:7
	s_wait_dscnt 0x3
	v_dual_lshlrev_b32 v99, 16, v153 :: v_dual_lshlrev_b32 v106, 8, v153
	v_dual_lshlrev_b32 v170, 16, v152 :: v_dual_lshlrev_b32 v171, 8, v152
	v_perm_b32 v152, v152, v152, 0xc0c0003
	s_wait_dscnt 0x2
	v_dual_lshlrev_b32 v151, 16, v156 :: v_dual_lshlrev_b32 v155, 8, v156
	v_perm_b32 v99, v106, v99, 0x7030c0c
	v_perm_b32 v106, v153, v153, 0xc0c0003
	;; [unrolled: 1-line block ×3, first 2 shown]
	v_dual_lshlrev_b32 v166, 16, v157 :: v_dual_lshlrev_b32 v167, 8, v157
	s_wait_dscnt 0x1
	v_dual_lshlrev_b32 v160, 16, v158 :: v_dual_lshlrev_b32 v165, 8, v158
	v_or_b32_e32 v99, v99, v106
	v_perm_b32 v151, v155, v151, 0x7030c0c
	v_perm_b32 v155, v158, v158, 0xc0c0003
	s_wait_dscnt 0x0
	v_dual_lshlrev_b32 v173, 8, v109 :: v_dual_lshlrev_b32 v168, 16, v159
	v_dot4_i32_iu8 v106, v99, v123, 0 neg_lo:[1,1,0]
	v_or_b32_e32 v151, v151, v153
	v_perm_b32 v153, v165, v160, 0x7030c0c
	v_lshlrev_b32_e32 v169, 8, v159
	v_perm_b32 v156, v157, v157, 0xc0c0003
	v_perm_b32 v157, v159, v159, 0xc0c0003
	v_dot4_i32_iu8 v106, v151, v124, v106 neg_lo:[1,1,0]
	v_or_b32_e32 v153, v153, v155
	v_perm_b32 v155, v167, v166, 0x7030c0c
	v_lshlrev_b32_e32 v172, 16, v109
	v_perm_b32 v109, v109, v109, 0xc0c0003
	v_pk_mul_f16 v166, v118, v161
	v_dot4_i32_iu8 v106, v153, v125, v106 neg_lo:[1,1,0]
	v_or_b32_e32 v156, v155, v156
	v_perm_b32 v155, v169, v168, 0x7030c0c
	s_delay_alu instid0(VALU_DEP_2) | instskip(NEXT) | instid1(VALU_DEP_2)
	v_dot4_i32_iu8 v106, v156, v126, v106 neg_lo:[1,1,0]
	v_or_b32_e32 v157, v155, v157
	v_perm_b32 v155, v171, v170, 0x7030c0c
	s_delay_alu instid0(VALU_DEP_2) | instskip(NEXT) | instid1(VALU_DEP_2)
	;; [unrolled: 4-line block ×3, first 2 shown]
	v_dot4_i32_iu8 v106, v152, v128, v106 neg_lo:[1,1,0]
	v_or_b32_e32 v109, v155, v109
	v_pk_mul_f16 v155, v117, v161
	s_delay_alu instid0(VALU_DEP_2) | instskip(NEXT) | instid1(VALU_DEP_1)
	v_dot4_i32_iu8 v106, v109, v140, v106 neg_lo:[1,1,0]
	v_dot4_i32_iu8 v106, v82, v108, v106 neg_lo:[1,1,0]
	s_delay_alu instid0(VALU_DEP_1) | instskip(NEXT) | instid1(VALU_DEP_1)
	v_cvt_f32_i32_e32 v106, v106
	v_fma_mix_f32 v155, v155, v106, v155 op_sel:[0,0,1] op_sel_hi:[1,0,1]
	v_dot4_i32_iu8 v106, v99, v132, 0 neg_lo:[1,1,0]
	s_delay_alu instid0(VALU_DEP_2) | instskip(NEXT) | instid1(VALU_DEP_2)
	v_pk_add_f32 v[14:15], v[14:15], v[154:155]
	v_dot4_i32_iu8 v106, v151, v134, v106 neg_lo:[1,1,0]
	v_pk_mul_f16 v154, v121, v161
	s_delay_alu instid0(VALU_DEP_2) | instskip(NEXT) | instid1(VALU_DEP_1)
	v_dot4_i32_iu8 v106, v153, v135, v106 neg_lo:[1,1,0]
	v_dot4_i32_iu8 v106, v156, v136, v106 neg_lo:[1,1,0]
	s_delay_alu instid0(VALU_DEP_1) | instskip(NEXT) | instid1(VALU_DEP_1)
	v_dot4_i32_iu8 v106, v157, v137, v106 neg_lo:[1,1,0]
	v_dot4_i32_iu8 v165, v152, v139, v106 neg_lo:[1,1,0]
	;; [unrolled: 1-line block ×4, first 2 shown]
	s_delay_alu instid0(VALU_DEP_2) | instskip(NEXT) | instid1(VALU_DEP_2)
	v_dot4_i32_iu8 v106, v151, v83, v106 neg_lo:[1,1,0]
	v_dot4_i32_iu8 v99, v151, v144, v99 neg_lo:[1,1,0]
	v_add_nc_u32_e32 v151, 0x1804, v111
	s_delay_alu instid0(VALU_DEP_3) | instskip(NEXT) | instid1(VALU_DEP_3)
	v_dot4_i32_iu8 v106, v153, v129, v106 neg_lo:[1,1,0]
	v_dot4_i32_iu8 v99, v153, v145, v99 neg_lo:[1,1,0]
	s_delay_alu instid0(VALU_DEP_2) | instskip(NEXT) | instid1(VALU_DEP_2)
	v_dot4_i32_iu8 v106, v156, v130, v106 neg_lo:[1,1,0]
	v_dot4_i32_iu8 v99, v156, v146, v99 neg_lo:[1,1,0]
	s_delay_alu instid0(VALU_DEP_2) | instskip(NEXT) | instid1(VALU_DEP_2)
	;; [unrolled: 3-line block ×3, first 2 shown]
	v_dot4_i32_iu8 v106, v152, v133, v106 neg_lo:[1,1,0]
	v_dot4_i32_iu8 v99, v152, v148, v99 neg_lo:[1,1,0]
	ds_load_2addr_b32 v[152:153], v151 offset1:1
	v_add_nc_u32_e32 v151, 0x1814, v111
	v_dot4_i32_iu8 v106, v109, v87, v106 neg_lo:[1,1,0]
	v_dot4_i32_iu8 v99, v109, v89, v99 neg_lo:[1,1,0]
	s_delay_alu instid0(VALU_DEP_2) | instskip(NEXT) | instid1(VALU_DEP_2)
	v_dot4_i32_iu8 v106, v86, v108, v106 neg_lo:[1,1,0]
	v_dot4_i32_iu8 v99, v88, v108, v99 neg_lo:[1,1,0]
	s_delay_alu instid0(VALU_DEP_2) | instskip(NEXT) | instid1(VALU_DEP_2)
	v_cvt_f32_i32_e32 v106, v106
	v_cvt_f32_i32_e32 v99, v99
	s_delay_alu instid0(VALU_DEP_2)
	v_fma_mix_f32 v106, v154, v106, v154 op_sel:[0,0,1] op_sel_hi:[1,0,1]
	ds_load_2addr_b32 v[154:155], v151 offset1:1
	v_add_nc_u32_e32 v151, 0x1800, v111
	s_wait_dscnt 0x1
	v_dual_lshlrev_b32 v167, 8, v152 :: v_dual_lshlrev_b32 v170, 16, v153
	v_lshlrev_b32_e32 v171, 8, v153
	v_pk_add_f32 v[10:11], v[10:11], v[106:107]
	v_pk_mul_f16 v106, v122, v161
	v_lshlrev_b32_e32 v161, 16, v152
	v_perm_b32 v152, v152, v152, 0xc0c0003
	v_perm_b32 v153, v153, v153, 0xc0c0003
	s_delay_alu instid0(VALU_DEP_4)
	v_fma_mix_f32 v99, v106, v99, v106 op_sel:[0,0,1] op_sel_hi:[1,0,1]
	v_add_nc_u32_e32 v106, 0x180c, v111
	ds_load_2addr_b32 v[106:107], v106 offset1:1
	ds_load_2addr_b32 v[156:157], v151 offset1:7
	ds_load_2addr_b32 v[158:159], v110 offset0:192 offset1:224
	v_add_nc_u32_e32 v110, 4, v110
	s_wait_dscnt 0x3
	v_dual_lshlrev_b32 v168, 16, v154 :: v_dual_lshlrev_b32 v169, 8, v154
	v_perm_b32 v154, v154, v154, 0xc0c0003
	v_dual_lshlrev_b32 v172, 16, v155 :: v_dual_lshlrev_b32 v173, 8, v155
	v_perm_b32 v155, v155, v155, 0xc0c0003
	s_wait_dscnt 0x2
	v_dual_lshlrev_b32 v151, 16, v107 :: v_dual_lshlrev_b32 v160, 8, v107
	v_dual_lshlrev_b32 v174, 16, v106 :: v_dual_lshlrev_b32 v175, 8, v106
	s_wait_dscnt 0x1
	v_dual_lshlrev_b32 v176, 16, v157 :: v_dual_lshlrev_b32 v177, 8, v157
	s_delay_alu instid0(VALU_DEP_3)
	v_perm_b32 v151, v160, v151, 0x7030c0c
	v_perm_b32 v160, v167, v161, 0x7030c0c
	;; [unrolled: 1-line block ×5, first 2 shown]
	s_wait_dscnt 0x0
	v_pk_mul_f16 v167, v117, v158
	v_or_b32_e32 v152, v160, v152
	v_perm_b32 v160, v169, v168, 0x7030c0c
	v_or_b32_e32 v107, v151, v107
	v_pk_mul_f16 v117, v117, v159
	v_pk_mul_f16 v169, v118, v158
	s_delay_alu instid0(VALU_DEP_4) | instskip(SKIP_4) | instid1(VALU_DEP_4)
	v_or_b32_e32 v154, v160, v154
	v_perm_b32 v160, v171, v170, 0x7030c0c
	v_dot4_i32_iu8 v151, v107, v123, 0 neg_lo:[1,1,0]
	v_pk_mul_f16 v171, v121, v158
	v_pk_mul_f16 v158, v122, v158
	v_or_b32_e32 v153, v160, v153
	v_perm_b32 v160, v173, v172, 0x7030c0c
	v_dot4_i32_iu8 v151, v152, v124, v151 neg_lo:[1,1,0]
	s_delay_alu instid0(VALU_DEP_2) | instskip(SKIP_1) | instid1(VALU_DEP_3)
	v_or_b32_e32 v155, v160, v155
	v_perm_b32 v160, v175, v174, 0x7030c0c
	v_dot4_i32_iu8 v151, v154, v125, v151 neg_lo:[1,1,0]
	s_delay_alu instid0(VALU_DEP_2) | instskip(SKIP_1) | instid1(VALU_DEP_3)
	;; [unrolled: 4-line block ×3, first 2 shown]
	v_or_b32_e32 v157, v160, v157
	v_dot4_i32_iu8 v160, v107, v132, 0 neg_lo:[1,1,0]
	v_dot4_i32_iu8 v151, v155, v127, v151 neg_lo:[1,1,0]
	s_delay_alu instid0(VALU_DEP_2) | instskip(NEXT) | instid1(VALU_DEP_2)
	v_dot4_i32_iu8 v160, v152, v134, v160 neg_lo:[1,1,0]
	v_dot4_i32_iu8 v151, v106, v128, v151 neg_lo:[1,1,0]
	s_delay_alu instid0(VALU_DEP_2) | instskip(NEXT) | instid1(VALU_DEP_1)
	v_dot4_i32_iu8 v160, v154, v135, v160 neg_lo:[1,1,0]
	v_dot4_i32_iu8 v160, v153, v136, v160 neg_lo:[1,1,0]
	s_delay_alu instid0(VALU_DEP_1) | instskip(NEXT) | instid1(VALU_DEP_1)
	v_dot4_i32_iu8 v160, v155, v137, v160 neg_lo:[1,1,0]
	v_dot4_i32_iu8 v168, v106, v139, v160 neg_lo:[1,1,0]
	v_dot4_i32_iu8 v160, v107, v81, 0 neg_lo:[1,1,0]
	v_dot4_i32_iu8 v107, v107, v143, 0 neg_lo:[1,1,0]
	s_delay_alu instid0(VALU_DEP_2) | instskip(NEXT) | instid1(VALU_DEP_2)
	v_dot4_i32_iu8 v160, v152, v83, v160 neg_lo:[1,1,0]
	v_dot4_i32_iu8 v107, v152, v144, v107 neg_lo:[1,1,0]
	v_add_nc_u32_e32 v152, 0x1c04, v111
	s_delay_alu instid0(VALU_DEP_3) | instskip(NEXT) | instid1(VALU_DEP_3)
	v_dot4_i32_iu8 v160, v154, v129, v160 neg_lo:[1,1,0]
	v_dot4_i32_iu8 v107, v154, v145, v107 neg_lo:[1,1,0]
	v_add_nc_u32_e32 v154, 0x1c14, v111
	s_delay_alu instid0(VALU_DEP_3) | instskip(NEXT) | instid1(VALU_DEP_3)
	v_dot4_i32_iu8 v160, v153, v130, v160 neg_lo:[1,1,0]
	v_dot4_i32_iu8 v107, v153, v146, v107 neg_lo:[1,1,0]
	s_delay_alu instid0(VALU_DEP_2) | instskip(NEXT) | instid1(VALU_DEP_2)
	v_dot4_i32_iu8 v160, v155, v131, v160 neg_lo:[1,1,0]
	v_dot4_i32_iu8 v107, v155, v147, v107 neg_lo:[1,1,0]
	s_delay_alu instid0(VALU_DEP_2) | instskip(NEXT) | instid1(VALU_DEP_2)
	v_dot4_i32_iu8 v170, v106, v133, v160 neg_lo:[1,1,0]
	v_dot4_i32_iu8 v172, v106, v148, v107 neg_lo:[1,1,0]
	v_add_nc_u32_e32 v106, 0x1c0c, v111
	ds_load_2addr_b32 v[106:107], v106 offset1:1
	ds_load_2addr_b32 v[152:153], v152 offset1:1
	;; [unrolled: 1-line block ×3, first 2 shown]
	v_add_nc_u32_e32 v160, 0x1c00, v111
	v_add_nc_u32_e32 v111, 32, v111
	ds_load_2addr_b32 v[160:161], v160 offset1:7
	s_wait_dscnt 0x3
	v_dual_lshlrev_b32 v173, 16, v107 :: v_dual_lshlrev_b32 v174, 8, v107
	v_perm_b32 v107, v107, v107, 0xc0c0003
	s_wait_dscnt 0x2
	v_dual_lshlrev_b32 v175, 16, v152 :: v_dual_lshlrev_b32 v176, 8, v152
	v_perm_b32 v152, v152, v152, 0xc0c0003
	v_perm_b32 v173, v174, v173, 0x7030c0c
	s_wait_dscnt 0x0
	v_dual_lshlrev_b32 v177, 16, v154 :: v_dual_lshlrev_b32 v219, 8, v161
	v_dual_lshlrev_b32 v178, 8, v154 :: v_dual_lshlrev_b32 v179, 16, v153
	s_delay_alu instid0(VALU_DEP_3) | instskip(SKIP_2) | instid1(VALU_DEP_3)
	v_dual_lshlrev_b32 v180, 8, v153 :: v_dual_bitop2_b32 v173, v173, v107 bitop3:0x54
	v_dual_lshlrev_b32 v181, 16, v155 :: v_dual_lshlrev_b32 v182, 8, v155
	v_lshlrev_b32_e32 v183, 16, v106
	v_dot4_i32_iu8 v107, v173, v123, 0 neg_lo:[1,1,0]
	v_perm_b32 v123, v176, v175, 0x7030c0c
	v_dual_lshlrev_b32 v217, 8, v106 :: v_dual_lshlrev_b32 v218, 16, v161
	v_perm_b32 v106, v106, v106, 0xc0c0003
	v_dot4_i32_iu8 v151, v157, v140, v151 neg_lo:[1,1,0]
	s_delay_alu instid0(VALU_DEP_4) | instskip(SKIP_1) | instid1(VALU_DEP_2)
	v_or_b32_e32 v123, v123, v152
	v_perm_b32 v152, v154, v154, 0xc0c0003
	v_dot4_i32_iu8 v107, v123, v124, v107 neg_lo:[1,1,0]
	v_perm_b32 v124, v178, v177, 0x7030c0c
	s_delay_alu instid0(VALU_DEP_1) | instskip(SKIP_1) | instid1(VALU_DEP_2)
	v_or_b32_e32 v152, v124, v152
	v_perm_b32 v124, v180, v179, 0x7030c0c
	v_dot4_i32_iu8 v107, v152, v125, v107 neg_lo:[1,1,0]
	v_perm_b32 v125, v153, v153, 0xc0c0003
	s_delay_alu instid0(VALU_DEP_1) | instskip(SKIP_2) | instid1(VALU_DEP_3)
	v_or_b32_e32 v153, v124, v125
	v_perm_b32 v124, v182, v181, 0x7030c0c
	v_perm_b32 v125, v155, v155, 0xc0c0003
	v_dot4_i32_iu8 v107, v153, v126, v107 neg_lo:[1,1,0]
	v_cvt_f32_i32_e32 v126, v84
	s_delay_alu instid0(VALU_DEP_3) | instskip(SKIP_1) | instid1(VALU_DEP_2)
	v_or_b32_e32 v154, v124, v125
	v_perm_b32 v124, v217, v183, 0x7030c0c
	v_dot4_i32_iu8 v107, v154, v127, v107 neg_lo:[1,1,0]
	s_delay_alu instid0(VALU_DEP_2) | instskip(SKIP_1) | instid1(VALU_DEP_2)
	v_or_b32_e32 v155, v124, v106
	v_perm_b32 v124, v161, v161, 0xc0c0003
	v_dot4_i32_iu8 v106, v155, v128, v107 neg_lo:[1,1,0]
	v_perm_b32 v107, v219, v218, 0x7030c0c
	s_delay_alu instid0(VALU_DEP_1) | instskip(SKIP_2) | instid1(VALU_DEP_3)
	v_or_b32_e32 v128, v107, v124
	v_cvt_f32_f16_e32 v107, v117
	v_lshrrev_b32_e32 v117, 16, v117
	v_dot4_i32_iu8 v106, v128, v140, v106 neg_lo:[1,1,0]
	s_delay_alu instid0(VALU_DEP_2) | instskip(SKIP_1) | instid1(VALU_DEP_3)
	v_cvt_f32_f16_e32 v125, v117
	v_lshrrev_b32_e32 v117, 16, v119
	v_dot4_i32_iu8 v120, v82, v160, v106 neg_lo:[1,1,0]
	v_dot4_i32_iu8 v82, v82, v156, v151 neg_lo:[1,1,0]
	v_cvt_f32_f16_e32 v106, v119
	s_delay_alu instid0(VALU_DEP_4) | instskip(SKIP_3) | instid1(VALU_DEP_3)
	v_cvt_f32_f16_e32 v124, v117
	v_perm_b32 v117, v85, v85, 0x2010003
	v_cvt_f32_i32_e32 v127, v120
	v_cvt_f32_i32_e32 v82, v82
	v_dot4_i32_iu8 v84, v97, v117, v150 neg_lo:[1,1,0]
	v_dot4_i32_iu8 v85, v138, v117, v149 neg_lo:[1,1,0]
	s_delay_alu instid0(VALU_DEP_4) | instskip(NEXT) | instid1(VALU_DEP_3)
	v_pk_fma_f32 v[106:107], v[106:107], v[126:127], v[124:125]
	v_dot4_i32_iu8 v84, v96, v80, v84 neg_lo:[1,1,0]
	s_delay_alu instid0(VALU_DEP_3) | instskip(NEXT) | instid1(VALU_DEP_3)
	v_dot4_i32_iu8 v90, v90, v80, v85 neg_lo:[1,1,0]
	v_pk_add_f32 v[6:7], v[6:7], v[106:107]
	s_delay_alu instid0(VALU_DEP_3) | instskip(NEXT) | instid1(VALU_DEP_3)
	v_cvt_f32_i32_e32 v85, v84
	v_cvt_f32_i32_e32 v84, v90
	s_delay_alu instid0(VALU_DEP_1) | instskip(NEXT) | instid1(VALU_DEP_1)
	v_pk_fma_f32 v[84:85], v[92:93], v[84:85], v[94:95]
	v_pk_add_f32 v[28:29], v[28:29], v[84:85]
	v_dot4_i32_iu8 v84, v105, v117, v164 neg_lo:[1,1,0]
	v_dot4_i32_iu8 v85, v162, v117, v163 neg_lo:[1,1,0]
	s_delay_alu instid0(VALU_DEP_2) | instskip(NEXT) | instid1(VALU_DEP_2)
	v_dot4_i32_iu8 v84, v104, v80, v84 neg_lo:[1,1,0]
	v_dot4_i32_iu8 v90, v98, v80, v85 neg_lo:[1,1,0]
	v_fma_mix_f32 v98, v167, v82, v167 op_sel:[0,0,1] op_sel_hi:[1,0,1]
	v_dot4_i32_iu8 v82, v173, v132, 0 neg_lo:[1,1,0]
	s_delay_alu instid0(VALU_DEP_4) | instskip(NEXT) | instid1(VALU_DEP_4)
	v_cvt_f32_i32_e32 v85, v84
	v_cvt_f32_i32_e32 v84, v90
	s_delay_alu instid0(VALU_DEP_4) | instskip(NEXT) | instid1(VALU_DEP_4)
	v_pk_add_f32 v[8:9], v[8:9], v[98:99]
	v_dot4_i32_iu8 v82, v123, v134, v82 neg_lo:[1,1,0]
	s_delay_alu instid0(VALU_DEP_3) | instskip(NEXT) | instid1(VALU_DEP_2)
	v_pk_fma_f32 v[84:85], v[100:101], v[84:85], v[102:103]
	v_dot4_i32_iu8 v82, v152, v135, v82 neg_lo:[1,1,0]
	s_delay_alu instid0(VALU_DEP_2) | instskip(SKIP_1) | instid1(VALU_DEP_3)
	v_pk_add_f32 v[24:25], v[24:25], v[84:85]
	v_dot4_i32_iu8 v84, v109, v117, v165 neg_lo:[1,1,0]
	v_dot4_i32_iu8 v82, v153, v136, v82 neg_lo:[1,1,0]
	s_delay_alu instid0(VALU_DEP_2) | instskip(NEXT) | instid1(VALU_DEP_2)
	v_dot4_i32_iu8 v84, v108, v80, v84 neg_lo:[1,1,0]
	v_dot4_i32_iu8 v82, v154, v137, v82 neg_lo:[1,1,0]
	s_delay_alu instid0(VALU_DEP_2) | instskip(NEXT) | instid1(VALU_DEP_2)
	v_cvt_f32_i32_e32 v84, v84
	v_dot4_i32_iu8 v82, v155, v139, v82 neg_lo:[1,1,0]
	s_delay_alu instid0(VALU_DEP_2) | instskip(NEXT) | instid1(VALU_DEP_2)
	v_fma_mix_f32 v90, v166, v84, v166 op_sel:[0,0,1] op_sel_hi:[1,0,1]
	v_dot4_i32_iu8 v82, v128, v117, v82 neg_lo:[1,1,0]
	v_dot4_i32_iu8 v84, v157, v117, v168 neg_lo:[1,1,0]
	s_delay_alu instid0(VALU_DEP_3) | instskip(SKIP_1) | instid1(VALU_DEP_3)
	v_pk_add_f32 v[12:13], v[12:13], v[90:91]
	v_pk_mul_f16 v90, v118, v159
	v_dot4_i32_iu8 v92, v156, v80, v84 neg_lo:[1,1,0]
	v_dot4_i32_iu8 v80, v160, v80, v82 neg_lo:[1,1,0]
	v_cvt_f32_f16_e64 v84, v169
	s_delay_alu instid0(VALU_DEP_4) | instskip(SKIP_1) | instid1(VALU_DEP_4)
	v_lshrrev_b32_e32 v82, 16, v90
	v_cvt_f32_f16_e32 v85, v90
	v_cvt_f32_i32_e32 v93, v80
	v_dot4_i32_iu8 v80, v173, v81, 0 neg_lo:[1,1,0]
	v_cvt_f32_i32_e32 v92, v92
	v_cvt_f32_f16_e32 v91, v82
	v_lshrrev_b32_e32 v82, 16, v169
	v_dot4_i32_iu8 v81, v157, v87, v170 neg_lo:[1,1,0]
	v_dot4_i32_iu8 v80, v123, v83, v80 neg_lo:[1,1,0]
	s_delay_alu instid0(VALU_DEP_3) | instskip(SKIP_1) | instid1(VALU_DEP_3)
	v_cvt_f32_f16_e32 v90, v82
	v_pk_mul_f16 v82, v121, v159
	v_dot4_i32_iu8 v80, v152, v129, v80 neg_lo:[1,1,0]
	s_delay_alu instid0(VALU_DEP_3) | instskip(NEXT) | instid1(VALU_DEP_2)
	v_pk_fma_f32 v[84:85], v[84:85], v[92:93], v[90:91]
	v_dot4_i32_iu8 v80, v153, v130, v80 neg_lo:[1,1,0]
	s_delay_alu instid0(VALU_DEP_2) | instskip(SKIP_4) | instid1(VALU_DEP_4)
	v_pk_add_f32 v[4:5], v[4:5], v[84:85]
	v_dot4_i32_iu8 v84, v156, v86, v81 neg_lo:[1,1,0]
	v_cvt_f32_f16_e32 v81, v82
	v_lshrrev_b32_e32 v82, 16, v82
	v_dot4_i32_iu8 v80, v154, v131, v80 neg_lo:[1,1,0]
	v_cvt_f32_i32_e32 v84, v84
	s_delay_alu instid0(VALU_DEP_3) | instskip(NEXT) | instid1(VALU_DEP_3)
	v_cvt_f32_f16_e32 v83, v82
	v_dot4_i32_iu8 v80, v155, v133, v80 neg_lo:[1,1,0]
	v_lshrrev_b32_e32 v82, 16, v171
	s_delay_alu instid0(VALU_DEP_2) | instskip(NEXT) | instid1(VALU_DEP_2)
	v_dot4_i32_iu8 v80, v128, v87, v80 neg_lo:[1,1,0]
	v_cvt_f32_f16_e32 v82, v82
	s_delay_alu instid0(VALU_DEP_2) | instskip(SKIP_1) | instid1(VALU_DEP_2)
	v_dot4_i32_iu8 v85, v160, v86, v80 neg_lo:[1,1,0]
	v_cvt_f32_f16_e64 v80, v171
	v_cvt_f32_i32_e32 v85, v85
	s_delay_alu instid0(VALU_DEP_1) | instskip(SKIP_1) | instid1(VALU_DEP_2)
	v_pk_fma_f32 v[80:81], v[80:81], v[84:85], v[82:83]
	v_pk_mul_f16 v82, v122, v159
	v_pk_add_f32 v[2:3], v[2:3], v[80:81]
	v_dot4_i32_iu8 v80, v173, v143, 0 neg_lo:[1,1,0]
	v_dot4_i32_iu8 v81, v157, v89, v172 neg_lo:[1,1,0]
	s_delay_alu instid0(VALU_DEP_2) | instskip(NEXT) | instid1(VALU_DEP_2)
	v_dot4_i32_iu8 v80, v123, v144, v80 neg_lo:[1,1,0]
	v_dot4_i32_iu8 v84, v156, v88, v81 neg_lo:[1,1,0]
	v_cvt_f32_f16_e32 v81, v82
	v_lshrrev_b32_e32 v82, 16, v82
	s_delay_alu instid0(VALU_DEP_4) | instskip(NEXT) | instid1(VALU_DEP_4)
	v_dot4_i32_iu8 v80, v152, v145, v80 neg_lo:[1,1,0]
	v_cvt_f32_i32_e32 v84, v84
	s_delay_alu instid0(VALU_DEP_3) | instskip(SKIP_1) | instid1(VALU_DEP_4)
	v_cvt_f32_f16_e32 v83, v82
	v_lshrrev_b32_e32 v82, 16, v158
	v_dot4_i32_iu8 v80, v153, v146, v80 neg_lo:[1,1,0]
	s_delay_alu instid0(VALU_DEP_2) | instskip(NEXT) | instid1(VALU_DEP_2)
	v_cvt_f32_f16_e32 v82, v82
	v_dot4_i32_iu8 v80, v154, v147, v80 neg_lo:[1,1,0]
	s_delay_alu instid0(VALU_DEP_1) | instskip(NEXT) | instid1(VALU_DEP_1)
	v_dot4_i32_iu8 v80, v155, v148, v80 neg_lo:[1,1,0]
	v_dot4_i32_iu8 v80, v128, v89, v80 neg_lo:[1,1,0]
	s_delay_alu instid0(VALU_DEP_1) | instskip(SKIP_1) | instid1(VALU_DEP_2)
	v_dot4_i32_iu8 v85, v160, v88, v80 neg_lo:[1,1,0]
	v_cvt_f32_f16_e64 v80, v158
	v_cvt_f32_i32_e32 v85, v85
	s_delay_alu instid0(VALU_DEP_1) | instskip(NEXT) | instid1(VALU_DEP_1)
	v_pk_fma_f32 v[80:81], v[80:81], v[84:85], v[82:83]
	v_pk_add_f32 v[0:1], v[0:1], v[80:81]
	s_cbranch_scc1 .LBB164_12
; %bb.13:                               ;   in Loop: Header=BB164_7 Depth=1
	s_barrier_signal -1
	s_barrier_wait -1
	s_branch .LBB164_6
.LBB164_14:
	v_dual_mov_b32 v20, v21 :: v_dual_mov_b32 v22, v37
	s_mov_b32 s0, exec_lo
	v_cmpx_gt_u32_e64 s6, v41
	s_cbranch_execz .LBB164_3
.LBB164_15:
	v_mul_lo_u32 v36, v41, s12
	v_add_nc_u32_e32 v21, s14, v22
	s_delay_alu instid0(VALU_DEP_1)
	v_cmp_gt_u32_e32 vcc_lo, s12, v21
	s_and_saveexec_b32 s1, vcc_lo
	s_cbranch_execz .LBB164_17
; %bb.16:
	v_bfe_u32 v22, v34, 16, 1
	v_cmp_o_f32_e64 s0, v34, v34
	v_add_nc_u32_e32 v23, v21, v36
	s_delay_alu instid0(VALU_DEP_3) | instskip(NEXT) | instid1(VALU_DEP_1)
	v_add3_u32 v22, v34, v22, 0x7fff
	v_lshrrev_b32_e32 v22, 16, v22
	s_delay_alu instid0(VALU_DEP_1)
	v_cndmask_b32_e64 v22, 0x7fc0, v22, s0
	s_wait_kmcnt 0x0
	global_store_b16 v23, v22, s[8:9] scale_offset
.LBB164_17:
	s_wait_xcnt 0x0
	s_or_b32 exec_lo, exec_lo, s1
	v_add_nc_u32_e32 v22, 32, v21
	s_delay_alu instid0(VALU_DEP_1)
	v_cmp_gt_u32_e64 s0, s12, v22
	s_and_saveexec_b32 s2, s0
	s_cbranch_execz .LBB164_19
; %bb.18:
	v_bfe_u32 v23, v6, 16, 1
	v_cmp_o_f32_e64 s1, v6, v6
	s_delay_alu instid0(VALU_DEP_2) | instskip(NEXT) | instid1(VALU_DEP_1)
	v_add3_u32 v23, v6, v23, 0x7fff
	v_lshrrev_b32_e32 v23, 16, v23
	s_delay_alu instid0(VALU_DEP_1)
	v_cndmask_b32_e64 v6, 0x7fc0, v23, s1
	v_add_nc_u32_e32 v23, v22, v36
	s_wait_kmcnt 0x0
	global_store_b16 v23, v6, s[8:9] scale_offset
.LBB164_19:
	s_wait_xcnt 0x0
	s_or_b32 exec_lo, exec_lo, s2
	v_add_nc_u32_e32 v6, 64, v21
	s_delay_alu instid0(VALU_DEP_1)
	v_cmp_gt_u32_e64 s1, s12, v6
	s_and_saveexec_b32 s3, s1
	s_cbranch_execz .LBB164_21
; %bb.20:
	v_bfe_u32 v23, v32, 16, 1
	v_cmp_o_f32_e64 s2, v32, v32
	s_delay_alu instid0(VALU_DEP_2) | instskip(NEXT) | instid1(VALU_DEP_1)
	v_add3_u32 v23, v32, v23, 0x7fff
	v_dual_add_nc_u32 v32, v6, v36 :: v_dual_lshrrev_b32 v23, 16, v23
	s_delay_alu instid0(VALU_DEP_1)
	v_cndmask_b32_e64 v23, 0x7fc0, v23, s2
	s_wait_kmcnt 0x0
	global_store_b16 v32, v23, s[8:9] scale_offset
.LBB164_21:
	s_wait_xcnt 0x0
	s_or_b32 exec_lo, exec_lo, s3
	v_add_nc_u32_e32 v23, 0x60, v21
	s_delay_alu instid0(VALU_DEP_1)
	v_cmp_gt_u32_e64 s2, s12, v23
	s_and_saveexec_b32 s4, s2
	s_cbranch_execz .LBB164_23
; %bb.22:
	v_bfe_u32 v32, v30, 16, 1
	v_cmp_o_f32_e64 s3, v30, v30
	s_delay_alu instid0(VALU_DEP_2) | instskip(NEXT) | instid1(VALU_DEP_1)
	v_add3_u32 v32, v30, v32, 0x7fff
	v_lshrrev_b32_e32 v32, 16, v32
	s_delay_alu instid0(VALU_DEP_1)
	v_cndmask_b32_e64 v30, 0x7fc0, v32, s3
	v_add_nc_u32_e32 v32, v23, v36
	s_wait_kmcnt 0x0
	global_store_b16 v32, v30, s[8:9] scale_offset
.LBB164_23:
	s_wait_xcnt 0x0
	s_or_b32 exec_lo, exec_lo, s4
	v_add3_u32 v30, v20, s13, 8
	s_delay_alu instid0(VALU_DEP_1)
	v_cmp_gt_u32_e64 s3, s6, v30
	s_and_b32 exec_lo, exec_lo, s3
	s_cbranch_execz .LBB164_3
; %bb.24:
	v_mul_lo_u32 v30, v30, s12
	s_and_saveexec_b32 s4, vcc_lo
	s_cbranch_execnz .LBB164_64
; %bb.25:
	s_or_b32 exec_lo, exec_lo, s4
	s_and_saveexec_b32 s4, s0
	s_cbranch_execnz .LBB164_65
.LBB164_26:
	s_or_b32 exec_lo, exec_lo, s4
	s_and_saveexec_b32 s4, s1
	s_cbranch_execnz .LBB164_66
.LBB164_27:
	s_or_b32 exec_lo, exec_lo, s4
	s_and_saveexec_b32 s4, s2
	s_cbranch_execz .LBB164_29
.LBB164_28:
	v_bfe_u32 v28, v31, 16, 1
	v_cmp_o_f32_e64 s3, v31, v31
	v_add_nc_u32_e32 v30, v30, v23
	s_delay_alu instid0(VALU_DEP_3) | instskip(NEXT) | instid1(VALU_DEP_1)
	v_add3_u32 v28, v31, v28, 0x7fff
	v_lshrrev_b32_e32 v28, 16, v28
	s_delay_alu instid0(VALU_DEP_1)
	v_cndmask_b32_e64 v28, 0x7fc0, v28, s3
	s_wait_kmcnt 0x0
	global_store_b16 v30, v28, s[8:9] scale_offset
.LBB164_29:
	s_wait_xcnt 0x0
	s_or_b32 exec_lo, exec_lo, s4
	v_add3_u32 v28, v20, s13, 16
	s_delay_alu instid0(VALU_DEP_1)
	v_cmp_gt_u32_e64 s3, s6, v28
	s_and_b32 exec_lo, exec_lo, s3
	s_cbranch_execz .LBB164_3
; %bb.30:
	v_mul_lo_u32 v28, v28, s12
	s_and_saveexec_b32 s4, vcc_lo
	s_cbranch_execnz .LBB164_67
; %bb.31:
	s_or_b32 exec_lo, exec_lo, s4
	s_and_saveexec_b32 s4, s0
	s_cbranch_execnz .LBB164_68
.LBB164_32:
	s_or_b32 exec_lo, exec_lo, s4
	s_and_saveexec_b32 s4, s1
	s_cbranch_execnz .LBB164_69
.LBB164_33:
	s_or_b32 exec_lo, exec_lo, s4
	s_and_saveexec_b32 s4, s2
	s_cbranch_execz .LBB164_35
.LBB164_34:
	v_bfe_u32 v13, v11, 16, 1
	v_cmp_o_f32_e64 s3, v11, v11
	s_delay_alu instid0(VALU_DEP_2) | instskip(NEXT) | instid1(VALU_DEP_1)
	v_add3_u32 v13, v11, v13, 0x7fff
	v_lshrrev_b32_e32 v13, 16, v13
	s_delay_alu instid0(VALU_DEP_1)
	v_cndmask_b32_e64 v11, 0x7fc0, v13, s3
	v_add_nc_u32_e32 v13, v28, v23
	s_wait_kmcnt 0x0
	global_store_b16 v13, v11, s[8:9] scale_offset
.LBB164_35:
	s_wait_xcnt 0x0
	s_or_b32 exec_lo, exec_lo, s4
	v_add3_u32 v11, v20, s13, 24
	s_delay_alu instid0(VALU_DEP_1)
	v_cmp_gt_u32_e64 s3, s6, v11
	s_and_b32 exec_lo, exec_lo, s3
	s_cbranch_execz .LBB164_3
; %bb.36:
	v_mul_lo_u32 v11, v11, s12
	s_and_saveexec_b32 s4, vcc_lo
	s_cbranch_execnz .LBB164_70
; %bb.37:
	s_or_b32 exec_lo, exec_lo, s4
	s_and_saveexec_b32 s4, s0
	s_cbranch_execnz .LBB164_71
.LBB164_38:
	s_or_b32 exec_lo, exec_lo, s4
	s_and_saveexec_b32 s4, s1
	s_cbranch_execnz .LBB164_72
.LBB164_39:
	s_or_b32 exec_lo, exec_lo, s4
	s_and_saveexec_b32 s4, s2
	s_cbranch_execz .LBB164_41
.LBB164_40:
	v_bfe_u32 v13, v16, 16, 1
	v_cmp_o_f32_e64 s3, v16, v16
	v_add_nc_u32_e32 v11, v11, v23
	s_delay_alu instid0(VALU_DEP_3) | instskip(NEXT) | instid1(VALU_DEP_1)
	v_add3_u32 v13, v16, v13, 0x7fff
	v_lshrrev_b32_e32 v13, 16, v13
	s_delay_alu instid0(VALU_DEP_1)
	v_cndmask_b32_e64 v13, 0x7fc0, v13, s3
	s_wait_kmcnt 0x0
	global_store_b16 v11, v13, s[8:9] scale_offset
.LBB164_41:
	s_wait_xcnt 0x0
	s_or_b32 exec_lo, exec_lo, s4
	v_add3_u32 v11, v20, s13, 32
	s_delay_alu instid0(VALU_DEP_1)
	v_cmp_gt_u32_e64 s3, s6, v11
	s_and_b32 exec_lo, exec_lo, s3
	s_cbranch_execz .LBB164_3
; %bb.42:
	v_mul_lo_u32 v11, v11, s12
	s_and_saveexec_b32 s4, vcc_lo
	s_cbranch_execnz .LBB164_73
; %bb.43:
	s_or_b32 exec_lo, exec_lo, s4
	s_and_saveexec_b32 s4, s0
	s_cbranch_execnz .LBB164_74
.LBB164_44:
	s_or_b32 exec_lo, exec_lo, s4
	s_and_saveexec_b32 s4, s1
	s_cbranch_execnz .LBB164_75
.LBB164_45:
	s_or_b32 exec_lo, exec_lo, s4
	s_and_saveexec_b32 s4, s2
	s_cbranch_execz .LBB164_47
.LBB164_46:
	v_bfe_u32 v13, v17, 16, 1
	v_cmp_o_f32_e64 s3, v17, v17
	v_add_nc_u32_e32 v11, v11, v23
	s_delay_alu instid0(VALU_DEP_3) | instskip(NEXT) | instid1(VALU_DEP_1)
	v_add3_u32 v13, v17, v13, 0x7fff
	v_lshrrev_b32_e32 v13, 16, v13
	s_delay_alu instid0(VALU_DEP_1)
	v_cndmask_b32_e64 v13, 0x7fc0, v13, s3
	s_wait_kmcnt 0x0
	global_store_b16 v11, v13, s[8:9] scale_offset
.LBB164_47:
	s_wait_xcnt 0x0
	s_or_b32 exec_lo, exec_lo, s4
	v_add3_u32 v11, v20, s13, 40
	s_delay_alu instid0(VALU_DEP_1)
	v_cmp_gt_u32_e64 s3, s6, v11
	s_and_b32 exec_lo, exec_lo, s3
	s_cbranch_execz .LBB164_3
; %bb.48:
	v_mul_lo_u32 v11, v11, s12
	s_and_saveexec_b32 s4, vcc_lo
	s_cbranch_execnz .LBB164_76
; %bb.49:
	s_or_b32 exec_lo, exec_lo, s4
	s_and_saveexec_b32 s4, s0
	s_cbranch_execnz .LBB164_77
.LBB164_50:
	s_or_b32 exec_lo, exec_lo, s4
	s_and_saveexec_b32 s4, s1
	s_cbranch_execnz .LBB164_78
.LBB164_51:
	s_or_b32 exec_lo, exec_lo, s4
	s_and_saveexec_b32 s4, s2
	s_cbranch_execz .LBB164_53
.LBB164_52:
	v_bfe_u32 v10, v9, 16, 1
	v_cmp_o_f32_e64 s3, v9, v9
	s_delay_alu instid0(VALU_DEP_2) | instskip(NEXT) | instid1(VALU_DEP_1)
	v_add3_u32 v10, v9, v10, 0x7fff
	v_lshrrev_b32_e32 v10, 16, v10
	s_delay_alu instid0(VALU_DEP_1)
	v_cndmask_b32_e64 v9, 0x7fc0, v10, s3
	v_add_nc_u32_e32 v10, v11, v23
	s_wait_kmcnt 0x0
	global_store_b16 v10, v9, s[8:9] scale_offset
.LBB164_53:
	s_wait_xcnt 0x0
	s_or_b32 exec_lo, exec_lo, s4
	v_add3_u32 v9, v20, s13, 48
	s_delay_alu instid0(VALU_DEP_1)
	v_cmp_gt_u32_e64 s3, s6, v9
	s_and_b32 exec_lo, exec_lo, s3
	s_cbranch_execz .LBB164_3
; %bb.54:
	v_mul_lo_u32 v9, v9, s12
	s_and_saveexec_b32 s4, vcc_lo
	s_cbranch_execnz .LBB164_79
; %bb.55:
	s_or_b32 exec_lo, exec_lo, s4
	s_and_saveexec_b32 s4, s0
	s_cbranch_execnz .LBB164_80
.LBB164_56:
	s_or_b32 exec_lo, exec_lo, s4
	s_and_saveexec_b32 s4, s1
	s_cbranch_execnz .LBB164_81
.LBB164_57:
	s_or_b32 exec_lo, exec_lo, s4
	s_and_saveexec_b32 s4, s2
	s_cbranch_execz .LBB164_59
.LBB164_58:
	v_bfe_u32 v2, v0, 16, 1
	v_cmp_o_f32_e64 s3, v0, v0
	s_delay_alu instid0(VALU_DEP_2) | instskip(NEXT) | instid1(VALU_DEP_1)
	v_add3_u32 v2, v0, v2, 0x7fff
	v_lshrrev_b32_e32 v2, 16, v2
	s_delay_alu instid0(VALU_DEP_1)
	v_cndmask_b32_e64 v0, 0x7fc0, v2, s3
	v_add_nc_u32_e32 v2, v9, v23
	s_wait_kmcnt 0x0
	global_store_b16 v2, v0, s[8:9] scale_offset
.LBB164_59:
	s_wait_xcnt 0x0
	s_or_b32 exec_lo, exec_lo, s4
	v_add3_u32 v0, v20, s13, 56
	s_delay_alu instid0(VALU_DEP_1)
	v_cmp_gt_u32_e64 s3, s6, v0
	s_and_b32 exec_lo, exec_lo, s3
	s_cbranch_execz .LBB164_3
; %bb.60:
	v_mul_lo_u32 v0, v0, s12
	s_and_saveexec_b32 s3, vcc_lo
	s_cbranch_execnz .LBB164_82
; %bb.61:
	s_or_b32 exec_lo, exec_lo, s3
	s_and_saveexec_b32 s3, s0
	s_cbranch_execnz .LBB164_83
.LBB164_62:
	s_or_b32 exec_lo, exec_lo, s3
	s_and_saveexec_b32 s0, s1
	s_cbranch_execnz .LBB164_84
.LBB164_63:
	s_or_b32 exec_lo, exec_lo, s0
	s_delay_alu instid0(SALU_CYCLE_1)
	s_and_b32 exec_lo, exec_lo, s2
	s_cbranch_execz .LBB164_3
	s_branch .LBB164_85
.LBB164_64:
	v_bfe_u32 v32, v35, 16, 1
	v_cmp_o_f32_e64 s3, v35, v35
	s_delay_alu instid0(VALU_DEP_3) | instskip(NEXT) | instid1(VALU_DEP_3)
	v_add_nc_u32_e32 v34, v30, v21
	v_add3_u32 v32, v35, v32, 0x7fff
	s_delay_alu instid0(VALU_DEP_1) | instskip(NEXT) | instid1(VALU_DEP_1)
	v_lshrrev_b32_e32 v32, 16, v32
	v_cndmask_b32_e64 v32, 0x7fc0, v32, s3
	s_wait_kmcnt 0x0
	global_store_b16 v34, v32, s[8:9] scale_offset
	s_wait_xcnt 0x0
	s_or_b32 exec_lo, exec_lo, s4
	s_and_saveexec_b32 s4, s0
	s_cbranch_execz .LBB164_26
.LBB164_65:
	v_bfe_u32 v32, v28, 16, 1
	v_cmp_o_f32_e64 s3, v28, v28
	s_delay_alu instid0(VALU_DEP_2) | instskip(NEXT) | instid1(VALU_DEP_1)
	v_add3_u32 v32, v28, v32, 0x7fff
	v_lshrrev_b32_e32 v32, 16, v32
	s_delay_alu instid0(VALU_DEP_1)
	v_cndmask_b32_e64 v28, 0x7fc0, v32, s3
	v_add_nc_u32_e32 v32, v30, v22
	s_wait_kmcnt 0x0
	global_store_b16 v32, v28, s[8:9] scale_offset
	s_wait_xcnt 0x0
	s_or_b32 exec_lo, exec_lo, s4
	s_and_saveexec_b32 s4, s1
	s_cbranch_execz .LBB164_27
.LBB164_66:
	v_bfe_u32 v28, v33, 16, 1
	v_cmp_o_f32_e64 s3, v33, v33
	v_add_nc_u32_e32 v32, v30, v6
	s_delay_alu instid0(VALU_DEP_3) | instskip(NEXT) | instid1(VALU_DEP_1)
	v_add3_u32 v28, v33, v28, 0x7fff
	v_lshrrev_b32_e32 v28, 16, v28
	s_delay_alu instid0(VALU_DEP_1)
	v_cndmask_b32_e64 v28, 0x7fc0, v28, s3
	s_wait_kmcnt 0x0
	global_store_b16 v32, v28, s[8:9] scale_offset
	s_wait_xcnt 0x0
	s_or_b32 exec_lo, exec_lo, s4
	s_and_saveexec_b32 s4, s2
	s_cbranch_execnz .LBB164_28
	s_branch .LBB164_29
.LBB164_67:
	v_bfe_u32 v30, v26, 16, 1
	v_cmp_o_f32_e64 s3, v26, v26
	s_delay_alu instid0(VALU_DEP_2) | instskip(NEXT) | instid1(VALU_DEP_1)
	v_add3_u32 v30, v26, v30, 0x7fff
	v_lshrrev_b32_e32 v30, 16, v30
	s_delay_alu instid0(VALU_DEP_1)
	v_cndmask_b32_e64 v26, 0x7fc0, v30, s3
	v_add_nc_u32_e32 v30, v28, v21
	s_wait_kmcnt 0x0
	global_store_b16 v30, v26, s[8:9] scale_offset
	s_wait_xcnt 0x0
	s_or_b32 exec_lo, exec_lo, s4
	s_and_saveexec_b32 s4, s0
	s_cbranch_execz .LBB164_32
.LBB164_68:
	v_bfe_u32 v26, v29, 16, 1
	v_cmp_o_f32_e64 s3, v29, v29
	s_delay_alu instid0(VALU_DEP_2) | instskip(NEXT) | instid1(VALU_DEP_4)
	v_add3_u32 v26, v29, v26, 0x7fff
	v_add_nc_u32_e32 v29, v28, v22
	s_delay_alu instid0(VALU_DEP_2) | instskip(NEXT) | instid1(VALU_DEP_1)
	v_lshrrev_b32_e32 v26, 16, v26
	v_cndmask_b32_e64 v26, 0x7fc0, v26, s3
	s_wait_kmcnt 0x0
	global_store_b16 v29, v26, s[8:9] scale_offset
	s_wait_xcnt 0x0
	s_or_b32 exec_lo, exec_lo, s4
	s_and_saveexec_b32 s4, s1
	s_cbranch_execz .LBB164_33
.LBB164_69:
	v_bfe_u32 v26, v13, 16, 1
	v_cmp_o_f32_e64 s3, v13, v13
	s_delay_alu instid0(VALU_DEP_2) | instskip(NEXT) | instid1(VALU_DEP_1)
	v_add3_u32 v26, v13, v26, 0x7fff
	v_lshrrev_b32_e32 v26, 16, v26
	s_delay_alu instid0(VALU_DEP_1)
	v_cndmask_b32_e64 v13, 0x7fc0, v26, s3
	v_add_nc_u32_e32 v26, v28, v6
	s_wait_kmcnt 0x0
	global_store_b16 v26, v13, s[8:9] scale_offset
	s_wait_xcnt 0x0
	s_or_b32 exec_lo, exec_lo, s4
	s_and_saveexec_b32 s4, s2
	s_cbranch_execnz .LBB164_34
	s_branch .LBB164_35
.LBB164_70:
	v_bfe_u32 v13, v27, 16, 1
	v_cmp_o_f32_e64 s3, v27, v27
	s_delay_alu instid0(VALU_DEP_3) | instskip(NEXT) | instid1(VALU_DEP_3)
	v_add_nc_u32_e32 v26, v11, v21
	v_add3_u32 v13, v27, v13, 0x7fff
	s_delay_alu instid0(VALU_DEP_1) | instskip(NEXT) | instid1(VALU_DEP_1)
	v_lshrrev_b32_e32 v13, 16, v13
	v_cndmask_b32_e64 v13, 0x7fc0, v13, s3
	s_wait_kmcnt 0x0
	global_store_b16 v26, v13, s[8:9] scale_offset
	s_wait_xcnt 0x0
	s_or_b32 exec_lo, exec_lo, s4
	s_and_saveexec_b32 s4, s0
	s_cbranch_execz .LBB164_38
.LBB164_71:
	v_bfe_u32 v13, v24, 16, 1
	v_cmp_o_f32_e64 s3, v24, v24
	s_delay_alu instid0(VALU_DEP_2) | instskip(NEXT) | instid1(VALU_DEP_1)
	v_add3_u32 v13, v24, v13, 0x7fff
	v_dual_add_nc_u32 v24, v11, v22 :: v_dual_lshrrev_b32 v13, 16, v13
	s_delay_alu instid0(VALU_DEP_1)
	v_cndmask_b32_e64 v13, 0x7fc0, v13, s3
	s_wait_kmcnt 0x0
	global_store_b16 v24, v13, s[8:9] scale_offset
	s_wait_xcnt 0x0
	s_or_b32 exec_lo, exec_lo, s4
	s_and_saveexec_b32 s4, s1
	s_cbranch_execz .LBB164_39
.LBB164_72:
	v_bfe_u32 v13, v18, 16, 1
	v_cmp_o_f32_e64 s3, v18, v18
	s_delay_alu instid0(VALU_DEP_2) | instskip(NEXT) | instid1(VALU_DEP_1)
	v_add3_u32 v13, v18, v13, 0x7fff
	v_dual_add_nc_u32 v18, v11, v6 :: v_dual_lshrrev_b32 v13, 16, v13
	s_delay_alu instid0(VALU_DEP_1)
	v_cndmask_b32_e64 v13, 0x7fc0, v13, s3
	s_wait_kmcnt 0x0
	global_store_b16 v18, v13, s[8:9] scale_offset
	s_wait_xcnt 0x0
	s_or_b32 exec_lo, exec_lo, s4
	s_and_saveexec_b32 s4, s2
	s_cbranch_execnz .LBB164_40
	s_branch .LBB164_41
.LBB164_73:
	v_bfe_u32 v13, v14, 16, 1
	v_cmp_o_f32_e64 s3, v14, v14
	s_delay_alu instid0(VALU_DEP_2) | instskip(NEXT) | instid1(VALU_DEP_4)
	v_add3_u32 v13, v14, v13, 0x7fff
	v_add_nc_u32_e32 v14, v11, v21
	s_delay_alu instid0(VALU_DEP_2) | instskip(NEXT) | instid1(VALU_DEP_1)
	v_lshrrev_b32_e32 v13, 16, v13
	v_cndmask_b32_e64 v13, 0x7fc0, v13, s3
	s_wait_kmcnt 0x0
	global_store_b16 v14, v13, s[8:9] scale_offset
	s_wait_xcnt 0x0
	s_or_b32 exec_lo, exec_lo, s4
	s_and_saveexec_b32 s4, s0
	s_cbranch_execz .LBB164_44
.LBB164_74:
	v_bfe_u32 v13, v25, 16, 1
	v_cmp_o_f32_e64 s3, v25, v25
	s_delay_alu instid0(VALU_DEP_3) | instskip(NEXT) | instid1(VALU_DEP_3)
	v_add_nc_u32_e32 v14, v11, v22
	v_add3_u32 v13, v25, v13, 0x7fff
	s_delay_alu instid0(VALU_DEP_1) | instskip(NEXT) | instid1(VALU_DEP_1)
	v_lshrrev_b32_e32 v13, 16, v13
	v_cndmask_b32_e64 v13, 0x7fc0, v13, s3
	s_wait_kmcnt 0x0
	global_store_b16 v14, v13, s[8:9] scale_offset
	s_wait_xcnt 0x0
	s_or_b32 exec_lo, exec_lo, s4
	s_and_saveexec_b32 s4, s1
	s_cbranch_execz .LBB164_45
.LBB164_75:
	v_bfe_u32 v13, v19, 16, 1
	v_cmp_o_f32_e64 s3, v19, v19
	v_add_nc_u32_e32 v14, v11, v6
	s_delay_alu instid0(VALU_DEP_3) | instskip(NEXT) | instid1(VALU_DEP_1)
	v_add3_u32 v13, v19, v13, 0x7fff
	v_lshrrev_b32_e32 v13, 16, v13
	s_delay_alu instid0(VALU_DEP_1)
	v_cndmask_b32_e64 v13, 0x7fc0, v13, s3
	s_wait_kmcnt 0x0
	global_store_b16 v14, v13, s[8:9] scale_offset
	s_wait_xcnt 0x0
	s_or_b32 exec_lo, exec_lo, s4
	s_and_saveexec_b32 s4, s2
	s_cbranch_execnz .LBB164_46
	s_branch .LBB164_47
.LBB164_76:
	v_bfe_u32 v13, v15, 16, 1
	v_cmp_o_f32_e64 s3, v15, v15
	s_delay_alu instid0(VALU_DEP_3) | instskip(NEXT) | instid1(VALU_DEP_3)
	v_add_nc_u32_e32 v14, v11, v21
	v_add3_u32 v13, v15, v13, 0x7fff
	s_delay_alu instid0(VALU_DEP_1) | instskip(NEXT) | instid1(VALU_DEP_1)
	v_lshrrev_b32_e32 v13, 16, v13
	v_cndmask_b32_e64 v13, 0x7fc0, v13, s3
	s_wait_kmcnt 0x0
	global_store_b16 v14, v13, s[8:9] scale_offset
	s_wait_xcnt 0x0
	s_or_b32 exec_lo, exec_lo, s4
	s_and_saveexec_b32 s4, s0
	s_cbranch_execz .LBB164_50
.LBB164_77:
	v_bfe_u32 v13, v12, 16, 1
	v_cmp_o_f32_e64 s3, v12, v12
	s_delay_alu instid0(VALU_DEP_2) | instskip(NEXT) | instid1(VALU_DEP_1)
	v_add3_u32 v13, v12, v13, 0x7fff
	v_lshrrev_b32_e32 v13, 16, v13
	s_delay_alu instid0(VALU_DEP_1)
	v_cndmask_b32_e64 v12, 0x7fc0, v13, s3
	v_add_nc_u32_e32 v13, v11, v22
	s_wait_kmcnt 0x0
	global_store_b16 v13, v12, s[8:9] scale_offset
	s_wait_xcnt 0x0
	s_or_b32 exec_lo, exec_lo, s4
	s_and_saveexec_b32 s4, s1
	s_cbranch_execz .LBB164_51
.LBB164_78:
	v_bfe_u32 v12, v10, 16, 1
	v_cmp_o_f32_e64 s3, v10, v10
	s_delay_alu instid0(VALU_DEP_2) | instskip(NEXT) | instid1(VALU_DEP_1)
	v_add3_u32 v12, v10, v12, 0x7fff
	v_lshrrev_b32_e32 v12, 16, v12
	s_delay_alu instid0(VALU_DEP_1)
	v_cndmask_b32_e64 v10, 0x7fc0, v12, s3
	v_add_nc_u32_e32 v12, v11, v6
	s_wait_kmcnt 0x0
	global_store_b16 v12, v10, s[8:9] scale_offset
	s_wait_xcnt 0x0
	s_or_b32 exec_lo, exec_lo, s4
	s_and_saveexec_b32 s4, s2
	s_cbranch_execnz .LBB164_52
	s_branch .LBB164_53
.LBB164_79:
	v_bfe_u32 v10, v8, 16, 1
	v_cmp_o_f32_e64 s3, v8, v8
	s_delay_alu instid0(VALU_DEP_2) | instskip(NEXT) | instid1(VALU_DEP_1)
	v_add3_u32 v10, v8, v10, 0x7fff
	v_lshrrev_b32_e32 v10, 16, v10
	s_delay_alu instid0(VALU_DEP_1)
	v_cndmask_b32_e64 v8, 0x7fc0, v10, s3
	v_add_nc_u32_e32 v10, v9, v21
	s_wait_kmcnt 0x0
	global_store_b16 v10, v8, s[8:9] scale_offset
	s_wait_xcnt 0x0
	s_or_b32 exec_lo, exec_lo, s4
	s_and_saveexec_b32 s4, s0
	s_cbranch_execz .LBB164_56
.LBB164_80:
	v_bfe_u32 v8, v4, 16, 1
	v_cmp_o_f32_e64 s3, v4, v4
	s_delay_alu instid0(VALU_DEP_2) | instskip(NEXT) | instid1(VALU_DEP_1)
	v_add3_u32 v8, v4, v8, 0x7fff
	v_lshrrev_b32_e32 v8, 16, v8
	s_delay_alu instid0(VALU_DEP_1)
	v_cndmask_b32_e64 v4, 0x7fc0, v8, s3
	v_add_nc_u32_e32 v8, v9, v22
	s_wait_kmcnt 0x0
	global_store_b16 v8, v4, s[8:9] scale_offset
	s_wait_xcnt 0x0
	s_or_b32 exec_lo, exec_lo, s4
	s_and_saveexec_b32 s4, s1
	s_cbranch_execz .LBB164_57
.LBB164_81:
	v_bfe_u32 v4, v2, 16, 1
	v_cmp_o_f32_e64 s3, v2, v2
	s_delay_alu instid0(VALU_DEP_2) | instskip(NEXT) | instid1(VALU_DEP_1)
	v_add3_u32 v4, v2, v4, 0x7fff
	v_lshrrev_b32_e32 v4, 16, v4
	s_delay_alu instid0(VALU_DEP_1)
	v_cndmask_b32_e64 v2, 0x7fc0, v4, s3
	v_add_nc_u32_e32 v4, v9, v6
	s_wait_kmcnt 0x0
	global_store_b16 v4, v2, s[8:9] scale_offset
	s_wait_xcnt 0x0
	s_or_b32 exec_lo, exec_lo, s4
	s_and_saveexec_b32 s4, s2
	s_cbranch_execnz .LBB164_58
	s_branch .LBB164_59
.LBB164_82:
	v_bfe_u32 v2, v7, 16, 1
	v_cmp_o_f32_e32 vcc_lo, v7, v7
	s_delay_alu instid0(VALU_DEP_3) | instskip(NEXT) | instid1(VALU_DEP_3)
	v_add_nc_u32_e32 v4, v0, v21
	v_add3_u32 v2, v7, v2, 0x7fff
	s_delay_alu instid0(VALU_DEP_1) | instskip(NEXT) | instid1(VALU_DEP_1)
	v_lshrrev_b32_e32 v2, 16, v2
	v_cndmask_b32_e32 v2, 0x7fc0, v2, vcc_lo
	s_wait_kmcnt 0x0
	global_store_b16 v4, v2, s[8:9] scale_offset
	s_wait_xcnt 0x0
	s_or_b32 exec_lo, exec_lo, s3
	s_and_saveexec_b32 s3, s0
	s_cbranch_execz .LBB164_62
.LBB164_83:
	v_bfe_u32 v2, v5, 16, 1
	v_cmp_o_f32_e32 vcc_lo, v5, v5
	s_delay_alu instid0(VALU_DEP_3) | instskip(NEXT) | instid1(VALU_DEP_3)
	v_add_nc_u32_e32 v4, v0, v22
	v_add3_u32 v2, v5, v2, 0x7fff
	s_delay_alu instid0(VALU_DEP_1) | instskip(NEXT) | instid1(VALU_DEP_1)
	v_lshrrev_b32_e32 v2, 16, v2
	v_cndmask_b32_e32 v2, 0x7fc0, v2, vcc_lo
	s_wait_kmcnt 0x0
	global_store_b16 v4, v2, s[8:9] scale_offset
	s_wait_xcnt 0x0
	s_or_b32 exec_lo, exec_lo, s3
	s_and_saveexec_b32 s0, s1
	s_cbranch_execz .LBB164_63
.LBB164_84:
	v_bfe_u32 v2, v3, 16, 1
	v_cmp_o_f32_e32 vcc_lo, v3, v3
	s_delay_alu instid0(VALU_DEP_2) | instskip(SKIP_1) | instid1(VALU_DEP_2)
	v_add3_u32 v2, v3, v2, 0x7fff
	v_add_nc_u32_e32 v3, v0, v6
	v_lshrrev_b32_e32 v2, 16, v2
	s_delay_alu instid0(VALU_DEP_1) | instskip(SKIP_4) | instid1(SALU_CYCLE_1)
	v_cndmask_b32_e32 v2, 0x7fc0, v2, vcc_lo
	s_wait_kmcnt 0x0
	global_store_b16 v3, v2, s[8:9] scale_offset
	s_wait_xcnt 0x0
	s_or_b32 exec_lo, exec_lo, s0
	s_and_b32 exec_lo, exec_lo, s2
	s_cbranch_execz .LBB164_3
.LBB164_85:
	v_bfe_u32 v2, v1, 16, 1
	v_cmp_o_f32_e32 vcc_lo, v1, v1
	v_add_nc_u32_e32 v0, v0, v23
	s_delay_alu instid0(VALU_DEP_3) | instskip(NEXT) | instid1(VALU_DEP_1)
	v_add3_u32 v2, v1, v2, 0x7fff
	v_lshrrev_b32_e32 v2, 16, v2
	s_delay_alu instid0(VALU_DEP_1)
	v_cndmask_b32_e32 v1, 0x7fc0, v2, vcc_lo
	s_wait_kmcnt 0x0
	global_store_b16 v0, v1, s[8:9] scale_offset
	s_sendmsg sendmsg(MSG_DEALLOC_VGPRS)
	s_endpgm
	.section	.rodata,"a",@progbits
	.p2align	6, 0x0
	.amdhsa_kernel _ZL12mul_mat_q5_1IN3c108BFloat16ELb1EEvPKvS3_PT_iiiii
		.amdhsa_group_segment_fixed_size 46720
		.amdhsa_private_segment_fixed_size 0
		.amdhsa_kernarg_size 44
		.amdhsa_user_sgpr_count 2
		.amdhsa_user_sgpr_dispatch_ptr 0
		.amdhsa_user_sgpr_queue_ptr 0
		.amdhsa_user_sgpr_kernarg_segment_ptr 1
		.amdhsa_user_sgpr_dispatch_id 0
		.amdhsa_user_sgpr_kernarg_preload_length 0
		.amdhsa_user_sgpr_kernarg_preload_offset 0
		.amdhsa_user_sgpr_private_segment_size 0
		.amdhsa_wavefront_size32 1
		.amdhsa_uses_dynamic_stack 0
		.amdhsa_enable_private_segment 0
		.amdhsa_system_sgpr_workgroup_id_x 1
		.amdhsa_system_sgpr_workgroup_id_y 1
		.amdhsa_system_sgpr_workgroup_id_z 0
		.amdhsa_system_sgpr_workgroup_info 0
		.amdhsa_system_vgpr_workitem_id 1
		.amdhsa_next_free_vgpr 339
		.amdhsa_next_free_sgpr 17
		.amdhsa_named_barrier_count 0
		.amdhsa_reserve_vcc 1
		.amdhsa_float_round_mode_32 0
		.amdhsa_float_round_mode_16_64 0
		.amdhsa_float_denorm_mode_32 3
		.amdhsa_float_denorm_mode_16_64 3
		.amdhsa_fp16_overflow 0
		.amdhsa_memory_ordered 1
		.amdhsa_forward_progress 1
		.amdhsa_inst_pref_size 231
		.amdhsa_round_robin_scheduling 0
		.amdhsa_exception_fp_ieee_invalid_op 0
		.amdhsa_exception_fp_denorm_src 0
		.amdhsa_exception_fp_ieee_div_zero 0
		.amdhsa_exception_fp_ieee_overflow 0
		.amdhsa_exception_fp_ieee_underflow 0
		.amdhsa_exception_fp_ieee_inexact 0
		.amdhsa_exception_int_div_zero 0
	.end_amdhsa_kernel
	.section	.text._ZL12mul_mat_q5_1IN3c108BFloat16ELb1EEvPKvS3_PT_iiiii,"axG",@progbits,_ZL12mul_mat_q5_1IN3c108BFloat16ELb1EEvPKvS3_PT_iiiii,comdat
.Lfunc_end164:
	.size	_ZL12mul_mat_q5_1IN3c108BFloat16ELb1EEvPKvS3_PT_iiiii, .Lfunc_end164-_ZL12mul_mat_q5_1IN3c108BFloat16ELb1EEvPKvS3_PT_iiiii
                                        ; -- End function
	.set _ZL12mul_mat_q5_1IN3c108BFloat16ELb1EEvPKvS3_PT_iiiii.num_vgpr, 339
	.set _ZL12mul_mat_q5_1IN3c108BFloat16ELb1EEvPKvS3_PT_iiiii.num_agpr, 0
	.set _ZL12mul_mat_q5_1IN3c108BFloat16ELb1EEvPKvS3_PT_iiiii.numbered_sgpr, 17
	.set _ZL12mul_mat_q5_1IN3c108BFloat16ELb1EEvPKvS3_PT_iiiii.num_named_barrier, 0
	.set _ZL12mul_mat_q5_1IN3c108BFloat16ELb1EEvPKvS3_PT_iiiii.private_seg_size, 0
	.set _ZL12mul_mat_q5_1IN3c108BFloat16ELb1EEvPKvS3_PT_iiiii.uses_vcc, 1
	.set _ZL12mul_mat_q5_1IN3c108BFloat16ELb1EEvPKvS3_PT_iiiii.uses_flat_scratch, 0
	.set _ZL12mul_mat_q5_1IN3c108BFloat16ELb1EEvPKvS3_PT_iiiii.has_dyn_sized_stack, 0
	.set _ZL12mul_mat_q5_1IN3c108BFloat16ELb1EEvPKvS3_PT_iiiii.has_recursion, 0
	.set _ZL12mul_mat_q5_1IN3c108BFloat16ELb1EEvPKvS3_PT_iiiii.has_indirect_call, 0
	.section	.AMDGPU.csdata,"",@progbits
; Kernel info:
; codeLenInByte = 29444
; TotalNumSgprs: 19
; NumVgprs: 339
; ScratchSize: 0
; MemoryBound: 0
; FloatMode: 240
; IeeeMode: 1
; LDSByteSize: 46720 bytes/workgroup (compile time only)
; SGPRBlocks: 0
; VGPRBlocks: 21
; NumSGPRsForWavesPerEU: 19
; NumVGPRsForWavesPerEU: 339
; NamedBarCnt: 0
; Occupancy: 2
; WaveLimiterHint : 0
; COMPUTE_PGM_RSRC2:SCRATCH_EN: 0
; COMPUTE_PGM_RSRC2:USER_SGPR: 2
; COMPUTE_PGM_RSRC2:TRAP_HANDLER: 0
; COMPUTE_PGM_RSRC2:TGID_X_EN: 1
; COMPUTE_PGM_RSRC2:TGID_Y_EN: 1
; COMPUTE_PGM_RSRC2:TGID_Z_EN: 0
; COMPUTE_PGM_RSRC2:TIDIG_COMP_CNT: 1
	.section	.text._ZL12mul_mat_q8_0IN3c108BFloat16ELb0EEvPKvS3_PT_iiiii,"axG",@progbits,_ZL12mul_mat_q8_0IN3c108BFloat16ELb0EEvPKvS3_PT_iiiii,comdat
	.globl	_ZL12mul_mat_q8_0IN3c108BFloat16ELb0EEvPKvS3_PT_iiiii ; -- Begin function _ZL12mul_mat_q8_0IN3c108BFloat16ELb0EEvPKvS3_PT_iiiii
	.p2align	8
	.type	_ZL12mul_mat_q8_0IN3c108BFloat16ELb0EEvPKvS3_PT_iiiii,@function
_ZL12mul_mat_q8_0IN3c108BFloat16ELb0EEvPKvS3_PT_iiiii: ; @_ZL12mul_mat_q8_0IN3c108BFloat16ELb0EEvPKvS3_PT_iiiii
; %bb.0:
	s_clause 0x1
	s_load_b32 s10, s[0:1], 0x18
	s_load_b96 s[4:6], s[0:1], 0x20
	s_bfe_u32 s2, ttmp6, 0x4000c
	s_bfe_u32 s7, ttmp6, 0x40010
	s_add_co_i32 s2, s2, 1
	s_and_b32 s3, ttmp6, 15
	s_mul_i32 s2, ttmp9, s2
	s_add_co_i32 s7, s7, 1
	s_add_co_i32 s3, s3, s2
	s_mul_i32 s2, ttmp7, s7
	s_bfe_u32 s7, ttmp6, 0x40004
	s_getreg_b32 s8, hwreg(HW_REG_IB_STS2, 6, 4)
	s_add_co_i32 s7, s7, s2
	s_cmp_eq_u32 s8, 0
	v_bfe_u32 v35, v0, 10, 10
	s_cselect_b32 s7, ttmp7, s7
	v_and_b32_e32 v41, 0x3ff, v0
	s_cselect_b32 s2, ttmp9, s3
	s_lshl_b32 s7, s7, 6
	s_mov_b32 s3, 0
	s_wait_kmcnt 0x0
	s_cmp_gt_i32 s10, 31
	s_cbranch_scc1 .LBB165_2
; %bb.1:
	v_bfe_u32 v1, v0, 10, 10
	v_and_b32_e32 v2, 0x3ff, v0
	s_delay_alu instid0(VALU_DEP_2)
	v_add_nc_u32_e32 v47, s7, v1
	s_branch .LBB165_3
.LBB165_2:
	s_mov_b32 s3, -1
                                        ; implicit-def: $vgpr1
                                        ; implicit-def: $vgpr2
                                        ; implicit-def: $vgpr47
.LBB165_3:
	s_load_b64 s[8:9], s[0:1], 0x10
	v_dual_mov_b32 v9, 0 :: v_dual_mov_b32 v8, 0
	v_dual_mov_b32 v17, 0 :: v_dual_mov_b32 v16, 0
	;; [unrolled: 1-line block ×16, first 2 shown]
	s_and_not1_b32 vcc_lo, exec_lo, s3
	s_lshl_b32 s14, s2, 7
	s_cbranch_vccnz .LBB165_9
; %bb.4:
	v_dual_add_nc_u32 v47, s7, v35 :: v_dual_mov_b32 v37, 0
	s_add_co_i32 s12, s4, -1
	v_bfe_u32 v34, v0, 3, 7
	v_cvt_f64_i32_e32 v[2:3], s12
	s_delay_alu instid0(VALU_DEP_3) | instskip(SKIP_3) | instid1(VALU_DEP_4)
	v_dual_add_nc_u32 v14, 40, v47 :: v_dual_add_nc_u32 v16, 48, v47
	v_cvt_f64_u32_e32 v[4:5], v47
	v_dual_add_nc_u32 v1, 8, v47 :: v_dual_add_nc_u32 v8, 16, v47
	v_dual_add_nc_u32 v10, 24, v47 :: v_dual_add_nc_u32 v12, 32, v47
	v_cvt_f64_u32_e32 v[16:17], v16
	s_delay_alu instid0(VALU_DEP_3)
	v_cvt_f64_u32_e32 v[6:7], v1
	v_dual_add_nc_u32 v1, 56, v47 :: v_dual_lshlrev_b32 v20, 2, v41
	v_cvt_f64_u32_e32 v[8:9], v8
	v_cvt_f64_u32_e32 v[10:11], v10
	;; [unrolled: 1-line block ×5, first 2 shown]
	v_dual_add_nc_u32 v27, 56, v35 :: v_dual_bitop2_b32 v40, 3, v0 bitop3:0x40
	v_dual_lshlrev_b32 v28, 3, v35 :: v_dual_bitop2_b32 v30, 31, v0 bitop3:0x40
	v_bfe_u32 v29, v0, 2, 8
	v_dual_add_nc_u32 v21, 8, v35 :: v_dual_add_nc_u32 v22, 16, v35
	v_dual_add_nc_u32 v23, 24, v35 :: v_dual_add_nc_u32 v24, 32, v35
	;; [unrolled: 1-line block ×3, first 2 shown]
	s_ashr_i32 s11, s10, 31
	s_ashr_i32 s17, s5, 31
	s_lshr_b32 s11, s11, 27
	s_lshr_b32 s17, s17, 27
	s_add_co_i32 s10, s10, s11
	v_and_b32_e32 v36, 28, v20
	s_add_co_i32 s11, s5, s17
	v_min_num_f64_e32 v[4:5], v[4:5], v[2:3]
	s_ashr_i32 s5, s10, 5
	s_ashr_i32 s20, s11, 5
	v_mul_lo_u32 v46, s5, v35
	v_dual_min_num_f64 v[0:1], v[16:17], v[2:3] :: v_dual_lshlrev_b32 v53, 7, v21
	v_dual_min_num_f64 v[6:7], v[6:7], v[2:3] :: v_dual_add_nc_u32 v16, v29, v28
	v_dual_min_num_f64 v[8:9], v[8:9], v[2:3] :: v_dual_lshlrev_b32 v59, 7, v24
	v_min_num_f64_e32 v[10:11], v[10:11], v[2:3]
	v_min_num_f64_e32 v[12:13], v[12:13], v[2:3]
	v_dual_min_num_f64 v[14:15], v[14:15], v[2:3] :: v_dual_lshlrev_b32 v61, 7, v25
	v_dual_min_num_f64 v[2:3], v[18:19], v[2:3] :: v_dual_lshlrev_b32 v18, 2, v40
	s_lshl_b32 s17, s5, 3
	v_dual_lshlrev_b32 v49, 7, v35 :: v_dual_lshlrev_b32 v55, 7, v22
	v_lshl_or_b32 v19, v30, 2, 0x4200
	s_wait_xcnt 0x0
	s_load_b128 s[0:3], s[0:1], 0x0
	v_add_nc_u16 v17, v29, v28
	v_mul_lo_u32 v72, s5, v16
	v_dual_lshlrev_b32 v57, 7, v23 :: v_dual_lshlrev_b32 v63, 7, v26
	v_mad_u32_u24 v51, 0x84, v35, v20
	s_mul_i32 s10, s5, s14
	s_movk_i32 s13, 0x1080
	s_movk_i32 s15, 0x2100
	;; [unrolled: 1-line block ×3, first 2 shown]
	v_dual_lshlrev_b32 v128, 4, v22 :: v_dual_lshlrev_b32 v129, 4, v23
	v_cvt_i32_f64_e32 v4, v[4:5]
	v_dual_lshlrev_b32 v131, 4, v25 :: v_dual_lshlrev_b32 v132, 4, v26
	v_dual_add_nc_u32 v140, v19, v53 :: v_dual_add_nc_u32 v141, v19, v55
	v_cvt_i32_f64_e32 v0, v[0:1]
	v_cvt_i32_f64_e32 v5, v[6:7]
	v_dual_add_nc_u32 v142, v19, v57 :: v_dual_add_nc_u32 v143, v19, v59
	v_cvt_i32_f64_e32 v6, v[8:9]
	v_cvt_i32_f64_e32 v7, v[10:11]
	v_lshlrev_b32_e32 v11, 4, v16
	v_cvt_i32_f64_e32 v8, v[12:13]
	v_cvt_i32_f64_e32 v9, v[14:15]
	;; [unrolled: 1-line block ×3, first 2 shown]
	v_dual_add_nc_u32 v2, 64, v16 :: v_dual_bitop2_b32 v3, 63, v16 bitop3:0x40
	v_lshrrev_b16 v10, 1, v17
	v_dual_add_nc_u32 v48, s17, v46 :: v_dual_add_nc_u32 v144, v19, v61
	s_delay_alu instid0(VALU_DEP_3) | instskip(NEXT) | instid1(VALU_DEP_4)
	v_dual_add_nc_u32 v145, v19, v63 :: v_dual_lshrrev_b32 v12, 1, v2
	v_dual_lshlrev_b32 v2, 4, v2 :: v_dual_bitop2_b32 v13, s7, v3 bitop3:0x54
	s_delay_alu instid0(VALU_DEP_3) | instskip(SKIP_1) | instid1(VALU_DEP_4)
	v_add_nc_u32_e32 v50, s17, v48
	v_lshl_or_b32 v3, v3, 4, v18
	v_and_b32_e32 v12, 0xffc, v12
	s_delay_alu instid0(VALU_DEP_4)
	v_min_i32_e32 v13, s12, v13
	v_and_b32_e32 v10, 0x7fc, v10
	s_wait_kmcnt 0x0
	v_add_nc_u64_e32 v[78:79], s[2:3], v[36:37]
	v_add_nc_u32_e32 v81, 0x6a40, v3
	v_add3_u32 v3, v12, v18, 0x6200
	v_mul_lo_u32 v118, s20, v4
	v_add3_u32 v10, v10, v18, 0x6200
	v_mad_u32 v83, v13, s20, v40
	v_mov_b64_e32 v[44:45], 0
	v_mov_b64_e32 v[30:31], 0
	v_mul_lo_u32 v124, s20, v0
	v_dual_add_nc_u32 v0, 32, v41 :: v_dual_add_nc_u32 v4, 64, v41
	v_dual_add_nc_u32 v52, s17, v50 :: v_dual_lshlrev_b32 v127, 4, v21
	v_mul_lo_u32 v119, s20, v5
	v_mul_lo_u32 v120, s20, v6
	v_add_nc_u32_e32 v5, 0x60, v41
	s_delay_alu instid0(VALU_DEP_4) | instskip(SKIP_3) | instid1(VALU_DEP_4)
	v_add_nc_u32_e32 v54, s17, v52
	v_lshlrev_b32_e32 v130, 4, v24
	v_lshrrev_b32_e32 v6, 3, v4
	v_mul_lo_u32 v121, s20, v7
	v_dual_lshrrev_b32 v7, 3, v5 :: v_dual_add_nc_u32 v56, s17, v54
	v_dual_lshlrev_b32 v133, 4, v27 :: v_dual_lshlrev_b32 v126, 7, v27
	v_mul_lo_u32 v122, s20, v8
	v_mul_lo_u32 v123, s20, v9
	s_delay_alu instid0(VALU_DEP_4) | instskip(SKIP_3) | instid1(VALU_DEP_4)
	v_dual_add_nc_u32 v58, s17, v56 :: v_dual_add_nc_u32 v139, v19, v49
	v_mul_lo_u32 v125, s20, v1
	v_lshrrev_b32_e32 v1, 3, v0
	v_dual_lshlrev_b32 v135, 4, v4 :: v_dual_add_nc_u32 v137, v10, v11
	v_add_nc_u32_e32 v60, s17, v58
	v_add_nc_u32_e32 v138, v3, v2
	s_delay_alu instid0(VALU_DEP_4) | instskip(SKIP_1) | instid1(VALU_DEP_4)
	v_dual_add_nc_u32 v146, v19, v126 :: v_dual_lshlrev_b32 v148, 2, v1
	v_lshlrev_b32_e32 v147, 2, v20
	v_add_nc_u32_e32 v62, s17, v60
	v_mov_b64_e32 v[22:23], 0
	v_mov_b64_e32 v[14:15], 0
	;; [unrolled: 1-line block ×4, first 2 shown]
	v_add_nc_u32_e32 v64, s17, v62
	v_lshlrev_b32_e32 v149, 2, v6
	v_mov_b64_e32 v[20:21], 0
	v_mov_b64_e32 v[12:13], 0
	;; [unrolled: 1-line block ×3, first 2 shown]
	v_dual_add_nc_u32 v66, s17, v64 :: v_dual_lshlrev_b32 v150, 2, v7
	v_mov_b64_e32 v[26:27], 0
	v_mov_b64_e32 v[18:19], 0
	s_delay_alu instid0(VALU_DEP_3)
	v_dual_lshlrev_b32 v159, 4, v35 :: v_dual_add_nc_u32 v68, s17, v66
	v_mov_b64_e32 v[10:11], 0
	v_mov_b64_e32 v[32:33], 0
	;; [unrolled: 1-line block ×4, first 2 shown]
	v_add_nc_u32_e32 v70, s17, v68
	v_mov_b64_e32 v[8:9], 0
	s_ashr_i32 s11, s10, 31
	v_add_nc_u32_e32 v65, 0x420, v51
	v_add_nc_u32_e32 v67, 0x840, v51
	;; [unrolled: 1-line block ×9, first 2 shown]
	v_dual_lshlrev_b32 v134, 4, v0 :: v_dual_lshlrev_b32 v136, 4, v5
	v_add_nc_u32_e32 v151, 0x2100, v51
	v_add_nc_u32_e32 v152, 0x2520, v51
	;; [unrolled: 1-line block ×8, first 2 shown]
	v_mul_u32_u24_e32 v160, 0x84, v41
	v_mad_u32_u24 v161, 0x84, v41, s13
	v_mad_u32_u24 v162, 0x84, v41, s15
	;; [unrolled: 1-line block ×3, first 2 shown]
	v_dual_lshlrev_b32 v164, 2, v34 :: v_dual_add_nc_u32 v80, s17, v76
	v_lshl_add_u32 v82, s5, 6, v72
	s_mul_u64 s[18:19], s[10:11], 34
	s_mov_b32 s11, 0
	s_add_nc_u64 s[0:1], s[0:1], s[18:19]
	s_mov_b32 s10, s11
.LBB165_5:                              ; =>This Loop Header: Depth=1
                                        ;     Child Loop BB165_6 Depth 2
	s_delay_alu instid0(SALU_CYCLE_1) | instskip(NEXT) | instid1(SALU_CYCLE_1)
	s_mul_u64 s[12:13], s[10:11], 34
	s_add_nc_u64 s[12:13], s[0:1], s[12:13]
	s_delay_alu instid0(SALU_CYCLE_1) | instskip(NEXT) | instid1(VALU_DEP_1)
	v_mad_nc_u64_u32 v[0:1], v34, 34, s[12:13]
	v_mad_nc_u64_u32 v[2:3], v46, 34, v[0:1]
	s_delay_alu instid0(VALU_DEP_1) | instskip(SKIP_4) | instid1(VALU_DEP_1)
	v_add_nc_u64_e32 v[2:3], v[2:3], v[36:37]
	global_load_b32 v2, v[2:3], off offset:2
	s_wait_loadcnt 0x0
	ds_store_b32 v51, v2
	v_mad_nc_u64_u32 v[2:3], v48, 34, v[0:1]
	v_add_nc_u64_e32 v[2:3], v[2:3], v[36:37]
	global_load_b32 v2, v[2:3], off offset:2
	s_wait_loadcnt 0x0
	ds_store_b32 v65, v2
	v_mad_nc_u64_u32 v[2:3], v50, 34, v[0:1]
	s_delay_alu instid0(VALU_DEP_1) | instskip(SKIP_4) | instid1(VALU_DEP_1)
	v_add_nc_u64_e32 v[2:3], v[2:3], v[36:37]
	global_load_b32 v2, v[2:3], off offset:2
	s_wait_loadcnt 0x0
	ds_store_b32 v67, v2
	v_mad_nc_u64_u32 v[2:3], v52, 34, v[0:1]
	v_add_nc_u64_e32 v[2:3], v[2:3], v[36:37]
	global_load_b32 v2, v[2:3], off offset:2
	s_wait_loadcnt 0x0
	ds_store_b32 v69, v2
	;; [unrolled: 11-line block ×7, first 2 shown]
	v_mad_nc_u64_u32 v[2:3], v76, 34, v[0:1]
	v_mad_nc_u64_u32 v[0:1], v80, 34, v[0:1]
	s_delay_alu instid0(VALU_DEP_2) | instskip(NEXT) | instid1(VALU_DEP_2)
	v_add_nc_u64_e32 v[2:3], v[2:3], v[36:37]
	v_add_nc_u64_e32 v[0:1], v[0:1], v[36:37]
	s_clause 0x1
	global_load_b32 v2, v[2:3], off offset:2
	global_load_b32 v0, v[0:1], off offset:2
	s_wait_loadcnt 0x1
	ds_store_b32 v157, v2
	s_wait_loadcnt 0x0
	ds_store_b32 v158, v0
	v_mad_nc_u64_u32 v[0:1], v40, 34, s[12:13]
	s_mov_b32 s12, 0
	s_delay_alu instid0(VALU_DEP_1)
	v_mad_nc_u64_u32 v[2:3], v72, 34, v[0:1]
	v_mad_nc_u64_u32 v[0:1], v82, 34, v[0:1]
	s_clause 0x1
	global_load_u16 v2, v[2:3], off
	global_load_u16 v0, v[0:1], off
	s_wait_loadcnt 0x1
	s_wait_xcnt 0x1
	v_cvt_f32_f16_e32 v2, v2
	s_wait_loadcnt 0x0
	v_cvt_f32_f16_e32 v0, v0
	ds_store_b32 v137, v2
	ds_store_b32 v138, v0
	v_dual_add_nc_u32 v2, s10, v34 :: v_dual_add_nc_u32 v0, s10, v83
	s_delay_alu instid0(VALU_DEP_1) | instskip(SKIP_3) | instid1(VALU_DEP_1)
	v_mad_nc_u64_u32 v[0:1], v0, 36, s[2:3]
	global_load_b32 v3, v[0:1], off
	s_wait_xcnt 0x0
	v_add_nc_u32_e32 v0, v2, v118
	v_mad_nc_i64_i32 v[0:1], v0, 36, v[78:79]
	global_load_b32 v0, v[0:1], off offset:4
	s_wait_loadcnt 0x0
	ds_store_b32 v139, v0
	v_add_nc_u32_e32 v0, v2, v119
	s_delay_alu instid0(VALU_DEP_1) | instskip(SKIP_4) | instid1(VALU_DEP_1)
	v_mad_nc_i64_i32 v[0:1], v0, 36, v[78:79]
	global_load_b32 v0, v[0:1], off offset:4
	s_wait_loadcnt 0x0
	ds_store_b32 v140, v0
	v_add_nc_u32_e32 v0, v2, v120
	v_mad_nc_i64_i32 v[0:1], v0, 36, v[78:79]
	global_load_b32 v0, v[0:1], off offset:4
	s_wait_loadcnt 0x0
	ds_store_b32 v141, v0
	v_add_nc_u32_e32 v0, v2, v121
	s_delay_alu instid0(VALU_DEP_1) | instskip(SKIP_4) | instid1(VALU_DEP_1)
	v_mad_nc_i64_i32 v[0:1], v0, 36, v[78:79]
	global_load_b32 v0, v[0:1], off offset:4
	s_wait_loadcnt 0x0
	ds_store_b32 v142, v0
	v_add_nc_u32_e32 v0, v2, v122
	v_mad_nc_i64_i32 v[0:1], v0, 36, v[78:79]
	global_load_b32 v0, v[0:1], off offset:4
	s_wait_loadcnt 0x0
	ds_store_b32 v143, v0
	v_add_nc_u32_e32 v0, v2, v123
	s_delay_alu instid0(VALU_DEP_1) | instskip(SKIP_4) | instid1(VALU_DEP_1)
	v_mad_nc_i64_i32 v[0:1], v0, 36, v[78:79]
	global_load_b32 v0, v[0:1], off offset:4
	s_wait_loadcnt 0x0
	ds_store_b32 v144, v0
	v_add_nc_u32_e32 v0, v2, v124
	v_mad_nc_i64_i32 v[0:1], v0, 36, v[78:79]
	global_load_b32 v0, v[0:1], off offset:4
	s_wait_loadcnt 0x0
	ds_store_b32 v145, v0
	v_add_nc_u32_e32 v0, v2, v125
	s_delay_alu instid0(VALU_DEP_1)
	v_mad_nc_i64_i32 v[0:1], v0, 36, v[78:79]
	global_load_b32 v0, v[0:1], off offset:4
	s_wait_loadcnt 0x0
	ds_store_b32 v146, v0
	v_cvt_f32_f16_e32 v0, v3
	ds_store_b32 v81, v0
	s_wait_dscnt 0x0
	s_barrier_signal -1
	s_barrier_wait -1
.LBB165_6:                              ;   Parent Loop BB165_5 Depth=1
                                        ; =>  This Inner Loop Header: Depth=2
	s_lshl_b32 s16, s12, 2
	s_lshr_b32 s17, s12, 1
	s_add_co_i32 s13, s16, 0x4200
	s_add_co_i32 s15, s17, 0x6a40
	s_delay_alu instid0(SALU_CYCLE_1)
	v_dual_add_nc_u32 v4, s13, v49 :: v_dual_add_nc_u32 v0, s15, v159
	s_addk_co_i32 s17, 0x6200
	v_add_nc_u32_e32 v84, s16, v160
	ds_load_b32 v116, v0
	v_add3_u32 v0, s17, v164, v147
	ds_load_b32 v117, v0
	ds_load_b128 v[0:3], v4
	ds_load_b128 v[4:7], v4 offset:16
	ds_load_2addr_b32 v[94:95], v84 offset1:1
	ds_load_2addr_b32 v[92:93], v84 offset0:2 offset1:3
	ds_load_2addr_b32 v[90:91], v84 offset0:4 offset1:5
	;; [unrolled: 1-line block ×3, first 2 shown]
	s_wait_dscnt 0x5
	v_perm_b32 v86, v3, v2, 0x5010c0c
	v_perm_b32 v87, v3, v2, 0x7030c0c
	s_wait_dscnt 0x3
	v_perm_b32 v84, v94, v95, 0xc0c0501
	s_wait_dscnt 0x2
	v_perm_b32 v85, v93, v92, 0x5010c0c
	v_perm_b32 v96, v3, v2, 0x4000c0c
	;; [unrolled: 1-line block ×4, first 2 shown]
	s_wait_dscnt 0x0
	v_bfe_i32 v165, v88, 0, 8
	v_or_b32_e32 v84, v85, v84
	v_perm_b32 v85, v0, v1, 0xc0c0501
	v_perm_b32 v174, v88, v88, 0xc030201
	s_delay_alu instid0(VALU_DEP_2) | instskip(SKIP_1) | instid1(VALU_DEP_2)
	v_or_b32_e32 v85, v86, v85
	v_perm_b32 v86, v93, v92, 0x7030c0c
	v_dot4_i32_iu8 v84, v84, v85, 0 neg_lo:[1,1,0]
	v_perm_b32 v85, v94, v95, 0xc0c0703
	s_delay_alu instid0(VALU_DEP_1) | instskip(SKIP_1) | instid1(VALU_DEP_1)
	v_or_b32_e32 v85, v86, v85
	v_perm_b32 v86, v0, v1, 0xc0c0703
	v_or_b32_e32 v86, v87, v86
	v_perm_b32 v87, v93, v92, 0x4000c0c
	s_delay_alu instid0(VALU_DEP_2) | instskip(SKIP_1) | instid1(VALU_DEP_1)
	v_dot4_i32_iu8 v85, v85, v86, 0 neg_lo:[1,1,0]
	v_perm_b32 v86, v94, v95, 0xc0c0400
	v_or_b32_e32 v86, v87, v86
	v_perm_b32 v87, v0, v1, 0xc0c0400
	s_delay_alu instid0(VALU_DEP_1) | instskip(SKIP_1) | instid1(VALU_DEP_2)
	v_or_b32_e32 v87, v96, v87
	v_perm_b32 v96, v93, v92, 0x6020c0c
	v_dot4_i32_iu8 v86, v86, v87, 0 neg_lo:[1,1,0]
	v_perm_b32 v87, v94, v95, 0xc0c0602
	s_delay_alu instid0(VALU_DEP_1) | instskip(SKIP_1) | instid1(VALU_DEP_1)
	v_or_b32_e32 v87, v96, v87
	v_perm_b32 v96, v0, v1, 0xc0c0602
	v_or_b32_e32 v96, v97, v96
	v_perm_b32 v97, v89, v88, 0x6020c0c
	s_delay_alu instid0(VALU_DEP_2) | instskip(SKIP_1) | instid1(VALU_DEP_1)
	v_dot4_i32_iu8 v87, v87, v96, 0 neg_lo:[1,1,0]
	v_perm_b32 v96, v91, v90, 0xc0c0602
	v_or_b32_e32 v96, v97, v96
	v_perm_b32 v97, v5, v4, 0xc0c0602
	s_delay_alu instid0(VALU_DEP_1) | instskip(SKIP_1) | instid1(VALU_DEP_2)
	v_or_b32_e32 v97, v98, v97
	v_perm_b32 v98, v7, v6, 0x4000c0c
	v_dot4_i32_iu8 v87, v96, v97, v87 neg_lo:[1,1,0]
	v_perm_b32 v96, v91, v90, 0xc0c0400
	v_perm_b32 v97, v89, v88, 0x4000c0c
	s_delay_alu instid0(VALU_DEP_1) | instskip(SKIP_1) | instid1(VALU_DEP_1)
	v_or_b32_e32 v96, v97, v96
	v_perm_b32 v97, v5, v4, 0xc0c0400
	v_or_b32_e32 v97, v98, v97
	v_perm_b32 v98, v7, v6, 0x7030c0c
	s_delay_alu instid0(VALU_DEP_2) | instskip(SKIP_2) | instid1(VALU_DEP_1)
	v_dot4_i32_iu8 v86, v96, v97, v86 neg_lo:[1,1,0]
	v_perm_b32 v96, v91, v90, 0xc0c0703
	v_perm_b32 v97, v89, v88, 0x7030c0c
	v_or_b32_e32 v96, v97, v96
	v_perm_b32 v97, v5, v4, 0xc0c0703
	s_delay_alu instid0(VALU_DEP_1) | instskip(SKIP_1) | instid1(VALU_DEP_2)
	v_or_b32_e32 v97, v98, v97
	v_perm_b32 v98, v7, v6, 0x5010c0c
	v_dot4_i32_iu8 v85, v96, v97, v85 neg_lo:[1,1,0]
	v_perm_b32 v96, v91, v90, 0xc0c0501
	v_perm_b32 v97, v89, v88, 0x5010c0c
	s_delay_alu instid0(VALU_DEP_1) | instskip(SKIP_1) | instid1(VALU_DEP_1)
	v_or_b32_e32 v96, v97, v96
	v_perm_b32 v97, v5, v4, 0xc0c0501
	v_or_b32_e32 v97, v98, v97
	s_delay_alu instid0(VALU_DEP_1) | instskip(NEXT) | instid1(VALU_DEP_1)
	v_dot4_i32_iu8 v84, v96, v97, v84 neg_lo:[1,1,0]
	v_add_nc_u32_e32 v84, v84, v85
	v_mul_f32_e32 v85, v116, v117
	s_delay_alu instid0(VALU_DEP_2) | instskip(NEXT) | instid1(VALU_DEP_1)
	v_add3_u32 v84, v86, v87, v84
	v_cvt_f32_i32_e32 v84, v84
	s_delay_alu instid0(VALU_DEP_1)
	v_mul_f32_e32 v172, v85, v84
	v_add3_u32 v85, s17, v148, v134
	v_add_nc_u32_e32 v84, s16, v161
	ds_load_b32 v166, v85
	ds_load_2addr_b32 v[98:99], v84 offset1:1
	ds_load_2addr_b32 v[100:101], v84 offset0:2 offset1:3
	ds_load_2addr_b32 v[102:103], v84 offset0:4 offset1:5
	;; [unrolled: 1-line block ×3, first 2 shown]
	s_wait_dscnt 0x3
	v_dot4_i32_iu8 v85, v0, v98, 0 neg_lo:[1,1,0]
	s_wait_dscnt 0x1
	v_perm_b32 v169, v103, v103, 0x7060100
	s_wait_dscnt 0x0
	v_bfe_i32 v167, v96, 0, 8
	v_dot4_i32_iu8 v84, v1, v99, v85 neg_lo:[1,1,0]
	v_mul_f32_e32 v85, v116, v166
	s_delay_alu instid0(VALU_DEP_2) | instskip(NEXT) | instid1(VALU_DEP_1)
	v_dot4_i32_iu8 v84, v2, v100, v84 neg_lo:[1,1,0]
	v_dot4_i32_iu8 v84, v3, v101, v84 neg_lo:[1,1,0]
	s_delay_alu instid0(VALU_DEP_1) | instskip(NEXT) | instid1(VALU_DEP_1)
	v_dot4_i32_iu8 v84, v4, v102, v84 neg_lo:[1,1,0]
	v_dot4_i32_iu8 v84, v5, v169, v84 neg_lo:[1,1,0]
	s_delay_alu instid0(VALU_DEP_1) | instskip(NEXT) | instid1(VALU_DEP_1)
	;; [unrolled: 3-line block ×3, first 2 shown]
	v_cvt_f32_i32_e32 v84, v84
	v_mul_f32_e32 v176, v85, v84
	v_add3_u32 v85, s17, v149, v135
	v_add_nc_u32_e32 v84, s16, v162
	ds_load_b32 v168, v85
	ds_load_2addr_b32 v[108:109], v84 offset1:1
	ds_load_2addr_b32 v[110:111], v84 offset0:2 offset1:3
	ds_load_2addr_b32 v[112:113], v84 offset0:4 offset1:5
	ds_load_2addr_b32 v[106:107], v84 offset0:6 offset1:7
	s_wait_dscnt 0x3
	v_dot4_i32_iu8 v85, v0, v108, 0 neg_lo:[1,1,0]
	s_wait_dscnt 0x1
	v_perm_b32 v171, v113, v113, 0x7060100
	s_wait_dscnt 0x0
	v_bfe_i32 v170, v106, 0, 8
	v_dot4_i32_iu8 v84, v1, v109, v85 neg_lo:[1,1,0]
	v_mul_f32_e32 v85, v116, v168
	s_delay_alu instid0(VALU_DEP_2) | instskip(NEXT) | instid1(VALU_DEP_1)
	v_dot4_i32_iu8 v84, v2, v110, v84 neg_lo:[1,1,0]
	v_dot4_i32_iu8 v84, v3, v111, v84 neg_lo:[1,1,0]
	s_delay_alu instid0(VALU_DEP_1) | instskip(NEXT) | instid1(VALU_DEP_1)
	v_dot4_i32_iu8 v84, v4, v112, v84 neg_lo:[1,1,0]
	v_dot4_i32_iu8 v84, v5, v171, v84 neg_lo:[1,1,0]
	s_delay_alu instid0(VALU_DEP_1) | instskip(NEXT) | instid1(VALU_DEP_1)
	;; [unrolled: 3-line block ×3, first 2 shown]
	v_cvt_f32_i32_e32 v84, v84
	v_mul_f32_e32 v178, v85, v84
	v_add3_u32 v85, s17, v150, v136
	v_add_nc_u32_e32 v84, s16, v163
	ds_load_b32 v103, v85
	ds_load_2addr_b32 v[114:115], v84 offset1:1
	ds_load_2addr_b32 v[104:105], v84 offset0:2 offset1:3
	ds_load_2addr_b32 v[86:87], v84 offset0:4 offset1:5
	;; [unrolled: 1-line block ×3, first 2 shown]
	s_wait_dscnt 0x3
	v_dot4_i32_iu8 v0, v0, v114, 0 neg_lo:[1,1,0]
	s_wait_dscnt 0x1
	v_perm_b32 v87, v87, v87, 0x7060100
	s_wait_dscnt 0x0
	v_bfe_i32 v113, v84, 0, 8
	v_dot4_i32_iu8 v0, v1, v115, v0 neg_lo:[1,1,0]
	v_mul_f32_e32 v1, v116, v103
	s_delay_alu instid0(VALU_DEP_2) | instskip(NEXT) | instid1(VALU_DEP_1)
	v_dot4_i32_iu8 v0, v2, v104, v0 neg_lo:[1,1,0]
	v_dot4_i32_iu8 v0, v3, v105, v0 neg_lo:[1,1,0]
	s_delay_alu instid0(VALU_DEP_1) | instskip(SKIP_1) | instid1(VALU_DEP_2)
	v_dot4_i32_iu8 v0, v4, v86, v0 neg_lo:[1,1,0]
	v_add_nc_u32_e32 v4, s13, v53
	v_dot4_i32_iu8 v0, v5, v87, v0 neg_lo:[1,1,0]
	s_delay_alu instid0(VALU_DEP_1) | instskip(NEXT) | instid1(VALU_DEP_1)
	v_dot4_i32_iu8 v0, v6, v84, v0 neg_lo:[1,1,0]
	v_dot4_i32_iu8 v0, v7, v85, v0 neg_lo:[1,1,0]
	s_delay_alu instid0(VALU_DEP_1) | instskip(NEXT) | instid1(VALU_DEP_1)
	v_cvt_f32_i32_e32 v0, v0
	v_dual_mul_f32 v180, v1, v0 :: v_dual_add_nc_u32 v0, s15, v127
	ds_load_b32 v116, v0
	ds_load_b128 v[0:3], v4
	ds_load_b128 v[4:7], v4 offset:16
	s_wait_dscnt 0x1
	v_dot4_i32_iu8 v173, v94, v0, 0 neg_lo:[1,1,0]
	s_wait_dscnt 0x0
	v_perm_b32 v5, v5, v5, 0x7060100
	v_bfe_i32 v175, v6, 0, 8
	v_perm_b32 v6, v6, v6, 0xc030201
	v_dot4_i32_iu8 v173, v95, v1, v173 neg_lo:[1,1,0]
	s_delay_alu instid0(VALU_DEP_1) | instskip(NEXT) | instid1(VALU_DEP_1)
	v_dot4_i32_iu8 v173, v92, v2, v173 neg_lo:[1,1,0]
	v_dot4_i32_iu8 v173, v93, v3, v173 neg_lo:[1,1,0]
	s_delay_alu instid0(VALU_DEP_1) | instskip(NEXT) | instid1(VALU_DEP_1)
	v_dot4_i32_iu8 v173, v90, v4, v173 neg_lo:[1,1,0]
	v_dot4_i32_iu8 v173, v91, v5, v173 neg_lo:[1,1,0]
	s_delay_alu instid0(VALU_DEP_1) | instskip(NEXT) | instid1(VALU_DEP_1)
	v_mad_i32_i24 v173, v165, v175, v173
	v_dot4_i32_iu8 v88, v174, v6, v173 neg_lo:[1,1,0]
	v_mul_f32_e32 v173, v117, v116
	s_delay_alu instid0(VALU_DEP_2) | instskip(NEXT) | instid1(VALU_DEP_1)
	v_dot4_i32_iu8 v88, v89, v7, v88 neg_lo:[1,1,0]
	v_cvt_f32_i32_e32 v88, v88
	s_delay_alu instid0(VALU_DEP_1) | instskip(SKIP_1) | instid1(VALU_DEP_2)
	v_mul_f32_e32 v173, v173, v88
	v_dot4_i32_iu8 v88, v0, v98, 0 neg_lo:[1,1,0]
	v_pk_add_f32 v[44:45], v[44:45], v[172:173]
	s_delay_alu instid0(VALU_DEP_2)
	v_dot4_i32_iu8 v88, v1, v99, v88 neg_lo:[1,1,0]
	v_perm_b32 v173, v96, v96, 0xc030201
	v_mul_f32_e32 v96, v166, v116
	v_perm_b32 v172, v106, v106, 0xc030201
	v_perm_b32 v106, v84, v84, 0xc030201
	v_dot4_i32_iu8 v88, v2, v100, v88 neg_lo:[1,1,0]
	s_delay_alu instid0(VALU_DEP_1) | instskip(NEXT) | instid1(VALU_DEP_1)
	v_dot4_i32_iu8 v88, v3, v101, v88 neg_lo:[1,1,0]
	v_dot4_i32_iu8 v88, v4, v102, v88 neg_lo:[1,1,0]
	s_delay_alu instid0(VALU_DEP_1) | instskip(NEXT) | instid1(VALU_DEP_1)
	v_dot4_i32_iu8 v88, v5, v169, v88 neg_lo:[1,1,0]
	v_mad_i32_i24 v88, v175, v167, v88
	s_delay_alu instid0(VALU_DEP_1) | instskip(NEXT) | instid1(VALU_DEP_1)
	v_dot4_i32_iu8 v88, v6, v173, v88 neg_lo:[1,1,0]
	v_dot4_i32_iu8 v88, v7, v97, v88 neg_lo:[1,1,0]
	s_delay_alu instid0(VALU_DEP_1) | instskip(NEXT) | instid1(VALU_DEP_1)
	v_cvt_f32_i32_e32 v88, v88
	v_mul_f32_e32 v177, v96, v88
	v_dot4_i32_iu8 v88, v0, v108, 0 neg_lo:[1,1,0]
	v_dot4_i32_iu8 v0, v0, v114, 0 neg_lo:[1,1,0]
	v_mul_f32_e32 v96, v168, v116
	s_delay_alu instid0(VALU_DEP_4) | instskip(NEXT) | instid1(VALU_DEP_4)
	v_pk_add_f32 v[42:43], v[42:43], v[176:177]
	v_dot4_i32_iu8 v88, v1, v109, v88 neg_lo:[1,1,0]
	s_delay_alu instid0(VALU_DEP_4) | instskip(SKIP_1) | instid1(VALU_DEP_3)
	v_dot4_i32_iu8 v0, v1, v115, v0 neg_lo:[1,1,0]
	v_mul_f32_e32 v1, v103, v116
	v_dot4_i32_iu8 v88, v2, v110, v88 neg_lo:[1,1,0]
	s_delay_alu instid0(VALU_DEP_3) | instskip(NEXT) | instid1(VALU_DEP_2)
	v_dot4_i32_iu8 v0, v2, v104, v0 neg_lo:[1,1,0]
	v_dot4_i32_iu8 v88, v3, v111, v88 neg_lo:[1,1,0]
	s_delay_alu instid0(VALU_DEP_2) | instskip(NEXT) | instid1(VALU_DEP_2)
	v_dot4_i32_iu8 v0, v3, v105, v0 neg_lo:[1,1,0]
	v_dot4_i32_iu8 v88, v4, v112, v88 neg_lo:[1,1,0]
	s_delay_alu instid0(VALU_DEP_2) | instskip(SKIP_1) | instid1(VALU_DEP_3)
	v_dot4_i32_iu8 v0, v4, v86, v0 neg_lo:[1,1,0]
	v_add_nc_u32_e32 v4, s13, v55
	v_dot4_i32_iu8 v88, v5, v171, v88 neg_lo:[1,1,0]
	s_delay_alu instid0(VALU_DEP_3) | instskip(NEXT) | instid1(VALU_DEP_2)
	v_dot4_i32_iu8 v0, v5, v87, v0 neg_lo:[1,1,0]
	v_mad_i32_i24 v88, v175, v170, v88
	s_delay_alu instid0(VALU_DEP_2) | instskip(NEXT) | instid1(VALU_DEP_2)
	v_mad_i32_i24 v0, v175, v113, v0
	v_dot4_i32_iu8 v88, v6, v172, v88 neg_lo:[1,1,0]
	s_delay_alu instid0(VALU_DEP_2) | instskip(NEXT) | instid1(VALU_DEP_2)
	v_dot4_i32_iu8 v0, v6, v106, v0 neg_lo:[1,1,0]
	v_dot4_i32_iu8 v88, v7, v107, v88 neg_lo:[1,1,0]
	s_delay_alu instid0(VALU_DEP_2) | instskip(NEXT) | instid1(VALU_DEP_2)
	v_dot4_i32_iu8 v0, v7, v85, v0 neg_lo:[1,1,0]
	v_cvt_f32_i32_e32 v88, v88
	s_delay_alu instid0(VALU_DEP_2) | instskip(NEXT) | instid1(VALU_DEP_2)
	v_cvt_f32_i32_e32 v0, v0
	v_mul_f32_e32 v179, v96, v88
	s_delay_alu instid0(VALU_DEP_2)
	v_mul_f32_e32 v181, v1, v0
	v_add_nc_u32_e32 v0, s15, v128
	ds_load_b32 v84, v0
	ds_load_b128 v[0:3], v4
	ds_load_b128 v[4:7], v4 offset:16
	v_pk_add_f32 v[38:39], v[38:39], v[178:179]
	s_wait_dscnt 0x2
	v_mul_f32_e32 v116, v117, v84
	s_wait_dscnt 0x1
	v_dot4_i32_iu8 v88, v94, v0, 0 neg_lo:[1,1,0]
	s_wait_dscnt 0x0
	v_perm_b32 v5, v5, v5, 0x7060100
	v_bfe_i32 v96, v6, 0, 8
	v_perm_b32 v6, v6, v6, 0xc030201
	v_dot4_i32_iu8 v88, v95, v1, v88 neg_lo:[1,1,0]
	s_delay_alu instid0(VALU_DEP_1) | instskip(NEXT) | instid1(VALU_DEP_1)
	v_dot4_i32_iu8 v88, v92, v2, v88 neg_lo:[1,1,0]
	v_dot4_i32_iu8 v88, v93, v3, v88 neg_lo:[1,1,0]
	s_delay_alu instid0(VALU_DEP_1) | instskip(NEXT) | instid1(VALU_DEP_1)
	v_dot4_i32_iu8 v88, v90, v4, v88 neg_lo:[1,1,0]
	v_dot4_i32_iu8 v88, v91, v5, v88 neg_lo:[1,1,0]
	s_delay_alu instid0(VALU_DEP_1) | instskip(NEXT) | instid1(VALU_DEP_1)
	v_mad_i32_i24 v88, v165, v96, v88
	v_dot4_i32_iu8 v88, v174, v6, v88 neg_lo:[1,1,0]
	s_delay_alu instid0(VALU_DEP_1) | instskip(NEXT) | instid1(VALU_DEP_1)
	v_dot4_i32_iu8 v88, v89, v7, v88 neg_lo:[1,1,0]
	v_cvt_f32_i32_e32 v88, v88
	s_delay_alu instid0(VALU_DEP_1) | instskip(SKIP_2) | instid1(VALU_DEP_2)
	v_mul_f32_e32 v176, v116, v88
	v_dot4_i32_iu8 v88, v0, v98, 0 neg_lo:[1,1,0]
	v_mul_f32_e32 v116, v166, v84
	v_dot4_i32_iu8 v88, v1, v99, v88 neg_lo:[1,1,0]
	s_delay_alu instid0(VALU_DEP_1) | instskip(NEXT) | instid1(VALU_DEP_1)
	v_dot4_i32_iu8 v88, v2, v100, v88 neg_lo:[1,1,0]
	v_dot4_i32_iu8 v88, v3, v101, v88 neg_lo:[1,1,0]
	s_delay_alu instid0(VALU_DEP_1) | instskip(NEXT) | instid1(VALU_DEP_1)
	v_dot4_i32_iu8 v88, v4, v102, v88 neg_lo:[1,1,0]
	v_dot4_i32_iu8 v88, v5, v169, v88 neg_lo:[1,1,0]
	s_delay_alu instid0(VALU_DEP_1) | instskip(NEXT) | instid1(VALU_DEP_1)
	v_mad_i32_i24 v88, v96, v167, v88
	v_dot4_i32_iu8 v88, v6, v173, v88 neg_lo:[1,1,0]
	s_delay_alu instid0(VALU_DEP_1) | instskip(NEXT) | instid1(VALU_DEP_1)
	v_dot4_i32_iu8 v88, v7, v97, v88 neg_lo:[1,1,0]
	v_cvt_f32_i32_e32 v88, v88
	s_delay_alu instid0(VALU_DEP_1) | instskip(SKIP_3) | instid1(VALU_DEP_3)
	v_mul_f32_e32 v178, v116, v88
	v_dot4_i32_iu8 v88, v0, v108, 0 neg_lo:[1,1,0]
	v_dot4_i32_iu8 v0, v0, v114, 0 neg_lo:[1,1,0]
	v_mul_f32_e32 v116, v168, v84
	v_dot4_i32_iu8 v88, v1, v109, v88 neg_lo:[1,1,0]
	s_delay_alu instid0(VALU_DEP_3) | instskip(SKIP_1) | instid1(VALU_DEP_3)
	v_dot4_i32_iu8 v0, v1, v115, v0 neg_lo:[1,1,0]
	v_mul_f32_e32 v1, v103, v84
	v_dot4_i32_iu8 v88, v2, v110, v88 neg_lo:[1,1,0]
	s_delay_alu instid0(VALU_DEP_3) | instskip(NEXT) | instid1(VALU_DEP_2)
	v_dot4_i32_iu8 v0, v2, v104, v0 neg_lo:[1,1,0]
	v_dot4_i32_iu8 v88, v3, v111, v88 neg_lo:[1,1,0]
	s_delay_alu instid0(VALU_DEP_2) | instskip(NEXT) | instid1(VALU_DEP_2)
	v_dot4_i32_iu8 v0, v3, v105, v0 neg_lo:[1,1,0]
	v_dot4_i32_iu8 v88, v4, v112, v88 neg_lo:[1,1,0]
	s_delay_alu instid0(VALU_DEP_2) | instskip(SKIP_1) | instid1(VALU_DEP_3)
	v_dot4_i32_iu8 v0, v4, v86, v0 neg_lo:[1,1,0]
	v_add_nc_u32_e32 v4, s13, v57
	v_dot4_i32_iu8 v88, v5, v171, v88 neg_lo:[1,1,0]
	s_delay_alu instid0(VALU_DEP_3) | instskip(NEXT) | instid1(VALU_DEP_2)
	v_dot4_i32_iu8 v0, v5, v87, v0 neg_lo:[1,1,0]
	v_mad_i32_i24 v88, v96, v170, v88
	s_delay_alu instid0(VALU_DEP_2) | instskip(NEXT) | instid1(VALU_DEP_2)
	v_mad_i32_i24 v0, v96, v113, v0
	v_dot4_i32_iu8 v88, v6, v172, v88 neg_lo:[1,1,0]
	s_delay_alu instid0(VALU_DEP_2) | instskip(NEXT) | instid1(VALU_DEP_2)
	v_dot4_i32_iu8 v0, v6, v106, v0 neg_lo:[1,1,0]
	v_dot4_i32_iu8 v88, v7, v107, v88 neg_lo:[1,1,0]
	s_delay_alu instid0(VALU_DEP_2) | instskip(NEXT) | instid1(VALU_DEP_2)
	v_dot4_i32_iu8 v0, v7, v85, v0 neg_lo:[1,1,0]
	v_cvt_f32_i32_e32 v88, v88
	s_delay_alu instid0(VALU_DEP_2) | instskip(NEXT) | instid1(VALU_DEP_1)
	v_cvt_f32_i32_e32 v0, v0
	v_dual_mul_f32 v182, v1, v0 :: v_dual_add_nc_u32 v0, s15, v129
	ds_load_b32 v84, v0
	ds_load_b128 v[0:3], v4
	ds_load_b128 v[4:7], v4 offset:16
	v_pk_add_f32 v[32:33], v[32:33], v[180:181]
	v_mul_f32_e32 v180, v116, v88
	s_wait_dscnt 0x2
	v_mul_f32_e32 v116, v117, v84
	s_wait_dscnt 0x1
	v_dot4_i32_iu8 v88, v94, v0, 0 neg_lo:[1,1,0]
	s_wait_dscnt 0x0
	v_perm_b32 v5, v5, v5, 0x7060100
	v_bfe_i32 v96, v6, 0, 8
	v_perm_b32 v6, v6, v6, 0xc030201
	v_dot4_i32_iu8 v88, v95, v1, v88 neg_lo:[1,1,0]
	s_delay_alu instid0(VALU_DEP_1) | instskip(NEXT) | instid1(VALU_DEP_1)
	v_dot4_i32_iu8 v88, v92, v2, v88 neg_lo:[1,1,0]
	v_dot4_i32_iu8 v88, v93, v3, v88 neg_lo:[1,1,0]
	s_delay_alu instid0(VALU_DEP_1) | instskip(NEXT) | instid1(VALU_DEP_1)
	v_dot4_i32_iu8 v88, v90, v4, v88 neg_lo:[1,1,0]
	v_dot4_i32_iu8 v88, v91, v5, v88 neg_lo:[1,1,0]
	s_delay_alu instid0(VALU_DEP_1) | instskip(NEXT) | instid1(VALU_DEP_1)
	v_mad_i32_i24 v88, v165, v96, v88
	v_dot4_i32_iu8 v88, v174, v6, v88 neg_lo:[1,1,0]
	s_delay_alu instid0(VALU_DEP_1) | instskip(NEXT) | instid1(VALU_DEP_1)
	v_dot4_i32_iu8 v88, v89, v7, v88 neg_lo:[1,1,0]
	v_cvt_f32_i32_e32 v88, v88
	s_delay_alu instid0(VALU_DEP_1) | instskip(SKIP_2) | instid1(VALU_DEP_3)
	v_mul_f32_e32 v177, v116, v88
	v_dot4_i32_iu8 v88, v0, v98, 0 neg_lo:[1,1,0]
	v_mul_f32_e32 v116, v166, v84
	v_pk_add_f32 v[30:31], v[30:31], v[176:177]
	s_delay_alu instid0(VALU_DEP_3) | instskip(NEXT) | instid1(VALU_DEP_1)
	v_dot4_i32_iu8 v88, v1, v99, v88 neg_lo:[1,1,0]
	v_dot4_i32_iu8 v88, v2, v100, v88 neg_lo:[1,1,0]
	s_delay_alu instid0(VALU_DEP_1) | instskip(NEXT) | instid1(VALU_DEP_1)
	v_dot4_i32_iu8 v88, v3, v101, v88 neg_lo:[1,1,0]
	v_dot4_i32_iu8 v88, v4, v102, v88 neg_lo:[1,1,0]
	s_delay_alu instid0(VALU_DEP_1) | instskip(NEXT) | instid1(VALU_DEP_1)
	v_dot4_i32_iu8 v88, v5, v169, v88 neg_lo:[1,1,0]
	v_mad_i32_i24 v88, v96, v167, v88
	s_delay_alu instid0(VALU_DEP_1) | instskip(NEXT) | instid1(VALU_DEP_1)
	v_dot4_i32_iu8 v88, v6, v173, v88 neg_lo:[1,1,0]
	v_dot4_i32_iu8 v88, v7, v97, v88 neg_lo:[1,1,0]
	s_delay_alu instid0(VALU_DEP_1) | instskip(NEXT) | instid1(VALU_DEP_1)
	v_cvt_f32_i32_e32 v88, v88
	v_mul_f32_e32 v179, v116, v88
	v_dot4_i32_iu8 v88, v0, v108, 0 neg_lo:[1,1,0]
	v_dot4_i32_iu8 v0, v0, v114, 0 neg_lo:[1,1,0]
	v_mul_f32_e32 v116, v168, v84
	s_delay_alu instid0(VALU_DEP_3) | instskip(NEXT) | instid1(VALU_DEP_3)
	v_dot4_i32_iu8 v88, v1, v109, v88 neg_lo:[1,1,0]
	v_dot4_i32_iu8 v0, v1, v115, v0 neg_lo:[1,1,0]
	v_mul_f32_e32 v1, v103, v84
	s_delay_alu instid0(VALU_DEP_3) | instskip(NEXT) | instid1(VALU_DEP_3)
	v_dot4_i32_iu8 v88, v2, v110, v88 neg_lo:[1,1,0]
	v_dot4_i32_iu8 v0, v2, v104, v0 neg_lo:[1,1,0]
	s_delay_alu instid0(VALU_DEP_2) | instskip(NEXT) | instid1(VALU_DEP_2)
	v_dot4_i32_iu8 v88, v3, v111, v88 neg_lo:[1,1,0]
	v_dot4_i32_iu8 v0, v3, v105, v0 neg_lo:[1,1,0]
	s_delay_alu instid0(VALU_DEP_2) | instskip(NEXT) | instid1(VALU_DEP_2)
	v_dot4_i32_iu8 v88, v4, v112, v88 neg_lo:[1,1,0]
	v_dot4_i32_iu8 v0, v4, v86, v0 neg_lo:[1,1,0]
	v_add_nc_u32_e32 v4, s13, v59
	s_delay_alu instid0(VALU_DEP_3) | instskip(NEXT) | instid1(VALU_DEP_3)
	v_dot4_i32_iu8 v88, v5, v171, v88 neg_lo:[1,1,0]
	v_dot4_i32_iu8 v0, v5, v87, v0 neg_lo:[1,1,0]
	s_delay_alu instid0(VALU_DEP_2) | instskip(NEXT) | instid1(VALU_DEP_2)
	v_mad_i32_i24 v88, v96, v170, v88
	v_mad_i32_i24 v0, v96, v113, v0
	s_delay_alu instid0(VALU_DEP_2) | instskip(NEXT) | instid1(VALU_DEP_2)
	v_dot4_i32_iu8 v88, v6, v172, v88 neg_lo:[1,1,0]
	v_dot4_i32_iu8 v0, v6, v106, v0 neg_lo:[1,1,0]
	s_delay_alu instid0(VALU_DEP_2) | instskip(NEXT) | instid1(VALU_DEP_2)
	v_dot4_i32_iu8 v88, v7, v107, v88 neg_lo:[1,1,0]
	v_dot4_i32_iu8 v0, v7, v85, v0 neg_lo:[1,1,0]
	s_delay_alu instid0(VALU_DEP_2) | instskip(NEXT) | instid1(VALU_DEP_2)
	v_cvt_f32_i32_e32 v88, v88
	v_cvt_f32_i32_e32 v0, v0
	s_delay_alu instid0(VALU_DEP_2) | instskip(NEXT) | instid1(VALU_DEP_2)
	v_mul_f32_e32 v181, v116, v88
	v_dual_mul_f32 v183, v1, v0 :: v_dual_add_nc_u32 v0, s15, v130
	ds_load_b32 v84, v0
	ds_load_b128 v[0:3], v4
	ds_load_b128 v[4:7], v4 offset:16
	v_pk_add_f32 v[28:29], v[28:29], v[178:179]
	v_pk_add_f32 v[24:25], v[24:25], v[182:183]
	;; [unrolled: 1-line block ×3, first 2 shown]
	s_wait_dscnt 0x2
	v_mul_f32_e32 v116, v117, v84
	s_wait_dscnt 0x1
	v_dot4_i32_iu8 v88, v94, v0, 0 neg_lo:[1,1,0]
	s_wait_dscnt 0x0
	v_perm_b32 v5, v5, v5, 0x7060100
	v_bfe_i32 v96, v6, 0, 8
	v_perm_b32 v6, v6, v6, 0xc030201
	v_dot4_i32_iu8 v88, v95, v1, v88 neg_lo:[1,1,0]
	s_delay_alu instid0(VALU_DEP_1) | instskip(NEXT) | instid1(VALU_DEP_1)
	v_dot4_i32_iu8 v88, v92, v2, v88 neg_lo:[1,1,0]
	v_dot4_i32_iu8 v88, v93, v3, v88 neg_lo:[1,1,0]
	s_delay_alu instid0(VALU_DEP_1) | instskip(NEXT) | instid1(VALU_DEP_1)
	v_dot4_i32_iu8 v88, v90, v4, v88 neg_lo:[1,1,0]
	v_dot4_i32_iu8 v88, v91, v5, v88 neg_lo:[1,1,0]
	s_delay_alu instid0(VALU_DEP_1) | instskip(NEXT) | instid1(VALU_DEP_1)
	v_mad_i32_i24 v88, v165, v96, v88
	v_dot4_i32_iu8 v88, v174, v6, v88 neg_lo:[1,1,0]
	s_delay_alu instid0(VALU_DEP_1) | instskip(NEXT) | instid1(VALU_DEP_1)
	v_dot4_i32_iu8 v88, v89, v7, v88 neg_lo:[1,1,0]
	v_cvt_f32_i32_e32 v88, v88
	s_delay_alu instid0(VALU_DEP_1) | instskip(SKIP_2) | instid1(VALU_DEP_2)
	v_mul_f32_e32 v176, v116, v88
	v_dot4_i32_iu8 v88, v0, v98, 0 neg_lo:[1,1,0]
	v_mul_f32_e32 v116, v166, v84
	v_dot4_i32_iu8 v88, v1, v99, v88 neg_lo:[1,1,0]
	s_delay_alu instid0(VALU_DEP_1) | instskip(NEXT) | instid1(VALU_DEP_1)
	v_dot4_i32_iu8 v88, v2, v100, v88 neg_lo:[1,1,0]
	v_dot4_i32_iu8 v88, v3, v101, v88 neg_lo:[1,1,0]
	s_delay_alu instid0(VALU_DEP_1) | instskip(NEXT) | instid1(VALU_DEP_1)
	v_dot4_i32_iu8 v88, v4, v102, v88 neg_lo:[1,1,0]
	v_dot4_i32_iu8 v88, v5, v169, v88 neg_lo:[1,1,0]
	s_delay_alu instid0(VALU_DEP_1) | instskip(NEXT) | instid1(VALU_DEP_1)
	v_mad_i32_i24 v88, v96, v167, v88
	v_dot4_i32_iu8 v88, v6, v173, v88 neg_lo:[1,1,0]
	s_delay_alu instid0(VALU_DEP_1) | instskip(NEXT) | instid1(VALU_DEP_1)
	v_dot4_i32_iu8 v88, v7, v97, v88 neg_lo:[1,1,0]
	v_cvt_f32_i32_e32 v88, v88
	s_delay_alu instid0(VALU_DEP_1) | instskip(SKIP_3) | instid1(VALU_DEP_3)
	v_mul_f32_e32 v178, v116, v88
	v_dot4_i32_iu8 v88, v0, v108, 0 neg_lo:[1,1,0]
	v_dot4_i32_iu8 v0, v0, v114, 0 neg_lo:[1,1,0]
	v_mul_f32_e32 v116, v168, v84
	v_dot4_i32_iu8 v88, v1, v109, v88 neg_lo:[1,1,0]
	s_delay_alu instid0(VALU_DEP_3) | instskip(SKIP_1) | instid1(VALU_DEP_3)
	v_dot4_i32_iu8 v0, v1, v115, v0 neg_lo:[1,1,0]
	v_mul_f32_e32 v1, v103, v84
	v_dot4_i32_iu8 v88, v2, v110, v88 neg_lo:[1,1,0]
	s_delay_alu instid0(VALU_DEP_3) | instskip(NEXT) | instid1(VALU_DEP_2)
	v_dot4_i32_iu8 v0, v2, v104, v0 neg_lo:[1,1,0]
	v_dot4_i32_iu8 v88, v3, v111, v88 neg_lo:[1,1,0]
	s_delay_alu instid0(VALU_DEP_2) | instskip(NEXT) | instid1(VALU_DEP_2)
	v_dot4_i32_iu8 v0, v3, v105, v0 neg_lo:[1,1,0]
	v_dot4_i32_iu8 v88, v4, v112, v88 neg_lo:[1,1,0]
	s_delay_alu instid0(VALU_DEP_2) | instskip(SKIP_1) | instid1(VALU_DEP_3)
	v_dot4_i32_iu8 v0, v4, v86, v0 neg_lo:[1,1,0]
	v_add_nc_u32_e32 v4, s13, v61
	v_dot4_i32_iu8 v88, v5, v171, v88 neg_lo:[1,1,0]
	s_delay_alu instid0(VALU_DEP_3) | instskip(NEXT) | instid1(VALU_DEP_2)
	v_dot4_i32_iu8 v0, v5, v87, v0 neg_lo:[1,1,0]
	v_mad_i32_i24 v88, v96, v170, v88
	s_delay_alu instid0(VALU_DEP_2) | instskip(NEXT) | instid1(VALU_DEP_2)
	v_mad_i32_i24 v0, v96, v113, v0
	v_dot4_i32_iu8 v88, v6, v172, v88 neg_lo:[1,1,0]
	s_delay_alu instid0(VALU_DEP_2) | instskip(NEXT) | instid1(VALU_DEP_2)
	v_dot4_i32_iu8 v0, v6, v106, v0 neg_lo:[1,1,0]
	v_dot4_i32_iu8 v88, v7, v107, v88 neg_lo:[1,1,0]
	s_delay_alu instid0(VALU_DEP_2) | instskip(NEXT) | instid1(VALU_DEP_2)
	v_dot4_i32_iu8 v0, v7, v85, v0 neg_lo:[1,1,0]
	v_cvt_f32_i32_e32 v88, v88
	s_delay_alu instid0(VALU_DEP_2) | instskip(NEXT) | instid1(VALU_DEP_2)
	v_cvt_f32_i32_e32 v0, v0
	v_mul_f32_e32 v180, v116, v88
	s_delay_alu instid0(VALU_DEP_2)
	v_dual_mul_f32 v182, v1, v0 :: v_dual_add_nc_u32 v0, s15, v131
	ds_load_b32 v84, v0
	ds_load_b128 v[0:3], v4
	ds_load_b128 v[4:7], v4 offset:16
	s_wait_dscnt 0x2
	v_mul_f32_e32 v116, v117, v84
	s_wait_dscnt 0x1
	v_dot4_i32_iu8 v88, v94, v0, 0 neg_lo:[1,1,0]
	s_wait_dscnt 0x0
	v_perm_b32 v5, v5, v5, 0x7060100
	v_bfe_i32 v96, v6, 0, 8
	v_perm_b32 v6, v6, v6, 0xc030201
	v_dot4_i32_iu8 v88, v95, v1, v88 neg_lo:[1,1,0]
	s_delay_alu instid0(VALU_DEP_1) | instskip(NEXT) | instid1(VALU_DEP_1)
	v_dot4_i32_iu8 v88, v92, v2, v88 neg_lo:[1,1,0]
	v_dot4_i32_iu8 v88, v93, v3, v88 neg_lo:[1,1,0]
	s_delay_alu instid0(VALU_DEP_1) | instskip(NEXT) | instid1(VALU_DEP_1)
	v_dot4_i32_iu8 v88, v90, v4, v88 neg_lo:[1,1,0]
	v_dot4_i32_iu8 v88, v91, v5, v88 neg_lo:[1,1,0]
	s_delay_alu instid0(VALU_DEP_1) | instskip(NEXT) | instid1(VALU_DEP_1)
	v_mad_i32_i24 v88, v165, v96, v88
	v_dot4_i32_iu8 v88, v174, v6, v88 neg_lo:[1,1,0]
	s_delay_alu instid0(VALU_DEP_1) | instskip(NEXT) | instid1(VALU_DEP_1)
	v_dot4_i32_iu8 v88, v89, v7, v88 neg_lo:[1,1,0]
	v_cvt_f32_i32_e32 v88, v88
	s_delay_alu instid0(VALU_DEP_1) | instskip(SKIP_2) | instid1(VALU_DEP_3)
	v_mul_f32_e32 v177, v116, v88
	v_dot4_i32_iu8 v88, v0, v98, 0 neg_lo:[1,1,0]
	v_mul_f32_e32 v116, v166, v84
	v_pk_add_f32 v[22:23], v[22:23], v[176:177]
	s_delay_alu instid0(VALU_DEP_3) | instskip(NEXT) | instid1(VALU_DEP_1)
	v_dot4_i32_iu8 v88, v1, v99, v88 neg_lo:[1,1,0]
	v_dot4_i32_iu8 v88, v2, v100, v88 neg_lo:[1,1,0]
	s_delay_alu instid0(VALU_DEP_1) | instskip(NEXT) | instid1(VALU_DEP_1)
	v_dot4_i32_iu8 v88, v3, v101, v88 neg_lo:[1,1,0]
	v_dot4_i32_iu8 v88, v4, v102, v88 neg_lo:[1,1,0]
	s_delay_alu instid0(VALU_DEP_1) | instskip(NEXT) | instid1(VALU_DEP_1)
	v_dot4_i32_iu8 v88, v5, v169, v88 neg_lo:[1,1,0]
	v_mad_i32_i24 v88, v96, v167, v88
	s_delay_alu instid0(VALU_DEP_1) | instskip(NEXT) | instid1(VALU_DEP_1)
	v_dot4_i32_iu8 v88, v6, v173, v88 neg_lo:[1,1,0]
	v_dot4_i32_iu8 v88, v7, v97, v88 neg_lo:[1,1,0]
	s_delay_alu instid0(VALU_DEP_1) | instskip(NEXT) | instid1(VALU_DEP_1)
	v_cvt_f32_i32_e32 v88, v88
	v_mul_f32_e32 v179, v116, v88
	v_dot4_i32_iu8 v88, v0, v108, 0 neg_lo:[1,1,0]
	v_dot4_i32_iu8 v0, v0, v114, 0 neg_lo:[1,1,0]
	v_mul_f32_e32 v116, v168, v84
	s_delay_alu instid0(VALU_DEP_3) | instskip(NEXT) | instid1(VALU_DEP_3)
	v_dot4_i32_iu8 v88, v1, v109, v88 neg_lo:[1,1,0]
	v_dot4_i32_iu8 v0, v1, v115, v0 neg_lo:[1,1,0]
	v_mul_f32_e32 v1, v103, v84
	s_delay_alu instid0(VALU_DEP_3) | instskip(NEXT) | instid1(VALU_DEP_3)
	v_dot4_i32_iu8 v88, v2, v110, v88 neg_lo:[1,1,0]
	v_dot4_i32_iu8 v0, v2, v104, v0 neg_lo:[1,1,0]
	s_delay_alu instid0(VALU_DEP_2) | instskip(NEXT) | instid1(VALU_DEP_2)
	v_dot4_i32_iu8 v88, v3, v111, v88 neg_lo:[1,1,0]
	v_dot4_i32_iu8 v0, v3, v105, v0 neg_lo:[1,1,0]
	s_delay_alu instid0(VALU_DEP_2) | instskip(NEXT) | instid1(VALU_DEP_2)
	v_dot4_i32_iu8 v88, v4, v112, v88 neg_lo:[1,1,0]
	v_dot4_i32_iu8 v0, v4, v86, v0 neg_lo:[1,1,0]
	v_add_nc_u32_e32 v4, s13, v63
	s_delay_alu instid0(VALU_DEP_3) | instskip(NEXT) | instid1(VALU_DEP_3)
	v_dot4_i32_iu8 v88, v5, v171, v88 neg_lo:[1,1,0]
	v_dot4_i32_iu8 v0, v5, v87, v0 neg_lo:[1,1,0]
	s_delay_alu instid0(VALU_DEP_2) | instskip(NEXT) | instid1(VALU_DEP_2)
	v_mad_i32_i24 v88, v96, v170, v88
	v_mad_i32_i24 v0, v96, v113, v0
	s_delay_alu instid0(VALU_DEP_2) | instskip(NEXT) | instid1(VALU_DEP_2)
	v_dot4_i32_iu8 v88, v6, v172, v88 neg_lo:[1,1,0]
	v_dot4_i32_iu8 v0, v6, v106, v0 neg_lo:[1,1,0]
	s_delay_alu instid0(VALU_DEP_2) | instskip(NEXT) | instid1(VALU_DEP_2)
	v_dot4_i32_iu8 v88, v7, v107, v88 neg_lo:[1,1,0]
	v_dot4_i32_iu8 v0, v7, v85, v0 neg_lo:[1,1,0]
	s_delay_alu instid0(VALU_DEP_2) | instskip(NEXT) | instid1(VALU_DEP_2)
	v_cvt_f32_i32_e32 v88, v88
	v_cvt_f32_i32_e32 v0, v0
	s_delay_alu instid0(VALU_DEP_1)
	v_mul_f32_e32 v183, v1, v0
	v_add_nc_u32_e32 v0, s15, v132
	ds_load_b32 v84, v0
	ds_load_b128 v[0:3], v4
	ds_load_b128 v[4:7], v4 offset:16
	s_wait_dscnt 0x2
	v_mul_f32_e32 v176, v168, v84
	v_mul_f32_e32 v181, v116, v88
	s_wait_dscnt 0x1
	v_dot4_i32_iu8 v88, v94, v0, 0 neg_lo:[1,1,0]
	s_wait_dscnt 0x0
	v_perm_b32 v5, v5, v5, 0x7060100
	v_bfe_i32 v175, v6, 0, 8
	v_perm_b32 v6, v6, v6, 0xc030201
	v_mul_f32_e32 v96, v117, v84
	v_dot4_i32_iu8 v88, v95, v1, v88 neg_lo:[1,1,0]
	v_pk_add_f32 v[20:21], v[20:21], v[178:179]
	v_pk_add_f32 v[18:19], v[18:19], v[180:181]
	s_delay_alu instid0(VALU_DEP_3) | instskip(NEXT) | instid1(VALU_DEP_1)
	v_dot4_i32_iu8 v88, v92, v2, v88 neg_lo:[1,1,0]
	v_dot4_i32_iu8 v88, v93, v3, v88 neg_lo:[1,1,0]
	s_delay_alu instid0(VALU_DEP_1) | instskip(NEXT) | instid1(VALU_DEP_1)
	v_dot4_i32_iu8 v88, v90, v4, v88 neg_lo:[1,1,0]
	v_dot4_i32_iu8 v88, v91, v5, v88 neg_lo:[1,1,0]
	s_delay_alu instid0(VALU_DEP_1) | instskip(NEXT) | instid1(VALU_DEP_1)
	v_mad_i32_i24 v88, v165, v175, v88
	v_dot4_i32_iu8 v88, v174, v6, v88 neg_lo:[1,1,0]
	s_delay_alu instid0(VALU_DEP_1) | instskip(NEXT) | instid1(VALU_DEP_1)
	v_dot4_i32_iu8 v88, v89, v7, v88 neg_lo:[1,1,0]
	v_cvt_f32_i32_e32 v88, v88
	s_delay_alu instid0(VALU_DEP_1) | instskip(SKIP_2) | instid1(VALU_DEP_2)
	v_mul_f32_e32 v116, v96, v88
	v_dot4_i32_iu8 v88, v0, v98, 0 neg_lo:[1,1,0]
	v_mul_f32_e32 v96, v166, v84
	v_dot4_i32_iu8 v88, v1, v99, v88 neg_lo:[1,1,0]
	s_delay_alu instid0(VALU_DEP_1) | instskip(NEXT) | instid1(VALU_DEP_1)
	v_dot4_i32_iu8 v88, v2, v100, v88 neg_lo:[1,1,0]
	v_dot4_i32_iu8 v88, v3, v101, v88 neg_lo:[1,1,0]
	s_delay_alu instid0(VALU_DEP_1) | instskip(NEXT) | instid1(VALU_DEP_1)
	v_dot4_i32_iu8 v88, v4, v102, v88 neg_lo:[1,1,0]
	v_dot4_i32_iu8 v88, v5, v169, v88 neg_lo:[1,1,0]
	s_delay_alu instid0(VALU_DEP_1) | instskip(NEXT) | instid1(VALU_DEP_1)
	v_mad_i32_i24 v88, v175, v167, v88
	v_dot4_i32_iu8 v88, v6, v173, v88 neg_lo:[1,1,0]
	s_delay_alu instid0(VALU_DEP_1) | instskip(NEXT) | instid1(VALU_DEP_1)
	v_dot4_i32_iu8 v88, v7, v97, v88 neg_lo:[1,1,0]
	v_cvt_f32_i32_e32 v88, v88
	s_delay_alu instid0(VALU_DEP_1) | instskip(SKIP_2) | instid1(VALU_DEP_2)
	v_mul_f32_e32 v96, v96, v88
	v_dot4_i32_iu8 v88, v0, v108, 0 neg_lo:[1,1,0]
	v_dot4_i32_iu8 v0, v0, v114, 0 neg_lo:[1,1,0]
	;; [unrolled: 1-line block ×3, first 2 shown]
	s_delay_alu instid0(VALU_DEP_2) | instskip(SKIP_1) | instid1(VALU_DEP_3)
	v_dot4_i32_iu8 v0, v1, v115, v0 neg_lo:[1,1,0]
	v_mul_f32_e32 v1, v103, v84
	v_dot4_i32_iu8 v88, v2, v110, v88 neg_lo:[1,1,0]
	s_delay_alu instid0(VALU_DEP_3) | instskip(NEXT) | instid1(VALU_DEP_2)
	v_dot4_i32_iu8 v0, v2, v104, v0 neg_lo:[1,1,0]
	v_dot4_i32_iu8 v88, v3, v111, v88 neg_lo:[1,1,0]
	s_delay_alu instid0(VALU_DEP_2) | instskip(NEXT) | instid1(VALU_DEP_2)
	v_dot4_i32_iu8 v0, v3, v105, v0 neg_lo:[1,1,0]
	v_dot4_i32_iu8 v88, v4, v112, v88 neg_lo:[1,1,0]
	s_delay_alu instid0(VALU_DEP_2) | instskip(NEXT) | instid1(VALU_DEP_2)
	;; [unrolled: 3-line block ×3, first 2 shown]
	v_dot4_i32_iu8 v0, v5, v87, v0 neg_lo:[1,1,0]
	v_mad_i32_i24 v88, v175, v170, v88
	s_delay_alu instid0(VALU_DEP_2) | instskip(NEXT) | instid1(VALU_DEP_2)
	v_mad_i32_i24 v0, v175, v113, v0
	v_dot4_i32_iu8 v88, v6, v172, v88 neg_lo:[1,1,0]
	s_delay_alu instid0(VALU_DEP_2) | instskip(NEXT) | instid1(VALU_DEP_2)
	v_dot4_i32_iu8 v0, v6, v106, v0 neg_lo:[1,1,0]
	v_dot4_i32_iu8 v88, v7, v107, v88 neg_lo:[1,1,0]
	s_delay_alu instid0(VALU_DEP_2) | instskip(NEXT) | instid1(VALU_DEP_2)
	v_dot4_i32_iu8 v0, v7, v85, v0 neg_lo:[1,1,0]
	v_cvt_f32_i32_e32 v88, v88
	s_delay_alu instid0(VALU_DEP_2) | instskip(NEXT) | instid1(VALU_DEP_2)
	v_cvt_f32_i32_e32 v0, v0
	v_mul_f32_e32 v88, v176, v88
	s_delay_alu instid0(VALU_DEP_2)
	v_dual_mul_f32 v84, v1, v0 :: v_dual_add_nc_u32 v1, s15, v133
	v_add_nc_u32_e32 v0, s13, v126
	ds_load_b32 v175, v1
	ds_load_b128 v[4:7], v0
	ds_load_b128 v[0:3], v0 offset:16
	v_pk_add_f32 v[16:17], v[16:17], v[182:183]
	s_add_co_i32 s13, s12, 8
	s_cmp_lt_u32 s12, 24
	s_mov_b32 s12, s13
	s_wait_dscnt 0x1
	v_dot4_i32_iu8 v94, v94, v4, 0 neg_lo:[1,1,0]
	s_wait_dscnt 0x0
	v_perm_b32 v1, v1, v1, 0x7060100
	v_bfe_i32 v176, v2, 0, 8
	v_perm_b32 v2, v2, v2, 0xc030201
	v_dot4_i32_iu8 v94, v95, v5, v94 neg_lo:[1,1,0]
	s_delay_alu instid0(VALU_DEP_1) | instskip(NEXT) | instid1(VALU_DEP_1)
	v_dot4_i32_iu8 v92, v92, v6, v94 neg_lo:[1,1,0]
	v_dot4_i32_iu8 v92, v93, v7, v92 neg_lo:[1,1,0]
	s_delay_alu instid0(VALU_DEP_1) | instskip(NEXT) | instid1(VALU_DEP_1)
	v_dot4_i32_iu8 v90, v90, v0, v92 neg_lo:[1,1,0]
	v_dot4_i32_iu8 v90, v91, v1, v90 neg_lo:[1,1,0]
	s_delay_alu instid0(VALU_DEP_1) | instskip(NEXT) | instid1(VALU_DEP_1)
	v_mad_i32_i24 v90, v165, v176, v90
	v_dot4_i32_iu8 v90, v174, v2, v90 neg_lo:[1,1,0]
	s_delay_alu instid0(VALU_DEP_1) | instskip(SKIP_1) | instid1(VALU_DEP_2)
	v_dot4_i32_iu8 v89, v89, v3, v90 neg_lo:[1,1,0]
	v_mul_f32_e32 v90, v117, v175
	v_cvt_f32_i32_e32 v89, v89
	s_delay_alu instid0(VALU_DEP_1) | instskip(SKIP_2) | instid1(VALU_DEP_2)
	v_mul_f32_e32 v117, v90, v89
	v_dot4_i32_iu8 v89, v4, v98, 0 neg_lo:[1,1,0]
	v_mul_f32_e32 v90, v166, v175
	v_dot4_i32_iu8 v89, v5, v99, v89 neg_lo:[1,1,0]
	s_delay_alu instid0(VALU_DEP_1) | instskip(NEXT) | instid1(VALU_DEP_1)
	v_dot4_i32_iu8 v89, v6, v100, v89 neg_lo:[1,1,0]
	v_dot4_i32_iu8 v89, v7, v101, v89 neg_lo:[1,1,0]
	s_delay_alu instid0(VALU_DEP_1) | instskip(NEXT) | instid1(VALU_DEP_1)
	v_dot4_i32_iu8 v89, v0, v102, v89 neg_lo:[1,1,0]
	v_dot4_i32_iu8 v89, v1, v169, v89 neg_lo:[1,1,0]
	s_delay_alu instid0(VALU_DEP_1) | instskip(NEXT) | instid1(VALU_DEP_1)
	v_mad_i32_i24 v89, v176, v167, v89
	v_dot4_i32_iu8 v89, v2, v173, v89 neg_lo:[1,1,0]
	s_delay_alu instid0(VALU_DEP_1) | instskip(NEXT) | instid1(VALU_DEP_1)
	v_dot4_i32_iu8 v89, v3, v97, v89 neg_lo:[1,1,0]
	v_cvt_f32_i32_e32 v89, v89
	s_delay_alu instid0(VALU_DEP_1) | instskip(SKIP_3) | instid1(VALU_DEP_4)
	v_mul_f32_e32 v97, v90, v89
	v_dot4_i32_iu8 v89, v4, v108, 0 neg_lo:[1,1,0]
	v_dot4_i32_iu8 v4, v4, v114, 0 neg_lo:[1,1,0]
	v_pk_add_f32 v[14:15], v[14:15], v[116:117]
	v_pk_add_f32 v[12:13], v[12:13], v[96:97]
	s_delay_alu instid0(VALU_DEP_4) | instskip(NEXT) | instid1(VALU_DEP_4)
	v_dot4_i32_iu8 v89, v5, v109, v89 neg_lo:[1,1,0]
	v_dot4_i32_iu8 v4, v5, v115, v4 neg_lo:[1,1,0]
	s_delay_alu instid0(VALU_DEP_2) | instskip(NEXT) | instid1(VALU_DEP_2)
	v_dot4_i32_iu8 v89, v6, v110, v89 neg_lo:[1,1,0]
	v_dot4_i32_iu8 v4, v6, v104, v4 neg_lo:[1,1,0]
	s_delay_alu instid0(VALU_DEP_2) | instskip(NEXT) | instid1(VALU_DEP_2)
	;; [unrolled: 3-line block ×4, first 2 shown]
	v_dot4_i32_iu8 v89, v1, v171, v89 neg_lo:[1,1,0]
	v_dot4_i32_iu8 v0, v1, v87, v0 neg_lo:[1,1,0]
	v_mul_f32_e32 v1, v103, v175
	s_delay_alu instid0(VALU_DEP_3) | instskip(NEXT) | instid1(VALU_DEP_3)
	v_mad_i32_i24 v89, v176, v170, v89
	v_mad_i32_i24 v0, v176, v113, v0
	s_delay_alu instid0(VALU_DEP_2) | instskip(NEXT) | instid1(VALU_DEP_2)
	v_dot4_i32_iu8 v89, v2, v172, v89 neg_lo:[1,1,0]
	v_dot4_i32_iu8 v0, v2, v106, v0 neg_lo:[1,1,0]
	s_delay_alu instid0(VALU_DEP_2) | instskip(NEXT) | instid1(VALU_DEP_2)
	v_dot4_i32_iu8 v89, v3, v107, v89 neg_lo:[1,1,0]
	v_dot4_i32_iu8 v0, v3, v85, v0 neg_lo:[1,1,0]
	s_delay_alu instid0(VALU_DEP_2) | instskip(NEXT) | instid1(VALU_DEP_2)
	v_cvt_f32_i32_e32 v89, v89
	v_cvt_f32_i32_e32 v0, v0
	s_delay_alu instid0(VALU_DEP_1) | instskip(NEXT) | instid1(VALU_DEP_1)
	v_dual_mul_f32 v90, v168, v175 :: v_dual_mul_f32 v85, v1, v0
	v_mul_f32_e32 v89, v90, v89
	s_delay_alu instid0(VALU_DEP_2) | instskip(NEXT) | instid1(VALU_DEP_2)
	v_pk_add_f32 v[8:9], v[8:9], v[84:85]
	v_pk_add_f32 v[10:11], v[10:11], v[88:89]
	s_cbranch_scc1 .LBB165_6
; %bb.7:                                ;   in Loop: Header=BB165_5 Depth=1
	s_add_co_i32 s10, s10, 4
	s_delay_alu instid0(SALU_CYCLE_1)
	s_cmp_ge_i32 s10, s5
	s_barrier_signal -1
	s_barrier_wait -1
	s_cbranch_scc0 .LBB165_5
; %bb.8:
	v_dual_mov_b32 v1, v35 :: v_dual_mov_b32 v2, v41
.LBB165_9:
	s_wait_xcnt 0x0
	s_mov_b32 s0, exec_lo
	v_cmpx_gt_u32_e64 s4, v47
	s_cbranch_execz .LBB165_60
; %bb.10:
	v_mul_lo_u32 v5, v47, s6
	v_add_nc_u32_e32 v0, s14, v2
	s_delay_alu instid0(VALU_DEP_1)
	v_cmp_gt_u32_e32 vcc_lo, s6, v0
	s_and_saveexec_b32 s1, vcc_lo
	s_cbranch_execz .LBB165_12
; %bb.11:
	v_bfe_u32 v2, v44, 16, 1
	v_cmp_o_f32_e64 s0, v44, v44
	v_add_nc_u32_e32 v3, v0, v5
	s_delay_alu instid0(VALU_DEP_3) | instskip(NEXT) | instid1(VALU_DEP_1)
	v_add3_u32 v2, v44, v2, 0x7fff
	v_lshrrev_b32_e32 v2, 16, v2
	s_delay_alu instid0(VALU_DEP_1)
	v_cndmask_b32_e64 v2, 0x7fc0, v2, s0
	s_wait_kmcnt 0x0
	global_store_b16 v3, v2, s[8:9] scale_offset
.LBB165_12:
	s_wait_xcnt 0x0
	s_or_b32 exec_lo, exec_lo, s1
	v_add_nc_u32_e32 v2, 32, v0
	s_delay_alu instid0(VALU_DEP_1)
	v_cmp_gt_u32_e64 s0, s6, v2
	s_and_saveexec_b32 s2, s0
	s_cbranch_execz .LBB165_14
; %bb.13:
	v_bfe_u32 v3, v42, 16, 1
	v_cmp_o_f32_e64 s1, v42, v42
	v_add_nc_u32_e32 v4, v2, v5
	s_delay_alu instid0(VALU_DEP_3) | instskip(NEXT) | instid1(VALU_DEP_1)
	v_add3_u32 v3, v42, v3, 0x7fff
	v_lshrrev_b32_e32 v3, 16, v3
	s_delay_alu instid0(VALU_DEP_1)
	v_cndmask_b32_e64 v3, 0x7fc0, v3, s1
	s_wait_kmcnt 0x0
	global_store_b16 v4, v3, s[8:9] scale_offset
.LBB165_14:
	s_wait_xcnt 0x0
	s_or_b32 exec_lo, exec_lo, s2
	v_add_nc_u32_e32 v3, 64, v0
	s_delay_alu instid0(VALU_DEP_1)
	v_cmp_gt_u32_e64 s1, s6, v3
	s_and_saveexec_b32 s3, s1
	;; [unrolled: 19-line block ×3, first 2 shown]
	s_cbranch_execz .LBB165_18
; %bb.17:
	v_bfe_u32 v6, v32, 16, 1
	v_cmp_o_f32_e64 s3, v32, v32
	v_add_nc_u32_e32 v5, v4, v5
	s_delay_alu instid0(VALU_DEP_3) | instskip(NEXT) | instid1(VALU_DEP_1)
	v_add3_u32 v6, v32, v6, 0x7fff
	v_lshrrev_b32_e32 v6, 16, v6
	s_delay_alu instid0(VALU_DEP_1)
	v_cndmask_b32_e64 v6, 0x7fc0, v6, s3
	s_wait_kmcnt 0x0
	global_store_b16 v5, v6, s[8:9] scale_offset
.LBB165_18:
	s_wait_xcnt 0x0
	s_or_b32 exec_lo, exec_lo, s5
	v_add3_u32 v5, v1, s7, 8
	s_delay_alu instid0(VALU_DEP_1)
	v_cmp_gt_u32_e64 s3, s4, v5
	s_and_b32 exec_lo, exec_lo, s3
	s_cbranch_execz .LBB165_60
; %bb.19:
	v_mul_lo_u32 v5, v5, s6
	s_and_saveexec_b32 s5, vcc_lo
	s_cbranch_execnz .LBB165_61
; %bb.20:
	s_or_b32 exec_lo, exec_lo, s5
	s_and_saveexec_b32 s5, s0
	s_cbranch_execnz .LBB165_62
.LBB165_21:
	s_or_b32 exec_lo, exec_lo, s5
	s_and_saveexec_b32 s5, s1
	s_cbranch_execnz .LBB165_63
.LBB165_22:
	s_or_b32 exec_lo, exec_lo, s5
	s_and_saveexec_b32 s5, s2
	s_cbranch_execz .LBB165_24
.LBB165_23:
	v_bfe_u32 v6, v33, 16, 1
	v_cmp_o_f32_e64 s3, v33, v33
	v_add_nc_u32_e32 v5, v5, v4
	s_delay_alu instid0(VALU_DEP_3) | instskip(NEXT) | instid1(VALU_DEP_1)
	v_add3_u32 v6, v33, v6, 0x7fff
	v_lshrrev_b32_e32 v6, 16, v6
	s_delay_alu instid0(VALU_DEP_1)
	v_cndmask_b32_e64 v6, 0x7fc0, v6, s3
	s_wait_kmcnt 0x0
	global_store_b16 v5, v6, s[8:9] scale_offset
.LBB165_24:
	s_wait_xcnt 0x0
	s_or_b32 exec_lo, exec_lo, s5
	v_add3_u32 v5, v1, s7, 16
	s_delay_alu instid0(VALU_DEP_1)
	v_cmp_gt_u32_e64 s3, s4, v5
	s_and_b32 exec_lo, exec_lo, s3
	s_cbranch_execz .LBB165_60
; %bb.25:
	v_mul_lo_u32 v5, v5, s6
	s_and_saveexec_b32 s5, vcc_lo
	s_cbranch_execnz .LBB165_64
; %bb.26:
	s_or_b32 exec_lo, exec_lo, s5
	s_and_saveexec_b32 s5, s0
	s_cbranch_execnz .LBB165_65
.LBB165_27:
	s_or_b32 exec_lo, exec_lo, s5
	s_and_saveexec_b32 s5, s1
	s_cbranch_execnz .LBB165_66
.LBB165_28:
	s_or_b32 exec_lo, exec_lo, s5
	s_and_saveexec_b32 s5, s2
	s_cbranch_execz .LBB165_30
.LBB165_29:
	v_bfe_u32 v6, v24, 16, 1
	v_cmp_o_f32_e64 s3, v24, v24
	v_add_nc_u32_e32 v5, v5, v4
	s_delay_alu instid0(VALU_DEP_3) | instskip(NEXT) | instid1(VALU_DEP_1)
	v_add3_u32 v6, v24, v6, 0x7fff
	v_lshrrev_b32_e32 v6, 16, v6
	s_delay_alu instid0(VALU_DEP_1)
	v_cndmask_b32_e64 v6, 0x7fc0, v6, s3
	s_wait_kmcnt 0x0
	global_store_b16 v5, v6, s[8:9] scale_offset
.LBB165_30:
	s_wait_xcnt 0x0
	s_or_b32 exec_lo, exec_lo, s5
	v_add3_u32 v5, v1, s7, 24
	s_delay_alu instid0(VALU_DEP_1)
	v_cmp_gt_u32_e64 s3, s4, v5
	s_and_b32 exec_lo, exec_lo, s3
	s_cbranch_execz .LBB165_60
; %bb.31:
	v_mul_lo_u32 v5, v5, s6
	s_and_saveexec_b32 s5, vcc_lo
	s_cbranch_execnz .LBB165_67
; %bb.32:
	s_or_b32 exec_lo, exec_lo, s5
	s_and_saveexec_b32 s5, s0
	s_cbranch_execnz .LBB165_68
.LBB165_33:
	s_or_b32 exec_lo, exec_lo, s5
	s_and_saveexec_b32 s5, s1
	s_cbranch_execnz .LBB165_69
.LBB165_34:
	s_or_b32 exec_lo, exec_lo, s5
	s_and_saveexec_b32 s5, s2
	s_cbranch_execz .LBB165_36
.LBB165_35:
	v_bfe_u32 v6, v25, 16, 1
	v_cmp_o_f32_e64 s3, v25, v25
	v_add_nc_u32_e32 v5, v5, v4
	s_delay_alu instid0(VALU_DEP_3) | instskip(NEXT) | instid1(VALU_DEP_1)
	v_add3_u32 v6, v25, v6, 0x7fff
	v_lshrrev_b32_e32 v6, 16, v6
	s_delay_alu instid0(VALU_DEP_1)
	v_cndmask_b32_e64 v6, 0x7fc0, v6, s3
	s_wait_kmcnt 0x0
	global_store_b16 v5, v6, s[8:9] scale_offset
.LBB165_36:
	s_wait_xcnt 0x0
	s_or_b32 exec_lo, exec_lo, s5
	v_add3_u32 v5, v1, s7, 32
	s_delay_alu instid0(VALU_DEP_1)
	v_cmp_gt_u32_e64 s3, s4, v5
	s_and_b32 exec_lo, exec_lo, s3
	s_cbranch_execz .LBB165_60
; %bb.37:
	v_mul_lo_u32 v5, v5, s6
	s_and_saveexec_b32 s5, vcc_lo
	s_cbranch_execnz .LBB165_70
; %bb.38:
	s_or_b32 exec_lo, exec_lo, s5
	s_and_saveexec_b32 s5, s0
	s_cbranch_execnz .LBB165_71
.LBB165_39:
	s_or_b32 exec_lo, exec_lo, s5
	s_and_saveexec_b32 s5, s1
	s_cbranch_execnz .LBB165_72
.LBB165_40:
	s_or_b32 exec_lo, exec_lo, s5
	s_and_saveexec_b32 s5, s2
	s_cbranch_execz .LBB165_42
.LBB165_41:
	v_bfe_u32 v6, v16, 16, 1
	v_cmp_o_f32_e64 s3, v16, v16
	v_add_nc_u32_e32 v5, v5, v4
	s_delay_alu instid0(VALU_DEP_3) | instskip(NEXT) | instid1(VALU_DEP_1)
	v_add3_u32 v6, v16, v6, 0x7fff
	v_lshrrev_b32_e32 v6, 16, v6
	s_delay_alu instid0(VALU_DEP_1)
	v_cndmask_b32_e64 v6, 0x7fc0, v6, s3
	s_wait_kmcnt 0x0
	global_store_b16 v5, v6, s[8:9] scale_offset
.LBB165_42:
	s_wait_xcnt 0x0
	s_or_b32 exec_lo, exec_lo, s5
	v_add3_u32 v5, v1, s7, 40
	s_delay_alu instid0(VALU_DEP_1)
	v_cmp_gt_u32_e64 s3, s4, v5
	s_and_b32 exec_lo, exec_lo, s3
	s_cbranch_execz .LBB165_60
; %bb.43:
	v_mul_lo_u32 v5, v5, s6
	s_and_saveexec_b32 s5, vcc_lo
	s_cbranch_execnz .LBB165_73
; %bb.44:
	s_or_b32 exec_lo, exec_lo, s5
	s_and_saveexec_b32 s5, s0
	s_cbranch_execnz .LBB165_74
.LBB165_45:
	s_or_b32 exec_lo, exec_lo, s5
	s_and_saveexec_b32 s5, s1
	s_cbranch_execnz .LBB165_75
.LBB165_46:
	s_or_b32 exec_lo, exec_lo, s5
	s_and_saveexec_b32 s5, s2
	s_cbranch_execz .LBB165_48
.LBB165_47:
	v_bfe_u32 v6, v17, 16, 1
	v_cmp_o_f32_e64 s3, v17, v17
	v_add_nc_u32_e32 v5, v5, v4
	s_delay_alu instid0(VALU_DEP_3) | instskip(NEXT) | instid1(VALU_DEP_1)
	v_add3_u32 v6, v17, v6, 0x7fff
	v_lshrrev_b32_e32 v6, 16, v6
	s_delay_alu instid0(VALU_DEP_1)
	v_cndmask_b32_e64 v6, 0x7fc0, v6, s3
	s_wait_kmcnt 0x0
	global_store_b16 v5, v6, s[8:9] scale_offset
.LBB165_48:
	s_wait_xcnt 0x0
	s_or_b32 exec_lo, exec_lo, s5
	v_add3_u32 v5, v1, s7, 48
	s_delay_alu instid0(VALU_DEP_1)
	v_cmp_gt_u32_e64 s3, s4, v5
	s_and_b32 exec_lo, exec_lo, s3
	s_cbranch_execz .LBB165_60
; %bb.49:
	v_mul_lo_u32 v5, v5, s6
	s_and_saveexec_b32 s5, vcc_lo
	s_cbranch_execnz .LBB165_76
; %bb.50:
	s_or_b32 exec_lo, exec_lo, s5
	s_and_saveexec_b32 s5, s0
	s_cbranch_execnz .LBB165_77
.LBB165_51:
	s_or_b32 exec_lo, exec_lo, s5
	s_and_saveexec_b32 s5, s1
	s_cbranch_execnz .LBB165_78
.LBB165_52:
	s_or_b32 exec_lo, exec_lo, s5
	s_and_saveexec_b32 s5, s2
	s_cbranch_execz .LBB165_54
.LBB165_53:
	v_bfe_u32 v6, v8, 16, 1
	v_cmp_o_f32_e64 s3, v8, v8
	v_add_nc_u32_e32 v5, v5, v4
	s_delay_alu instid0(VALU_DEP_3) | instskip(NEXT) | instid1(VALU_DEP_1)
	v_add3_u32 v6, v8, v6, 0x7fff
	v_lshrrev_b32_e32 v6, 16, v6
	s_delay_alu instid0(VALU_DEP_1)
	v_cndmask_b32_e64 v6, 0x7fc0, v6, s3
	s_wait_kmcnt 0x0
	global_store_b16 v5, v6, s[8:9] scale_offset
.LBB165_54:
	s_wait_xcnt 0x0
	s_or_b32 exec_lo, exec_lo, s5
	v_add3_u32 v1, v1, s7, 56
	s_delay_alu instid0(VALU_DEP_1)
	v_cmp_gt_u32_e64 s3, s4, v1
	s_and_b32 exec_lo, exec_lo, s3
	s_cbranch_execz .LBB165_60
; %bb.55:
	v_mul_lo_u32 v1, v1, s6
	s_and_saveexec_b32 s3, vcc_lo
	s_cbranch_execnz .LBB165_79
; %bb.56:
	s_or_b32 exec_lo, exec_lo, s3
	s_and_saveexec_b32 s3, s0
	s_cbranch_execnz .LBB165_80
.LBB165_57:
	s_or_b32 exec_lo, exec_lo, s3
	s_and_saveexec_b32 s0, s1
	s_cbranch_execnz .LBB165_81
.LBB165_58:
	s_or_b32 exec_lo, exec_lo, s0
	s_delay_alu instid0(SALU_CYCLE_1)
	s_and_b32 exec_lo, exec_lo, s2
	s_cbranch_execz .LBB165_60
.LBB165_59:
	v_bfe_u32 v0, v9, 16, 1
	v_cmp_o_f32_e32 vcc_lo, v9, v9
	v_add_nc_u32_e32 v1, v1, v4
	s_delay_alu instid0(VALU_DEP_3) | instskip(NEXT) | instid1(VALU_DEP_1)
	v_add3_u32 v0, v9, v0, 0x7fff
	v_lshrrev_b32_e32 v0, 16, v0
	s_delay_alu instid0(VALU_DEP_1)
	v_cndmask_b32_e32 v0, 0x7fc0, v0, vcc_lo
	s_wait_kmcnt 0x0
	global_store_b16 v1, v0, s[8:9] scale_offset
.LBB165_60:
	s_sendmsg sendmsg(MSG_DEALLOC_VGPRS)
	s_endpgm
.LBB165_61:
	v_bfe_u32 v6, v45, 16, 1
	v_cmp_o_f32_e64 s3, v45, v45
	s_delay_alu instid0(VALU_DEP_3) | instskip(NEXT) | instid1(VALU_DEP_3)
	v_add_nc_u32_e32 v7, v5, v0
	v_add3_u32 v6, v45, v6, 0x7fff
	s_delay_alu instid0(VALU_DEP_1) | instskip(NEXT) | instid1(VALU_DEP_1)
	v_lshrrev_b32_e32 v6, 16, v6
	v_cndmask_b32_e64 v6, 0x7fc0, v6, s3
	s_wait_kmcnt 0x0
	global_store_b16 v7, v6, s[8:9] scale_offset
	s_wait_xcnt 0x0
	s_or_b32 exec_lo, exec_lo, s5
	s_and_saveexec_b32 s5, s0
	s_cbranch_execz .LBB165_21
.LBB165_62:
	v_bfe_u32 v6, v43, 16, 1
	v_cmp_o_f32_e64 s3, v43, v43
	s_delay_alu instid0(VALU_DEP_3) | instskip(NEXT) | instid1(VALU_DEP_3)
	v_add_nc_u32_e32 v7, v5, v2
	v_add3_u32 v6, v43, v6, 0x7fff
	s_delay_alu instid0(VALU_DEP_1) | instskip(NEXT) | instid1(VALU_DEP_1)
	v_lshrrev_b32_e32 v6, 16, v6
	v_cndmask_b32_e64 v6, 0x7fc0, v6, s3
	s_wait_kmcnt 0x0
	global_store_b16 v7, v6, s[8:9] scale_offset
	s_wait_xcnt 0x0
	s_or_b32 exec_lo, exec_lo, s5
	s_and_saveexec_b32 s5, s1
	s_cbranch_execz .LBB165_22
.LBB165_63:
	v_bfe_u32 v6, v39, 16, 1
	v_cmp_o_f32_e64 s3, v39, v39
	v_add_nc_u32_e32 v7, v5, v3
	s_delay_alu instid0(VALU_DEP_3) | instskip(NEXT) | instid1(VALU_DEP_1)
	v_add3_u32 v6, v39, v6, 0x7fff
	v_lshrrev_b32_e32 v6, 16, v6
	s_delay_alu instid0(VALU_DEP_1)
	v_cndmask_b32_e64 v6, 0x7fc0, v6, s3
	s_wait_kmcnt 0x0
	global_store_b16 v7, v6, s[8:9] scale_offset
	s_wait_xcnt 0x0
	s_or_b32 exec_lo, exec_lo, s5
	s_and_saveexec_b32 s5, s2
	s_cbranch_execnz .LBB165_23
	s_branch .LBB165_24
.LBB165_64:
	v_bfe_u32 v6, v30, 16, 1
	v_cmp_o_f32_e64 s3, v30, v30
	s_delay_alu instid0(VALU_DEP_3) | instskip(NEXT) | instid1(VALU_DEP_3)
	v_add_nc_u32_e32 v7, v5, v0
	v_add3_u32 v6, v30, v6, 0x7fff
	s_delay_alu instid0(VALU_DEP_1) | instskip(NEXT) | instid1(VALU_DEP_1)
	v_lshrrev_b32_e32 v6, 16, v6
	v_cndmask_b32_e64 v6, 0x7fc0, v6, s3
	s_wait_kmcnt 0x0
	global_store_b16 v7, v6, s[8:9] scale_offset
	s_wait_xcnt 0x0
	s_or_b32 exec_lo, exec_lo, s5
	s_and_saveexec_b32 s5, s0
	s_cbranch_execz .LBB165_27
.LBB165_65:
	v_bfe_u32 v6, v28, 16, 1
	v_cmp_o_f32_e64 s3, v28, v28
	s_delay_alu instid0(VALU_DEP_3) | instskip(NEXT) | instid1(VALU_DEP_3)
	v_add_nc_u32_e32 v7, v5, v2
	v_add3_u32 v6, v28, v6, 0x7fff
	s_delay_alu instid0(VALU_DEP_1) | instskip(NEXT) | instid1(VALU_DEP_1)
	v_lshrrev_b32_e32 v6, 16, v6
	v_cndmask_b32_e64 v6, 0x7fc0, v6, s3
	s_wait_kmcnt 0x0
	global_store_b16 v7, v6, s[8:9] scale_offset
	s_wait_xcnt 0x0
	s_or_b32 exec_lo, exec_lo, s5
	s_and_saveexec_b32 s5, s1
	s_cbranch_execz .LBB165_28
.LBB165_66:
	v_bfe_u32 v6, v26, 16, 1
	v_cmp_o_f32_e64 s3, v26, v26
	v_add_nc_u32_e32 v7, v5, v3
	s_delay_alu instid0(VALU_DEP_3) | instskip(NEXT) | instid1(VALU_DEP_1)
	v_add3_u32 v6, v26, v6, 0x7fff
	v_lshrrev_b32_e32 v6, 16, v6
	s_delay_alu instid0(VALU_DEP_1)
	v_cndmask_b32_e64 v6, 0x7fc0, v6, s3
	s_wait_kmcnt 0x0
	global_store_b16 v7, v6, s[8:9] scale_offset
	s_wait_xcnt 0x0
	s_or_b32 exec_lo, exec_lo, s5
	s_and_saveexec_b32 s5, s2
	s_cbranch_execnz .LBB165_29
	s_branch .LBB165_30
.LBB165_67:
	v_bfe_u32 v6, v31, 16, 1
	v_cmp_o_f32_e64 s3, v31, v31
	s_delay_alu instid0(VALU_DEP_3) | instskip(NEXT) | instid1(VALU_DEP_3)
	v_add_nc_u32_e32 v7, v5, v0
	v_add3_u32 v6, v31, v6, 0x7fff
	s_delay_alu instid0(VALU_DEP_1) | instskip(NEXT) | instid1(VALU_DEP_1)
	v_lshrrev_b32_e32 v6, 16, v6
	v_cndmask_b32_e64 v6, 0x7fc0, v6, s3
	s_wait_kmcnt 0x0
	global_store_b16 v7, v6, s[8:9] scale_offset
	s_wait_xcnt 0x0
	s_or_b32 exec_lo, exec_lo, s5
	s_and_saveexec_b32 s5, s0
	s_cbranch_execz .LBB165_33
.LBB165_68:
	v_bfe_u32 v6, v29, 16, 1
	v_cmp_o_f32_e64 s3, v29, v29
	s_delay_alu instid0(VALU_DEP_3) | instskip(NEXT) | instid1(VALU_DEP_3)
	v_add_nc_u32_e32 v7, v5, v2
	v_add3_u32 v6, v29, v6, 0x7fff
	s_delay_alu instid0(VALU_DEP_1) | instskip(NEXT) | instid1(VALU_DEP_1)
	v_lshrrev_b32_e32 v6, 16, v6
	v_cndmask_b32_e64 v6, 0x7fc0, v6, s3
	s_wait_kmcnt 0x0
	global_store_b16 v7, v6, s[8:9] scale_offset
	s_wait_xcnt 0x0
	s_or_b32 exec_lo, exec_lo, s5
	s_and_saveexec_b32 s5, s1
	s_cbranch_execz .LBB165_34
.LBB165_69:
	v_bfe_u32 v6, v27, 16, 1
	v_cmp_o_f32_e64 s3, v27, v27
	v_add_nc_u32_e32 v7, v5, v3
	s_delay_alu instid0(VALU_DEP_3) | instskip(NEXT) | instid1(VALU_DEP_1)
	v_add3_u32 v6, v27, v6, 0x7fff
	v_lshrrev_b32_e32 v6, 16, v6
	s_delay_alu instid0(VALU_DEP_1)
	v_cndmask_b32_e64 v6, 0x7fc0, v6, s3
	s_wait_kmcnt 0x0
	global_store_b16 v7, v6, s[8:9] scale_offset
	s_wait_xcnt 0x0
	s_or_b32 exec_lo, exec_lo, s5
	s_and_saveexec_b32 s5, s2
	s_cbranch_execnz .LBB165_35
	s_branch .LBB165_36
.LBB165_70:
	v_bfe_u32 v6, v22, 16, 1
	v_cmp_o_f32_e64 s3, v22, v22
	s_delay_alu instid0(VALU_DEP_3) | instskip(NEXT) | instid1(VALU_DEP_3)
	v_add_nc_u32_e32 v7, v5, v0
	v_add3_u32 v6, v22, v6, 0x7fff
	s_delay_alu instid0(VALU_DEP_1) | instskip(NEXT) | instid1(VALU_DEP_1)
	v_lshrrev_b32_e32 v6, 16, v6
	v_cndmask_b32_e64 v6, 0x7fc0, v6, s3
	s_wait_kmcnt 0x0
	global_store_b16 v7, v6, s[8:9] scale_offset
	s_wait_xcnt 0x0
	s_or_b32 exec_lo, exec_lo, s5
	s_and_saveexec_b32 s5, s0
	s_cbranch_execz .LBB165_39
.LBB165_71:
	v_bfe_u32 v6, v20, 16, 1
	v_cmp_o_f32_e64 s3, v20, v20
	s_delay_alu instid0(VALU_DEP_3) | instskip(NEXT) | instid1(VALU_DEP_3)
	v_add_nc_u32_e32 v7, v5, v2
	v_add3_u32 v6, v20, v6, 0x7fff
	s_delay_alu instid0(VALU_DEP_1) | instskip(NEXT) | instid1(VALU_DEP_1)
	v_lshrrev_b32_e32 v6, 16, v6
	v_cndmask_b32_e64 v6, 0x7fc0, v6, s3
	s_wait_kmcnt 0x0
	global_store_b16 v7, v6, s[8:9] scale_offset
	s_wait_xcnt 0x0
	s_or_b32 exec_lo, exec_lo, s5
	s_and_saveexec_b32 s5, s1
	s_cbranch_execz .LBB165_40
.LBB165_72:
	v_bfe_u32 v6, v18, 16, 1
	v_cmp_o_f32_e64 s3, v18, v18
	v_add_nc_u32_e32 v7, v5, v3
	s_delay_alu instid0(VALU_DEP_3) | instskip(NEXT) | instid1(VALU_DEP_1)
	v_add3_u32 v6, v18, v6, 0x7fff
	v_lshrrev_b32_e32 v6, 16, v6
	s_delay_alu instid0(VALU_DEP_1)
	v_cndmask_b32_e64 v6, 0x7fc0, v6, s3
	s_wait_kmcnt 0x0
	global_store_b16 v7, v6, s[8:9] scale_offset
	s_wait_xcnt 0x0
	s_or_b32 exec_lo, exec_lo, s5
	s_and_saveexec_b32 s5, s2
	s_cbranch_execnz .LBB165_41
	s_branch .LBB165_42
.LBB165_73:
	v_bfe_u32 v6, v23, 16, 1
	v_cmp_o_f32_e64 s3, v23, v23
	s_delay_alu instid0(VALU_DEP_3) | instskip(NEXT) | instid1(VALU_DEP_3)
	v_add_nc_u32_e32 v7, v5, v0
	v_add3_u32 v6, v23, v6, 0x7fff
	s_delay_alu instid0(VALU_DEP_1) | instskip(NEXT) | instid1(VALU_DEP_1)
	v_lshrrev_b32_e32 v6, 16, v6
	v_cndmask_b32_e64 v6, 0x7fc0, v6, s3
	s_wait_kmcnt 0x0
	global_store_b16 v7, v6, s[8:9] scale_offset
	s_wait_xcnt 0x0
	s_or_b32 exec_lo, exec_lo, s5
	s_and_saveexec_b32 s5, s0
	s_cbranch_execz .LBB165_45
.LBB165_74:
	v_bfe_u32 v6, v21, 16, 1
	v_cmp_o_f32_e64 s3, v21, v21
	s_delay_alu instid0(VALU_DEP_3) | instskip(NEXT) | instid1(VALU_DEP_3)
	v_add_nc_u32_e32 v7, v5, v2
	v_add3_u32 v6, v21, v6, 0x7fff
	s_delay_alu instid0(VALU_DEP_1) | instskip(NEXT) | instid1(VALU_DEP_1)
	v_lshrrev_b32_e32 v6, 16, v6
	v_cndmask_b32_e64 v6, 0x7fc0, v6, s3
	s_wait_kmcnt 0x0
	global_store_b16 v7, v6, s[8:9] scale_offset
	s_wait_xcnt 0x0
	s_or_b32 exec_lo, exec_lo, s5
	s_and_saveexec_b32 s5, s1
	s_cbranch_execz .LBB165_46
.LBB165_75:
	v_bfe_u32 v6, v19, 16, 1
	v_cmp_o_f32_e64 s3, v19, v19
	v_add_nc_u32_e32 v7, v5, v3
	s_delay_alu instid0(VALU_DEP_3) | instskip(NEXT) | instid1(VALU_DEP_1)
	v_add3_u32 v6, v19, v6, 0x7fff
	v_lshrrev_b32_e32 v6, 16, v6
	s_delay_alu instid0(VALU_DEP_1)
	v_cndmask_b32_e64 v6, 0x7fc0, v6, s3
	s_wait_kmcnt 0x0
	global_store_b16 v7, v6, s[8:9] scale_offset
	s_wait_xcnt 0x0
	s_or_b32 exec_lo, exec_lo, s5
	s_and_saveexec_b32 s5, s2
	s_cbranch_execnz .LBB165_47
	s_branch .LBB165_48
.LBB165_76:
	v_bfe_u32 v6, v14, 16, 1
	v_cmp_o_f32_e64 s3, v14, v14
	s_delay_alu instid0(VALU_DEP_3) | instskip(NEXT) | instid1(VALU_DEP_3)
	v_add_nc_u32_e32 v7, v5, v0
	v_add3_u32 v6, v14, v6, 0x7fff
	s_delay_alu instid0(VALU_DEP_1) | instskip(NEXT) | instid1(VALU_DEP_1)
	v_lshrrev_b32_e32 v6, 16, v6
	v_cndmask_b32_e64 v6, 0x7fc0, v6, s3
	s_wait_kmcnt 0x0
	global_store_b16 v7, v6, s[8:9] scale_offset
	s_wait_xcnt 0x0
	s_or_b32 exec_lo, exec_lo, s5
	s_and_saveexec_b32 s5, s0
	s_cbranch_execz .LBB165_51
.LBB165_77:
	v_bfe_u32 v6, v12, 16, 1
	v_cmp_o_f32_e64 s3, v12, v12
	s_delay_alu instid0(VALU_DEP_3) | instskip(NEXT) | instid1(VALU_DEP_3)
	v_add_nc_u32_e32 v7, v5, v2
	v_add3_u32 v6, v12, v6, 0x7fff
	s_delay_alu instid0(VALU_DEP_1) | instskip(NEXT) | instid1(VALU_DEP_1)
	v_lshrrev_b32_e32 v6, 16, v6
	v_cndmask_b32_e64 v6, 0x7fc0, v6, s3
	s_wait_kmcnt 0x0
	global_store_b16 v7, v6, s[8:9] scale_offset
	s_wait_xcnt 0x0
	s_or_b32 exec_lo, exec_lo, s5
	s_and_saveexec_b32 s5, s1
	s_cbranch_execz .LBB165_52
.LBB165_78:
	v_bfe_u32 v6, v10, 16, 1
	v_cmp_o_f32_e64 s3, v10, v10
	v_add_nc_u32_e32 v7, v5, v3
	s_delay_alu instid0(VALU_DEP_3) | instskip(NEXT) | instid1(VALU_DEP_1)
	v_add3_u32 v6, v10, v6, 0x7fff
	v_lshrrev_b32_e32 v6, 16, v6
	s_delay_alu instid0(VALU_DEP_1)
	v_cndmask_b32_e64 v6, 0x7fc0, v6, s3
	s_wait_kmcnt 0x0
	global_store_b16 v7, v6, s[8:9] scale_offset
	s_wait_xcnt 0x0
	s_or_b32 exec_lo, exec_lo, s5
	s_and_saveexec_b32 s5, s2
	s_cbranch_execnz .LBB165_53
	s_branch .LBB165_54
.LBB165_79:
	v_bfe_u32 v5, v15, 16, 1
	v_cmp_o_f32_e32 vcc_lo, v15, v15
	s_delay_alu instid0(VALU_DEP_3) | instskip(NEXT) | instid1(VALU_DEP_3)
	v_add_nc_u32_e32 v0, v1, v0
	v_add3_u32 v5, v15, v5, 0x7fff
	s_delay_alu instid0(VALU_DEP_1) | instskip(NEXT) | instid1(VALU_DEP_1)
	v_lshrrev_b32_e32 v5, 16, v5
	v_cndmask_b32_e32 v5, 0x7fc0, v5, vcc_lo
	s_wait_kmcnt 0x0
	global_store_b16 v0, v5, s[8:9] scale_offset
	s_wait_xcnt 0x0
	s_or_b32 exec_lo, exec_lo, s3
	s_and_saveexec_b32 s3, s0
	s_cbranch_execz .LBB165_57
.LBB165_80:
	v_bfe_u32 v0, v13, 16, 1
	v_cmp_o_f32_e32 vcc_lo, v13, v13
	s_delay_alu instid0(VALU_DEP_3) | instskip(NEXT) | instid1(VALU_DEP_3)
	v_add_nc_u32_e32 v2, v1, v2
	v_add3_u32 v0, v13, v0, 0x7fff
	s_delay_alu instid0(VALU_DEP_1) | instskip(NEXT) | instid1(VALU_DEP_1)
	v_lshrrev_b32_e32 v0, 16, v0
	v_cndmask_b32_e32 v0, 0x7fc0, v0, vcc_lo
	s_wait_kmcnt 0x0
	global_store_b16 v2, v0, s[8:9] scale_offset
	s_wait_xcnt 0x0
	s_or_b32 exec_lo, exec_lo, s3
	s_and_saveexec_b32 s0, s1
	s_cbranch_execz .LBB165_58
.LBB165_81:
	v_bfe_u32 v0, v11, 16, 1
	v_cmp_o_f32_e32 vcc_lo, v11, v11
	v_add_nc_u32_e32 v2, v1, v3
	s_delay_alu instid0(VALU_DEP_3) | instskip(NEXT) | instid1(VALU_DEP_1)
	v_add3_u32 v0, v11, v0, 0x7fff
	v_lshrrev_b32_e32 v0, 16, v0
	s_delay_alu instid0(VALU_DEP_1) | instskip(SKIP_4) | instid1(SALU_CYCLE_1)
	v_cndmask_b32_e32 v0, 0x7fc0, v0, vcc_lo
	s_wait_kmcnt 0x0
	global_store_b16 v2, v0, s[8:9] scale_offset
	s_wait_xcnt 0x0
	s_or_b32 exec_lo, exec_lo, s0
	s_and_b32 exec_lo, exec_lo, s2
	s_cbranch_execnz .LBB165_59
	s_branch .LBB165_60
	.section	.rodata,"a",@progbits
	.p2align	6, 0x0
	.amdhsa_kernel _ZL12mul_mat_q8_0IN3c108BFloat16ELb0EEvPKvS3_PT_iiiii
		.amdhsa_group_segment_fixed_size 28224
		.amdhsa_private_segment_fixed_size 0
		.amdhsa_kernarg_size 44
		.amdhsa_user_sgpr_count 2
		.amdhsa_user_sgpr_dispatch_ptr 0
		.amdhsa_user_sgpr_queue_ptr 0
		.amdhsa_user_sgpr_kernarg_segment_ptr 1
		.amdhsa_user_sgpr_dispatch_id 0
		.amdhsa_user_sgpr_kernarg_preload_length 0
		.amdhsa_user_sgpr_kernarg_preload_offset 0
		.amdhsa_user_sgpr_private_segment_size 0
		.amdhsa_wavefront_size32 1
		.amdhsa_uses_dynamic_stack 0
		.amdhsa_enable_private_segment 0
		.amdhsa_system_sgpr_workgroup_id_x 1
		.amdhsa_system_sgpr_workgroup_id_y 1
		.amdhsa_system_sgpr_workgroup_id_z 0
		.amdhsa_system_sgpr_workgroup_info 0
		.amdhsa_system_vgpr_workitem_id 1
		.amdhsa_next_free_vgpr 184
		.amdhsa_next_free_sgpr 21
		.amdhsa_named_barrier_count 0
		.amdhsa_reserve_vcc 1
		.amdhsa_float_round_mode_32 0
		.amdhsa_float_round_mode_16_64 0
		.amdhsa_float_denorm_mode_32 3
		.amdhsa_float_denorm_mode_16_64 3
		.amdhsa_fp16_overflow 0
		.amdhsa_memory_ordered 1
		.amdhsa_forward_progress 1
		.amdhsa_inst_pref_size 86
		.amdhsa_round_robin_scheduling 0
		.amdhsa_exception_fp_ieee_invalid_op 0
		.amdhsa_exception_fp_denorm_src 0
		.amdhsa_exception_fp_ieee_div_zero 0
		.amdhsa_exception_fp_ieee_overflow 0
		.amdhsa_exception_fp_ieee_underflow 0
		.amdhsa_exception_fp_ieee_inexact 0
		.amdhsa_exception_int_div_zero 0
	.end_amdhsa_kernel
	.section	.text._ZL12mul_mat_q8_0IN3c108BFloat16ELb0EEvPKvS3_PT_iiiii,"axG",@progbits,_ZL12mul_mat_q8_0IN3c108BFloat16ELb0EEvPKvS3_PT_iiiii,comdat
.Lfunc_end165:
	.size	_ZL12mul_mat_q8_0IN3c108BFloat16ELb0EEvPKvS3_PT_iiiii, .Lfunc_end165-_ZL12mul_mat_q8_0IN3c108BFloat16ELb0EEvPKvS3_PT_iiiii
                                        ; -- End function
	.set _ZL12mul_mat_q8_0IN3c108BFloat16ELb0EEvPKvS3_PT_iiiii.num_vgpr, 184
	.set _ZL12mul_mat_q8_0IN3c108BFloat16ELb0EEvPKvS3_PT_iiiii.num_agpr, 0
	.set _ZL12mul_mat_q8_0IN3c108BFloat16ELb0EEvPKvS3_PT_iiiii.numbered_sgpr, 21
	.set _ZL12mul_mat_q8_0IN3c108BFloat16ELb0EEvPKvS3_PT_iiiii.num_named_barrier, 0
	.set _ZL12mul_mat_q8_0IN3c108BFloat16ELb0EEvPKvS3_PT_iiiii.private_seg_size, 0
	.set _ZL12mul_mat_q8_0IN3c108BFloat16ELb0EEvPKvS3_PT_iiiii.uses_vcc, 1
	.set _ZL12mul_mat_q8_0IN3c108BFloat16ELb0EEvPKvS3_PT_iiiii.uses_flat_scratch, 0
	.set _ZL12mul_mat_q8_0IN3c108BFloat16ELb0EEvPKvS3_PT_iiiii.has_dyn_sized_stack, 0
	.set _ZL12mul_mat_q8_0IN3c108BFloat16ELb0EEvPKvS3_PT_iiiii.has_recursion, 0
	.set _ZL12mul_mat_q8_0IN3c108BFloat16ELb0EEvPKvS3_PT_iiiii.has_indirect_call, 0
	.section	.AMDGPU.csdata,"",@progbits
; Kernel info:
; codeLenInByte = 10912
; TotalNumSgprs: 23
; NumVgprs: 184
; ScratchSize: 0
; MemoryBound: 0
; FloatMode: 240
; IeeeMode: 1
; LDSByteSize: 28224 bytes/workgroup (compile time only)
; SGPRBlocks: 0
; VGPRBlocks: 11
; NumSGPRsForWavesPerEU: 23
; NumVGPRsForWavesPerEU: 184
; NamedBarCnt: 0
; Occupancy: 5
; WaveLimiterHint : 0
; COMPUTE_PGM_RSRC2:SCRATCH_EN: 0
; COMPUTE_PGM_RSRC2:USER_SGPR: 2
; COMPUTE_PGM_RSRC2:TRAP_HANDLER: 0
; COMPUTE_PGM_RSRC2:TGID_X_EN: 1
; COMPUTE_PGM_RSRC2:TGID_Y_EN: 1
; COMPUTE_PGM_RSRC2:TGID_Z_EN: 0
; COMPUTE_PGM_RSRC2:TIDIG_COMP_CNT: 1
	.section	.text._ZL12mul_mat_q8_0IN3c108BFloat16ELb1EEvPKvS3_PT_iiiii,"axG",@progbits,_ZL12mul_mat_q8_0IN3c108BFloat16ELb1EEvPKvS3_PT_iiiii,comdat
	.globl	_ZL12mul_mat_q8_0IN3c108BFloat16ELb1EEvPKvS3_PT_iiiii ; -- Begin function _ZL12mul_mat_q8_0IN3c108BFloat16ELb1EEvPKvS3_PT_iiiii
	.p2align	8
	.type	_ZL12mul_mat_q8_0IN3c108BFloat16ELb1EEvPKvS3_PT_iiiii,@function
_ZL12mul_mat_q8_0IN3c108BFloat16ELb1EEvPKvS3_PT_iiiii: ; @_ZL12mul_mat_q8_0IN3c108BFloat16ELb1EEvPKvS3_PT_iiiii
; %bb.0:
	s_clause 0x1
	s_load_b128 s[4:7], s[0:1], 0x18
	s_load_b32 s12, s[0:1], 0x28
	s_bfe_u32 s2, ttmp6, 0x4000c
	s_bfe_u32 s8, ttmp6, 0x40010
	s_add_co_i32 s2, s2, 1
	s_and_b32 s3, ttmp6, 15
	s_mul_i32 s2, ttmp9, s2
	s_add_co_i32 s8, s8, 1
	s_add_co_i32 s3, s3, s2
	s_mul_i32 s2, ttmp7, s8
	s_bfe_u32 s8, ttmp6, 0x40004
	s_getreg_b32 s9, hwreg(HW_REG_IB_STS2, 6, 4)
	s_add_co_i32 s8, s8, s2
	s_cmp_eq_u32 s9, 0
	v_bfe_u32 v43, v0, 10, 10
	s_cselect_b32 s8, ttmp7, s8
	v_and_b32_e32 v45, 0x3ff, v0
	s_cselect_b32 s2, ttmp9, s3
	s_lshl_b32 s13, s8, 6
	s_mov_b32 s3, 0
	s_wait_kmcnt 0x0
	s_cmp_gt_i32 s4, 31
	s_cbranch_scc1 .LBB166_2
; %bb.1:
	v_bfe_u32 v1, v0, 10, 10
	v_and_b32_e32 v2, 0x3ff, v0
	s_delay_alu instid0(VALU_DEP_2)
	v_add_nc_u32_e32 v47, s13, v1
	s_branch .LBB166_3
.LBB166_2:
	s_mov_b32 s3, -1
                                        ; implicit-def: $vgpr1
                                        ; implicit-def: $vgpr2
                                        ; implicit-def: $vgpr47
.LBB166_3:
	s_load_b64 s[8:9], s[0:1], 0x10
	v_dual_mov_b32 v9, 0 :: v_dual_mov_b32 v8, 0
	v_dual_mov_b32 v17, 0 :: v_dual_mov_b32 v16, 0
	;; [unrolled: 1-line block ×16, first 2 shown]
	s_and_not1_b32 vcc_lo, exec_lo, s3
	s_lshl_b32 s14, s2, 7
	s_cbranch_vccnz .LBB166_9
; %bb.4:
	v_dual_add_nc_u32 v47, s13, v43 :: v_dual_mov_b32 v41, 0
	s_add_co_i32 s15, s6, -1
	v_bfe_u32 v27, v0, 2, 8
	v_cvt_f64_i32_e32 v[2:3], s15
	s_delay_alu instid0(VALU_DEP_3) | instskip(SKIP_3) | instid1(VALU_DEP_4)
	v_dual_add_nc_u32 v1, 8, v47 :: v_dual_add_nc_u32 v8, 16, v47
	v_cvt_f64_u32_e32 v[4:5], v47
	v_dual_add_nc_u32 v10, 24, v47 :: v_dual_add_nc_u32 v12, 32, v47
	v_add_nc_u32_e32 v14, 40, v47
	v_cvt_f64_u32_e32 v[6:7], v1
	v_cvt_f64_u32_e32 v[8:9], v8
	v_dual_add_nc_u32 v1, 48, v47 :: v_dual_add_nc_u32 v18, 56, v47
	v_cvt_f64_u32_e32 v[10:11], v10
	v_cvt_f64_u32_e32 v[12:13], v12
	;; [unrolled: 1-line block ×3, first 2 shown]
	s_delay_alu instid0(VALU_DEP_4)
	v_cvt_f64_u32_e32 v[16:17], v1
	v_lshlrev_b32_e32 v1, 2, v45
	v_cvt_f64_u32_e32 v[18:19], v18
	s_not_b32 s16, s14
	v_dual_add_nc_u32 v20, 8, v43 :: v_dual_add_nc_u32 v21, 16, v43
	s_add_co_i32 s16, s5, s16
	v_lshl_add_u32 v27, v43, 3, v27
	v_dual_add_nc_u32 v24, 40, v43 :: v_dual_add_nc_u32 v25, 48, v43
	v_dual_add_nc_u32 v22, 24, v43 :: v_dual_add_nc_u32 v23, 32, v43
	s_delay_alu instid0(VALU_DEP_3) | instskip(SKIP_2) | instid1(VALU_DEP_4)
	v_min_i32_e32 v36, s16, v27
	v_add_min_i32_e64 v37, v27, 64, s16
	v_dual_add_nc_u32 v26, 56, v43 :: v_dual_bitop2_b32 v42, 3, v0 bitop3:0x40
	v_min_i32_e32 v31, s16, v23
	s_ashr_i32 s10, s4, 31
	s_delay_alu instid0(VALU_DEP_3)
	v_ashrrev_i32_e32 v39, 31, v37
	v_and_b32_e32 v40, 28, v1
	s_ashr_i32 s11, s7, 31
	v_min_num_f64_e32 v[4:5], v[4:5], v[2:3]
	s_wait_xcnt 0x0
	s_load_b128 s[0:3], s[0:1], 0x0
	s_lshr_b32 s10, s10, 27
	v_dual_min_num_f64 v[6:7], v[6:7], v[2:3] :: v_dual_min_i32 v29, s16, v21
	v_dual_min_num_f64 v[8:9], v[8:9], v[2:3] :: v_dual_min_i32 v32, s16, v24
	;; [unrolled: 1-line block ×3, first 2 shown]
	v_min_num_f64_e32 v[12:13], v[12:13], v[2:3]
	v_dual_min_num_f64 v[14:15], v[14:15], v[2:3] :: v_dual_lshlrev_b32 v51, 7, v20
	v_dual_min_num_f64 v[16:17], v[16:17], v[2:3] :: v_dual_lshlrev_b32 v53, 7, v21
	v_dual_min_num_f64 v[2:3], v[18:19], v[2:3] :: v_dual_ashrrev_i32 v38, 31, v36
	v_min_i32_e32 v19, s16, v20
	v_dual_lshlrev_b32 v35, 2, v42 :: v_dual_min_i32 v18, s16, v43
	s_lshr_b32 s11, s11, 27
	s_add_co_i32 s4, s4, s10
	s_add_co_i32 s10, s7, s11
	v_dual_lshlrev_b32 v49, 7, v43 :: v_dual_bitop2_b32 v28, 31, v0 bitop3:0x40
	s_ashr_i32 s17, s10, 5
	v_dual_lshlrev_b32 v55, 7, v22 :: v_dual_min_i32 v30, s16, v22
	v_dual_lshlrev_b32 v57, 7, v23 :: v_dual_min_i32 v34, s16, v26
	s_delay_alu instid0(VALU_DEP_3)
	v_lshl_or_b32 v28, v28, 2, 0x4200
	s_ashr_i32 s7, s4, 5
	v_mad_u32 v139, 0x84, v18, v1
	v_cvt_i32_f64_e32 v4, v[4:5]
	s_mul_i32 s4, s7, s14
	v_mad_u32 v140, 0x84, v19, v1
	v_lshlrev_b32_e32 v59, 7, v24
	v_cvt_i32_f64_e32 v5, v[6:7]
	v_cvt_i32_f64_e32 v6, v[8:9]
	v_lshlrev_b32_e32 v118, 7, v26
	v_mad_u32 v141, 0x84, v29, v1
	v_cvt_i32_f64_e32 v7, v[10:11]
	v_cvt_i32_f64_e32 v8, v[12:13]
	;; [unrolled: 1-line block ×3, first 2 shown]
	v_lshrrev_b32_e32 v11, 29, v38
	v_cvt_i32_f64_e32 v10, v[16:17]
	v_lshrrev_b32_e32 v12, 29, v39
	v_cvt_i32_f64_e32 v2, v[2:3]
	v_dual_lshlrev_b32 v14, 4, v36 :: v_dual_bitop2_b32 v3, 63, v27 bitop3:0x40
	s_delay_alu instid0(VALU_DEP_3) | instskip(SKIP_1) | instid1(VALU_DEP_3)
	v_dual_lshlrev_b32 v15, 4, v37 :: v_dual_add_nc_u32 v12, v37, v12
	v_add_nc_u32_e32 v11, v36, v11
	v_or_b32_e32 v13, s13, v3
	v_lshl_or_b32 v3, v3, 4, v35
	v_mad_u32 v142, 0x84, v30, v1
	s_delay_alu instid0(VALU_DEP_4) | instskip(NEXT) | instid1(VALU_DEP_4)
	v_dual_ashrrev_i32 v12, 3, v12 :: v_dual_ashrrev_i32 v11, 3, v11
	v_min_i32_e32 v13, s15, v13
	s_delay_alu instid0(VALU_DEP_4) | instskip(SKIP_1) | instid1(VALU_DEP_4)
	v_add_nc_u32_e32 v61, 0x6a40, v3
	v_mad_u32 v143, 0x84, v31, v1
	v_dual_lshlrev_b32 v12, 2, v12 :: v_dual_lshlrev_b32 v11, 2, v11
	s_delay_alu instid0(VALU_DEP_4)
	v_mad_u32 v63, v13, s17, v42
	v_mad_u32 v144, 0x84, v32, v1
	v_mul_lo_u32 v65, s17, v4
	v_add_nc_u32_e32 v4, 32, v45
	v_add3_u32 v3, v11, v35, 0x6200
	v_add3_u32 v11, v12, v35, 0x6200
	v_mul_lo_u32 v67, s17, v5
	v_mul_lo_u32 v69, s17, v6
	v_add_nc_u32_e32 v5, 64, v45
	v_add_nc_u32_e32 v6, 0x60, v45
	v_mul_lo_u32 v71, s17, v7
	v_mul_lo_u32 v73, s17, v8
	;; [unrolled: 1-line block ×3, first 2 shown]
	v_lshlrev_b32_e32 v79, 7, v25
	v_mul_lo_u32 v77, s17, v10
	v_dual_lshrrev_b32 v7, 3, v5 :: v_dual_lshrrev_b32 v8, 3, v6
	v_mul_lo_u32 v81, s17, v2
	v_dual_lshrrev_b32 v2, 3, v4 :: v_dual_lshlrev_b32 v125, 4, v26
	v_dual_lshlrev_b32 v126, 4, v4 :: v_dual_lshlrev_b32 v127, 4, v5
	v_lshlrev_b32_e32 v128, 4, v6
	v_dual_add_nc_u32 v129, v3, v14 :: v_dual_add_nc_u32 v131, v28, v49
	v_dual_add_nc_u32 v130, v11, v15 :: v_dual_add_nc_u32 v133, v28, v53
	v_add_min_i32_e64 v3, v43, 64, s16
	v_add_min_i32_e64 v4, 0x48, v43, s16
	v_add_min_i32_e64 v5, 0x50, v43, s16
	v_add_min_i32_e64 v6, 0x58, v43, s16
	v_add_min_i32_e64 v9, 0x60, v43, s16
	v_add_min_i32_e64 v10, 0x68, v43, s16
	v_add_min_i32_e64 v11, 0x70, v43, s16
	v_add_min_i32_e64 v12, 0x78, v43, s16
	v_mad_u32 v145, 0x84, v33, v1
	v_mad_u32 v146, 0x84, v34, v1
	v_mad_u32 v147, 0x84, v3, v1
	v_mad_u32 v148, 0x84, v4, v1
	v_mad_u32 v149, 0x84, v5, v1
	v_mad_u32 v150, 0x84, v6, v1
	v_mad_u32 v151, 0x84, v9, v1
	v_mad_u32 v152, 0x84, v10, v1
	v_mad_u32 v153, 0x84, v11, v1
	v_mad_u32 v154, 0x84, v12, v1
	v_mul_lo_u32 v46, v18, s7
	v_mul_lo_u32 v48, v19, s7
	;; [unrolled: 1-line block ×18, first 2 shown]
	v_bfe_u32 v44, v0, 3, 7
	s_ashr_i32 s5, s4, 31
	v_dual_lshlrev_b32 v119, 4, v20 :: v_dual_lshlrev_b32 v120, 4, v21
	s_mul_u64 s[10:11], s[4:5], 34
	v_dual_lshlrev_b32 v121, 4, v22 :: v_dual_lshlrev_b32 v122, 4, v23
	v_dual_lshlrev_b32 v123, 4, v24 :: v_dual_lshlrev_b32 v124, 4, v25
	s_movk_i32 s4, 0x1080
	s_movk_i32 s5, 0x2100
	;; [unrolled: 1-line block ×3, first 2 shown]
	v_dual_add_nc_u32 v132, v28, v51 :: v_dual_add_nc_u32 v135, v28, v57
	v_dual_add_nc_u32 v134, v28, v55 :: v_dual_add_nc_u32 v138, v28, v118
	v_dual_add_nc_u32 v136, v28, v59 :: v_dual_lshlrev_b32 v155, 2, v1
	v_dual_add_nc_u32 v137, v28, v79 :: v_dual_lshlrev_b32 v156, 2, v2
	v_dual_lshlrev_b32 v157, 2, v7 :: v_dual_lshlrev_b32 v158, 2, v8
	s_wait_kmcnt 0x0
	v_add_nc_u64_e32 v[82:83], s[2:3], v[40:41]
	v_mov_b64_e32 v[38:39], 0
	v_mov_b64_e32 v[30:31], 0
	v_mov_b64_e32 v[22:23], 0
	v_mov_b64_e32 v[14:15], 0
	v_mov_b64_e32 v[36:37], 0
	v_mov_b64_e32 v[28:29], 0
	v_mov_b64_e32 v[20:21], 0
	v_mov_b64_e32 v[12:13], 0
	v_mov_b64_e32 v[34:35], 0
	v_mov_b64_e32 v[26:27], 0
	v_mov_b64_e32 v[18:19], 0
	v_mov_b64_e32 v[10:11], 0
	v_mov_b64_e32 v[32:33], 0
	v_mov_b64_e32 v[24:25], 0
	v_mov_b64_e32 v[16:17], 0
	v_mov_b64_e32 v[8:9], 0
	v_dual_lshlrev_b32 v159, 4, v43 :: v_dual_lshlrev_b32 v164, 2, v44
	v_mul_u32_u24_e32 v160, 0x84, v45
	v_mad_u32_u24 v161, 0x84, v45, s4
	v_mad_u32_u24 v162, 0x84, v45, s5
	;; [unrolled: 1-line block ×3, first 2 shown]
	s_mov_b32 s5, 0
	s_add_nc_u64 s[0:1], s[0:1], s[10:11]
	s_mov_b32 s4, s5
.LBB166_5:                              ; =>This Loop Header: Depth=1
                                        ;     Child Loop BB166_6 Depth 2
	s_delay_alu instid0(SALU_CYCLE_1) | instskip(NEXT) | instid1(SALU_CYCLE_1)
	s_mul_u64 s[10:11], s[4:5], 34
	s_add_nc_u64 s[10:11], s[0:1], s[10:11]
	s_delay_alu instid0(SALU_CYCLE_1) | instskip(NEXT) | instid1(VALU_DEP_1)
	v_mad_nc_u64_u32 v[0:1], v44, 34, s[10:11]
	v_mad_nc_i64_i32 v[2:3], v46, 34, v[0:1]
	s_delay_alu instid0(VALU_DEP_1) | instskip(SKIP_4) | instid1(VALU_DEP_1)
	v_add_nc_u64_e32 v[2:3], v[2:3], v[40:41]
	global_load_b32 v2, v[2:3], off offset:2
	s_wait_loadcnt 0x0
	ds_store_b32 v139, v2
	v_mad_nc_i64_i32 v[2:3], v48, 34, v[0:1]
	v_add_nc_u64_e32 v[2:3], v[2:3], v[40:41]
	global_load_b32 v2, v[2:3], off offset:2
	s_wait_loadcnt 0x0
	ds_store_b32 v140, v2
	v_mad_nc_i64_i32 v[2:3], v50, 34, v[0:1]
	s_delay_alu instid0(VALU_DEP_1) | instskip(SKIP_4) | instid1(VALU_DEP_1)
	v_add_nc_u64_e32 v[2:3], v[2:3], v[40:41]
	global_load_b32 v2, v[2:3], off offset:2
	s_wait_loadcnt 0x0
	ds_store_b32 v141, v2
	v_mad_nc_i64_i32 v[2:3], v52, 34, v[0:1]
	v_add_nc_u64_e32 v[2:3], v[2:3], v[40:41]
	global_load_b32 v2, v[2:3], off offset:2
	s_wait_loadcnt 0x0
	ds_store_b32 v142, v2
	;; [unrolled: 11-line block ×7, first 2 shown]
	v_mad_nc_i64_i32 v[2:3], v74, 34, v[0:1]
	v_mad_nc_i64_i32 v[0:1], v76, 34, v[0:1]
	s_delay_alu instid0(VALU_DEP_2) | instskip(NEXT) | instid1(VALU_DEP_2)
	v_add_nc_u64_e32 v[2:3], v[2:3], v[40:41]
	v_add_nc_u64_e32 v[0:1], v[0:1], v[40:41]
	s_clause 0x1
	global_load_b32 v2, v[2:3], off offset:2
	global_load_b32 v0, v[0:1], off offset:2
	s_wait_loadcnt 0x1
	ds_store_b32 v153, v2
	s_wait_loadcnt 0x0
	ds_store_b32 v154, v0
	v_mad_nc_u64_u32 v[0:1], v42, 34, s[10:11]
	s_mov_b32 s10, 0
	s_delay_alu instid0(VALU_DEP_1)
	v_mad_nc_i64_i32 v[2:3], v78, 34, v[0:1]
	v_mad_nc_i64_i32 v[0:1], v80, 34, v[0:1]
	s_clause 0x1
	global_load_u16 v2, v[2:3], off
	global_load_u16 v0, v[0:1], off
	s_wait_loadcnt 0x1
	s_wait_xcnt 0x1
	v_cvt_f32_f16_e32 v2, v2
	s_wait_loadcnt 0x0
	v_cvt_f32_f16_e32 v0, v0
	ds_store_b32 v129, v2
	ds_store_b32 v130, v0
	v_dual_add_nc_u32 v2, s4, v44 :: v_dual_add_nc_u32 v0, s4, v63
	s_delay_alu instid0(VALU_DEP_1) | instskip(SKIP_3) | instid1(VALU_DEP_1)
	v_mad_nc_u64_u32 v[0:1], v0, 36, s[2:3]
	global_load_b32 v3, v[0:1], off
	s_wait_xcnt 0x0
	v_add_nc_u32_e32 v0, v2, v65
	v_mad_nc_i64_i32 v[0:1], v0, 36, v[82:83]
	global_load_b32 v0, v[0:1], off offset:4
	s_wait_loadcnt 0x0
	ds_store_b32 v131, v0
	v_add_nc_u32_e32 v0, v2, v67
	s_delay_alu instid0(VALU_DEP_1) | instskip(SKIP_4) | instid1(VALU_DEP_1)
	v_mad_nc_i64_i32 v[0:1], v0, 36, v[82:83]
	global_load_b32 v0, v[0:1], off offset:4
	s_wait_loadcnt 0x0
	ds_store_b32 v132, v0
	v_add_nc_u32_e32 v0, v2, v69
	v_mad_nc_i64_i32 v[0:1], v0, 36, v[82:83]
	global_load_b32 v0, v[0:1], off offset:4
	s_wait_loadcnt 0x0
	ds_store_b32 v133, v0
	v_add_nc_u32_e32 v0, v2, v71
	s_delay_alu instid0(VALU_DEP_1) | instskip(SKIP_4) | instid1(VALU_DEP_1)
	v_mad_nc_i64_i32 v[0:1], v0, 36, v[82:83]
	global_load_b32 v0, v[0:1], off offset:4
	s_wait_loadcnt 0x0
	ds_store_b32 v134, v0
	;; [unrolled: 11-line block ×3, first 2 shown]
	v_add_nc_u32_e32 v0, v2, v77
	v_mad_nc_i64_i32 v[0:1], v0, 36, v[82:83]
	global_load_b32 v0, v[0:1], off offset:4
	s_wait_loadcnt 0x0
	ds_store_b32 v137, v0
	v_add_nc_u32_e32 v0, v2, v81
	s_delay_alu instid0(VALU_DEP_1)
	v_mad_nc_i64_i32 v[0:1], v0, 36, v[82:83]
	global_load_b32 v0, v[0:1], off offset:4
	s_wait_loadcnt 0x0
	ds_store_b32 v138, v0
	v_cvt_f32_f16_e32 v0, v3
	ds_store_b32 v61, v0
	s_wait_dscnt 0x0
	s_barrier_signal -1
	s_barrier_wait -1
.LBB166_6:                              ;   Parent Loop BB166_5 Depth=1
                                        ; =>  This Inner Loop Header: Depth=2
	s_lshl_b32 s16, s10, 2
	s_lshr_b32 s17, s10, 1
	s_add_co_i32 s11, s16, 0x4200
	s_add_co_i32 s15, s17, 0x6a40
	s_delay_alu instid0(SALU_CYCLE_1)
	v_dual_add_nc_u32 v4, s11, v49 :: v_dual_add_nc_u32 v0, s15, v159
	s_addk_co_i32 s17, 0x6200
	v_add_nc_u32_e32 v84, s16, v160
	ds_load_b32 v116, v0
	v_add3_u32 v0, s17, v164, v155
	ds_load_b32 v117, v0
	ds_load_b128 v[0:3], v4
	ds_load_b128 v[4:7], v4 offset:16
	ds_load_2addr_b32 v[94:95], v84 offset1:1
	ds_load_2addr_b32 v[92:93], v84 offset0:2 offset1:3
	ds_load_2addr_b32 v[90:91], v84 offset0:4 offset1:5
	;; [unrolled: 1-line block ×3, first 2 shown]
	s_wait_dscnt 0x5
	v_perm_b32 v86, v3, v2, 0x5010c0c
	v_perm_b32 v87, v3, v2, 0x7030c0c
	s_wait_dscnt 0x3
	v_perm_b32 v84, v94, v95, 0xc0c0501
	s_wait_dscnt 0x2
	v_perm_b32 v85, v93, v92, 0x5010c0c
	v_perm_b32 v96, v3, v2, 0x4000c0c
	;; [unrolled: 1-line block ×4, first 2 shown]
	s_wait_dscnt 0x0
	v_bfe_i32 v165, v88, 0, 8
	v_or_b32_e32 v84, v85, v84
	v_perm_b32 v85, v0, v1, 0xc0c0501
	v_perm_b32 v174, v88, v88, 0xc030201
	s_delay_alu instid0(VALU_DEP_2) | instskip(SKIP_1) | instid1(VALU_DEP_2)
	v_or_b32_e32 v85, v86, v85
	v_perm_b32 v86, v93, v92, 0x7030c0c
	v_dot4_i32_iu8 v84, v84, v85, 0 neg_lo:[1,1,0]
	v_perm_b32 v85, v94, v95, 0xc0c0703
	s_delay_alu instid0(VALU_DEP_1) | instskip(SKIP_1) | instid1(VALU_DEP_1)
	v_or_b32_e32 v85, v86, v85
	v_perm_b32 v86, v0, v1, 0xc0c0703
	v_or_b32_e32 v86, v87, v86
	v_perm_b32 v87, v93, v92, 0x4000c0c
	s_delay_alu instid0(VALU_DEP_2) | instskip(SKIP_1) | instid1(VALU_DEP_1)
	v_dot4_i32_iu8 v85, v85, v86, 0 neg_lo:[1,1,0]
	v_perm_b32 v86, v94, v95, 0xc0c0400
	v_or_b32_e32 v86, v87, v86
	v_perm_b32 v87, v0, v1, 0xc0c0400
	s_delay_alu instid0(VALU_DEP_1) | instskip(SKIP_1) | instid1(VALU_DEP_2)
	v_or_b32_e32 v87, v96, v87
	v_perm_b32 v96, v93, v92, 0x6020c0c
	v_dot4_i32_iu8 v86, v86, v87, 0 neg_lo:[1,1,0]
	v_perm_b32 v87, v94, v95, 0xc0c0602
	s_delay_alu instid0(VALU_DEP_1) | instskip(SKIP_1) | instid1(VALU_DEP_1)
	v_or_b32_e32 v87, v96, v87
	v_perm_b32 v96, v0, v1, 0xc0c0602
	v_or_b32_e32 v96, v97, v96
	v_perm_b32 v97, v89, v88, 0x6020c0c
	s_delay_alu instid0(VALU_DEP_2) | instskip(SKIP_1) | instid1(VALU_DEP_1)
	v_dot4_i32_iu8 v87, v87, v96, 0 neg_lo:[1,1,0]
	v_perm_b32 v96, v91, v90, 0xc0c0602
	v_or_b32_e32 v96, v97, v96
	v_perm_b32 v97, v5, v4, 0xc0c0602
	s_delay_alu instid0(VALU_DEP_1) | instskip(SKIP_1) | instid1(VALU_DEP_2)
	v_or_b32_e32 v97, v98, v97
	v_perm_b32 v98, v7, v6, 0x4000c0c
	v_dot4_i32_iu8 v87, v96, v97, v87 neg_lo:[1,1,0]
	v_perm_b32 v96, v91, v90, 0xc0c0400
	v_perm_b32 v97, v89, v88, 0x4000c0c
	s_delay_alu instid0(VALU_DEP_1) | instskip(SKIP_1) | instid1(VALU_DEP_1)
	v_or_b32_e32 v96, v97, v96
	v_perm_b32 v97, v5, v4, 0xc0c0400
	v_or_b32_e32 v97, v98, v97
	v_perm_b32 v98, v7, v6, 0x7030c0c
	s_delay_alu instid0(VALU_DEP_2) | instskip(SKIP_2) | instid1(VALU_DEP_1)
	v_dot4_i32_iu8 v86, v96, v97, v86 neg_lo:[1,1,0]
	v_perm_b32 v96, v91, v90, 0xc0c0703
	v_perm_b32 v97, v89, v88, 0x7030c0c
	v_or_b32_e32 v96, v97, v96
	v_perm_b32 v97, v5, v4, 0xc0c0703
	s_delay_alu instid0(VALU_DEP_1) | instskip(SKIP_1) | instid1(VALU_DEP_2)
	v_or_b32_e32 v97, v98, v97
	v_perm_b32 v98, v7, v6, 0x5010c0c
	v_dot4_i32_iu8 v85, v96, v97, v85 neg_lo:[1,1,0]
	v_perm_b32 v96, v91, v90, 0xc0c0501
	v_perm_b32 v97, v89, v88, 0x5010c0c
	s_delay_alu instid0(VALU_DEP_1) | instskip(SKIP_1) | instid1(VALU_DEP_1)
	v_or_b32_e32 v96, v97, v96
	v_perm_b32 v97, v5, v4, 0xc0c0501
	v_or_b32_e32 v97, v98, v97
	s_delay_alu instid0(VALU_DEP_1) | instskip(NEXT) | instid1(VALU_DEP_1)
	v_dot4_i32_iu8 v84, v96, v97, v84 neg_lo:[1,1,0]
	v_add_nc_u32_e32 v84, v84, v85
	v_mul_f32_e32 v85, v116, v117
	s_delay_alu instid0(VALU_DEP_2) | instskip(NEXT) | instid1(VALU_DEP_1)
	v_add3_u32 v84, v86, v87, v84
	v_cvt_f32_i32_e32 v84, v84
	s_delay_alu instid0(VALU_DEP_1)
	v_mul_f32_e32 v172, v85, v84
	v_add3_u32 v85, s17, v156, v126
	v_add_nc_u32_e32 v84, s16, v161
	ds_load_b32 v166, v85
	ds_load_2addr_b32 v[98:99], v84 offset1:1
	ds_load_2addr_b32 v[100:101], v84 offset0:2 offset1:3
	ds_load_2addr_b32 v[102:103], v84 offset0:4 offset1:5
	;; [unrolled: 1-line block ×3, first 2 shown]
	s_wait_dscnt 0x3
	v_dot4_i32_iu8 v85, v0, v98, 0 neg_lo:[1,1,0]
	s_wait_dscnt 0x1
	v_perm_b32 v169, v103, v103, 0x7060100
	s_wait_dscnt 0x0
	v_bfe_i32 v167, v96, 0, 8
	v_dot4_i32_iu8 v84, v1, v99, v85 neg_lo:[1,1,0]
	v_mul_f32_e32 v85, v116, v166
	s_delay_alu instid0(VALU_DEP_2) | instskip(NEXT) | instid1(VALU_DEP_1)
	v_dot4_i32_iu8 v84, v2, v100, v84 neg_lo:[1,1,0]
	v_dot4_i32_iu8 v84, v3, v101, v84 neg_lo:[1,1,0]
	s_delay_alu instid0(VALU_DEP_1) | instskip(NEXT) | instid1(VALU_DEP_1)
	v_dot4_i32_iu8 v84, v4, v102, v84 neg_lo:[1,1,0]
	v_dot4_i32_iu8 v84, v5, v169, v84 neg_lo:[1,1,0]
	s_delay_alu instid0(VALU_DEP_1) | instskip(NEXT) | instid1(VALU_DEP_1)
	;; [unrolled: 3-line block ×3, first 2 shown]
	v_cvt_f32_i32_e32 v84, v84
	v_mul_f32_e32 v176, v85, v84
	v_add3_u32 v85, s17, v157, v127
	v_add_nc_u32_e32 v84, s16, v162
	ds_load_b32 v168, v85
	ds_load_2addr_b32 v[108:109], v84 offset1:1
	ds_load_2addr_b32 v[110:111], v84 offset0:2 offset1:3
	ds_load_2addr_b32 v[112:113], v84 offset0:4 offset1:5
	;; [unrolled: 1-line block ×3, first 2 shown]
	s_wait_dscnt 0x3
	v_dot4_i32_iu8 v85, v0, v108, 0 neg_lo:[1,1,0]
	s_wait_dscnt 0x1
	v_perm_b32 v171, v113, v113, 0x7060100
	s_wait_dscnt 0x0
	v_bfe_i32 v170, v106, 0, 8
	v_dot4_i32_iu8 v84, v1, v109, v85 neg_lo:[1,1,0]
	v_mul_f32_e32 v85, v116, v168
	s_delay_alu instid0(VALU_DEP_2) | instskip(NEXT) | instid1(VALU_DEP_1)
	v_dot4_i32_iu8 v84, v2, v110, v84 neg_lo:[1,1,0]
	v_dot4_i32_iu8 v84, v3, v111, v84 neg_lo:[1,1,0]
	s_delay_alu instid0(VALU_DEP_1) | instskip(NEXT) | instid1(VALU_DEP_1)
	v_dot4_i32_iu8 v84, v4, v112, v84 neg_lo:[1,1,0]
	v_dot4_i32_iu8 v84, v5, v171, v84 neg_lo:[1,1,0]
	s_delay_alu instid0(VALU_DEP_1) | instskip(NEXT) | instid1(VALU_DEP_1)
	;; [unrolled: 3-line block ×3, first 2 shown]
	v_cvt_f32_i32_e32 v84, v84
	v_mul_f32_e32 v178, v85, v84
	v_add3_u32 v85, s17, v158, v128
	v_add_nc_u32_e32 v84, s16, v163
	ds_load_b32 v103, v85
	ds_load_2addr_b32 v[114:115], v84 offset1:1
	ds_load_2addr_b32 v[104:105], v84 offset0:2 offset1:3
	ds_load_2addr_b32 v[86:87], v84 offset0:4 offset1:5
	;; [unrolled: 1-line block ×3, first 2 shown]
	s_wait_dscnt 0x3
	v_dot4_i32_iu8 v0, v0, v114, 0 neg_lo:[1,1,0]
	s_wait_dscnt 0x1
	v_perm_b32 v87, v87, v87, 0x7060100
	s_wait_dscnt 0x0
	v_bfe_i32 v113, v84, 0, 8
	v_dot4_i32_iu8 v0, v1, v115, v0 neg_lo:[1,1,0]
	v_mul_f32_e32 v1, v116, v103
	s_delay_alu instid0(VALU_DEP_2) | instskip(NEXT) | instid1(VALU_DEP_1)
	v_dot4_i32_iu8 v0, v2, v104, v0 neg_lo:[1,1,0]
	v_dot4_i32_iu8 v0, v3, v105, v0 neg_lo:[1,1,0]
	s_delay_alu instid0(VALU_DEP_1) | instskip(SKIP_1) | instid1(VALU_DEP_2)
	v_dot4_i32_iu8 v0, v4, v86, v0 neg_lo:[1,1,0]
	v_add_nc_u32_e32 v4, s11, v51
	v_dot4_i32_iu8 v0, v5, v87, v0 neg_lo:[1,1,0]
	s_delay_alu instid0(VALU_DEP_1) | instskip(NEXT) | instid1(VALU_DEP_1)
	v_dot4_i32_iu8 v0, v6, v84, v0 neg_lo:[1,1,0]
	v_dot4_i32_iu8 v0, v7, v85, v0 neg_lo:[1,1,0]
	s_delay_alu instid0(VALU_DEP_1) | instskip(NEXT) | instid1(VALU_DEP_1)
	v_cvt_f32_i32_e32 v0, v0
	v_dual_mul_f32 v180, v1, v0 :: v_dual_add_nc_u32 v0, s15, v119
	ds_load_b32 v116, v0
	ds_load_b128 v[0:3], v4
	ds_load_b128 v[4:7], v4 offset:16
	s_wait_dscnt 0x1
	v_dot4_i32_iu8 v173, v94, v0, 0 neg_lo:[1,1,0]
	s_wait_dscnt 0x0
	v_perm_b32 v5, v5, v5, 0x7060100
	v_bfe_i32 v175, v6, 0, 8
	v_perm_b32 v6, v6, v6, 0xc030201
	v_dot4_i32_iu8 v173, v95, v1, v173 neg_lo:[1,1,0]
	s_delay_alu instid0(VALU_DEP_1) | instskip(NEXT) | instid1(VALU_DEP_1)
	v_dot4_i32_iu8 v173, v92, v2, v173 neg_lo:[1,1,0]
	v_dot4_i32_iu8 v173, v93, v3, v173 neg_lo:[1,1,0]
	s_delay_alu instid0(VALU_DEP_1) | instskip(NEXT) | instid1(VALU_DEP_1)
	v_dot4_i32_iu8 v173, v90, v4, v173 neg_lo:[1,1,0]
	v_dot4_i32_iu8 v173, v91, v5, v173 neg_lo:[1,1,0]
	s_delay_alu instid0(VALU_DEP_1) | instskip(NEXT) | instid1(VALU_DEP_1)
	v_mad_i32_i24 v173, v165, v175, v173
	v_dot4_i32_iu8 v88, v174, v6, v173 neg_lo:[1,1,0]
	v_mul_f32_e32 v173, v117, v116
	s_delay_alu instid0(VALU_DEP_2) | instskip(NEXT) | instid1(VALU_DEP_1)
	v_dot4_i32_iu8 v88, v89, v7, v88 neg_lo:[1,1,0]
	v_cvt_f32_i32_e32 v88, v88
	s_delay_alu instid0(VALU_DEP_1) | instskip(SKIP_1) | instid1(VALU_DEP_2)
	v_mul_f32_e32 v173, v173, v88
	v_dot4_i32_iu8 v88, v0, v98, 0 neg_lo:[1,1,0]
	v_pk_add_f32 v[38:39], v[38:39], v[172:173]
	s_delay_alu instid0(VALU_DEP_2)
	v_dot4_i32_iu8 v88, v1, v99, v88 neg_lo:[1,1,0]
	v_perm_b32 v173, v96, v96, 0xc030201
	v_mul_f32_e32 v96, v166, v116
	v_perm_b32 v172, v106, v106, 0xc030201
	v_perm_b32 v106, v84, v84, 0xc030201
	v_dot4_i32_iu8 v88, v2, v100, v88 neg_lo:[1,1,0]
	s_delay_alu instid0(VALU_DEP_1) | instskip(NEXT) | instid1(VALU_DEP_1)
	v_dot4_i32_iu8 v88, v3, v101, v88 neg_lo:[1,1,0]
	v_dot4_i32_iu8 v88, v4, v102, v88 neg_lo:[1,1,0]
	s_delay_alu instid0(VALU_DEP_1) | instskip(NEXT) | instid1(VALU_DEP_1)
	v_dot4_i32_iu8 v88, v5, v169, v88 neg_lo:[1,1,0]
	v_mad_i32_i24 v88, v175, v167, v88
	s_delay_alu instid0(VALU_DEP_1) | instskip(NEXT) | instid1(VALU_DEP_1)
	v_dot4_i32_iu8 v88, v6, v173, v88 neg_lo:[1,1,0]
	v_dot4_i32_iu8 v88, v7, v97, v88 neg_lo:[1,1,0]
	s_delay_alu instid0(VALU_DEP_1) | instskip(NEXT) | instid1(VALU_DEP_1)
	v_cvt_f32_i32_e32 v88, v88
	v_mul_f32_e32 v177, v96, v88
	v_dot4_i32_iu8 v88, v0, v108, 0 neg_lo:[1,1,0]
	v_dot4_i32_iu8 v0, v0, v114, 0 neg_lo:[1,1,0]
	v_mul_f32_e32 v96, v168, v116
	s_delay_alu instid0(VALU_DEP_4) | instskip(NEXT) | instid1(VALU_DEP_4)
	v_pk_add_f32 v[36:37], v[36:37], v[176:177]
	v_dot4_i32_iu8 v88, v1, v109, v88 neg_lo:[1,1,0]
	s_delay_alu instid0(VALU_DEP_4) | instskip(SKIP_1) | instid1(VALU_DEP_3)
	v_dot4_i32_iu8 v0, v1, v115, v0 neg_lo:[1,1,0]
	v_mul_f32_e32 v1, v103, v116
	v_dot4_i32_iu8 v88, v2, v110, v88 neg_lo:[1,1,0]
	s_delay_alu instid0(VALU_DEP_3) | instskip(NEXT) | instid1(VALU_DEP_2)
	v_dot4_i32_iu8 v0, v2, v104, v0 neg_lo:[1,1,0]
	v_dot4_i32_iu8 v88, v3, v111, v88 neg_lo:[1,1,0]
	s_delay_alu instid0(VALU_DEP_2) | instskip(NEXT) | instid1(VALU_DEP_2)
	v_dot4_i32_iu8 v0, v3, v105, v0 neg_lo:[1,1,0]
	v_dot4_i32_iu8 v88, v4, v112, v88 neg_lo:[1,1,0]
	s_delay_alu instid0(VALU_DEP_2) | instskip(SKIP_1) | instid1(VALU_DEP_3)
	v_dot4_i32_iu8 v0, v4, v86, v0 neg_lo:[1,1,0]
	v_add_nc_u32_e32 v4, s11, v53
	v_dot4_i32_iu8 v88, v5, v171, v88 neg_lo:[1,1,0]
	s_delay_alu instid0(VALU_DEP_3) | instskip(NEXT) | instid1(VALU_DEP_2)
	v_dot4_i32_iu8 v0, v5, v87, v0 neg_lo:[1,1,0]
	v_mad_i32_i24 v88, v175, v170, v88
	s_delay_alu instid0(VALU_DEP_2) | instskip(NEXT) | instid1(VALU_DEP_2)
	v_mad_i32_i24 v0, v175, v113, v0
	v_dot4_i32_iu8 v88, v6, v172, v88 neg_lo:[1,1,0]
	s_delay_alu instid0(VALU_DEP_2) | instskip(NEXT) | instid1(VALU_DEP_2)
	v_dot4_i32_iu8 v0, v6, v106, v0 neg_lo:[1,1,0]
	v_dot4_i32_iu8 v88, v7, v107, v88 neg_lo:[1,1,0]
	s_delay_alu instid0(VALU_DEP_2) | instskip(NEXT) | instid1(VALU_DEP_2)
	v_dot4_i32_iu8 v0, v7, v85, v0 neg_lo:[1,1,0]
	v_cvt_f32_i32_e32 v88, v88
	s_delay_alu instid0(VALU_DEP_2) | instskip(NEXT) | instid1(VALU_DEP_2)
	v_cvt_f32_i32_e32 v0, v0
	v_mul_f32_e32 v179, v96, v88
	s_delay_alu instid0(VALU_DEP_2)
	v_mul_f32_e32 v181, v1, v0
	v_add_nc_u32_e32 v0, s15, v120
	ds_load_b32 v84, v0
	ds_load_b128 v[0:3], v4
	ds_load_b128 v[4:7], v4 offset:16
	v_pk_add_f32 v[34:35], v[34:35], v[178:179]
	s_wait_dscnt 0x2
	v_mul_f32_e32 v116, v117, v84
	s_wait_dscnt 0x1
	v_dot4_i32_iu8 v88, v94, v0, 0 neg_lo:[1,1,0]
	s_wait_dscnt 0x0
	v_perm_b32 v5, v5, v5, 0x7060100
	v_bfe_i32 v96, v6, 0, 8
	v_perm_b32 v6, v6, v6, 0xc030201
	v_dot4_i32_iu8 v88, v95, v1, v88 neg_lo:[1,1,0]
	s_delay_alu instid0(VALU_DEP_1) | instskip(NEXT) | instid1(VALU_DEP_1)
	v_dot4_i32_iu8 v88, v92, v2, v88 neg_lo:[1,1,0]
	v_dot4_i32_iu8 v88, v93, v3, v88 neg_lo:[1,1,0]
	s_delay_alu instid0(VALU_DEP_1) | instskip(NEXT) | instid1(VALU_DEP_1)
	v_dot4_i32_iu8 v88, v90, v4, v88 neg_lo:[1,1,0]
	v_dot4_i32_iu8 v88, v91, v5, v88 neg_lo:[1,1,0]
	s_delay_alu instid0(VALU_DEP_1) | instskip(NEXT) | instid1(VALU_DEP_1)
	v_mad_i32_i24 v88, v165, v96, v88
	v_dot4_i32_iu8 v88, v174, v6, v88 neg_lo:[1,1,0]
	s_delay_alu instid0(VALU_DEP_1) | instskip(NEXT) | instid1(VALU_DEP_1)
	v_dot4_i32_iu8 v88, v89, v7, v88 neg_lo:[1,1,0]
	v_cvt_f32_i32_e32 v88, v88
	s_delay_alu instid0(VALU_DEP_1) | instskip(SKIP_2) | instid1(VALU_DEP_2)
	v_mul_f32_e32 v176, v116, v88
	v_dot4_i32_iu8 v88, v0, v98, 0 neg_lo:[1,1,0]
	v_mul_f32_e32 v116, v166, v84
	v_dot4_i32_iu8 v88, v1, v99, v88 neg_lo:[1,1,0]
	s_delay_alu instid0(VALU_DEP_1) | instskip(NEXT) | instid1(VALU_DEP_1)
	v_dot4_i32_iu8 v88, v2, v100, v88 neg_lo:[1,1,0]
	v_dot4_i32_iu8 v88, v3, v101, v88 neg_lo:[1,1,0]
	s_delay_alu instid0(VALU_DEP_1) | instskip(NEXT) | instid1(VALU_DEP_1)
	v_dot4_i32_iu8 v88, v4, v102, v88 neg_lo:[1,1,0]
	v_dot4_i32_iu8 v88, v5, v169, v88 neg_lo:[1,1,0]
	s_delay_alu instid0(VALU_DEP_1) | instskip(NEXT) | instid1(VALU_DEP_1)
	v_mad_i32_i24 v88, v96, v167, v88
	v_dot4_i32_iu8 v88, v6, v173, v88 neg_lo:[1,1,0]
	s_delay_alu instid0(VALU_DEP_1) | instskip(NEXT) | instid1(VALU_DEP_1)
	v_dot4_i32_iu8 v88, v7, v97, v88 neg_lo:[1,1,0]
	v_cvt_f32_i32_e32 v88, v88
	s_delay_alu instid0(VALU_DEP_1) | instskip(SKIP_3) | instid1(VALU_DEP_3)
	v_mul_f32_e32 v178, v116, v88
	v_dot4_i32_iu8 v88, v0, v108, 0 neg_lo:[1,1,0]
	v_dot4_i32_iu8 v0, v0, v114, 0 neg_lo:[1,1,0]
	v_mul_f32_e32 v116, v168, v84
	v_dot4_i32_iu8 v88, v1, v109, v88 neg_lo:[1,1,0]
	s_delay_alu instid0(VALU_DEP_3) | instskip(SKIP_1) | instid1(VALU_DEP_3)
	v_dot4_i32_iu8 v0, v1, v115, v0 neg_lo:[1,1,0]
	v_mul_f32_e32 v1, v103, v84
	v_dot4_i32_iu8 v88, v2, v110, v88 neg_lo:[1,1,0]
	s_delay_alu instid0(VALU_DEP_3) | instskip(NEXT) | instid1(VALU_DEP_2)
	v_dot4_i32_iu8 v0, v2, v104, v0 neg_lo:[1,1,0]
	v_dot4_i32_iu8 v88, v3, v111, v88 neg_lo:[1,1,0]
	s_delay_alu instid0(VALU_DEP_2) | instskip(NEXT) | instid1(VALU_DEP_2)
	v_dot4_i32_iu8 v0, v3, v105, v0 neg_lo:[1,1,0]
	v_dot4_i32_iu8 v88, v4, v112, v88 neg_lo:[1,1,0]
	s_delay_alu instid0(VALU_DEP_2) | instskip(SKIP_1) | instid1(VALU_DEP_3)
	v_dot4_i32_iu8 v0, v4, v86, v0 neg_lo:[1,1,0]
	v_add_nc_u32_e32 v4, s11, v55
	v_dot4_i32_iu8 v88, v5, v171, v88 neg_lo:[1,1,0]
	s_delay_alu instid0(VALU_DEP_3) | instskip(NEXT) | instid1(VALU_DEP_2)
	v_dot4_i32_iu8 v0, v5, v87, v0 neg_lo:[1,1,0]
	v_mad_i32_i24 v88, v96, v170, v88
	s_delay_alu instid0(VALU_DEP_2) | instskip(NEXT) | instid1(VALU_DEP_2)
	v_mad_i32_i24 v0, v96, v113, v0
	v_dot4_i32_iu8 v88, v6, v172, v88 neg_lo:[1,1,0]
	s_delay_alu instid0(VALU_DEP_2) | instskip(NEXT) | instid1(VALU_DEP_2)
	v_dot4_i32_iu8 v0, v6, v106, v0 neg_lo:[1,1,0]
	v_dot4_i32_iu8 v88, v7, v107, v88 neg_lo:[1,1,0]
	s_delay_alu instid0(VALU_DEP_2) | instskip(NEXT) | instid1(VALU_DEP_2)
	v_dot4_i32_iu8 v0, v7, v85, v0 neg_lo:[1,1,0]
	v_cvt_f32_i32_e32 v88, v88
	s_delay_alu instid0(VALU_DEP_2) | instskip(NEXT) | instid1(VALU_DEP_1)
	v_cvt_f32_i32_e32 v0, v0
	v_dual_mul_f32 v182, v1, v0 :: v_dual_add_nc_u32 v0, s15, v121
	ds_load_b32 v84, v0
	ds_load_b128 v[0:3], v4
	ds_load_b128 v[4:7], v4 offset:16
	v_pk_add_f32 v[32:33], v[32:33], v[180:181]
	v_mul_f32_e32 v180, v116, v88
	s_wait_dscnt 0x2
	v_mul_f32_e32 v116, v117, v84
	s_wait_dscnt 0x1
	v_dot4_i32_iu8 v88, v94, v0, 0 neg_lo:[1,1,0]
	s_wait_dscnt 0x0
	v_perm_b32 v5, v5, v5, 0x7060100
	v_bfe_i32 v96, v6, 0, 8
	v_perm_b32 v6, v6, v6, 0xc030201
	v_dot4_i32_iu8 v88, v95, v1, v88 neg_lo:[1,1,0]
	s_delay_alu instid0(VALU_DEP_1) | instskip(NEXT) | instid1(VALU_DEP_1)
	v_dot4_i32_iu8 v88, v92, v2, v88 neg_lo:[1,1,0]
	v_dot4_i32_iu8 v88, v93, v3, v88 neg_lo:[1,1,0]
	s_delay_alu instid0(VALU_DEP_1) | instskip(NEXT) | instid1(VALU_DEP_1)
	v_dot4_i32_iu8 v88, v90, v4, v88 neg_lo:[1,1,0]
	v_dot4_i32_iu8 v88, v91, v5, v88 neg_lo:[1,1,0]
	s_delay_alu instid0(VALU_DEP_1) | instskip(NEXT) | instid1(VALU_DEP_1)
	v_mad_i32_i24 v88, v165, v96, v88
	v_dot4_i32_iu8 v88, v174, v6, v88 neg_lo:[1,1,0]
	s_delay_alu instid0(VALU_DEP_1) | instskip(NEXT) | instid1(VALU_DEP_1)
	v_dot4_i32_iu8 v88, v89, v7, v88 neg_lo:[1,1,0]
	v_cvt_f32_i32_e32 v88, v88
	s_delay_alu instid0(VALU_DEP_1) | instskip(SKIP_2) | instid1(VALU_DEP_3)
	v_mul_f32_e32 v177, v116, v88
	v_dot4_i32_iu8 v88, v0, v98, 0 neg_lo:[1,1,0]
	v_mul_f32_e32 v116, v166, v84
	v_pk_add_f32 v[30:31], v[30:31], v[176:177]
	s_delay_alu instid0(VALU_DEP_3) | instskip(NEXT) | instid1(VALU_DEP_1)
	v_dot4_i32_iu8 v88, v1, v99, v88 neg_lo:[1,1,0]
	v_dot4_i32_iu8 v88, v2, v100, v88 neg_lo:[1,1,0]
	s_delay_alu instid0(VALU_DEP_1) | instskip(NEXT) | instid1(VALU_DEP_1)
	v_dot4_i32_iu8 v88, v3, v101, v88 neg_lo:[1,1,0]
	v_dot4_i32_iu8 v88, v4, v102, v88 neg_lo:[1,1,0]
	s_delay_alu instid0(VALU_DEP_1) | instskip(NEXT) | instid1(VALU_DEP_1)
	v_dot4_i32_iu8 v88, v5, v169, v88 neg_lo:[1,1,0]
	v_mad_i32_i24 v88, v96, v167, v88
	s_delay_alu instid0(VALU_DEP_1) | instskip(NEXT) | instid1(VALU_DEP_1)
	v_dot4_i32_iu8 v88, v6, v173, v88 neg_lo:[1,1,0]
	v_dot4_i32_iu8 v88, v7, v97, v88 neg_lo:[1,1,0]
	s_delay_alu instid0(VALU_DEP_1) | instskip(NEXT) | instid1(VALU_DEP_1)
	v_cvt_f32_i32_e32 v88, v88
	v_mul_f32_e32 v179, v116, v88
	v_dot4_i32_iu8 v88, v0, v108, 0 neg_lo:[1,1,0]
	v_dot4_i32_iu8 v0, v0, v114, 0 neg_lo:[1,1,0]
	v_mul_f32_e32 v116, v168, v84
	s_delay_alu instid0(VALU_DEP_3) | instskip(NEXT) | instid1(VALU_DEP_3)
	v_dot4_i32_iu8 v88, v1, v109, v88 neg_lo:[1,1,0]
	v_dot4_i32_iu8 v0, v1, v115, v0 neg_lo:[1,1,0]
	v_mul_f32_e32 v1, v103, v84
	s_delay_alu instid0(VALU_DEP_3) | instskip(NEXT) | instid1(VALU_DEP_3)
	v_dot4_i32_iu8 v88, v2, v110, v88 neg_lo:[1,1,0]
	v_dot4_i32_iu8 v0, v2, v104, v0 neg_lo:[1,1,0]
	s_delay_alu instid0(VALU_DEP_2) | instskip(NEXT) | instid1(VALU_DEP_2)
	v_dot4_i32_iu8 v88, v3, v111, v88 neg_lo:[1,1,0]
	v_dot4_i32_iu8 v0, v3, v105, v0 neg_lo:[1,1,0]
	s_delay_alu instid0(VALU_DEP_2) | instskip(NEXT) | instid1(VALU_DEP_2)
	v_dot4_i32_iu8 v88, v4, v112, v88 neg_lo:[1,1,0]
	v_dot4_i32_iu8 v0, v4, v86, v0 neg_lo:[1,1,0]
	v_add_nc_u32_e32 v4, s11, v57
	s_delay_alu instid0(VALU_DEP_3) | instskip(NEXT) | instid1(VALU_DEP_3)
	v_dot4_i32_iu8 v88, v5, v171, v88 neg_lo:[1,1,0]
	v_dot4_i32_iu8 v0, v5, v87, v0 neg_lo:[1,1,0]
	s_delay_alu instid0(VALU_DEP_2) | instskip(NEXT) | instid1(VALU_DEP_2)
	v_mad_i32_i24 v88, v96, v170, v88
	v_mad_i32_i24 v0, v96, v113, v0
	s_delay_alu instid0(VALU_DEP_2) | instskip(NEXT) | instid1(VALU_DEP_2)
	v_dot4_i32_iu8 v88, v6, v172, v88 neg_lo:[1,1,0]
	v_dot4_i32_iu8 v0, v6, v106, v0 neg_lo:[1,1,0]
	s_delay_alu instid0(VALU_DEP_2) | instskip(NEXT) | instid1(VALU_DEP_2)
	v_dot4_i32_iu8 v88, v7, v107, v88 neg_lo:[1,1,0]
	v_dot4_i32_iu8 v0, v7, v85, v0 neg_lo:[1,1,0]
	s_delay_alu instid0(VALU_DEP_2) | instskip(NEXT) | instid1(VALU_DEP_2)
	v_cvt_f32_i32_e32 v88, v88
	v_cvt_f32_i32_e32 v0, v0
	s_delay_alu instid0(VALU_DEP_2) | instskip(NEXT) | instid1(VALU_DEP_2)
	v_mul_f32_e32 v181, v116, v88
	v_dual_mul_f32 v183, v1, v0 :: v_dual_add_nc_u32 v0, s15, v122
	ds_load_b32 v84, v0
	ds_load_b128 v[0:3], v4
	ds_load_b128 v[4:7], v4 offset:16
	v_pk_add_f32 v[28:29], v[28:29], v[178:179]
	v_pk_add_f32 v[24:25], v[24:25], v[182:183]
	;; [unrolled: 1-line block ×3, first 2 shown]
	s_wait_dscnt 0x2
	v_mul_f32_e32 v116, v117, v84
	s_wait_dscnt 0x1
	v_dot4_i32_iu8 v88, v94, v0, 0 neg_lo:[1,1,0]
	s_wait_dscnt 0x0
	v_perm_b32 v5, v5, v5, 0x7060100
	v_bfe_i32 v96, v6, 0, 8
	v_perm_b32 v6, v6, v6, 0xc030201
	v_dot4_i32_iu8 v88, v95, v1, v88 neg_lo:[1,1,0]
	s_delay_alu instid0(VALU_DEP_1) | instskip(NEXT) | instid1(VALU_DEP_1)
	v_dot4_i32_iu8 v88, v92, v2, v88 neg_lo:[1,1,0]
	v_dot4_i32_iu8 v88, v93, v3, v88 neg_lo:[1,1,0]
	s_delay_alu instid0(VALU_DEP_1) | instskip(NEXT) | instid1(VALU_DEP_1)
	v_dot4_i32_iu8 v88, v90, v4, v88 neg_lo:[1,1,0]
	v_dot4_i32_iu8 v88, v91, v5, v88 neg_lo:[1,1,0]
	s_delay_alu instid0(VALU_DEP_1) | instskip(NEXT) | instid1(VALU_DEP_1)
	v_mad_i32_i24 v88, v165, v96, v88
	v_dot4_i32_iu8 v88, v174, v6, v88 neg_lo:[1,1,0]
	s_delay_alu instid0(VALU_DEP_1) | instskip(NEXT) | instid1(VALU_DEP_1)
	v_dot4_i32_iu8 v88, v89, v7, v88 neg_lo:[1,1,0]
	v_cvt_f32_i32_e32 v88, v88
	s_delay_alu instid0(VALU_DEP_1) | instskip(SKIP_2) | instid1(VALU_DEP_2)
	v_mul_f32_e32 v176, v116, v88
	v_dot4_i32_iu8 v88, v0, v98, 0 neg_lo:[1,1,0]
	v_mul_f32_e32 v116, v166, v84
	v_dot4_i32_iu8 v88, v1, v99, v88 neg_lo:[1,1,0]
	s_delay_alu instid0(VALU_DEP_1) | instskip(NEXT) | instid1(VALU_DEP_1)
	v_dot4_i32_iu8 v88, v2, v100, v88 neg_lo:[1,1,0]
	v_dot4_i32_iu8 v88, v3, v101, v88 neg_lo:[1,1,0]
	s_delay_alu instid0(VALU_DEP_1) | instskip(NEXT) | instid1(VALU_DEP_1)
	v_dot4_i32_iu8 v88, v4, v102, v88 neg_lo:[1,1,0]
	v_dot4_i32_iu8 v88, v5, v169, v88 neg_lo:[1,1,0]
	s_delay_alu instid0(VALU_DEP_1) | instskip(NEXT) | instid1(VALU_DEP_1)
	v_mad_i32_i24 v88, v96, v167, v88
	v_dot4_i32_iu8 v88, v6, v173, v88 neg_lo:[1,1,0]
	s_delay_alu instid0(VALU_DEP_1) | instskip(NEXT) | instid1(VALU_DEP_1)
	v_dot4_i32_iu8 v88, v7, v97, v88 neg_lo:[1,1,0]
	v_cvt_f32_i32_e32 v88, v88
	s_delay_alu instid0(VALU_DEP_1) | instskip(SKIP_3) | instid1(VALU_DEP_3)
	v_mul_f32_e32 v178, v116, v88
	v_dot4_i32_iu8 v88, v0, v108, 0 neg_lo:[1,1,0]
	v_dot4_i32_iu8 v0, v0, v114, 0 neg_lo:[1,1,0]
	v_mul_f32_e32 v116, v168, v84
	v_dot4_i32_iu8 v88, v1, v109, v88 neg_lo:[1,1,0]
	s_delay_alu instid0(VALU_DEP_3) | instskip(SKIP_1) | instid1(VALU_DEP_3)
	v_dot4_i32_iu8 v0, v1, v115, v0 neg_lo:[1,1,0]
	v_mul_f32_e32 v1, v103, v84
	v_dot4_i32_iu8 v88, v2, v110, v88 neg_lo:[1,1,0]
	s_delay_alu instid0(VALU_DEP_3) | instskip(NEXT) | instid1(VALU_DEP_2)
	v_dot4_i32_iu8 v0, v2, v104, v0 neg_lo:[1,1,0]
	v_dot4_i32_iu8 v88, v3, v111, v88 neg_lo:[1,1,0]
	s_delay_alu instid0(VALU_DEP_2) | instskip(NEXT) | instid1(VALU_DEP_2)
	v_dot4_i32_iu8 v0, v3, v105, v0 neg_lo:[1,1,0]
	v_dot4_i32_iu8 v88, v4, v112, v88 neg_lo:[1,1,0]
	s_delay_alu instid0(VALU_DEP_2) | instskip(SKIP_1) | instid1(VALU_DEP_3)
	v_dot4_i32_iu8 v0, v4, v86, v0 neg_lo:[1,1,0]
	v_add_nc_u32_e32 v4, s11, v59
	v_dot4_i32_iu8 v88, v5, v171, v88 neg_lo:[1,1,0]
	s_delay_alu instid0(VALU_DEP_3) | instskip(NEXT) | instid1(VALU_DEP_2)
	v_dot4_i32_iu8 v0, v5, v87, v0 neg_lo:[1,1,0]
	v_mad_i32_i24 v88, v96, v170, v88
	s_delay_alu instid0(VALU_DEP_2) | instskip(NEXT) | instid1(VALU_DEP_2)
	v_mad_i32_i24 v0, v96, v113, v0
	v_dot4_i32_iu8 v88, v6, v172, v88 neg_lo:[1,1,0]
	s_delay_alu instid0(VALU_DEP_2) | instskip(NEXT) | instid1(VALU_DEP_2)
	v_dot4_i32_iu8 v0, v6, v106, v0 neg_lo:[1,1,0]
	v_dot4_i32_iu8 v88, v7, v107, v88 neg_lo:[1,1,0]
	s_delay_alu instid0(VALU_DEP_2) | instskip(NEXT) | instid1(VALU_DEP_2)
	v_dot4_i32_iu8 v0, v7, v85, v0 neg_lo:[1,1,0]
	v_cvt_f32_i32_e32 v88, v88
	s_delay_alu instid0(VALU_DEP_2) | instskip(NEXT) | instid1(VALU_DEP_2)
	v_cvt_f32_i32_e32 v0, v0
	v_mul_f32_e32 v180, v116, v88
	s_delay_alu instid0(VALU_DEP_2)
	v_dual_mul_f32 v182, v1, v0 :: v_dual_add_nc_u32 v0, s15, v123
	ds_load_b32 v84, v0
	ds_load_b128 v[0:3], v4
	ds_load_b128 v[4:7], v4 offset:16
	s_wait_dscnt 0x2
	v_mul_f32_e32 v116, v117, v84
	s_wait_dscnt 0x1
	v_dot4_i32_iu8 v88, v94, v0, 0 neg_lo:[1,1,0]
	s_wait_dscnt 0x0
	v_perm_b32 v5, v5, v5, 0x7060100
	v_bfe_i32 v96, v6, 0, 8
	v_perm_b32 v6, v6, v6, 0xc030201
	v_dot4_i32_iu8 v88, v95, v1, v88 neg_lo:[1,1,0]
	s_delay_alu instid0(VALU_DEP_1) | instskip(NEXT) | instid1(VALU_DEP_1)
	v_dot4_i32_iu8 v88, v92, v2, v88 neg_lo:[1,1,0]
	v_dot4_i32_iu8 v88, v93, v3, v88 neg_lo:[1,1,0]
	s_delay_alu instid0(VALU_DEP_1) | instskip(NEXT) | instid1(VALU_DEP_1)
	v_dot4_i32_iu8 v88, v90, v4, v88 neg_lo:[1,1,0]
	v_dot4_i32_iu8 v88, v91, v5, v88 neg_lo:[1,1,0]
	s_delay_alu instid0(VALU_DEP_1) | instskip(NEXT) | instid1(VALU_DEP_1)
	v_mad_i32_i24 v88, v165, v96, v88
	v_dot4_i32_iu8 v88, v174, v6, v88 neg_lo:[1,1,0]
	s_delay_alu instid0(VALU_DEP_1) | instskip(NEXT) | instid1(VALU_DEP_1)
	v_dot4_i32_iu8 v88, v89, v7, v88 neg_lo:[1,1,0]
	v_cvt_f32_i32_e32 v88, v88
	s_delay_alu instid0(VALU_DEP_1) | instskip(SKIP_2) | instid1(VALU_DEP_3)
	v_mul_f32_e32 v177, v116, v88
	v_dot4_i32_iu8 v88, v0, v98, 0 neg_lo:[1,1,0]
	v_mul_f32_e32 v116, v166, v84
	v_pk_add_f32 v[22:23], v[22:23], v[176:177]
	s_delay_alu instid0(VALU_DEP_3) | instskip(NEXT) | instid1(VALU_DEP_1)
	v_dot4_i32_iu8 v88, v1, v99, v88 neg_lo:[1,1,0]
	v_dot4_i32_iu8 v88, v2, v100, v88 neg_lo:[1,1,0]
	s_delay_alu instid0(VALU_DEP_1) | instskip(NEXT) | instid1(VALU_DEP_1)
	v_dot4_i32_iu8 v88, v3, v101, v88 neg_lo:[1,1,0]
	v_dot4_i32_iu8 v88, v4, v102, v88 neg_lo:[1,1,0]
	s_delay_alu instid0(VALU_DEP_1) | instskip(NEXT) | instid1(VALU_DEP_1)
	v_dot4_i32_iu8 v88, v5, v169, v88 neg_lo:[1,1,0]
	v_mad_i32_i24 v88, v96, v167, v88
	s_delay_alu instid0(VALU_DEP_1) | instskip(NEXT) | instid1(VALU_DEP_1)
	v_dot4_i32_iu8 v88, v6, v173, v88 neg_lo:[1,1,0]
	v_dot4_i32_iu8 v88, v7, v97, v88 neg_lo:[1,1,0]
	s_delay_alu instid0(VALU_DEP_1) | instskip(NEXT) | instid1(VALU_DEP_1)
	v_cvt_f32_i32_e32 v88, v88
	v_mul_f32_e32 v179, v116, v88
	v_dot4_i32_iu8 v88, v0, v108, 0 neg_lo:[1,1,0]
	v_dot4_i32_iu8 v0, v0, v114, 0 neg_lo:[1,1,0]
	v_mul_f32_e32 v116, v168, v84
	s_delay_alu instid0(VALU_DEP_3) | instskip(NEXT) | instid1(VALU_DEP_3)
	v_dot4_i32_iu8 v88, v1, v109, v88 neg_lo:[1,1,0]
	v_dot4_i32_iu8 v0, v1, v115, v0 neg_lo:[1,1,0]
	v_mul_f32_e32 v1, v103, v84
	s_delay_alu instid0(VALU_DEP_3) | instskip(NEXT) | instid1(VALU_DEP_3)
	v_dot4_i32_iu8 v88, v2, v110, v88 neg_lo:[1,1,0]
	v_dot4_i32_iu8 v0, v2, v104, v0 neg_lo:[1,1,0]
	s_delay_alu instid0(VALU_DEP_2) | instskip(NEXT) | instid1(VALU_DEP_2)
	v_dot4_i32_iu8 v88, v3, v111, v88 neg_lo:[1,1,0]
	v_dot4_i32_iu8 v0, v3, v105, v0 neg_lo:[1,1,0]
	s_delay_alu instid0(VALU_DEP_2) | instskip(NEXT) | instid1(VALU_DEP_2)
	v_dot4_i32_iu8 v88, v4, v112, v88 neg_lo:[1,1,0]
	v_dot4_i32_iu8 v0, v4, v86, v0 neg_lo:[1,1,0]
	v_add_nc_u32_e32 v4, s11, v79
	s_delay_alu instid0(VALU_DEP_3) | instskip(NEXT) | instid1(VALU_DEP_3)
	v_dot4_i32_iu8 v88, v5, v171, v88 neg_lo:[1,1,0]
	v_dot4_i32_iu8 v0, v5, v87, v0 neg_lo:[1,1,0]
	s_delay_alu instid0(VALU_DEP_2) | instskip(NEXT) | instid1(VALU_DEP_2)
	v_mad_i32_i24 v88, v96, v170, v88
	v_mad_i32_i24 v0, v96, v113, v0
	s_delay_alu instid0(VALU_DEP_2) | instskip(NEXT) | instid1(VALU_DEP_2)
	v_dot4_i32_iu8 v88, v6, v172, v88 neg_lo:[1,1,0]
	v_dot4_i32_iu8 v0, v6, v106, v0 neg_lo:[1,1,0]
	s_delay_alu instid0(VALU_DEP_2) | instskip(NEXT) | instid1(VALU_DEP_2)
	v_dot4_i32_iu8 v88, v7, v107, v88 neg_lo:[1,1,0]
	v_dot4_i32_iu8 v0, v7, v85, v0 neg_lo:[1,1,0]
	s_delay_alu instid0(VALU_DEP_2) | instskip(NEXT) | instid1(VALU_DEP_2)
	v_cvt_f32_i32_e32 v88, v88
	v_cvt_f32_i32_e32 v0, v0
	s_delay_alu instid0(VALU_DEP_1)
	v_mul_f32_e32 v183, v1, v0
	v_add_nc_u32_e32 v0, s15, v124
	ds_load_b32 v84, v0
	ds_load_b128 v[0:3], v4
	ds_load_b128 v[4:7], v4 offset:16
	s_wait_dscnt 0x2
	v_mul_f32_e32 v176, v168, v84
	v_mul_f32_e32 v181, v116, v88
	s_wait_dscnt 0x1
	v_dot4_i32_iu8 v88, v94, v0, 0 neg_lo:[1,1,0]
	s_wait_dscnt 0x0
	v_perm_b32 v5, v5, v5, 0x7060100
	v_bfe_i32 v175, v6, 0, 8
	v_perm_b32 v6, v6, v6, 0xc030201
	v_mul_f32_e32 v96, v117, v84
	v_dot4_i32_iu8 v88, v95, v1, v88 neg_lo:[1,1,0]
	v_pk_add_f32 v[20:21], v[20:21], v[178:179]
	v_pk_add_f32 v[18:19], v[18:19], v[180:181]
	s_delay_alu instid0(VALU_DEP_3) | instskip(NEXT) | instid1(VALU_DEP_1)
	v_dot4_i32_iu8 v88, v92, v2, v88 neg_lo:[1,1,0]
	v_dot4_i32_iu8 v88, v93, v3, v88 neg_lo:[1,1,0]
	s_delay_alu instid0(VALU_DEP_1) | instskip(NEXT) | instid1(VALU_DEP_1)
	v_dot4_i32_iu8 v88, v90, v4, v88 neg_lo:[1,1,0]
	v_dot4_i32_iu8 v88, v91, v5, v88 neg_lo:[1,1,0]
	s_delay_alu instid0(VALU_DEP_1) | instskip(NEXT) | instid1(VALU_DEP_1)
	v_mad_i32_i24 v88, v165, v175, v88
	v_dot4_i32_iu8 v88, v174, v6, v88 neg_lo:[1,1,0]
	s_delay_alu instid0(VALU_DEP_1) | instskip(NEXT) | instid1(VALU_DEP_1)
	v_dot4_i32_iu8 v88, v89, v7, v88 neg_lo:[1,1,0]
	v_cvt_f32_i32_e32 v88, v88
	s_delay_alu instid0(VALU_DEP_1) | instskip(SKIP_2) | instid1(VALU_DEP_2)
	v_mul_f32_e32 v116, v96, v88
	v_dot4_i32_iu8 v88, v0, v98, 0 neg_lo:[1,1,0]
	v_mul_f32_e32 v96, v166, v84
	v_dot4_i32_iu8 v88, v1, v99, v88 neg_lo:[1,1,0]
	s_delay_alu instid0(VALU_DEP_1) | instskip(NEXT) | instid1(VALU_DEP_1)
	v_dot4_i32_iu8 v88, v2, v100, v88 neg_lo:[1,1,0]
	v_dot4_i32_iu8 v88, v3, v101, v88 neg_lo:[1,1,0]
	s_delay_alu instid0(VALU_DEP_1) | instskip(NEXT) | instid1(VALU_DEP_1)
	v_dot4_i32_iu8 v88, v4, v102, v88 neg_lo:[1,1,0]
	v_dot4_i32_iu8 v88, v5, v169, v88 neg_lo:[1,1,0]
	s_delay_alu instid0(VALU_DEP_1) | instskip(NEXT) | instid1(VALU_DEP_1)
	v_mad_i32_i24 v88, v175, v167, v88
	v_dot4_i32_iu8 v88, v6, v173, v88 neg_lo:[1,1,0]
	s_delay_alu instid0(VALU_DEP_1) | instskip(NEXT) | instid1(VALU_DEP_1)
	v_dot4_i32_iu8 v88, v7, v97, v88 neg_lo:[1,1,0]
	v_cvt_f32_i32_e32 v88, v88
	s_delay_alu instid0(VALU_DEP_1) | instskip(SKIP_2) | instid1(VALU_DEP_2)
	v_mul_f32_e32 v96, v96, v88
	v_dot4_i32_iu8 v88, v0, v108, 0 neg_lo:[1,1,0]
	v_dot4_i32_iu8 v0, v0, v114, 0 neg_lo:[1,1,0]
	;; [unrolled: 1-line block ×3, first 2 shown]
	s_delay_alu instid0(VALU_DEP_2) | instskip(SKIP_1) | instid1(VALU_DEP_3)
	v_dot4_i32_iu8 v0, v1, v115, v0 neg_lo:[1,1,0]
	v_mul_f32_e32 v1, v103, v84
	v_dot4_i32_iu8 v88, v2, v110, v88 neg_lo:[1,1,0]
	s_delay_alu instid0(VALU_DEP_3) | instskip(NEXT) | instid1(VALU_DEP_2)
	v_dot4_i32_iu8 v0, v2, v104, v0 neg_lo:[1,1,0]
	v_dot4_i32_iu8 v88, v3, v111, v88 neg_lo:[1,1,0]
	s_delay_alu instid0(VALU_DEP_2) | instskip(NEXT) | instid1(VALU_DEP_2)
	v_dot4_i32_iu8 v0, v3, v105, v0 neg_lo:[1,1,0]
	v_dot4_i32_iu8 v88, v4, v112, v88 neg_lo:[1,1,0]
	s_delay_alu instid0(VALU_DEP_2) | instskip(NEXT) | instid1(VALU_DEP_2)
	v_dot4_i32_iu8 v0, v4, v86, v0 neg_lo:[1,1,0]
	v_dot4_i32_iu8 v88, v5, v171, v88 neg_lo:[1,1,0]
	s_delay_alu instid0(VALU_DEP_2) | instskip(NEXT) | instid1(VALU_DEP_2)
	v_dot4_i32_iu8 v0, v5, v87, v0 neg_lo:[1,1,0]
	v_mad_i32_i24 v88, v175, v170, v88
	s_delay_alu instid0(VALU_DEP_2) | instskip(NEXT) | instid1(VALU_DEP_2)
	v_mad_i32_i24 v0, v175, v113, v0
	v_dot4_i32_iu8 v88, v6, v172, v88 neg_lo:[1,1,0]
	s_delay_alu instid0(VALU_DEP_2) | instskip(NEXT) | instid1(VALU_DEP_2)
	v_dot4_i32_iu8 v0, v6, v106, v0 neg_lo:[1,1,0]
	v_dot4_i32_iu8 v88, v7, v107, v88 neg_lo:[1,1,0]
	s_delay_alu instid0(VALU_DEP_2) | instskip(NEXT) | instid1(VALU_DEP_2)
	v_dot4_i32_iu8 v0, v7, v85, v0 neg_lo:[1,1,0]
	v_cvt_f32_i32_e32 v88, v88
	s_delay_alu instid0(VALU_DEP_2) | instskip(NEXT) | instid1(VALU_DEP_2)
	v_cvt_f32_i32_e32 v0, v0
	v_mul_f32_e32 v88, v176, v88
	s_delay_alu instid0(VALU_DEP_2)
	v_dual_mul_f32 v84, v1, v0 :: v_dual_add_nc_u32 v1, s15, v125
	v_add_nc_u32_e32 v0, s11, v118
	ds_load_b32 v175, v1
	ds_load_b128 v[4:7], v0
	ds_load_b128 v[0:3], v0 offset:16
	v_pk_add_f32 v[16:17], v[16:17], v[182:183]
	s_add_co_i32 s11, s10, 8
	s_cmp_lt_u32 s10, 24
	s_mov_b32 s10, s11
	s_wait_dscnt 0x1
	v_dot4_i32_iu8 v94, v94, v4, 0 neg_lo:[1,1,0]
	s_wait_dscnt 0x0
	v_perm_b32 v1, v1, v1, 0x7060100
	v_bfe_i32 v176, v2, 0, 8
	v_perm_b32 v2, v2, v2, 0xc030201
	v_dot4_i32_iu8 v94, v95, v5, v94 neg_lo:[1,1,0]
	s_delay_alu instid0(VALU_DEP_1) | instskip(NEXT) | instid1(VALU_DEP_1)
	v_dot4_i32_iu8 v92, v92, v6, v94 neg_lo:[1,1,0]
	v_dot4_i32_iu8 v92, v93, v7, v92 neg_lo:[1,1,0]
	s_delay_alu instid0(VALU_DEP_1) | instskip(NEXT) | instid1(VALU_DEP_1)
	v_dot4_i32_iu8 v90, v90, v0, v92 neg_lo:[1,1,0]
	v_dot4_i32_iu8 v90, v91, v1, v90 neg_lo:[1,1,0]
	s_delay_alu instid0(VALU_DEP_1) | instskip(NEXT) | instid1(VALU_DEP_1)
	v_mad_i32_i24 v90, v165, v176, v90
	v_dot4_i32_iu8 v90, v174, v2, v90 neg_lo:[1,1,0]
	s_delay_alu instid0(VALU_DEP_1) | instskip(SKIP_1) | instid1(VALU_DEP_2)
	v_dot4_i32_iu8 v89, v89, v3, v90 neg_lo:[1,1,0]
	v_mul_f32_e32 v90, v117, v175
	v_cvt_f32_i32_e32 v89, v89
	s_delay_alu instid0(VALU_DEP_1) | instskip(SKIP_2) | instid1(VALU_DEP_2)
	v_mul_f32_e32 v117, v90, v89
	v_dot4_i32_iu8 v89, v4, v98, 0 neg_lo:[1,1,0]
	v_mul_f32_e32 v90, v166, v175
	v_dot4_i32_iu8 v89, v5, v99, v89 neg_lo:[1,1,0]
	s_delay_alu instid0(VALU_DEP_1) | instskip(NEXT) | instid1(VALU_DEP_1)
	v_dot4_i32_iu8 v89, v6, v100, v89 neg_lo:[1,1,0]
	v_dot4_i32_iu8 v89, v7, v101, v89 neg_lo:[1,1,0]
	s_delay_alu instid0(VALU_DEP_1) | instskip(NEXT) | instid1(VALU_DEP_1)
	v_dot4_i32_iu8 v89, v0, v102, v89 neg_lo:[1,1,0]
	v_dot4_i32_iu8 v89, v1, v169, v89 neg_lo:[1,1,0]
	s_delay_alu instid0(VALU_DEP_1) | instskip(NEXT) | instid1(VALU_DEP_1)
	v_mad_i32_i24 v89, v176, v167, v89
	v_dot4_i32_iu8 v89, v2, v173, v89 neg_lo:[1,1,0]
	s_delay_alu instid0(VALU_DEP_1) | instskip(NEXT) | instid1(VALU_DEP_1)
	v_dot4_i32_iu8 v89, v3, v97, v89 neg_lo:[1,1,0]
	v_cvt_f32_i32_e32 v89, v89
	s_delay_alu instid0(VALU_DEP_1) | instskip(SKIP_3) | instid1(VALU_DEP_4)
	v_mul_f32_e32 v97, v90, v89
	v_dot4_i32_iu8 v89, v4, v108, 0 neg_lo:[1,1,0]
	v_dot4_i32_iu8 v4, v4, v114, 0 neg_lo:[1,1,0]
	v_pk_add_f32 v[14:15], v[14:15], v[116:117]
	v_pk_add_f32 v[12:13], v[12:13], v[96:97]
	s_delay_alu instid0(VALU_DEP_4) | instskip(NEXT) | instid1(VALU_DEP_4)
	v_dot4_i32_iu8 v89, v5, v109, v89 neg_lo:[1,1,0]
	v_dot4_i32_iu8 v4, v5, v115, v4 neg_lo:[1,1,0]
	s_delay_alu instid0(VALU_DEP_2) | instskip(NEXT) | instid1(VALU_DEP_2)
	v_dot4_i32_iu8 v89, v6, v110, v89 neg_lo:[1,1,0]
	v_dot4_i32_iu8 v4, v6, v104, v4 neg_lo:[1,1,0]
	s_delay_alu instid0(VALU_DEP_2) | instskip(NEXT) | instid1(VALU_DEP_2)
	;; [unrolled: 3-line block ×4, first 2 shown]
	v_dot4_i32_iu8 v89, v1, v171, v89 neg_lo:[1,1,0]
	v_dot4_i32_iu8 v0, v1, v87, v0 neg_lo:[1,1,0]
	v_mul_f32_e32 v1, v103, v175
	s_delay_alu instid0(VALU_DEP_3) | instskip(NEXT) | instid1(VALU_DEP_3)
	v_mad_i32_i24 v89, v176, v170, v89
	v_mad_i32_i24 v0, v176, v113, v0
	s_delay_alu instid0(VALU_DEP_2) | instskip(NEXT) | instid1(VALU_DEP_2)
	v_dot4_i32_iu8 v89, v2, v172, v89 neg_lo:[1,1,0]
	v_dot4_i32_iu8 v0, v2, v106, v0 neg_lo:[1,1,0]
	s_delay_alu instid0(VALU_DEP_2) | instskip(NEXT) | instid1(VALU_DEP_2)
	v_dot4_i32_iu8 v89, v3, v107, v89 neg_lo:[1,1,0]
	v_dot4_i32_iu8 v0, v3, v85, v0 neg_lo:[1,1,0]
	s_delay_alu instid0(VALU_DEP_2) | instskip(NEXT) | instid1(VALU_DEP_2)
	v_cvt_f32_i32_e32 v89, v89
	v_cvt_f32_i32_e32 v0, v0
	s_delay_alu instid0(VALU_DEP_1) | instskip(NEXT) | instid1(VALU_DEP_1)
	v_dual_mul_f32 v90, v168, v175 :: v_dual_mul_f32 v85, v1, v0
	v_mul_f32_e32 v89, v90, v89
	s_delay_alu instid0(VALU_DEP_2) | instskip(NEXT) | instid1(VALU_DEP_2)
	v_pk_add_f32 v[8:9], v[8:9], v[84:85]
	v_pk_add_f32 v[10:11], v[10:11], v[88:89]
	s_cbranch_scc1 .LBB166_6
; %bb.7:                                ;   in Loop: Header=BB166_5 Depth=1
	s_add_co_i32 s4, s4, 4
	s_delay_alu instid0(SALU_CYCLE_1)
	s_cmp_ge_i32 s4, s7
	s_barrier_signal -1
	s_barrier_wait -1
	s_cbranch_scc0 .LBB166_5
; %bb.8:
	v_dual_mov_b32 v1, v43 :: v_dual_mov_b32 v2, v45
.LBB166_9:
	s_wait_xcnt 0x0
	s_mov_b32 s0, exec_lo
	v_cmpx_gt_u32_e64 s6, v47
	s_cbranch_execz .LBB166_60
; %bb.10:
	v_mul_lo_u32 v5, v47, s12
	v_add_nc_u32_e32 v0, s14, v2
	s_delay_alu instid0(VALU_DEP_1)
	v_cmp_gt_u32_e32 vcc_lo, s12, v0
	s_and_saveexec_b32 s1, vcc_lo
	s_cbranch_execz .LBB166_12
; %bb.11:
	v_bfe_u32 v2, v38, 16, 1
	v_cmp_o_f32_e64 s0, v38, v38
	v_add_nc_u32_e32 v3, v0, v5
	s_delay_alu instid0(VALU_DEP_3) | instskip(NEXT) | instid1(VALU_DEP_1)
	v_add3_u32 v2, v38, v2, 0x7fff
	v_lshrrev_b32_e32 v2, 16, v2
	s_delay_alu instid0(VALU_DEP_1)
	v_cndmask_b32_e64 v2, 0x7fc0, v2, s0
	s_wait_kmcnt 0x0
	global_store_b16 v3, v2, s[8:9] scale_offset
.LBB166_12:
	s_wait_xcnt 0x0
	s_or_b32 exec_lo, exec_lo, s1
	v_add_nc_u32_e32 v2, 32, v0
	s_delay_alu instid0(VALU_DEP_1)
	v_cmp_gt_u32_e64 s0, s12, v2
	s_and_saveexec_b32 s2, s0
	s_cbranch_execz .LBB166_14
; %bb.13:
	v_bfe_u32 v3, v36, 16, 1
	v_cmp_o_f32_e64 s1, v36, v36
	v_add_nc_u32_e32 v4, v2, v5
	s_delay_alu instid0(VALU_DEP_3) | instskip(NEXT) | instid1(VALU_DEP_1)
	v_add3_u32 v3, v36, v3, 0x7fff
	v_lshrrev_b32_e32 v3, 16, v3
	s_delay_alu instid0(VALU_DEP_1)
	v_cndmask_b32_e64 v3, 0x7fc0, v3, s1
	s_wait_kmcnt 0x0
	global_store_b16 v4, v3, s[8:9] scale_offset
.LBB166_14:
	s_wait_xcnt 0x0
	s_or_b32 exec_lo, exec_lo, s2
	v_add_nc_u32_e32 v3, 64, v0
	s_delay_alu instid0(VALU_DEP_1)
	v_cmp_gt_u32_e64 s1, s12, v3
	s_and_saveexec_b32 s3, s1
	;; [unrolled: 19-line block ×3, first 2 shown]
	s_cbranch_execz .LBB166_18
; %bb.17:
	v_bfe_u32 v6, v32, 16, 1
	v_cmp_o_f32_e64 s3, v32, v32
	v_add_nc_u32_e32 v5, v4, v5
	s_delay_alu instid0(VALU_DEP_3) | instskip(NEXT) | instid1(VALU_DEP_1)
	v_add3_u32 v6, v32, v6, 0x7fff
	v_lshrrev_b32_e32 v6, 16, v6
	s_delay_alu instid0(VALU_DEP_1)
	v_cndmask_b32_e64 v6, 0x7fc0, v6, s3
	s_wait_kmcnt 0x0
	global_store_b16 v5, v6, s[8:9] scale_offset
.LBB166_18:
	s_wait_xcnt 0x0
	s_or_b32 exec_lo, exec_lo, s4
	v_add3_u32 v5, v1, s13, 8
	s_delay_alu instid0(VALU_DEP_1)
	v_cmp_gt_u32_e64 s3, s6, v5
	s_and_b32 exec_lo, exec_lo, s3
	s_cbranch_execz .LBB166_60
; %bb.19:
	v_mul_lo_u32 v5, v5, s12
	s_and_saveexec_b32 s4, vcc_lo
	s_cbranch_execnz .LBB166_61
; %bb.20:
	s_or_b32 exec_lo, exec_lo, s4
	s_and_saveexec_b32 s4, s0
	s_cbranch_execnz .LBB166_62
.LBB166_21:
	s_or_b32 exec_lo, exec_lo, s4
	s_and_saveexec_b32 s4, s1
	s_cbranch_execnz .LBB166_63
.LBB166_22:
	s_or_b32 exec_lo, exec_lo, s4
	s_and_saveexec_b32 s4, s2
	s_cbranch_execz .LBB166_24
.LBB166_23:
	v_bfe_u32 v6, v33, 16, 1
	v_cmp_o_f32_e64 s3, v33, v33
	v_add_nc_u32_e32 v5, v5, v4
	s_delay_alu instid0(VALU_DEP_3) | instskip(NEXT) | instid1(VALU_DEP_1)
	v_add3_u32 v6, v33, v6, 0x7fff
	v_lshrrev_b32_e32 v6, 16, v6
	s_delay_alu instid0(VALU_DEP_1)
	v_cndmask_b32_e64 v6, 0x7fc0, v6, s3
	s_wait_kmcnt 0x0
	global_store_b16 v5, v6, s[8:9] scale_offset
.LBB166_24:
	s_wait_xcnt 0x0
	s_or_b32 exec_lo, exec_lo, s4
	v_add3_u32 v5, v1, s13, 16
	s_delay_alu instid0(VALU_DEP_1)
	v_cmp_gt_u32_e64 s3, s6, v5
	s_and_b32 exec_lo, exec_lo, s3
	s_cbranch_execz .LBB166_60
; %bb.25:
	v_mul_lo_u32 v5, v5, s12
	s_and_saveexec_b32 s4, vcc_lo
	s_cbranch_execnz .LBB166_64
; %bb.26:
	s_or_b32 exec_lo, exec_lo, s4
	s_and_saveexec_b32 s4, s0
	s_cbranch_execnz .LBB166_65
.LBB166_27:
	s_or_b32 exec_lo, exec_lo, s4
	s_and_saveexec_b32 s4, s1
	s_cbranch_execnz .LBB166_66
.LBB166_28:
	s_or_b32 exec_lo, exec_lo, s4
	s_and_saveexec_b32 s4, s2
	s_cbranch_execz .LBB166_30
.LBB166_29:
	v_bfe_u32 v6, v24, 16, 1
	v_cmp_o_f32_e64 s3, v24, v24
	v_add_nc_u32_e32 v5, v5, v4
	s_delay_alu instid0(VALU_DEP_3) | instskip(NEXT) | instid1(VALU_DEP_1)
	v_add3_u32 v6, v24, v6, 0x7fff
	v_lshrrev_b32_e32 v6, 16, v6
	s_delay_alu instid0(VALU_DEP_1)
	v_cndmask_b32_e64 v6, 0x7fc0, v6, s3
	s_wait_kmcnt 0x0
	global_store_b16 v5, v6, s[8:9] scale_offset
.LBB166_30:
	s_wait_xcnt 0x0
	s_or_b32 exec_lo, exec_lo, s4
	v_add3_u32 v5, v1, s13, 24
	s_delay_alu instid0(VALU_DEP_1)
	v_cmp_gt_u32_e64 s3, s6, v5
	s_and_b32 exec_lo, exec_lo, s3
	s_cbranch_execz .LBB166_60
; %bb.31:
	v_mul_lo_u32 v5, v5, s12
	s_and_saveexec_b32 s4, vcc_lo
	s_cbranch_execnz .LBB166_67
; %bb.32:
	s_or_b32 exec_lo, exec_lo, s4
	s_and_saveexec_b32 s4, s0
	s_cbranch_execnz .LBB166_68
.LBB166_33:
	s_or_b32 exec_lo, exec_lo, s4
	s_and_saveexec_b32 s4, s1
	s_cbranch_execnz .LBB166_69
.LBB166_34:
	s_or_b32 exec_lo, exec_lo, s4
	s_and_saveexec_b32 s4, s2
	s_cbranch_execz .LBB166_36
.LBB166_35:
	v_bfe_u32 v6, v25, 16, 1
	v_cmp_o_f32_e64 s3, v25, v25
	v_add_nc_u32_e32 v5, v5, v4
	s_delay_alu instid0(VALU_DEP_3) | instskip(NEXT) | instid1(VALU_DEP_1)
	v_add3_u32 v6, v25, v6, 0x7fff
	v_lshrrev_b32_e32 v6, 16, v6
	s_delay_alu instid0(VALU_DEP_1)
	v_cndmask_b32_e64 v6, 0x7fc0, v6, s3
	s_wait_kmcnt 0x0
	global_store_b16 v5, v6, s[8:9] scale_offset
.LBB166_36:
	s_wait_xcnt 0x0
	s_or_b32 exec_lo, exec_lo, s4
	v_add3_u32 v5, v1, s13, 32
	s_delay_alu instid0(VALU_DEP_1)
	v_cmp_gt_u32_e64 s3, s6, v5
	s_and_b32 exec_lo, exec_lo, s3
	s_cbranch_execz .LBB166_60
; %bb.37:
	v_mul_lo_u32 v5, v5, s12
	s_and_saveexec_b32 s4, vcc_lo
	s_cbranch_execnz .LBB166_70
; %bb.38:
	s_or_b32 exec_lo, exec_lo, s4
	s_and_saveexec_b32 s4, s0
	s_cbranch_execnz .LBB166_71
.LBB166_39:
	s_or_b32 exec_lo, exec_lo, s4
	s_and_saveexec_b32 s4, s1
	s_cbranch_execnz .LBB166_72
.LBB166_40:
	s_or_b32 exec_lo, exec_lo, s4
	s_and_saveexec_b32 s4, s2
	s_cbranch_execz .LBB166_42
.LBB166_41:
	v_bfe_u32 v6, v16, 16, 1
	v_cmp_o_f32_e64 s3, v16, v16
	v_add_nc_u32_e32 v5, v5, v4
	s_delay_alu instid0(VALU_DEP_3) | instskip(NEXT) | instid1(VALU_DEP_1)
	v_add3_u32 v6, v16, v6, 0x7fff
	v_lshrrev_b32_e32 v6, 16, v6
	s_delay_alu instid0(VALU_DEP_1)
	v_cndmask_b32_e64 v6, 0x7fc0, v6, s3
	s_wait_kmcnt 0x0
	global_store_b16 v5, v6, s[8:9] scale_offset
.LBB166_42:
	s_wait_xcnt 0x0
	s_or_b32 exec_lo, exec_lo, s4
	v_add3_u32 v5, v1, s13, 40
	s_delay_alu instid0(VALU_DEP_1)
	v_cmp_gt_u32_e64 s3, s6, v5
	s_and_b32 exec_lo, exec_lo, s3
	s_cbranch_execz .LBB166_60
; %bb.43:
	v_mul_lo_u32 v5, v5, s12
	s_and_saveexec_b32 s4, vcc_lo
	s_cbranch_execnz .LBB166_73
; %bb.44:
	s_or_b32 exec_lo, exec_lo, s4
	s_and_saveexec_b32 s4, s0
	s_cbranch_execnz .LBB166_74
.LBB166_45:
	s_or_b32 exec_lo, exec_lo, s4
	s_and_saveexec_b32 s4, s1
	s_cbranch_execnz .LBB166_75
.LBB166_46:
	s_or_b32 exec_lo, exec_lo, s4
	s_and_saveexec_b32 s4, s2
	s_cbranch_execz .LBB166_48
.LBB166_47:
	v_bfe_u32 v6, v17, 16, 1
	v_cmp_o_f32_e64 s3, v17, v17
	v_add_nc_u32_e32 v5, v5, v4
	s_delay_alu instid0(VALU_DEP_3) | instskip(NEXT) | instid1(VALU_DEP_1)
	v_add3_u32 v6, v17, v6, 0x7fff
	v_lshrrev_b32_e32 v6, 16, v6
	s_delay_alu instid0(VALU_DEP_1)
	v_cndmask_b32_e64 v6, 0x7fc0, v6, s3
	s_wait_kmcnt 0x0
	global_store_b16 v5, v6, s[8:9] scale_offset
.LBB166_48:
	s_wait_xcnt 0x0
	s_or_b32 exec_lo, exec_lo, s4
	v_add3_u32 v5, v1, s13, 48
	s_delay_alu instid0(VALU_DEP_1)
	v_cmp_gt_u32_e64 s3, s6, v5
	s_and_b32 exec_lo, exec_lo, s3
	s_cbranch_execz .LBB166_60
; %bb.49:
	v_mul_lo_u32 v5, v5, s12
	s_and_saveexec_b32 s4, vcc_lo
	s_cbranch_execnz .LBB166_76
; %bb.50:
	s_or_b32 exec_lo, exec_lo, s4
	s_and_saveexec_b32 s4, s0
	s_cbranch_execnz .LBB166_77
.LBB166_51:
	s_or_b32 exec_lo, exec_lo, s4
	s_and_saveexec_b32 s4, s1
	s_cbranch_execnz .LBB166_78
.LBB166_52:
	s_or_b32 exec_lo, exec_lo, s4
	s_and_saveexec_b32 s4, s2
	s_cbranch_execz .LBB166_54
.LBB166_53:
	v_bfe_u32 v6, v8, 16, 1
	v_cmp_o_f32_e64 s3, v8, v8
	v_add_nc_u32_e32 v5, v5, v4
	s_delay_alu instid0(VALU_DEP_3) | instskip(NEXT) | instid1(VALU_DEP_1)
	v_add3_u32 v6, v8, v6, 0x7fff
	v_lshrrev_b32_e32 v6, 16, v6
	s_delay_alu instid0(VALU_DEP_1)
	v_cndmask_b32_e64 v6, 0x7fc0, v6, s3
	s_wait_kmcnt 0x0
	global_store_b16 v5, v6, s[8:9] scale_offset
.LBB166_54:
	s_wait_xcnt 0x0
	s_or_b32 exec_lo, exec_lo, s4
	v_add3_u32 v1, v1, s13, 56
	s_delay_alu instid0(VALU_DEP_1)
	v_cmp_gt_u32_e64 s3, s6, v1
	s_and_b32 exec_lo, exec_lo, s3
	s_cbranch_execz .LBB166_60
; %bb.55:
	v_mul_lo_u32 v1, v1, s12
	s_and_saveexec_b32 s3, vcc_lo
	s_cbranch_execnz .LBB166_79
; %bb.56:
	s_or_b32 exec_lo, exec_lo, s3
	s_and_saveexec_b32 s3, s0
	s_cbranch_execnz .LBB166_80
.LBB166_57:
	s_or_b32 exec_lo, exec_lo, s3
	s_and_saveexec_b32 s0, s1
	s_cbranch_execnz .LBB166_81
.LBB166_58:
	s_or_b32 exec_lo, exec_lo, s0
	s_delay_alu instid0(SALU_CYCLE_1)
	s_and_b32 exec_lo, exec_lo, s2
	s_cbranch_execz .LBB166_60
.LBB166_59:
	v_bfe_u32 v0, v9, 16, 1
	v_cmp_o_f32_e32 vcc_lo, v9, v9
	v_add_nc_u32_e32 v1, v1, v4
	s_delay_alu instid0(VALU_DEP_3) | instskip(NEXT) | instid1(VALU_DEP_1)
	v_add3_u32 v0, v9, v0, 0x7fff
	v_lshrrev_b32_e32 v0, 16, v0
	s_delay_alu instid0(VALU_DEP_1)
	v_cndmask_b32_e32 v0, 0x7fc0, v0, vcc_lo
	s_wait_kmcnt 0x0
	global_store_b16 v1, v0, s[8:9] scale_offset
.LBB166_60:
	s_sendmsg sendmsg(MSG_DEALLOC_VGPRS)
	s_endpgm
.LBB166_61:
	v_bfe_u32 v6, v39, 16, 1
	v_cmp_o_f32_e64 s3, v39, v39
	s_delay_alu instid0(VALU_DEP_3) | instskip(NEXT) | instid1(VALU_DEP_3)
	v_add_nc_u32_e32 v7, v5, v0
	v_add3_u32 v6, v39, v6, 0x7fff
	s_delay_alu instid0(VALU_DEP_1) | instskip(NEXT) | instid1(VALU_DEP_1)
	v_lshrrev_b32_e32 v6, 16, v6
	v_cndmask_b32_e64 v6, 0x7fc0, v6, s3
	s_wait_kmcnt 0x0
	global_store_b16 v7, v6, s[8:9] scale_offset
	s_wait_xcnt 0x0
	s_or_b32 exec_lo, exec_lo, s4
	s_and_saveexec_b32 s4, s0
	s_cbranch_execz .LBB166_21
.LBB166_62:
	v_bfe_u32 v6, v37, 16, 1
	v_cmp_o_f32_e64 s3, v37, v37
	s_delay_alu instid0(VALU_DEP_3) | instskip(NEXT) | instid1(VALU_DEP_3)
	v_add_nc_u32_e32 v7, v5, v2
	v_add3_u32 v6, v37, v6, 0x7fff
	s_delay_alu instid0(VALU_DEP_1) | instskip(NEXT) | instid1(VALU_DEP_1)
	v_lshrrev_b32_e32 v6, 16, v6
	v_cndmask_b32_e64 v6, 0x7fc0, v6, s3
	s_wait_kmcnt 0x0
	global_store_b16 v7, v6, s[8:9] scale_offset
	s_wait_xcnt 0x0
	s_or_b32 exec_lo, exec_lo, s4
	s_and_saveexec_b32 s4, s1
	s_cbranch_execz .LBB166_22
.LBB166_63:
	v_bfe_u32 v6, v35, 16, 1
	v_cmp_o_f32_e64 s3, v35, v35
	v_add_nc_u32_e32 v7, v5, v3
	s_delay_alu instid0(VALU_DEP_3) | instskip(NEXT) | instid1(VALU_DEP_1)
	v_add3_u32 v6, v35, v6, 0x7fff
	v_lshrrev_b32_e32 v6, 16, v6
	s_delay_alu instid0(VALU_DEP_1)
	v_cndmask_b32_e64 v6, 0x7fc0, v6, s3
	s_wait_kmcnt 0x0
	global_store_b16 v7, v6, s[8:9] scale_offset
	s_wait_xcnt 0x0
	s_or_b32 exec_lo, exec_lo, s4
	s_and_saveexec_b32 s4, s2
	s_cbranch_execnz .LBB166_23
	s_branch .LBB166_24
.LBB166_64:
	v_bfe_u32 v6, v30, 16, 1
	v_cmp_o_f32_e64 s3, v30, v30
	s_delay_alu instid0(VALU_DEP_3) | instskip(NEXT) | instid1(VALU_DEP_3)
	v_add_nc_u32_e32 v7, v5, v0
	v_add3_u32 v6, v30, v6, 0x7fff
	s_delay_alu instid0(VALU_DEP_1) | instskip(NEXT) | instid1(VALU_DEP_1)
	v_lshrrev_b32_e32 v6, 16, v6
	v_cndmask_b32_e64 v6, 0x7fc0, v6, s3
	s_wait_kmcnt 0x0
	global_store_b16 v7, v6, s[8:9] scale_offset
	s_wait_xcnt 0x0
	s_or_b32 exec_lo, exec_lo, s4
	s_and_saveexec_b32 s4, s0
	s_cbranch_execz .LBB166_27
.LBB166_65:
	v_bfe_u32 v6, v28, 16, 1
	v_cmp_o_f32_e64 s3, v28, v28
	s_delay_alu instid0(VALU_DEP_3) | instskip(NEXT) | instid1(VALU_DEP_3)
	v_add_nc_u32_e32 v7, v5, v2
	v_add3_u32 v6, v28, v6, 0x7fff
	s_delay_alu instid0(VALU_DEP_1) | instskip(NEXT) | instid1(VALU_DEP_1)
	v_lshrrev_b32_e32 v6, 16, v6
	v_cndmask_b32_e64 v6, 0x7fc0, v6, s3
	s_wait_kmcnt 0x0
	global_store_b16 v7, v6, s[8:9] scale_offset
	s_wait_xcnt 0x0
	s_or_b32 exec_lo, exec_lo, s4
	s_and_saveexec_b32 s4, s1
	s_cbranch_execz .LBB166_28
.LBB166_66:
	v_bfe_u32 v6, v26, 16, 1
	v_cmp_o_f32_e64 s3, v26, v26
	v_add_nc_u32_e32 v7, v5, v3
	s_delay_alu instid0(VALU_DEP_3) | instskip(NEXT) | instid1(VALU_DEP_1)
	v_add3_u32 v6, v26, v6, 0x7fff
	v_lshrrev_b32_e32 v6, 16, v6
	s_delay_alu instid0(VALU_DEP_1)
	v_cndmask_b32_e64 v6, 0x7fc0, v6, s3
	s_wait_kmcnt 0x0
	global_store_b16 v7, v6, s[8:9] scale_offset
	s_wait_xcnt 0x0
	s_or_b32 exec_lo, exec_lo, s4
	s_and_saveexec_b32 s4, s2
	s_cbranch_execnz .LBB166_29
	s_branch .LBB166_30
.LBB166_67:
	v_bfe_u32 v6, v31, 16, 1
	v_cmp_o_f32_e64 s3, v31, v31
	s_delay_alu instid0(VALU_DEP_3) | instskip(NEXT) | instid1(VALU_DEP_3)
	v_add_nc_u32_e32 v7, v5, v0
	v_add3_u32 v6, v31, v6, 0x7fff
	s_delay_alu instid0(VALU_DEP_1) | instskip(NEXT) | instid1(VALU_DEP_1)
	v_lshrrev_b32_e32 v6, 16, v6
	v_cndmask_b32_e64 v6, 0x7fc0, v6, s3
	s_wait_kmcnt 0x0
	global_store_b16 v7, v6, s[8:9] scale_offset
	s_wait_xcnt 0x0
	s_or_b32 exec_lo, exec_lo, s4
	s_and_saveexec_b32 s4, s0
	s_cbranch_execz .LBB166_33
.LBB166_68:
	v_bfe_u32 v6, v29, 16, 1
	v_cmp_o_f32_e64 s3, v29, v29
	s_delay_alu instid0(VALU_DEP_3) | instskip(NEXT) | instid1(VALU_DEP_3)
	v_add_nc_u32_e32 v7, v5, v2
	v_add3_u32 v6, v29, v6, 0x7fff
	s_delay_alu instid0(VALU_DEP_1) | instskip(NEXT) | instid1(VALU_DEP_1)
	v_lshrrev_b32_e32 v6, 16, v6
	v_cndmask_b32_e64 v6, 0x7fc0, v6, s3
	s_wait_kmcnt 0x0
	global_store_b16 v7, v6, s[8:9] scale_offset
	s_wait_xcnt 0x0
	s_or_b32 exec_lo, exec_lo, s4
	s_and_saveexec_b32 s4, s1
	s_cbranch_execz .LBB166_34
.LBB166_69:
	v_bfe_u32 v6, v27, 16, 1
	v_cmp_o_f32_e64 s3, v27, v27
	v_add_nc_u32_e32 v7, v5, v3
	s_delay_alu instid0(VALU_DEP_3) | instskip(NEXT) | instid1(VALU_DEP_1)
	v_add3_u32 v6, v27, v6, 0x7fff
	v_lshrrev_b32_e32 v6, 16, v6
	s_delay_alu instid0(VALU_DEP_1)
	v_cndmask_b32_e64 v6, 0x7fc0, v6, s3
	s_wait_kmcnt 0x0
	global_store_b16 v7, v6, s[8:9] scale_offset
	s_wait_xcnt 0x0
	s_or_b32 exec_lo, exec_lo, s4
	s_and_saveexec_b32 s4, s2
	s_cbranch_execnz .LBB166_35
	s_branch .LBB166_36
.LBB166_70:
	v_bfe_u32 v6, v22, 16, 1
	v_cmp_o_f32_e64 s3, v22, v22
	s_delay_alu instid0(VALU_DEP_3) | instskip(NEXT) | instid1(VALU_DEP_3)
	v_add_nc_u32_e32 v7, v5, v0
	v_add3_u32 v6, v22, v6, 0x7fff
	s_delay_alu instid0(VALU_DEP_1) | instskip(NEXT) | instid1(VALU_DEP_1)
	v_lshrrev_b32_e32 v6, 16, v6
	v_cndmask_b32_e64 v6, 0x7fc0, v6, s3
	s_wait_kmcnt 0x0
	global_store_b16 v7, v6, s[8:9] scale_offset
	s_wait_xcnt 0x0
	s_or_b32 exec_lo, exec_lo, s4
	s_and_saveexec_b32 s4, s0
	s_cbranch_execz .LBB166_39
.LBB166_71:
	v_bfe_u32 v6, v20, 16, 1
	v_cmp_o_f32_e64 s3, v20, v20
	s_delay_alu instid0(VALU_DEP_3) | instskip(NEXT) | instid1(VALU_DEP_3)
	v_add_nc_u32_e32 v7, v5, v2
	v_add3_u32 v6, v20, v6, 0x7fff
	s_delay_alu instid0(VALU_DEP_1) | instskip(NEXT) | instid1(VALU_DEP_1)
	v_lshrrev_b32_e32 v6, 16, v6
	v_cndmask_b32_e64 v6, 0x7fc0, v6, s3
	s_wait_kmcnt 0x0
	global_store_b16 v7, v6, s[8:9] scale_offset
	s_wait_xcnt 0x0
	s_or_b32 exec_lo, exec_lo, s4
	s_and_saveexec_b32 s4, s1
	s_cbranch_execz .LBB166_40
.LBB166_72:
	v_bfe_u32 v6, v18, 16, 1
	v_cmp_o_f32_e64 s3, v18, v18
	v_add_nc_u32_e32 v7, v5, v3
	s_delay_alu instid0(VALU_DEP_3) | instskip(NEXT) | instid1(VALU_DEP_1)
	v_add3_u32 v6, v18, v6, 0x7fff
	v_lshrrev_b32_e32 v6, 16, v6
	s_delay_alu instid0(VALU_DEP_1)
	v_cndmask_b32_e64 v6, 0x7fc0, v6, s3
	s_wait_kmcnt 0x0
	global_store_b16 v7, v6, s[8:9] scale_offset
	s_wait_xcnt 0x0
	s_or_b32 exec_lo, exec_lo, s4
	s_and_saveexec_b32 s4, s2
	s_cbranch_execnz .LBB166_41
	s_branch .LBB166_42
.LBB166_73:
	v_bfe_u32 v6, v23, 16, 1
	v_cmp_o_f32_e64 s3, v23, v23
	s_delay_alu instid0(VALU_DEP_3) | instskip(NEXT) | instid1(VALU_DEP_3)
	v_add_nc_u32_e32 v7, v5, v0
	v_add3_u32 v6, v23, v6, 0x7fff
	s_delay_alu instid0(VALU_DEP_1) | instskip(NEXT) | instid1(VALU_DEP_1)
	v_lshrrev_b32_e32 v6, 16, v6
	v_cndmask_b32_e64 v6, 0x7fc0, v6, s3
	s_wait_kmcnt 0x0
	global_store_b16 v7, v6, s[8:9] scale_offset
	s_wait_xcnt 0x0
	s_or_b32 exec_lo, exec_lo, s4
	s_and_saveexec_b32 s4, s0
	s_cbranch_execz .LBB166_45
.LBB166_74:
	v_bfe_u32 v6, v21, 16, 1
	v_cmp_o_f32_e64 s3, v21, v21
	s_delay_alu instid0(VALU_DEP_3) | instskip(NEXT) | instid1(VALU_DEP_3)
	v_add_nc_u32_e32 v7, v5, v2
	v_add3_u32 v6, v21, v6, 0x7fff
	s_delay_alu instid0(VALU_DEP_1) | instskip(NEXT) | instid1(VALU_DEP_1)
	v_lshrrev_b32_e32 v6, 16, v6
	v_cndmask_b32_e64 v6, 0x7fc0, v6, s3
	s_wait_kmcnt 0x0
	global_store_b16 v7, v6, s[8:9] scale_offset
	s_wait_xcnt 0x0
	s_or_b32 exec_lo, exec_lo, s4
	s_and_saveexec_b32 s4, s1
	s_cbranch_execz .LBB166_46
.LBB166_75:
	v_bfe_u32 v6, v19, 16, 1
	v_cmp_o_f32_e64 s3, v19, v19
	v_add_nc_u32_e32 v7, v5, v3
	s_delay_alu instid0(VALU_DEP_3) | instskip(NEXT) | instid1(VALU_DEP_1)
	v_add3_u32 v6, v19, v6, 0x7fff
	v_lshrrev_b32_e32 v6, 16, v6
	s_delay_alu instid0(VALU_DEP_1)
	v_cndmask_b32_e64 v6, 0x7fc0, v6, s3
	s_wait_kmcnt 0x0
	global_store_b16 v7, v6, s[8:9] scale_offset
	s_wait_xcnt 0x0
	s_or_b32 exec_lo, exec_lo, s4
	s_and_saveexec_b32 s4, s2
	s_cbranch_execnz .LBB166_47
	s_branch .LBB166_48
.LBB166_76:
	v_bfe_u32 v6, v14, 16, 1
	v_cmp_o_f32_e64 s3, v14, v14
	s_delay_alu instid0(VALU_DEP_3) | instskip(NEXT) | instid1(VALU_DEP_3)
	v_add_nc_u32_e32 v7, v5, v0
	v_add3_u32 v6, v14, v6, 0x7fff
	s_delay_alu instid0(VALU_DEP_1) | instskip(NEXT) | instid1(VALU_DEP_1)
	v_lshrrev_b32_e32 v6, 16, v6
	v_cndmask_b32_e64 v6, 0x7fc0, v6, s3
	s_wait_kmcnt 0x0
	global_store_b16 v7, v6, s[8:9] scale_offset
	s_wait_xcnt 0x0
	s_or_b32 exec_lo, exec_lo, s4
	s_and_saveexec_b32 s4, s0
	s_cbranch_execz .LBB166_51
.LBB166_77:
	v_bfe_u32 v6, v12, 16, 1
	v_cmp_o_f32_e64 s3, v12, v12
	s_delay_alu instid0(VALU_DEP_3) | instskip(NEXT) | instid1(VALU_DEP_3)
	v_add_nc_u32_e32 v7, v5, v2
	v_add3_u32 v6, v12, v6, 0x7fff
	s_delay_alu instid0(VALU_DEP_1) | instskip(NEXT) | instid1(VALU_DEP_1)
	v_lshrrev_b32_e32 v6, 16, v6
	v_cndmask_b32_e64 v6, 0x7fc0, v6, s3
	s_wait_kmcnt 0x0
	global_store_b16 v7, v6, s[8:9] scale_offset
	s_wait_xcnt 0x0
	s_or_b32 exec_lo, exec_lo, s4
	s_and_saveexec_b32 s4, s1
	s_cbranch_execz .LBB166_52
.LBB166_78:
	v_bfe_u32 v6, v10, 16, 1
	v_cmp_o_f32_e64 s3, v10, v10
	v_add_nc_u32_e32 v7, v5, v3
	s_delay_alu instid0(VALU_DEP_3) | instskip(NEXT) | instid1(VALU_DEP_1)
	v_add3_u32 v6, v10, v6, 0x7fff
	v_lshrrev_b32_e32 v6, 16, v6
	s_delay_alu instid0(VALU_DEP_1)
	v_cndmask_b32_e64 v6, 0x7fc0, v6, s3
	s_wait_kmcnt 0x0
	global_store_b16 v7, v6, s[8:9] scale_offset
	s_wait_xcnt 0x0
	s_or_b32 exec_lo, exec_lo, s4
	s_and_saveexec_b32 s4, s2
	s_cbranch_execnz .LBB166_53
	s_branch .LBB166_54
.LBB166_79:
	v_bfe_u32 v5, v15, 16, 1
	v_cmp_o_f32_e32 vcc_lo, v15, v15
	s_delay_alu instid0(VALU_DEP_3) | instskip(NEXT) | instid1(VALU_DEP_3)
	v_add_nc_u32_e32 v0, v1, v0
	v_add3_u32 v5, v15, v5, 0x7fff
	s_delay_alu instid0(VALU_DEP_1) | instskip(NEXT) | instid1(VALU_DEP_1)
	v_lshrrev_b32_e32 v5, 16, v5
	v_cndmask_b32_e32 v5, 0x7fc0, v5, vcc_lo
	s_wait_kmcnt 0x0
	global_store_b16 v0, v5, s[8:9] scale_offset
	s_wait_xcnt 0x0
	s_or_b32 exec_lo, exec_lo, s3
	s_and_saveexec_b32 s3, s0
	s_cbranch_execz .LBB166_57
.LBB166_80:
	v_bfe_u32 v0, v13, 16, 1
	v_cmp_o_f32_e32 vcc_lo, v13, v13
	s_delay_alu instid0(VALU_DEP_3) | instskip(NEXT) | instid1(VALU_DEP_3)
	v_add_nc_u32_e32 v2, v1, v2
	v_add3_u32 v0, v13, v0, 0x7fff
	s_delay_alu instid0(VALU_DEP_1) | instskip(NEXT) | instid1(VALU_DEP_1)
	v_lshrrev_b32_e32 v0, 16, v0
	v_cndmask_b32_e32 v0, 0x7fc0, v0, vcc_lo
	s_wait_kmcnt 0x0
	global_store_b16 v2, v0, s[8:9] scale_offset
	s_wait_xcnt 0x0
	s_or_b32 exec_lo, exec_lo, s3
	s_and_saveexec_b32 s0, s1
	s_cbranch_execz .LBB166_58
.LBB166_81:
	v_bfe_u32 v0, v11, 16, 1
	v_cmp_o_f32_e32 vcc_lo, v11, v11
	v_add_nc_u32_e32 v2, v1, v3
	s_delay_alu instid0(VALU_DEP_3) | instskip(NEXT) | instid1(VALU_DEP_1)
	v_add3_u32 v0, v11, v0, 0x7fff
	v_lshrrev_b32_e32 v0, 16, v0
	s_delay_alu instid0(VALU_DEP_1) | instskip(SKIP_4) | instid1(SALU_CYCLE_1)
	v_cndmask_b32_e32 v0, 0x7fc0, v0, vcc_lo
	s_wait_kmcnt 0x0
	global_store_b16 v2, v0, s[8:9] scale_offset
	s_wait_xcnt 0x0
	s_or_b32 exec_lo, exec_lo, s0
	s_and_b32 exec_lo, exec_lo, s2
	s_cbranch_execnz .LBB166_59
	s_branch .LBB166_60
	.section	.rodata,"a",@progbits
	.p2align	6, 0x0
	.amdhsa_kernel _ZL12mul_mat_q8_0IN3c108BFloat16ELb1EEvPKvS3_PT_iiiii
		.amdhsa_group_segment_fixed_size 28224
		.amdhsa_private_segment_fixed_size 0
		.amdhsa_kernarg_size 44
		.amdhsa_user_sgpr_count 2
		.amdhsa_user_sgpr_dispatch_ptr 0
		.amdhsa_user_sgpr_queue_ptr 0
		.amdhsa_user_sgpr_kernarg_segment_ptr 1
		.amdhsa_user_sgpr_dispatch_id 0
		.amdhsa_user_sgpr_kernarg_preload_length 0
		.amdhsa_user_sgpr_kernarg_preload_offset 0
		.amdhsa_user_sgpr_private_segment_size 0
		.amdhsa_wavefront_size32 1
		.amdhsa_uses_dynamic_stack 0
		.amdhsa_enable_private_segment 0
		.amdhsa_system_sgpr_workgroup_id_x 1
		.amdhsa_system_sgpr_workgroup_id_y 1
		.amdhsa_system_sgpr_workgroup_id_z 0
		.amdhsa_system_sgpr_workgroup_info 0
		.amdhsa_system_vgpr_workitem_id 1
		.amdhsa_next_free_vgpr 184
		.amdhsa_next_free_sgpr 18
		.amdhsa_named_barrier_count 0
		.amdhsa_reserve_vcc 1
		.amdhsa_float_round_mode_32 0
		.amdhsa_float_round_mode_16_64 0
		.amdhsa_float_denorm_mode_32 3
		.amdhsa_float_denorm_mode_16_64 3
		.amdhsa_fp16_overflow 0
		.amdhsa_memory_ordered 1
		.amdhsa_forward_progress 1
		.amdhsa_inst_pref_size 88
		.amdhsa_round_robin_scheduling 0
		.amdhsa_exception_fp_ieee_invalid_op 0
		.amdhsa_exception_fp_denorm_src 0
		.amdhsa_exception_fp_ieee_div_zero 0
		.amdhsa_exception_fp_ieee_overflow 0
		.amdhsa_exception_fp_ieee_underflow 0
		.amdhsa_exception_fp_ieee_inexact 0
		.amdhsa_exception_int_div_zero 0
	.end_amdhsa_kernel
	.section	.text._ZL12mul_mat_q8_0IN3c108BFloat16ELb1EEvPKvS3_PT_iiiii,"axG",@progbits,_ZL12mul_mat_q8_0IN3c108BFloat16ELb1EEvPKvS3_PT_iiiii,comdat
.Lfunc_end166:
	.size	_ZL12mul_mat_q8_0IN3c108BFloat16ELb1EEvPKvS3_PT_iiiii, .Lfunc_end166-_ZL12mul_mat_q8_0IN3c108BFloat16ELb1EEvPKvS3_PT_iiiii
                                        ; -- End function
	.set _ZL12mul_mat_q8_0IN3c108BFloat16ELb1EEvPKvS3_PT_iiiii.num_vgpr, 184
	.set _ZL12mul_mat_q8_0IN3c108BFloat16ELb1EEvPKvS3_PT_iiiii.num_agpr, 0
	.set _ZL12mul_mat_q8_0IN3c108BFloat16ELb1EEvPKvS3_PT_iiiii.numbered_sgpr, 18
	.set _ZL12mul_mat_q8_0IN3c108BFloat16ELb1EEvPKvS3_PT_iiiii.num_named_barrier, 0
	.set _ZL12mul_mat_q8_0IN3c108BFloat16ELb1EEvPKvS3_PT_iiiii.private_seg_size, 0
	.set _ZL12mul_mat_q8_0IN3c108BFloat16ELb1EEvPKvS3_PT_iiiii.uses_vcc, 1
	.set _ZL12mul_mat_q8_0IN3c108BFloat16ELb1EEvPKvS3_PT_iiiii.uses_flat_scratch, 0
	.set _ZL12mul_mat_q8_0IN3c108BFloat16ELb1EEvPKvS3_PT_iiiii.has_dyn_sized_stack, 0
	.set _ZL12mul_mat_q8_0IN3c108BFloat16ELb1EEvPKvS3_PT_iiiii.has_recursion, 0
	.set _ZL12mul_mat_q8_0IN3c108BFloat16ELb1EEvPKvS3_PT_iiiii.has_indirect_call, 0
	.section	.AMDGPU.csdata,"",@progbits
; Kernel info:
; codeLenInByte = 11172
; TotalNumSgprs: 20
; NumVgprs: 184
; ScratchSize: 0
; MemoryBound: 0
; FloatMode: 240
; IeeeMode: 1
; LDSByteSize: 28224 bytes/workgroup (compile time only)
; SGPRBlocks: 0
; VGPRBlocks: 11
; NumSGPRsForWavesPerEU: 20
; NumVGPRsForWavesPerEU: 184
; NamedBarCnt: 0
; Occupancy: 5
; WaveLimiterHint : 0
; COMPUTE_PGM_RSRC2:SCRATCH_EN: 0
; COMPUTE_PGM_RSRC2:USER_SGPR: 2
; COMPUTE_PGM_RSRC2:TRAP_HANDLER: 0
; COMPUTE_PGM_RSRC2:TGID_X_EN: 1
; COMPUTE_PGM_RSRC2:TGID_Y_EN: 1
; COMPUTE_PGM_RSRC2:TGID_Z_EN: 0
; COMPUTE_PGM_RSRC2:TIDIG_COMP_CNT: 1
	.section	.text._ZL12mul_mat_q2_KIN3c108BFloat16ELb0EEvPKvS3_PT_iiiii,"axG",@progbits,_ZL12mul_mat_q2_KIN3c108BFloat16ELb0EEvPKvS3_PT_iiiii,comdat
	.globl	_ZL12mul_mat_q2_KIN3c108BFloat16ELb0EEvPKvS3_PT_iiiii ; -- Begin function _ZL12mul_mat_q2_KIN3c108BFloat16ELb0EEvPKvS3_PT_iiiii
	.p2align	8
	.type	_ZL12mul_mat_q2_KIN3c108BFloat16ELb0EEvPKvS3_PT_iiiii,@function
_ZL12mul_mat_q2_KIN3c108BFloat16ELb0EEvPKvS3_PT_iiiii: ; @_ZL12mul_mat_q2_KIN3c108BFloat16ELb0EEvPKvS3_PT_iiiii
; %bb.0:
	s_clause 0x1
	s_load_b32 s10, s[0:1], 0x18
	s_load_b96 s[4:6], s[0:1], 0x20
	s_bfe_u32 s2, ttmp6, 0x4000c
	s_bfe_u32 s7, ttmp6, 0x40010
	s_add_co_i32 s2, s2, 1
	s_and_b32 s3, ttmp6, 15
	s_mul_i32 s2, ttmp9, s2
	s_add_co_i32 s7, s7, 1
	s_add_co_i32 s3, s3, s2
	s_mul_i32 s2, ttmp7, s7
	s_bfe_u32 s7, ttmp6, 0x40004
	s_getreg_b32 s8, hwreg(HW_REG_IB_STS2, 6, 4)
	s_add_co_i32 s7, s7, s2
	s_cmp_eq_u32 s8, 0
	v_bfe_u32 v1, v0, 10, 10
	s_cselect_b32 s7, ttmp7, s7
	s_set_vgpr_msb 64                       ;  msbs: dst=1 src0=0 src1=0 src2=0
	v_and_b32_e32 v167 /*v423*/, 0x3ff, v0
	s_cselect_b32 s2, ttmp9, s3
	s_lshl_b32 s7, s7, 6
	s_mov_b32 s3, 0
	s_wait_kmcnt 0x0
	s_cmp_gt_i32 s10, 0xff
	scratch_store_b32 off, v1, off offset:200 ; 4-byte Folded Spill
	s_set_vgpr_msb 0                        ;  msbs: dst=0 src0=0 src1=0 src2=0
	s_cbranch_scc1 .LBB167_4
; %bb.1:
	s_wait_xcnt 0x0
	v_bfe_u32 v1, v0, 10, 10
	v_and_b32_e32 v2, 0x3ff, v0
	s_delay_alu instid0(VALU_DEP_2)
	v_add_nc_u32_e32 v3, s7, v1
	scratch_store_b32 off, v3, off offset:432 ; 4-byte Folded Spill
	s_load_b64 s[8:9], s[0:1], 0x10
	s_and_not1_b32 vcc_lo, exec_lo, s3
	s_lshl_b32 s14, s2, 7
	s_cbranch_vccz .LBB167_5
; %bb.2:
	v_dual_mov_b32 v72, 0 :: v_dual_mov_b32 v73, 0
	s_set_vgpr_msb 64                       ;  msbs: dst=1 src0=0 src1=0 src2=0
	v_mov_b64_e32 v[168:169] /*v[424:425]*/, 0
	s_set_vgpr_msb 0                        ;  msbs: dst=0 src0=0 src1=0 src2=0
	v_mov_b64_e32 v[98:99], 0
	s_set_vgpr_msb 64                       ;  msbs: dst=1 src0=0 src1=0 src2=0
	v_mov_b64_e32 v[170:171] /*v[426:427]*/, 0
	s_set_vgpr_msb 0                        ;  msbs: dst=0 src0=0 src1=0 src2=0
	v_mov_b64_e32 v[100:101], 0
	v_mov_b64_e32 v[68:69], 0
	;; [unrolled: 1-line block ×3, first 2 shown]
	v_dual_mov_b32 v83, 0 :: v_dual_mov_b32 v77, 0
	v_dual_mov_b32 v76, 0 :: v_dual_mov_b32 v82, 0
	v_dual_mov_b32 v90, 0 :: v_dual_mov_b32 v91, 0
	v_dual_mov_b32 v79, 0 :: v_dual_mov_b32 v78, 0
	v_dual_mov_b32 v75, 0 :: v_dual_mov_b32 v97, 0
	v_dual_mov_b32 v96, 0 :: v_dual_mov_b32 v74, 0
	v_dual_mov_b32 v81, 0 :: v_dual_mov_b32 v80, 0
	v_dual_mov_b32 v93, 0 :: v_dual_mov_b32 v92, 0
	v_dual_mov_b32 v103, 0 :: v_dual_mov_b32 v102, 0
	scratch_load_b32 v0, off, off offset:432 ; 4-byte Folded Reload
	s_mov_b32 s0, exec_lo
	s_wait_loadcnt 0x0
	v_cmpx_gt_u32_e64 s4, v0
	s_cbranch_execnz .LBB167_16
.LBB167_3:
	s_sendmsg sendmsg(MSG_DEALLOC_VGPRS)
	s_endpgm
.LBB167_4:
                                        ; implicit-def: $vgpr1
                                        ; implicit-def: $vgpr2
                                        ; implicit-def: $vgpr3
                                        ; kill: killed $vgpr3
	s_load_b64 s[8:9], s[0:1], 0x10
	s_lshl_b32 s14, s2, 7
.LBB167_5:
	v_bfe_u32 v38, v0, 10, 10
	s_add_co_i32 s11, s4, -1
	v_and_b32_e32 v36, 1, v0
	v_cvt_f64_i32_e32 v[2:3], s11
	v_bfe_u32 v40, v0, 4, 6
	v_dual_add_nc_u32 v17, s7, v38 :: v_dual_mov_b32 v43, 0
	v_add_nc_u32_e32 v25, 32, v38
	s_set_vgpr_msb 4                        ;  msbs: dst=0 src0=0 src1=1 src2=0
	v_lshlrev_b32_e32 v20, 2, v167 /*v423*/
	v_bfe_u32 v22, v0, 1, 9
	s_set_vgpr_msb 0                        ;  msbs: dst=0 src0=0 src1=0 src2=0
	v_dual_add_nc_u32 v1, 8, v17 :: v_dual_add_nc_u32 v8, 16, v17
	v_add_nc_u32_e32 v10, 24, v17
	v_cvt_f64_u32_e32 v[4:5], v17
	v_dual_add_nc_u32 v14, 40, v17 :: v_dual_add_nc_u32 v16, 48, v17
	s_delay_alu instid0(VALU_DEP_4)
	v_cvt_f64_u32_e32 v[6:7], v1
	v_add_nc_u32_e32 v1, 32, v17
	v_cvt_f64_u32_e32 v[8:9], v8
	v_cvt_f64_u32_e32 v[10:11], v10
	;; [unrolled: 1-line block ×3, first 2 shown]
	v_add_nc_u32_e32 v21, 8, v38
	v_cvt_f64_u32_e32 v[12:13], v1
	v_add_nc_u32_e32 v1, 56, v17
	v_bfe_u32 v26, v0, 3, 7
	v_dual_add_nc_u32 v27, 40, v38 :: v_dual_bitop2_b32 v28, 7, v0 bitop3:0x40
	v_bfe_u32 v31, v0, 2, 8
	s_delay_alu instid0(VALU_DEP_4)
	v_cvt_f64_u32_e32 v[18:19], v1
	v_dual_lshlrev_b32 v34, 7, v38 :: v_dual_bitop2_b32 v32, 3, v0 bitop3:0x40
	v_and_b32_e32 v33, 31, v0
	v_lshl_add_u32 v26, v38, 2, v26
	v_lshl_add_u32 v22, v38, 4, v22
	s_ashr_i32 s12, s10, 31
	s_ashr_i32 s13, s5, 31
	s_lshr_b32 s12, s12, 24
	v_and_b32_e32 v37, 0x7fc, v26
	s_lshr_b32 s13, s13, 27
	s_add_co_i32 s10, s10, s12
	s_add_co_i32 s12, s5, s13
	s_ashr_i32 s5, s10, 8
	s_ashr_i32 s16, s12, 5
	s_lshl_b32 s10, s5, 3
	v_dual_add_nc_u32 v23, 16, v38 :: v_dual_add_nc_u32 v24, 24, v38
	v_dual_min_num_f64 v[0:1], v[4:5], v[2:3] :: v_dual_lshlrev_b32 v35, 2, v36
	v_min_num_f64_e32 v[4:5], v[6:7], v[2:3]
	s_wait_xcnt 0x0
	s_load_b128 s[0:3], s[0:1], 0x0
	v_min_num_f64_e32 v[6:7], v[8:9], v[2:3]
	v_min_num_f64_e32 v[8:9], v[10:11], v[2:3]
	v_mad_u32_u24 v10, 0x84, v38, v20
	s_set_vgpr_msb 64                       ;  msbs: dst=1 src0=0 src1=0 src2=0
	v_dual_lshlrev_b32 v183 /*v439*/, 5, v24 :: v_dual_lshlrev_b32 v184 /*v440*/, 5, v25
	s_lshl_b32 s15, s5, 5
	v_cmp_lt_u32_e32 vcc_lo, 3, v28
	scratch_store_b32 off, v10, off offset:228 ; 4-byte Folded Spill
	s_wait_xcnt 0x0
	s_set_vgpr_msb 0                        ;  msbs: dst=0 src0=0 src1=0 src2=0
	v_min_num_f64_e32 v[10:11], v[12:13], v[2:3]
	v_dual_min_num_f64 v[12:13], v[14:15], v[2:3] :: v_dual_mov_b32 v14, v36
	v_and_b32_e32 v42, 60, v20
	scratch_store_b32 off, v17, off offset:432 ; 4-byte Folded Spill
	s_wait_xcnt 0x0
	v_cvt_f64_u32_e32 v[16:17], v16
	v_lshlrev_b32_e32 v36, 2, v28
	s_clause 0x1
	scratch_store_b64 off, v[14:15], off offset:220
	scratch_store_b64 off, v[42:43], off offset:212
	v_dual_add_nc_u32 v29, 48, v38 :: v_dual_add_nc_u32 v30, 56, v38
	s_mul_i32 s12, s5, s14
	v_mov_b64_e32 v[70:71], 0
	v_mov_b64_e32 v[68:69], 0
	;; [unrolled: 1-line block ×3, first 2 shown]
	s_set_vgpr_msb 64                       ;  msbs: dst=1 src0=0 src1=0 src2=0
	v_mov_b64_e32 v[170:171] /*v[426:427]*/, 0
	s_set_vgpr_msb 0                        ;  msbs: dst=0 src0=0 src1=0 src2=0
	v_mov_b64_e32 v[98:99], 0
	s_set_vgpr_msb 64                       ;  msbs: dst=1 src0=0 src1=0 src2=0
	v_mov_b64_e32 v[168:169] /*v[424:425]*/, 0
	s_set_vgpr_msb 0                        ;  msbs: dst=0 src0=0 src1=0 src2=0
	v_mov_b64_e32 v[102:103], 0
	v_mov_b64_e32 v[76:77], 0
	v_cvt_i32_f64_e32 v0, v[0:1]
	v_mov_b64_e32 v[72:73], 0
	v_cvt_i32_f64_e32 v1, v[4:5]
	v_add_nc_u32_e32 v4, 32, v26
	v_cvt_i32_f64_e32 v5, v[6:7]
	v_lshlrev_b32_e32 v6, 5, v26
	v_cvt_i32_f64_e32 v7, v[8:9]
	v_mov_b64_e32 v[92:93], 0
	v_mov_b64_e32 v[80:81], 0
	;; [unrolled: 1-line block ×7, first 2 shown]
	s_ashr_i32 s13, s12, 31
	s_set_vgpr_msb 64                       ;  msbs: dst=1 src0=0 src1=0 src2=0
	v_dual_lshlrev_b32 v181 /*v437*/, 5, v21 :: v_dual_lshlrev_b32 v182 /*v438*/, 5, v23
	s_wait_xcnt 0x1
	s_set_vgpr_msb 0                        ;  msbs: dst=0 src0=0 src1=0 src2=0
	v_dual_min_num_f64 v[14:15], v[16:17], v[2:3] :: v_dual_mov_b32 v17, v43
	v_dual_min_num_f64 v[2:3], v[18:19], v[2:3] :: v_dual_lshlrev_b32 v19, 2, v32
	v_cvt_i32_f64_e32 v12, v[12:13]
	v_and_b32_e32 v16, 12, v20
	v_lshl_add_u32 v18, v38, 3, v31
	v_cvt_i32_f64_e32 v9, v[10:11]
	v_add_nc_u32_e32 v10, 0x60, v26
	s_set_vgpr_msb 64                       ;  msbs: dst=1 src0=0 src1=0 src2=0
	v_dual_lshlrev_b32 v185 /*v441*/, 5, v27 :: v_dual_lshlrev_b32 v186 /*v442*/, 5, v29
	s_set_vgpr_msb 0                        ;  msbs: dst=0 src0=0 src1=0 src2=0
	v_and_b32_e32 v11, 63, v18
	v_and_b32_e32 v18, 0xffc, v4
	v_add_nc_u32_e32 v8, 64, v26
	s_set_vgpr_msb 64                       ;  msbs: dst=1 src0=0 src1=0 src2=0
	v_dual_lshlrev_b32 v211 /*v467*/, 5, v38 :: v_dual_lshlrev_b32 v215 /*v471*/, 2, v40
	v_mul_lo_u32 v173 /*v429*/, s16, v0
	v_mul_lo_u32 v174 /*v430*/, s16, v1
	s_set_vgpr_msb 0                        ;  msbs: dst=0 src0=0 src1=0 src2=0
	v_lshlrev_b32_e32 v1, 7, v23
	s_set_vgpr_msb 64                       ;  msbs: dst=1 src0=0 src1=0 src2=0
	v_mul_lo_u32 v175 /*v431*/, s16, v5
	s_set_vgpr_msb 0                        ;  msbs: dst=0 src0=0 src1=0 src2=0
	v_lshlrev_b32_e32 v5, 7, v24
	s_set_vgpr_msb 64                       ;  msbs: dst=1 src0=0 src1=0 src2=0
	v_mul_lo_u32 v176 /*v432*/, s16, v7
	s_set_vgpr_msb 0                        ;  msbs: dst=0 src0=0 src1=0 src2=0
	v_lshlrev_b32_e32 v7, 7, v25
	s_set_vgpr_msb 0x44                     ;  msbs: dst=1 src0=0 src1=1 src2=0
	v_mul_u32_u24_e32 v212 /*v468*/, 0x84, v167 /*v423*/
	v_dual_lshlrev_b32 v213 /*v469*/, 5, v167 /*v423*/ :: v_dual_lshlrev_b32 v214 /*v470*/, 3, v167 /*v423*/
	s_set_vgpr_msb 0                        ;  msbs: dst=0 src0=0 src1=0 src2=0
	v_lshlrev_b32_e32 v4, 5, v4
	s_mul_u64 s[12:13], s[12:13], 0x54
	v_lshlrev_b32_e32 v0, 7, v21
	s_wait_kmcnt 0x0
	s_add_nc_u64 s[0:1], s[0:1], s[12:13]
	s_set_vgpr_msb 64                       ;  msbs: dst=1 src0=0 src1=0 src2=0
	v_lshlrev_b32_e32 v204 /*v460*/, 2, v31
	s_set_vgpr_msb 0                        ;  msbs: dst=0 src0=0 src1=0 src2=0
	v_cvt_i32_f64_e32 v13, v[14:15]
	v_cvt_i32_f64_e32 v2, v[2:3]
	v_add3_u32 v3, v37, v36, 0x6200
	v_or_b32_e32 v37, s7, v11
	s_set_vgpr_msb 64                       ;  msbs: dst=1 src0=0 src1=0 src2=0
	v_mul_lo_u32 v178 /*v434*/, s16, v12
	v_mul_lo_u32 v177 /*v433*/, s16, v9
	s_set_vgpr_msb 0                        ;  msbs: dst=0 src0=0 src1=0 src2=0
	v_add_nc_u32_e32 v3, v3, v6
	scratch_store_b64 off, v[16:17], off offset:232 ; 8-byte Folded Spill
	s_wait_xcnt 0x0
	v_and_b32_e32 v16, 28, v20
	v_lshl_or_b32 v20, v33, 2, 0x4200
	v_and_b32_e32 v33, 0x7f, v22
	v_dual_lshrrev_b32 v22, 2, v22 :: v_dual_lshlrev_b32 v9, 7, v27
	s_set_vgpr_msb 64                       ;  msbs: dst=1 src0=0 src1=0 src2=0
	v_add_nc_u64_e32 v[202:203] /*v[458:459]*/, s[2:3], v[16:17]
	v_dual_add_nc_u32 v193 /*v449*/, v20, v0 :: v_dual_add_nc_u32 v194 /*v450*/, v20, v1
	s_set_vgpr_msb 0                        ;  msbs: dst=0 src0=0 src1=0 src2=0
	v_lshl_or_b32 v14, v33, 3, v35
	v_and_b32_e32 v15, 28, v22
	v_and_b32_e32 v22, 0xffc, v8
	;; [unrolled: 1-line block ×3, first 2 shown]
	v_dual_lshlrev_b32 v8, 5, v8 :: v_dual_lshlrev_b32 v10, 5, v10
	s_delay_alu instid0(VALU_DEP_4)
	v_add3_u32 v14, v14, v15, 0x7280
	v_add3_u32 v15, v18, v36, 0x6200
	v_lshl_or_b32 v11, v11, 4, v19
	v_add3_u32 v18, v22, v36, 0x6200
	v_add3_u32 v19, v35, v36, 0x6200
	s_set_vgpr_msb 64                       ;  msbs: dst=1 src0=0 src1=0 src2=0
	v_add_nc_u32_e32 v192 /*v448*/, v20, v34
	s_set_vgpr_msb 0                        ;  msbs: dst=0 src0=0 src1=0 src2=0
	v_add_nc_u32_e32 v4, v15, v4
	scratch_store_b32 off, v14, off offset:240 ; 4-byte Folded Spill
	s_wait_xcnt 0x0
	v_min_i32_e32 v14, s11, v37
	s_set_vgpr_msb 64                       ;  msbs: dst=1 src0=0 src1=0 src2=0
	v_add_nc_u32_e32 v172 /*v428*/, 0x76a0, v11
	v_mul_lo_u32 v180 /*v436*/, s16, v2
	scratch_store_b32 off, v4, off offset:284 ; 4-byte Folded Spill
	v_mul_lo_u32 v179 /*v435*/, s16, v13
	s_set_vgpr_msb 0                        ;  msbs: dst=0 src0=0 src1=0 src2=0
	v_mad_u32 v11, v14, s16, v32
	v_mad_i32_i24 v14, s5, v38, s10
	s_set_vgpr_msb 64                       ;  msbs: dst=1 src0=0 src1=0 src2=0
	v_dual_add_nc_u32 v195 /*v451*/, v20, v5 :: v_dual_add_nc_u32 v196 /*v452*/, v20, v7
	s_mov_b32 s11, 0
	s_set_vgpr_msb 0                        ;  msbs: dst=0 src0=0 src1=0 src2=0
	v_dual_mov_b32 v12, v14 :: v_dual_add_nc_u32 v22, s10, v14
	s_delay_alu instid0(VALU_DEP_1)
	v_add_nc_u32_e32 v42, s10, v22
	s_set_vgpr_msb 4                        ;  msbs: dst=0 src0=0 src1=1 src2=0
	v_dual_add_nc_u32 v2, 64, v167 /*v423*/ :: v_dual_mov_b32 v14, v22
	v_add_nc_u32_e32 v22, 0x60, v167 /*v423*/
	s_set_vgpr_msb 0                        ;  msbs: dst=0 src0=0 src1=0 src2=0
	scratch_store_b64 off, v[12:13], off offset:248 ; 8-byte Folded Spill
	v_dual_mov_b32 v36, v42 :: v_dual_add_nc_u32 v42, s10, v42
	v_lshrrev_b32_e32 v35, 2, v2
	s_set_vgpr_msb 64                       ;  msbs: dst=1 src0=0 src1=0 src2=0
	v_dual_lshlrev_b32 v190 /*v446*/, 5, v2 :: v_dual_lshlrev_b32 v191 /*v447*/, 3, v2
	s_wait_xcnt 0x0
	s_set_vgpr_msb 0                        ;  msbs: dst=0 src0=0 src1=0 src2=0
	v_dual_lshlrev_b32 v12, 7, v29 :: v_dual_lshlrev_b32 v13, 7, v30
	v_dual_mov_b32 v4, v42 :: v_dual_add_nc_u32 v42, s10, v42
	scratch_store_b64 off, v[36:37], off offset:264 ; 8-byte Folded Spill
	s_wait_xcnt 0x0
	v_lshrrev_b32_e32 v36, 4, v2
	scratch_store_b64 off, v[14:15], off offset:256 ; 8-byte Folded Spill
	s_set_vgpr_msb 64                       ;  msbs: dst=1 src0=0 src1=0 src2=0
	v_dual_add_nc_u32 v197 /*v453*/, v20, v9 :: v_dual_add_nc_u32 v198 /*v454*/, v20, v12
	s_set_vgpr_msb 0                        ;  msbs: dst=0 src0=0 src1=0 src2=0
	v_dual_mov_b32 v6, v42 :: v_dual_add_nc_u32 v24, s10, v42
	scratch_store_b64 off, v[4:5], off offset:272 ; 8-byte Folded Spill
	s_set_vgpr_msb 64                       ;  msbs: dst=1 src0=0 src1=0 src2=0
	v_dual_add_nc_u32 v199 /*v455*/, v20, v13 :: v_dual_lshlrev_b32 v200 /*v456*/, 5, v22
	scratch_store_b64 off, v[6:7], off offset:288 ; 8-byte Folded Spill
	s_wait_xcnt 0x0
	s_set_vgpr_msb 0                        ;  msbs: dst=0 src0=0 src1=0 src2=0
	v_mov_b32_e32 v6, v24
	scratch_store_b32 off, v3, off offset:280 ; 4-byte Folded Spill
	s_wait_xcnt 0x0
	v_dual_add_nc_u32 v24, s10, v24 :: v_dual_lshrrev_b32 v3, 2, v22
	s_set_vgpr_msb 64                       ;  msbs: dst=1 src0=0 src1=0 src2=0
	v_lshlrev_b32_e32 v201 /*v457*/, 3, v22
	scratch_store_b64 off, v[6:7], off offset:296 ; 8-byte Folded Spill
	s_wait_xcnt 0x0
	s_set_vgpr_msb 0                        ;  msbs: dst=0 src0=0 src1=0 src2=0
	v_add_nc_u32_e32 v6, v18, v8
	s_set_vgpr_msb 64                       ;  msbs: dst=1 src0=0 src1=0 src2=0
	v_dual_lshlrev_b32 v207 /*v463*/, 2, v35 :: v_dual_lshlrev_b32 v208 /*v464*/, 2, v36
	scratch_store_b32 off, v6, off offset:312 ; 4-byte Folded Spill
	s_wait_xcnt 0x0
	s_set_vgpr_msb 0                        ;  msbs: dst=0 src0=0 src1=0 src2=0
	v_add_nc_u32_e32 v6, v19, v10
	scratch_store_b32 off, v6, off offset:316 ; 4-byte Folded Spill
	s_wait_xcnt 0x0
	v_mov_b32_e32 v6, v24
	scratch_store_b64 off, v[6:7], off offset:304 ; 8-byte Folded Spill
	s_wait_xcnt 0x0
	v_add_nc_u32_e32 v6, s10, v24
	s_delay_alu instid0(VALU_DEP_1)
	v_dual_mov_b32 v0, v6 :: v_dual_add_nc_u32 v2, s10, v6
	scratch_store_b64 off, v[0:1], off offset:320 ; 8-byte Folded Spill
	s_wait_xcnt 0x0
	v_dual_mov_b32 v0, v2 :: v_dual_add_nc_u32 v2, s10, v2
	scratch_store_b64 off, v[0:1], off offset:328 ; 8-byte Folded Spill
	s_wait_xcnt 0x0
	;; [unrolled: 3-line block ×5, first 2 shown]
	v_mul_i32_i24_e32 v0, s5, v33
	scratch_store_b64 off, v[0:1], off offset:368 ; 8-byte Folded Spill
	s_wait_xcnt 0x0
	v_mul_i32_i24_e32 v0, s5, v26
	scratch_store_b64 off, v[0:1], off offset:376 ; 8-byte Folded Spill
	s_wait_xcnt 0x0
	v_dual_mov_b32 v0, v2 :: v_dual_add_nc_u32 v2, s10, v2
	v_lshrrev_b32_e32 v4, 4, v22
	scratch_store_b64 off, v[0:1], off offset:360 ; 8-byte Folded Spill
	s_wait_xcnt 0x0
	v_mov_b32_e32 v0, v40
	scratch_store_b32 off, v11, off offset:244 ; 4-byte Folded Spill
	s_wait_xcnt 0x0
	s_set_vgpr_msb 4                        ;  msbs: dst=0 src0=0 src1=1 src2=0
	v_add_nc_u32_e32 v11, 32, v167 /*v423*/
	s_set_vgpr_msb 64                       ;  msbs: dst=1 src0=0 src1=0 src2=0
	v_lshlrev_b32_e32 v187 /*v443*/, 5, v30
	scratch_store_b64 off, v[0:1], off offset:204 ; 8-byte Folded Spill
	s_wait_xcnt 0x0
	s_set_vgpr_msb 0                        ;  msbs: dst=0 src0=0 src1=0 src2=0
	v_dual_mov_b32 v0, v2 :: v_dual_lshrrev_b32 v32, 4, v11
	s_set_vgpr_msb 64                       ;  msbs: dst=1 src0=0 src1=0 src2=0
	v_dual_lshlrev_b32 v209 /*v465*/, 2, v3 :: v_dual_lshlrev_b32 v210 /*v466*/, 2, v4
	s_set_vgpr_msb 0                        ;  msbs: dst=0 src0=0 src1=0 src2=0
	v_mad_i32_i24 v4, s5, v26, s15
	scratch_store_b64 off, v[0:1], off offset:392 ; 8-byte Folded Spill
	s_wait_xcnt 0x0
	v_dual_add_nc_u32 v0, s10, v2 :: v_dual_lshrrev_b32 v14, 2, v11
	s_set_vgpr_msb 64                       ;  msbs: dst=1 src0=0 src1=0 src2=0
	v_lshlrev_b32_e32 v188 /*v444*/, 5, v11
	s_set_vgpr_msb 0                        ;  msbs: dst=0 src0=0 src1=0 src2=0
	v_add_nc_u32_e32 v2, s15, v4
	s_set_vgpr_msb 64                       ;  msbs: dst=1 src0=0 src1=0 src2=0
	v_lshlrev_b32_e32 v189 /*v445*/, 3, v11
	scratch_store_b64 off, v[0:1], off offset:400 ; 8-byte Folded Spill
	s_wait_xcnt 0x0
	s_set_vgpr_msb 0                        ;  msbs: dst=0 src0=0 src1=0 src2=0
	v_mov_b32_e32 v0, v4
	s_set_vgpr_msb 64                       ;  msbs: dst=1 src0=0 src1=0 src2=0
	v_dual_lshlrev_b32 v205 /*v461*/, 2, v14 :: v_dual_lshlrev_b32 v206 /*v462*/, 2, v32
	s_mov_b32 s10, s11
	scratch_store_b64 off, v[0:1], off offset:384 ; 8-byte Folded Spill
	s_wait_xcnt 0x0
	s_set_vgpr_msb 0                        ;  msbs: dst=0 src0=0 src1=0 src2=0
	v_cndmask_b32_e64 v0, 0, 1, vcc_lo
	scratch_store_b64 off, v[0:1], off offset:416 ; 8-byte Folded Spill
	s_wait_xcnt 0x0
	v_mov_b32_e32 v0, v2
	scratch_store_b64 off, v[0:1], off offset:408 ; 8-byte Folded Spill
	s_wait_xcnt 0x0
	v_add_nc_u32_e32 v0, s15, v2
	s_clause 0x2d
	scratch_store_b64 off, v[0:1], off offset:424
	s_set_vgpr_msb 4                        ;  msbs: dst=0 src0=0 src1=1 src2=0
	scratch_store_b32 off, v167 /*v423*/, off offset:120
	scratch_store_b32 off, v172 /*v428*/, off offset:124
	;; [unrolled: 1-line block ×31, first 2 shown]
	scratch_store_b64 off, v[202:203] /*v[458:459]*/, off offset:192
	scratch_store_b32 off, v204 /*v460*/, off offset:68
	scratch_store_b32 off, v205 /*v461*/, off offset:72
	;; [unrolled: 1-line block ×12, first 2 shown]
	s_set_vgpr_msb 0                        ;  msbs: dst=0 src0=0 src1=0 src2=0
	s_branch .LBB167_7
.LBB167_6:                              ;   in Loop: Header=BB167_7 Depth=1
	s_add_co_i32 s10, s10, 2
	s_delay_alu instid0(SALU_CYCLE_1)
	s_cmp_ge_i32 s10, s5
	s_cbranch_scc1 .LBB167_15
.LBB167_7:                              ; =>This Loop Header: Depth=1
                                        ;     Child Loop BB167_9 Depth 2
                                        ;       Child Loop BB167_11 Depth 3
                                        ;       Child Loop BB167_13 Depth 3
	s_clause 0x2
	scratch_load_b64 v[0:1], off, off offset:204
	scratch_load_b64 v[4:5], off, off offset:212
	scratch_load_b32 v2, off, off offset:200
	s_mul_u64 s[12:13], s[10:11], 0x54
	s_delay_alu instid0(SALU_CYCLE_1) | instskip(SKIP_4) | instid1(VALU_DEP_1)
	s_add_nc_u64 s[12:13], s[0:1], s[12:13]
	s_wait_loadcnt 0x2
	v_mad_nc_u64_u32 v[0:1], 0x54, v0, s[12:13]
	s_wait_loadcnt 0x0
	v_mul_i32_i24_e32 v2, s5, v2
	v_mad_nc_u64_u32 v[2:3], 0x54, v2, v[0:1]
	s_delay_alu instid0(VALU_DEP_1)
	v_add_nc_u64_e32 v[2:3], v[2:3], v[4:5]
	global_load_b32 v2, v[2:3], off offset:16
	scratch_load_b32 v6, off, off offset:228 ; 4-byte Folded Reload
	s_wait_loadcnt 0x0
	ds_store_b32 v6, v2
	scratch_load_b64 v[2:3], off, off offset:248 ; 8-byte Folded Reload
	s_wait_loadcnt 0x0
	v_mad_nc_u64_u32 v[2:3], 0x54, v2, v[0:1]
	s_delay_alu instid0(VALU_DEP_1)
	v_add_nc_u64_e32 v[2:3], v[2:3], v[4:5]
	global_load_b32 v2, v[2:3], off offset:16
	s_wait_xcnt 0x0
	v_add_nc_u32_e32 v3, 0x420, v6
	s_wait_loadcnt 0x0
	ds_store_b32 v3, v2
	scratch_load_b64 v[2:3], off, off offset:256 ; 8-byte Folded Reload
	s_wait_loadcnt 0x0
	v_mad_nc_u64_u32 v[2:3], 0x54, v2, v[0:1]
	s_delay_alu instid0(VALU_DEP_1)
	v_add_nc_u64_e32 v[2:3], v[2:3], v[4:5]
	global_load_b32 v2, v[2:3], off offset:16
	s_wait_xcnt 0x0
	v_add_nc_u32_e32 v3, 0x840, v6
	;; [unrolled: 10-line block ×14, first 2 shown]
	s_wait_loadcnt 0x0
	ds_store_b32 v3, v2
	scratch_load_b64 v[2:3], off, off offset:400 ; 8-byte Folded Reload
	s_wait_loadcnt 0x0
	v_mad_nc_u64_u32 v[0:1], 0x54, v2, v[0:1]
	scratch_load_b64 v[2:3], off, off offset:220 ; 8-byte Folded Reload
	v_add_nc_u64_e32 v[0:1], v[0:1], v[4:5]
	global_load_b32 v0, v[0:1], off offset:16
	s_wait_xcnt 0x0
	v_add_nc_u32_e32 v1, 0x3de0, v6
	s_wait_loadcnt 0x0
	ds_store_b32 v1, v0
	scratch_load_b64 v[0:1], off, off offset:368 ; 8-byte Folded Reload
	s_wait_loadcnt 0x0
	v_mad_nc_u64_u32 v[0:1], 0x54, v0, s[12:13]
	s_delay_alu instid0(VALU_DEP_1)
	v_mad_nc_u64_u32 v[0:1], 0x54, v2, v[0:1]
	global_load_b32 v0, v[0:1], off offset:80
	s_clause 0x1
	scratch_load_b32 v1, off, off offset:240
	scratch_load_b64 v[2:3], off, off offset:232
	s_wait_loadcnt 0x1
	ds_store_b32 v1, v0
	scratch_load_b64 v[0:1], off, off offset:416 ; 8-byte Folded Reload
	s_wait_loadcnt 0x0
	v_mad_nc_u64_u32 v[0:1], 0x54, v0, s[12:13]
	s_lshl_b32 s12, s10, 3
	s_mov_b32 s13, 0
	s_delay_alu instid0(VALU_DEP_1)
	v_add_nc_u64_e32 v[0:1], v[0:1], v[2:3]
	scratch_load_b64 v[2:3], off, off offset:376 ; 8-byte Folded Reload
	s_wait_loadcnt 0x0
	v_mad_nc_u64_u32 v[2:3], 0x54, v2, v[0:1]
	global_load_b32 v2, v[2:3], off
	scratch_load_b32 v3, off, off offset:280 ; 4-byte Folded Reload
	s_wait_loadcnt 0x0
	ds_store_b32 v3, v2
	scratch_load_b64 v[2:3], off, off offset:384 ; 8-byte Folded Reload
	s_wait_loadcnt 0x0
	v_mad_nc_u64_u32 v[2:3], 0x54, v2, v[0:1]
	global_load_b32 v2, v[2:3], off
	scratch_load_b32 v3, off, off offset:284 ; 4-byte Folded Reload
	s_wait_loadcnt 0x0
	ds_store_b32 v3, v2
	;; [unrolled: 7-line block ×4, first 2 shown]
	scratch_load_b32 v0, off, off offset:244 ; 4-byte Folded Reload
	s_wait_loadcnt 0x0
	s_set_vgpr_msb 64                       ;  msbs: dst=1 src0=0 src1=0 src2=0
	v_add_nc_u32_e32 v216 /*v472*/, s12, v0
	s_set_vgpr_msb 4                        ;  msbs: dst=0 src0=0 src1=1 src2=0
	scratch_store_b32 off, v216 /*v472*/, off offset:116 ; 4-byte Folded Spill
	s_set_vgpr_msb 0                        ;  msbs: dst=0 src0=0 src1=0 src2=0
	s_branch .LBB167_9
.LBB167_8:                              ;   in Loop: Header=BB167_9 Depth=2
                                        ; implicit-def: $sgpr13
	s_and_b32 vcc_lo, exec_lo, s15
	s_cbranch_vccnz .LBB167_6
.LBB167_9:                              ;   Parent Loop BB167_7 Depth=1
                                        ; =>  This Loop Header: Depth=2
                                        ;       Child Loop BB167_11 Depth 3
                                        ;       Child Loop BB167_13 Depth 3
	s_lshr_b32 s15, s13, 1
	s_delay_alu instid0(SALU_CYCLE_1) | instskip(NEXT) | instid1(SALU_CYCLE_1)
	s_or_b32 s15, s15, s10
	s_cmp_lt_i32 s15, s5
	s_mov_b32 s15, -1
	s_cbranch_scc0 .LBB167_8
; %bb.10:                               ;   in Loop: Header=BB167_9 Depth=2
	s_wait_loadcnt 0x13
	s_set_vgpr_msb 16                       ;  msbs: dst=0 src0=0 src1=0 src2=1
	v_lshl_add_u32 v0, s13, 5, v167 /*v423*/
	s_or_b32 s16, s13, 1
	s_lshl_b32 s17, s13, 3
	s_lshl_b32 s15, s16, 3
	s_delay_alu instid0(VALU_DEP_1) | instskip(NEXT) | instid1(VALU_DEP_1)
	v_lshrrev_b32_e32 v0, 3, v0
	v_add_nc_u32_e32 v2, s12, v0
	s_wait_loadcnt 0x11
	s_set_vgpr_msb 4                        ;  msbs: dst=0 src0=0 src1=1 src2=0
	s_delay_alu instid0(VALU_DEP_1) | instskip(SKIP_2) | instid1(VALU_DEP_1)
	v_add_nc_u32_e32 v0, v2, v173 /*v429*/
	s_wait_loadcnt 0x1
	s_set_vgpr_msb 16                       ;  msbs: dst=0 src0=0 src1=0 src2=1
	v_mad_nc_i64_i32 v[0:1], v0, 36, v[202:203] /*v[458:459]*/
	global_load_b32 v0, v[0:1], off offset:4
	s_wait_loadcnt 0x0
	s_set_vgpr_msb 1                        ;  msbs: dst=0 src0=1 src1=0 src2=0
	ds_store_b32 v192 /*v448*/, v0
	s_wait_xcnt 0x0
	s_set_vgpr_msb 4                        ;  msbs: dst=0 src0=0 src1=1 src2=0
	v_add_nc_u32_e32 v0, v2, v174 /*v430*/
	s_set_vgpr_msb 16                       ;  msbs: dst=0 src0=0 src1=0 src2=1
	s_delay_alu instid0(VALU_DEP_1)
	v_mad_nc_i64_i32 v[0:1], v0, 36, v[202:203] /*v[458:459]*/
	global_load_b32 v0, v[0:1], off offset:4
	s_wait_loadcnt 0x0
	s_set_vgpr_msb 1                        ;  msbs: dst=0 src0=1 src1=0 src2=0
	ds_store_b32 v193 /*v449*/, v0
	s_wait_xcnt 0x0
	s_set_vgpr_msb 4                        ;  msbs: dst=0 src0=0 src1=1 src2=0
	v_add_nc_u32_e32 v0, v2, v175 /*v431*/
	s_set_vgpr_msb 16                       ;  msbs: dst=0 src0=0 src1=0 src2=1
	s_delay_alu instid0(VALU_DEP_1)
	v_mad_nc_i64_i32 v[0:1], v0, 36, v[202:203] /*v[458:459]*/
	global_load_b32 v0, v[0:1], off offset:4
	s_wait_loadcnt 0x0
	s_set_vgpr_msb 1                        ;  msbs: dst=0 src0=1 src1=0 src2=0
	ds_store_b32 v194 /*v450*/, v0
	s_wait_xcnt 0x0
	s_set_vgpr_msb 4                        ;  msbs: dst=0 src0=0 src1=1 src2=0
	v_add_nc_u32_e32 v0, v2, v176 /*v432*/
	s_set_vgpr_msb 16                       ;  msbs: dst=0 src0=0 src1=0 src2=1
	s_delay_alu instid0(VALU_DEP_1)
	v_mad_nc_i64_i32 v[0:1], v0, 36, v[202:203] /*v[458:459]*/
	global_load_b32 v0, v[0:1], off offset:4
	s_wait_loadcnt 0x0
	s_set_vgpr_msb 1                        ;  msbs: dst=0 src0=1 src1=0 src2=0
	ds_store_b32 v195 /*v451*/, v0
	s_wait_xcnt 0x0
	s_set_vgpr_msb 4                        ;  msbs: dst=0 src0=0 src1=1 src2=0
	v_add_nc_u32_e32 v0, v2, v177 /*v433*/
	s_set_vgpr_msb 16                       ;  msbs: dst=0 src0=0 src1=0 src2=1
	s_delay_alu instid0(VALU_DEP_1)
	v_mad_nc_i64_i32 v[0:1], v0, 36, v[202:203] /*v[458:459]*/
	global_load_b32 v0, v[0:1], off offset:4
	s_wait_loadcnt 0x0
	s_set_vgpr_msb 1                        ;  msbs: dst=0 src0=1 src1=0 src2=0
	ds_store_b32 v196 /*v452*/, v0
	s_wait_xcnt 0x0
	s_set_vgpr_msb 4                        ;  msbs: dst=0 src0=0 src1=1 src2=0
	v_add_nc_u32_e32 v0, v2, v178 /*v434*/
	s_set_vgpr_msb 16                       ;  msbs: dst=0 src0=0 src1=0 src2=1
	s_delay_alu instid0(VALU_DEP_1)
	v_mad_nc_i64_i32 v[0:1], v0, 36, v[202:203] /*v[458:459]*/
	global_load_b32 v0, v[0:1], off offset:4
	s_wait_loadcnt 0x0
	s_set_vgpr_msb 1                        ;  msbs: dst=0 src0=1 src1=0 src2=0
	ds_store_b32 v197 /*v453*/, v0
	s_wait_xcnt 0x0
	s_set_vgpr_msb 4                        ;  msbs: dst=0 src0=0 src1=1 src2=0
	v_add_nc_u32_e32 v0, v2, v179 /*v435*/
	s_set_vgpr_msb 16                       ;  msbs: dst=0 src0=0 src1=0 src2=1
	s_delay_alu instid0(VALU_DEP_1)
	v_mad_nc_i64_i32 v[0:1], v0, 36, v[202:203] /*v[458:459]*/
	global_load_b32 v0, v[0:1], off offset:4
	s_wait_loadcnt 0x0
	s_set_vgpr_msb 1                        ;  msbs: dst=0 src0=1 src1=0 src2=0
	ds_store_b32 v198 /*v454*/, v0
	s_wait_xcnt 0x0
	s_set_vgpr_msb 4                        ;  msbs: dst=0 src0=0 src1=1 src2=0
	v_add_nc_u32_e32 v0, v2, v180 /*v436*/
	s_set_vgpr_msb 16                       ;  msbs: dst=0 src0=0 src1=0 src2=1
	s_delay_alu instid0(VALU_DEP_1)
	v_mad_nc_i64_i32 v[0:1], v0, 36, v[202:203] /*v[458:459]*/
	global_load_b32 v0, v[0:1], off offset:4
	s_wait_loadcnt 0x0
	s_set_vgpr_msb 1                        ;  msbs: dst=0 src0=1 src1=0 src2=0
	ds_store_b32 v199 /*v455*/, v0
	s_wait_xcnt 0x0
	s_set_vgpr_msb 16                       ;  msbs: dst=0 src0=0 src1=0 src2=1
	v_lshl_add_u32 v0, s13, 2, v216 /*v472*/
	s_delay_alu instid0(VALU_DEP_1)
	v_mad_nc_u64_u32 v[0:1], v0, 36, s[2:3]
	global_load_b32 v0, v[0:1], off
	s_wait_loadcnt 0x0
	s_wait_xcnt 0x0
	v_cvt_f32_f16_e32 v0, v0
	s_set_vgpr_msb 1                        ;  msbs: dst=0 src0=1 src1=0 src2=0
	ds_store_b32 v172 /*v428*/, v0
	s_wait_storecnt_dscnt 0x0
	s_barrier_signal -1
	s_barrier_wait -1
.LBB167_11:                             ;   Parent Loop BB167_7 Depth=1
                                        ;     Parent Loop BB167_9 Depth=2
                                        ; =>    This Inner Loop Header: Depth=3
	s_lshl_b32 s18, s17, 2
	s_and_b32 s19, s17, 0x3ffffff8
	s_and_b32 s18, s18, 24
	s_set_vgpr_msb 16                       ;  msbs: dst=0 src0=0 src1=0 src2=1
	v_lshl_add_u32 v221, s19, 2, v212 /*v468*/
	s_set_vgpr_msb 4                        ;  msbs: dst=0 src0=0 src1=1 src2=0
	v_or_b32_e32 v22, s18, v211 /*v467*/
	v_or_b32_e32 v20, s18, v181 /*v437*/
	;; [unrolled: 1-line block ×5, first 2 shown]
	s_set_vgpr_msb 0                        ;  msbs: dst=0 src0=0 src1=0 src2=0
	v_dual_lshlrev_b32 v4, 2, v22 :: v_dual_lshlrev_b32 v17, 2, v20
	v_lshlrev_b32_e32 v12, 2, v16
	s_set_vgpr_msb 4                        ;  msbs: dst=0 src0=0 src1=1 src2=0
	v_or_b32_e32 v18, s18, v184 /*v440*/
	s_and_b32 s19, s17, 0x7ffffffe
	ds_load_b128 v[0:3], v4 offset:16896
	ds_load_b128 v[4:7], v4 offset:16912
	;; [unrolled: 1-line block ×5, first 2 shown]
	s_addk_co_i32 s19, 0x6200
	s_wait_dscnt 0x4
	s_set_vgpr_msb 64                       ;  msbs: dst=1 src0=0 src1=0 src2=0
	v_bfe_i32 v5 /*v261*/, v0, 0, 8
	s_set_vgpr_msb 0                        ;  msbs: dst=0 src0=0 src1=0 src2=0
	v_bfe_i32 v12, v0, 8, 8
	v_bfe_i32 v13, v0, 16, 8
	s_wait_dscnt 0x3
	v_dual_ashrrev_i32 v14, 24, v0 :: v_dual_ashrrev_i32 v138, 24, v5
	s_set_vgpr_msb 64                       ;  msbs: dst=1 src0=0 src1=0 src2=0
	v_bfe_i32 v9 /*v265*/, v1, 0, 8
	v_bfe_i32 v6 /*v262*/, v1, 8, 8
	;; [unrolled: 1-line block ×3, first 2 shown]
	s_wait_dscnt 0x2
	v_dual_ashrrev_i32 v8 /*v264*/, 24, v1 :: v_dual_ashrrev_i32 v17 /*v273*/, 24, v8
	v_bfe_i32 v10 /*v266*/, v2, 0, 8
	s_set_vgpr_msb 0                        ;  msbs: dst=0 src0=0 src1=0 src2=0
	v_bfe_i32 v15, v2, 8, 8
	v_bfe_i32 v117, v2, 16, 8
	v_ashrrev_i32_e32 v119, 24, v2
	v_bfe_i32 v45, v3, 0, 8
	v_bfe_i32 v46, v3, 8, 8
	v_dual_ashrrev_i32 v123, 24, v6 :: v_dual_ashrrev_i32 v29, 24, v3
	v_bfe_i32 v28, v3, 16, 8
	ds_load_b128 v[0:3], v17 offset:16912
	s_set_vgpr_msb 4                        ;  msbs: dst=0 src0=0 src1=1 src2=0
	v_or_b32_e32 v17, s18, v185 /*v441*/
	s_set_vgpr_msb 64                       ;  msbs: dst=1 src0=0 src1=0 src2=0
	v_bfe_i32 v15 /*v271*/, v8, 0, 8
	v_bfe_i32 v16 /*v272*/, v8, 8, 8
	;; [unrolled: 1-line block ×3, first 2 shown]
	s_wait_dscnt 0x2
	s_set_vgpr_msb 0                        ;  msbs: dst=0 src0=0 src1=0 src2=0
	v_dual_ashrrev_i32 v245, 24, v35 :: v_dual_ashrrev_i32 v128, 24, v36
	v_lshlrev_b32_e32 v8, 2, v17
	v_bfe_i32 v202, v36, 0, 8
	v_bfe_i32 v212, v36, 8, 8
	;; [unrolled: 1-line block ×3, first 2 shown]
	v_ashrrev_i32_e32 v36, 24, v37
	v_bfe_i32 v171, v4, 0, 8
	v_bfe_i32 v174, v4, 8, 8
	;; [unrolled: 1-line block ×3, first 2 shown]
	v_dual_ashrrev_i32 v52, 24, v4 :: v_dual_ashrrev_i32 v67, 24, v9
	s_wait_dscnt 0x1
	v_dual_ashrrev_i32 v55, 24, v61 :: v_dual_ashrrev_i32 v254, 24, v34
	v_bfe_i32 v251, v34, 0, 8
	s_wait_dscnt 0x0
	v_ashrrev_i32_e32 v33, 24, v3
	v_bfe_i32 v215, v0, 0, 8
	v_bfe_i32 v216, v0, 8, 8
	v_bfe_i32 v155, v0, 16, 8
	v_ashrrev_i32_e32 v156, 24, v0
	v_bfe_i32 v218, v1, 0, 8
	v_bfe_i32 v219, v1, 8, 8
	;; [unrolled: 1-line block ×3, first 2 shown]
	v_dual_ashrrev_i32 v158, 24, v1 :: v_dual_ashrrev_i32 v132, 24, v2
	v_bfe_i32 v141, v2, 0, 8
	v_bfe_i32 v143, v2, 8, 8
	;; [unrolled: 1-line block ×6, first 2 shown]
	ds_load_b128 v[0:3], v8 offset:16896
	v_bfe_i32 v252, v34, 8, 8
	v_bfe_i32 v253, v34, 16, 8
	v_lshlrev_b32_e32 v4, 2, v21
	v_bfe_i32 v204, v5, 0, 8
	v_bfe_i32 v205, v5, 8, 8
	;; [unrolled: 1-line block ×8, first 2 shown]
	v_dual_ashrrev_i32 v122, 24, v62 :: v_dual_ashrrev_i32 v25, 24, v7
	v_bfe_i32 v24, v7, 16, 8
	v_bfe_i32 v255, v35, 0, 8
	s_set_vgpr_msb 64                       ;  msbs: dst=1 src0=0 src1=0 src2=0
	v_bfe_i32 v0 /*v256*/, v35, 8, 8
	s_set_vgpr_msb 0                        ;  msbs: dst=0 src0=0 src1=0 src2=0
	v_bfe_i32 v244, v35, 16, 8
	v_bfe_i32 v86, v37, 0, 8
	;; [unrolled: 1-line block ×3, first 2 shown]
	s_wait_dscnt 0x0
	v_ashrrev_i32_e32 v34, 24, v3
	v_bfe_i32 v35, v37, 16, 8
	s_set_vgpr_msb 64                       ;  msbs: dst=1 src0=0 src1=0 src2=0
	v_bfe_i32 v22 /*v278*/, v0, 0, 8
	v_bfe_i32 v23 /*v279*/, v0, 8, 8
	;; [unrolled: 1-line block ×3, first 2 shown]
	v_ashrrev_i32_e32 v25 /*v281*/, 24, v0
	v_bfe_i32 v26 /*v282*/, v1, 0, 8
	v_bfe_i32 v27 /*v283*/, v1, 8, 8
	s_set_vgpr_msb 0                        ;  msbs: dst=0 src0=0 src1=0 src2=0
	v_bfe_i32 v246, v1, 16, 8
	v_dual_ashrrev_i32 v247, 24, v1 :: v_dual_ashrrev_i32 v130, 24, v2
	v_bfe_i32 v137, v2, 0, 8
	v_bfe_i32 v139, v2, 8, 8
	v_bfe_i32 v129, v2, 16, 8
	v_bfe_i32 v88, v3, 0, 8
	v_bfe_i32 v94, v3, 8, 8
	v_bfe_i32 v37, v3, 16, 8
	ds_load_b128 v[0:3], v4 offset:16896
	ds_load_b128 v[4:7], v4 offset:16912
	v_dual_ashrrev_i32 v31, 24, v63 :: v_dual_ashrrev_i32 v54, 24, v60
	v_bfe_i32 v133, v60, 16, 8
	v_bfe_i32 v145, v60, 8, 8
	;; [unrolled: 1-line block ×3, first 2 shown]
	s_set_vgpr_msb 64                       ;  msbs: dst=1 src0=0 src1=0 src2=0
	v_bfe_i32 v18 /*v274*/, v9, 0, 8
	s_set_vgpr_msb 4                        ;  msbs: dst=0 src0=0 src1=1 src2=0
	v_or_b32_e32 v19, s18, v186 /*v442*/
	v_bfe_i32 v134, v61, 16, 8
	v_bfe_i32 v124, v62, 16, 8
	;; [unrolled: 1-line block ×9, first 2 shown]
	s_and_b32 s18, s17, 6
	v_bfe_i32 v198, v10, 0, 8
	s_wait_dscnt 0x1
	s_set_vgpr_msb 64                       ;  msbs: dst=1 src0=0 src1=0 src2=0
	v_bfe_i32 v30 /*v286*/, v0, 0, 8
	v_bfe_i32 v31 /*v287*/, v0, 8, 8
	;; [unrolled: 1-line block ×3, first 2 shown]
	v_ashrrev_i32_e32 v32 /*v288*/, 24, v0
	v_bfe_i32 v33 /*v289*/, v1, 0, 8
	v_bfe_i32 v34 /*v290*/, v1, 8, 8
	s_set_vgpr_msb 0                        ;  msbs: dst=0 src0=0 src1=0 src2=0
	v_bfe_i32 v249, v1, 16, 8
	v_dual_ashrrev_i32 v250, 24, v1 :: v_dual_ashrrev_i32 v142, 24, v2
	v_bfe_i32 v65, v2, 0, 8
	v_bfe_i32 v191, v2, 8, 8
	;; [unrolled: 1-line block ×5, first 2 shown]
	s_wait_dscnt 0x0
	v_dual_ashrrev_i32 v38, 24, v3 :: v_dual_ashrrev_i32 v165, 24, v4
	v_bfe_i32 v39, v3, 16, 8
	ds_load_b128 v[0:3], v8 offset:16912
	v_bfe_i32 v172, v4, 0, 8
	v_bfe_i32 v173, v4, 8, 8
	;; [unrolled: 1-line block ×3, first 2 shown]
	v_lshlrev_b32_e32 v4, 2, v23
	v_ashrrev_i32_e32 v44, 24, v7
	v_bfe_i32 v227, v5, 0, 8
	v_bfe_i32 v228, v5, 8, 8
	;; [unrolled: 1-line block ×6, first 2 shown]
	v_dual_ashrrev_i32 v166, 24, v5 :: v_dual_ashrrev_i32 v136, 24, v6
	v_bfe_i32 v135, v6, 16, 8
	v_bfe_i32 v109, v7, 8, 8
	;; [unrolled: 1-line block ×5, first 2 shown]
	v_dual_ashrrev_i32 v126, 24, v10 :: v_dual_ashrrev_i32 v27, 24, v11
	s_wait_dscnt 0x0
	v_bfe_i32 v230, v0, 0, 8
	v_bfe_i32 v231, v0, 8, 8
	v_bfe_i32 v167, v0, 16, 8
	v_bfe_i32 v234, v1, 0, 8
	v_bfe_i32 v235, v1, 8, 8
	v_bfe_i32 v168, v1, 16, 8
	v_dual_ashrrev_i32 v185, 24, v0 :: v_dual_ashrrev_i32 v186, 24, v1
	v_ashrrev_i32_e32 v146, 24, v2
	v_bfe_i32 v144, v2, 16, 8
	v_bfe_i32 v108, v3, 8, 8
	;; [unrolled: 1-line block ×3, first 2 shown]
	v_ashrrev_i32_e32 v42, 24, v3
	v_bfe_i32 v194, v2, 0, 8
	v_bfe_i32 v110, v3, 0, 8
	;; [unrolled: 1-line block ×3, first 2 shown]
	ds_load_b128 v[0:3], v4 offset:16912
	v_bfe_i32 v50, v11, 0, 8
	v_bfe_i32 v49, v11, 8, 8
	;; [unrolled: 1-line block ×3, first 2 shown]
	s_set_vgpr_msb 64                       ;  msbs: dst=1 src0=0 src1=0 src2=0
	v_bfe_i32 v19 /*v275*/, v9, 8, 8
	s_set_vgpr_msb 0                        ;  msbs: dst=0 src0=0 src1=0 src2=0
	v_bfe_i32 v66, v9, 16, 8
	s_wait_dscnt 0x0
	v_bfe_i32 v224, v0, 0, 8
	v_bfe_i32 v222, v0, 8, 8
	;; [unrolled: 1-line block ×3, first 2 shown]
	v_ashrrev_i32_e32 v161, 24, v0
	v_bfe_i32 v225, v1, 0, 8
	v_bfe_i32 v223, v1, 8, 8
	;; [unrolled: 1-line block ×3, first 2 shown]
	v_ashrrev_i32_e32 v163, 24, v1
	v_bfe_i32 v206, v2, 0, 8
	v_bfe_i32 v207, v2, 8, 8
	;; [unrolled: 1-line block ×3, first 2 shown]
	v_dual_ashrrev_i32 v170, 24, v2 :: v_dual_ashrrev_i32 v57, 24, v3
	v_bfe_i32 v111, v3, 0, 8
	v_bfe_i32 v112, v3, 8, 8
	;; [unrolled: 1-line block ×3, first 2 shown]
	ds_load_b128 v[0:3], v4 offset:16896
	v_lshlrev_b32_e32 v4, 2, v18
	s_wait_dscnt 0x0
	s_set_vgpr_msb 64                       ;  msbs: dst=1 src0=0 src1=0 src2=0
	v_bfe_i32 v35 /*v291*/, v0, 0, 8
	v_bfe_i32 v42 /*v298*/, v0, 8, 8
	;; [unrolled: 1-line block ×3, first 2 shown]
	v_dual_ashrrev_i32 v44 /*v300*/, 24, v0 :: v_dual_ashrrev_i32 v2 /*v258*/, 24, v1
	v_bfe_i32 v45 /*v301*/, v1, 0, 8
	v_bfe_i32 v46 /*v302*/, v1, 8, 8
	;; [unrolled: 1-line block ×3, first 2 shown]
	s_set_vgpr_msb 0                        ;  msbs: dst=0 src0=0 src1=0 src2=0
	v_bfe_i32 v208, v2, 0, 8
	v_bfe_i32 v209, v2, 8, 8
	v_bfe_i32 v175, v2, 16, 8
	v_dual_ashrrev_i32 v176, 24, v2 :: v_dual_ashrrev_i32 v60, 24, v3
	v_bfe_i32 v113, v3, 0, 8
	v_bfe_i32 v114, v3, 8, 8
	;; [unrolled: 1-line block ×3, first 2 shown]
	ds_load_b128 v[0:3], v4 offset:16896
	ds_load_b128 v[4:7], v4 offset:16912
	s_wait_dscnt 0x0
	v_dual_ashrrev_i32 v178, 24, v2 :: v_dual_ashrrev_i32 v187, 24, v4
	v_bfe_i32 v241, v4, 0, 8
	v_bfe_i32 v239, v4, 8, 8
	;; [unrolled: 1-line block ×3, first 2 shown]
	v_lshlrev_b32_e32 v4, 2, v19
	s_set_vgpr_msb 64                       ;  msbs: dst=1 src0=0 src1=0 src2=0
	v_bfe_i32 v47 /*v303*/, v0, 0, 8
	v_bfe_i32 v48 /*v304*/, v0, 8, 8
	v_bfe_i32 v49 /*v305*/, v0, 16, 8
	v_dual_ashrrev_i32 v50 /*v306*/, 24, v0 :: v_dual_ashrrev_i32 v4 /*v260*/, 24, v1
	v_bfe_i32 v51 /*v307*/, v1, 0, 8
	v_bfe_i32 v52 /*v308*/, v1, 8, 8
	;; [unrolled: 1-line block ×3, first 2 shown]
	s_set_vgpr_msb 0                        ;  msbs: dst=0 src0=0 src1=0 src2=0
	v_bfe_i32 v210, v2, 0, 8
	v_bfe_i32 v211, v2, 8, 8
	;; [unrolled: 1-line block ×6, first 2 shown]
	v_ashrrev_i32_e32 v62, 24, v3
	ds_load_i8 v149, v4 offset:16911
	ds_load_b128 v[0:3], v4 offset:16896
	v_dual_ashrrev_i32 v192, 24, v5 :: v_dual_ashrrev_i32 v180, 24, v6
	v_bfe_i32 v213, v6, 0, 8
	v_bfe_i32 v214, v6, 8, 8
	;; [unrolled: 1-line block ×6, first 2 shown]
	v_ashrrev_i32_e32 v148, 24, v7
	v_bfe_i32 v243, v5, 0, 8
	v_bfe_i32 v242, v5, 8, 8
	;; [unrolled: 1-line block ×3, first 2 shown]
	s_wait_dscnt 0x0
	s_set_vgpr_msb 64                       ;  msbs: dst=1 src0=0 src1=0 src2=0
	v_lshrrev_b16 v13 /*v269*/, 8, v0
	v_dual_ashrrev_i32 v56 /*v312*/, 24, v0 :: v_dual_ashrrev_i32 v11 /*v267*/, 24, v1
	v_bfe_i32 v57 /*v313*/, v0, 0, 8
	v_bfe_i32 v58 /*v314*/, v0, 16, 8
	s_set_vgpr_msb 0                        ;  msbs: dst=0 src0=0 src1=0 src2=0
	v_add_nc_u32_e32 v0, 0x1080, v221
	ds_load_2addr_b32 v[6:7], v0 offset1:1
	ds_load_i8 v151, v4 offset:16927
	s_set_vgpr_msb 64                       ;  msbs: dst=1 src0=0 src1=0 src2=0
	v_lshrrev_b16 v53 /*v309*/, 8, v1
	v_lshrrev_b16 v54 /*v310*/, 8, v2
	;; [unrolled: 1-line block ×3, first 2 shown]
	v_bfe_i32 v59 /*v315*/, v1, 0, 8
	v_bfe_i32 v12 /*v268*/, v1, 16, 8
	s_set_vgpr_msb 0                        ;  msbs: dst=0 src0=0 src1=0 src2=0
	v_ashrrev_i32_e32 v181, 24, v2
	v_bfe_i32 v182, v2, 16, 8
	v_bfe_i32 v217, v2, 0, 8
	v_ashrrev_i32_e32 v84, 24, v3
	v_bfe_i32 v150, v3, 16, 8
	v_bfe_i32 v89, v3, 0, 8
	ds_load_b128 v[0:3], v4 offset:16912
	s_set_vgpr_msb 0x41                     ;  msbs: dst=1 src0=1 src1=0 src2=0
	v_bfe_i32 v127 /*v383*/, v13 /*v269*/, 0, 8
	v_bfe_i32 v53 /*v309*/, v53 /*v309*/, 0, 8
	s_wait_dscnt 0x2
	s_set_vgpr_msb 0                        ;  msbs: dst=0 src0=0 src1=0 src2=0
	v_dual_ashrrev_i32 v5, s18, v7 :: v_dual_ashrrev_i32 v6, s18, v6
	s_set_vgpr_msb 64                       ;  msbs: dst=1 src0=0 src1=0 src2=0
	s_delay_alu instid0(VALU_DEP_1) | instskip(SKIP_2) | instid1(VALU_DEP_2)
	v_bfe_u32 v85 /*v341*/, v6, 24, 2
	v_bfe_u32 v86 /*v342*/, v6, 16, 2
	s_set_vgpr_msb 0x45                     ;  msbs: dst=1 src0=1 src1=1 src2=0
	v_mul_i32_i24_e32 v88 /*v344*/, v85 /*v341*/, v17 /*v273*/
	s_delay_alu instid0(VALU_DEP_2)
	v_mul_i32_i24_e32 v87 /*v343*/, v86 /*v342*/, v14 /*v270*/
	s_wait_dscnt 0x0
	s_set_vgpr_msb 0                        ;  msbs: dst=0 src0=0 src1=0 src2=0
	v_ashrrev_i32_e32 v183, 24, v2
	s_set_vgpr_msb 64                       ;  msbs: dst=1 src0=0 src1=0 src2=0
	v_and_b32_e32 v62 /*v318*/, 3, v5
	s_set_vgpr_msb 0                        ;  msbs: dst=0 src0=0 src1=0 src2=0
	v_lshrrev_b16 v7, 8, v0
	v_bfe_i32 v238, v0, 16, 8
	v_bfe_i32 v232, v0, 0, 8
	v_ashrrev_i32_e32 v229, 24, v0
	s_set_vgpr_msb 64                       ;  msbs: dst=1 src0=0 src1=0 src2=0
	v_bfe_u32 v61 /*v317*/, v5, 8, 2
	v_bfe_u32 v63 /*v319*/, v5, 16, 2
	v_bfe_u32 v64 /*v320*/, v5, 24, 2
	s_set_vgpr_msb 5                        ;  msbs: dst=0 src0=1 src1=1 src2=0
	v_mul_i32_i24_e32 v0, v62 /*v318*/, v9 /*v265*/
	s_set_vgpr_msb 64                       ;  msbs: dst=1 src0=0 src1=0 src2=0
	v_lshrrev_b16 v60 /*v316*/, 8, v1
	s_set_vgpr_msb 0                        ;  msbs: dst=0 src0=0 src1=0 src2=0
	v_lshrrev_b16 v248, 8, v2
	v_bfe_i32 v240, v1, 16, 8
	v_bfe_i32 v236, v1, 0, 8
	v_ashrrev_i32_e32 v233, 24, v1
	v_bfe_i32 v184, v2, 16, 8
	v_bfe_i32 v220, v2, 0, 8
	s_set_vgpr_msb 5                        ;  msbs: dst=0 src0=1 src1=1 src2=0
	v_mad_i32_i24 v0, v61 /*v317*/, v6 /*v262*/, v0
	v_mul_i32_i24_e32 v1, v63 /*v319*/, v7 /*v263*/
	v_mul_i32_i24_e32 v2, v64 /*v320*/, v8 /*v264*/
	s_set_vgpr_msb 0                        ;  msbs: dst=0 src0=0 src1=0 src2=0
	v_lshrrev_b16 v226, 8, v3
	v_bfe_i32 v152, v3, 16, 8
	v_bfe_i32 v121, v3, 0, 8
	s_set_vgpr_msb 0x45                     ;  msbs: dst=1 src0=1 src1=1 src2=0
	v_mul_i32_i24_e32 v13 /*v269*/, v56 /*v312*/, v85 /*v341*/
	s_set_vgpr_msb 64                       ;  msbs: dst=1 src0=0 src1=0 src2=0
	v_add3_u32 v29 /*v285*/, v0, v1, v2
	s_set_vgpr_msb 20                       ;  msbs: dst=0 src0=0 src1=1 src2=1
	v_add3_u32 v0, s19, v205 /*v461*/, v188 /*v444*/
	s_set_vgpr_msb 0                        ;  msbs: dst=0 src0=0 src1=0 src2=0
	v_add_nc_u32_e32 v1, 0x1098, v221
	s_set_vgpr_msb 0x41                     ;  msbs: dst=1 src0=1 src1=0 src2=0
	v_bfe_i32 v60 /*v316*/, v60 /*v316*/, 0, 8
	s_set_vgpr_msb 0                        ;  msbs: dst=0 src0=0 src1=0 src2=0
	v_bfe_i32 v248, v248, 0, 8
	v_bfe_i32 v226, v226, 0, 8
	ds_load_u16 v153, v0
	v_add_nc_u32_e32 v0, 0x1090, v221
	ds_load_2addr_b32 v[10:11], v0 offset1:1
	ds_load_2addr_b32 v[0:1], v1 offset1:1
	s_wait_dscnt 0x1
	v_dual_ashrrev_i32 v237, 24, v3 :: v_dual_ashrrev_i32 v2, s18, v10
	s_set_vgpr_msb 64                       ;  msbs: dst=1 src0=0 src1=0 src2=0
	v_ashrrev_i32_e32 v154 /*v410*/, s18, v11
	s_wait_dscnt 0x0
	s_set_vgpr_msb 0                        ;  msbs: dst=0 src0=0 src1=0 src2=0
	v_dual_ashrrev_i32 v0, s18, v0 :: v_dual_bitop2_b32 v10, 3, v2 bitop3:0x40
	s_set_vgpr_msb 64                       ;  msbs: dst=1 src0=0 src1=0 src2=0
	v_bfe_u32 v20 /*v276*/, v2, 8, 2
	v_bfe_u32 v24 /*v280*/, v2, 16, 2
	;; [unrolled: 1-line block ×3, first 2 shown]
	s_set_vgpr_msb 0x41                     ;  msbs: dst=1 src0=1 src1=0 src2=0
	v_bfe_u32 v155 /*v411*/, v154 /*v410*/, 8, 2
	s_set_vgpr_msb 0                        ;  msbs: dst=0 src0=0 src1=0 src2=0
	v_mul_i32_i24_e32 v2, v10, v171
	s_set_vgpr_msb 1                        ;  msbs: dst=0 src0=1 src1=0 src2=0
	v_mul_i32_i24_e32 v3, v24 /*v280*/, v41
	v_mul_i32_i24_e32 v4, v65 /*v321*/, v52
	s_set_vgpr_msb 0x41                     ;  msbs: dst=1 src0=1 src1=0 src2=0
	v_mul_i32_i24_e32 v89 /*v345*/, v65 /*v321*/, v156
	s_set_vgpr_msb 1                        ;  msbs: dst=0 src0=1 src1=0 src2=0
	v_mad_i32_i24 v2, v20 /*v276*/, v174, v2
	v_mul_i32_i24_e32 v11, v155 /*v411*/, v205
	s_set_vgpr_msb 64                       ;  msbs: dst=1 src0=0 src1=0 src2=0
	s_delay_alu instid0(VALU_DEP_2)
	v_add3_u32 v66 /*v322*/, v2, v3, v4
	s_set_vgpr_msb 0                        ;  msbs: dst=0 src0=0 src1=0 src2=0
	v_add_nc_u32_e32 v2, 0x2100, v221
	v_add_nc_u32_e32 v3, 0x2108, v221
	;; [unrolled: 1-line block ×3, first 2 shown]
	ds_load_2addr_b32 v[8:9], v2 offset1:1
	ds_load_2addr_b32 v[2:3], v3 offset1:1
	s_set_vgpr_msb 64                       ;  msbs: dst=1 src0=0 src1=0 src2=0
	ds_load_2addr_b32 v[36:37] /*v[292:293]*/, v4 offset1:1
	s_wait_dscnt 0x1
	s_set_vgpr_msb 0                        ;  msbs: dst=0 src0=0 src1=0 src2=0
	v_dual_ashrrev_i32 v4, s18, v9 :: v_dual_ashrrev_i32 v3, s18, v3
	s_wait_dscnt 0x0
	s_set_vgpr_msb 0x44                     ;  msbs: dst=1 src0=0 src1=1 src2=0
	v_ashrrev_i32_e32 v37 /*v293*/, s18, v37 /*v293*/
	s_set_vgpr_msb 64                       ;  msbs: dst=1 src0=0 src1=0 src2=0
	v_and_b32_e32 v67 /*v323*/, 3, v4
	v_bfe_u32 v68 /*v324*/, v4, 8, 2
	v_bfe_u32 v69 /*v325*/, v4, 16, 2
	;; [unrolled: 1-line block ×3, first 2 shown]
	s_set_vgpr_msb 0x41                     ;  msbs: dst=1 src0=1 src1=0 src2=0
	v_bfe_u32 v156 /*v412*/, v37 /*v293*/, 8, 2
	s_set_vgpr_msb 5                        ;  msbs: dst=0 src0=1 src1=1 src2=0
	v_mul_i32_i24_e32 v4, v67 /*v323*/, v9 /*v265*/
	v_mul_i32_i24_e32 v5, v69 /*v325*/, v7 /*v263*/
	;; [unrolled: 1-line block ×3, first 2 shown]
	s_delay_alu instid0(VALU_DEP_3) | instskip(SKIP_1) | instid1(VALU_DEP_1)
	v_mad_i32_i24 v4, v68 /*v324*/, v6 /*v262*/, v4
	s_set_vgpr_msb 64                       ;  msbs: dst=1 src0=0 src1=0 src2=0
	v_add3_u32 v71 /*v327*/, v4, v5, v9
	s_set_vgpr_msb 4                        ;  msbs: dst=0 src0=0 src1=1 src2=0
	v_ashrrev_i32_e32 v4, s18, v36 /*v292*/
	s_set_vgpr_msb 0                        ;  msbs: dst=0 src0=0 src1=0 src2=0
	s_delay_alu instid0(VALU_DEP_1)
	v_and_b32_e32 v9, 3, v4
	s_set_vgpr_msb 64                       ;  msbs: dst=1 src0=0 src1=0 src2=0
	v_bfe_u32 v36 /*v292*/, v4, 8, 2
	v_bfe_u32 v72 /*v328*/, v4, 16, 2
	;; [unrolled: 1-line block ×3, first 2 shown]
	s_set_vgpr_msb 0                        ;  msbs: dst=0 src0=0 src1=0 src2=0
	v_mul_i32_i24_e32 v4, v9, v171
	s_set_vgpr_msb 1                        ;  msbs: dst=0 src0=1 src1=0 src2=0
	v_mul_i32_i24_e32 v5, v72 /*v328*/, v41
	v_mul_i32_i24_e32 v154, v73 /*v329*/, v52
	s_set_vgpr_msb 0x41                     ;  msbs: dst=1 src0=1 src1=0 src2=0
	v_mul_i32_i24_e32 v94 /*v350*/, v73 /*v329*/, v156
	s_set_vgpr_msb 1                        ;  msbs: dst=0 src0=1 src1=0 src2=0
	v_mad_i32_i24 v4, v36 /*v292*/, v174, v4
	s_set_vgpr_msb 64                       ;  msbs: dst=1 src0=0 src1=0 src2=0
	s_delay_alu instid0(VALU_DEP_1)
	v_add3_u32 v74 /*v330*/, v4, v5, v154
	s_set_vgpr_msb 0                        ;  msbs: dst=0 src0=0 src1=0 src2=0
	v_add_nc_u32_e32 v4, 0x3180, v221
	s_set_vgpr_msb 64                       ;  msbs: dst=1 src0=0 src1=0 src2=0
	ds_load_2addr_b32 v[38:39] /*v[294:295]*/, v4 offset1:1
	s_wait_dscnt 0x0
	s_set_vgpr_msb 4                        ;  msbs: dst=0 src0=0 src1=1 src2=0
	v_ashrrev_i32_e32 v4, s18, v39 /*v295*/
	s_set_vgpr_msb 64                       ;  msbs: dst=1 src0=0 src1=0 src2=0
	s_delay_alu instid0(VALU_DEP_1)
	v_and_b32_e32 v75 /*v331*/, 3, v4
	v_bfe_u32 v76 /*v332*/, v4, 8, 2
	v_bfe_u32 v77 /*v333*/, v4, 16, 2
	;; [unrolled: 1-line block ×3, first 2 shown]
	s_set_vgpr_msb 5                        ;  msbs: dst=0 src0=1 src1=1 src2=0
	v_mul_i32_i24_e32 v4, v75 /*v331*/, v9 /*v265*/
	s_delay_alu instid0(VALU_DEP_3) | instskip(NEXT) | instid1(VALU_DEP_3)
	v_mul_i32_i24_e32 v5, v77 /*v333*/, v7 /*v263*/
	v_mul_i32_i24_e32 v154, v78 /*v334*/, v8 /*v264*/
	s_delay_alu instid0(VALU_DEP_3) | instskip(SKIP_1) | instid1(VALU_DEP_1)
	v_mad_i32_i24 v4, v76 /*v332*/, v6 /*v262*/, v4
	s_set_vgpr_msb 64                       ;  msbs: dst=1 src0=0 src1=0 src2=0
	v_add3_u32 v79 /*v335*/, v4, v5, v154
	s_set_vgpr_msb 20                       ;  msbs: dst=0 src0=0 src1=1 src2=1
	v_add3_u32 v4, s19, v209 /*v465*/, v200 /*v456*/
	s_set_vgpr_msb 0                        ;  msbs: dst=0 src0=0 src1=0 src2=0
	v_add_nc_u32_e32 v5, 0x3198, v221
	ds_load_u16 v154, v4
	v_add_nc_u32_e32 v4, 0x3190, v221
	s_set_vgpr_msb 64                       ;  msbs: dst=1 src0=0 src1=0 src2=0
	ds_load_2addr_b32 v[40:41] /*v[296:297]*/, v4 offset1:1
	s_set_vgpr_msb 0                        ;  msbs: dst=0 src0=0 src1=0 src2=0
	ds_load_2addr_b32 v[4:5], v5 offset1:1
	s_wait_dscnt 0x1
	s_set_vgpr_msb 0x44                     ;  msbs: dst=1 src0=0 src1=1 src2=0
	v_dual_ashrrev_i32 v39 /*v295*/, s18, v40 /*v296*/ :: v_dual_ashrrev_i32 v41 /*v297*/, s18, v41 /*v297*/
	s_wait_dscnt 0x0
	s_set_vgpr_msb 0                        ;  msbs: dst=0 src0=0 src1=0 src2=0
	v_dual_ashrrev_i32 v4, s18, v4 :: v_dual_ashrrev_i32 v5, s18, v5
	s_set_vgpr_msb 0x44                     ;  msbs: dst=1 src0=0 src1=1 src2=0
	v_and_b32_e32 v40 /*v296*/, 3, v39 /*v295*/
	s_set_vgpr_msb 0x51                     ;  msbs: dst=1 src0=1 src1=0 src2=1
	v_bfe_u32 v80 /*v336*/, v39 /*v295*/, 8, 2
	v_bfe_u32 v81 /*v337*/, v39 /*v295*/, 16, 2
	;; [unrolled: 1-line block ×3, first 2 shown]
	v_mul_i32_i24_e32 v82 /*v338*/, v40 /*v296*/, v171
	s_delay_alu instid0(VALU_DEP_3) | instskip(NEXT) | instid1(VALU_DEP_3)
	v_mul_i32_i24_e32 v83 /*v339*/, v81 /*v337*/, v41
	v_mul_i32_i24_e32 v84 /*v340*/, v39 /*v295*/, v52
	s_delay_alu instid0(VALU_DEP_3) | instskip(SKIP_1) | instid1(VALU_DEP_1)
	v_mad_i32_i24 v82 /*v338*/, v80 /*v336*/, v174, v82 /*v338*/
	s_set_vgpr_msb 0x55                     ;  msbs: dst=1 src0=1 src1=1 src2=1
	v_add3_u32 v82 /*v338*/, v82 /*v338*/, v83 /*v339*/, v84 /*v340*/
	s_set_vgpr_msb 64                       ;  msbs: dst=1 src0=0 src1=0 src2=0
	v_and_b32_e32 v83 /*v339*/, 3, v6
	v_bfe_u32 v84 /*v340*/, v6, 8, 2
	s_set_vgpr_msb 5                        ;  msbs: dst=0 src0=1 src1=1 src2=0
	s_delay_alu instid0(VALU_DEP_2) | instskip(NEXT) | instid1(VALU_DEP_1)
	v_mul_i32_i24_e32 v6, v83 /*v339*/, v15 /*v271*/
	v_mad_i32_i24 v6, v84 /*v340*/, v16 /*v272*/, v6
	s_set_vgpr_msb 0x54                     ;  msbs: dst=1 src0=0 src1=1 src2=1
	s_delay_alu instid0(VALU_DEP_1)
	v_add3_u32 v87 /*v343*/, v6, v87 /*v343*/, v88 /*v344*/
	s_set_vgpr_msb 0                        ;  msbs: dst=0 src0=0 src1=0 src2=0
	v_mul_i32_i24_e32 v6, v10, v215
	s_set_vgpr_msb 0x41                     ;  msbs: dst=1 src0=1 src1=0 src2=0
	v_mul_i32_i24_e32 v88 /*v344*/, v24 /*v280*/, v155
	s_set_vgpr_msb 1                        ;  msbs: dst=0 src0=1 src1=0 src2=0
	s_delay_alu instid0(VALU_DEP_2) | instskip(SKIP_1) | instid1(VALU_DEP_1)
	v_mad_i32_i24 v6, v20 /*v276*/, v216, v6
	s_set_vgpr_msb 0x54                     ;  msbs: dst=1 src0=0 src1=1 src2=1
	v_add3_u32 v88 /*v344*/, v6, v88 /*v344*/, v89 /*v345*/
	s_set_vgpr_msb 0                        ;  msbs: dst=0 src0=0 src1=0 src2=0
	v_ashrrev_i32_e32 v6, s18, v8
	s_set_vgpr_msb 64                       ;  msbs: dst=1 src0=0 src1=0 src2=0
	s_delay_alu instid0(VALU_DEP_1)
	v_and_b32_e32 v89 /*v345*/, 3, v6
	v_bfe_u32 v90 /*v346*/, v6, 8, 2
	v_bfe_u32 v91 /*v347*/, v6, 24, 2
	;; [unrolled: 1-line block ×3, first 2 shown]
	s_set_vgpr_msb 5                        ;  msbs: dst=0 src0=1 src1=1 src2=0
	v_mul_i32_i24_e32 v6, v89 /*v345*/, v15 /*v271*/
	s_set_vgpr_msb 0x45                     ;  msbs: dst=1 src0=1 src1=1 src2=0
	v_mul_i32_i24_e32 v93 /*v349*/, v91 /*v347*/, v17 /*v273*/
	s_set_vgpr_msb 5                        ;  msbs: dst=0 src0=1 src1=1 src2=0
	v_mul_i32_i24_e32 v8, v92 /*v348*/, v14 /*v270*/
	v_mad_i32_i24 v6, v90 /*v346*/, v16 /*v272*/, v6
	s_set_vgpr_msb 0x50                     ;  msbs: dst=1 src0=0 src1=0 src2=1
	s_delay_alu instid0(VALU_DEP_1) | instskip(SKIP_4) | instid1(VALU_DEP_2)
	v_add3_u32 v93 /*v349*/, v6, v8, v93 /*v349*/
	s_set_vgpr_msb 0                        ;  msbs: dst=0 src0=0 src1=0 src2=0
	v_mul_i32_i24_e32 v6, v9, v215
	s_set_vgpr_msb 1                        ;  msbs: dst=0 src0=1 src1=0 src2=0
	v_mul_i32_i24_e32 v8, v72 /*v328*/, v155
	v_mad_i32_i24 v6, v36 /*v292*/, v216, v6
	s_set_vgpr_msb 0x50                     ;  msbs: dst=1 src0=0 src1=0 src2=1
	s_delay_alu instid0(VALU_DEP_1) | instskip(SKIP_3) | instid1(VALU_DEP_1)
	v_add3_u32 v94 /*v350*/, v6, v8, v94 /*v350*/
	s_set_vgpr_msb 4                        ;  msbs: dst=0 src0=0 src1=1 src2=0
	v_ashrrev_i32_e32 v6, s18, v38 /*v294*/
	s_set_vgpr_msb 64                       ;  msbs: dst=1 src0=0 src1=0 src2=0
	v_and_b32_e32 v95 /*v351*/, 3, v6
	v_bfe_u32 v96 /*v352*/, v6, 8, 2
	v_bfe_u32 v97 /*v353*/, v6, 24, 2
	;; [unrolled: 1-line block ×3, first 2 shown]
	s_set_vgpr_msb 5                        ;  msbs: dst=0 src0=1 src1=1 src2=0
	v_mul_i32_i24_e32 v6, v95 /*v351*/, v15 /*v271*/
	s_set_vgpr_msb 0x45                     ;  msbs: dst=1 src0=1 src1=1 src2=0
	v_mul_i32_i24_e32 v38 /*v294*/, v97 /*v353*/, v17 /*v273*/
	s_set_vgpr_msb 5                        ;  msbs: dst=0 src0=1 src1=1 src2=0
	v_mul_i32_i24_e32 v8, v98 /*v354*/, v14 /*v270*/
	v_mad_i32_i24 v6, v96 /*v352*/, v16 /*v272*/, v6
	s_set_vgpr_msb 0x50                     ;  msbs: dst=1 src0=0 src1=0 src2=1
	s_delay_alu instid0(VALU_DEP_1)
	v_add3_u32 v99 /*v355*/, v6, v8, v38 /*v294*/
	s_set_vgpr_msb 1                        ;  msbs: dst=0 src0=1 src1=0 src2=0
	v_mul_i32_i24_e32 v6, v40 /*v296*/, v215
	v_mul_i32_i24_e32 v8, v81 /*v337*/, v155
	s_set_vgpr_msb 0x41                     ;  msbs: dst=1 src0=1 src1=0 src2=0
	v_mul_i32_i24_e32 v38 /*v294*/, v39 /*v295*/, v156
	s_set_vgpr_msb 1                        ;  msbs: dst=0 src0=1 src1=0 src2=0
	v_mad_i32_i24 v6, v80 /*v336*/, v216, v6
	s_set_vgpr_msb 0x50                     ;  msbs: dst=1 src0=0 src1=0 src2=1
	s_delay_alu instid0(VALU_DEP_1)
	v_add3_u32 v100 /*v356*/, v6, v8, v38 /*v294*/
	s_set_vgpr_msb 5                        ;  msbs: dst=0 src0=1 src1=1 src2=0
	v_mul_i32_i24_e32 v6, v83 /*v339*/, v30 /*v286*/
	v_mul_i32_i24_e32 v8, v86 /*v342*/, v28 /*v284*/
	s_set_vgpr_msb 0x45                     ;  msbs: dst=1 src0=1 src1=1 src2=0
	v_mul_i32_i24_e32 v38 /*v294*/, v85 /*v341*/, v32 /*v288*/
	s_set_vgpr_msb 5                        ;  msbs: dst=0 src0=1 src1=1 src2=0
	v_mad_i32_i24 v6, v84 /*v340*/, v31 /*v287*/, v6
	s_set_vgpr_msb 0x50                     ;  msbs: dst=1 src0=0 src1=0 src2=1
	s_delay_alu instid0(VALU_DEP_1)
	v_add3_u32 v101 /*v357*/, v6, v8, v38 /*v294*/
	s_set_vgpr_msb 5                        ;  msbs: dst=0 src0=1 src1=1 src2=0
	v_mul_i32_i24_e32 v6, v89 /*v345*/, v30 /*v286*/
	v_mul_i32_i24_e32 v8, v92 /*v348*/, v28 /*v284*/
	s_set_vgpr_msb 0x45                     ;  msbs: dst=1 src0=1 src1=1 src2=0
	v_mul_i32_i24_e32 v38 /*v294*/, v91 /*v347*/, v32 /*v288*/
	s_set_vgpr_msb 5                        ;  msbs: dst=0 src0=1 src1=1 src2=0
	v_mad_i32_i24 v6, v90 /*v346*/, v31 /*v287*/, v6
	;; [unrolled: 10-line block ×4, first 2 shown]
	s_set_vgpr_msb 0x50                     ;  msbs: dst=1 src0=0 src1=0 src2=1
	s_delay_alu instid0(VALU_DEP_1)
	v_add3_u32 v104 /*v360*/, v6, v8, v38 /*v294*/
	s_set_vgpr_msb 0                        ;  msbs: dst=0 src0=0 src1=0 src2=0
	v_mul_i32_i24_e32 v6, v10, v224
	s_set_vgpr_msb 1                        ;  msbs: dst=0 src0=1 src1=0 src2=0
	v_mul_i32_i24_e32 v8, v24 /*v280*/, v162
	s_set_vgpr_msb 0x41                     ;  msbs: dst=1 src0=1 src1=0 src2=0
	v_mul_i32_i24_e32 v38 /*v294*/, v65 /*v321*/, v161
	s_set_vgpr_msb 1                        ;  msbs: dst=0 src0=1 src1=0 src2=0
	v_mad_i32_i24 v6, v20 /*v276*/, v222, v6
	s_set_vgpr_msb 0x50                     ;  msbs: dst=1 src0=0 src1=0 src2=1
	s_delay_alu instid0(VALU_DEP_1)
	v_add3_u32 v105 /*v361*/, v6, v8, v38 /*v294*/
	s_set_vgpr_msb 5                        ;  msbs: dst=0 src0=1 src1=1 src2=0
	v_mul_i32_i24_e32 v6, v89 /*v345*/, v35 /*v291*/
	v_mul_i32_i24_e32 v8, v92 /*v348*/, v43 /*v299*/
	s_set_vgpr_msb 0x45                     ;  msbs: dst=1 src0=1 src1=1 src2=0
	v_mul_i32_i24_e32 v38 /*v294*/, v91 /*v347*/, v44 /*v300*/
	s_set_vgpr_msb 5                        ;  msbs: dst=0 src0=1 src1=1 src2=0
	v_mad_i32_i24 v6, v90 /*v346*/, v42 /*v298*/, v6
	s_set_vgpr_msb 0x50                     ;  msbs: dst=1 src0=0 src1=0 src2=1
	s_delay_alu instid0(VALU_DEP_1)
	v_add3_u32 v106 /*v362*/, v6, v8, v38 /*v294*/
	s_set_vgpr_msb 0                        ;  msbs: dst=0 src0=0 src1=0 src2=0
	v_mul_i32_i24_e32 v6, v9, v224
	s_set_vgpr_msb 1                        ;  msbs: dst=0 src0=1 src1=0 src2=0
	v_mul_i32_i24_e32 v8, v72 /*v328*/, v162
	s_set_vgpr_msb 0x41                     ;  msbs: dst=1 src0=1 src1=0 src2=0
	v_mul_i32_i24_e32 v38 /*v294*/, v73 /*v329*/, v161
	s_set_vgpr_msb 1                        ;  msbs: dst=0 src0=1 src1=0 src2=0
	v_mad_i32_i24 v6, v36 /*v292*/, v222, v6
	s_set_vgpr_msb 0x50                     ;  msbs: dst=1 src0=0 src1=0 src2=1
	s_delay_alu instid0(VALU_DEP_1)
	v_add3_u32 v107 /*v363*/, v6, v8, v38 /*v294*/
	s_set_vgpr_msb 5                        ;  msbs: dst=0 src0=1 src1=1 src2=0
	v_mul_i32_i24_e32 v6, v95 /*v351*/, v35 /*v291*/
	v_mul_i32_i24_e32 v8, v98 /*v354*/, v43 /*v299*/
	s_set_vgpr_msb 0x45                     ;  msbs: dst=1 src0=1 src1=1 src2=0
	v_mul_i32_i24_e32 v38 /*v294*/, v97 /*v353*/, v44 /*v300*/
	s_set_vgpr_msb 5                        ;  msbs: dst=0 src0=1 src1=1 src2=0
	v_mad_i32_i24 v6, v96 /*v352*/, v42 /*v298*/, v6
	s_set_vgpr_msb 0x50                     ;  msbs: dst=1 src0=0 src1=0 src2=1
	s_delay_alu instid0(VALU_DEP_1)
	v_add3_u32 v108 /*v364*/, v6, v8, v38 /*v294*/
	s_set_vgpr_msb 1                        ;  msbs: dst=0 src0=1 src1=0 src2=0
	v_mul_i32_i24_e32 v6, v40 /*v296*/, v224
	v_mul_i32_i24_e32 v8, v81 /*v337*/, v162
	s_set_vgpr_msb 0x41                     ;  msbs: dst=1 src0=1 src1=0 src2=0
	v_mul_i32_i24_e32 v38 /*v294*/, v39 /*v295*/, v161
	s_set_vgpr_msb 1                        ;  msbs: dst=0 src0=1 src1=0 src2=0
	v_mad_i32_i24 v6, v80 /*v336*/, v222, v6
	s_set_vgpr_msb 0x50                     ;  msbs: dst=1 src0=0 src1=0 src2=1
	s_delay_alu instid0(VALU_DEP_1)
	v_add3_u32 v109 /*v365*/, v6, v8, v38 /*v294*/
	s_set_vgpr_msb 5                        ;  msbs: dst=0 src0=1 src1=1 src2=0
	v_mul_i32_i24_e32 v6, v83 /*v339*/, v47 /*v303*/
	v_mul_i32_i24_e32 v8, v86 /*v342*/, v49 /*v305*/
	s_set_vgpr_msb 0x45                     ;  msbs: dst=1 src0=1 src1=1 src2=0
	v_mul_i32_i24_e32 v38 /*v294*/, v85 /*v341*/, v50 /*v306*/
	s_set_vgpr_msb 5                        ;  msbs: dst=0 src0=1 src1=1 src2=0
	v_mad_i32_i24 v6, v84 /*v340*/, v48 /*v304*/, v6
	s_set_vgpr_msb 0x50                     ;  msbs: dst=1 src0=0 src1=0 src2=1
	s_delay_alu instid0(VALU_DEP_1)
	v_add3_u32 v110 /*v366*/, v6, v8, v38 /*v294*/
	s_set_vgpr_msb 0                        ;  msbs: dst=0 src0=0 src1=0 src2=0
	v_mul_i32_i24_e32 v6, v10, v241
	s_set_vgpr_msb 1                        ;  msbs: dst=0 src0=1 src1=0 src2=0
	v_mul_i32_i24_e32 v8, v24 /*v280*/, v189
	s_set_vgpr_msb 0x41                     ;  msbs: dst=1 src0=1 src1=0 src2=0
	v_mul_i32_i24_e32 v38 /*v294*/, v65 /*v321*/, v187
	s_set_vgpr_msb 1                        ;  msbs: dst=0 src0=1 src1=0 src2=0
	v_mad_i32_i24 v6, v20 /*v276*/, v239, v6
	s_set_vgpr_msb 0x50                     ;  msbs: dst=1 src0=0 src1=0 src2=1
	s_delay_alu instid0(VALU_DEP_1)
	v_add3_u32 v111 /*v367*/, v6, v8, v38 /*v294*/
	s_set_vgpr_msb 5                        ;  msbs: dst=0 src0=1 src1=1 src2=0
	v_mul_i32_i24_e32 v6, v89 /*v345*/, v47 /*v303*/
	v_mul_i32_i24_e32 v8, v92 /*v348*/, v49 /*v305*/
	s_set_vgpr_msb 0x45                     ;  msbs: dst=1 src0=1 src1=1 src2=0
	v_mul_i32_i24_e32 v38 /*v294*/, v91 /*v347*/, v50 /*v306*/
	s_set_vgpr_msb 5                        ;  msbs: dst=0 src0=1 src1=1 src2=0
	v_mad_i32_i24 v6, v90 /*v346*/, v48 /*v304*/, v6
	s_set_vgpr_msb 0x50                     ;  msbs: dst=1 src0=0 src1=0 src2=1
	s_delay_alu instid0(VALU_DEP_1)
	v_add3_u32 v112 /*v368*/, v6, v8, v38 /*v294*/
	s_set_vgpr_msb 0                        ;  msbs: dst=0 src0=0 src1=0 src2=0
	v_mul_i32_i24_e32 v6, v9, v241
	s_set_vgpr_msb 1                        ;  msbs: dst=0 src0=1 src1=0 src2=0
	v_mul_i32_i24_e32 v8, v72 /*v328*/, v189
	s_set_vgpr_msb 0x41                     ;  msbs: dst=1 src0=1 src1=0 src2=0
	v_mul_i32_i24_e32 v38 /*v294*/, v73 /*v329*/, v187
	s_set_vgpr_msb 1                        ;  msbs: dst=0 src0=1 src1=0 src2=0
	v_mad_i32_i24 v6, v36 /*v292*/, v239, v6
	s_set_vgpr_msb 0x50                     ;  msbs: dst=1 src0=0 src1=0 src2=1
	s_delay_alu instid0(VALU_DEP_1)
	v_add3_u32 v113 /*v369*/, v6, v8, v38 /*v294*/
	s_set_vgpr_msb 5                        ;  msbs: dst=0 src0=1 src1=1 src2=0
	v_mul_i32_i24_e32 v6, v95 /*v351*/, v47 /*v303*/
	v_mul_i32_i24_e32 v8, v98 /*v354*/, v49 /*v305*/
	s_set_vgpr_msb 0x45                     ;  msbs: dst=1 src0=1 src1=1 src2=0
	v_mul_i32_i24_e32 v38 /*v294*/, v97 /*v353*/, v50 /*v306*/
	s_set_vgpr_msb 5                        ;  msbs: dst=0 src0=1 src1=1 src2=0
	v_mad_i32_i24 v6, v96 /*v352*/, v48 /*v304*/, v6
	s_set_vgpr_msb 0x50                     ;  msbs: dst=1 src0=0 src1=0 src2=1
	s_delay_alu instid0(VALU_DEP_1)
	v_add3_u32 v114 /*v370*/, v6, v8, v38 /*v294*/
	s_set_vgpr_msb 1                        ;  msbs: dst=0 src0=1 src1=0 src2=0
	v_mul_i32_i24_e32 v6, v40 /*v296*/, v241
	v_mul_i32_i24_e32 v8, v81 /*v337*/, v189
	s_set_vgpr_msb 0x41                     ;  msbs: dst=1 src0=1 src1=0 src2=0
	v_mul_i32_i24_e32 v38 /*v294*/, v39 /*v295*/, v187
	s_set_vgpr_msb 1                        ;  msbs: dst=0 src0=1 src1=0 src2=0
	v_mad_i32_i24 v6, v80 /*v336*/, v239, v6
	s_set_vgpr_msb 0x50                     ;  msbs: dst=1 src0=0 src1=0 src2=1
	s_delay_alu instid0(VALU_DEP_1)
	v_add3_u32 v115 /*v371*/, v6, v8, v38 /*v294*/
	s_set_vgpr_msb 5                        ;  msbs: dst=0 src0=1 src1=1 src2=0
	v_mul_i32_i24_e32 v6, v83 /*v339*/, v22 /*v278*/
	v_mul_i32_i24_e32 v8, v86 /*v342*/, v21 /*v277*/
	s_set_vgpr_msb 0x45                     ;  msbs: dst=1 src0=1 src1=1 src2=0
	v_mul_i32_i24_e32 v38 /*v294*/, v85 /*v341*/, v25 /*v281*/
	s_set_vgpr_msb 5                        ;  msbs: dst=0 src0=1 src1=1 src2=0
	v_mad_i32_i24 v6, v84 /*v340*/, v23 /*v279*/, v6
	s_set_vgpr_msb 0x50                     ;  msbs: dst=1 src0=0 src1=0 src2=1
	s_delay_alu instid0(VALU_DEP_1)
	v_add3_u32 v116 /*v372*/, v6, v8, v38 /*v294*/
	s_set_vgpr_msb 5                        ;  msbs: dst=0 src0=1 src1=1 src2=0
	v_mul_i32_i24_e32 v6, v89 /*v345*/, v22 /*v278*/
	v_mul_i32_i24_e32 v8, v92 /*v348*/, v21 /*v277*/
	s_set_vgpr_msb 0x45                     ;  msbs: dst=1 src0=1 src1=1 src2=0
	v_mul_i32_i24_e32 v38 /*v294*/, v91 /*v347*/, v25 /*v281*/
	s_set_vgpr_msb 5                        ;  msbs: dst=0 src0=1 src1=1 src2=0
	v_mad_i32_i24 v6, v90 /*v346*/, v23 /*v279*/, v6
	s_set_vgpr_msb 0x50                     ;  msbs: dst=1 src0=0 src1=0 src2=1
	s_delay_alu instid0(VALU_DEP_1)
	v_add3_u32 v117 /*v373*/, v6, v8, v38 /*v294*/
	s_set_vgpr_msb 0                        ;  msbs: dst=0 src0=0 src1=0 src2=0
	v_mul_i32_i24_e32 v6, v10, v172
	s_set_vgpr_msb 1                        ;  msbs: dst=0 src0=1 src1=0 src2=0
	v_mul_i32_i24_e32 v8, v24 /*v280*/, v159
	s_set_vgpr_msb 0x41                     ;  msbs: dst=1 src0=1 src1=0 src2=0
	v_mul_i32_i24_e32 v38 /*v294*/, v65 /*v321*/, v165
	s_set_vgpr_msb 1                        ;  msbs: dst=0 src0=1 src1=0 src2=0
	v_mad_i32_i24 v6, v20 /*v276*/, v173, v6
	s_set_vgpr_msb 0x50                     ;  msbs: dst=1 src0=0 src1=0 src2=1
	s_delay_alu instid0(VALU_DEP_1)
	v_add3_u32 v118 /*v374*/, v6, v8, v38 /*v294*/
	s_set_vgpr_msb 0                        ;  msbs: dst=0 src0=0 src1=0 src2=0
	v_mul_i32_i24_e32 v6, v9, v172
	s_set_vgpr_msb 1                        ;  msbs: dst=0 src0=1 src1=0 src2=0
	v_mul_i32_i24_e32 v8, v72 /*v328*/, v159
	s_set_vgpr_msb 0x41                     ;  msbs: dst=1 src0=1 src1=0 src2=0
	v_mul_i32_i24_e32 v38 /*v294*/, v73 /*v329*/, v165
	s_set_vgpr_msb 1                        ;  msbs: dst=0 src0=1 src1=0 src2=0
	v_mad_i32_i24 v6, v36 /*v292*/, v173, v6
	s_set_vgpr_msb 0x50                     ;  msbs: dst=1 src0=0 src1=0 src2=1
	s_delay_alu instid0(VALU_DEP_1)
	v_add3_u32 v119 /*v375*/, v6, v8, v38 /*v294*/
	s_set_vgpr_msb 1                        ;  msbs: dst=0 src0=1 src1=0 src2=0
	v_mul_i32_i24_e32 v6, v40 /*v296*/, v172
	v_mul_i32_i24_e32 v8, v81 /*v337*/, v159
	s_set_vgpr_msb 0x41                     ;  msbs: dst=1 src0=1 src1=0 src2=0
	v_mul_i32_i24_e32 v38 /*v294*/, v39 /*v295*/, v165
	s_set_vgpr_msb 1                        ;  msbs: dst=0 src0=1 src1=0 src2=0
	v_mad_i32_i24 v6, v80 /*v336*/, v173, v6
	s_set_vgpr_msb 0x50                     ;  msbs: dst=1 src0=0 src1=0 src2=1
	s_delay_alu instid0(VALU_DEP_1)
	v_add3_u32 v120 /*v376*/, v6, v8, v38 /*v294*/
	s_set_vgpr_msb 0                        ;  msbs: dst=0 src0=0 src1=0 src2=0
	v_mul_i32_i24_e32 v6, v9, v230
	s_set_vgpr_msb 1                        ;  msbs: dst=0 src0=1 src1=0 src2=0
	v_mul_i32_i24_e32 v8, v72 /*v328*/, v167
	s_set_vgpr_msb 0x41                     ;  msbs: dst=1 src0=1 src1=0 src2=0
	v_mul_i32_i24_e32 v38 /*v294*/, v73 /*v329*/, v185
	s_set_vgpr_msb 1                        ;  msbs: dst=0 src0=1 src1=0 src2=0
	v_mad_i32_i24 v6, v36 /*v292*/, v231, v6
	s_set_vgpr_msb 0x50                     ;  msbs: dst=1 src0=0 src1=0 src2=1
	s_delay_alu instid0(VALU_DEP_1)
	v_add3_u32 v121 /*v377*/, v6, v8, v38 /*v294*/
	s_set_vgpr_msb 0                        ;  msbs: dst=0 src0=0 src1=0 src2=0
	v_mul_i32_i24_e32 v6, v10, v230
	s_set_vgpr_msb 1                        ;  msbs: dst=0 src0=1 src1=0 src2=0
	v_mul_i32_i24_e32 v8, v24 /*v280*/, v167
	s_set_vgpr_msb 0x41                     ;  msbs: dst=1 src0=1 src1=0 src2=0
	v_mul_i32_i24_e32 v38 /*v294*/, v65 /*v321*/, v185
	s_set_vgpr_msb 1                        ;  msbs: dst=0 src0=1 src1=0 src2=0
	v_mad_i32_i24 v6, v20 /*v276*/, v231, v6
	s_set_vgpr_msb 0x50                     ;  msbs: dst=1 src0=0 src1=0 src2=1
	s_delay_alu instid0(VALU_DEP_1)
	v_add3_u32 v122 /*v378*/, v6, v8, v38 /*v294*/
	s_set_vgpr_msb 5                        ;  msbs: dst=0 src0=1 src1=1 src2=0
	v_mul_i32_i24_e32 v6, v95 /*v351*/, v22 /*v278*/
	v_mul_i32_i24_e32 v8, v98 /*v354*/, v21 /*v277*/
	s_set_vgpr_msb 0x45                     ;  msbs: dst=1 src0=1 src1=1 src2=0
	v_mul_i32_i24_e32 v38 /*v294*/, v97 /*v353*/, v25 /*v281*/
	s_set_vgpr_msb 5                        ;  msbs: dst=0 src0=1 src1=1 src2=0
	v_mad_i32_i24 v6, v96 /*v352*/, v23 /*v279*/, v6
	s_set_vgpr_msb 0x50                     ;  msbs: dst=1 src0=0 src1=0 src2=1
	s_delay_alu instid0(VALU_DEP_1)
	v_add3_u32 v123 /*v379*/, v6, v8, v38 /*v294*/
	s_set_vgpr_msb 1                        ;  msbs: dst=0 src0=1 src1=0 src2=0
	v_mul_i32_i24_e32 v6, v40 /*v296*/, v230
	v_mul_i32_i24_e32 v8, v81 /*v337*/, v167
	s_set_vgpr_msb 0x41                     ;  msbs: dst=1 src0=1 src1=0 src2=0
	v_mul_i32_i24_e32 v38 /*v294*/, v39 /*v295*/, v185
	s_set_vgpr_msb 1                        ;  msbs: dst=0 src0=1 src1=0 src2=0
	v_mad_i32_i24 v6, v80 /*v336*/, v231, v6
	s_set_vgpr_msb 0x50                     ;  msbs: dst=1 src0=0 src1=0 src2=1
	s_delay_alu instid0(VALU_DEP_1)
	v_add3_u32 v124 /*v380*/, v6, v8, v38 /*v294*/
	s_set_vgpr_msb 1                        ;  msbs: dst=0 src0=1 src1=0 src2=0
	v_mul_i32_i24_e32 v6, v83 /*v339*/, v251
	v_mul_i32_i24_e32 v8, v86 /*v342*/, v253
	s_set_vgpr_msb 0x41                     ;  msbs: dst=1 src0=1 src1=0 src2=0
	v_mul_i32_i24_e32 v38 /*v294*/, v85 /*v341*/, v254
	s_set_vgpr_msb 1                        ;  msbs: dst=0 src0=1 src1=0 src2=0
	v_mad_i32_i24 v6, v84 /*v340*/, v252, v6
	s_set_vgpr_msb 0x50                     ;  msbs: dst=1 src0=0 src1=0 src2=1
	s_delay_alu instid0(VALU_DEP_1)
	v_add3_u32 v125 /*v381*/, v6, v8, v38 /*v294*/
	s_set_vgpr_msb 0                        ;  msbs: dst=0 src0=0 src1=0 src2=0
	v_mul_i32_i24_e32 v6, v10, v64
	s_set_vgpr_msb 1                        ;  msbs: dst=0 src0=1 src1=0 src2=0
	v_mul_i32_i24_e32 v8, v24 /*v280*/, v133
	s_set_vgpr_msb 0x41                     ;  msbs: dst=1 src0=1 src1=0 src2=0
	v_mul_i32_i24_e32 v38 /*v294*/, v65 /*v321*/, v54
	s_set_vgpr_msb 1                        ;  msbs: dst=0 src0=1 src1=0 src2=0
	v_mad_i32_i24 v6, v20 /*v276*/, v145, v6
	s_set_vgpr_msb 0x50                     ;  msbs: dst=1 src0=0 src1=0 src2=1
	s_delay_alu instid0(VALU_DEP_1) | instskip(SKIP_3) | instid1(VALU_DEP_2)
	v_add3_u32 v126 /*v382*/, v6, v8, v38 /*v294*/
	s_set_vgpr_msb 5                        ;  msbs: dst=0 src0=1 src1=1 src2=0
	v_mul_i32_i24_e32 v6, v57 /*v313*/, v83 /*v339*/
	v_mul_i32_i24_e32 v8, v58 /*v314*/, v86 /*v342*/
	v_mad_i32_i24 v6, v127 /*v383*/, v84 /*v340*/, v6
	s_set_vgpr_msb 0x50                     ;  msbs: dst=1 src0=0 src1=0 src2=1
	s_delay_alu instid0(VALU_DEP_1)
	v_add3_u32 v128 /*v384*/, v6, v8, v13 /*v269*/
	s_set_vgpr_msb 5                        ;  msbs: dst=0 src0=1 src1=1 src2=0
	v_mul_i32_i24_e32 v6, v57 /*v313*/, v89 /*v345*/
	v_mul_i32_i24_e32 v8, v58 /*v314*/, v92 /*v348*/
	s_set_vgpr_msb 0x45                     ;  msbs: dst=1 src0=1 src1=1 src2=0
	v_mul_i32_i24_e32 v13 /*v269*/, v56 /*v312*/, v91 /*v347*/
	s_set_vgpr_msb 5                        ;  msbs: dst=0 src0=1 src1=1 src2=0
	v_mad_i32_i24 v6, v127 /*v383*/, v90 /*v346*/, v6
	s_set_vgpr_msb 0x50                     ;  msbs: dst=1 src0=0 src1=0 src2=1
	s_delay_alu instid0(VALU_DEP_1)
	v_add3_u32 v129 /*v385*/, v6, v8, v13 /*v269*/
	s_set_vgpr_msb 5                        ;  msbs: dst=0 src0=1 src1=1 src2=0
	v_mul_i32_i24_e32 v6, v57 /*v313*/, v95 /*v351*/
	v_mul_i32_i24_e32 v8, v58 /*v314*/, v98 /*v354*/
	s_set_vgpr_msb 0x45                     ;  msbs: dst=1 src0=1 src1=1 src2=0
	v_mul_i32_i24_e32 v13 /*v269*/, v56 /*v312*/, v97 /*v353*/
	s_set_vgpr_msb 5                        ;  msbs: dst=0 src0=1 src1=1 src2=0
	v_mad_i32_i24 v6, v127 /*v383*/, v96 /*v352*/, v6
	s_set_vgpr_msb 0x50                     ;  msbs: dst=1 src0=0 src1=0 src2=1
	s_delay_alu instid0(VALU_DEP_1)
	v_add3_u32 v130 /*v386*/, v6, v8, v13 /*v269*/
	s_set_vgpr_msb 1                        ;  msbs: dst=0 src0=1 src1=0 src2=0
	v_mul_i32_i24_e32 v6, v89 /*v345*/, v251
	v_mul_i32_i24_e32 v8, v92 /*v348*/, v253
	s_set_vgpr_msb 0x41                     ;  msbs: dst=1 src0=1 src1=0 src2=0
	v_mul_i32_i24_e32 v13 /*v269*/, v91 /*v347*/, v254
	s_set_vgpr_msb 1                        ;  msbs: dst=0 src0=1 src1=0 src2=0
	v_mad_i32_i24 v6, v90 /*v346*/, v252, v6
	s_set_vgpr_msb 0x50                     ;  msbs: dst=1 src0=0 src1=0 src2=1
	s_delay_alu instid0(VALU_DEP_1)
	v_add3_u32 v131 /*v387*/, v6, v8, v13 /*v269*/
	s_set_vgpr_msb 0                        ;  msbs: dst=0 src0=0 src1=0 src2=0
	v_mul_i32_i24_e32 v6, v9, v64
	s_set_vgpr_msb 1                        ;  msbs: dst=0 src0=1 src1=0 src2=0
	v_mul_i32_i24_e32 v8, v72 /*v328*/, v133
	s_set_vgpr_msb 0x41                     ;  msbs: dst=1 src0=1 src1=0 src2=0
	v_mul_i32_i24_e32 v13 /*v269*/, v73 /*v329*/, v54
	s_set_vgpr_msb 1                        ;  msbs: dst=0 src0=1 src1=0 src2=0
	v_mad_i32_i24 v6, v36 /*v292*/, v145, v6
	s_set_vgpr_msb 0x50                     ;  msbs: dst=1 src0=0 src1=0 src2=1
	s_delay_alu instid0(VALU_DEP_1)
	v_add3_u32 v132 /*v388*/, v6, v8, v13 /*v269*/
	s_set_vgpr_msb 1                        ;  msbs: dst=0 src0=1 src1=0 src2=0
	v_mul_i32_i24_e32 v6, v95 /*v351*/, v251
	v_mul_i32_i24_e32 v8, v98 /*v354*/, v253
	s_set_vgpr_msb 0x41                     ;  msbs: dst=1 src0=1 src1=0 src2=0
	v_mul_i32_i24_e32 v13 /*v269*/, v97 /*v353*/, v254
	s_set_vgpr_msb 0x45                     ;  msbs: dst=1 src0=1 src1=1 src2=0
	v_mul_i32_i24_e32 v95 /*v351*/, v5 /*v261*/, v95 /*v351*/
	s_set_vgpr_msb 1                        ;  msbs: dst=0 src0=1 src1=0 src2=0
	v_mad_i32_i24 v6, v96 /*v352*/, v252, v6
	s_set_vgpr_msb 0x50                     ;  msbs: dst=1 src0=0 src1=0 src2=1
	s_delay_alu instid0(VALU_DEP_1)
	v_add3_u32 v133 /*v389*/, v6, v8, v13 /*v269*/
	s_set_vgpr_msb 1                        ;  msbs: dst=0 src0=1 src1=0 src2=0
	v_mul_i32_i24_e32 v6, v40 /*v296*/, v64
	v_mul_i32_i24_e32 v8, v81 /*v337*/, v133
	s_set_vgpr_msb 0x41                     ;  msbs: dst=1 src0=1 src1=0 src2=0
	v_mul_i32_i24_e32 v13 /*v269*/, v39 /*v295*/, v54
	s_set_vgpr_msb 1                        ;  msbs: dst=0 src0=1 src1=0 src2=0
	v_mad_i32_i24 v6, v80 /*v336*/, v145, v6
	s_set_vgpr_msb 0x50                     ;  msbs: dst=1 src0=0 src1=0 src2=1
	s_delay_alu instid0(VALU_DEP_1)
	v_add3_u32 v134 /*v390*/, v6, v8, v13 /*v269*/
	v_bfe_i32 v13 /*v269*/, v7, 0, 8
	s_set_vgpr_msb 0                        ;  msbs: dst=0 src0=0 src1=0 src2=0
	v_mul_i32_i24_e32 v6, v10, v232
	s_set_vgpr_msb 1                        ;  msbs: dst=0 src0=1 src1=0 src2=0
	v_mul_i32_i24_e32 v7, v24 /*v280*/, v238
	v_mul_i32_i24_e32 v8, v65 /*v321*/, v229
	s_set_vgpr_msb 5                        ;  msbs: dst=0 src0=1 src1=1 src2=0
	v_mad_i32_i24 v6, v20 /*v276*/, v13 /*v269*/, v6
	s_set_vgpr_msb 64                       ;  msbs: dst=1 src0=0 src1=0 src2=0
	s_delay_alu instid0(VALU_DEP_1)
	v_add3_u32 v65 /*v321*/, v6, v7, v8
	s_set_vgpr_msb 0                        ;  msbs: dst=0 src0=0 src1=0 src2=0
	v_mul_i32_i24_e32 v6, v9, v232
	s_set_vgpr_msb 1                        ;  msbs: dst=0 src0=1 src1=0 src2=0
	v_mul_i32_i24_e32 v7, v72 /*v328*/, v238
	v_mul_i32_i24_e32 v8, v73 /*v329*/, v229
	s_set_vgpr_msb 5                        ;  msbs: dst=0 src0=1 src1=1 src2=0
	v_mad_i32_i24 v6, v36 /*v292*/, v13 /*v269*/, v6
	s_set_vgpr_msb 64                       ;  msbs: dst=1 src0=0 src1=0 src2=0
	s_delay_alu instid0(VALU_DEP_1)
	v_add3_u32 v36 /*v292*/, v6, v7, v8
	s_set_vgpr_msb 1                        ;  msbs: dst=0 src0=1 src1=0 src2=0
	v_mul_i32_i24_e32 v6, v40 /*v296*/, v232
	v_mul_i32_i24_e32 v7, v81 /*v337*/, v238
	;; [unrolled: 1-line block ×3, first 2 shown]
	s_set_vgpr_msb 5                        ;  msbs: dst=0 src0=1 src1=1 src2=0
	s_delay_alu instid0(VALU_DEP_3) | instskip(SKIP_1) | instid1(VALU_DEP_1)
	v_mad_i32_i24 v6, v80 /*v336*/, v13 /*v269*/, v6
	s_set_vgpr_msb 64                       ;  msbs: dst=1 src0=0 src1=0 src2=0
	v_add3_u32 v40 /*v296*/, v6, v7, v8
	s_set_vgpr_msb 0                        ;  msbs: dst=0 src0=0 src1=0 src2=0
	ds_load_2addr_b32 v[8:9], v221 offset1:1
	ds_load_2addr_b32 v[6:7], v221 offset0:2 offset1:3
	s_set_vgpr_msb 64                       ;  msbs: dst=1 src0=0 src1=0 src2=0
	ds_load_2addr_b32 v[38:39] /*v[294:295]*/, v221 offset0:4 offset1:5
	s_wait_dscnt 0x2
	s_set_vgpr_msb 0                        ;  msbs: dst=0 src0=0 src1=0 src2=0
	v_dual_ashrrev_i32 v9, s18, v9 :: v_dual_ashrrev_i32 v8, s18, v8
	s_wait_dscnt 0x0
	s_set_vgpr_msb 0x44                     ;  msbs: dst=1 src0=0 src1=1 src2=0
	v_ashrrev_i32_e32 v39 /*v295*/, s18, v39 /*v295*/
	s_set_vgpr_msb 64                       ;  msbs: dst=1 src0=0 src1=0 src2=0
	v_and_b32_e32 v72 /*v328*/, 3, v9
	v_bfe_u32 v73 /*v329*/, v9, 8, 2
	v_bfe_u32 v80 /*v336*/, v9, 16, 2
	;; [unrolled: 1-line block ×4, first 2 shown]
	s_set_vgpr_msb 5                        ;  msbs: dst=0 src0=1 src1=1 src2=0
	v_mul_i32_i24_e32 v9, v72 /*v328*/, v9 /*v265*/
	s_set_vgpr_msb 64                       ;  msbs: dst=1 src0=0 src1=0 src2=0
	v_bfe_u32 v139 /*v395*/, v8, 16, 2
	s_set_vgpr_msb 5                        ;  msbs: dst=0 src0=1 src1=1 src2=0
	v_mul_i32_i24_e32 v10, v80 /*v336*/, v7 /*v263*/
	s_set_vgpr_msb 0x45                     ;  msbs: dst=1 src0=1 src1=1 src2=0
	v_mul_i32_i24_e32 v20 /*v276*/, v81 /*v337*/, v8 /*v264*/
	s_set_vgpr_msb 5                        ;  msbs: dst=0 src0=1 src1=1 src2=0
	v_mad_i32_i24 v9, v73 /*v329*/, v6 /*v262*/, v9
	s_set_vgpr_msb 0x45                     ;  msbs: dst=1 src0=1 src1=1 src2=0
	v_mul_i32_i24_e32 v140 /*v396*/, v139 /*v395*/, v14 /*v270*/
	s_set_vgpr_msb 0x44                     ;  msbs: dst=1 src0=0 src1=1 src2=0
	v_add_nc_u32_e32 v14 /*v270*/, v66, v14 /*v270*/
	s_set_vgpr_msb 0x50                     ;  msbs: dst=1 src0=0 src1=0 src2=1
	v_add3_u32 v135 /*v391*/, v9, v10, v20 /*v276*/
	s_set_vgpr_msb 4                        ;  msbs: dst=0 src0=0 src1=1 src2=0
	v_ashrrev_i32_e32 v9, s18, v38 /*v294*/
	s_set_vgpr_msb 0x41                     ;  msbs: dst=1 src0=1 src1=0 src2=0
	v_add3_u32 v14 /*v270*/, v14 /*v270*/, v125, v26
	s_set_vgpr_msb 0                        ;  msbs: dst=0 src0=0 src1=0 src2=0
	s_delay_alu instid0(VALU_DEP_2)
	v_and_b32_e32 v10, 3, v9
	s_set_vgpr_msb 64                       ;  msbs: dst=1 src0=0 src1=0 src2=0
	v_bfe_u32 v24 /*v280*/, v9, 8, 2
	v_bfe_u32 v38 /*v294*/, v9, 16, 2
	s_set_vgpr_msb 0                        ;  msbs: dst=0 src0=0 src1=0 src2=0
	v_bfe_u32 v9, v9, 24, 2
	s_set_vgpr_msb 64                       ;  msbs: dst=1 src0=0 src1=0 src2=0
	v_mul_i32_i24_e32 v20 /*v276*/, v10, v171
	s_set_vgpr_msb 0                        ;  msbs: dst=0 src0=0 src1=0 src2=0
	v_add_nc_u32_e32 v171, v204, v171
	s_set_vgpr_msb 0x41                     ;  msbs: dst=1 src0=1 src1=0 src2=0
	v_mul_i32_i24_e32 v136 /*v392*/, v38 /*v294*/, v41
	s_set_vgpr_msb 64                       ;  msbs: dst=1 src0=0 src1=0 src2=0
	v_mul_i32_i24_e32 v137 /*v393*/, v9, v52
	v_mul_i32_i24_e32 v142 /*v398*/, v9, v156
	s_set_vgpr_msb 0x51                     ;  msbs: dst=1 src0=1 src1=0 src2=1
	v_mad_i32_i24 v20 /*v276*/, v24 /*v280*/, v174, v20 /*v276*/
	s_set_vgpr_msb 64                       ;  msbs: dst=1 src0=0 src1=0 src2=0
	v_mul_i32_i24_e32 v145 /*v401*/, v9, v161
	v_mul_i32_i24_e32 v147 /*v403*/, v9, v54
	;; [unrolled: 1-line block ×4, first 2 shown]
	s_set_vgpr_msb 0x55                     ;  msbs: dst=1 src0=1 src1=1 src2=1
	v_add3_u32 v136 /*v392*/, v20 /*v276*/, v136 /*v392*/, v137 /*v393*/
	s_set_vgpr_msb 64                       ;  msbs: dst=1 src0=0 src1=0 src2=0
	v_and_b32_e32 v137 /*v393*/, 3, v8
	v_bfe_u32 v20 /*v276*/, v8, 24, 2
	v_mul_i32_i24_e32 v152 /*v408*/, v9, v185
	s_set_vgpr_msb 0                        ;  msbs: dst=0 src0=0 src1=0 src2=0
	v_mul_i32_i24_e32 v9, v9, v229
	v_add_nc_u32_e32 v174, v205, v174
	s_set_vgpr_msb 5                        ;  msbs: dst=0 src0=1 src1=1 src2=0
	v_mul_i32_i24_e32 v8, v137 /*v393*/, v15 /*v271*/
	s_set_vgpr_msb 0x45                     ;  msbs: dst=1 src0=1 src1=1 src2=0
	v_mul_i32_i24_e32 v141 /*v397*/, v20 /*v276*/, v17 /*v273*/
	v_mul_i32_i24_e32 v143 /*v399*/, v20 /*v276*/, v32 /*v288*/
	;; [unrolled: 1-line block ×3, first 2 shown]
	s_set_vgpr_msb 0x41                     ;  msbs: dst=1 src0=1 src1=0 src2=0
	v_mul_i32_i24_e32 v146 /*v402*/, v20 /*v276*/, v254
	s_set_vgpr_msb 5                        ;  msbs: dst=0 src0=1 src1=1 src2=0
	v_mad_i32_i24 v8, v138 /*v394*/, v16 /*v272*/, v8
	s_set_vgpr_msb 0x45                     ;  msbs: dst=1 src0=1 src1=1 src2=0
	v_mul_i32_i24_e32 v148 /*v404*/, v20 /*v276*/, v50 /*v306*/
	v_mul_i32_i24_e32 v150 /*v406*/, v20 /*v276*/, v25 /*v281*/
	;; [unrolled: 1-line block ×3, first 2 shown]
	s_set_vgpr_msb 0                        ;  msbs: dst=0 src0=0 src1=0 src2=0
	v_add_nc_u32_e32 v254, v245, v254
	s_set_vgpr_msb 0x54                     ;  msbs: dst=1 src0=0 src1=1 src2=1
	v_add3_u32 v140 /*v396*/, v8, v140 /*v396*/, v141 /*v397*/
	s_set_vgpr_msb 0                        ;  msbs: dst=0 src0=0 src1=0 src2=0
	v_mul_i32_i24_e32 v8, v10, v215
	s_set_vgpr_msb 0x41                     ;  msbs: dst=1 src0=1 src1=0 src2=0
	v_mul_i32_i24_e32 v141 /*v397*/, v38 /*v294*/, v155
	s_set_vgpr_msb 0                        ;  msbs: dst=0 src0=0 src1=0 src2=0
	v_add_nc_u32_e32 v229, v233, v229
	v_add3_u32 v254, v254, v128, v36
	v_add_nc_u32_e32 v54, v55, v54
	s_set_vgpr_msb 1                        ;  msbs: dst=0 src0=1 src1=0 src2=0
	v_mad_i32_i24 v8, v24 /*v280*/, v216, v8
	s_set_vgpr_msb 0                        ;  msbs: dst=0 src0=0 src1=0 src2=0
	v_add3_u32 v229, v229, v183, v237
	s_set_vgpr_msb 0x54                     ;  msbs: dst=1 src0=0 src1=1 src2=1
	s_delay_alu instid0(VALU_DEP_2)
	v_add3_u32 v141 /*v397*/, v8, v141 /*v397*/, v142 /*v398*/
	s_set_vgpr_msb 5                        ;  msbs: dst=0 src0=1 src1=1 src2=0
	v_mul_i32_i24_e32 v8, v137 /*v393*/, v30 /*v286*/
	s_set_vgpr_msb 0x45                     ;  msbs: dst=1 src0=1 src1=1 src2=0
	v_mul_i32_i24_e32 v142 /*v398*/, v139 /*v395*/, v28 /*v284*/
	s_set_vgpr_msb 0x44                     ;  msbs: dst=1 src0=0 src1=1 src2=0
	v_add_nc_u32_e32 v28 /*v284*/, v249, v28 /*v284*/
	s_set_vgpr_msb 5                        ;  msbs: dst=0 src0=1 src1=1 src2=0
	v_mad_i32_i24 v8, v138 /*v394*/, v31 /*v287*/, v8
	s_set_vgpr_msb 0x41                     ;  msbs: dst=1 src0=1 src1=0 src2=0
	s_delay_alu instid0(VALU_DEP_2) | instskip(SKIP_1) | instid1(VALU_DEP_2)
	v_add3_u32 v28 /*v284*/, v28 /*v284*/, v140, v39
	s_set_vgpr_msb 0x54                     ;  msbs: dst=1 src0=0 src1=1 src2=1
	v_add3_u32 v142 /*v398*/, v8, v142 /*v398*/, v143 /*v399*/
	s_set_vgpr_msb 5                        ;  msbs: dst=0 src0=1 src1=1 src2=0
	v_mul_i32_i24_e32 v8, v137 /*v393*/, v35 /*v291*/
	s_set_vgpr_msb 0x45                     ;  msbs: dst=1 src0=1 src1=1 src2=0
	v_mul_i32_i24_e32 v143 /*v399*/, v139 /*v395*/, v43 /*v299*/
	v_add_nc_u32_e32 v35 /*v291*/, v45 /*v301*/, v35 /*v291*/
	s_set_vgpr_msb 5                        ;  msbs: dst=0 src0=1 src1=1 src2=0
	v_mad_i32_i24 v8, v138 /*v394*/, v42 /*v298*/, v8
	s_set_vgpr_msb 0x41                     ;  msbs: dst=1 src0=1 src1=0 src2=0
	s_delay_alu instid0(VALU_DEP_2) | instskip(SKIP_1) | instid1(VALU_DEP_2)
	v_add3_u32 v35 /*v291*/, v35 /*v291*/, v208, v113
	s_set_vgpr_msb 0x54                     ;  msbs: dst=1 src0=0 src1=1 src2=1
	v_add3_u32 v143 /*v399*/, v8, v143 /*v399*/, v144 /*v400*/
	s_set_vgpr_msb 0                        ;  msbs: dst=0 src0=0 src1=0 src2=0
	v_mul_i32_i24_e32 v8, v10, v224
	s_set_vgpr_msb 0x41                     ;  msbs: dst=1 src0=1 src1=0 src2=0
	v_mul_i32_i24_e32 v144 /*v400*/, v38 /*v294*/, v162
	s_set_vgpr_msb 1                        ;  msbs: dst=0 src0=1 src1=0 src2=0
	s_delay_alu instid0(VALU_DEP_2) | instskip(SKIP_1) | instid1(VALU_DEP_1)
	v_mad_i32_i24 v8, v24 /*v280*/, v222, v8
	s_set_vgpr_msb 0x54                     ;  msbs: dst=1 src0=0 src1=1 src2=1
	v_add3_u32 v144 /*v400*/, v8, v144 /*v400*/, v145 /*v401*/
	s_set_vgpr_msb 1                        ;  msbs: dst=0 src0=1 src1=0 src2=0
	v_mul_i32_i24_e32 v8, v137 /*v393*/, v251
	s_set_vgpr_msb 0x41                     ;  msbs: dst=1 src0=1 src1=0 src2=0
	v_mul_i32_i24_e32 v145 /*v401*/, v139 /*v395*/, v253
	s_set_vgpr_msb 0                        ;  msbs: dst=0 src0=0 src1=0 src2=0
	v_dual_add_nc_u32 v251, v255, v251 :: v_dual_add_nc_u32 v253, v244, v253
	s_set_vgpr_msb 1                        ;  msbs: dst=0 src0=1 src1=0 src2=0
	v_mad_i32_i24 v8, v138 /*v394*/, v252, v8
	v_add_nc_u32_e32 v252, v0 /*v256*/, v252
	s_set_vgpr_msb 0                        ;  msbs: dst=0 src0=0 src1=0 src2=0
	v_add3_u32 v251, v251, v202, v86
	v_add3_u32 v253, v253, v127, v35
	s_set_vgpr_msb 0x54                     ;  msbs: dst=1 src0=0 src1=1 src2=1
	v_add3_u32 v145 /*v401*/, v8, v145 /*v401*/, v146 /*v402*/
	s_set_vgpr_msb 0                        ;  msbs: dst=0 src0=0 src1=0 src2=0
	v_mul_i32_i24_e32 v8, v10, v64
	s_set_vgpr_msb 0x41                     ;  msbs: dst=1 src0=1 src1=0 src2=0
	v_mul_i32_i24_e32 v146 /*v402*/, v38 /*v294*/, v133
	s_set_vgpr_msb 0                        ;  msbs: dst=0 src0=0 src1=0 src2=0
	v_add3_u32 v252, v252, v212, v87
	v_add_nc_u32_e32 v64, v193, v64
	s_set_vgpr_msb 1                        ;  msbs: dst=0 src0=1 src1=0 src2=0
	v_mad_i32_i24 v8, v24 /*v280*/, v145, v8
	s_set_vgpr_msb 0                        ;  msbs: dst=0 src0=0 src1=0 src2=0
	v_add_nc_u32_e32 v145, v147, v145
	v_add3_u32 v64, v64, v201, v85
	s_set_vgpr_msb 0x54                     ;  msbs: dst=1 src0=0 src1=1 src2=1
	v_add3_u32 v146 /*v402*/, v8, v146 /*v402*/, v147 /*v403*/
	s_set_vgpr_msb 5                        ;  msbs: dst=0 src0=1 src1=1 src2=0
	v_mul_i32_i24_e32 v8, v137 /*v393*/, v47 /*v303*/
	s_set_vgpr_msb 0x45                     ;  msbs: dst=1 src0=1 src1=1 src2=0
	v_mul_i32_i24_e32 v147 /*v403*/, v139 /*v395*/, v49 /*v305*/
	v_add_nc_u32_e32 v47 /*v303*/, v51 /*v307*/, v47 /*v303*/
	s_set_vgpr_msb 0                        ;  msbs: dst=0 src0=0 src1=0 src2=0
	v_add3_u32 v145, v145, v200, v51
	s_set_vgpr_msb 5                        ;  msbs: dst=0 src0=1 src1=1 src2=0
	v_mad_i32_i24 v8, v138 /*v394*/, v48 /*v304*/, v8
	s_set_vgpr_msb 0x45                     ;  msbs: dst=1 src0=1 src1=1 src2=0
	v_add_nc_u32_e32 v48 /*v304*/, v52 /*v308*/, v48 /*v304*/
	s_set_vgpr_msb 0x41                     ;  msbs: dst=1 src0=1 src1=0 src2=0
	v_add3_u32 v47 /*v303*/, v47 /*v303*/, v210, v115
	s_set_vgpr_msb 0x54                     ;  msbs: dst=1 src0=0 src1=1 src2=1
	v_add3_u32 v147 /*v403*/, v8, v147 /*v403*/, v148 /*v404*/
	s_set_vgpr_msb 0                        ;  msbs: dst=0 src0=0 src1=0 src2=0
	v_mul_i32_i24_e32 v8, v10, v241
	s_set_vgpr_msb 0x41                     ;  msbs: dst=1 src0=1 src1=0 src2=0
	v_mul_i32_i24_e32 v148 /*v404*/, v38 /*v294*/, v189
	v_add3_u32 v48 /*v304*/, v48 /*v304*/, v211, v116
	s_set_vgpr_msb 1                        ;  msbs: dst=0 src0=1 src1=0 src2=0
	v_mad_i32_i24 v8, v24 /*v280*/, v239, v8
	s_set_vgpr_msb 0x54                     ;  msbs: dst=1 src0=0 src1=1 src2=1
	s_delay_alu instid0(VALU_DEP_1)
	v_add3_u32 v148 /*v404*/, v8, v148 /*v404*/, v149 /*v405*/
	s_set_vgpr_msb 5                        ;  msbs: dst=0 src0=1 src1=1 src2=0
	v_mul_i32_i24_e32 v8, v137 /*v393*/, v22 /*v278*/
	s_set_vgpr_msb 0x45                     ;  msbs: dst=1 src0=1 src1=1 src2=0
	v_mul_i32_i24_e32 v149 /*v405*/, v139 /*v395*/, v21 /*v277*/
	s_set_vgpr_msb 0x44                     ;  msbs: dst=1 src0=0 src1=1 src2=0
	v_add_nc_u32_e32 v21 /*v277*/, v246, v21 /*v277*/
	s_set_vgpr_msb 5                        ;  msbs: dst=0 src0=1 src1=1 src2=0
	v_mad_i32_i24 v8, v138 /*v394*/, v23 /*v279*/, v8
	s_set_vgpr_msb 0x41                     ;  msbs: dst=1 src0=1 src1=0 src2=0
	s_delay_alu instid0(VALU_DEP_2) | instskip(SKIP_1) | instid1(VALU_DEP_2)
	v_add3_u32 v21 /*v277*/, v21 /*v277*/, v129, v37
	s_set_vgpr_msb 0x54                     ;  msbs: dst=1 src0=0 src1=1 src2=1
	v_add3_u32 v149 /*v405*/, v8, v149 /*v405*/, v150 /*v406*/
	s_set_vgpr_msb 0                        ;  msbs: dst=0 src0=0 src1=0 src2=0
	v_mul_i32_i24_e32 v8, v10, v172
	s_set_vgpr_msb 0x41                     ;  msbs: dst=1 src0=1 src1=0 src2=0
	v_mul_i32_i24_e32 v150 /*v406*/, v38 /*v294*/, v159
	s_set_vgpr_msb 1                        ;  msbs: dst=0 src0=1 src1=0 src2=0
	s_delay_alu instid0(VALU_DEP_2) | instskip(SKIP_3) | instid1(VALU_DEP_2)
	v_mad_i32_i24 v8, v24 /*v280*/, v173, v8
	s_set_vgpr_msb 0                        ;  msbs: dst=0 src0=0 src1=0 src2=0
	v_add_nc_u32_e32 v173, v228, v173
	s_set_vgpr_msb 0x54                     ;  msbs: dst=1 src0=0 src1=1 src2=1
	v_add3_u32 v150 /*v406*/, v8, v150 /*v406*/, v151 /*v407*/
	s_set_vgpr_msb 0                        ;  msbs: dst=0 src0=0 src1=0 src2=0
	v_mul_i32_i24_e32 v8, v10, v230
	s_set_vgpr_msb 0x41                     ;  msbs: dst=1 src0=1 src1=0 src2=0
	v_mul_i32_i24_e32 v151 /*v407*/, v38 /*v294*/, v167
	s_set_vgpr_msb 0                        ;  msbs: dst=0 src0=0 src1=0 src2=0
	v_mul_i32_i24_e32 v10, v10, v232
	v_dual_add_nc_u32 v230, v234, v230 :: v_dual_add_nc_u32 v232, v236, v232
	s_set_vgpr_msb 1                        ;  msbs: dst=0 src0=1 src1=0 src2=0
	v_mad_i32_i24 v8, v24 /*v280*/, v231, v8
	s_set_vgpr_msb 0                        ;  msbs: dst=0 src0=0 src1=0 src2=0
	v_add_nc_u32_e32 v231, v235, v231
	s_set_vgpr_msb 5                        ;  msbs: dst=0 src0=1 src1=1 src2=0
	v_mad_i32_i24 v10, v24 /*v280*/, v13 /*v269*/, v10
	s_set_vgpr_msb 0                        ;  msbs: dst=0 src0=0 src1=0 src2=0
	v_add3_u32 v230, v230, v194, v110
	v_add3_u32 v232, v232, v220, v121
	s_set_vgpr_msb 0x54                     ;  msbs: dst=1 src0=0 src1=1 src2=1
	v_add3_u32 v151 /*v407*/, v8, v151 /*v407*/, v152 /*v408*/
	s_set_vgpr_msb 5                        ;  msbs: dst=0 src0=1 src1=1 src2=0
	v_mul_i32_i24_e32 v8, v57 /*v313*/, v137 /*v393*/
	s_set_vgpr_msb 0x45                     ;  msbs: dst=1 src0=1 src1=1 src2=0
	v_mul_i32_i24_e32 v152 /*v408*/, v58 /*v314*/, v139 /*v395*/
	v_mul_i32_i24_e32 v137 /*v393*/, v5 /*v261*/, v137 /*v393*/
	s_set_vgpr_msb 0                        ;  msbs: dst=0 src0=0 src1=0 src2=0
	v_add3_u32 v231, v231, v203, v108
	s_set_vgpr_msb 5                        ;  msbs: dst=0 src0=1 src1=1 src2=0
	v_mad_i32_i24 v8, v127 /*v383*/, v138 /*v394*/, v8
	s_set_vgpr_msb 0x54                     ;  msbs: dst=1 src0=0 src1=1 src2=1
	s_delay_alu instid0(VALU_DEP_1) | instskip(SKIP_3) | instid1(VALU_DEP_1)
	v_add3_u32 v152 /*v408*/, v8, v152 /*v408*/, v153 /*v409*/
	s_set_vgpr_msb 1                        ;  msbs: dst=0 src0=1 src1=0 src2=0
	v_mul_i32_i24_e32 v8, v38 /*v294*/, v238
	s_set_vgpr_msb 64                       ;  msbs: dst=1 src0=0 src1=0 src2=0
	v_add3_u32 v38 /*v294*/, v10, v8, v9
	s_set_vgpr_msb 0                        ;  msbs: dst=0 src0=0 src1=0 src2=0
	v_add_nc_u32_e32 v8, 0x1088, v221
	s_set_vgpr_msb 5                        ;  msbs: dst=0 src0=1 src1=1 src2=0
	v_mul_i32_i24_e32 v10, v5 /*v261*/, v83 /*v339*/
	s_set_vgpr_msb 0                        ;  msbs: dst=0 src0=0 src1=0 src2=0
	ds_load_2addr_b32 v[8:9], v8 offset1:1
	s_wait_dscnt 0x0
	s_set_vgpr_msb 64                       ;  msbs: dst=1 src0=0 src1=0 src2=0
	v_ashrrev_i32_e32 v24 /*v280*/, s18, v8
	s_set_vgpr_msb 0x44                     ;  msbs: dst=1 src0=0 src1=1 src2=0
	s_delay_alu instid0(VALU_DEP_1) | instskip(SKIP_1) | instid1(VALU_DEP_1)
	v_and_b32_e32 v83 /*v339*/, 3, v24 /*v280*/
	s_set_vgpr_msb 5                        ;  msbs: dst=0 src0=1 src1=1 src2=0
	v_mul_i32_i24_e32 v8, v83 /*v339*/, v10 /*v266*/
	s_set_vgpr_msb 0x41                     ;  msbs: dst=1 src0=1 src1=0 src2=0
	s_delay_alu instid0(VALU_DEP_1)
	v_add3_u32 v153 /*v409*/, v29 /*v285*/, v8, v10
	s_set_vgpr_msb 4                        ;  msbs: dst=0 src0=0 src1=1 src2=0
	v_and_b32_e32 v8, 3, v154 /*v410*/
	s_set_vgpr_msb 64                       ;  msbs: dst=1 src0=0 src1=0 src2=0
	v_ashrrev_i32_e32 v29 /*v285*/, s18, v2
	s_set_vgpr_msb 0                        ;  msbs: dst=0 src0=0 src1=0 src2=0
	s_delay_alu instid0(VALU_DEP_2) | instskip(SKIP_1) | instid1(VALU_DEP_1)
	v_mul_i32_i24_e32 v10, v8, v204
	s_set_vgpr_msb 0x41                     ;  msbs: dst=1 src0=1 src1=0 src2=0
	v_add3_u32 v66 /*v322*/, v66 /*v322*/, v10, v11
	s_set_vgpr_msb 5                        ;  msbs: dst=0 src0=1 src1=1 src2=0
	v_mul_i32_i24_e32 v10, v5 /*v261*/, v89 /*v345*/
	s_set_vgpr_msb 0x44                     ;  msbs: dst=1 src0=0 src1=1 src2=0
	v_and_b32_e32 v89 /*v345*/, 3, v29 /*v285*/
	s_set_vgpr_msb 1                        ;  msbs: dst=0 src0=1 src1=0 src2=0
	v_mul_i32_i24_e32 v11, v156 /*v412*/, v205
	s_set_vgpr_msb 5                        ;  msbs: dst=0 src0=1 src1=1 src2=0
	s_delay_alu instid0(VALU_DEP_2) | instskip(SKIP_1) | instid1(VALU_DEP_1)
	v_mul_i32_i24_e32 v2, v89 /*v345*/, v10 /*v266*/
	s_set_vgpr_msb 0x41                     ;  msbs: dst=1 src0=1 src1=0 src2=0
	v_add3_u32 v71 /*v327*/, v71 /*v327*/, v2, v10
	s_set_vgpr_msb 4                        ;  msbs: dst=0 src0=0 src1=1 src2=0
	v_and_b32_e32 v2, 3, v37 /*v293*/
	s_set_vgpr_msb 0                        ;  msbs: dst=0 src0=0 src1=0 src2=0
	s_delay_alu instid0(VALU_DEP_1) | instskip(SKIP_1) | instid1(VALU_DEP_1)
	v_mul_i32_i24_e32 v10, v2, v204
	s_set_vgpr_msb 0x41                     ;  msbs: dst=1 src0=1 src1=0 src2=0
	v_add3_u32 v74 /*v330*/, v74 /*v330*/, v10, v11
	s_set_vgpr_msb 0                        ;  msbs: dst=0 src0=0 src1=0 src2=0
	v_add_nc_u32_e32 v10, 0x3188, v221
	ds_load_2addr_b32 v[10:11], v10 offset1:1
	s_wait_dscnt 0x0
	v_ashrrev_i32_e32 v10, s18, v10
	s_set_vgpr_msb 64                       ;  msbs: dst=1 src0=0 src1=0 src2=0
	s_delay_alu instid0(VALU_DEP_1) | instskip(SKIP_1) | instid1(VALU_DEP_1)
	v_and_b32_e32 v157 /*v413*/, 3, v10
	s_set_vgpr_msb 0x55                     ;  msbs: dst=1 src0=1 src1=1 src2=1
	v_mul_i32_i24_e32 v158 /*v414*/, v157 /*v413*/, v10 /*v266*/
	s_delay_alu instid0(VALU_DEP_1) | instskip(SKIP_3) | instid1(VALU_DEP_2)
	v_add3_u32 v79 /*v335*/, v79 /*v335*/, v158 /*v414*/, v95 /*v351*/
	v_and_b32_e32 v95 /*v351*/, 3, v41 /*v297*/
	v_bfe_u32 v158 /*v414*/, v41 /*v297*/, 8, 2
	s_set_vgpr_msb 0x41                     ;  msbs: dst=1 src0=1 src1=0 src2=0
	v_mul_i32_i24_e32 v159 /*v415*/, v95 /*v351*/, v204
	s_delay_alu instid0(VALU_DEP_2) | instskip(SKIP_1) | instid1(VALU_DEP_1)
	v_mul_i32_i24_e32 v160 /*v416*/, v158 /*v414*/, v205
	s_set_vgpr_msb 0x55                     ;  msbs: dst=1 src0=1 src1=1 src2=1
	v_add3_u32 v82 /*v338*/, v82 /*v338*/, v159 /*v415*/, v160 /*v416*/
	v_mul_i32_i24_e32 v159 /*v415*/, v62 /*v318*/, v18 /*v274*/
	v_mul_i32_i24_e32 v160 /*v416*/, v61 /*v317*/, v19 /*v275*/
	s_delay_alu instid0(VALU_DEP_1)
	v_add3_u32 v87 /*v343*/, v87 /*v343*/, v159 /*v415*/, v160 /*v416*/
	s_set_vgpr_msb 64                       ;  msbs: dst=1 src0=0 src1=0 src2=0
	v_mul_i32_i24_e32 v159 /*v415*/, v8, v218
	s_set_vgpr_msb 0x41                     ;  msbs: dst=1 src0=1 src1=0 src2=0
	v_mul_i32_i24_e32 v160 /*v416*/, v155 /*v411*/, v219
	s_set_vgpr_msb 0x55                     ;  msbs: dst=1 src0=1 src1=1 src2=1
	s_delay_alu instid0(VALU_DEP_1) | instskip(SKIP_2) | instid1(VALU_DEP_1)
	v_add3_u32 v88 /*v344*/, v88 /*v344*/, v159 /*v415*/, v160 /*v416*/
	v_mul_i32_i24_e32 v159 /*v415*/, v67 /*v323*/, v18 /*v274*/
	v_mul_i32_i24_e32 v160 /*v416*/, v68 /*v324*/, v19 /*v275*/
	v_add3_u32 v93 /*v349*/, v93 /*v349*/, v159 /*v415*/, v160 /*v416*/
	s_set_vgpr_msb 64                       ;  msbs: dst=1 src0=0 src1=0 src2=0
	v_mul_i32_i24_e32 v159 /*v415*/, v2, v218
	s_set_vgpr_msb 0x41                     ;  msbs: dst=1 src0=1 src1=0 src2=0
	v_mul_i32_i24_e32 v160 /*v416*/, v156 /*v412*/, v219
	s_set_vgpr_msb 0x55                     ;  msbs: dst=1 src0=1 src1=1 src2=1
	s_delay_alu instid0(VALU_DEP_1) | instskip(SKIP_2) | instid1(VALU_DEP_1)
	v_add3_u32 v94 /*v350*/, v94 /*v350*/, v159 /*v415*/, v160 /*v416*/
	v_mul_i32_i24_e32 v159 /*v415*/, v75 /*v331*/, v18 /*v274*/
	v_mul_i32_i24_e32 v160 /*v416*/, v76 /*v332*/, v19 /*v275*/
	v_add3_u32 v99 /*v355*/, v99 /*v355*/, v159 /*v415*/, v160 /*v416*/
	s_set_vgpr_msb 0x41                     ;  msbs: dst=1 src0=1 src1=0 src2=0
	v_mul_i32_i24_e32 v159 /*v415*/, v95 /*v351*/, v218
	v_mul_i32_i24_e32 v160 /*v416*/, v158 /*v414*/, v219
	s_set_vgpr_msb 0x55                     ;  msbs: dst=1 src0=1 src1=1 src2=1
	s_delay_alu instid0(VALU_DEP_1) | instskip(SKIP_2) | instid1(VALU_DEP_1)
	v_add3_u32 v100 /*v356*/, v100 /*v356*/, v159 /*v415*/, v160 /*v416*/
	v_mul_i32_i24_e32 v159 /*v415*/, v62 /*v318*/, v33 /*v289*/
	v_mul_i32_i24_e32 v160 /*v416*/, v61 /*v317*/, v34 /*v290*/
	v_add3_u32 v101 /*v357*/, v101 /*v357*/, v159 /*v415*/, v160 /*v416*/
	v_mul_i32_i24_e32 v159 /*v415*/, v67 /*v323*/, v33 /*v289*/
	v_mul_i32_i24_e32 v160 /*v416*/, v68 /*v324*/, v34 /*v290*/
	s_delay_alu instid0(VALU_DEP_1) | instskip(SKIP_2) | instid1(VALU_DEP_1)
	v_add3_u32 v102 /*v358*/, v102 /*v358*/, v159 /*v415*/, v160 /*v416*/
	v_mul_i32_i24_e32 v159 /*v415*/, v75 /*v331*/, v33 /*v289*/
	v_mul_i32_i24_e32 v160 /*v416*/, v76 /*v332*/, v34 /*v290*/
	v_add3_u32 v103 /*v359*/, v103 /*v359*/, v159 /*v415*/, v160 /*v416*/
	v_mul_i32_i24_e32 v159 /*v415*/, v62 /*v318*/, v45 /*v301*/
	v_mul_i32_i24_e32 v160 /*v416*/, v61 /*v317*/, v46 /*v302*/
	;; [unrolled: 7-line block ×3, first 2 shown]
	v_mul_i32_i24_e32 v45 /*v301*/, v72 /*v328*/, v45 /*v301*/
	s_delay_alu instid0(VALU_DEP_2)
	v_add3_u32 v108 /*v364*/, v108 /*v364*/, v159 /*v415*/, v160 /*v416*/
	s_set_vgpr_msb 64                       ;  msbs: dst=1 src0=0 src1=0 src2=0
	v_mul_i32_i24_e32 v159 /*v415*/, v8, v225
	s_set_vgpr_msb 0x41                     ;  msbs: dst=1 src0=1 src1=0 src2=0
	v_mul_i32_i24_e32 v160 /*v416*/, v155 /*v411*/, v223
	s_set_vgpr_msb 0x55                     ;  msbs: dst=1 src0=1 src1=1 src2=1
	s_delay_alu instid0(VALU_DEP_1)
	v_add3_u32 v105 /*v361*/, v105 /*v361*/, v159 /*v415*/, v160 /*v416*/
	s_set_vgpr_msb 64                       ;  msbs: dst=1 src0=0 src1=0 src2=0
	v_mul_i32_i24_e32 v159 /*v415*/, v2, v225
	s_set_vgpr_msb 0x41                     ;  msbs: dst=1 src0=1 src1=0 src2=0
	v_mul_i32_i24_e32 v160 /*v416*/, v156 /*v412*/, v223
	s_set_vgpr_msb 0x55                     ;  msbs: dst=1 src0=1 src1=1 src2=1
	s_delay_alu instid0(VALU_DEP_1) | instskip(SKIP_4) | instid1(VALU_DEP_1)
	v_add3_u32 v107 /*v363*/, v107 /*v363*/, v159 /*v415*/, v160 /*v416*/
	s_set_vgpr_msb 0x41                     ;  msbs: dst=1 src0=1 src1=0 src2=0
	v_mul_i32_i24_e32 v159 /*v415*/, v95 /*v351*/, v225
	v_mul_i32_i24_e32 v160 /*v416*/, v158 /*v414*/, v223
	s_set_vgpr_msb 0x55                     ;  msbs: dst=1 src0=1 src1=1 src2=1
	v_add3_u32 v109 /*v365*/, v109 /*v365*/, v159 /*v415*/, v160 /*v416*/
	v_mul_i32_i24_e32 v159 /*v415*/, v62 /*v318*/, v51 /*v307*/
	v_mul_i32_i24_e32 v160 /*v416*/, v61 /*v317*/, v52 /*v308*/
	s_delay_alu instid0(VALU_DEP_1)
	v_add3_u32 v110 /*v366*/, v110 /*v366*/, v159 /*v415*/, v160 /*v416*/
	s_set_vgpr_msb 64                       ;  msbs: dst=1 src0=0 src1=0 src2=0
	v_mul_i32_i24_e32 v159 /*v415*/, v8, v243
	s_set_vgpr_msb 0x41                     ;  msbs: dst=1 src0=1 src1=0 src2=0
	v_mul_i32_i24_e32 v160 /*v416*/, v155 /*v411*/, v242
	s_set_vgpr_msb 0x55                     ;  msbs: dst=1 src0=1 src1=1 src2=1
	s_delay_alu instid0(VALU_DEP_1) | instskip(SKIP_2) | instid1(VALU_DEP_1)
	v_add3_u32 v111 /*v367*/, v111 /*v367*/, v159 /*v415*/, v160 /*v416*/
	v_mul_i32_i24_e32 v159 /*v415*/, v67 /*v323*/, v51 /*v307*/
	v_mul_i32_i24_e32 v160 /*v416*/, v68 /*v324*/, v52 /*v308*/
	v_add3_u32 v112 /*v368*/, v112 /*v368*/, v159 /*v415*/, v160 /*v416*/
	s_set_vgpr_msb 64                       ;  msbs: dst=1 src0=0 src1=0 src2=0
	v_mul_i32_i24_e32 v159 /*v415*/, v2, v243
	s_set_vgpr_msb 0x41                     ;  msbs: dst=1 src0=1 src1=0 src2=0
	v_mul_i32_i24_e32 v160 /*v416*/, v156 /*v412*/, v242
	s_set_vgpr_msb 0x55                     ;  msbs: dst=1 src0=1 src1=1 src2=1
	s_delay_alu instid0(VALU_DEP_1) | instskip(SKIP_4) | instid1(VALU_DEP_3)
	v_add3_u32 v113 /*v369*/, v113 /*v369*/, v159 /*v415*/, v160 /*v416*/
	v_mul_i32_i24_e32 v159 /*v415*/, v75 /*v331*/, v51 /*v307*/
	v_mul_i32_i24_e32 v160 /*v416*/, v76 /*v332*/, v52 /*v308*/
	;; [unrolled: 1-line block ×4, first 2 shown]
	v_add3_u32 v114 /*v370*/, v114 /*v370*/, v159 /*v415*/, v160 /*v416*/
	s_set_vgpr_msb 0x41                     ;  msbs: dst=1 src0=1 src1=0 src2=0
	v_mul_i32_i24_e32 v159 /*v415*/, v95 /*v351*/, v243
	v_mul_i32_i24_e32 v160 /*v416*/, v158 /*v414*/, v242
	s_set_vgpr_msb 0x55                     ;  msbs: dst=1 src0=1 src1=1 src2=1
	v_add3_u32 v51 /*v307*/, v147 /*v403*/, v51 /*v307*/, v52 /*v308*/
	s_delay_alu instid0(VALU_DEP_2) | instskip(SKIP_2) | instid1(VALU_DEP_1)
	v_add3_u32 v115 /*v371*/, v115 /*v371*/, v159 /*v415*/, v160 /*v416*/
	v_mul_i32_i24_e32 v159 /*v415*/, v62 /*v318*/, v26 /*v282*/
	v_mul_i32_i24_e32 v160 /*v416*/, v61 /*v317*/, v27 /*v283*/
	v_add3_u32 v116 /*v372*/, v116 /*v372*/, v159 /*v415*/, v160 /*v416*/
	v_mul_i32_i24_e32 v159 /*v415*/, v67 /*v323*/, v26 /*v282*/
	v_mul_i32_i24_e32 v160 /*v416*/, v68 /*v324*/, v27 /*v283*/
	s_delay_alu instid0(VALU_DEP_1)
	v_add3_u32 v117 /*v373*/, v117 /*v373*/, v159 /*v415*/, v160 /*v416*/
	s_set_vgpr_msb 64                       ;  msbs: dst=1 src0=0 src1=0 src2=0
	v_mul_i32_i24_e32 v159 /*v415*/, v8, v227
	s_set_vgpr_msb 0x41                     ;  msbs: dst=1 src0=1 src1=0 src2=0
	v_mul_i32_i24_e32 v160 /*v416*/, v155 /*v411*/, v228
	s_set_vgpr_msb 0x55                     ;  msbs: dst=1 src0=1 src1=1 src2=1
	s_delay_alu instid0(VALU_DEP_1)
	v_add3_u32 v118 /*v374*/, v118 /*v374*/, v159 /*v415*/, v160 /*v416*/
	s_set_vgpr_msb 64                       ;  msbs: dst=1 src0=0 src1=0 src2=0
	v_mul_i32_i24_e32 v159 /*v415*/, v2, v227
	s_set_vgpr_msb 0x41                     ;  msbs: dst=1 src0=1 src1=0 src2=0
	v_mul_i32_i24_e32 v160 /*v416*/, v156 /*v412*/, v228
	s_set_vgpr_msb 0x55                     ;  msbs: dst=1 src0=1 src1=1 src2=1
	s_delay_alu instid0(VALU_DEP_1) | instskip(SKIP_4) | instid1(VALU_DEP_1)
	v_add3_u32 v119 /*v375*/, v119 /*v375*/, v159 /*v415*/, v160 /*v416*/
	s_set_vgpr_msb 0x41                     ;  msbs: dst=1 src0=1 src1=0 src2=0
	v_mul_i32_i24_e32 v159 /*v415*/, v95 /*v351*/, v227
	v_mul_i32_i24_e32 v160 /*v416*/, v158 /*v414*/, v228
	s_set_vgpr_msb 0x55                     ;  msbs: dst=1 src0=1 src1=1 src2=1
	v_add3_u32 v120 /*v376*/, v120 /*v376*/, v159 /*v415*/, v160 /*v416*/
	s_set_vgpr_msb 64                       ;  msbs: dst=1 src0=0 src1=0 src2=0
	v_mul_i32_i24_e32 v159 /*v415*/, v2, v234
	s_set_vgpr_msb 0x41                     ;  msbs: dst=1 src0=1 src1=0 src2=0
	v_mul_i32_i24_e32 v160 /*v416*/, v156 /*v412*/, v235
	s_set_vgpr_msb 0x55                     ;  msbs: dst=1 src0=1 src1=1 src2=1
	s_delay_alu instid0(VALU_DEP_1)
	v_add3_u32 v121 /*v377*/, v121 /*v377*/, v159 /*v415*/, v160 /*v416*/
	s_set_vgpr_msb 64                       ;  msbs: dst=1 src0=0 src1=0 src2=0
	v_mul_i32_i24_e32 v159 /*v415*/, v8, v234
	s_set_vgpr_msb 0x41                     ;  msbs: dst=1 src0=1 src1=0 src2=0
	v_mul_i32_i24_e32 v160 /*v416*/, v155 /*v411*/, v235
	s_set_vgpr_msb 0x55                     ;  msbs: dst=1 src0=1 src1=1 src2=1
	s_delay_alu instid0(VALU_DEP_1) | instskip(SKIP_2) | instid1(VALU_DEP_1)
	v_add3_u32 v122 /*v378*/, v122 /*v378*/, v159 /*v415*/, v160 /*v416*/
	v_mul_i32_i24_e32 v159 /*v415*/, v75 /*v331*/, v26 /*v282*/
	v_mul_i32_i24_e32 v160 /*v416*/, v76 /*v332*/, v27 /*v283*/
	v_add3_u32 v123 /*v379*/, v123 /*v379*/, v159 /*v415*/, v160 /*v416*/
	s_set_vgpr_msb 0x41                     ;  msbs: dst=1 src0=1 src1=0 src2=0
	v_mul_i32_i24_e32 v159 /*v415*/, v95 /*v351*/, v234
	v_mul_i32_i24_e32 v160 /*v416*/, v158 /*v414*/, v235
	s_set_vgpr_msb 0x55                     ;  msbs: dst=1 src0=1 src1=1 src2=1
	s_delay_alu instid0(VALU_DEP_1)
	v_add3_u32 v124 /*v380*/, v124 /*v380*/, v159 /*v415*/, v160 /*v416*/
	s_set_vgpr_msb 0x41                     ;  msbs: dst=1 src0=1 src1=0 src2=0
	v_mul_i32_i24_e32 v159 /*v415*/, v62 /*v318*/, v255
	s_set_vgpr_msb 0x55                     ;  msbs: dst=1 src0=1 src1=1 src2=1
	v_mul_i32_i24_e32 v160 /*v416*/, v61 /*v317*/, v0 /*v256*/
	v_mul_i32_i24_e32 v62 /*v318*/, v62 /*v318*/, v59 /*v315*/
	;; [unrolled: 1-line block ×3, first 2 shown]
	s_delay_alu instid0(VALU_DEP_3)
	v_add3_u32 v125 /*v381*/, v125 /*v381*/, v159 /*v415*/, v160 /*v416*/
	s_set_vgpr_msb 64                       ;  msbs: dst=1 src0=0 src1=0 src2=0
	v_mul_i32_i24_e32 v159 /*v415*/, v8, v193
	s_set_vgpr_msb 0x55                     ;  msbs: dst=1 src0=1 src1=1 src2=1
	v_add3_u32 v61 /*v317*/, v128 /*v384*/, v62 /*v318*/, v61 /*v317*/
	v_mul_i32_i24_e32 v62 /*v318*/, v67 /*v323*/, v59 /*v315*/
	v_mul_i32_i24_e32 v128 /*v384*/, v68 /*v324*/, v53 /*v309*/
	s_set_vgpr_msb 0x41                     ;  msbs: dst=1 src0=1 src1=0 src2=0
	v_mul_i32_i24_e32 v67 /*v323*/, v67 /*v323*/, v255
	s_set_vgpr_msb 0x45                     ;  msbs: dst=1 src0=1 src1=1 src2=0
	v_mul_i32_i24_e32 v68 /*v324*/, v68 /*v324*/, v0 /*v256*/
	s_set_vgpr_msb 0                        ;  msbs: dst=0 src0=0 src1=0 src2=0
	v_mul_i32_i24_e32 v8, v8, v236
	s_set_vgpr_msb 0x41                     ;  msbs: dst=1 src0=1 src1=0 src2=0
	v_mul_i32_i24_e32 v160 /*v416*/, v155 /*v411*/, v147
	s_set_vgpr_msb 0x55                     ;  msbs: dst=1 src0=1 src1=1 src2=1
	v_add3_u32 v62 /*v318*/, v129 /*v385*/, v62 /*v318*/, v128 /*v384*/
	v_mul_i32_i24_e32 v128 /*v384*/, v75 /*v331*/, v59 /*v315*/
	v_mul_i32_i24_e32 v129 /*v385*/, v76 /*v332*/, v53 /*v309*/
	v_add3_u32 v67 /*v323*/, v131 /*v387*/, v67 /*v323*/, v68 /*v324*/
	s_set_vgpr_msb 64                       ;  msbs: dst=1 src0=0 src1=0 src2=0
	v_mul_i32_i24_e32 v68 /*v324*/, v2, v193
	s_set_vgpr_msb 0x41                     ;  msbs: dst=1 src0=1 src1=0 src2=0
	v_mul_i32_i24_e32 v75 /*v331*/, v75 /*v331*/, v255
	s_set_vgpr_msb 0x55                     ;  msbs: dst=1 src0=1 src1=1 src2=1
	v_mul_i32_i24_e32 v76 /*v332*/, v76 /*v332*/, v0 /*v256*/
	v_add3_u32 v128 /*v384*/, v130 /*v386*/, v128 /*v384*/, v129 /*v385*/
	s_set_vgpr_msb 0x41                     ;  msbs: dst=1 src0=1 src1=0 src2=0
	v_mul_i32_i24_e32 v129 /*v385*/, v156 /*v412*/, v147
	s_set_vgpr_msb 0                        ;  msbs: dst=0 src0=0 src1=0 src2=0
	v_mul_i32_i24_e32 v2, v2, v236
	s_set_vgpr_msb 0x55                     ;  msbs: dst=1 src0=1 src1=1 src2=1
	v_add3_u32 v126 /*v382*/, v126 /*v382*/, v159 /*v415*/, v160 /*v416*/
	v_add3_u32 v75 /*v331*/, v133 /*v389*/, v75 /*v331*/, v76 /*v332*/
	s_set_vgpr_msb 0x41                     ;  msbs: dst=1 src0=1 src1=0 src2=0
	v_mul_i32_i24_e32 v76 /*v332*/, v95 /*v351*/, v193
	s_set_vgpr_msb 0x55                     ;  msbs: dst=1 src0=1 src1=1 src2=1
	v_add3_u32 v68 /*v324*/, v132 /*v388*/, v68 /*v324*/, v129 /*v385*/
	s_set_vgpr_msb 0x41                     ;  msbs: dst=1 src0=1 src1=0 src2=0
	v_mul_i32_i24_e32 v129 /*v385*/, v158 /*v414*/, v147
	s_set_vgpr_msb 0x55                     ;  msbs: dst=1 src0=1 src1=1 src2=1
	s_delay_alu instid0(VALU_DEP_1) | instskip(SKIP_2) | instid1(VALU_DEP_1)
	v_add3_u32 v76 /*v332*/, v134 /*v390*/, v76 /*v332*/, v129 /*v385*/
	v_mul_i32_i24_e32 v129 /*v385*/, v155 /*v411*/, v60 /*v316*/
	s_set_vgpr_msb 0x51                     ;  msbs: dst=1 src0=1 src1=0 src2=1
	v_add3_u32 v65 /*v321*/, v65 /*v321*/, v8, v129 /*v385*/
	s_set_vgpr_msb 5                        ;  msbs: dst=0 src0=1 src1=1 src2=0
	v_mul_i32_i24_e32 v8, v156 /*v412*/, v60 /*v316*/
	s_set_vgpr_msb 0x41                     ;  msbs: dst=1 src0=1 src1=0 src2=0
	s_delay_alu instid0(VALU_DEP_1)
	v_add3_u32 v36 /*v292*/, v36 /*v292*/, v2, v8
	s_set_vgpr_msb 1                        ;  msbs: dst=0 src0=1 src1=0 src2=0
	v_mul_i32_i24_e32 v2, v95 /*v351*/, v236
	s_set_vgpr_msb 5                        ;  msbs: dst=0 src0=1 src1=1 src2=0
	v_mul_i32_i24_e32 v8, v158 /*v414*/, v60 /*v316*/
	s_set_vgpr_msb 0x41                     ;  msbs: dst=1 src0=1 src1=0 src2=0
	s_delay_alu instid0(VALU_DEP_1)
	v_add3_u32 v40 /*v296*/, v40 /*v296*/, v2, v8
	s_set_vgpr_msb 0                        ;  msbs: dst=0 src0=0 src1=0 src2=0
	v_bfe_u32 v2, v154, 4, 4
	s_set_vgpr_msb 5                        ;  msbs: dst=0 src0=1 src1=1 src2=0
	v_add_nc_u32_e32 v8, v46 /*v302*/, v42 /*v298*/
	s_set_vgpr_msb 0x45                     ;  msbs: dst=1 src0=1 src1=1 src2=0
	v_mul_i32_i24_e32 v46 /*v302*/, v73 /*v329*/, v46 /*v302*/
	s_set_vgpr_msb 64                       ;  msbs: dst=1 src0=0 src1=0 src2=0
	v_mul_lo_u32 v95 /*v351*/, 0x1010101, v2
	s_set_vgpr_msb 5                        ;  msbs: dst=0 src0=1 src1=1 src2=0
	v_add_nc_u32_e32 v2, v1 /*v257*/, v43 /*v299*/
	s_set_vgpr_msb 64                       ;  msbs: dst=1 src0=0 src1=0 src2=0
	v_add3_u32 v43 /*v299*/, v8, v209, v114
	s_set_vgpr_msb 0x55                     ;  msbs: dst=1 src0=1 src1=1 src2=1
	v_add3_u32 v45 /*v301*/, v143 /*v399*/, v45 /*v301*/, v46 /*v302*/
	s_set_vgpr_msb 64                       ;  msbs: dst=1 src0=0 src1=0 src2=0
	v_add3_u32 v42 /*v298*/, v2, v175, v58
	s_set_vgpr_msb 0x41                     ;  msbs: dst=1 src0=1 src1=0 src2=0
	v_bfe_i32 v129 /*v385*/, v95 /*v351*/, 16, 8
	v_bfe_i32 v130 /*v386*/, v95 /*v351*/, 8, 8
	;; [unrolled: 1-line block ×3, first 2 shown]
	s_set_vgpr_msb 5                        ;  msbs: dst=0 src0=1 src1=1 src2=0
	s_delay_alu instid0(VALU_DEP_3) | instskip(NEXT) | instid1(VALU_DEP_3)
	v_mul_i32_i24_e32 v2, v42 /*v298*/, v129 /*v385*/
	v_mul_i32_i24_e32 v8, v43 /*v299*/, v130 /*v386*/
	s_set_vgpr_msb 0x45                     ;  msbs: dst=1 src0=1 src1=1 src2=0
	v_mul_i32_i24_e32 v132 /*v388*/, v35 /*v291*/, v131 /*v387*/
	s_set_vgpr_msb 0x44                     ;  msbs: dst=1 src0=0 src1=1 src2=0
	s_delay_alu instid0(VALU_DEP_1) | instskip(SKIP_3) | instid1(VALU_DEP_1)
	v_add3_u32 v132 /*v388*/, v8, v132 /*v388*/, v2
	s_set_vgpr_msb 0                        ;  msbs: dst=0 src0=0 src1=0 src2=0
	v_bfe_u32 v2, v153, 4, 4
	s_set_vgpr_msb 0x41                     ;  msbs: dst=1 src0=1 src1=0 src2=0
	v_mul_lo_u32 v133 /*v389*/, 0x1010101, v2
	s_delay_alu instid0(VALU_DEP_1) | instskip(SKIP_3) | instid1(VALU_DEP_3)
	v_bfe_i32 v134 /*v390*/, v133 /*v389*/, 16, 8
	v_bfe_i32 v155 /*v411*/, v133 /*v389*/, 8, 8
	;; [unrolled: 1-line block ×3, first 2 shown]
	s_set_vgpr_msb 5                        ;  msbs: dst=0 src0=1 src1=1 src2=0
	v_mul_i32_i24_e32 v2, v42 /*v298*/, v134 /*v390*/
	s_delay_alu instid0(VALU_DEP_3) | instskip(SKIP_3) | instid1(VALU_DEP_1)
	v_mul_i32_i24_e32 v8, v43 /*v299*/, v155 /*v411*/
	s_set_vgpr_msb 0x45                     ;  msbs: dst=1 src0=1 src1=1 src2=0
	v_mul_i32_i24_e32 v158 /*v414*/, v35 /*v291*/, v156 /*v412*/
	s_set_vgpr_msb 0x44                     ;  msbs: dst=1 src0=0 src1=1 src2=0
	v_add3_u32 v158 /*v414*/, v8, v158 /*v414*/, v2
	s_set_vgpr_msb 20                       ;  msbs: dst=0 src0=0 src1=1 src2=1
	v_add3_u32 v2, s19, v207 /*v463*/, v190 /*v446*/
	ds_load_u16 v8, v2
	s_wait_dscnt 0x0
	v_bfe_u32 v2, v8, 4, 4
	s_set_vgpr_msb 64                       ;  msbs: dst=1 src0=0 src1=0 src2=0
	s_delay_alu instid0(VALU_DEP_1) | instskip(SKIP_3) | instid1(VALU_DEP_1)
	v_mul_lo_u32 v159 /*v415*/, 0x1010101, v2
	s_set_vgpr_msb 5                        ;  msbs: dst=0 src0=1 src1=1 src2=0
	v_add_nc_u32_e32 v2, v3 /*v259*/, v49 /*v305*/
	s_set_vgpr_msb 64                       ;  msbs: dst=1 src0=0 src1=0 src2=0
	v_add3_u32 v49 /*v305*/, v2, v177, v61
	s_set_vgpr_msb 0x41                     ;  msbs: dst=1 src0=1 src1=0 src2=0
	s_delay_alu instid0(VALU_DEP_3) | instskip(SKIP_3) | instid1(VALU_DEP_3)
	v_bfe_i32 v160 /*v416*/, v159 /*v415*/, 16, 8
	v_bfe_i32 v161 /*v417*/, v159 /*v415*/, 8, 8
	;; [unrolled: 1-line block ×3, first 2 shown]
	s_set_vgpr_msb 5                        ;  msbs: dst=0 src0=1 src1=1 src2=0
	v_mul_i32_i24_e32 v2, v49 /*v305*/, v160 /*v416*/
	s_set_vgpr_msb 0x45                     ;  msbs: dst=1 src0=1 src1=1 src2=0
	v_mul_i32_i24_e32 v163 /*v419*/, v48 /*v304*/, v161 /*v417*/
	v_mul_i32_i24_e32 v164 /*v420*/, v47 /*v303*/, v162 /*v418*/
	s_delay_alu instid0(VALU_DEP_1) | instskip(SKIP_3) | instid1(VALU_DEP_1)
	v_add3_u32 v163 /*v419*/, v163 /*v419*/, v164 /*v420*/, v2
	s_set_vgpr_msb 0                        ;  msbs: dst=0 src0=0 src1=0 src2=0
	v_ashrrev_i32_e32 v2, s18, v6
	s_set_vgpr_msb 64                       ;  msbs: dst=1 src0=0 src1=0 src2=0
	v_and_b32_e32 v164 /*v420*/, 3, v2
	s_set_vgpr_msb 5                        ;  msbs: dst=0 src0=1 src1=1 src2=0
	s_delay_alu instid0(VALU_DEP_1) | instskip(SKIP_1) | instid1(VALU_DEP_1)
	v_mul_i32_i24_e32 v6, v164 /*v420*/, v10 /*v266*/
	s_set_vgpr_msb 0x51                     ;  msbs: dst=1 src0=1 src1=0 src2=1
	v_add3_u32 v135 /*v391*/, v135 /*v391*/, v6, v137 /*v393*/
	s_set_vgpr_msb 4                        ;  msbs: dst=0 src0=0 src1=1 src2=0
	v_and_b32_e32 v6, 3, v39 /*v295*/
	s_set_vgpr_msb 0x41                     ;  msbs: dst=1 src0=1 src1=0 src2=0
	v_bfe_u32 v137 /*v393*/, v39 /*v295*/, 8, 2
	s_set_vgpr_msb 64                       ;  msbs: dst=1 src0=0 src1=0 src2=0
	s_delay_alu instid0(VALU_DEP_2) | instskip(SKIP_1) | instid1(VALU_DEP_2)
	v_mul_i32_i24_e32 v46 /*v302*/, v6, v225
	s_set_vgpr_msb 0x41                     ;  msbs: dst=1 src0=1 src1=0 src2=0
	v_mul_i32_i24_e32 v143 /*v399*/, v137 /*v393*/, v223
	s_set_vgpr_msb 64                       ;  msbs: dst=1 src0=0 src1=0 src2=0
	v_mul_i32_i24_e32 v165 /*v421*/, v6, v204
	s_set_vgpr_msb 0x41                     ;  msbs: dst=1 src0=1 src1=0 src2=0
	v_mul_i32_i24_e32 v166 /*v422*/, v137 /*v393*/, v205
	s_set_vgpr_msb 64                       ;  msbs: dst=1 src0=0 src1=0 src2=0
	v_mul_i32_i24_e32 v52 /*v308*/, v6, v243
	s_set_vgpr_msb 0x41                     ;  msbs: dst=1 src0=1 src1=0 src2=0
	v_mul_i32_i24_e32 v147 /*v403*/, v137 /*v393*/, v228
	s_set_vgpr_msb 0x55                     ;  msbs: dst=1 src0=1 src1=1 src2=1
	v_add3_u32 v46 /*v302*/, v144 /*v400*/, v46 /*v302*/, v143 /*v399*/
	s_set_vgpr_msb 0x41                     ;  msbs: dst=1 src0=1 src1=0 src2=0
	v_mul_i32_i24_e32 v143 /*v399*/, v72 /*v328*/, v255
	s_set_vgpr_msb 0x55                     ;  msbs: dst=1 src0=1 src1=1 src2=1
	v_mul_i32_i24_e32 v144 /*v400*/, v73 /*v329*/, v0 /*v256*/
	v_add3_u32 v136 /*v392*/, v136 /*v392*/, v165 /*v421*/, v166 /*v422*/
	v_mul_i32_i24_e32 v165 /*v421*/, v72 /*v328*/, v18 /*v274*/
	v_mul_i32_i24_e32 v166 /*v422*/, v73 /*v329*/, v19 /*v275*/
	s_set_vgpr_msb 0                        ;  msbs: dst=0 src0=0 src1=0 src2=0
	v_add3_u32 v204, v171, v197, v48
	s_set_vgpr_msb 0x55                     ;  msbs: dst=1 src0=1 src1=1 src2=1
	v_add3_u32 v143 /*v399*/, v145 /*v401*/, v143 /*v399*/, v144 /*v400*/
	s_set_vgpr_msb 64                       ;  msbs: dst=1 src0=0 src1=0 src2=0
	v_mul_i32_i24_e32 v144 /*v400*/, v6, v193
	s_set_vgpr_msb 0x41                     ;  msbs: dst=1 src0=1 src1=0 src2=0
	v_mul_i32_i24_e32 v145 /*v401*/, v137 /*v393*/, v147
	s_set_vgpr_msb 0x55                     ;  msbs: dst=1 src0=1 src1=1 src2=1
	v_add3_u32 v140 /*v396*/, v140 /*v396*/, v165 /*v421*/, v166 /*v422*/
	s_set_vgpr_msb 64                       ;  msbs: dst=1 src0=0 src1=0 src2=0
	v_mul_i32_i24_e32 v165 /*v421*/, v6, v218
	s_set_vgpr_msb 0x41                     ;  msbs: dst=1 src0=1 src1=0 src2=0
	v_mul_i32_i24_e32 v166 /*v422*/, v137 /*v393*/, v219
	s_set_vgpr_msb 0                        ;  msbs: dst=0 src0=0 src1=0 src2=0
	v_add3_u32 v205, v174, v196, v47
	s_set_vgpr_msb 0x55                     ;  msbs: dst=1 src0=1 src1=1 src2=1
	v_add3_u32 v144 /*v400*/, v146 /*v402*/, v144 /*v400*/, v145 /*v401*/
	s_set_vgpr_msb 0x41                     ;  msbs: dst=1 src0=1 src1=0 src2=0
	v_mul_i32_i24_e32 v145 /*v401*/, v137 /*v393*/, v242
	s_set_vgpr_msb 0x55                     ;  msbs: dst=1 src0=1 src1=1 src2=1
	v_mul_i32_i24_e32 v146 /*v402*/, v73 /*v329*/, v27 /*v283*/
	v_add3_u32 v141 /*v397*/, v141 /*v397*/, v165 /*v421*/, v166 /*v422*/
	v_mul_i32_i24_e32 v165 /*v421*/, v72 /*v328*/, v33 /*v289*/
	v_mul_i32_i24_e32 v166 /*v422*/, v73 /*v329*/, v34 /*v290*/
	v_add3_u32 v52 /*v308*/, v148 /*v404*/, v52 /*v308*/, v145 /*v401*/
	v_mul_i32_i24_e32 v145 /*v401*/, v72 /*v328*/, v26 /*v282*/
	v_mul_i32_i24_e32 v72 /*v328*/, v72 /*v328*/, v59 /*v315*/
	;; [unrolled: 1-line block ×3, first 2 shown]
	s_set_vgpr_msb 0x41                     ;  msbs: dst=1 src0=1 src1=0 src2=0
	v_mul_i32_i24_e32 v148 /*v404*/, v137 /*v393*/, v235
	s_set_vgpr_msb 0x55                     ;  msbs: dst=1 src0=1 src1=1 src2=1
	v_add3_u32 v142 /*v398*/, v142 /*v398*/, v165 /*v421*/, v166 /*v422*/
	v_add3_u32 v145 /*v401*/, v149 /*v405*/, v145 /*v401*/, v146 /*v402*/
	s_set_vgpr_msb 64                       ;  msbs: dst=1 src0=0 src1=0 src2=0
	v_mul_i32_i24_e32 v146 /*v402*/, v6, v227
	s_set_vgpr_msb 0x55                     ;  msbs: dst=1 src0=1 src1=1 src2=1
	v_add3_u32 v72 /*v328*/, v152 /*v408*/, v72 /*v328*/, v73 /*v329*/
	v_mul_i32_i24_e32 v73 /*v329*/, v137 /*v393*/, v60 /*v316*/
	s_set_vgpr_msb 0                        ;  msbs: dst=0 src0=0 src1=0 src2=0
	v_add_nc_u32_e32 v227, v227, v172
	v_lshrrev_b16 v172, 8, v154
	s_set_vgpr_msb 0x55                     ;  msbs: dst=1 src0=1 src1=1 src2=1
	v_add3_u32 v146 /*v402*/, v150 /*v406*/, v146 /*v402*/, v147 /*v403*/
	s_set_vgpr_msb 64                       ;  msbs: dst=1 src0=0 src1=0 src2=0
	v_mul_i32_i24_e32 v147 /*v403*/, v6, v234
	s_set_vgpr_msb 0                        ;  msbs: dst=0 src0=0 src1=0 src2=0
	v_mul_i32_i24_e32 v6, v6, v236
	v_add3_u32 v227, v227, v188, v107
	v_and_b32_e32 v228, 0xffff, v172
	s_set_vgpr_msb 0x55                     ;  msbs: dst=1 src0=1 src1=1 src2=1
	v_add3_u32 v147 /*v403*/, v151 /*v407*/, v147 /*v403*/, v148 /*v404*/
	s_set_vgpr_msb 0x51                     ;  msbs: dst=1 src0=1 src1=0 src2=1
	v_add3_u32 v38 /*v294*/, v38 /*v294*/, v6, v73 /*v329*/
	s_set_vgpr_msb 4                        ;  msbs: dst=0 src0=0 src1=1 src2=0
	v_mul_i32_i24_e32 v6, v12, v84 /*v340*/
	s_set_vgpr_msb 0x44                     ;  msbs: dst=1 src0=0 src1=1 src2=0
	v_mul_i32_i24_e32 v73 /*v329*/, v13, v86 /*v342*/
	s_set_vgpr_msb 0x41                     ;  msbs: dst=1 src0=1 src1=0 src2=0
	v_bfe_u32 v84 /*v340*/, v154 /*v410*/, 24, 2
	s_set_vgpr_msb 0                        ;  msbs: dst=0 src0=0 src1=0 src2=0
	v_lshrrev_b32_e32 v228, 4, v228
	s_set_vgpr_msb 0x51                     ;  msbs: dst=1 src0=1 src1=0 src2=1
	v_add3_u32 v73 /*v329*/, v153 /*v409*/, v6, v73 /*v329*/
	s_set_vgpr_msb 1                        ;  msbs: dst=0 src0=1 src1=0 src2=0
	v_bfe_u32 v6, v154 /*v410*/, 16, 2
	s_set_vgpr_msb 0x41                     ;  msbs: dst=1 src0=1 src1=0 src2=0
	v_mul_i32_i24_e32 v137 /*v393*/, v84 /*v340*/, v138
	s_set_vgpr_msb 0                        ;  msbs: dst=0 src0=0 src1=0 src2=0
	v_mul_lo_u32 v228, 0x1010101, v228
	s_set_vgpr_msb 64                       ;  msbs: dst=1 src0=0 src1=0 src2=0
	v_mul_i32_i24_e32 v86 /*v342*/, v6, v53
	s_set_vgpr_msb 0x55                     ;  msbs: dst=1 src0=1 src1=1 src2=1
	s_delay_alu instid0(VALU_DEP_1) | instskip(SKIP_4) | instid1(VALU_DEP_1)
	v_add3_u32 v66 /*v322*/, v66 /*v322*/, v86 /*v342*/, v137 /*v393*/
	s_set_vgpr_msb 0x44                     ;  msbs: dst=1 src0=0 src1=1 src2=0
	v_mul_i32_i24_e32 v86 /*v342*/, v12, v90 /*v346*/
	v_mul_i32_i24_e32 v90 /*v346*/, v13, v92 /*v348*/
	s_set_vgpr_msb 0x55                     ;  msbs: dst=1 src0=1 src1=1 src2=1
	v_add3_u32 v71 /*v327*/, v71 /*v327*/, v86 /*v342*/, v90 /*v346*/
	v_bfe_u32 v86 /*v342*/, v37 /*v293*/, 16, 2
	v_bfe_u32 v37 /*v293*/, v37 /*v293*/, 24, 2
	s_set_vgpr_msb 0x41                     ;  msbs: dst=1 src0=1 src1=0 src2=0
	s_delay_alu instid0(VALU_DEP_2) | instskip(NEXT) | instid1(VALU_DEP_2)
	v_mul_i32_i24_e32 v90 /*v346*/, v86 /*v342*/, v53
	v_mul_i32_i24_e32 v92 /*v348*/, v37 /*v293*/, v138
	s_set_vgpr_msb 0x55                     ;  msbs: dst=1 src0=1 src1=1 src2=1
	s_delay_alu instid0(VALU_DEP_1) | instskip(SKIP_4) | instid1(VALU_DEP_1)
	v_add3_u32 v74 /*v330*/, v74 /*v330*/, v90 /*v346*/, v92 /*v348*/
	s_set_vgpr_msb 0x44                     ;  msbs: dst=1 src0=0 src1=1 src2=0
	v_mul_i32_i24_e32 v90 /*v346*/, v12, v96 /*v352*/
	v_mul_i32_i24_e32 v92 /*v348*/, v13, v98 /*v354*/
	s_set_vgpr_msb 0x55                     ;  msbs: dst=1 src0=1 src1=1 src2=1
	v_add3_u32 v79 /*v335*/, v79 /*v335*/, v90 /*v346*/, v92 /*v348*/
	v_bfe_u32 v90 /*v346*/, v41 /*v297*/, 16, 2
	v_bfe_u32 v41 /*v297*/, v41 /*v297*/, 24, 2
	s_set_vgpr_msb 0x41                     ;  msbs: dst=1 src0=1 src1=0 src2=0
	s_delay_alu instid0(VALU_DEP_2) | instskip(NEXT) | instid1(VALU_DEP_2)
	v_mul_i32_i24_e32 v92 /*v348*/, v90 /*v346*/, v53
	v_mul_i32_i24_e32 v96 /*v352*/, v41 /*v297*/, v138
	v_mul_i32_i24_e32 v98 /*v354*/, v41 /*v297*/, v158
	s_set_vgpr_msb 0x55                     ;  msbs: dst=1 src0=1 src1=1 src2=1
	s_delay_alu instid0(VALU_DEP_2) | instskip(SKIP_4) | instid1(VALU_DEP_1)
	v_add3_u32 v82 /*v338*/, v82 /*v338*/, v92 /*v348*/, v96 /*v352*/
	s_set_vgpr_msb 0x41                     ;  msbs: dst=1 src0=1 src1=0 src2=0
	v_mul_i32_i24_e32 v92 /*v348*/, v63 /*v319*/, v66
	v_mul_i32_i24_e32 v96 /*v352*/, v64 /*v320*/, v67
	s_set_vgpr_msb 0x55                     ;  msbs: dst=1 src0=1 src1=1 src2=1
	v_add3_u32 v87 /*v343*/, v87 /*v343*/, v92 /*v348*/, v96 /*v352*/
	s_set_vgpr_msb 64                       ;  msbs: dst=1 src0=0 src1=0 src2=0
	v_mul_i32_i24_e32 v92 /*v348*/, v6, v157
	s_set_vgpr_msb 0x41                     ;  msbs: dst=1 src0=1 src1=0 src2=0
	v_mul_i32_i24_e32 v96 /*v352*/, v84 /*v340*/, v158
	s_set_vgpr_msb 0x55                     ;  msbs: dst=1 src0=1 src1=1 src2=1
	s_delay_alu instid0(VALU_DEP_1) | instskip(SKIP_4) | instid1(VALU_DEP_1)
	v_add3_u32 v88 /*v344*/, v88 /*v344*/, v92 /*v348*/, v96 /*v352*/
	s_set_vgpr_msb 0x41                     ;  msbs: dst=1 src0=1 src1=0 src2=0
	v_mul_i32_i24_e32 v92 /*v348*/, v69 /*v325*/, v66
	v_mul_i32_i24_e32 v96 /*v352*/, v70 /*v326*/, v67
	s_set_vgpr_msb 0x55                     ;  msbs: dst=1 src0=1 src1=1 src2=1
	v_add3_u32 v92 /*v348*/, v93 /*v349*/, v92 /*v348*/, v96 /*v352*/
	s_set_vgpr_msb 0x41                     ;  msbs: dst=1 src0=1 src1=0 src2=0
	v_mul_i32_i24_e32 v93 /*v349*/, v86 /*v342*/, v157
	v_mul_i32_i24_e32 v96 /*v352*/, v37 /*v293*/, v158
	s_set_vgpr_msb 0x55                     ;  msbs: dst=1 src0=1 src1=1 src2=1
	s_delay_alu instid0(VALU_DEP_1)
	v_add3_u32 v93 /*v349*/, v94 /*v350*/, v93 /*v349*/, v96 /*v352*/
	s_set_vgpr_msb 0x41                     ;  msbs: dst=1 src0=1 src1=0 src2=0
	v_mul_i32_i24_e32 v94 /*v350*/, v77 /*v333*/, v66
	v_mul_i32_i24_e32 v96 /*v352*/, v78 /*v334*/, v67
	s_set_vgpr_msb 1                        ;  msbs: dst=0 src0=1 src1=0 src2=0
	v_mul_i32_i24_e32 v66, v80 /*v336*/, v66
	s_set_vgpr_msb 0x55                     ;  msbs: dst=1 src0=1 src1=1 src2=1
	s_delay_alu instid0(VALU_DEP_2) | instskip(SKIP_4) | instid1(VALU_DEP_2)
	v_add3_u32 v94 /*v350*/, v99 /*v355*/, v94 /*v350*/, v96 /*v352*/
	s_set_vgpr_msb 0x41                     ;  msbs: dst=1 src0=1 src1=0 src2=0
	v_mul_i32_i24_e32 v96 /*v352*/, v90 /*v346*/, v157
	v_mul_i32_i24_e32 v99 /*v355*/, v64 /*v320*/, v250
	s_set_vgpr_msb 0x55                     ;  msbs: dst=1 src0=1 src1=1 src2=1
	v_add3_u32 v96 /*v352*/, v100 /*v356*/, v96 /*v352*/, v98 /*v354*/
	s_set_vgpr_msb 0x41                     ;  msbs: dst=1 src0=1 src1=0 src2=0
	v_mul_i32_i24_e32 v98 /*v354*/, v63 /*v319*/, v249
	v_mul_i32_i24_e32 v100 /*v356*/, v70 /*v326*/, v250
	s_set_vgpr_msb 0x55                     ;  msbs: dst=1 src0=1 src1=1 src2=1
	s_delay_alu instid0(VALU_DEP_2) | instskip(SKIP_4) | instid1(VALU_DEP_2)
	v_add3_u32 v98 /*v354*/, v101 /*v357*/, v98 /*v354*/, v99 /*v355*/
	s_set_vgpr_msb 0x41                     ;  msbs: dst=1 src0=1 src1=0 src2=0
	v_mul_i32_i24_e32 v99 /*v355*/, v69 /*v325*/, v249
	v_mul_i32_i24_e32 v101 /*v357*/, v78 /*v334*/, v250
	s_set_vgpr_msb 0x55                     ;  msbs: dst=1 src0=1 src1=1 src2=1
	v_add3_u32 v99 /*v355*/, v102 /*v358*/, v99 /*v355*/, v100 /*v356*/
	s_set_vgpr_msb 0x41                     ;  msbs: dst=1 src0=1 src1=0 src2=0
	v_mul_i32_i24_e32 v100 /*v356*/, v77 /*v333*/, v249
	s_set_vgpr_msb 0x45                     ;  msbs: dst=1 src0=1 src1=1 src2=0
	v_mul_i32_i24_e32 v102 /*v358*/, v64 /*v320*/, v2 /*v258*/
	s_set_vgpr_msb 1                        ;  msbs: dst=0 src0=1 src1=0 src2=0
	v_mul_i32_i24_e32 v249, v80 /*v336*/, v249
	s_set_vgpr_msb 0x55                     ;  msbs: dst=1 src0=1 src1=1 src2=1
	v_add3_u32 v100 /*v356*/, v103 /*v359*/, v100 /*v356*/, v101 /*v357*/
	v_mul_i32_i24_e32 v101 /*v357*/, v63 /*v319*/, v1 /*v257*/
	v_mul_i32_i24_e32 v103 /*v359*/, v70 /*v326*/, v2 /*v258*/
	s_delay_alu instid0(VALU_DEP_2) | instskip(SKIP_2) | instid1(VALU_DEP_2)
	v_add3_u32 v101 /*v357*/, v104 /*v360*/, v101 /*v357*/, v102 /*v358*/
	v_mul_i32_i24_e32 v102 /*v358*/, v69 /*v325*/, v1 /*v257*/
	v_mul_i32_i24_e32 v104 /*v360*/, v78 /*v334*/, v2 /*v258*/
	v_add3_u32 v102 /*v358*/, v106 /*v362*/, v102 /*v358*/, v103 /*v359*/
	v_mul_i32_i24_e32 v103 /*v359*/, v77 /*v333*/, v1 /*v257*/
	s_set_vgpr_msb 0x41                     ;  msbs: dst=1 src0=1 src1=0 src2=0
	v_mul_i32_i24_e32 v106 /*v362*/, v84 /*v340*/, v163
	s_set_vgpr_msb 0x55                     ;  msbs: dst=1 src0=1 src1=1 src2=1
	s_delay_alu instid0(VALU_DEP_2) | instskip(SKIP_4) | instid1(VALU_DEP_2)
	v_add3_u32 v103 /*v359*/, v108 /*v364*/, v103 /*v359*/, v104 /*v360*/
	s_set_vgpr_msb 64                       ;  msbs: dst=1 src0=0 src1=0 src2=0
	v_mul_i32_i24_e32 v104 /*v360*/, v6, v164
	s_set_vgpr_msb 0x55                     ;  msbs: dst=1 src0=1 src1=1 src2=1
	v_mul_i32_i24_e32 v108 /*v364*/, v64 /*v320*/, v4 /*v260*/
	v_add3_u32 v104 /*v360*/, v105 /*v361*/, v104 /*v360*/, v106 /*v362*/
	s_set_vgpr_msb 0x41                     ;  msbs: dst=1 src0=1 src1=0 src2=0
	v_mul_i32_i24_e32 v105 /*v361*/, v86 /*v342*/, v164
	v_mul_i32_i24_e32 v106 /*v362*/, v37 /*v293*/, v163
	s_set_vgpr_msb 0x55                     ;  msbs: dst=1 src0=1 src1=1 src2=1
	s_delay_alu instid0(VALU_DEP_1) | instskip(SKIP_4) | instid1(VALU_DEP_1)
	v_add3_u32 v105 /*v361*/, v107 /*v363*/, v105 /*v361*/, v106 /*v362*/
	s_set_vgpr_msb 0x41                     ;  msbs: dst=1 src0=1 src1=0 src2=0
	v_mul_i32_i24_e32 v106 /*v362*/, v90 /*v346*/, v164
	v_mul_i32_i24_e32 v107 /*v363*/, v41 /*v297*/, v163
	s_set_vgpr_msb 0x55                     ;  msbs: dst=1 src0=1 src1=1 src2=1
	v_add3_u32 v106 /*v362*/, v109 /*v365*/, v106 /*v362*/, v107 /*v363*/
	v_mul_i32_i24_e32 v107 /*v363*/, v63 /*v319*/, v3 /*v259*/
	s_set_vgpr_msb 0x41                     ;  msbs: dst=1 src0=1 src1=0 src2=0
	v_mul_i32_i24_e32 v109 /*v365*/, v84 /*v340*/, v192
	s_set_vgpr_msb 0x55                     ;  msbs: dst=1 src0=1 src1=1 src2=1
	s_delay_alu instid0(VALU_DEP_2) | instskip(SKIP_4) | instid1(VALU_DEP_2)
	v_add3_u32 v107 /*v363*/, v110 /*v366*/, v107 /*v363*/, v108 /*v364*/
	s_set_vgpr_msb 64                       ;  msbs: dst=1 src0=0 src1=0 src2=0
	v_mul_i32_i24_e32 v108 /*v364*/, v6, v195
	s_set_vgpr_msb 0x55                     ;  msbs: dst=1 src0=1 src1=1 src2=1
	v_mul_i32_i24_e32 v110 /*v366*/, v70 /*v326*/, v4 /*v260*/
	v_add3_u32 v108 /*v364*/, v111 /*v367*/, v108 /*v364*/, v109 /*v365*/
	v_mul_i32_i24_e32 v109 /*v365*/, v69 /*v325*/, v3 /*v259*/
	s_set_vgpr_msb 0x41                     ;  msbs: dst=1 src0=1 src1=0 src2=0
	v_mul_i32_i24_e32 v111 /*v367*/, v37 /*v293*/, v192
	s_set_vgpr_msb 0x55                     ;  msbs: dst=1 src0=1 src1=1 src2=1
	s_delay_alu instid0(VALU_DEP_2) | instskip(SKIP_4) | instid1(VALU_DEP_2)
	v_add3_u32 v109 /*v365*/, v112 /*v368*/, v109 /*v365*/, v110 /*v366*/
	s_set_vgpr_msb 0x41                     ;  msbs: dst=1 src0=1 src1=0 src2=0
	v_mul_i32_i24_e32 v110 /*v366*/, v86 /*v342*/, v195
	s_set_vgpr_msb 0x55                     ;  msbs: dst=1 src0=1 src1=1 src2=1
	v_mul_i32_i24_e32 v112 /*v368*/, v78 /*v334*/, v4 /*v260*/
	v_add3_u32 v110 /*v366*/, v113 /*v369*/, v110 /*v366*/, v111 /*v367*/
	v_mul_i32_i24_e32 v111 /*v367*/, v77 /*v333*/, v3 /*v259*/
	s_set_vgpr_msb 0x41                     ;  msbs: dst=1 src0=1 src1=0 src2=0
	v_mul_i32_i24_e32 v113 /*v369*/, v41 /*v297*/, v192
	s_set_vgpr_msb 0x55                     ;  msbs: dst=1 src0=1 src1=1 src2=1
	s_delay_alu instid0(VALU_DEP_2) | instskip(SKIP_4) | instid1(VALU_DEP_2)
	v_add3_u32 v111 /*v367*/, v114 /*v370*/, v111 /*v367*/, v112 /*v368*/
	s_set_vgpr_msb 0x41                     ;  msbs: dst=1 src0=1 src1=0 src2=0
	v_mul_i32_i24_e32 v112 /*v368*/, v90 /*v346*/, v195
	v_mul_i32_i24_e32 v114 /*v370*/, v64 /*v320*/, v247
	s_set_vgpr_msb 0x55                     ;  msbs: dst=1 src0=1 src1=1 src2=1
	v_add3_u32 v112 /*v368*/, v115 /*v371*/, v112 /*v368*/, v113 /*v369*/
	s_set_vgpr_msb 0x41                     ;  msbs: dst=1 src0=1 src1=0 src2=0
	v_mul_i32_i24_e32 v113 /*v369*/, v63 /*v319*/, v246
	v_mul_i32_i24_e32 v115 /*v371*/, v70 /*v326*/, v247
	s_set_vgpr_msb 0x55                     ;  msbs: dst=1 src0=1 src1=1 src2=1
	s_delay_alu instid0(VALU_DEP_2) | instskip(SKIP_4) | instid1(VALU_DEP_2)
	v_add3_u32 v113 /*v369*/, v116 /*v372*/, v113 /*v369*/, v114 /*v370*/
	s_set_vgpr_msb 0x41                     ;  msbs: dst=1 src0=1 src1=0 src2=0
	v_mul_i32_i24_e32 v114 /*v370*/, v69 /*v325*/, v246
	v_mul_i32_i24_e32 v116 /*v372*/, v84 /*v340*/, v166
	s_set_vgpr_msb 0x55                     ;  msbs: dst=1 src0=1 src1=1 src2=1
	v_add3_u32 v114 /*v370*/, v117 /*v373*/, v114 /*v370*/, v115 /*v371*/
	s_set_vgpr_msb 64                       ;  msbs: dst=1 src0=0 src1=0 src2=0
	v_mul_i32_i24_e32 v115 /*v371*/, v6, v160
	s_set_vgpr_msb 0x41                     ;  msbs: dst=1 src0=1 src1=0 src2=0
	v_mul_i32_i24_e32 v117 /*v373*/, v37 /*v293*/, v166
	s_set_vgpr_msb 0x55                     ;  msbs: dst=1 src0=1 src1=1 src2=1
	s_delay_alu instid0(VALU_DEP_2) | instskip(SKIP_4) | instid1(VALU_DEP_2)
	v_add3_u32 v115 /*v371*/, v118 /*v374*/, v115 /*v371*/, v116 /*v372*/
	s_set_vgpr_msb 0x41                     ;  msbs: dst=1 src0=1 src1=0 src2=0
	v_mul_i32_i24_e32 v116 /*v372*/, v86 /*v342*/, v160
	v_mul_i32_i24_e32 v118 /*v374*/, v41 /*v297*/, v166
	s_set_vgpr_msb 0x55                     ;  msbs: dst=1 src0=1 src1=1 src2=1
	v_add3_u32 v116 /*v372*/, v119 /*v375*/, v116 /*v372*/, v117 /*v373*/
	s_set_vgpr_msb 0x41                     ;  msbs: dst=1 src0=1 src1=0 src2=0
	v_mul_i32_i24_e32 v117 /*v373*/, v90 /*v346*/, v160
	v_mul_i32_i24_e32 v119 /*v375*/, v37 /*v293*/, v186
	s_set_vgpr_msb 0x55                     ;  msbs: dst=1 src0=1 src1=1 src2=1
	s_delay_alu instid0(VALU_DEP_2) | instskip(SKIP_4) | instid1(VALU_DEP_2)
	v_add3_u32 v117 /*v373*/, v120 /*v376*/, v117 /*v373*/, v118 /*v374*/
	s_set_vgpr_msb 0x41                     ;  msbs: dst=1 src0=1 src1=0 src2=0
	v_mul_i32_i24_e32 v118 /*v374*/, v86 /*v342*/, v168
	v_mul_i32_i24_e32 v120 /*v376*/, v84 /*v340*/, v186
	s_set_vgpr_msb 0x55                     ;  msbs: dst=1 src0=1 src1=1 src2=1
	v_add3_u32 v118 /*v374*/, v121 /*v377*/, v118 /*v374*/, v119 /*v375*/
	s_set_vgpr_msb 64                       ;  msbs: dst=1 src0=0 src1=0 src2=0
	v_mul_i32_i24_e32 v119 /*v375*/, v6, v168
	s_set_vgpr_msb 0x41                     ;  msbs: dst=1 src0=1 src1=0 src2=0
	v_mul_i32_i24_e32 v121 /*v377*/, v78 /*v334*/, v247
	s_set_vgpr_msb 0x55                     ;  msbs: dst=1 src0=1 src1=1 src2=1
	s_delay_alu instid0(VALU_DEP_2)
	v_add3_u32 v119 /*v375*/, v122 /*v378*/, v119 /*v375*/, v120 /*v376*/
	s_set_vgpr_msb 0x41                     ;  msbs: dst=1 src0=1 src1=0 src2=0
	v_mul_i32_i24_e32 v120 /*v376*/, v77 /*v333*/, v246
	v_mul_i32_i24_e32 v122 /*v378*/, v41 /*v297*/, v186
	s_set_vgpr_msb 1                        ;  msbs: dst=0 src0=1 src1=0 src2=0
	v_mul_i32_i24_e32 v246, v80 /*v336*/, v246
	s_set_vgpr_msb 0x55                     ;  msbs: dst=1 src0=1 src1=1 src2=1
	v_add3_u32 v120 /*v376*/, v123 /*v379*/, v120 /*v376*/, v121 /*v377*/
	s_set_vgpr_msb 0x41                     ;  msbs: dst=1 src0=1 src1=0 src2=0
	v_mul_i32_i24_e32 v121 /*v377*/, v90 /*v346*/, v168
	v_mul_i32_i24_e32 v123 /*v379*/, v64 /*v320*/, v245
	s_set_vgpr_msb 0x55                     ;  msbs: dst=1 src0=1 src1=1 src2=1
	v_mul_i32_i24_e32 v64 /*v320*/, v64 /*v320*/, v11 /*v267*/
	s_delay_alu instid0(VALU_DEP_3)
	v_add3_u32 v121 /*v377*/, v124 /*v380*/, v121 /*v377*/, v122 /*v378*/
	s_set_vgpr_msb 0x41                     ;  msbs: dst=1 src0=1 src1=0 src2=0
	v_mul_i32_i24_e32 v122 /*v378*/, v63 /*v319*/, v244
	s_set_vgpr_msb 0x45                     ;  msbs: dst=1 src0=1 src1=1 src2=0
	v_mul_i32_i24_e32 v63 /*v319*/, v63 /*v319*/, v12 /*v268*/
	s_set_vgpr_msb 0x41                     ;  msbs: dst=1 src0=1 src1=0 src2=0
	v_mul_i32_i24_e32 v124 /*v380*/, v84 /*v340*/, v55
	s_set_vgpr_msb 0x55                     ;  msbs: dst=1 src0=1 src1=1 src2=1
	v_add3_u32 v122 /*v378*/, v125 /*v381*/, v122 /*v378*/, v123 /*v379*/
	v_add3_u32 v61 /*v317*/, v61 /*v317*/, v63 /*v319*/, v64 /*v320*/
	v_mul_i32_i24_e32 v63 /*v319*/, v69 /*v325*/, v12 /*v268*/
	v_mul_i32_i24_e32 v64 /*v320*/, v70 /*v326*/, v11 /*v267*/
	s_set_vgpr_msb 64                       ;  msbs: dst=1 src0=0 src1=0 src2=0
	v_mul_i32_i24_e32 v123 /*v379*/, v6, v134
	s_set_vgpr_msb 0                        ;  msbs: dst=0 src0=0 src1=0 src2=0
	v_mul_i32_i24_e32 v6, v6, v240
	s_set_vgpr_msb 0x55                     ;  msbs: dst=1 src0=1 src1=1 src2=1
	v_add3_u32 v62 /*v318*/, v62 /*v318*/, v63 /*v319*/, v64 /*v320*/
	v_mul_i32_i24_e32 v63 /*v319*/, v77 /*v333*/, v12 /*v268*/
	v_mul_i32_i24_e32 v64 /*v320*/, v78 /*v334*/, v11 /*v267*/
	v_add3_u32 v123 /*v379*/, v126 /*v382*/, v123 /*v379*/, v124 /*v380*/
	s_delay_alu instid0(VALU_DEP_2)
	v_add3_u32 v63 /*v319*/, v128 /*v384*/, v63 /*v319*/, v64 /*v320*/
	s_set_vgpr_msb 0x41                     ;  msbs: dst=1 src0=1 src1=0 src2=0
	v_mul_i32_i24_e32 v64 /*v320*/, v69 /*v325*/, v244
	v_mul_i32_i24_e32 v69 /*v325*/, v70 /*v326*/, v245
	;; [unrolled: 1-line block ×3, first 2 shown]
	s_set_vgpr_msb 0x55                     ;  msbs: dst=1 src0=1 src1=1 src2=1
	s_delay_alu instid0(VALU_DEP_2)
	v_add3_u32 v64 /*v320*/, v67 /*v323*/, v64 /*v320*/, v69 /*v325*/
	s_set_vgpr_msb 0x41                     ;  msbs: dst=1 src0=1 src1=0 src2=0
	v_mul_i32_i24_e32 v67 /*v323*/, v86 /*v342*/, v134
	v_mul_i32_i24_e32 v69 /*v325*/, v37 /*v293*/, v55
	;; [unrolled: 1-line block ×3, first 2 shown]
	s_set_vgpr_msb 0x55                     ;  msbs: dst=1 src0=1 src1=1 src2=1
	s_delay_alu instid0(VALU_DEP_2)
	v_add3_u32 v67 /*v323*/, v68 /*v324*/, v67 /*v323*/, v69 /*v325*/
	s_set_vgpr_msb 0x41                     ;  msbs: dst=1 src0=1 src1=0 src2=0
	v_mul_i32_i24_e32 v68 /*v324*/, v77 /*v333*/, v244
	v_mul_i32_i24_e32 v69 /*v325*/, v78 /*v334*/, v245
	s_set_vgpr_msb 1                        ;  msbs: dst=0 src0=1 src1=0 src2=0
	v_mul_i32_i24_e32 v244, v80 /*v336*/, v244
	v_mul_i32_i24_e32 v245, v81 /*v337*/, v245
	s_set_vgpr_msb 0x55                     ;  msbs: dst=1 src0=1 src1=1 src2=1
	v_add3_u32 v68 /*v324*/, v75 /*v331*/, v68 /*v324*/, v69 /*v325*/
	s_set_vgpr_msb 0x41                     ;  msbs: dst=1 src0=1 src1=0 src2=0
	v_mul_i32_i24_e32 v69 /*v325*/, v90 /*v346*/, v134
	s_set_vgpr_msb 1                        ;  msbs: dst=0 src0=1 src1=0 src2=0
	v_add3_u32 v244, v143 /*v399*/, v244, v245
	s_set_vgpr_msb 0x55                     ;  msbs: dst=1 src0=1 src1=1 src2=1
	s_delay_alu instid0(VALU_DEP_2) | instskip(SKIP_2) | instid1(VALU_DEP_1)
	v_add3_u32 v69 /*v325*/, v76 /*v332*/, v69 /*v325*/, v70 /*v326*/
	s_set_vgpr_msb 0x51                     ;  msbs: dst=1 src0=1 src1=0 src2=1
	v_mul_i32_i24_e32 v70 /*v326*/, v84 /*v340*/, v233
	v_add3_u32 v65 /*v321*/, v65 /*v321*/, v6, v70 /*v326*/
	s_set_vgpr_msb 1                        ;  msbs: dst=0 src0=1 src1=0 src2=0
	v_mul_i32_i24_e32 v6, v86 /*v342*/, v240
	s_set_vgpr_msb 0x51                     ;  msbs: dst=1 src0=1 src1=0 src2=1
	s_delay_alu instid0(VALU_DEP_1)
	v_add3_u32 v36 /*v292*/, v36 /*v292*/, v6, v37 /*v293*/
	s_set_vgpr_msb 1                        ;  msbs: dst=0 src0=1 src1=0 src2=0
	v_mul_i32_i24_e32 v6, v90 /*v346*/, v240
	s_set_vgpr_msb 0x41                     ;  msbs: dst=1 src0=1 src1=0 src2=0
	v_mul_i32_i24_e32 v37 /*v293*/, v41 /*v297*/, v233
	s_set_vgpr_msb 0x45                     ;  msbs: dst=1 src0=1 src1=1 src2=0
	v_mul_i32_i24_e32 v41 /*v297*/, v14 /*v270*/, v129 /*v385*/
	s_set_vgpr_msb 0x51                     ;  msbs: dst=1 src0=1 src1=0 src2=1
	s_delay_alu instid0(VALU_DEP_2)
	v_add3_u32 v37 /*v293*/, v40 /*v296*/, v6, v37 /*v293*/
	s_set_vgpr_msb 5                        ;  msbs: dst=0 src0=1 src1=1 src2=0
	v_add_nc_u32_e32 v6, v18 /*v274*/, v15 /*v271*/
	s_set_vgpr_msb 0x45                     ;  msbs: dst=1 src0=1 src1=1 src2=0
	v_add_nc_u32_e32 v15 /*v271*/, v19 /*v275*/, v16 /*v272*/
	s_set_vgpr_msb 0x44                     ;  msbs: dst=1 src0=0 src1=1 src2=0
	v_dual_add_nc_u32 v16 /*v272*/, v67, v17 /*v273*/ :: v_dual_lshrrev_b32 v18 /*v274*/, 24, v159 /*v415*/
	s_set_vgpr_msb 0x45                     ;  msbs: dst=1 src0=1 src1=1 src2=0
	v_mul_i32_i24_e32 v40 /*v296*/, v14 /*v270*/, v160 /*v416*/
	s_set_vgpr_msb 64                       ;  msbs: dst=1 src0=0 src1=0 src2=0
	v_add3_u32 v17 /*v273*/, v6, v198, v50
	s_set_vgpr_msb 0x41                     ;  msbs: dst=1 src0=1 src1=0 src2=0
	v_add3_u32 v15 /*v271*/, v15 /*v271*/, v199, v49
	v_add3_u32 v16 /*v272*/, v16 /*v272*/, v126, v27
	s_set_vgpr_msb 1                        ;  msbs: dst=0 src0=1 src1=0 src2=0
	v_mul_i32_i24_e32 v67, v81 /*v337*/, v67
	s_set_vgpr_msb 5                        ;  msbs: dst=0 src0=1 src1=1 src2=0
	v_mul_i32_i24_e32 v6, v17 /*v273*/, v162 /*v418*/
	s_set_vgpr_msb 0x45                     ;  msbs: dst=1 src0=1 src1=1 src2=0
	v_mul_i32_i24_e32 v19 /*v275*/, v16 /*v272*/, v18 /*v274*/
	s_set_vgpr_msb 1                        ;  msbs: dst=0 src0=1 src1=0 src2=0
	v_add3_u32 v66, v140 /*v396*/, v66, v67
	s_set_vgpr_msb 5                        ;  msbs: dst=0 src0=1 src1=1 src2=0
	v_mad_i32_i24 v6, v15 /*v271*/, v161 /*v417*/, v6
	s_set_vgpr_msb 0x54                     ;  msbs: dst=1 src0=0 src1=1 src2=1
	s_delay_alu instid0(VALU_DEP_1) | instskip(SKIP_3) | instid1(VALU_DEP_1)
	v_add3_u32 v19 /*v275*/, v6, v40 /*v296*/, v19 /*v275*/
	s_set_vgpr_msb 5                        ;  msbs: dst=0 src0=1 src1=1 src2=0
	v_add_nc_u32_e32 v6, v9 /*v265*/, v5 /*v261*/
	s_set_vgpr_msb 0x44                     ;  msbs: dst=1 src0=0 src1=1 src2=0
	v_add3_u32 v5 /*v261*/, v6, v10 /*v266*/, v45
	s_set_vgpr_msb 1                        ;  msbs: dst=0 src0=1 src1=0 src2=0
	v_add_nc_u32_e32 v6, v6 /*v262*/, v12
	s_set_vgpr_msb 0x41                     ;  msbs: dst=1 src0=1 src1=0 src2=0
	v_dual_add_nc_u32 v6 /*v262*/, v7 /*v263*/, v13 :: v_dual_add_nc_u32 v7 /*v263*/, v8 /*v264*/, v14
	s_set_vgpr_msb 4                        ;  msbs: dst=0 src0=0 src1=1 src2=0
	v_mul_i32_i24_e32 v12, v12, v138 /*v394*/
	v_mul_i32_i24_e32 v13, v13, v139 /*v395*/
	s_set_vgpr_msb 64                       ;  msbs: dst=1 src0=0 src1=0 src2=0
	v_add3_u32 v8 /*v264*/, v6, v15, v46
	s_set_vgpr_msb 0x41                     ;  msbs: dst=1 src0=1 src1=0 src2=0
	v_add3_u32 v6 /*v262*/, v6 /*v262*/, v117, v28
	v_add3_u32 v7 /*v263*/, v7 /*v263*/, v119, v29
	s_set_vgpr_msb 5                        ;  msbs: dst=0 src0=1 src1=1 src2=0
	v_mul_i32_i24_e32 v6, v5 /*v261*/, v162 /*v418*/
	s_set_vgpr_msb 0x45                     ;  msbs: dst=1 src0=1 src1=1 src2=0
	v_mul_i32_i24_e32 v9 /*v265*/, v6 /*v262*/, v160 /*v416*/
	v_mul_i32_i24_e32 v10 /*v266*/, v7 /*v263*/, v18 /*v274*/
	s_set_vgpr_msb 5                        ;  msbs: dst=0 src0=1 src1=1 src2=0
	v_mad_i32_i24 v6, v8 /*v264*/, v161 /*v417*/, v6
	s_set_vgpr_msb 0x54                     ;  msbs: dst=1 src0=0 src1=1 src2=1
	s_delay_alu instid0(VALU_DEP_1) | instskip(SKIP_4) | instid1(VALU_DEP_2)
	v_add3_u32 v9 /*v265*/, v6, v9 /*v265*/, v10 /*v266*/
	v_lshrrev_b32_e32 v10 /*v266*/, 24, v95 /*v351*/
	s_set_vgpr_msb 5                        ;  msbs: dst=0 src0=1 src1=1 src2=0
	v_mul_i32_i24_e32 v6, v17 /*v273*/, v131 /*v387*/
	s_set_vgpr_msb 0x45                     ;  msbs: dst=1 src0=1 src1=1 src2=0
	v_mul_i32_i24_e32 v40 /*v296*/, v16 /*v272*/, v10 /*v266*/
	s_set_vgpr_msb 5                        ;  msbs: dst=0 src0=1 src1=1 src2=0
	s_delay_alu instid0(VALU_DEP_2) | instskip(SKIP_3) | instid1(VALU_DEP_2)
	v_mad_i32_i24 v6, v15 /*v271*/, v130 /*v386*/, v6
	s_set_vgpr_msb 0x45                     ;  msbs: dst=1 src0=1 src1=1 src2=0
	v_mul_i32_i24_e32 v70 /*v326*/, v7 /*v263*/, v10 /*v266*/
	s_set_vgpr_msb 0x54                     ;  msbs: dst=1 src0=0 src1=1 src2=1
	v_add3_u32 v40 /*v296*/, v6, v41 /*v297*/, v40 /*v296*/
	s_set_vgpr_msb 5                        ;  msbs: dst=0 src0=1 src1=1 src2=0
	v_mul_i32_i24_e32 v6, v5 /*v261*/, v131 /*v387*/
	s_set_vgpr_msb 0x45                     ;  msbs: dst=1 src0=1 src1=1 src2=0
	v_mul_i32_i24_e32 v41 /*v297*/, v6 /*v262*/, v129 /*v385*/
	s_set_vgpr_msb 5                        ;  msbs: dst=0 src0=1 src1=1 src2=0
	s_delay_alu instid0(VALU_DEP_2) | instskip(SKIP_1) | instid1(VALU_DEP_1)
	v_mad_i32_i24 v6, v8 /*v264*/, v130 /*v386*/, v6
	s_set_vgpr_msb 0x54                     ;  msbs: dst=1 src0=0 src1=1 src2=1
	v_add3_u32 v41 /*v297*/, v6, v41 /*v297*/, v70 /*v326*/
	s_set_vgpr_msb 5                        ;  msbs: dst=0 src0=1 src1=1 src2=0
	v_add_nc_u32_e32 v6, v26 /*v282*/, v22 /*v278*/
	s_set_vgpr_msb 0x45                     ;  msbs: dst=1 src0=1 src1=1 src2=0
	v_add_nc_u32_e32 v22 /*v278*/, v27 /*v283*/, v23 /*v279*/
	s_set_vgpr_msb 0x44                     ;  msbs: dst=1 src0=0 src1=1 src2=0
	v_add_nc_u32_e32 v23 /*v279*/, v247, v25 /*v281*/
	s_set_vgpr_msb 0x45                     ;  msbs: dst=1 src0=1 src1=1 src2=0
	v_mul_i32_i24_e32 v27 /*v283*/, v21 /*v277*/, v160 /*v416*/
	s_set_vgpr_msb 1                        ;  msbs: dst=0 src0=1 src1=0 src2=0
	v_mul_i32_i24_e32 v247, v81 /*v337*/, v247
	s_set_vgpr_msb 64                       ;  msbs: dst=1 src0=0 src1=0 src2=0
	v_add3_u32 v25 /*v281*/, v6, v137, v88
	s_set_vgpr_msb 0x41                     ;  msbs: dst=1 src0=1 src1=0 src2=0
	v_add3_u32 v22 /*v278*/, v22 /*v278*/, v139, v94
	v_add3_u32 v23 /*v279*/, v23 /*v279*/, v130, v34
	s_set_vgpr_msb 1                        ;  msbs: dst=0 src0=1 src1=0 src2=0
	v_add3_u32 v246, v145 /*v401*/, v246, v247
	s_set_vgpr_msb 5                        ;  msbs: dst=0 src0=1 src1=1 src2=0
	v_mul_i32_i24_e32 v6, v25 /*v281*/, v162 /*v418*/
	s_set_vgpr_msb 0x45                     ;  msbs: dst=1 src0=1 src1=1 src2=0
	v_mul_i32_i24_e32 v26 /*v282*/, v23 /*v279*/, v18 /*v274*/
	v_mul_i32_i24_e32 v78 /*v334*/, v23 /*v279*/, v10 /*v266*/
	s_set_vgpr_msb 5                        ;  msbs: dst=0 src0=1 src1=1 src2=0
	v_mad_i32_i24 v6, v22 /*v278*/, v161 /*v417*/, v6
	s_set_vgpr_msb 0x54                     ;  msbs: dst=1 src0=0 src1=1 src2=1
	s_delay_alu instid0(VALU_DEP_1)
	v_add3_u32 v26 /*v282*/, v6, v27 /*v283*/, v26 /*v282*/
	s_set_vgpr_msb 5                        ;  msbs: dst=0 src0=1 src1=1 src2=0
	v_add_nc_u32_e32 v6, v33 /*v289*/, v30 /*v286*/
	s_set_vgpr_msb 0x45                     ;  msbs: dst=1 src0=1 src1=1 src2=0
	v_add_nc_u32_e32 v27 /*v283*/, v34 /*v290*/, v31 /*v287*/
	s_set_vgpr_msb 0x44                     ;  msbs: dst=1 src0=0 src1=1 src2=0
	v_add_nc_u32_e32 v30 /*v286*/, v250, v32 /*v288*/
	s_set_vgpr_msb 0x45                     ;  msbs: dst=1 src0=1 src1=1 src2=0
	v_mul_i32_i24_e32 v32 /*v288*/, v28 /*v284*/, v129 /*v385*/
	v_mul_i32_i24_e32 v34 /*v290*/, v14 /*v270*/, v134 /*v390*/
	s_set_vgpr_msb 64                       ;  msbs: dst=1 src0=0 src1=0 src2=0
	v_add3_u32 v31 /*v287*/, v6, v65, v105
	s_set_vgpr_msb 0x41                     ;  msbs: dst=1 src0=1 src1=0 src2=0
	v_add3_u32 v27 /*v283*/, v27 /*v283*/, v191, v106
	v_add3_u32 v30 /*v286*/, v30 /*v286*/, v142, v38
	s_set_vgpr_msb 1                        ;  msbs: dst=0 src0=1 src1=0 src2=0
	v_mul_i32_i24_e32 v250, v81 /*v337*/, v250
	s_set_vgpr_msb 5                        ;  msbs: dst=0 src0=1 src1=1 src2=0
	v_mul_i32_i24_e32 v6, v31 /*v287*/, v131 /*v387*/
	s_set_vgpr_msb 0x45                     ;  msbs: dst=1 src0=1 src1=1 src2=0
	v_mul_i32_i24_e32 v33 /*v289*/, v30 /*v286*/, v10 /*v266*/
	v_mul_i32_i24_e32 v77 /*v333*/, v30 /*v286*/, v18 /*v274*/
	s_set_vgpr_msb 1                        ;  msbs: dst=0 src0=1 src1=0 src2=0
	v_add3_u32 v249, v142 /*v398*/, v249, v250
	s_set_vgpr_msb 5                        ;  msbs: dst=0 src0=1 src1=1 src2=0
	v_mad_i32_i24 v6, v27 /*v283*/, v130 /*v386*/, v6
	v_mul_i32_i24_e32 v250, v80 /*v336*/, v1 /*v257*/
	s_set_vgpr_msb 0x45                     ;  msbs: dst=1 src0=1 src1=1 src2=0
	v_mul_i32_i24_e32 v1 /*v257*/, v81 /*v337*/, v2 /*v258*/
	s_set_vgpr_msb 0x54                     ;  msbs: dst=1 src0=0 src1=1 src2=1
	v_add3_u32 v32 /*v288*/, v6, v32 /*v288*/, v33 /*v289*/
	v_lshrrev_b32_e32 v33 /*v289*/, 24, v133 /*v389*/
	s_set_vgpr_msb 5                        ;  msbs: dst=0 src0=1 src1=1 src2=0
	v_mul_i32_i24_e32 v6, v17 /*v273*/, v156 /*v412*/
	s_set_vgpr_msb 17                       ;  msbs: dst=0 src0=1 src1=0 src2=1
	v_add3_u32 v250, v45 /*v301*/, v250, v1 /*v257*/
	s_set_vgpr_msb 0x45                     ;  msbs: dst=1 src0=1 src1=1 src2=0
	v_mul_i32_i24_e32 v70 /*v326*/, v16 /*v272*/, v33 /*v289*/
	s_set_vgpr_msb 5                        ;  msbs: dst=0 src0=1 src1=1 src2=0
	v_mad_i32_i24 v6, v15 /*v271*/, v155 /*v411*/, v6
	s_set_vgpr_msb 0x45                     ;  msbs: dst=1 src0=1 src1=1 src2=0
	v_mul_i32_i24_e32 v75 /*v331*/, v30 /*v286*/, v33 /*v289*/
	v_mul_i32_i24_e32 v90 /*v346*/, v23 /*v279*/, v33 /*v289*/
	s_set_vgpr_msb 0x54                     ;  msbs: dst=1 src0=0 src1=1 src2=1
	v_add3_u32 v34 /*v290*/, v6, v34 /*v290*/, v70 /*v326*/
	s_set_vgpr_msb 5                        ;  msbs: dst=0 src0=1 src1=1 src2=0
	v_mul_i32_i24_e32 v6, v31 /*v287*/, v156 /*v412*/
	s_set_vgpr_msb 0x45                     ;  msbs: dst=1 src0=1 src1=1 src2=0
	v_mul_i32_i24_e32 v70 /*v326*/, v28 /*v284*/, v134 /*v390*/
	s_set_vgpr_msb 5                        ;  msbs: dst=0 src0=1 src1=1 src2=0
	s_delay_alu instid0(VALU_DEP_2) | instskip(SKIP_1) | instid1(VALU_DEP_1)
	v_mad_i32_i24 v6, v27 /*v283*/, v155 /*v411*/, v6
	s_set_vgpr_msb 0x54                     ;  msbs: dst=1 src0=0 src1=1 src2=1
	v_add3_u32 v70 /*v326*/, v6, v70 /*v326*/, v75 /*v331*/
	s_set_vgpr_msb 5                        ;  msbs: dst=0 src0=1 src1=1 src2=0
	v_add_nc_u32_e32 v6, v2 /*v258*/, v44 /*v300*/
	s_set_vgpr_msb 0x45                     ;  msbs: dst=1 src0=1 src1=1 src2=0
	v_mul_i32_i24_e32 v75 /*v331*/, v42 /*v298*/, v160 /*v416*/
	s_set_vgpr_msb 64                       ;  msbs: dst=1 src0=0 src1=0 src2=0
	s_delay_alu instid0(VALU_DEP_2) | instskip(SKIP_3) | instid1(VALU_DEP_2)
	v_add3_u32 v44 /*v300*/, v6, v176, v60
	s_set_vgpr_msb 5                        ;  msbs: dst=0 src0=1 src1=1 src2=0
	v_mul_i32_i24_e32 v6, v35 /*v291*/, v162 /*v418*/
	s_set_vgpr_msb 0x45                     ;  msbs: dst=1 src0=1 src1=1 src2=0
	v_mul_i32_i24_e32 v76 /*v332*/, v44 /*v300*/, v18 /*v274*/
	s_set_vgpr_msb 5                        ;  msbs: dst=0 src0=1 src1=1 src2=0
	s_delay_alu instid0(VALU_DEP_2) | instskip(SKIP_1) | instid1(VALU_DEP_1)
	v_mad_i32_i24 v6, v43 /*v299*/, v161 /*v417*/, v6
	s_set_vgpr_msb 0x54                     ;  msbs: dst=1 src0=0 src1=1 src2=1
	v_add3_u32 v75 /*v331*/, v6, v75 /*v331*/, v76 /*v332*/
	s_set_vgpr_msb 5                        ;  msbs: dst=0 src0=1 src1=1 src2=0
	v_mul_i32_i24_e32 v6, v31 /*v287*/, v162 /*v418*/
	s_set_vgpr_msb 0x45                     ;  msbs: dst=1 src0=1 src1=1 src2=0
	v_mul_i32_i24_e32 v76 /*v332*/, v28 /*v284*/, v160 /*v416*/
	s_set_vgpr_msb 5                        ;  msbs: dst=0 src0=1 src1=1 src2=0
	s_delay_alu instid0(VALU_DEP_2) | instskip(SKIP_1) | instid1(VALU_DEP_1)
	v_mad_i32_i24 v6, v27 /*v283*/, v161 /*v417*/, v6
	s_set_vgpr_msb 0x54                     ;  msbs: dst=1 src0=0 src1=1 src2=1
	v_add3_u32 v76 /*v332*/, v6, v76 /*v332*/, v77 /*v333*/
	s_set_vgpr_msb 5                        ;  msbs: dst=0 src0=1 src1=1 src2=0
	v_mul_i32_i24_e32 v6, v25 /*v281*/, v131 /*v387*/
	s_set_vgpr_msb 0x45                     ;  msbs: dst=1 src0=1 src1=1 src2=0
	v_mul_i32_i24_e32 v77 /*v333*/, v21 /*v277*/, v129 /*v385*/
	s_set_vgpr_msb 5                        ;  msbs: dst=0 src0=1 src1=1 src2=0
	s_delay_alu instid0(VALU_DEP_2) | instskip(SKIP_1) | instid1(VALU_DEP_1)
	v_mad_i32_i24 v6, v22 /*v278*/, v130 /*v386*/, v6
	s_set_vgpr_msb 0x54                     ;  msbs: dst=1 src0=0 src1=1 src2=1
	v_add3_u32 v77 /*v333*/, v6, v77 /*v333*/, v78 /*v334*/
	s_set_vgpr_msb 5                        ;  msbs: dst=0 src0=1 src1=1 src2=0
	v_add_nc_u32_e32 v6, v4 /*v260*/, v50 /*v306*/
	s_set_vgpr_msb 0x45                     ;  msbs: dst=1 src0=1 src1=1 src2=0
	v_mul_i32_i24_e32 v78 /*v334*/, v49 /*v305*/, v129 /*v385*/
	s_set_vgpr_msb 64                       ;  msbs: dst=1 src0=0 src1=0 src2=0
	s_delay_alu instid0(VALU_DEP_2) | instskip(SKIP_3) | instid1(VALU_DEP_2)
	v_add3_u32 v50 /*v306*/, v6, v178, v62
	s_set_vgpr_msb 5                        ;  msbs: dst=0 src0=1 src1=1 src2=0
	v_mul_i32_i24_e32 v6, v47 /*v303*/, v131 /*v387*/
	s_set_vgpr_msb 0x45                     ;  msbs: dst=1 src0=1 src1=1 src2=0
	v_mul_i32_i24_e32 v84 /*v340*/, v50 /*v306*/, v10 /*v266*/
	s_set_vgpr_msb 5                        ;  msbs: dst=0 src0=1 src1=1 src2=0
	s_delay_alu instid0(VALU_DEP_2) | instskip(SKIP_3) | instid1(VALU_DEP_2)
	v_mad_i32_i24 v6, v48 /*v304*/, v130 /*v386*/, v6
	s_set_vgpr_msb 0x45                     ;  msbs: dst=1 src0=1 src1=1 src2=0
	v_mul_i32_i24_e32 v86 /*v342*/, v50 /*v306*/, v33 /*v289*/
	s_set_vgpr_msb 0x54                     ;  msbs: dst=1 src0=0 src1=1 src2=1
	v_add3_u32 v78 /*v334*/, v6, v78 /*v334*/, v84 /*v340*/
	s_set_vgpr_msb 5                        ;  msbs: dst=0 src0=1 src1=1 src2=0
	v_mul_i32_i24_e32 v6, v47 /*v303*/, v156 /*v412*/
	s_set_vgpr_msb 0x45                     ;  msbs: dst=1 src0=1 src1=1 src2=0
	v_mul_i32_i24_e32 v84 /*v340*/, v49 /*v305*/, v134 /*v390*/
	s_set_vgpr_msb 5                        ;  msbs: dst=0 src0=1 src1=1 src2=0
	s_delay_alu instid0(VALU_DEP_2) | instskip(SKIP_1) | instid1(VALU_DEP_1)
	v_mad_i32_i24 v6, v48 /*v304*/, v155 /*v411*/, v6
	s_set_vgpr_msb 0x54                     ;  msbs: dst=1 src0=0 src1=1 src2=1
	v_add3_u32 v84 /*v340*/, v6, v84 /*v340*/, v86 /*v342*/
	s_set_vgpr_msb 5                        ;  msbs: dst=0 src0=1 src1=1 src2=0
	v_mul_i32_i24_e32 v6, v25 /*v281*/, v156 /*v412*/
	s_set_vgpr_msb 0x45                     ;  msbs: dst=1 src0=1 src1=1 src2=0
	v_mul_i32_i24_e32 v86 /*v342*/, v21 /*v277*/, v134 /*v390*/
	s_set_vgpr_msb 5                        ;  msbs: dst=0 src0=1 src1=1 src2=0
	s_delay_alu instid0(VALU_DEP_2) | instskip(SKIP_1) | instid1(VALU_DEP_1)
	v_mad_i32_i24 v6, v22 /*v278*/, v155 /*v411*/, v6
	s_set_vgpr_msb 0x54                     ;  msbs: dst=1 src0=0 src1=1 src2=1
	v_add3_u32 v86 /*v342*/, v6, v86 /*v342*/, v90 /*v346*/
	s_set_vgpr_msb 20                       ;  msbs: dst=0 src0=0 src1=1 src2=1
	v_add3_u32 v6, s19, v204 /*v460*/, v213 /*v469*/
	ds_load_u16 v6, v6
	s_wait_dscnt 0x0
	s_set_vgpr_msb 0x44                     ;  msbs: dst=1 src0=0 src1=1 src2=0
	v_bfe_u32 v90 /*v346*/, v6, 4, 4
	s_delay_alu instid0(VALU_DEP_1) | instskip(NEXT) | instid1(VALU_DEP_1)
	v_mul_lo_u32 v90 /*v346*/, 0x1010101, v90 /*v346*/
	v_lshrrev_b16 v95 /*v351*/, 8, v90 /*v346*/
	s_set_vgpr_msb 0x41                     ;  msbs: dst=1 src0=1 src1=0 src2=0
	v_bfe_i32 v124 /*v380*/, v90 /*v346*/, 0, 8
	s_set_vgpr_msb 0x44                     ;  msbs: dst=1 src0=0 src1=1 src2=0
	v_lshrrev_b32_e32 v125 /*v381*/, 24, v90 /*v346*/
	s_set_vgpr_msb 0x55                     ;  msbs: dst=1 src0=1 src1=1 src2=1
	v_bfe_i32 v90 /*v346*/, v90 /*v346*/, 16, 8
	v_bfe_i32 v95 /*v351*/, v95 /*v351*/, 0, 8
	v_mul_i32_i24_e32 v17 /*v273*/, v17 /*v273*/, v124 /*v380*/
	v_mul_i32_i24_e32 v25 /*v281*/, v25 /*v281*/, v124 /*v380*/
	;; [unrolled: 1-line block ×5, first 2 shown]
	v_mad_i32_i24 v15 /*v271*/, v15 /*v271*/, v95 /*v351*/, v17 /*v273*/
	v_mad_i32_i24 v22 /*v278*/, v22 /*v278*/, v95 /*v351*/, v25 /*v281*/
	v_mul_i32_i24_e32 v23 /*v279*/, v23 /*v279*/, v125 /*v381*/
	s_set_vgpr_msb 4                        ;  msbs: dst=0 src0=0 src1=1 src2=0
	v_mul_i32_i24_e32 v255, v251, v124 /*v380*/
	s_set_vgpr_msb 0x44                     ;  msbs: dst=1 src0=0 src1=1 src2=0
	v_mul_i32_i24_e32 v0 /*v256*/, v253, v90 /*v346*/
	s_set_vgpr_msb 0x55                     ;  msbs: dst=1 src0=1 src1=1 src2=1
	v_add3_u32 v14 /*v270*/, v15 /*v271*/, v14 /*v270*/, v16 /*v272*/
	v_mul_i32_i24_e32 v15 /*v271*/, v31 /*v287*/, v124 /*v380*/
	v_add3_u32 v21 /*v277*/, v22 /*v278*/, v21 /*v277*/, v23 /*v279*/
	s_set_vgpr_msb 4                        ;  msbs: dst=0 src0=0 src1=1 src2=0
	v_mad_i32_i24 v255, v252, v95 /*v351*/, v255
	s_set_vgpr_msb 0x44                     ;  msbs: dst=1 src0=0 src1=1 src2=0
	v_mul_i32_i24_e32 v22 /*v278*/, v254, v125 /*v381*/
	s_set_vgpr_msb 0x55                     ;  msbs: dst=1 src0=1 src1=1 src2=1
	v_mul_i32_i24_e32 v16 /*v272*/, v28 /*v284*/, v90 /*v346*/
	v_mad_i32_i24 v15 /*v271*/, v27 /*v283*/, v95 /*v351*/, v15 /*v271*/
	v_mul_i32_i24_e32 v17 /*v273*/, v30 /*v286*/, v125 /*v381*/
	v_mul_i32_i24_e32 v126 /*v382*/, v5 /*v261*/, v124 /*v380*/
	s_set_vgpr_msb 20                       ;  msbs: dst=0 src0=0 src1=1 src2=1
	v_add3_u32 v255, v255, v0 /*v256*/, v22 /*v278*/
	s_set_vgpr_msb 0x55                     ;  msbs: dst=1 src0=1 src1=1 src2=1
	v_mul_i32_i24_e32 v0 /*v256*/, v5 /*v261*/, v156 /*v412*/
	v_mul_i32_i24_e32 v128 /*v384*/, v6 /*v262*/, v90 /*v346*/
	v_add3_u32 v15 /*v271*/, v15 /*v271*/, v16 /*v272*/, v17 /*v273*/
	v_mul_i32_i24_e32 v16 /*v272*/, v35 /*v291*/, v124 /*v380*/
	v_mul_i32_i24_e32 v5 /*v261*/, v6 /*v262*/, v134 /*v390*/
	v_mad_i32_i24 v0 /*v256*/, v8 /*v264*/, v155 /*v411*/, v0 /*v256*/
	v_mul_i32_i24_e32 v6 /*v262*/, v7 /*v263*/, v33 /*v289*/
	v_mul_i32_i24_e32 v17 /*v273*/, v42 /*v298*/, v90 /*v346*/
	v_mad_i32_i24 v16 /*v272*/, v43 /*v299*/, v95 /*v351*/, v16 /*v272*/
	v_mul_i32_i24_e32 v27 /*v283*/, v44 /*v300*/, v125 /*v381*/
	v_mad_i32_i24 v126 /*v382*/, v8 /*v264*/, v95 /*v351*/, v126 /*v382*/
	v_add3_u32 v0 /*v256*/, v0 /*v256*/, v5 /*v261*/, v6 /*v262*/
	v_dual_add_nc_u32 v5 /*v261*/, v59 /*v315*/, v57 /*v313*/ :: v_dual_add_nc_u32 v6 /*v262*/, v53 /*v309*/, v127 /*v383*/
	v_mul_i32_i24_e32 v133 /*v389*/, v7 /*v263*/, v125 /*v381*/
	v_add3_u32 v16 /*v272*/, v16 /*v272*/, v17 /*v273*/, v27 /*v283*/
	v_mul_i32_i24_e32 v17 /*v273*/, v47 /*v303*/, v124 /*v380*/
	v_bfe_i32 v7 /*v263*/, v54 /*v310*/, 0, 8
	v_dual_add_nc_u32 v8 /*v264*/, v11 /*v267*/, v56 /*v312*/ :: v_dual_add_nc_u32 v22 /*v278*/, v12 /*v268*/, v58 /*v314*/
	v_bfe_i32 v23 /*v279*/, v55 /*v311*/, 0, 8
	s_set_vgpr_msb 0x41                     ;  msbs: dst=1 src0=1 src1=0 src2=0
	v_add3_u32 v5 /*v261*/, v5 /*v261*/, v217, v89
	s_set_vgpr_msb 0x55                     ;  msbs: dst=1 src0=1 src1=1 src2=1
	v_mad_i32_i24 v17 /*v273*/, v48 /*v304*/, v95 /*v351*/, v17 /*v273*/
	v_mul_i32_i24_e32 v27 /*v283*/, v49 /*v305*/, v90 /*v346*/
	v_mul_i32_i24_e32 v28 /*v284*/, v50 /*v306*/, v125 /*v381*/
	s_set_vgpr_msb 0x41                     ;  msbs: dst=1 src0=1 src1=0 src2=0
	v_add3_u32 v8 /*v264*/, v8 /*v264*/, v181, v84
	v_add3_u32 v22 /*v278*/, v22 /*v278*/, v182, v150
	s_set_vgpr_msb 0x55                     ;  msbs: dst=1 src0=1 src1=1 src2=1
	v_add3_u32 v6 /*v262*/, v6 /*v262*/, v7 /*v263*/, v23 /*v279*/
	v_mul_i32_i24_e32 v25 /*v281*/, v5 /*v261*/, v156 /*v412*/
	v_add3_u32 v17 /*v273*/, v17 /*v273*/, v27 /*v283*/, v28 /*v284*/
	v_mul_i32_i24_e32 v28 /*v284*/, v8 /*v264*/, v33 /*v289*/
	v_mul_i32_i24_e32 v27 /*v283*/, v22 /*v278*/, v134 /*v390*/
	s_set_vgpr_msb 0x44                     ;  msbs: dst=1 src0=0 src1=1 src2=0
	v_mul_i32_i24_e32 v30 /*v286*/, v254, v33 /*v289*/
	s_set_vgpr_msb 0x55                     ;  msbs: dst=1 src0=1 src1=1 src2=1
	v_mad_i32_i24 v25 /*v281*/, v6 /*v262*/, v155 /*v411*/, v25 /*v281*/
	v_mul_i32_i24_e32 v31 /*v287*/, v8 /*v264*/, v18 /*v274*/
	s_set_vgpr_msb 0x44                     ;  msbs: dst=1 src0=0 src1=1 src2=0
	v_mul_i32_i24_e32 v35 /*v291*/, v254, v18 /*v274*/
	s_set_vgpr_msb 4                        ;  msbs: dst=0 src0=0 src1=1 src2=0
	v_mul_i32_i24_e32 v254, v254, v10 /*v266*/
	s_set_vgpr_msb 0x55                     ;  msbs: dst=1 src0=1 src1=1 src2=1
	v_mul_i32_i24_e32 v12 /*v268*/, v80 /*v336*/, v12 /*v268*/
	v_add3_u32 v25 /*v281*/, v25 /*v281*/, v27 /*v283*/, v28 /*v284*/
	s_set_vgpr_msb 0x44                     ;  msbs: dst=1 src0=0 src1=1 src2=0
	v_mul_i32_i24_e32 v27 /*v283*/, v251, v156 /*v412*/
	v_mul_i32_i24_e32 v28 /*v284*/, v253, v134 /*v390*/
	s_set_vgpr_msb 0x45                     ;  msbs: dst=1 src0=1 src1=1 src2=0
	v_mul_i32_i24_e32 v11 /*v267*/, v81 /*v337*/, v11 /*v267*/
	v_bfe_u32 v43 /*v299*/, v29 /*v285*/, 8, 2
	s_set_vgpr_msb 0x54                     ;  msbs: dst=1 src0=0 src1=1 src2=1
	v_bfe_u32 v53 /*v309*/, v4, 8, 2
	v_mad_i32_i24 v27 /*v283*/, v252, v155 /*v411*/, v27 /*v283*/
	s_set_vgpr_msb 0x55                     ;  msbs: dst=1 src0=1 src1=1 src2=1
	v_add3_u32 v126 /*v382*/, v126 /*v382*/, v128 /*v384*/, v133 /*v389*/
	v_add3_u32 v11 /*v267*/, v72 /*v328*/, v12 /*v268*/, v11 /*v267*/
	s_set_vgpr_msb 0x41                     ;  msbs: dst=1 src0=1 src1=0 src2=0
	v_mul_i32_i24_e32 v58 /*v314*/, v43 /*v299*/, v199
	v_mul_i32_i24_e32 v55 /*v311*/, v53 /*v309*/, v196
	s_set_vgpr_msb 0x55                     ;  msbs: dst=1 src0=1 src1=1 src2=1
	v_add3_u32 v27 /*v283*/, v27 /*v283*/, v28 /*v284*/, v30 /*v286*/
	v_mul_i32_i24_e32 v28 /*v284*/, v5 /*v261*/, v162 /*v418*/
	v_mul_i32_i24_e32 v30 /*v286*/, v22 /*v278*/, v160 /*v416*/
	s_delay_alu instid0(VALU_DEP_2) | instskip(NEXT) | instid1(VALU_DEP_1)
	v_mad_i32_i24 v28 /*v284*/, v6 /*v262*/, v161 /*v417*/, v28 /*v284*/
	v_add3_u32 v28 /*v284*/, v28 /*v284*/, v30 /*v286*/, v31 /*v287*/
	s_set_vgpr_msb 0x44                     ;  msbs: dst=1 src0=0 src1=1 src2=0
	v_mul_i32_i24_e32 v30 /*v286*/, v251, v162 /*v418*/
	s_set_vgpr_msb 4                        ;  msbs: dst=0 src0=0 src1=1 src2=0
	v_mul_i32_i24_e32 v251, v251, v131 /*v387*/
	s_set_vgpr_msb 0x44                     ;  msbs: dst=1 src0=0 src1=1 src2=0
	v_mul_i32_i24_e32 v31 /*v287*/, v253, v160 /*v416*/
	s_set_vgpr_msb 4                        ;  msbs: dst=0 src0=0 src1=1 src2=0
	v_mul_i32_i24_e32 v253, v253, v129 /*v385*/
	s_set_vgpr_msb 0x54                     ;  msbs: dst=1 src0=0 src1=1 src2=1
	v_mad_i32_i24 v30 /*v286*/, v252, v161 /*v417*/, v30 /*v286*/
	s_set_vgpr_msb 4                        ;  msbs: dst=0 src0=0 src1=1 src2=0
	v_mad_i32_i24 v251, v252, v130 /*v386*/, v251
	s_set_vgpr_msb 5                        ;  msbs: dst=0 src0=1 src1=1 src2=0
	v_mul_i32_i24_e32 v252, v5 /*v261*/, v131 /*v387*/
	s_set_vgpr_msb 0x55                     ;  msbs: dst=1 src0=1 src1=1 src2=1
	v_add3_u32 v30 /*v286*/, v30 /*v286*/, v31 /*v287*/, v35 /*v291*/
	s_set_vgpr_msb 0                        ;  msbs: dst=0 src0=0 src1=0 src2=0
	v_add3_u32 v251, v251, v253, v254
	s_set_vgpr_msb 1                        ;  msbs: dst=0 src0=1 src1=0 src2=0
	v_add3_u32 v253, v135 /*v391*/, v12, v13
	v_bfe_u32 v12, v39 /*v295*/, 16, 2
	v_bfe_u32 v13, v39 /*v295*/, 24, 2
	s_set_vgpr_msb 5                        ;  msbs: dst=0 src0=1 src1=1 src2=0
	v_mad_i32_i24 v252, v6 /*v262*/, v130 /*v386*/, v252
	s_set_vgpr_msb 0x45                     ;  msbs: dst=1 src0=1 src1=1 src2=0
	v_mul_i32_i24_e32 v31 /*v287*/, v22 /*v278*/, v129 /*v385*/
	v_mul_i32_i24_e32 v35 /*v291*/, v8 /*v264*/, v10 /*v266*/
	s_set_vgpr_msb 64                       ;  msbs: dst=1 src0=0 src1=0 src2=0
	v_mul_i32_i24_e32 v1 /*v257*/, v12, v164
	v_mul_i32_i24_e32 v2 /*v258*/, v13, v163
	s_set_vgpr_msb 0                        ;  msbs: dst=0 src0=0 src1=0 src2=0
	v_mul_i32_i24_e32 v245, v12, v134
	v_mul_i32_i24_e32 v254, v12, v53
	s_set_vgpr_msb 20                       ;  msbs: dst=0 src0=0 src1=1 src2=1
	v_add3_u32 v252, v252, v31 /*v287*/, v35 /*v291*/
	s_set_vgpr_msb 64                       ;  msbs: dst=1 src0=0 src1=0 src2=0
	v_mul_i32_i24_e32 v31 /*v287*/, v13, v138
	s_set_vgpr_msb 0x55                     ;  msbs: dst=1 src0=1 src1=1 src2=1
	v_add3_u32 v1 /*v257*/, v46 /*v302*/, v1 /*v257*/, v2 /*v258*/
	s_set_vgpr_msb 64                       ;  msbs: dst=1 src0=0 src1=0 src2=0
	v_mul_i32_i24_e32 v2 /*v258*/, v13, v55
	s_set_vgpr_msb 0                        ;  msbs: dst=0 src0=0 src1=0 src2=0
	v_mul_i32_i24_e32 v67, v12, v157
	v_mul_i32_i24_e32 v247, v12, v160
	s_set_vgpr_msb 17                       ;  msbs: dst=0 src0=1 src1=0 src2=1
	v_add3_u32 v254, v136 /*v392*/, v254, v31 /*v287*/
	s_set_vgpr_msb 64                       ;  msbs: dst=1 src0=0 src1=0 src2=0
	v_mul_i32_i24_e32 v31 /*v287*/, v13, v158
	s_set_vgpr_msb 17                       ;  msbs: dst=0 src0=1 src1=0 src2=1
	v_add3_u32 v245, v144 /*v400*/, v245, v2 /*v258*/
	s_set_vgpr_msb 0x45                     ;  msbs: dst=1 src0=1 src1=1 src2=0
	v_mul_i32_i24_e32 v2 /*v258*/, v80 /*v336*/, v3 /*v259*/
	v_mul_i32_i24_e32 v3 /*v259*/, v81 /*v337*/, v4 /*v260*/
	s_set_vgpr_msb 64                       ;  msbs: dst=1 src0=0 src1=0 src2=0
	v_mul_i32_i24_e32 v4 /*v260*/, v13, v192
	s_set_vgpr_msb 17                       ;  msbs: dst=0 src0=1 src1=0 src2=1
	v_add3_u32 v67, v141 /*v397*/, v67, v31 /*v287*/
	s_set_vgpr_msb 64                       ;  msbs: dst=1 src0=0 src1=0 src2=0
	v_mul_i32_i24_e32 v31 /*v287*/, v13, v186
	v_bfe_u32 v39 /*v295*/, v0, 8, 2
	s_set_vgpr_msb 0x55                     ;  msbs: dst=1 src0=1 src1=1 src2=1
	v_add3_u32 v2 /*v258*/, v51 /*v307*/, v2 /*v258*/, v3 /*v259*/
	s_set_vgpr_msb 64                       ;  msbs: dst=1 src0=0 src1=0 src2=0
	v_mul_i32_i24_e32 v3 /*v259*/, v12, v195
	v_bfe_u32 v51 /*v307*/, v10, 8, 2
	s_set_vgpr_msb 0x41                     ;  msbs: dst=1 src0=1 src1=0 src2=0
	v_mul_i32_i24_e32 v80 /*v336*/, v43 /*v299*/, v209
	v_mul_i32_i24_e32 v57 /*v313*/, v39 /*v295*/, v143
	s_set_vgpr_msb 0                        ;  msbs: dst=0 src0=0 src1=0 src2=0
	v_add_nc_u32_e32 v55, v134, v133
	s_set_vgpr_msb 0x55                     ;  msbs: dst=1 src0=1 src1=1 src2=1
	v_add3_u32 v3 /*v259*/, v52 /*v308*/, v3 /*v259*/, v4 /*v260*/
	s_set_vgpr_msb 64                       ;  msbs: dst=1 src0=0 src1=0 src2=0
	v_mul_i32_i24_e32 v4 /*v260*/, v13, v166
	s_set_vgpr_msb 0                        ;  msbs: dst=0 src0=0 src1=0 src2=0
	v_mul_i32_i24_e32 v13, v13, v233
	s_set_vgpr_msb 0x41                     ;  msbs: dst=1 src0=1 src1=0 src2=0
	v_mul_i32_i24_e32 v52 /*v308*/, v51 /*v307*/, v15
	v_mul_i32_i24_e32 v81 /*v337*/, v51 /*v307*/, v209
	s_set_vgpr_msb 0                        ;  msbs: dst=0 src0=0 src1=0 src2=0
	v_add3_u32 v133, v54, v122, v31
	s_set_vgpr_msb 17                       ;  msbs: dst=0 src0=1 src1=0 src2=1
	v_add3_u32 v247, v146 /*v402*/, v247, v4 /*v260*/
	s_set_vgpr_msb 64                       ;  msbs: dst=1 src0=0 src1=0 src2=0
	v_mul_i32_i24_e32 v4 /*v260*/, v12, v168
	s_set_vgpr_msb 0                        ;  msbs: dst=0 src0=0 src1=0 src2=0
	v_mul_i32_i24_e32 v12, v12, v240
	v_add3_u32 v55, v55, v124, v30
	s_set_vgpr_msb 0x55                     ;  msbs: dst=1 src0=1 src1=1 src2=1
	v_add3_u32 v4 /*v260*/, v147 /*v403*/, v4 /*v260*/, v31 /*v287*/
	v_bfe_u32 v31 /*v287*/, v24 /*v280*/, 8, 2
	s_set_vgpr_msb 0x41                     ;  msbs: dst=1 src0=1 src1=0 src2=0
	v_add3_u32 v12 /*v268*/, v38 /*v294*/, v12, v13
	s_set_vgpr_msb 4                        ;  msbs: dst=0 src0=0 src1=1 src2=0
	v_mul_i32_i24_e32 v12, v14, v85 /*v341*/
	s_set_vgpr_msb 64                       ;  msbs: dst=1 src0=0 src1=0 src2=0
	v_and_b32_e32 v38 /*v294*/, 3, v0
	s_set_vgpr_msb 1                        ;  msbs: dst=0 src0=1 src1=0 src2=0
	v_mul_i32_i24_e32 v13, v31 /*v287*/, v15
	s_set_vgpr_msb 0x41                     ;  msbs: dst=1 src0=1 src1=0 src2=0
	v_mul_i32_i24_e32 v56 /*v312*/, v31 /*v287*/, v199
	v_mul_i32_i24_e32 v72 /*v328*/, v31 /*v287*/, v191
	s_delay_alu instid0(VALU_DEP_3)
	v_add3_u32 v35 /*v291*/, v73 /*v329*/, v12, v13
	s_set_vgpr_msb 1                        ;  msbs: dst=0 src0=1 src1=0 src2=0
	v_mul_i32_i24_e32 v12, v38 /*v294*/, v197
	v_mul_i32_i24_e32 v13, v39 /*v295*/, v196
	s_set_vgpr_msb 0x41                     ;  msbs: dst=1 src0=1 src1=0 src2=0
	v_mul_i32_i24_e32 v73 /*v329*/, v43 /*v299*/, v191
	s_delay_alu instid0(VALU_DEP_2)
	v_add3_u32 v42 /*v298*/, v66 /*v322*/, v12, v13
	s_set_vgpr_msb 4                        ;  msbs: dst=0 src0=0 src1=1 src2=0
	v_mul_i32_i24_e32 v12, v14, v91 /*v347*/
	s_set_vgpr_msb 1                        ;  msbs: dst=0 src0=1 src1=0 src2=0
	v_mul_i32_i24_e32 v13, v43 /*v299*/, v15
	s_set_vgpr_msb 0x41                     ;  msbs: dst=1 src0=1 src1=0 src2=0
	v_mul_i32_i24_e32 v66 /*v322*/, v51 /*v307*/, v199
	v_mul_i32_i24_e32 v91 /*v347*/, v39 /*v295*/, v214
	s_delay_alu instid0(VALU_DEP_3)
	v_add3_u32 v45 /*v301*/, v71 /*v327*/, v12, v13
	s_set_vgpr_msb 0                        ;  msbs: dst=0 src0=0 src1=0 src2=0
	v_add_nc_u32_e32 v12, 0x2118, v221
	s_set_vgpr_msb 0x41                     ;  msbs: dst=1 src0=1 src1=0 src2=0
	v_mul_i32_i24_e32 v71 /*v327*/, v53 /*v309*/, v143
	s_set_vgpr_msb 0                        ;  msbs: dst=0 src0=0 src1=0 src2=0
	ds_load_2addr_b32 v[12:13], v12 offset1:1
	s_wait_dscnt 0x0
	v_dual_ashrrev_i32 v12, s18, v12 :: v_dual_ashrrev_i32 v13, s18, v13
	s_set_vgpr_msb 64                       ;  msbs: dst=1 src0=0 src1=0 src2=0
	s_delay_alu instid0(VALU_DEP_1) | instskip(SKIP_2) | instid1(VALU_DEP_2)
	v_and_b32_e32 v46 /*v302*/, 3, v12
	v_bfe_u32 v47 /*v303*/, v12, 8, 2
	s_set_vgpr_msb 0x41                     ;  msbs: dst=1 src0=1 src1=0 src2=0
	v_mul_i32_i24_e32 v48 /*v304*/, v46 /*v302*/, v197
	s_delay_alu instid0(VALU_DEP_2) | instskip(SKIP_3) | instid1(VALU_DEP_3)
	v_mul_i32_i24_e32 v49 /*v305*/, v47 /*v303*/, v196
	v_mul_i32_i24_e32 v59 /*v315*/, v47 /*v303*/, v143
	;; [unrolled: 1-line block ×3, first 2 shown]
	s_set_vgpr_msb 0x55                     ;  msbs: dst=1 src0=1 src1=1 src2=1
	v_add3_u32 v48 /*v304*/, v74 /*v330*/, v48 /*v304*/, v49 /*v305*/
	s_set_vgpr_msb 0x44                     ;  msbs: dst=1 src0=0 src1=1 src2=0
	v_mul_i32_i24_e32 v49 /*v305*/, v14, v97 /*v353*/
	s_set_vgpr_msb 0x41                     ;  msbs: dst=1 src0=1 src1=0 src2=0
	v_mul_i32_i24_e32 v74 /*v330*/, v51 /*v307*/, v191
	v_mul_i32_i24_e32 v97 /*v353*/, v31 /*v287*/, v139
	s_set_vgpr_msb 4                        ;  msbs: dst=0 src0=0 src1=1 src2=0
	v_mul_i32_i24_e32 v14, v14, v20 /*v276*/
	s_set_vgpr_msb 0x55                     ;  msbs: dst=1 src0=1 src1=1 src2=1
	v_add3_u32 v49 /*v305*/, v79 /*v335*/, v49 /*v305*/, v52 /*v308*/
	s_set_vgpr_msb 0x41                     ;  msbs: dst=1 src0=1 src1=0 src2=0
	v_and_b32_e32 v52 /*v308*/, 3, v4
	v_mul_i32_i24_e32 v79 /*v335*/, v31 /*v287*/, v209
	s_delay_alu instid0(VALU_DEP_2) | instskip(SKIP_1) | instid1(VALU_DEP_1)
	v_mul_i32_i24_e32 v54 /*v310*/, v52 /*v308*/, v197
	s_set_vgpr_msb 0x55                     ;  msbs: dst=1 src0=1 src1=1 src2=1
	v_add3_u32 v54 /*v310*/, v82 /*v338*/, v54 /*v310*/, v55 /*v311*/
	s_set_vgpr_msb 0x41                     ;  msbs: dst=1 src0=1 src1=0 src2=0
	v_mul_i32_i24_e32 v55 /*v311*/, v83 /*v339*/, v198
	v_mul_i32_i24_e32 v82 /*v338*/, v39 /*v295*/, v207
	s_set_vgpr_msb 0x55                     ;  msbs: dst=1 src0=1 src1=1 src2=1
	s_delay_alu instid0(VALU_DEP_2) | instskip(SKIP_4) | instid1(VALU_DEP_2)
	v_add3_u32 v55 /*v311*/, v87 /*v343*/, v55 /*v311*/, v56 /*v312*/
	s_set_vgpr_msb 0x41                     ;  msbs: dst=1 src0=1 src1=0 src2=0
	v_mul_i32_i24_e32 v56 /*v312*/, v38 /*v294*/, v141
	v_mul_i32_i24_e32 v87 /*v343*/, v53 /*v309*/, v207
	s_set_vgpr_msb 0x55                     ;  msbs: dst=1 src0=1 src1=1 src2=1
	v_add3_u32 v56 /*v312*/, v88 /*v344*/, v56 /*v312*/, v57 /*v313*/
	s_set_vgpr_msb 0x41                     ;  msbs: dst=1 src0=1 src1=0 src2=0
	v_mul_i32_i24_e32 v57 /*v313*/, v89 /*v345*/, v198
	v_mul_i32_i24_e32 v88 /*v344*/, v31 /*v287*/, v211
	s_set_vgpr_msb 0x55                     ;  msbs: dst=1 src0=1 src1=1 src2=1
	s_delay_alu instid0(VALU_DEP_2) | instskip(SKIP_4) | instid1(VALU_DEP_2)
	v_add3_u32 v57 /*v313*/, v92 /*v348*/, v57 /*v313*/, v58 /*v314*/
	s_set_vgpr_msb 0x41                     ;  msbs: dst=1 src0=1 src1=0 src2=0
	v_mul_i32_i24_e32 v58 /*v314*/, v46 /*v302*/, v141
	;; [unrolled: 11-line block ×4, first 2 shown]
	v_mul_i32_i24_e32 v98 /*v354*/, v43 /*v299*/, v139
	s_set_vgpr_msb 0x55                     ;  msbs: dst=1 src0=1 src1=1 src2=1
	v_add3_u32 v72 /*v328*/, v99 /*v355*/, v72 /*v328*/, v73 /*v329*/
	s_set_vgpr_msb 0x41                     ;  msbs: dst=1 src0=1 src1=0 src2=0
	v_mul_i32_i24_e32 v73 /*v329*/, v157 /*v413*/, v65
	v_mul_i32_i24_e32 v99 /*v355*/, v39 /*v295*/, v190
	s_set_vgpr_msb 1                        ;  msbs: dst=0 src0=1 src1=0 src2=0
	v_mul_i32_i24_e32 v65, v164 /*v420*/, v65
	s_set_vgpr_msb 0x55                     ;  msbs: dst=1 src0=1 src1=1 src2=1
	v_add3_u32 v73 /*v329*/, v100 /*v356*/, v73 /*v329*/, v74 /*v330*/
	s_set_vgpr_msb 0x41                     ;  msbs: dst=1 src0=1 src1=0 src2=0
	v_mul_i32_i24_e32 v74 /*v330*/, v83 /*v339*/, v208
	v_mul_i32_i24_e32 v100 /*v356*/, v47 /*v303*/, v190
	s_set_vgpr_msb 0x55                     ;  msbs: dst=1 src0=1 src1=1 src2=1
	s_delay_alu instid0(VALU_DEP_2) | instskip(SKIP_4) | instid1(VALU_DEP_2)
	v_add3_u32 v74 /*v330*/, v101 /*v357*/, v74 /*v330*/, v79 /*v335*/
	s_set_vgpr_msb 0x41                     ;  msbs: dst=1 src0=1 src1=0 src2=0
	v_mul_i32_i24_e32 v79 /*v335*/, v89 /*v345*/, v208
	v_mul_i32_i24_e32 v101 /*v357*/, v53 /*v309*/, v190
	s_set_vgpr_msb 0x55                     ;  msbs: dst=1 src0=1 src1=1 src2=1
	v_add3_u32 v79 /*v335*/, v102 /*v358*/, v79 /*v335*/, v80 /*v336*/
	s_set_vgpr_msb 0x41                     ;  msbs: dst=1 src0=1 src1=0 src2=0
	v_mul_i32_i24_e32 v80 /*v336*/, v157 /*v413*/, v208
	v_mul_i32_i24_e32 v102 /*v358*/, v47 /*v303*/, v203
	s_set_vgpr_msb 0x55                     ;  msbs: dst=1 src0=1 src1=1 src2=1
	s_delay_alu instid0(VALU_DEP_2) | instskip(SKIP_4) | instid1(VALU_DEP_2)
	v_add3_u32 v80 /*v336*/, v103 /*v359*/, v80 /*v336*/, v81 /*v337*/
	s_set_vgpr_msb 0x41                     ;  msbs: dst=1 src0=1 src1=0 src2=0
	v_mul_i32_i24_e32 v81 /*v337*/, v38 /*v294*/, v206
	v_mul_i32_i24_e32 v103 /*v359*/, v39 /*v295*/, v203
	;; [unrolled: 11-line block ×3, first 2 shown]
	s_set_vgpr_msb 0x55                     ;  msbs: dst=1 src0=1 src1=1 src2=1
	v_add3_u32 v85 /*v341*/, v106 /*v362*/, v85 /*v341*/, v87 /*v343*/
	s_set_vgpr_msb 0x41                     ;  msbs: dst=1 src0=1 src1=0 src2=0
	v_mul_i32_i24_e32 v87 /*v343*/, v83 /*v339*/, v210
	v_mul_i32_i24_e32 v106 /*v362*/, v31 /*v287*/, v212
	s_set_vgpr_msb 0x55                     ;  msbs: dst=1 src0=1 src1=1 src2=1
	v_mul_i32_i24_e32 v31 /*v287*/, v31 /*v287*/, v7 /*v263*/
	s_delay_alu instid0(VALU_DEP_3)
	v_add3_u32 v87 /*v343*/, v107 /*v363*/, v87 /*v343*/, v88 /*v344*/
	s_set_vgpr_msb 0x41                     ;  msbs: dst=1 src0=1 src1=0 src2=0
	v_mul_i32_i24_e32 v88 /*v344*/, v38 /*v294*/, v213
	v_mul_i32_i24_e32 v107 /*v363*/, v39 /*v295*/, v200
	;; [unrolled: 1-line block ×3, first 2 shown]
	s_set_vgpr_msb 0x55                     ;  msbs: dst=1 src0=1 src1=1 src2=1
	s_delay_alu instid0(VALU_DEP_3) | instskip(SKIP_3) | instid1(VALU_DEP_1)
	v_add3_u32 v88 /*v344*/, v108 /*v364*/, v88 /*v344*/, v91 /*v347*/
	s_set_vgpr_msb 0x41                     ;  msbs: dst=1 src0=1 src1=0 src2=0
	v_mul_i32_i24_e32 v91 /*v347*/, v89 /*v345*/, v210
	s_set_vgpr_msb 0x55                     ;  msbs: dst=1 src0=1 src1=1 src2=1
	v_add3_u32 v91 /*v347*/, v109 /*v365*/, v91 /*v347*/, v92 /*v348*/
	s_set_vgpr_msb 0x41                     ;  msbs: dst=1 src0=1 src1=0 src2=0
	v_mul_i32_i24_e32 v92 /*v348*/, v46 /*v302*/, v213
	s_set_vgpr_msb 0x55                     ;  msbs: dst=1 src0=1 src1=1 src2=1
	s_delay_alu instid0(VALU_DEP_1) | instskip(SKIP_3) | instid1(VALU_DEP_1)
	v_add3_u32 v92 /*v348*/, v110 /*v366*/, v92 /*v348*/, v93 /*v349*/
	s_set_vgpr_msb 0x41                     ;  msbs: dst=1 src0=1 src1=0 src2=0
	v_mul_i32_i24_e32 v93 /*v349*/, v157 /*v413*/, v210
	s_set_vgpr_msb 0x55                     ;  msbs: dst=1 src0=1 src1=1 src2=1
	v_add3_u32 v93 /*v349*/, v111 /*v367*/, v93 /*v349*/, v94 /*v350*/
	s_set_vgpr_msb 0x41                     ;  msbs: dst=1 src0=1 src1=0 src2=0
	v_mul_i32_i24_e32 v94 /*v350*/, v52 /*v308*/, v213
	s_set_vgpr_msb 0x55                     ;  msbs: dst=1 src0=1 src1=1 src2=1
	s_delay_alu instid0(VALU_DEP_1) | instskip(SKIP_3) | instid1(VALU_DEP_1)
	;; [unrolled: 9-line block ×5, first 2 shown]
	v_add3_u32 v101 /*v357*/, v118 /*v374*/, v101 /*v357*/, v102 /*v358*/
	s_set_vgpr_msb 0x41                     ;  msbs: dst=1 src0=1 src1=0 src2=0
	v_mul_i32_i24_e32 v102 /*v358*/, v38 /*v294*/, v194
	s_set_vgpr_msb 0x55                     ;  msbs: dst=1 src0=1 src1=1 src2=1
	v_add3_u32 v102 /*v358*/, v119 /*v375*/, v102 /*v358*/, v103 /*v359*/
	s_set_vgpr_msb 0x41                     ;  msbs: dst=1 src0=1 src1=0 src2=0
	v_mul_i32_i24_e32 v103 /*v359*/, v157 /*v413*/, v137
	s_set_vgpr_msb 1                        ;  msbs: dst=0 src0=1 src1=0 src2=0
	v_mul_i32_i24_e32 v137, v164 /*v420*/, v137
	s_set_vgpr_msb 0x55                     ;  msbs: dst=1 src0=1 src1=1 src2=1
	s_delay_alu instid0(VALU_DEP_2) | instskip(SKIP_3) | instid1(VALU_DEP_1)
	v_add3_u32 v103 /*v359*/, v120 /*v376*/, v103 /*v359*/, v104 /*v360*/
	s_set_vgpr_msb 0x41                     ;  msbs: dst=1 src0=1 src1=0 src2=0
	v_mul_i32_i24_e32 v104 /*v360*/, v52 /*v308*/, v194
	s_set_vgpr_msb 0x55                     ;  msbs: dst=1 src0=1 src1=1 src2=1
	v_add3_u32 v104 /*v360*/, v121 /*v377*/, v104 /*v360*/, v105 /*v361*/
	s_set_vgpr_msb 0x41                     ;  msbs: dst=1 src0=1 src1=0 src2=0
	v_mul_i32_i24_e32 v105 /*v361*/, v83 /*v339*/, v202
	v_mul_i32_i24_e32 v83 /*v339*/, v83 /*v339*/, v217
	s_set_vgpr_msb 0x55                     ;  msbs: dst=1 src0=1 src1=1 src2=1
	s_delay_alu instid0(VALU_DEP_2) | instskip(NEXT) | instid1(VALU_DEP_2)
	v_add3_u32 v105 /*v361*/, v122 /*v378*/, v105 /*v361*/, v106 /*v362*/
	v_add3_u32 v31 /*v287*/, v61 /*v317*/, v83 /*v339*/, v31 /*v287*/
	s_set_vgpr_msb 0x41                     ;  msbs: dst=1 src0=1 src1=0 src2=0
	v_mul_i32_i24_e32 v61 /*v317*/, v89 /*v345*/, v217
	s_set_vgpr_msb 0x45                     ;  msbs: dst=1 src0=1 src1=1 src2=0
	v_mul_i32_i24_e32 v83 /*v339*/, v43 /*v299*/, v7 /*v263*/
	s_set_vgpr_msb 0x41                     ;  msbs: dst=1 src0=1 src1=0 src2=0
	v_mul_i32_i24_e32 v106 /*v362*/, v38 /*v294*/, v201
	v_mul_i32_i24_e32 v43 /*v299*/, v43 /*v299*/, v212
	;; [unrolled: 1-line block ×3, first 2 shown]
	s_set_vgpr_msb 0x55                     ;  msbs: dst=1 src0=1 src1=1 src2=1
	v_add3_u32 v61 /*v317*/, v62 /*v318*/, v61 /*v317*/, v83 /*v339*/
	s_set_vgpr_msb 0x41                     ;  msbs: dst=1 src0=1 src1=0 src2=0
	v_mul_i32_i24_e32 v62 /*v318*/, v157 /*v413*/, v217
	s_set_vgpr_msb 0x55                     ;  msbs: dst=1 src0=1 src1=1 src2=1
	v_mul_i32_i24_e32 v83 /*v339*/, v51 /*v307*/, v7 /*v263*/
	v_add3_u32 v38 /*v294*/, v65 /*v321*/, v38 /*v294*/, v39 /*v295*/
	s_set_vgpr_msb 0x41                     ;  msbs: dst=1 src0=1 src1=0 src2=0
	v_mul_i32_i24_e32 v39 /*v295*/, v46 /*v302*/, v220
	v_mul_i32_i24_e32 v51 /*v307*/, v51 /*v307*/, v212
	s_set_vgpr_msb 0x55                     ;  msbs: dst=1 src0=1 src1=1 src2=1
	v_add3_u32 v106 /*v362*/, v123 /*v379*/, v106 /*v362*/, v107 /*v363*/
	v_add3_u32 v62 /*v318*/, v63 /*v319*/, v62 /*v318*/, v83 /*v339*/
	s_set_vgpr_msb 0x41                     ;  msbs: dst=1 src0=1 src1=0 src2=0
	v_mul_i32_i24_e32 v63 /*v319*/, v89 /*v345*/, v202
	s_set_vgpr_msb 0x55                     ;  msbs: dst=1 src0=1 src1=1 src2=1
	s_delay_alu instid0(VALU_DEP_1)
	v_add3_u32 v43 /*v299*/, v64 /*v320*/, v63 /*v319*/, v43 /*v299*/
	s_set_vgpr_msb 0x41                     ;  msbs: dst=1 src0=1 src1=0 src2=0
	v_mul_i32_i24_e32 v63 /*v319*/, v46 /*v302*/, v201
	v_mul_i32_i24_e32 v46 /*v302*/, v47 /*v303*/, v248
	;; [unrolled: 1-line block ×3, first 2 shown]
	s_set_vgpr_msb 64                       ;  msbs: dst=1 src0=0 src1=0 src2=0
	v_bfe_i32 v47 /*v303*/, v228, 8, 8
	s_set_vgpr_msb 0x55                     ;  msbs: dst=1 src0=1 src1=1 src2=1
	v_add3_u32 v36 /*v292*/, v36 /*v292*/, v39 /*v295*/, v46 /*v302*/
	s_set_vgpr_msb 0x41                     ;  msbs: dst=1 src0=1 src1=0 src2=0
	v_mul_i32_i24_e32 v39 /*v295*/, v52 /*v308*/, v220
	v_mul_i32_i24_e32 v46 /*v302*/, v53 /*v309*/, v248
	s_set_vgpr_msb 0x55                     ;  msbs: dst=1 src0=1 src1=1 src2=1
	v_add3_u32 v63 /*v319*/, v67 /*v323*/, v63 /*v319*/, v64 /*v320*/
	s_set_vgpr_msb 0x41                     ;  msbs: dst=1 src0=1 src1=0 src2=0
	v_mul_i32_i24_e32 v64 /*v320*/, v157 /*v413*/, v202
	v_mul_i32_i24_e32 v67 /*v323*/, v53 /*v309*/, v200
	s_set_vgpr_msb 0x55                     ;  msbs: dst=1 src0=1 src1=1 src2=1
	v_add3_u32 v37 /*v293*/, v37 /*v293*/, v39 /*v295*/, v46 /*v302*/
	s_set_vgpr_msb 64                       ;  msbs: dst=1 src0=0 src1=0 src2=0
	v_add3_u32 v39 /*v295*/, v173, v190, v109
	v_bfe_i32 v46 /*v302*/, v228, 0, 8
	s_set_vgpr_msb 0x55                     ;  msbs: dst=1 src0=1 src1=1 src2=1
	v_add3_u32 v51 /*v307*/, v68 /*v324*/, v64 /*v320*/, v51 /*v307*/
	s_set_vgpr_msb 0x41                     ;  msbs: dst=1 src0=1 src1=0 src2=0
	v_mul_i32_i24_e32 v64 /*v320*/, v52 /*v308*/, v201
	s_set_vgpr_msb 0x45                     ;  msbs: dst=1 src0=1 src1=1 src2=0
	v_mul_i32_i24_e32 v52 /*v308*/, v39 /*v295*/, v47 /*v303*/
	s_set_vgpr_msb 4                        ;  msbs: dst=0 src0=0 src1=1 src2=0
	v_mul_i32_i24_e32 v173, v227, v46 /*v302*/
	s_set_vgpr_msb 0x55                     ;  msbs: dst=1 src0=1 src1=1 src2=1
	v_add3_u32 v64 /*v320*/, v69 /*v325*/, v64 /*v320*/, v67 /*v323*/
	s_set_vgpr_msb 0x51                     ;  msbs: dst=1 src0=1 src1=0 src2=1
	s_delay_alu instid0(VALU_DEP_2) | instskip(SKIP_2) | instid1(VALU_DEP_1)
	v_add3_u32 v32 /*v288*/, v32 /*v288*/, v173, v52 /*v308*/
	s_set_vgpr_msb 0                        ;  msbs: dst=0 src0=0 src1=0 src2=0
	v_lshrrev_b16 v173, 8, v8
	v_and_b32_e32 v234, 0xffff, v173
	s_delay_alu instid0(VALU_DEP_1) | instskip(NEXT) | instid1(VALU_DEP_1)
	v_lshrrev_b32_e32 v234, 4, v234
	v_mul_lo_u32 v234, 0x1010101, v234
	s_delay_alu instid0(VALU_DEP_1) | instskip(SKIP_3) | instid1(VALU_DEP_2)
	v_bfe_i32 v235, v234, 0, 8
	s_set_vgpr_msb 64                       ;  msbs: dst=1 src0=0 src1=0 src2=0
	v_bfe_i32 v52 /*v308*/, v234, 8, 8
	s_set_vgpr_msb 0                        ;  msbs: dst=0 src0=0 src1=0 src2=0
	v_mul_i32_i24_e32 v171, v204, v235
	s_set_vgpr_msb 4                        ;  msbs: dst=0 src0=0 src1=1 src2=0
	s_delay_alu instid0(VALU_DEP_2)
	v_mul_i32_i24_e32 v174, v205, v52 /*v308*/
	s_set_vgpr_msb 64                       ;  msbs: dst=1 src0=0 src1=0 src2=0
	v_mul_i32_i24_e32 v53 /*v309*/, v230, v235
	s_set_vgpr_msb 0x44                     ;  msbs: dst=1 src0=0 src1=1 src2=0
	v_mul_i32_i24_e32 v65 /*v321*/, v231, v52 /*v308*/
	s_set_vgpr_msb 0x41                     ;  msbs: dst=1 src0=1 src1=0 src2=0
	v_add3_u32 v9 /*v265*/, v9 /*v265*/, v171, v174
	s_set_vgpr_msb 0                        ;  msbs: dst=0 src0=0 src1=0 src2=0
	v_dual_add_nc_u32 v171, v218, v215 :: v_dual_add_nc_u32 v174, v219, v216
	s_set_vgpr_msb 0x55                     ;  msbs: dst=1 src0=1 src1=1 src2=1
	v_add3_u32 v26 /*v282*/, v26 /*v282*/, v53 /*v309*/, v65 /*v321*/
	s_set_vgpr_msb 0                        ;  msbs: dst=0 src0=0 src1=0 src2=0
	s_delay_alu instid0(VALU_DEP_2) | instskip(SKIP_1) | instid1(VALU_DEP_2)
	v_add3_u32 v215, v171, v141, v95
	v_add3_u32 v216, v174, v143, v104
	v_mul_i32_i24_e32 v171, v215, v235
	s_set_vgpr_msb 4                        ;  msbs: dst=0 src0=0 src1=1 src2=0
	s_delay_alu instid0(VALU_DEP_2) | instskip(SKIP_1) | instid1(VALU_DEP_1)
	v_mul_i32_i24_e32 v174, v216, v52 /*v308*/
	s_set_vgpr_msb 1                        ;  msbs: dst=0 src0=1 src1=0 src2=0
	v_add3_u32 v218, v19 /*v275*/, v171, v174
	s_set_vgpr_msb 4                        ;  msbs: dst=0 src0=0 src1=1 src2=0
	v_mul_i32_i24_e32 v171, v204, v46 /*v302*/
	v_mul_i32_i24_e32 v174, v205, v47 /*v303*/
	s_set_vgpr_msb 1                        ;  msbs: dst=0 src0=1 src1=0 src2=0
	s_delay_alu instid0(VALU_DEP_1) | instskip(SKIP_4) | instid1(VALU_DEP_1)
	v_add3_u32 v219, v41 /*v297*/, v171, v174
	s_set_vgpr_msb 4                        ;  msbs: dst=0 src0=0 src1=1 src2=0
	v_mul_i32_i24_e32 v171, v215, v46 /*v302*/
	v_mul_i32_i24_e32 v174, v216, v47 /*v303*/
	s_set_vgpr_msb 0x41                     ;  msbs: dst=1 src0=1 src1=0 src2=0
	v_add3_u32 v19 /*v275*/, v40 /*v296*/, v171, v174
	s_set_vgpr_msb 0                        ;  msbs: dst=0 src0=0 src1=0 src2=0
	v_lshrrev_b16 v174, 8, v153
	s_delay_alu instid0(VALU_DEP_1) | instskip(NEXT) | instid1(VALU_DEP_1)
	v_and_b32_e32 v171, 0xffff, v174
	v_lshrrev_b32_e32 v171, 4, v171
	s_set_vgpr_msb 0x41                     ;  msbs: dst=1 src0=1 src1=0 src2=0
	s_delay_alu instid0(VALU_DEP_1) | instskip(NEXT) | instid1(VALU_DEP_1)
	v_mul_lo_u32 v40 /*v296*/, 0x1010101, v171
	v_bfe_i32 v41 /*v297*/, v40 /*v296*/, 0, 8
	v_bfe_i32 v53 /*v309*/, v40 /*v296*/, 8, 8
	s_set_vgpr_msb 4                        ;  msbs: dst=0 src0=0 src1=1 src2=0
	s_delay_alu instid0(VALU_DEP_2) | instskip(SKIP_1) | instid1(VALU_DEP_2)
	v_mul_i32_i24_e32 v171, v227, v41 /*v297*/
	s_set_vgpr_msb 0x45                     ;  msbs: dst=1 src0=1 src1=1 src2=0
	v_mul_i32_i24_e32 v65 /*v321*/, v39 /*v295*/, v53 /*v309*/
	s_set_vgpr_msb 0x44                     ;  msbs: dst=1 src0=0 src1=1 src2=0
	v_mul_i32_i24_e32 v67 /*v323*/, v216, v53 /*v309*/
	s_set_vgpr_msb 0x51                     ;  msbs: dst=1 src0=1 src1=0 src2=1
	s_delay_alu instid0(VALU_DEP_2) | instskip(SKIP_3) | instid1(VALU_DEP_1)
	v_add3_u32 v65 /*v321*/, v70 /*v326*/, v171, v65 /*v321*/
	s_set_vgpr_msb 4                        ;  msbs: dst=0 src0=0 src1=1 src2=0
	v_mul_i32_i24_e32 v171, v215, v41 /*v297*/
	s_set_vgpr_msb 0x51                     ;  msbs: dst=1 src0=1 src1=0 src2=1
	v_add3_u32 v34 /*v290*/, v34 /*v290*/, v171, v67 /*v323*/
	s_set_vgpr_msb 0                        ;  msbs: dst=0 src0=0 src1=0 src2=0
	v_add_nc_u32_e32 v171, v225, v224
	s_delay_alu instid0(VALU_DEP_1)
	v_add3_u32 v224, v171, v206, v111
	s_set_vgpr_msb 5                        ;  msbs: dst=0 src0=1 src1=1 src2=0
	v_mul_i32_i24_e32 v171, v44 /*v300*/, v33 /*v289*/
	s_set_vgpr_msb 0x45                     ;  msbs: dst=1 src0=1 src1=1 src2=0
	v_mul_i32_i24_e32 v33 /*v289*/, v39 /*v295*/, v52 /*v308*/
	s_set_vgpr_msb 4                        ;  msbs: dst=0 src0=0 src1=1 src2=0
	v_mul_i32_i24_e32 v225, v224, v41 /*v297*/
	s_set_vgpr_msb 1                        ;  msbs: dst=0 src0=1 src1=0 src2=0
	s_delay_alu instid0(VALU_DEP_1) | instskip(SKIP_3) | instid1(VALU_DEP_1)
	v_add3_u32 v225, v158 /*v414*/, v171, v225
	s_set_vgpr_msb 0                        ;  msbs: dst=0 src0=0 src1=0 src2=0
	v_mul_i32_i24_e32 v171, v227, v235
	s_set_vgpr_msb 0x51                     ;  msbs: dst=1 src0=1 src1=0 src2=1
	v_add3_u32 v33 /*v289*/, v76 /*v332*/, v171, v33 /*v289*/
	s_set_vgpr_msb 0                        ;  msbs: dst=0 src0=0 src1=0 src2=0
	v_add_nc_u32_e32 v171, v223, v222
	s_delay_alu instid0(VALU_DEP_1) | instskip(SKIP_2) | instid1(VALU_DEP_2)
	v_add3_u32 v222, v171, v207, v112
	v_mul_i32_i24_e32 v171, v224, v235
	s_set_vgpr_msb 4                        ;  msbs: dst=0 src0=0 src1=1 src2=0
	v_mul_i32_i24_e32 v223, v222, v52 /*v308*/
	s_set_vgpr_msb 1                        ;  msbs: dst=0 src0=1 src1=0 src2=0
	s_delay_alu instid0(VALU_DEP_1)
	v_add3_u32 v223, v75 /*v331*/, v171, v223
	s_set_vgpr_msb 5                        ;  msbs: dst=0 src0=1 src1=1 src2=0
	v_mul_i32_i24_e32 v171, v44 /*v300*/, v10 /*v266*/
	s_set_vgpr_msb 0x44                     ;  msbs: dst=1 src0=0 src1=1 src2=0
	v_mul_i32_i24_e32 v10 /*v266*/, v224, v46 /*v302*/
	v_mul_i32_i24_e32 v44 /*v300*/, v231, v53 /*v309*/
	s_set_vgpr_msb 0x51                     ;  msbs: dst=1 src0=1 src1=0 src2=1
	s_delay_alu instid0(VALU_DEP_2)
	v_add3_u32 v10 /*v266*/, v132 /*v388*/, v171, v10 /*v266*/
	s_set_vgpr_msb 0                        ;  msbs: dst=0 src0=0 src1=0 src2=0
	v_add_nc_u32_e32 v171, v243, v241
	s_set_vgpr_msb 5                        ;  msbs: dst=0 src0=1 src1=1 src2=0
	v_mul_i32_i24_e32 v241, v50 /*v306*/, v18 /*v274*/
	s_set_vgpr_msb 0x44                     ;  msbs: dst=1 src0=0 src1=1 src2=0
	v_mul_i32_i24_e32 v18 /*v274*/, v231, v47 /*v303*/
	s_set_vgpr_msb 0                        ;  msbs: dst=0 src0=0 src1=0 src2=0
	v_add3_u32 v243, v171, v213, v118
	s_delay_alu instid0(VALU_DEP_1) | instskip(SKIP_1) | instid1(VALU_DEP_1)
	v_mul_i32_i24_e32 v171, v243, v235
	s_set_vgpr_msb 1                        ;  msbs: dst=0 src0=1 src1=0 src2=0
	v_add3_u32 v241, v163 /*v419*/, v241, v171
	s_set_vgpr_msb 0                        ;  msbs: dst=0 src0=0 src1=0 src2=0
	v_add_nc_u32_e32 v171, v242, v239
	s_delay_alu instid0(VALU_DEP_1) | instskip(SKIP_2) | instid1(VALU_DEP_2)
	v_add3_u32 v239, v171, v214, v120
	s_set_vgpr_msb 4                        ;  msbs: dst=0 src0=0 src1=1 src2=0
	v_mul_i32_i24_e32 v171, v243, v46 /*v302*/
	v_mul_i32_i24_e32 v242, v239, v47 /*v303*/
	s_set_vgpr_msb 0x44                     ;  msbs: dst=1 src0=0 src1=1 src2=0
	v_mul_i32_i24_e32 v50 /*v306*/, v239, v53 /*v309*/
	s_set_vgpr_msb 1                        ;  msbs: dst=0 src0=1 src1=0 src2=0
	s_delay_alu instid0(VALU_DEP_2) | instskip(SKIP_3) | instid1(VALU_DEP_1)
	v_add3_u32 v242, v78 /*v334*/, v171, v242
	s_set_vgpr_msb 4                        ;  msbs: dst=0 src0=0 src1=1 src2=0
	v_mul_i32_i24_e32 v171, v230, v46 /*v302*/
	s_set_vgpr_msb 0x51                     ;  msbs: dst=1 src0=1 src1=0 src2=1
	v_add3_u32 v18 /*v274*/, v77 /*v333*/, v171, v18 /*v274*/
	s_set_vgpr_msb 4                        ;  msbs: dst=0 src0=0 src1=1 src2=0
	v_mul_i32_i24_e32 v171, v230, v41 /*v297*/
	s_set_vgpr_msb 0x51                     ;  msbs: dst=1 src0=1 src1=0 src2=1
	s_delay_alu instid0(VALU_DEP_1) | instskip(SKIP_3) | instid1(VALU_DEP_1)
	v_add3_u32 v44 /*v300*/, v86 /*v342*/, v171, v44 /*v300*/
	s_set_vgpr_msb 4                        ;  msbs: dst=0 src0=0 src1=1 src2=0
	v_mul_i32_i24_e32 v171, v243, v41 /*v297*/
	s_set_vgpr_msb 0x51                     ;  msbs: dst=1 src0=1 src1=0 src2=1
	v_add3_u32 v50 /*v306*/, v84 /*v340*/, v171, v50 /*v306*/
	s_set_vgpr_msb 0                        ;  msbs: dst=0 src0=0 src1=0 src2=0
	v_lshrrev_b16 v171, 8, v6
	s_set_vgpr_msb 64                       ;  msbs: dst=1 src0=0 src1=0 src2=0
	s_delay_alu instid0(VALU_DEP_1) | instskip(SKIP_1) | instid1(VALU_DEP_1)
	v_and_b32_e32 v67 /*v323*/, 0xffff, v171
	s_set_vgpr_msb 0x44                     ;  msbs: dst=1 src0=0 src1=1 src2=0
	v_lshrrev_b32_e32 v67 /*v323*/, 4, v67 /*v323*/
	s_delay_alu instid0(VALU_DEP_1) | instskip(SKIP_1) | instid1(VALU_DEP_1)
	v_mul_lo_u32 v67 /*v323*/, 0x1010101, v67 /*v323*/
	s_set_vgpr_msb 0x41                     ;  msbs: dst=1 src0=1 src1=0 src2=0
	v_bfe_i32 v68 /*v324*/, v67 /*v323*/, 0, 8
	v_bfe_i32 v69 /*v325*/, v67 /*v323*/, 8, 8
	s_set_vgpr_msb 4                        ;  msbs: dst=0 src0=0 src1=1 src2=0
	v_lshrrev_b32_e32 v233, 24, v67 /*v323*/
	s_delay_alu instid0(VALU_DEP_3) | instskip(NEXT) | instid1(VALU_DEP_3)
	v_mul_i32_i24_e32 v230, v230, v68 /*v324*/
	v_mul_i32_i24_e32 v231, v231, v69 /*v325*/
	;; [unrolled: 1-line block ×6, first 2 shown]
	s_set_vgpr_msb 1                        ;  msbs: dst=0 src0=1 src1=0 src2=0
	v_add3_u32 v230, v21 /*v277*/, v230, v231
	s_set_vgpr_msb 4                        ;  msbs: dst=0 src0=0 src1=1 src2=0
	v_mul_i32_i24_e32 v231, v243, v68 /*v324*/
	v_mul_i32_i24_e32 v243, v239, v69 /*v325*/
	s_set_vgpr_msb 0                        ;  msbs: dst=0 src0=0 src1=0 src2=0
	v_add3_u32 v147, v255, v147, v193
	v_add_nc_u32_e32 v193, v240, v238
	s_set_vgpr_msb 4                        ;  msbs: dst=0 src0=0 src1=1 src2=0
	v_mul_i32_i24_e32 v240, v64, v41 /*v297*/
	s_set_vgpr_msb 1                        ;  msbs: dst=0 src0=1 src1=0 src2=0
	v_add3_u32 v215, v14 /*v270*/, v215, v216
	v_add3_u32 v231, v17 /*v273*/, v231, v243
	s_set_vgpr_msb 4                        ;  msbs: dst=0 src0=0 src1=1 src2=0
	v_mul_i32_i24_e32 v243, v145, v53 /*v309*/
	v_mul_i32_i24_e32 v216, v204, v68 /*v324*/
	s_set_vgpr_msb 0x44                     ;  msbs: dst=1 src0=0 src1=1 src2=0
	v_mul_i32_i24_e32 v14 /*v270*/, v205, v69 /*v325*/
	s_set_vgpr_msb 4                        ;  msbs: dst=0 src0=0 src1=1 src2=0
	v_mul_i32_i24_e32 v204, v204, v41 /*v297*/
	v_mul_i32_i24_e32 v205, v205, v53 /*v309*/
	s_set_vgpr_msb 1                        ;  msbs: dst=0 src0=1 src1=0 src2=0
	v_add3_u32 v240, v27 /*v283*/, v240, v243
	s_set_vgpr_msb 5                        ;  msbs: dst=0 src0=1 src1=1 src2=0
	v_add_nc_u32_e32 v243, v60 /*v316*/, v13 /*v269*/
	s_set_vgpr_msb 4                        ;  msbs: dst=0 src0=0 src1=1 src2=0
	v_mul_i32_i24_e32 v236, v232, v68 /*v324*/
	v_mul_i32_i24_e32 v255, v232, v41 /*v297*/
	s_set_vgpr_msb 1                        ;  msbs: dst=0 src0=1 src1=0 src2=0
	v_add3_u32 v204, v0 /*v256*/, v204, v205
	s_set_vgpr_msb 0                        ;  msbs: dst=0 src0=0 src1=0 src2=0
	v_mul_i32_i24_e32 v237, v229, v233
	v_add3_u32 v243, v243, v248, v226
	s_set_vgpr_msb 5                        ;  msbs: dst=0 src0=1 src1=1 src2=0
	v_mad_i32_i24 v236, v5 /*v261*/, v124 /*v380*/, v236
	s_set_vgpr_msb 0x44                     ;  msbs: dst=1 src0=0 src1=1 src2=0
	v_mul_i32_i24_e32 v5 /*v261*/, v145, v52 /*v308*/
	s_set_vgpr_msb 4                        ;  msbs: dst=0 src0=0 src1=1 src2=0
	v_mul_i32_i24_e32 v145, v145, v47 /*v303*/
	s_set_vgpr_msb 5                        ;  msbs: dst=0 src0=1 src1=1 src2=0
	v_mad_i32_i24 v237, v8 /*v264*/, v125 /*v381*/, v237
	s_set_vgpr_msb 0x44                     ;  msbs: dst=1 src0=0 src1=1 src2=0
	v_mul_i32_i24_e32 v0 /*v256*/, v243, v53 /*v309*/
	s_set_vgpr_msb 17                       ;  msbs: dst=0 src0=1 src1=0 src2=1
	v_add3_u32 v216, v126 /*v382*/, v216, v14 /*v270*/
	s_set_vgpr_msb 4                        ;  msbs: dst=0 src0=0 src1=1 src2=0
	v_mul_i32_i24_e32 v224, v224, v68 /*v324*/
	s_set_vgpr_msb 0x44                     ;  msbs: dst=1 src0=0 src1=1 src2=0
	v_mul_i32_i24_e32 v14 /*v270*/, v222, v69 /*v325*/
	s_set_vgpr_msb 4                        ;  msbs: dst=0 src0=0 src1=1 src2=0
	v_mul_i32_i24_e32 v227, v227, v68 /*v324*/
	s_set_vgpr_msb 17                       ;  msbs: dst=0 src0=1 src1=0 src2=1
	v_add3_u32 v255, v25 /*v281*/, v255, v0 /*v256*/
	s_set_vgpr_msb 64                       ;  msbs: dst=1 src0=0 src1=0 src2=0
	v_mul_i32_i24_e32 v0 /*v256*/, v64, v235
	s_set_vgpr_msb 4                        ;  msbs: dst=0 src0=0 src1=1 src2=0
	v_mul_i32_i24_e32 v64, v64, v46 /*v302*/
	s_set_vgpr_msb 0                        ;  msbs: dst=0 src0=0 src1=0 src2=0
	v_mul_i32_i24_e32 v235, v232, v235
	s_set_vgpr_msb 17                       ;  msbs: dst=0 src0=1 src1=0 src2=1
	v_add3_u32 v224, v16 /*v272*/, v224, v14 /*v270*/
	s_set_vgpr_msb 0x55                     ;  msbs: dst=1 src0=1 src1=1 src2=1
	v_mul_i32_i24_e32 v14 /*v270*/, v39 /*v295*/, v69 /*v325*/
	v_add3_u32 v0 /*v256*/, v30 /*v286*/, v0 /*v256*/, v5 /*v261*/
	s_set_vgpr_msb 0                        ;  msbs: dst=0 src0=0 src1=0 src2=0
	v_add3_u32 v64, v251, v64, v145
	s_set_vgpr_msb 4                        ;  msbs: dst=0 src0=0 src1=1 src2=0
	v_mul_i32_i24_e32 v145, v232, v46 /*v302*/
	v_mul_i32_i24_e32 v232, v243, v47 /*v303*/
	s_set_vgpr_msb 0x44                     ;  msbs: dst=1 src0=0 src1=1 src2=0
	v_mul_i32_i24_e32 v5 /*v261*/, v243, v52 /*v308*/
	s_set_vgpr_msb 17                       ;  msbs: dst=0 src0=1 src1=0 src2=1
	v_add3_u32 v227, v15 /*v271*/, v227, v14 /*v270*/
	s_set_vgpr_msb 0                        ;  msbs: dst=0 src0=0 src1=0 src2=0
	v_add3_u32 v193, v193, v184, v152
	s_set_vgpr_msb 1                        ;  msbs: dst=0 src0=1 src1=0 src2=0
	v_bfe_i32 v205, v67 /*v323*/, 16, 8
	s_set_vgpr_msb 0                        ;  msbs: dst=0 src0=0 src1=0 src2=0
	v_add3_u32 v145, v252, v145, v232
	v_bfe_u32 v232, v2, 8, 2
	s_set_vgpr_msb 17                       ;  msbs: dst=0 src0=1 src1=0 src2=1
	v_add3_u32 v235, v28 /*v284*/, v235, v5 /*v261*/
	s_set_vgpr_msb 0x41                     ;  msbs: dst=1 src0=1 src1=0 src2=0
	v_bfe_i32 v30 /*v286*/, v40 /*v296*/, 16, 8
	s_set_vgpr_msb 0                        ;  msbs: dst=0 src0=0 src1=0 src2=0
	v_mul_i32_i24_e32 v238, v193, v205
	v_mul_i32_i24_e32 v54, v133, v233
	v_mul_i32_i24_e32 v15, v232, v15
	v_mul_i32_i24_e32 v139, v232, v139
	v_mul_i32_i24_e32 v134, v55, v205
	s_set_vgpr_msb 5                        ;  msbs: dst=0 src0=1 src1=1 src2=0
	v_mad_i32_i24 v238, v22 /*v278*/, v90 /*v346*/, v238
	s_set_vgpr_msb 0                        ;  msbs: dst=0 src0=0 src1=0 src2=0
	v_add3_u32 v251, v253, v14, v15
	ds_load_2addr_b32 v[14:15], v221 offset0:6 offset1:7
	v_add3_u32 v137, v246, v137, v139
	s_wait_dscnt 0x0
	v_ashrrev_i32_e32 v221, s18, v14
	s_delay_alu instid0(VALU_DEP_1) | instskip(SKIP_1) | instid1(VALU_DEP_2)
	v_and_b32_e32 v14, 3, v221
	v_bfe_u32 v252, v221, 8, 2
	v_mul_i32_i24_e32 v141, v14, v141
	s_delay_alu instid0(VALU_DEP_2)
	v_mul_i32_i24_e32 v143, v252, v143
	v_mul_i32_i24_e32 v197, v14, v197
	;; [unrolled: 1-line block ×5, first 2 shown]
	v_add3_u32 v67, v67, v141, v143
	v_mul_i32_i24_e32 v141, v232, v191
	v_mul_i32_i24_e32 v143, v232, v209
	v_add3_u32 v196, v254, v197, v196
	s_set_vgpr_msb 1                        ;  msbs: dst=0 src0=1 src1=0 src2=0
	v_mul_i32_i24_e32 v197, v164 /*v420*/, v198
	s_set_vgpr_msb 0                        ;  msbs: dst=0 src0=0 src1=0 src2=0
	v_mul_i32_i24_e32 v198, v232, v199
	v_add3_u32 v65, v249, v65, v141
	s_set_vgpr_msb 1                        ;  msbs: dst=0 src0=1 src1=0 src2=0
	v_mul_i32_i24_e32 v141, v164 /*v420*/, v208
	s_set_vgpr_msb 0                        ;  msbs: dst=0 src0=0 src1=0 src2=0
	v_mul_i32_i24_e32 v191, v252, v207
	v_add3_u32 v139, v247, v139, v188
	v_add3_u32 v66, v66, v197, v198
	v_mul_i32_i24_e32 v197, v232, v212
	v_add3_u32 v141, v250, v141, v143
	v_mul_i32_i24_e32 v143, v14, v206
	v_mul_i32_i24_e32 v198, v252, v200
	;; [unrolled: 1-line block ×5, first 2 shown]
	s_set_vgpr_msb 1                        ;  msbs: dst=0 src0=1 src1=0 src2=0
	v_add3_u32 v143, v1 /*v257*/, v143, v191
	v_mul_i32_i24_e32 v191, v164 /*v420*/, v202
	s_set_vgpr_msb 4                        ;  msbs: dst=0 src0=0 src1=1 src2=0
	v_mul_i32_i24_e32 v194, v232, v7 /*v263*/
	s_set_vgpr_msb 1                        ;  msbs: dst=0 src0=1 src1=0 src2=0
	v_add3_u32 v188, v4 /*v260*/, v188, v190
	v_mul_i32_i24_e32 v190, v164 /*v420*/, v217
	s_set_vgpr_msb 0                        ;  msbs: dst=0 src0=0 src1=0 src2=0
	v_mul_i32_i24_e32 v200, v252, v214
	v_add3_u32 v191, v244, v191, v197
	v_mul_i32_i24_e32 v197, v14, v201
	s_set_vgpr_msb 1                        ;  msbs: dst=0 src0=1 src1=0 src2=0
	v_bfe_u32 v203, v29 /*v285*/, 24, 2
	v_add3_u32 v190, v11 /*v267*/, v190, v194
	s_set_vgpr_msb 0                        ;  msbs: dst=0 src0=0 src1=0 src2=0
	v_mul_i32_i24_e32 v194, v252, v248
	v_add3_u32 v197, v245, v197, v198
	s_set_vgpr_msb 1                        ;  msbs: dst=0 src0=1 src1=0 src2=0
	v_mul_i32_i24_e32 v198, v164 /*v420*/, v210
	s_set_vgpr_msb 0                        ;  msbs: dst=0 src0=0 src1=0 src2=0
	v_mul_i32_i24_e32 v207, v203, v119
	v_mul_i32_i24_e32 v246, v203, v142
	;; [unrolled: 1-line block ×3, first 2 shown]
	s_set_vgpr_msb 64                       ;  msbs: dst=1 src0=0 src1=0 src2=0
	v_mul_i32_i24_e32 v7 /*v263*/, v203, v178
	s_set_vgpr_msb 1                        ;  msbs: dst=0 src0=1 src1=0 src2=0
	v_add3_u32 v198, v2 /*v258*/, v198, v199
	s_set_vgpr_msb 0                        ;  msbs: dst=0 src0=0 src1=0 src2=0
	v_mul_i32_i24_e32 v199, v14, v213
	v_mul_i32_i24_e32 v14, v14, v220
	;; [unrolled: 1-line block ×3, first 2 shown]
	s_set_vgpr_msb 64                       ;  msbs: dst=1 src0=0 src1=0 src2=0
	v_mul_i32_i24_e32 v14 /*v270*/, v203, v130
	s_set_vgpr_msb 1                        ;  msbs: dst=0 src0=1 src1=0 src2=0
	v_add3_u32 v199, v3 /*v259*/, v199, v200
	v_add3_u32 v194, v12 /*v268*/, v14, v194
	v_bfe_u32 v14, v24 /*v280*/, 16, 2
	v_bfe_u32 v200, v24 /*v280*/, 24, 2
	s_set_vgpr_msb 0                        ;  msbs: dst=0 src0=0 src1=0 src2=0
	s_delay_alu instid0(VALU_DEP_2) | instskip(NEXT) | instid1(VALU_DEP_2)
	v_mul_i32_i24_e32 v201, v14, v117
	v_mul_i32_i24_e32 v202, v200, v119
	;; [unrolled: 1-line block ×5, first 2 shown]
	s_set_vgpr_msb 64                       ;  msbs: dst=1 src0=0 src1=0 src2=0
	v_mul_i32_i24_e32 v4 /*v260*/, v200, v178
	s_set_vgpr_msb 1                        ;  msbs: dst=0 src0=1 src1=0 src2=0
	v_add3_u32 v201, v35 /*v291*/, v201, v202
	v_bfe_u32 v202, v29 /*v285*/, 16, 2
	s_set_vgpr_msb 64                       ;  msbs: dst=1 src0=0 src1=0 src2=0
	v_mul_i32_i24_e32 v13 /*v269*/, v200, v130
	v_mul_i32_i24_e32 v25 /*v281*/, v200, v128
	s_set_vgpr_msb 0                        ;  msbs: dst=0 src0=0 src1=0 src2=0
	v_mul_i32_i24_e32 v200, v200, v181
	v_mul_i32_i24_e32 v206, v202, v117
	s_set_vgpr_msb 1                        ;  msbs: dst=0 src0=1 src1=0 src2=0
	s_delay_alu instid0(VALU_DEP_1) | instskip(SKIP_3) | instid1(VALU_DEP_2)
	v_add3_u32 v206, v45 /*v301*/, v206, v207
	s_set_vgpr_msb 0                        ;  msbs: dst=0 src0=0 src1=0 src2=0
	v_bfe_u32 v207, v10, 16, 2
	v_bfe_u32 v10, v10, 24, 2
	v_mul_i32_i24_e32 v208, v207, v117
	s_delay_alu instid0(VALU_DEP_2)
	v_mul_i32_i24_e32 v209, v10, v119
	v_mul_i32_i24_e32 v220, v10, v126
	;; [unrolled: 1-line block ×4, first 2 shown]
	s_set_vgpr_msb 64                       ;  msbs: dst=1 src0=0 src1=0 src2=0
	v_mul_i32_i24_e32 v11 /*v267*/, v10, v178
	s_set_vgpr_msb 1                        ;  msbs: dst=0 src0=1 src1=0 src2=0
	v_add3_u32 v208, v49 /*v305*/, v208, v209
	s_set_vgpr_msb 0                        ;  msbs: dst=0 src0=0 src1=0 src2=0
	v_mul_i32_i24_e32 v209, v14, v125
	s_set_vgpr_msb 64                       ;  msbs: dst=1 src0=0 src1=0 src2=0
	v_mul_i32_i24_e32 v22 /*v278*/, v10, v130
	v_mul_i32_i24_e32 v28 /*v284*/, v10, v181
	s_set_vgpr_msb 0                        ;  msbs: dst=0 src0=0 src1=0 src2=0
	v_mul_i32_i24_e32 v10, v10, v128
	s_set_vgpr_msb 1                        ;  msbs: dst=0 src0=1 src1=0 src2=0
	v_add3_u32 v209, v55 /*v311*/, v209, v210
	s_set_vgpr_msb 0                        ;  msbs: dst=0 src0=0 src1=0 src2=0
	v_bfe_u32 v210, v0, 16, 2
	v_bfe_u32 v0, v0, 24, 2
	s_delay_alu instid0(VALU_DEP_2) | instskip(NEXT) | instid1(VALU_DEP_2)
	v_mul_i32_i24_e32 v211, v210, v131
	v_mul_i32_i24_e32 v212, v0, v132
	;; [unrolled: 1-line block ×3, first 2 shown]
	s_set_vgpr_msb 64                       ;  msbs: dst=1 src0=0 src1=0 src2=0
	v_mul_i32_i24_e32 v1 /*v257*/, v0, v170
	v_mul_i32_i24_e32 v5 /*v261*/, v0, v180
	;; [unrolled: 1-line block ×3, first 2 shown]
	s_set_vgpr_msb 1                        ;  msbs: dst=0 src0=1 src1=0 src2=0
	v_add3_u32 v211, v56 /*v312*/, v211, v212
	s_set_vgpr_msb 0                        ;  msbs: dst=0 src0=0 src1=0 src2=0
	v_mul_i32_i24_e32 v212, v202, v125
	s_set_vgpr_msb 64                       ;  msbs: dst=1 src0=0 src1=0 src2=0
	v_mul_i32_i24_e32 v21 /*v277*/, v0, v146
	v_mul_i32_i24_e32 v27 /*v283*/, v0, v122
	s_set_vgpr_msb 0                        ;  msbs: dst=0 src0=0 src1=0 src2=0
	v_mul_i32_i24_e32 v0, v0, v183
	s_set_vgpr_msb 1                        ;  msbs: dst=0 src0=1 src1=0 src2=0
	v_add3_u32 v212, v57 /*v313*/, v212, v213
	s_set_vgpr_msb 0                        ;  msbs: dst=0 src0=0 src1=0 src2=0
	v_bfe_u32 v213, v12, 16, 2
	v_bfe_u32 v12, v12, 24, 2
	s_delay_alu instid0(VALU_DEP_2) | instskip(NEXT) | instid1(VALU_DEP_2)
	v_mul_i32_i24_e32 v214, v213, v131
	v_mul_i32_i24_e32 v217, v12, v132
	;; [unrolled: 1-line block ×3, first 2 shown]
	s_set_vgpr_msb 64                       ;  msbs: dst=1 src0=0 src1=0 src2=0
	v_mul_i32_i24_e32 v2 /*v258*/, v12, v170
	v_mul_i32_i24_e32 v8 /*v264*/, v12, v180
	;; [unrolled: 1-line block ×3, first 2 shown]
	s_set_vgpr_msb 1                        ;  msbs: dst=0 src0=1 src1=0 src2=0
	v_add3_u32 v214, v58 /*v314*/, v214, v217
	s_set_vgpr_msb 0                        ;  msbs: dst=0 src0=0 src1=0 src2=0
	v_mul_i32_i24_e32 v217, v207, v125
	s_set_vgpr_msb 64                       ;  msbs: dst=1 src0=0 src1=0 src2=0
	v_mul_i32_i24_e32 v20 /*v276*/, v12, v146
	s_set_vgpr_msb 1                        ;  msbs: dst=0 src0=1 src1=0 src2=0
	s_delay_alu instid0(VALU_DEP_2) | instskip(SKIP_3) | instid1(VALU_DEP_2)
	v_add3_u32 v217, v59 /*v315*/, v217, v220
	s_set_vgpr_msb 0                        ;  msbs: dst=0 src0=0 src1=0 src2=0
	v_bfe_u32 v220, v4, 16, 2
	v_bfe_u32 v4, v4, 24, 2
	v_mul_i32_i24_e32 v232, v220, v131
	s_delay_alu instid0(VALU_DEP_2)
	v_mul_i32_i24_e32 v244, v4, v132
	v_mul_i32_i24_e32 v254, v4, v123
	s_set_vgpr_msb 64                       ;  msbs: dst=1 src0=0 src1=0 src2=0
	v_mul_i32_i24_e32 v3 /*v259*/, v4, v170
	v_mul_i32_i24_e32 v12 /*v268*/, v4, v180
	;; [unrolled: 1-line block ×3, first 2 shown]
	s_set_vgpr_msb 1                        ;  msbs: dst=0 src0=1 src1=0 src2=0
	v_add3_u32 v232, v66 /*v322*/, v232, v244
	s_set_vgpr_msb 0                        ;  msbs: dst=0 src0=0 src1=0 src2=0
	v_mul_i32_i24_e32 v244, v14, v140
	s_set_vgpr_msb 64                       ;  msbs: dst=1 src0=0 src1=0 src2=0
	v_mul_i32_i24_e32 v24 /*v280*/, v4, v146
	s_set_vgpr_msb 1                        ;  msbs: dst=0 src0=1 src1=0 src2=0
	s_delay_alu instid0(VALU_DEP_2) | instskip(SKIP_3) | instid1(VALU_DEP_1)
	v_add3_u32 v244, v71 /*v327*/, v244, v245
	s_set_vgpr_msb 0                        ;  msbs: dst=0 src0=0 src1=0 src2=0
	v_mul_i32_i24_e32 v245, v202, v140
	s_set_vgpr_msb 1                        ;  msbs: dst=0 src0=1 src1=0 src2=0
	v_add3_u32 v245, v72 /*v328*/, v245, v246
	s_set_vgpr_msb 0                        ;  msbs: dst=0 src0=0 src1=0 src2=0
	v_mul_i32_i24_e32 v246, v207, v140
	s_set_vgpr_msb 1                        ;  msbs: dst=0 src0=1 src1=0 src2=0
	s_delay_alu instid0(VALU_DEP_1) | instskip(SKIP_3) | instid1(VALU_DEP_1)
	v_add3_u32 v246, v73 /*v329*/, v246, v247
	s_set_vgpr_msb 0                        ;  msbs: dst=0 src0=0 src1=0 src2=0
	v_mul_i32_i24_e32 v247, v14, v175
	s_set_vgpr_msb 1                        ;  msbs: dst=0 src0=1 src1=0 src2=0
	v_add3_u32 v247, v74 /*v330*/, v247, v248
	s_set_vgpr_msb 0                        ;  msbs: dst=0 src0=0 src1=0 src2=0
	v_mul_i32_i24_e32 v248, v202, v175
	s_set_vgpr_msb 1                        ;  msbs: dst=0 src0=1 src1=0 src2=0
	s_delay_alu instid0(VALU_DEP_1) | instskip(SKIP_3) | instid1(VALU_DEP_1)
	;; [unrolled: 9-line block ×4, first 2 shown]
	v_add3_u32 v253, v54 /*v310*/, v253, v254
	s_set_vgpr_msb 0                        ;  msbs: dst=0 src0=0 src1=0 src2=0
	v_mul_i32_i24_e32 v254, v210, v169
	s_set_vgpr_msb 17                       ;  msbs: dst=0 src0=1 src1=0 src2=1
	v_add3_u32 v254, v81 /*v337*/, v254, v1 /*v257*/
	s_set_vgpr_msb 64                       ;  msbs: dst=1 src0=0 src1=0 src2=0
	v_mul_i32_i24_e32 v1 /*v257*/, v213, v169
	s_set_vgpr_msb 0x55                     ;  msbs: dst=1 src0=1 src1=1 src2=1
	s_delay_alu instid0(VALU_DEP_1) | instskip(SKIP_3) | instid1(VALU_DEP_1)
	v_add3_u32 v1 /*v257*/, v82 /*v338*/, v1 /*v257*/, v2 /*v258*/
	s_set_vgpr_msb 64                       ;  msbs: dst=1 src0=0 src1=0 src2=0
	v_mul_i32_i24_e32 v2 /*v258*/, v220, v169
	s_set_vgpr_msb 0x55                     ;  msbs: dst=1 src0=1 src1=1 src2=1
	v_add3_u32 v2 /*v258*/, v85 /*v341*/, v2 /*v258*/, v3 /*v259*/
	s_set_vgpr_msb 64                       ;  msbs: dst=1 src0=0 src1=0 src2=0
	v_mul_i32_i24_e32 v3 /*v259*/, v14, v177
	s_set_vgpr_msb 0x55                     ;  msbs: dst=1 src0=1 src1=1 src2=1
	s_delay_alu instid0(VALU_DEP_1) | instskip(SKIP_3) | instid1(VALU_DEP_1)
	v_add3_u32 v3 /*v259*/, v87 /*v343*/, v3 /*v259*/, v4 /*v260*/
	s_set_vgpr_msb 64                       ;  msbs: dst=1 src0=0 src1=0 src2=0
	v_mul_i32_i24_e32 v4 /*v260*/, v210, v179
	s_set_vgpr_msb 0x55                     ;  msbs: dst=1 src0=1 src1=1 src2=1
	v_add3_u32 v4 /*v260*/, v88 /*v344*/, v4 /*v260*/, v5 /*v261*/
	;; [unrolled: 9-line block ×8, first 2 shown]
	s_set_vgpr_msb 64                       ;  msbs: dst=1 src0=0 src1=0 src2=0
	v_mul_i32_i24_e32 v22 /*v278*/, v220, v144
	s_set_vgpr_msb 0x55                     ;  msbs: dst=1 src0=1 src1=1 src2=1
	s_delay_alu instid0(VALU_DEP_1)
	v_add3_u32 v22 /*v278*/, v104 /*v360*/, v22 /*v278*/, v24 /*v280*/
	s_set_vgpr_msb 64                       ;  msbs: dst=1 src0=0 src1=0 src2=0
	v_mul_i32_i24_e32 v24 /*v280*/, v14, v127
	s_set_vgpr_msb 0                        ;  msbs: dst=0 src0=0 src1=0 src2=0
	v_mul_i32_i24_e32 v14, v14, v182
	s_set_vgpr_msb 0x55                     ;  msbs: dst=1 src0=1 src1=1 src2=1
	s_delay_alu instid0(VALU_DEP_2)
	v_add3_u32 v24 /*v280*/, v105 /*v361*/, v24 /*v280*/, v25 /*v281*/
	s_set_vgpr_msb 64                       ;  msbs: dst=1 src0=0 src1=0 src2=0
	v_mul_i32_i24_e32 v25 /*v281*/, v210, v124
	s_set_vgpr_msb 1                        ;  msbs: dst=0 src0=1 src1=0 src2=0
	v_add3_u32 v200, v31 /*v287*/, v14, v200
	s_set_vgpr_msb 0                        ;  msbs: dst=0 src0=0 src1=0 src2=0
	v_mul_i32_i24_e32 v14, v202, v182
	s_set_vgpr_msb 0x55                     ;  msbs: dst=1 src0=1 src1=1 src2=1
	v_add3_u32 v25 /*v281*/, v106 /*v362*/, v25 /*v281*/, v27 /*v283*/
	s_set_vgpr_msb 64                       ;  msbs: dst=1 src0=0 src1=0 src2=0
	v_mul_i32_i24_e32 v27 /*v283*/, v203, v181
	s_set_vgpr_msb 0x51                     ;  msbs: dst=1 src0=1 src1=0 src2=1
	s_delay_alu instid0(VALU_DEP_1) | instskip(SKIP_3) | instid1(VALU_DEP_1)
	v_add3_u32 v27 /*v283*/, v61 /*v317*/, v14, v27 /*v283*/
	s_set_vgpr_msb 0                        ;  msbs: dst=0 src0=0 src1=0 src2=0
	v_mul_i32_i24_e32 v14, v207, v182
	s_set_vgpr_msb 0x51                     ;  msbs: dst=1 src0=1 src1=0 src2=1
	v_add3_u32 v28 /*v284*/, v62 /*v318*/, v14, v28 /*v284*/
	s_set_vgpr_msb 0                        ;  msbs: dst=0 src0=0 src1=0 src2=0
	v_mul_i32_i24_e32 v14, v202, v127
	v_mul_i32_i24_e32 v202, v203, v128
	;; [unrolled: 1-line block ×4, first 2 shown]
	s_set_vgpr_msb 1                        ;  msbs: dst=0 src0=1 src1=0 src2=0
	s_delay_alu instid0(VALU_DEP_3) | instskip(SKIP_3) | instid1(VALU_DEP_1)
	v_add3_u32 v202, v43 /*v299*/, v14, v202
	s_set_vgpr_msb 0                        ;  msbs: dst=0 src0=0 src1=0 src2=0
	v_mul_i32_i24_e32 v14, v213, v124
	s_set_vgpr_msb 1                        ;  msbs: dst=0 src0=1 src1=0 src2=0
	v_add3_u32 v203, v63 /*v319*/, v14, v203
	s_set_vgpr_msb 0                        ;  msbs: dst=0 src0=0 src1=0 src2=0
	v_mul_i32_i24_e32 v14, v207, v127
	s_set_vgpr_msb 1                        ;  msbs: dst=0 src0=1 src1=0 src2=0
	s_delay_alu instid0(VALU_DEP_1)
	v_add3_u32 v207, v51 /*v307*/, v14, v10
	s_set_vgpr_msb 0                        ;  msbs: dst=0 src0=0 src1=0 src2=0
	v_mul_i32_i24_e32 v10, v220, v124
	v_mul_i32_i24_e32 v14, v4, v122
	;; [unrolled: 1-line block ×3, first 2 shown]
	s_set_vgpr_msb 0x41                     ;  msbs: dst=1 src0=1 src1=0 src2=0
	s_delay_alu instid0(VALU_DEP_2) | instskip(SKIP_4) | instid1(VALU_DEP_2)
	v_add3_u32 v29 /*v285*/, v64 /*v320*/, v10, v14
	s_set_vgpr_msb 0                        ;  msbs: dst=0 src0=0 src1=0 src2=0
	v_mul_i32_i24_e32 v10, v210, v184
	v_add_nc_u32_e32 v14, v160, v159
	s_set_vgpr_msb 1                        ;  msbs: dst=0 src0=1 src1=0 src2=0
	v_add3_u32 v0, v38 /*v294*/, v10, v0
	s_set_vgpr_msb 0                        ;  msbs: dst=0 src0=0 src1=0 src2=0
	v_mul_i32_i24_e32 v10, v213, v184
	v_lshrrev_b32_e32 v213, 24, v228
	s_set_vgpr_msb 1                        ;  msbs: dst=0 src0=1 src1=0 src2=0
	s_delay_alu instid0(VALU_DEP_2)
	v_add3_u32 v210, v36 /*v292*/, v10, v12
	s_set_vgpr_msb 0                        ;  msbs: dst=0 src0=0 src1=0 src2=0
	v_mul_i32_i24_e32 v10, v220, v184
	v_add_nc_u32_e32 v12, v168, v167
	v_bfe_i32 v220, v228, 16, 8
	s_set_vgpr_msb 1                        ;  msbs: dst=0 src0=1 src1=0 src2=0
	s_delay_alu instid0(VALU_DEP_3)
	v_add3_u32 v4, v37 /*v293*/, v10, v4
	s_set_vgpr_msb 0                        ;  msbs: dst=0 src0=0 src1=0 src2=0
	v_add_nc_u32_e32 v10, v186, v185
	v_add3_u32 v168, v12, v144, v40
	v_lshrrev_b32_e32 v185, 24, v234
	v_bfe_i32 v186, v234, 16, 8
	s_delay_alu instid0(VALU_DEP_4) | instskip(NEXT) | instid1(VALU_DEP_2)
	v_add3_u32 v167, v10, v146, v42
	v_mul_i32_i24_e32 v12, v168, v186
	s_delay_alu instid0(VALU_DEP_2) | instskip(SKIP_1) | instid1(VALU_DEP_1)
	v_mul_i32_i24_e32 v10, v167, v185
	s_set_vgpr_msb 1                        ;  msbs: dst=0 src0=1 src1=0 src2=0
	v_add3_u32 v10, v26 /*v282*/, v12, v10
	s_set_vgpr_msb 0                        ;  msbs: dst=0 src0=0 src1=0 src2=0
	v_add_nc_u32_e32 v12, v166, v165
	v_add3_u32 v166, v14, v135, v43
	s_set_vgpr_msb 0x44                     ;  msbs: dst=1 src0=0 src1=1 src2=0
	v_lshrrev_b32_e32 v26 /*v282*/, 24, v40 /*v296*/
	s_set_vgpr_msb 0                        ;  msbs: dst=0 src0=0 src1=0 src2=0
	v_add3_u32 v165, v12, v136, v44
	v_mul_i32_i24_e32 v14, v166, v220
	s_delay_alu instid0(VALU_DEP_2) | instskip(SKIP_1) | instid1(VALU_DEP_1)
	v_mul_i32_i24_e32 v12, v165, v213
	s_set_vgpr_msb 1                        ;  msbs: dst=0 src0=1 src1=0 src2=0
	v_add3_u32 v159, v32 /*v288*/, v14, v12
	s_set_vgpr_msb 0                        ;  msbs: dst=0 src0=0 src1=0 src2=0
	v_dual_add_nc_u32 v12, v157, v155 :: v_dual_add_nc_u32 v14, v158, v156
	s_set_vgpr_msb 4                        ;  msbs: dst=0 src0=0 src1=1 src2=0
	v_mul_i32_i24_e32 v155, v166, v30 /*v286*/
	s_set_vgpr_msb 0                        ;  msbs: dst=0 src0=0 src1=0 src2=0
	s_delay_alu instid0(VALU_DEP_2) | instskip(SKIP_2) | instid1(VALU_DEP_2)
	v_add3_u32 v228, v12, v131, v32
	v_add3_u32 v234, v14, v132, v33
	s_set_vgpr_msb 4                        ;  msbs: dst=0 src0=0 src1=1 src2=0
	v_mul_i32_i24_e32 v14, v228, v30 /*v286*/
	s_delay_alu instid0(VALU_DEP_2) | instskip(SKIP_1) | instid1(VALU_DEP_1)
	v_mul_i32_i24_e32 v12, v234, v26 /*v282*/
	s_set_vgpr_msb 1                        ;  msbs: dst=0 src0=1 src1=0 src2=0
	v_add3_u32 v14, v34 /*v290*/, v14, v12
	s_set_vgpr_msb 4                        ;  msbs: dst=0 src0=0 src1=1 src2=0
	v_mul_i32_i24_e32 v12, v165, v26 /*v282*/
	s_delay_alu instid0(VALU_DEP_2) | instskip(SKIP_1) | instid1(VALU_DEP_2)
	v_cvt_f32_i32_e32 v14, v14
	s_set_vgpr_msb 1                        ;  msbs: dst=0 src0=1 src1=0 src2=0
	v_add3_u32 v157, v65 /*v321*/, v155, v12
	s_set_vgpr_msb 0                        ;  msbs: dst=0 src0=0 src1=0 src2=0
	v_mul_i32_i24_e32 v12, v228, v186
	v_mul_i32_i24_e32 v155, v234, v185
	s_delay_alu instid0(VALU_DEP_1) | instskip(SKIP_1) | instid1(VALU_DEP_1)
	v_add3_u32 v155, v218, v12, v155
	v_dual_add_nc_u32 v12, v53, v41 :: v_dual_add_nc_u32 v41, v138, v52
	v_add3_u32 v138, v12, v59, v24
	s_delay_alu instid0(VALU_DEP_2) | instskip(NEXT) | instid1(VALU_DEP_2)
	v_add3_u32 v218, v41, v123, v25
	v_mul_i32_i24_e32 v12, v138, v186
	s_delay_alu instid0(VALU_DEP_2) | instskip(SKIP_2) | instid1(VALU_DEP_2)
	v_mul_i32_i24_e32 v41, v218, v185
	v_mul_i32_i24_e32 v52, v218, v213
	s_set_vgpr_msb 1                        ;  msbs: dst=0 src0=1 src1=0 src2=0
	v_add3_u32 v160, v9 /*v265*/, v12, v41
	s_set_vgpr_msb 0                        ;  msbs: dst=0 src0=0 src1=0 src2=0
	v_mul_i32_i24_e32 v12, v228, v220
	v_mul_i32_i24_e32 v41, v234, v213
	s_set_vgpr_msb 1                        ;  msbs: dst=0 src0=1 src1=0 src2=0
	s_delay_alu instid0(VALU_DEP_1) | instskip(SKIP_2) | instid1(VALU_DEP_1)
	v_add3_u32 v12, v19 /*v275*/, v12, v41
	s_set_vgpr_msb 0                        ;  msbs: dst=0 src0=0 src1=0 src2=0
	v_mul_i32_i24_e32 v41, v138, v220
	v_add3_u32 v41, v219, v41, v52
	v_add_nc_u32_e32 v52, v164, v162
	s_delay_alu instid0(VALU_DEP_1) | instskip(SKIP_2) | instid1(VALU_DEP_2)
	v_add3_u32 v164, v52, v169, v56
	s_set_vgpr_msb 4                        ;  msbs: dst=0 src0=0 src1=1 src2=0
	v_mul_i32_i24_e32 v52, v222, v53 /*v309*/
	v_mul_i32_i24_e32 v53, v164, v30 /*v286*/
	s_set_vgpr_msb 0                        ;  msbs: dst=0 src0=0 src1=0 src2=0
	s_delay_alu instid0(VALU_DEP_1) | instskip(SKIP_2) | instid1(VALU_DEP_2)
	v_add3_u32 v219, v225, v52, v53
	v_add_nc_u32_e32 v52, v163, v161
	v_mul_i32_i24_e32 v53, v164, v186
	v_add3_u32 v225, v52, v170, v57
	s_delay_alu instid0(VALU_DEP_1) | instskip(NEXT) | instid1(VALU_DEP_1)
	v_mul_i32_i24_e32 v52, v225, v185
	v_add3_u32 v156, v223, v53, v52
	v_mul_i32_i24_e32 v52, v165, v185
	v_mul_i32_i24_e32 v53, v166, v186
	;; [unrolled: 1-line block ×4, first 2 shown]
	s_set_vgpr_msb 1                        ;  msbs: dst=0 src0=1 src1=0 src2=0
	s_delay_alu instid0(VALU_DEP_3)
	v_add3_u32 v161, v33 /*v289*/, v53, v52
	s_set_vgpr_msb 4                        ;  msbs: dst=0 src0=0 src1=1 src2=0
	v_mul_i32_i24_e32 v52, v222, v47 /*v303*/
	s_set_vgpr_msb 0                        ;  msbs: dst=0 src0=0 src1=0 src2=0
	v_mul_i32_i24_e32 v53, v164, v220
	v_mul_i32_i24_e32 v164, v164, v205
	s_set_vgpr_msb 1                        ;  msbs: dst=0 src0=1 src1=0 src2=0
	s_delay_alu instid0(VALU_DEP_2)
	v_add3_u32 v222, v10 /*v266*/, v52, v53
	s_set_vgpr_msb 0                        ;  msbs: dst=0 src0=0 src1=0 src2=0
	v_add_nc_u32_e32 v52, v195, v189
	s_set_vgpr_msb 4                        ;  msbs: dst=0 src0=0 src1=1 src2=0
	v_mul_i32_i24_e32 v53, v239, v52 /*v308*/
	s_set_vgpr_msb 0                        ;  msbs: dst=0 src0=0 src1=0 src2=0
	v_mul_i32_i24_e32 v195, v218, v233
	v_add3_u32 v163, v52, v179, v63
	s_delay_alu instid0(VALU_DEP_1) | instskip(NEXT) | instid1(VALU_DEP_1)
	v_mul_i32_i24_e32 v52, v163, v186
	v_add3_u32 v189, v241, v53, v52
	v_add_nc_u32_e32 v52, v192, v187
	s_delay_alu instid0(VALU_DEP_1) | instskip(SKIP_2) | instid1(VALU_DEP_2)
	v_add3_u32 v187, v52, v180, v148
	s_set_vgpr_msb 4                        ;  msbs: dst=0 src0=0 src1=1 src2=0
	v_mul_i32_i24_e32 v52, v163, v30 /*v286*/
	v_mul_i32_i24_e32 v53, v187, v26 /*v282*/
	s_set_vgpr_msb 0                        ;  msbs: dst=0 src0=0 src1=0 src2=0
	v_mul_i32_i24_e32 v192, v187, v213
	s_set_vgpr_msb 1                        ;  msbs: dst=0 src0=1 src1=0 src2=0
	s_delay_alu instid0(VALU_DEP_2) | instskip(SKIP_4) | instid1(VALU_DEP_1)
	v_add3_u32 v158, v50 /*v306*/, v52, v53
	s_set_vgpr_msb 4                        ;  msbs: dst=0 src0=0 src1=1 src2=0
	v_mul_i32_i24_e32 v52, v168, v30 /*v286*/
	v_mul_i32_i24_e32 v53, v167, v26 /*v282*/
	s_set_vgpr_msb 1                        ;  msbs: dst=0 src0=1 src1=0 src2=0
	v_add3_u32 v162, v44 /*v300*/, v52, v53
	s_set_vgpr_msb 0                        ;  msbs: dst=0 src0=0 src1=0 src2=0
	v_mul_i32_i24_e32 v52, v168, v220
	v_mul_i32_i24_e32 v53, v167, v213
	s_set_vgpr_msb 1                        ;  msbs: dst=0 src0=1 src1=0 src2=0
	s_delay_alu instid0(VALU_DEP_1) | instskip(SKIP_3) | instid1(VALU_DEP_2)
	v_add3_u32 v52, v18 /*v274*/, v52, v53
	s_set_vgpr_msb 0                        ;  msbs: dst=0 src0=0 src1=0 src2=0
	v_mul_i32_i24_e32 v53, v163, v220
	v_mul_i32_i24_e32 v163, v163, v205
	v_add3_u32 v53, v242, v53, v192
	v_mul_i32_i24_e32 v192, v138, v205
	s_delay_alu instid0(VALU_DEP_1) | instskip(SKIP_2) | instid1(VALU_DEP_1)
	v_add3_u32 v192, v216, v192, v195
	v_mul_i32_i24_e32 v195, v228, v205
	v_mul_i32_i24_e32 v216, v234, v233
	v_add3_u32 v195, v215, v195, v216
	v_add3_u32 v215, v227, v166, v165
	v_mul_i32_i24_e32 v165, v225, v233
	s_delay_alu instid0(VALU_DEP_1) | instskip(SKIP_2) | instid1(VALU_DEP_1)
	v_add3_u32 v216, v224, v164, v165
	v_mul_i32_i24_e32 v164, v187, v233
	s_set_vgpr_msb 64                       ;  msbs: dst=1 src0=0 src1=0 src2=0
	v_add3_u32 v18 /*v274*/, v231, v163, v164
	s_set_vgpr_msb 0                        ;  msbs: dst=0 src0=0 src1=0 src2=0
	v_mul_i32_i24_e32 v163, v168, v205
	v_mul_i32_i24_e32 v164, v167, v233
	s_set_vgpr_msb 64                       ;  msbs: dst=1 src0=0 src1=0 src2=0
	s_delay_alu instid0(VALU_DEP_1)
	v_add3_u32 v19 /*v275*/, v230, v163, v164
	s_set_vgpr_msb 0                        ;  msbs: dst=0 src0=0 src1=0 src2=0
	v_add3_u32 v163, v147, v134, v54
	s_set_vgpr_msb 4                        ;  msbs: dst=0 src0=0 src1=1 src2=0
	v_mul_i32_i24_e32 v54, v218, v26 /*v282*/
	v_mul_i32_i24_e32 v134, v138, v30 /*v286*/
	;; [unrolled: 1-line block ×3, first 2 shown]
	s_set_vgpr_msb 0                        ;  msbs: dst=0 src0=0 src1=0 src2=0
	s_delay_alu instid0(VALU_DEP_2)
	v_add3_u32 v164, v204, v134, v54
	s_set_vgpr_msb 5                        ;  msbs: dst=0 src0=1 src1=1 src2=0
	v_mul_i32_i24_e32 v54, v6 /*v262*/, v95 /*v351*/
	s_set_vgpr_msb 4                        ;  msbs: dst=0 src0=0 src1=1 src2=0
	v_mul_i32_i24_e32 v134, v243, v69 /*v325*/
	s_set_vgpr_msb 0                        ;  msbs: dst=0 src0=0 src1=0 src2=0
	s_delay_alu instid0(VALU_DEP_1) | instskip(SKIP_3) | instid1(VALU_DEP_1)
	v_add3_u32 v134, v54, v134, v237
	s_set_vgpr_msb 4                        ;  msbs: dst=0 src0=0 src1=1 src2=0
	v_mul_i32_i24_e32 v54, v193, v30 /*v286*/
	s_set_vgpr_msb 0                        ;  msbs: dst=0 src0=0 src1=0 src2=0
	v_add3_u32 v165, v255, v54, v138
	s_set_vgpr_msb 4                        ;  msbs: dst=0 src0=0 src1=1 src2=0
	v_mul_i32_i24_e32 v54, v55, v30 /*v286*/
	v_mul_i32_i24_e32 v138, v133, v26 /*v282*/
	s_set_vgpr_msb 0                        ;  msbs: dst=0 src0=0 src1=0 src2=0
	s_delay_alu instid0(VALU_DEP_1) | instskip(SKIP_2) | instid1(VALU_DEP_1)
	v_add3_u32 v166, v240, v54, v138
	v_mul_i32_i24_e32 v54, v193, v186
	v_mul_i32_i24_e32 v138, v229, v185
	v_add3_u32 v167, v235, v54, v138
	v_mul_i32_i24_e32 v54, v55, v186
	v_mul_i32_i24_e32 v138, v133, v185
	;; [unrolled: 1-line block ×4, first 2 shown]
	s_set_vgpr_msb 1                        ;  msbs: dst=0 src0=1 src1=0 src2=0
	s_delay_alu instid0(VALU_DEP_3)
	v_add3_u32 v168, v0 /*v256*/, v54, v138
	s_set_vgpr_msb 0                        ;  msbs: dst=0 src0=0 src1=0 src2=0
	v_mul_i32_i24_e32 v54, v229, v213
	v_add3_u32 v55, v64, v55, v133
	v_bfe_u32 v64, v2, 16, 2
	v_bfe_u32 v2, v2, 24, 2
	v_mul_i32_i24_e32 v138, v193, v220
	v_dual_ashrrev_i32 v220, s18, v15 :: v_dual_ashrrev_i32 v1, s18, v1
	s_delay_alu instid0(VALU_DEP_4) | instskip(NEXT) | instid1(VALU_DEP_4)
	v_mul_i32_i24_e32 v117, v64, v117
	v_mul_i32_i24_e32 v119, v2, v119
	s_delay_alu instid0(VALU_DEP_4) | instskip(SKIP_2) | instid1(VALU_DEP_4)
	v_add3_u32 v54, v145, v138, v54
	v_bfe_u32 v138, v13, 8, 2
	v_and_b32_e32 v15, 3, v220
	v_add3_u32 v117, v251, v117, v119
	v_mul_i32_i24_e32 v119, v64, v125
	v_mul_i32_i24_e32 v125, v2, v126
	s_delay_alu instid0(VALU_DEP_1) | instskip(SKIP_2) | instid1(VALU_DEP_2)
	v_add3_u32 v66, v66, v119, v125
	v_bfe_u32 v119, v221, 16, 2
	v_bfe_u32 v125, v221, 24, 2
	v_mul_i32_i24_e32 v59, v119, v59
	s_delay_alu instid0(VALU_DEP_2)
	v_mul_i32_i24_e32 v123, v125, v123
	v_mul_i32_i24_e32 v126, v119, v131
	;; [unrolled: 1-line block ×5, first 2 shown]
	v_add3_u32 v123, v196, v59, v123
	v_mul_i32_i24_e32 v59, v64, v127
	v_mul_i32_i24_e32 v127, v2, v128
	v_add3_u32 v67, v67, v126, v131
	v_mul_i32_i24_e32 v126, v64, v140
	v_mul_i32_i24_e32 v131, v2, v142
	;; [unrolled: 1-line block ×3, first 2 shown]
	v_add3_u32 v127, v191, v59, v127
	v_mul_i32_i24_e32 v59, v119, v124
	v_mul_i32_i24_e32 v124, v125, v170
	v_add3_u32 v65, v65, v126, v131
	v_mul_i32_i24_e32 v126, v64, v175
	v_mul_i32_i24_e32 v131, v2, v176
	;; [unrolled: 3-line block ×3, first 2 shown]
	v_bfe_u32 v146, v5, 8, 2
	v_add3_u32 v126, v141, v126, v131
	v_mul_i32_i24_e32 v131, v125, v180
	v_add3_u32 v124, v143, v59, v124
	v_mul_i32_i24_e32 v59, v64, v177
	v_bfe_u32 v141, v3, 8, 2
	v_mul_i32_i24_e32 v169, v146, v104
	s_delay_alu instid0(VALU_DEP_3) | instskip(SKIP_1) | instid1(VALU_DEP_4)
	v_add3_u32 v128, v198, v59, v128
	v_mul_i32_i24_e32 v59, v119, v179
	v_mul_i32_i24_e32 v143, v141, v46
	v_mul_i32_i24_e32 v145, v141, v49
	s_delay_alu instid0(VALU_DEP_3) | instskip(SKIP_4) | instid1(VALU_DEP_3)
	v_add3_u32 v131, v199, v59, v131
	v_mul_i32_i24_e32 v59, v64, v129
	v_mul_i32_i24_e32 v129, v2, v130
	;; [unrolled: 1-line block ×4, first 2 shown]
	v_add3_u32 v129, v137, v59, v129
	v_mul_i32_i24_e32 v59, v119, v135
	s_delay_alu instid0(VALU_DEP_1) | instskip(SKIP_2) | instid1(VALU_DEP_2)
	v_add3_u32 v130, v139, v59, v130
	v_mul_i32_i24_e32 v59, v119, v144
	v_mul_i32_i24_e32 v144, v138, v47
	v_add3_u32 v132, v188, v59, v132
	v_mul_i32_i24_e32 v59, v64, v182
	v_mul_i32_i24_e32 v64, v125, v183
	s_delay_alu instid0(VALU_DEP_2) | instskip(SKIP_2) | instid1(VALU_DEP_2)
	v_add3_u32 v2, v190, v59, v2
	v_mul_i32_i24_e32 v59, v119, v184
	v_ashrrev_i32_e32 v119, s18, v9
	v_add3_u32 v64, v194, v59, v64
	s_delay_alu instid0(VALU_DEP_2) | instskip(SKIP_1) | instid1(VALU_DEP_2)
	v_and_b32_e32 v9, 3, v119
	v_bfe_u32 v59, v119, 8, 2
	v_mul_i32_i24_e32 v125, v9, v113
	s_delay_alu instid0(VALU_DEP_2) | instskip(NEXT) | instid1(VALU_DEP_1)
	v_mul_i32_i24_e32 v133, v59, v114
	v_add3_u32 v125, v247, v125, v133
	v_ashrrev_i32_e32 v133, s18, v11
	s_delay_alu instid0(VALU_DEP_1) | instskip(SKIP_1) | instid1(VALU_DEP_2)
	v_and_b32_e32 v11, 3, v133
	v_bfe_u32 v135, v133, 8, 2
	v_mul_i32_i24_e32 v136, v11, v113
	s_delay_alu instid0(VALU_DEP_2) | instskip(SKIP_1) | instid1(VALU_DEP_2)
	v_mul_i32_i24_e32 v137, v135, v114
	v_mul_i32_i24_e32 v170, v135, v46
	v_add3_u32 v136, v249, v136, v137
	v_and_b32_e32 v137, 3, v13
	s_delay_alu instid0(VALU_DEP_1) | instskip(NEXT) | instid1(VALU_DEP_1)
	v_mul_i32_i24_e32 v139, v137, v95
	v_add3_u32 v139, v214, v139, v140
	v_and_b32_e32 v140, 3, v3
	s_delay_alu instid0(VALU_DEP_1) | instskip(NEXT) | instid1(VALU_DEP_1)
	v_mul_i32_i24_e32 v142, v140, v45
	v_add3_u32 v142, v206, v142, v143
	v_mul_i32_i24_e32 v143, v137, v48
	s_delay_alu instid0(VALU_DEP_1) | instskip(SKIP_1) | instid1(VALU_DEP_1)
	v_add3_u32 v143, v252, v143, v144
	v_mul_i32_i24_e32 v144, v140, v50
	v_add3_u32 v144, v212, v144, v145
	v_and_b32_e32 v145, 3, v5
	s_delay_alu instid0(VALU_DEP_1) | instskip(NEXT) | instid1(VALU_DEP_1)
	v_mul_i32_i24_e32 v147, v145, v95
	v_add3_u32 v147, v232, v147, v169
	v_mul_i32_i24_e32 v169, v11, v45
	s_delay_alu instid0(VALU_DEP_1) | instskip(SKIP_2) | instid1(VALU_DEP_1)
	v_add3_u32 v188, v208, v169, v170
	v_mul_i32_i24_e32 v169, v145, v48
	v_mul_i32_i24_e32 v170, v146, v47
	v_add3_u32 v190, v253, v169, v170
	v_mul_i32_i24_e32 v169, v11, v50
	v_mul_i32_i24_e32 v170, v135, v49
	s_delay_alu instid0(VALU_DEP_1) | instskip(SKIP_2) | instid1(VALU_DEP_1)
	v_add3_u32 v191, v217, v169, v170
	v_mul_i32_i24_e32 v169, v9, v45
	v_mul_i32_i24_e32 v170, v59, v46
	v_add3_u32 v176, v201, v169, v170
	v_and_b32_e32 v169, 3, v1
	v_bfe_u32 v170, v1, 8, 2
	s_delay_alu instid0(VALU_DEP_2) | instskip(NEXT) | instid1(VALU_DEP_2)
	v_mul_i32_i24_e32 v175, v169, v48
	v_mul_i32_i24_e32 v177, v170, v47
	s_delay_alu instid0(VALU_DEP_1) | instskip(SKIP_2) | instid1(VALU_DEP_1)
	v_add3_u32 v178, v250, v175, v177
	v_mul_i32_i24_e32 v175, v169, v111
	v_mul_i32_i24_e32 v177, v170, v112
	v_add3_u32 v193, v254, v175, v177
	v_mul_i32_i24_e32 v175, v145, v111
	v_mul_i32_i24_e32 v177, v146, v112
	s_set_vgpr_msb 1                        ;  msbs: dst=0 src0=1 src1=0 src2=0
	s_delay_alu instid0(VALU_DEP_1) | instskip(SKIP_4) | instid1(VALU_DEP_1)
	v_add3_u32 v194, v2 /*v258*/, v175, v177
	s_set_vgpr_msb 0                        ;  msbs: dst=0 src0=0 src1=0 src2=0
	v_mul_i32_i24_e32 v175, v140, v115
	v_mul_i32_i24_e32 v177, v141, v116
	s_set_vgpr_msb 1                        ;  msbs: dst=0 src0=1 src1=0 src2=0
	v_add3_u32 v196, v5 /*v261*/, v175, v177
	s_set_vgpr_msb 0                        ;  msbs: dst=0 src0=0 src1=0 src2=0
	v_mul_i32_i24_e32 v175, v137, v118
	v_mul_i32_i24_e32 v177, v138, v120
	s_set_vgpr_msb 1                        ;  msbs: dst=0 src0=1 src1=0 src2=0
	s_delay_alu instid0(VALU_DEP_1) | instskip(SKIP_3) | instid1(VALU_DEP_1)
	v_add3_u32 v197, v7 /*v263*/, v175, v177
	s_set_vgpr_msb 0                        ;  msbs: dst=0 src0=0 src1=0 src2=0
	v_mul_i32_i24_e32 v175, v11, v105
	v_mul_i32_i24_e32 v177, v135, v106
	v_add3_u32 v179, v246, v175, v177
	v_mul_i32_i24_e32 v175, v140, v88
	v_mul_i32_i24_e32 v177, v141, v94
	s_set_vgpr_msb 1                        ;  msbs: dst=0 src0=1 src1=0 src2=0
	s_delay_alu instid0(VALU_DEP_1) | instskip(SKIP_4) | instid1(VALU_DEP_1)
	v_add3_u32 v198, v13 /*v269*/, v175, v177
	s_set_vgpr_msb 0                        ;  msbs: dst=0 src0=0 src1=0 src2=0
	v_mul_i32_i24_e32 v175, v137, v110
	v_mul_i32_i24_e32 v177, v138, v108
	s_set_vgpr_msb 1                        ;  msbs: dst=0 src0=1 src1=0 src2=0
	v_add3_u32 v199, v17 /*v273*/, v175, v177
	s_set_vgpr_msb 0                        ;  msbs: dst=0 src0=0 src1=0 src2=0
	v_mul_i32_i24_e32 v175, v145, v107
	v_mul_i32_i24_e32 v177, v146, v109
	s_set_vgpr_msb 1                        ;  msbs: dst=0 src0=1 src1=0 src2=0
	s_delay_alu instid0(VALU_DEP_1) | instskip(SKIP_3) | instid1(VALU_DEP_1)
	v_add3_u32 v201, v16 /*v272*/, v175, v177
	s_set_vgpr_msb 0                        ;  msbs: dst=0 src0=0 src1=0 src2=0
	v_mul_i32_i24_e32 v175, v9, v105
	v_mul_i32_i24_e32 v177, v59, v106
	v_add3_u32 v204, v244, v175, v177
	v_mul_i32_i24_e32 v175, v9, v50
	v_mul_i32_i24_e32 v177, v59, v49
	s_delay_alu instid0(VALU_DEP_1) | instskip(SKIP_2) | instid1(VALU_DEP_1)
	v_add3_u32 v205, v209, v175, v177
	v_mul_i32_i24_e32 v175, v169, v95
	v_mul_i32_i24_e32 v177, v170, v104
	v_add3_u32 v206, v211, v175, v177
	v_mul_i32_i24_e32 v175, v169, v107
	v_mul_i32_i24_e32 v177, v170, v109
	s_set_vgpr_msb 1                        ;  msbs: dst=0 src0=1 src1=0 src2=0
	s_delay_alu instid0(VALU_DEP_1) | instskip(SKIP_4) | instid1(VALU_DEP_1)
	v_add3_u32 v208, v14 /*v270*/, v175, v177
	s_set_vgpr_msb 0                        ;  msbs: dst=0 src0=0 src1=0 src2=0
	v_mul_i32_i24_e32 v175, v137, v111
	v_mul_i32_i24_e32 v177, v138, v112
	s_set_vgpr_msb 1                        ;  msbs: dst=0 src0=1 src1=0 src2=0
	v_add3_u32 v209, v1 /*v257*/, v175, v177
	s_set_vgpr_msb 0                        ;  msbs: dst=0 src0=0 src1=0 src2=0
	v_mul_i32_i24_e32 v175, v140, v105
	v_mul_i32_i24_e32 v177, v141, v106
	s_delay_alu instid0(VALU_DEP_1) | instskip(SKIP_3) | instid1(VALU_DEP_1)
	v_add3_u32 v211, v245, v175, v177
	v_mul_i32_i24_e32 v175, v137, v107
	v_mul_i32_i24_e32 v177, v138, v109
	s_set_vgpr_msb 1                        ;  msbs: dst=0 src0=1 src1=0 src2=0
	v_add3_u32 v212, v15 /*v271*/, v175, v177
	s_set_vgpr_msb 0                        ;  msbs: dst=0 src0=0 src1=0 src2=0
	v_mul_i32_i24_e32 v175, v140, v113
	v_mul_i32_i24_e32 v177, v141, v114
	s_delay_alu instid0(VALU_DEP_1) | instskip(SKIP_3) | instid1(VALU_DEP_1)
	v_add3_u32 v214, v248, v175, v177
	v_mul_i32_i24_e32 v175, v145, v118
	v_mul_i32_i24_e32 v177, v146, v120
	s_set_vgpr_msb 1                        ;  msbs: dst=0 src0=1 src1=0 src2=0
	v_add3_u32 v217, v11 /*v267*/, v175, v177
	s_set_vgpr_msb 0                        ;  msbs: dst=0 src0=0 src1=0 src2=0
	v_mul_i32_i24_e32 v175, v11, v88
	v_mul_i32_i24_e32 v177, v135, v94
	s_set_vgpr_msb 1                        ;  msbs: dst=0 src0=1 src1=0 src2=0
	s_delay_alu instid0(VALU_DEP_1) | instskip(SKIP_4) | instid1(VALU_DEP_1)
	v_add3_u32 v240, v21 /*v277*/, v175, v177
	s_set_vgpr_msb 0                        ;  msbs: dst=0 src0=0 src1=0 src2=0
	v_mul_i32_i24_e32 v175, v145, v110
	v_mul_i32_i24_e32 v177, v146, v108
	s_set_vgpr_msb 1                        ;  msbs: dst=0 src0=1 src1=0 src2=0
	v_add3_u32 v247, v22 /*v278*/, v175, v177
	s_set_vgpr_msb 0                        ;  msbs: dst=0 src0=0 src1=0 src2=0
	v_mul_i32_i24_e32 v175, v11, v115
	v_mul_i32_i24_e32 v177, v135, v116
	s_set_vgpr_msb 1                        ;  msbs: dst=0 src0=1 src1=0 src2=0
	s_delay_alu instid0(VALU_DEP_1) | instskip(SKIP_4) | instid1(VALU_DEP_1)
	v_add3_u32 v239, v8 /*v264*/, v175, v177
	s_set_vgpr_msb 0                        ;  msbs: dst=0 src0=0 src1=0 src2=0
	;; [unrolled: 11-line block ×3, first 2 shown]
	v_mul_i32_i24_e32 v175, v169, v118
	v_mul_i32_i24_e32 v177, v170, v120
	s_set_vgpr_msb 1                        ;  msbs: dst=0 src0=1 src1=0 src2=0
	v_add3_u32 v253, v4 /*v260*/, v175, v177
	s_set_vgpr_msb 0                        ;  msbs: dst=0 src0=0 src1=0 src2=0
	v_mul_i32_i24_e32 v175, v169, v110
	v_mul_i32_i24_e32 v177, v170, v108
	s_set_vgpr_msb 1                        ;  msbs: dst=0 src0=1 src1=0 src2=0
	s_delay_alu instid0(VALU_DEP_1)
	v_add3_u32 v254, v20 /*v276*/, v175, v177
	s_set_vgpr_msb 0                        ;  msbs: dst=0 src0=0 src1=0 src2=0
	v_mul_i32_i24_e32 v175, v9, v86
	v_mul_i32_i24_e32 v177, v59, v87
	;; [unrolled: 1-line block ×3, first 2 shown]
	s_set_vgpr_msb 4                        ;  msbs: dst=0 src0=0 src1=1 src2=0
	v_mul_i32_i24_e32 v59, v59, v23 /*v279*/
	s_set_vgpr_msb 1                        ;  msbs: dst=0 src0=1 src1=0 src2=0
	v_add3_u32 v255, v24 /*v280*/, v175, v177
	s_set_vgpr_msb 0                        ;  msbs: dst=0 src0=0 src1=0 src2=0
	s_delay_alu instid0(VALU_DEP_2) | instskip(SKIP_4) | instid1(VALU_DEP_1)
	v_add3_u32 v200, v200, v9, v59
	v_mul_i32_i24_e32 v9, v140, v89
	s_set_vgpr_msb 4                        ;  msbs: dst=0 src0=0 src1=1 src2=0
	v_mul_i32_i24_e32 v59, v141, v23 /*v279*/
	s_set_vgpr_msb 0x41                     ;  msbs: dst=1 src0=1 src1=0 src2=0
	v_add3_u32 v2 /*v258*/, v27 /*v283*/, v9, v59
	s_set_vgpr_msb 0                        ;  msbs: dst=0 src0=0 src1=0 src2=0
	v_mul_i32_i24_e32 v9, v137, v85
	v_mul_i32_i24_e32 v59, v138, v51
	s_delay_alu instid0(VALU_DEP_1) | instskip(SKIP_2) | instid1(VALU_DEP_1)
	v_add3_u32 v203, v203, v9, v59
	v_mul_i32_i24_e32 v9, v169, v121
	v_mul_i32_i24_e32 v59, v170, v226
	v_add3_u32 v0, v0, v9, v59
	v_mul_i32_i24_e32 v9, v169, v85
	v_mul_i32_i24_e32 v59, v170, v51
	v_mad_i32_i24 v169, v187, v185, v189
	v_ashrrev_i32_e32 v185, s18, v7
	s_set_vgpr_msb 4                        ;  msbs: dst=0 src0=0 src1=1 src2=0
	v_mad_i32_i24 v170, v225, v26 /*v282*/, v219
	s_lshr_b32 s18, s17, 2
	s_set_vgpr_msb 0x41                     ;  msbs: dst=1 src0=1 src1=0 src2=0
	v_add3_u32 v5 /*v261*/, v25 /*v281*/, v9, v59
	s_set_vgpr_msb 0                        ;  msbs: dst=0 src0=0 src1=0 src2=0
	v_mul_i32_i24_e32 v9, v140, v86
	v_mul_i32_i24_e32 v59, v141, v87
	s_and_b32 s18, s18, 0x3ffffffc
	s_add_co_i32 s17, s17, 2
	s_addk_co_i32 s18, 0x7280
	s_cmp_lt_u32 s17, s15
	v_add3_u32 v140, v202, v9, v59
	v_mul_i32_i24_e32 v9, v137, v121
	v_mul_i32_i24_e32 v59, v138, v226
	s_delay_alu instid0(VALU_DEP_1) | instskip(SKIP_2) | instid1(VALU_DEP_1)
	v_add3_u32 v137, v210, v9, v59
	v_mul_i32_i24_e32 v9, v11, v86
	v_mul_i32_i24_e32 v59, v135, v87
	v_add3_u32 v138, v207, v9, v59
	v_mul_i32_i24_e32 v9, v145, v121
	v_mul_i32_i24_e32 v59, v146, v226
	s_delay_alu instid0(VALU_DEP_1)
	v_add3_u32 v4, v4, v9, v59
	v_mul_i32_i24_e32 v9, v11, v89
	s_set_vgpr_msb 4                        ;  msbs: dst=0 src0=0 src1=1 src2=0
	v_mul_i32_i24_e32 v11, v135, v23 /*v279*/
	s_set_vgpr_msb 0                        ;  msbs: dst=0 src0=0 src1=0 src2=0
	v_add3_u32 v59, v236, v238, v134
	v_and_b32_e32 v134, 3, v185
	s_set_vgpr_msb 1                        ;  msbs: dst=0 src0=1 src1=0 src2=0
	v_add3_u32 v135, v28 /*v284*/, v9, v11
	s_set_vgpr_msb 0                        ;  msbs: dst=0 src0=0 src1=0 src2=0
	v_mul_i32_i24_e32 v9, v145, v85
	v_mul_i32_i24_e32 v11, v146, v51
	;; [unrolled: 1-line block ×3, first 2 shown]
	v_bfe_u32 v50, v185, 8, 2
	s_set_vgpr_msb 1                        ;  msbs: dst=0 src0=1 src1=0 src2=0
	s_delay_alu instid0(VALU_DEP_3) | instskip(SKIP_3) | instid1(VALU_DEP_1)
	v_add3_u32 v141, v29 /*v285*/, v9, v11
	s_set_vgpr_msb 0                        ;  msbs: dst=0 src0=0 src1=0 src2=0
	v_mad_i32_i24 v11, v225, v213, v222
	v_mul_i32_i24_e32 v9, v50, v49
	v_add3_u32 v9, v66, v7, v9
	v_mul_i32_i24_e32 v7, v134, v45
	v_mul_i32_i24_e32 v45, v50, v46
	s_delay_alu instid0(VALU_DEP_1) | instskip(SKIP_2) | instid1(VALU_DEP_2)
	v_add3_u32 v180, v117, v7, v45
	v_bfe_u32 v45, v220, 8, 2
	v_mul_i32_i24_e32 v7, v15, v48
	v_mul_i32_i24_e32 v46, v45, v47
	;; [unrolled: 1-line block ×3, first 2 shown]
	s_delay_alu instid0(VALU_DEP_2) | instskip(SKIP_1) | instid1(VALU_DEP_1)
	v_add3_u32 v7, v123, v7, v46
	v_mul_i32_i24_e32 v46, v15, v95
	v_add3_u32 v175, v67, v46, v47
	v_mul_i32_i24_e32 v46, v134, v86
	v_mul_i32_i24_e32 v47, v50, v87
	s_delay_alu instid0(VALU_DEP_1) | instskip(SKIP_2) | instid1(VALU_DEP_1)
	v_add3_u32 v230, v127, v46, v47
	v_mul_i32_i24_e32 v46, v15, v85
	v_mul_i32_i24_e32 v47, v45, v51
	v_add3_u32 v229, v122, v46, v47
	v_mul_i32_i24_e32 v46, v134, v113
	v_mul_i32_i24_e32 v47, v50, v114
	s_delay_alu instid0(VALU_DEP_1) | instskip(SKIP_2) | instid1(VALU_DEP_1)
	v_add3_u32 v177, v126, v46, v47
	v_mul_i32_i24_e32 v46, v134, v105
	;; [unrolled: 7-line block ×5, first 2 shown]
	v_mul_i32_i24_e32 v47, v45, v108
	v_add3_u32 v224, v132, v46, v47
	v_mul_i32_i24_e32 v46, v134, v89
	s_set_vgpr_msb 4                        ;  msbs: dst=0 src0=0 src1=1 src2=0
	v_mul_i32_i24_e32 v47, v50, v23 /*v279*/
	s_set_vgpr_msb 0                        ;  msbs: dst=0 src0=0 src1=0 src2=0
	s_delay_alu instid0(VALU_DEP_1) | instskip(SKIP_3) | instid1(VALU_DEP_2)
	v_add3_u32 v187, v2, v46, v47
	v_mul_i32_i24_e32 v2, v15, v121
	v_mul_i32_i24_e32 v15, v45, v226
	v_bfe_u32 v45, v119, 16, 2
	v_add3_u32 v218, v64, v2, v15
	v_lshrrev_b32_e32 v2, 24, v119
	s_delay_alu instid0(VALU_DEP_3) | instskip(NEXT) | instid1(VALU_DEP_2)
	v_mul_i32_i24_e32 v15, v45, v28
	v_and_b32_e32 v2, 3, v2
	s_delay_alu instid0(VALU_DEP_1) | instskip(NEXT) | instid1(VALU_DEP_1)
	v_mul_i32_i24_e32 v46, v2, v29
	v_add3_u32 v221, v176, v15, v46
	v_lshrrev_b32_e32 v15, 24, v1
	v_bfe_u32 v1, v1, 16, 2
	s_delay_alu instid0(VALU_DEP_2) | instskip(NEXT) | instid1(VALU_DEP_2)
	v_and_b32_e32 v46, 3, v15
	v_mul_i32_i24_e32 v15, v1, v24
	s_delay_alu instid0(VALU_DEP_2) | instskip(NEXT) | instid1(VALU_DEP_1)
	v_mul_i32_i24_e32 v47, v46, v25
	v_add3_u32 v186, v178, v15, v47
	v_dual_lshrrev_b32 v15, 24, v3 :: v_dual_lshrrev_b32 v3, 16, v3
	s_delay_alu instid0(VALU_DEP_1) | instskip(NEXT) | instid1(VALU_DEP_2)
	v_and_b32_e32 v47, 3, v15
	v_and_b32_e32 v3, 3, v3
	s_delay_alu instid0(VALU_DEP_2) | instskip(NEXT) | instid1(VALU_DEP_2)
	v_mul_i32_i24_e32 v15, v47, v29
	v_mul_i32_i24_e32 v48, v3, v28
	;; [unrolled: 1-line block ×3, first 2 shown]
	s_delay_alu instid0(VALU_DEP_2) | instskip(SKIP_1) | instid1(VALU_DEP_1)
	v_add3_u32 v178, v142, v48, v15
	v_dual_lshrrev_b32 v15, 24, v13 :: v_dual_lshrrev_b32 v13, 16, v13
	v_and_b32_e32 v48, 3, v15
	s_delay_alu instid0(VALU_DEP_2) | instskip(NEXT) | instid1(VALU_DEP_2)
	v_and_b32_e32 v13, 3, v13
	v_mul_i32_i24_e32 v15, v48, v33
	s_delay_alu instid0(VALU_DEP_2) | instskip(NEXT) | instid1(VALU_DEP_1)
	v_mul_i32_i24_e32 v49, v13, v32
	v_add3_u32 v15, v139, v49, v15
	v_mul_i32_i24_e32 v49, v47, v27
	s_delay_alu instid0(VALU_DEP_1) | instskip(SKIP_2) | instid1(VALU_DEP_1)
	v_add3_u32 v184, v144, v50, v49
	v_mul_i32_i24_e32 v49, v48, v25
	v_mul_i32_i24_e32 v50, v13, v24
	v_add3_u32 v225, v143, v50, v49
	v_mul_i32_i24_e32 v49, v3, v37
	v_mul_i32_i24_e32 v50, v47, v34
	s_delay_alu instid0(VALU_DEP_1) | instskip(SKIP_1) | instid1(VALU_DEP_1)
	v_add3_u32 v222, v198, v49, v50
	v_dual_lshrrev_b32 v49, 16, v133 :: v_dual_lshrrev_b32 v50, 24, v133
	v_and_b32_e32 v49, 3, v49
	s_delay_alu instid0(VALU_DEP_2) | instskip(NEXT) | instid1(VALU_DEP_2)
	v_and_b32_e32 v50, 3, v50
	v_mul_i32_i24_e32 v51, v49, v39
	s_delay_alu instid0(VALU_DEP_2) | instskip(NEXT) | instid1(VALU_DEP_1)
	v_mul_i32_i24_e32 v64, v50, v38
	v_add3_u32 v176, v179, v51, v64
	v_dual_lshrrev_b32 v51, 16, v5 :: v_dual_lshrrev_b32 v5, 24, v5
	s_delay_alu instid0(VALU_DEP_1) | instskip(NEXT) | instid1(VALU_DEP_2)
	v_and_b32_e32 v51, 3, v51
	v_and_b32_e32 v5, 3, v5
	s_delay_alu instid0(VALU_DEP_2) | instskip(NEXT) | instid1(VALU_DEP_2)
	v_mul_i32_i24_e32 v64, v51, v43
	v_mul_i32_i24_e32 v65, v5, v44
	s_delay_alu instid0(VALU_DEP_1) | instskip(SKIP_2) | instid1(VALU_DEP_1)
	v_add3_u32 v179, v201, v64, v65
	v_mul_i32_i24_e32 v64, v13, v40
	v_mul_i32_i24_e32 v65, v48, v42
	v_add3_u32 v231, v199, v64, v65
	v_mul_i32_i24_e32 v64, v50, v29
	v_mul_i32_i24_e32 v65, v49, v28
	s_delay_alu instid0(VALU_DEP_1) | instskip(SKIP_2) | instid1(VALU_DEP_1)
	v_add3_u32 v226, v188, v65, v64
	v_mul_i32_i24_e32 v64, v5, v33
	v_mul_i32_i24_e32 v65, v51, v32
	v_add3_u32 v219, v147, v65, v64
	;; [unrolled: 7-line block ×11, first 2 shown]
	v_mul_i32_i24_e32 v64, v51, v63
	v_mul_i32_i24_e32 v65, v5, v148
	s_delay_alu instid0(VALU_DEP_1) | instskip(SKIP_3) | instid1(VALU_DEP_1)
	v_add3_u32 v247, v217, v64, v65
	v_mul_i32_i24_e32 v64, v45, v61
	v_mul_i32_i24_e32 v65, v2, v62
	s_set_vgpr_msb 64                       ;  msbs: dst=1 src0=0 src1=0 src2=0
	v_add3_u32 v1 /*v257*/, v252, v64, v65
	s_set_vgpr_msb 0                        ;  msbs: dst=0 src0=0 src1=0 src2=0
	v_mul_i32_i24_e32 v64, v45, v37
	v_mul_i32_i24_e32 v65, v2, v34
	s_set_vgpr_msb 64                       ;  msbs: dst=1 src0=0 src1=0 src2=0
	s_delay_alu instid0(VALU_DEP_1) | instskip(SKIP_3) | instid1(VALU_DEP_1)
	v_add3_u32 v4 /*v260*/, v251, v64, v65
	s_set_vgpr_msb 0                        ;  msbs: dst=0 src0=0 src1=0 src2=0
	v_mul_i32_i24_e32 v64, v13, v63
	v_mul_i32_i24_e32 v65, v48, v148
	v_add3_u32 v251, v197, v64, v65
	v_mul_i32_i24_e32 v64, v1, v40
	v_mul_i32_i24_e32 v65, v46, v42
	s_set_vgpr_msb 64                       ;  msbs: dst=1 src0=0 src1=0 src2=0
	s_delay_alu instid0(VALU_DEP_1) | instskip(SKIP_4) | instid1(VALU_DEP_1)
	v_add3_u32 v0 /*v256*/, v254, v64, v65
	s_set_vgpr_msb 0                        ;  msbs: dst=0 src0=0 src1=0 src2=0
	v_mul_i32_i24_e32 v64, v1, v63
	v_mul_i32_i24_e32 v65, v46, v148
	s_set_vgpr_msb 64                       ;  msbs: dst=1 src0=0 src1=0 src2=0
	v_add3_u32 v3 /*v259*/, v253, v64, v65
	s_set_vgpr_msb 0                        ;  msbs: dst=0 src0=0 src1=0 src2=0
	v_mul_i32_i24_e32 v64, v45, v150
	v_mul_i32_i24_e32 v65, v2, v149
	v_mul_i32_i24_e32 v45, v45, v35
	v_mul_i32_i24_e32 v2, v2, v36
	s_set_vgpr_msb 64                       ;  msbs: dst=1 src0=0 src1=0 src2=0
	s_delay_alu instid0(VALU_DEP_3) | instskip(NEXT) | instid1(VALU_DEP_2)
	v_add3_u32 v8 /*v264*/, v200, v64, v65
	v_add3_u32 v10 /*v266*/, v255, v45, v2
	s_set_vgpr_msb 0                        ;  msbs: dst=0 src0=0 src1=0 src2=0
	v_mul_i32_i24_e32 v2, v13, v30
	v_mul_i32_i24_e32 v45, v48, v31
	s_delay_alu instid0(VALU_DEP_1) | instskip(SKIP_3) | instid1(VALU_DEP_1)
	v_add3_u32 v252, v203, v2, v45
	v_mul_i32_i24_e32 v2, v3, v150
	v_mul_i32_i24_e32 v45, v47, v84
	s_set_vgpr_msb 0x41                     ;  msbs: dst=1 src0=1 src1=0 src2=0
	v_add3_u32 v2 /*v258*/, v2 /*v258*/, v2, v45
	s_set_vgpr_msb 0                        ;  msbs: dst=0 src0=0 src1=0 src2=0
	v_mul_i32_i24_e32 v2, v1, v30
	v_mul_i32_i24_e32 v45, v46, v31
	;; [unrolled: 1-line block ×3, first 2 shown]
	s_set_vgpr_msb 0x41                     ;  msbs: dst=1 src0=1 src1=0 src2=0
	s_delay_alu instid0(VALU_DEP_2) | instskip(SKIP_3) | instid1(VALU_DEP_1)
	v_add3_u32 v9 /*v265*/, v5 /*v261*/, v2, v45
	s_set_vgpr_msb 0                        ;  msbs: dst=0 src0=0 src1=0 src2=0
	v_mul_i32_i24_e32 v2, v46, v151
	s_set_vgpr_msb 64                       ;  msbs: dst=1 src0=0 src1=0 src2=0
	v_add3_u32 v11 /*v267*/, v0, v1, v2
	s_set_vgpr_msb 0                        ;  msbs: dst=0 src0=0 src1=0 src2=0
	v_mul_i32_i24_e32 v0, v13, v152
	s_set_vgpr_msb 20                       ;  msbs: dst=0 src0=0 src1=1 src2=1
	v_add3_u32 v13, s18, v215 /*v471*/, v214 /*v470*/
	s_set_vgpr_msb 0                        ;  msbs: dst=0 src0=0 src1=0 src2=0
	v_mul_i32_i24_e32 v1, v48, v151
	v_cvt_f32_i32_e32 v2, v215
	ds_load_b32 v64, v13
	s_set_vgpr_msb 64                       ;  msbs: dst=1 src0=0 src1=0 src2=0
	v_add3_u32 v7 /*v263*/, v137, v0, v1
	s_set_vgpr_msb 0                        ;  msbs: dst=0 src0=0 src1=0 src2=0
	v_mul_i32_i24_e32 v0, v3, v35
	v_mul_i32_i24_e32 v1, v47, v36
	v_cvt_f32_i32_e32 v3, v216
	s_set_vgpr_msb 64                       ;  msbs: dst=1 src0=0 src1=0 src2=0
	s_delay_alu instid0(VALU_DEP_2) | instskip(SKIP_3) | instid1(VALU_DEP_1)
	v_add3_u32 v6 /*v262*/, v140, v0, v1
	s_set_vgpr_msb 0                        ;  msbs: dst=0 src0=0 src1=0 src2=0
	v_mul_i32_i24_e32 v0, v51, v152
	v_mul_i32_i24_e32 v1, v5, v151
	v_add3_u32 v255, v4, v0, v1
	v_mul_i32_i24_e32 v1, v50, v36
	s_set_vgpr_msb 1                        ;  msbs: dst=0 src0=1 src1=0 src2=0
	v_cvt_f32_i32_e32 v4, v18 /*v274*/
	s_wait_dscnt 0x0
	v_lshrrev_b32_e32 v13, 16, v64
	s_set_vgpr_msb 0                        ;  msbs: dst=0 src0=0 src1=0 src2=0
	v_mul_i32_i24_e32 v0, v49, v35
	s_delay_alu instid0(VALU_DEP_2) | instskip(NEXT) | instid1(VALU_DEP_2)
	v_cvt_f32_f16_e32 v45, v13
	v_add3_u32 v254, v138, v0, v1
	v_mul_i32_i24_e32 v0, v51, v30
	v_mul_i32_i24_e32 v1, v5, v31
	s_set_vgpr_msb 1                        ;  msbs: dst=0 src0=1 src1=0 src2=0
	v_cvt_f32_i32_e32 v5, v19 /*v275*/
	s_set_vgpr_msb 0                        ;  msbs: dst=0 src0=0 src1=0 src2=0
	v_mov_b32_e32 v46, v45
	v_add3_u32 v253, v141, v0, v1
	v_mul_i32_i24_e32 v0, v50, v84
	v_mul_i32_i24_e32 v1, v49, v150
	s_delay_alu instid0(VALU_DEP_4)
	v_pk_mul_f32 v[48:49], v[46:47], v[2:3] op_sel_hi:[0,1]
	v_cvt_f32_i32_e32 v2, v52
	v_cvt_f32_i32_e32 v3, v53
	s_set_vgpr_msb 64                       ;  msbs: dst=1 src0=0 src1=0 src2=0
	v_add3_u32 v5 /*v261*/, v135, v1, v0
	s_set_vgpr_msb 0                        ;  msbs: dst=0 src0=0 src1=0 src2=0
	v_cvt_f32_i32_e32 v1, v195
	v_cvt_f32_i32_e32 v0, v192
	s_delay_alu instid0(VALU_DEP_1)
	v_pk_mul_f32 v[50:51], v[46:47], v[0:1] op_sel_hi:[0,1]
	v_cvt_f32_i32_e32 v0, v12
	s_set_vgpr_msb 20                       ;  msbs: dst=0 src0=0 src1=1 src2=1
	v_add3_u32 v12, s18, v210 /*v466*/, v201 /*v457*/
	v_cvt_f32_i32_e32 v1, v41
	s_set_vgpr_msb 0                        ;  msbs: dst=0 src0=0 src1=0 src2=0
	v_pk_mul_f32 v[46:47], v[46:47], v[4:5] op_sel_hi:[0,1]
	v_cvt_f32_i32_e32 v4, v55
	v_cvt_f32_i32_e32 v5, v54
	ds_load_b32 v65, v12
	s_wait_dscnt 0x0
	v_lshrrev_b32_e32 v12, 16, v65
	s_delay_alu instid0(VALU_DEP_1) | instskip(NEXT) | instid1(VALU_DEP_1)
	v_cvt_f32_f16_e32 v41, v12
	v_mov_b32_e32 v52, v41
	s_delay_alu instid0(VALU_DEP_1)
	v_pk_mul_f32 v[12:13], v[52:53], v[0:1] op_sel_hi:[0,1]
	v_lshrrev_b32_e32 v0, 24, v185
	v_bfe_u32 v1, v185, 16, 2
	v_pk_mul_f32 v[54:55], v[52:53], v[2:3] op_sel_hi:[0,1]
	v_pk_mul_f32 v[52:53], v[52:53], v[4:5] op_sel_hi:[0,1]
	v_bfe_u32 v4, v220, 16, 2
	v_and_b32_e32 v0, 3, v0
	v_mul_i32_i24_e32 v2, v1, v35
	v_mul_i32_i24_e32 v26, v1, v26
	;; [unrolled: 1-line block ×8, first 2 shown]
	s_delay_alu instid0(VALU_DEP_4) | instskip(SKIP_4) | instid1(VALU_DEP_4)
	v_add3_u32 v2, v230, v2, v3
	v_lshrrev_b32_e32 v3, 24, v220
	v_add3_u32 v9, v9, v26, v27
	v_mul_i32_i24_e32 v26, v4, v56
	v_add3_u32 v28, v180, v28, v29
	v_and_b32_e32 v3, 3, v3
	s_delay_alu instid0(VALU_DEP_1)
	v_mul_i32_i24_e32 v27, v3, v57
	v_mul_i32_i24_e32 v30, v3, v31
	;; [unrolled: 1-line block ×5, first 2 shown]
	v_add3_u32 v26, v232, v26, v27
	v_mul_i32_i24_e32 v27, v4, v43
	v_add3_u32 v5, v229, v5, v30
	v_mul_i32_i24_e32 v30, v3, v33
	;; [unrolled: 2-line block ×4, first 2 shown]
	v_mul_i32_i24_e32 v25, v0, v38
	v_mul_i32_i24_e32 v32, v0, v34
	;; [unrolled: 1-line block ×4, first 2 shown]
	v_add3_u32 v29, v175, v29, v30
	v_add3_u32 v24, v181, v24, v25
	v_mul_i32_i24_e32 v25, v1, v58
	v_mul_i32_i24_e32 v30, v0, v60
	;; [unrolled: 1-line block ×3, first 2 shown]
	v_cvt_f32_f16_e32 v57, v64
	s_delay_alu instid0(VALU_DEP_3) | instskip(SKIP_1) | instid1(VALU_DEP_1)
	v_add3_u32 v25, v177, v25, v30
	v_mul_i32_i24_e32 v30, v1, v61
	v_add3_u32 v30, v223, v30, v31
	v_mul_i32_i24_e32 v31, v1, v37
	v_mul_i32_i24_e32 v1, v1, v150
	s_delay_alu instid0(VALU_DEP_2) | instskip(SKIP_2) | instid1(VALU_DEP_2)
	v_add3_u32 v31, v182, v31, v32
	v_mul_i32_i24_e32 v32, v4, v40
	v_and_b32_e32 v40, 15, v174
	v_add3_u32 v32, v224, v32, v33
	v_mul_i32_i24_e32 v33, v4, v63
	s_delay_alu instid0(VALU_DEP_3) | instskip(NEXT) | instid1(VALU_DEP_2)
	v_and_b32_e32 v40, 0xffff, v40
	v_add3_u32 v33, v183, v33, v34
	v_add3_u32 v34, v187, v1, v0
	v_mul_i32_i24_e32 v0, v4, v152
	v_mul_i32_i24_e32 v1, v3, v151
	s_delay_alu instid0(VALU_DEP_1) | instskip(SKIP_1) | instid1(VALU_DEP_1)
	v_add3_u32 v4, v218, v0, v1
	v_and_b32_e32 v0, 15, v153
	v_and_b32_e32 v0, 0xffff, v0
	s_delay_alu instid0(VALU_DEP_1)
	v_mul_lo_u32 v1, v221, v0
	v_mul_lo_u32 v3, v248, v0
	;; [unrolled: 1-line block ×4, first 2 shown]
	s_set_vgpr_msb 1                        ;  msbs: dst=0 src0=1 src1=0 src2=0
	v_mul_lo_u32 v37, v4 /*v260*/, v0
	v_mul_lo_u32 v38, v1 /*v257*/, v0
	;; [unrolled: 1-line block ×4, first 2 shown]
	s_set_vgpr_msb 0                        ;  msbs: dst=0 src0=0 src1=0 src2=0
	v_mad_u32 v62, v186, v40, v1
	v_and_b32_e32 v1, 15, v173
	v_mad_u32 v42, v242, v40, v3
	v_mad_u32 v35, v245, v40, v35
	;; [unrolled: 1-line block ×3, first 2 shown]
	s_set_vgpr_msb 1                        ;  msbs: dst=0 src0=1 src1=0 src2=0
	v_mad_u32 v38, v3 /*v259*/, v40, v38
	v_and_b32_e32 v1, 0xffff, v1
	v_mad_u32 v63, v11 /*v267*/, v40, v0
	v_and_b32_e32 v0, 15, v8
	v_mad_u32 v66, v9 /*v265*/, v40, v39
	v_mad_u32 v37, v0 /*v256*/, v40, v37
	s_set_vgpr_msb 0                        ;  msbs: dst=0 src0=0 src1=0 src2=0
	v_mul_lo_u32 v3, v225, v1
	v_cvt_f32_i32_e32 v62, v62
	v_and_b32_e32 v0, 0xffff, v0
	s_delay_alu instid0(VALU_DEP_1)
	v_mul_lo_u32 v8, v222, v0
	v_mul_lo_u32 v40, v238, v0
	;; [unrolled: 1-line block ×3, first 2 shown]
	v_cvt_f32_i32_e32 v37, v37
	v_mad_u32 v39, v178, v0, v3
	v_mul_lo_u32 v3, v243, v1
	v_mad_u32 v60, v241, v1, v40
	v_mad_u32 v84, v251, v1, v44
	s_delay_alu instid0(VALU_DEP_3) | instskip(SKIP_2) | instid1(VALU_DEP_1)
	v_mad_u32 v43, v246, v0, v3
	s_set_vgpr_msb 1                        ;  msbs: dst=0 src0=1 src1=0 src2=0
	v_mul_lo_u32 v3, v7 /*v263*/, v1
	v_mad_u32 v67, v2 /*v258*/, v0, v3
	s_set_vgpr_msb 0                        ;  msbs: dst=0 src0=0 src1=0 src2=0
	v_mul_lo_u32 v3, v184, v0
	s_set_vgpr_msb 1                        ;  msbs: dst=0 src0=1 src1=0 src2=0
	v_mul_lo_u32 v0, v6 /*v262*/, v0
	s_set_vgpr_msb 0                        ;  msbs: dst=0 src0=0 src1=0 src2=0
	s_delay_alu instid0(VALU_DEP_2) | instskip(SKIP_1) | instid1(VALU_DEP_3)
	v_mad_u32 v58, v15, v1, v3
	v_mad_u32 v15, v231, v1, v8
	;; [unrolled: 1-line block ×3, first 2 shown]
	v_and_b32_e32 v1, 15, v172
	v_and_b32_e32 v0, 15, v154
	v_cvt_f32_i32_e32 v154, v63
	s_delay_alu instid0(VALU_DEP_3) | instskip(NEXT) | instid1(VALU_DEP_3)
	v_and_b32_e32 v1, 0xffff, v1
	v_and_b32_e32 v0, 0xffff, v0
	s_delay_alu instid0(VALU_DEP_2) | instskip(NEXT) | instid1(VALU_DEP_2)
	v_mul_lo_u32 v3, v233, v1
	v_mul_lo_u32 v8, v227, v0
	;; [unrolled: 1-line block ×4, first 2 shown]
	s_delay_alu instid0(VALU_DEP_4) | instskip(SKIP_4) | instid1(VALU_DEP_4)
	v_mad_u32 v61, v226, v0, v3
	v_mul_lo_u32 v3, v247, v1
	v_mad_u32 v88, v219, v1, v8
	v_mad_u32 v89, v235, v1, v40
	;; [unrolled: 1-line block ×4, first 2 shown]
	v_mul_lo_u32 v3, v255, v1
	s_delay_alu instid0(VALU_DEP_3) | instskip(NEXT) | instid1(VALU_DEP_3)
	v_cvt_f32_i32_e32 v152, v94
	v_cvt_f32_i32_e32 v153, v86
	s_set_vgpr_msb 1                        ;  msbs: dst=0 src0=1 src1=0 src2=0
	s_delay_alu instid0(VALU_DEP_3) | instskip(SKIP_3) | instid1(VALU_DEP_2)
	v_mad_u32 v87, v5 /*v261*/, v0, v3
	s_set_vgpr_msb 0                        ;  msbs: dst=0 src0=0 src1=0 src2=0
	v_mul_lo_u32 v3, v176, v0
	v_mul_lo_u32 v0, v254, v0
	v_mad_u32 v56, v179, v1, v3
	s_delay_alu instid0(VALU_DEP_2) | instskip(SKIP_4) | instid1(VALU_DEP_1)
	v_mad_u32 v95, v253, v1, v0
	v_dual_lshrrev_b32 v0, 1, v22 :: v_dual_lshrrev_b32 v3, 1, v20
	ds_load_b32 v1, v0 offset:30368
	ds_load_b32 v0, v3 offset:30368
	v_and_b32_e32 v3, 15, v6
	v_and_b32_e32 v3, 0xffff, v3
	s_delay_alu instid0(VALU_DEP_1)
	v_mul_lo_u32 v2, v2, v3
	v_mul_lo_u32 v6, v9, v3
	;; [unrolled: 1-line block ×8, first 2 shown]
	v_and_b32_e32 v3, 15, v171
	v_cvt_f32_i32_e32 v31, v43
	v_cvt_f32_i32_e32 v30, v60
	;; [unrolled: 1-line block ×3, first 2 shown]
	s_delay_alu instid0(VALU_DEP_4) | instskip(SKIP_3) | instid1(VALU_DEP_2)
	v_and_b32_e32 v28, 0xffff, v3
	s_set_vgpr_msb 20                       ;  msbs: dst=0 src0=0 src1=1 src2=1
	v_add3_u32 v3, s18, v208 /*v464*/, v191 /*v447*/
	s_set_vgpr_msb 0                        ;  msbs: dst=0 src0=0 src1=0 src2=0
	v_mad_u32 v104, v5, v28, v2
	s_set_vgpr_msb 20                       ;  msbs: dst=0 src0=0 src1=1 src2=1
	v_add3_u32 v2, s18, v206 /*v462*/, v189 /*v445*/
	s_set_vgpr_msb 0                        ;  msbs: dst=0 src0=0 src1=0 src2=0
	v_mad_u32 v149, v7, v28, v8
	v_mad_u32 v172, v29, v28, v6
	v_dual_lshrrev_b32 v6, 1, v23 :: v_dual_lshrrev_b32 v8, 1, v18
	ds_load_b32 v18, v3
	ds_load_b32 v23, v2
	v_lshrrev_b32_e32 v5, 1, v21
	v_mad_u32 v171, v27, v28, v20
	v_lshrrev_b32_e32 v20, 1, v19
	v_mad_u32 v176, v32, v28, v22
	v_cvt_f32_i32_e32 v19, v56
	ds_load_b32 v3, v5 offset:30368
	v_cvt_f32_i32_e32 v22, v155
	v_mad_u32 v174, v26, v28, v9
	v_mad_u32 v173, v33, v28, v24
	v_dual_lshrrev_b32 v9, 1, v17 :: v_dual_lshrrev_b32 v21, 1, v16
	v_mad_u32 v175, v4, v28, v25
	v_cvt_f32_f16_e32 v17, v65
	v_cvt_f32_i32_e32 v25, v39
	v_cvt_f32_i32_e32 v24, v58
	ds_load_b32 v7, v6 offset:30368
	ds_load_b32 v4, v8 offset:30368
	;; [unrolled: 1-line block ×3, first 2 shown]
	v_cvt_f32_i32_e32 v9, v159
	v_cvt_f32_i32_e32 v8, v10
	s_wait_dscnt 0x5
	v_lshrrev_b32_e32 v5, 16, v18
	s_wait_dscnt 0x4
	v_cvt_f32_f16_e32 v56, v23
	v_cvt_f32_f16_e32 v16, v18
	v_mov_b32_e32 v148, v17
	v_cvt_f32_i32_e32 v27, v170
	v_cvt_f32_f16_e32 v40, v5
	s_wait_dscnt 0x3
	v_dual_mov_b32 v6, v3 :: v_dual_lshrrev_b32 v5, 16, v23
	v_cvt_f32_i32_e32 v23, v160
	v_cvt_f32_i32_e32 v26, v36
	;; [unrolled: 1-line block ×3, first 2 shown]
	s_delay_alu instid0(VALU_DEP_4)
	v_cvt_f32_f16_e32 v44, v5
	v_pk_mul_f32 v[8:9], v[40:41], v[8:9]
	v_pk_mul_f32 v[22:23], v[40:41], v[22:23] op_sel_hi:[0,1]
	ds_load_b32 v10, v20 offset:30368
	v_mov_b32_e32 v28, v0
	v_cvt_f32_i32_e32 v33, v11
	v_pk_fma_f32 v[18:19], v[16:17], v[18:19], v[8:9] neg_lo:[0,0,1] neg_hi:[0,0,1]
	v_pk_fma_f32 v[22:23], v[16:17], v[24:25], v[22:23] op_sel_hi:[0,1,1] neg_lo:[0,0,1] neg_hi:[0,0,1]
	v_cvt_f32_i32_e32 v25, v61
	v_cvt_f32_i32_e32 v24, v88
	ds_load_b32 v9, v21 offset:30368
	v_cvt_f32_i32_e32 v32, v89
	v_cvt_f32_i32_e32 v36, v38
	;; [unrolled: 1-line block ×3, first 2 shown]
	v_pk_fma_f32 v[24:25], v[148:149], v[24:25], v[12:13] op_sel_hi:[0,1,1] neg_lo:[0,0,1] neg_hi:[0,0,1]
	v_dual_mov_b32 v12, v56 :: v_dual_mov_b32 v13, v44
	v_cvt_f32_i32_e32 v39, v167
	v_cvt_f32_i32_e32 v15, v157
	;; [unrolled: 1-line block ×4, first 2 shown]
	v_pk_mul_f32 v[26:27], v[12:13], v[26:27]
	v_cvt_f32_i32_e32 v13, v161
	v_cvt_f32_i32_e32 v12, v156
	v_pk_mul_f32 v[38:39], v[40:41], v[38:39] op_sel_hi:[0,1]
	v_pk_mul_f32 v[14:15], v[44:45], v[14:15] op_sel_hi:[0,1]
	v_cvt_f32_i32_e32 v20, v35
	v_mov_b32_e32 v58, v57
	v_pk_mul_f32 v[12:13], v[40:41], v[12:13] op_sel_hi:[0,1]
	v_pk_mul_f32 v[150:151], v[44:45], v[42:43] op_sel_hi:[0,1]
	v_cvt_f32_i32_e32 v155, v66
	v_cvt_f32_i32_e32 v43, v67
	;; [unrolled: 1-line block ×3, first 2 shown]
	v_pk_fma_f32 v[30:31], v[16:17], v[30:31], v[12:13] op_sel_hi:[0,1,1] neg_lo:[0,0,1] neg_hi:[0,0,1]
	v_dual_mov_b32 v12, v17 :: v_dual_mov_b32 v13, v41
	v_mov_b32_e32 v17, v40
	v_cvt_f32_i32_e32 v40, v164
	v_cvt_f32_i32_e32 v41, v163
	v_cvt_f32_i32_e32 v66, v171
	v_pk_mul_f32 v[32:33], v[12:13], v[32:33]
	v_cvt_f32_i32_e32 v13, v162
	v_cvt_f32_i32_e32 v12, v158
	v_pk_mul_f32 v[60:61], v[44:45], v[40:41]
	v_cvt_f32_i32_e32 v41, v169
	v_cvt_f32_i32_e32 v40, v84
	;; [unrolled: 1-line block ×3, first 2 shown]
	v_pk_mul_f32 v[12:13], v[44:45], v[12:13] op_sel_hi:[0,1]
	v_mov_b32_e32 v44, v57
	v_cvt_f32_i32_e32 v158, v175
	v_mov_b32_e32 v8, v1
	v_pk_fma_f32 v[20:21], v[56:57], v[20:21], v[14:15] op_sel_hi:[0,1,1] neg_lo:[0,0,1] neg_hi:[0,0,1]
	v_dual_mov_b32 v14, v1 :: v_dual_mov_b32 v15, v0
	s_wait_dscnt 0x0
	v_dual_mov_b32 v29, v3 :: v_dual_mov_b32 v11, v9
	v_cvt_f32_i32_e32 v42, v85
	v_cvt_f32_i32_e32 v65, v172
	;; [unrolled: 1-line block ×5, first 2 shown]
	v_pk_fma_f32 v[150:151], v[56:57], v[154:155], v[150:151] op_sel_hi:[0,1,1] neg_lo:[0,0,1] neg_hi:[0,0,1]
	v_pk_fma_f32 v[48:49], v[58:59], v[66:67], v[48:49] op_sel_hi:[0,1,1] neg_lo:[0,0,1] neg_hi:[0,0,1]
	v_pk_mul_f32 v[44:45], v[44:45], v[158:159]
	v_pk_fma_f32 v[100:101], v[0:1], v[22:23], v[100:101]
	v_pk_fma_f32 v[98:99], v[0:1], v[24:25], v[98:99]
	v_pk_mul_f32 v[0:1], v[16:17], v[40:41]
	v_mov_b32_e32 v5, v2
	v_pk_fma_f32 v[36:37], v[56:57], v[36:37], v[12:13] op_sel_hi:[0,1,1] neg_lo:[0,0,1] neg_hi:[0,0,1]
	v_cvt_f32_i32_e32 v156, v95
	v_cvt_f32_i32_e32 v157, v87
	v_cvt_f32_i32_e32 v63, v104
	v_pk_fma_f32 v[50:51], v[58:59], v[64:65], v[50:51] op_sel_hi:[0,1,1] neg_lo:[0,0,1] neg_hi:[0,0,1]
	v_pk_fma_f32 v[58:59], v[58:59], v[84:85], v[46:47] op_sel_hi:[0,1,1] neg_lo:[0,0,1] neg_hi:[0,0,1]
	v_pk_fma_f32 v[96:97], v[28:29], v[20:21], v[96:97]
	v_dual_sub_f32 v20, v26, v27 :: v_dual_sub_f32 v21, v32, v33
	v_pk_fma_f32 v[68:69], v[10:11], v[150:151], v[68:69]
	v_pk_fma_f32 v[92:93], v[6:7], v[48:49], v[92:93]
	v_sub_f32_e32 v6, v44, v45
	v_dual_sub_f32 v11, v0, v1 :: v_dual_mov_b32 v34, v7
	v_dual_mov_b32 v12, v9 :: v_dual_mov_b32 v35, v3
	v_mov_b32_e32 v13, v10
	v_pk_fma_f32 v[54:55], v[148:149], v[152:153], v[54:55] op_sel_hi:[0,1,1] neg_lo:[0,0,1] neg_hi:[0,0,1]
	v_pk_fma_f32 v[52:53], v[148:149], v[156:157], v[52:53] op_sel_hi:[0,1,1] neg_lo:[0,0,1] neg_hi:[0,0,1]
	v_pk_fma_f32 v[46:47], v[56:57], v[62:63], v[60:61] neg_lo:[0,0,1] neg_hi:[0,0,1]
	v_pk_fma_f32 v[76:77], v[2:3], v[18:19], v[76:77]
	v_dual_mov_b32 v3, v4 :: v_dual_mul_f32 v1, v7, v20
	v_pk_fma_f32 v[78:79], v[4:5], v[36:37], v[78:79]
	v_pk_fma_f32 v[16:17], v[16:17], v[42:43], v[38:39] op_sel_hi:[0,1,1] neg_lo:[0,0,1] neg_hi:[0,0,1]
	v_pk_fma_f32 v[80:81], v[4:5], v[58:59], v[80:81]
	v_dual_mul_f32 v0, v10, v6 :: v_dual_mul_f32 v5, v7, v21
	v_mul_f32_e32 v4, v4, v11
	v_pk_fma_f32 v[90:91], v[34:35], v[30:31], v[90:91]
	s_set_vgpr_msb 0x50                     ;  msbs: dst=1 src0=0 src1=0 src2=1
	v_pk_fma_f32 v[168:169] /*v[424:425]*/, v[12:13], v[52:53], v[168:169] /*v[424:425]*/
	s_set_vgpr_msb 0                        ;  msbs: dst=0 src0=0 src1=0 src2=0
	v_pk_fma_f32 v[102:103], v[14:15], v[50:51], v[102:103]
	v_pk_fma_f32 v[70:71], v[8:9], v[46:47], v[70:71]
	;; [unrolled: 1-line block ×3, first 2 shown]
	s_set_vgpr_msb 0x50                     ;  msbs: dst=1 src0=0 src1=0 src2=1
	v_pk_fma_f32 v[170:171] /*v[426:427]*/, v[12:13], v[16:17], v[170:171] /*v[426:427]*/
	s_set_vgpr_msb 0                        ;  msbs: dst=0 src0=0 src1=0 src2=0
	v_pk_add_f32 v[74:75], v[74:75], v[0:1]
	v_pk_add_f32 v[82:83], v[82:83], v[4:5]
	s_cbranch_scc1 .LBB167_11
; %bb.12:                               ;   in Loop: Header=BB167_9 Depth=2
	s_set_vgpr_msb 16                       ;  msbs: dst=0 src0=0 src1=0 src2=1
	v_lshl_add_u32 v0, s16, 5, v167 /*v423*/
	v_lshl_add_u32 v1, s16, 2, v216 /*v472*/
	s_barrier_signal -1
	s_barrier_wait -1
	s_delay_alu instid0(VALU_DEP_2) | instskip(SKIP_1) | instid1(SALU_CYCLE_1)
	v_lshrrev_b32_e32 v0, 3, v0
	s_add_co_i32 s13, s13, 2
	s_lshl_b32 s16, s13, 3
	s_delay_alu instid0(VALU_DEP_1) | instskip(SKIP_2) | instid1(VALU_DEP_2)
	v_add_nc_u32_e32 v2, s12, v0
	v_mad_nc_u64_u32 v[0:1], v1, 36, s[2:3]
	s_set_vgpr_msb 4                        ;  msbs: dst=0 src0=0 src1=1 src2=0
	v_dual_add_nc_u32 v8, v2, v175 /*v431*/ :: v_dual_add_nc_u32 v3, v2, v180 /*v436*/
	v_dual_add_nc_u32 v4, v2, v173 /*v429*/ :: v_dual_add_nc_u32 v6, v2, v174 /*v430*/
	;; [unrolled: 1-line block ×4, first 2 shown]
	s_set_vgpr_msb 16                       ;  msbs: dst=0 src0=0 src1=0 src2=1
	v_mad_nc_i64_i32 v[2:3], v3, 36, v[202:203] /*v[458:459]*/
	v_mad_nc_i64_i32 v[4:5], v4, 36, v[202:203] /*v[458:459]*/
	;; [unrolled: 1-line block ×8, first 2 shown]
	s_clause 0x8
	global_load_b32 v18, v[0:1], off
	global_load_b32 v19, v[2:3], off offset:4
	global_load_b32 v20, v[4:5], off offset:4
	;; [unrolled: 1-line block ×8, first 2 shown]
	s_wait_loadcnt 0x8
	s_wait_xcnt 0x8
	v_cvt_f32_f16_e32 v0, v18
	s_wait_loadcnt 0x7
	s_set_vgpr_msb 1                        ;  msbs: dst=0 src0=1 src1=0 src2=0
	ds_store_b32 v199 /*v455*/, v19
	s_wait_loadcnt 0x6
	ds_store_b32 v192 /*v448*/, v20
	s_wait_loadcnt 0x5
	;; [unrolled: 2-line block ×7, first 2 shown]
	ds_store_b32 v198 /*v454*/, v26
	ds_store_b32 v172 /*v428*/, v0
	s_wait_dscnt 0x0
	s_barrier_signal -1
	s_barrier_wait -1
.LBB167_13:                             ;   Parent Loop BB167_7 Depth=1
                                        ;     Parent Loop BB167_9 Depth=2
                                        ; =>    This Inner Loop Header: Depth=3
	s_and_b32 s18, s15, 0x3ffffff8
	s_lshl_b32 s20, s15, 2
	s_wait_loadcnt 0x5
	s_set_vgpr_msb 16                       ;  msbs: dst=0 src0=0 src1=0 src2=1
	v_lshl_add_u32 v0, s18, 2, v212 /*v468*/
	s_and_b32 s19, s15, 0x7ffffffe
	s_and_b32 s20, s20, 24
	s_set_vgpr_msb 20                       ;  msbs: dst=0 src0=0 src1=1 src2=1
	s_clause 0x1
	scratch_store_b64 off, v[170:171] /*v[426:427]*/, off offset:8
	scratch_store_b64 off, v[168:169] /*v[424:425]*/, off
	s_lshr_b32 s21, s15, 2
	s_addk_co_i32 s19, 0x6200
	v_or_b32_e32 v1, s20, v211 /*v467*/
	v_or_b32_e32 v6, s20, v181 /*v437*/
	;; [unrolled: 1-line block ×5, first 2 shown]
	s_wait_loadcnt 0x0
	v_or_b32_e32 v12, s20, v187 /*v443*/
	ds_load_2addr_b32 v[64:65], v0 offset0:6 offset1:7
	s_and_b32 s18, s21, 0x3ffffffc
	v_add3_u32 v2, s19, v204 /*v460*/, v213 /*v469*/
	v_or_b32_e32 v10, s20, v185 /*v441*/
	v_or_b32_e32 v11, s20, v186 /*v442*/
	v_add3_u32 v3, s19, v205 /*v461*/, v188 /*v444*/
	ds_load_2addr_b32 v[66:67], v0 offset1:1
	ds_load_2addr_b32 v[162:163], v0 offset0:2 offset1:3
	ds_load_2addr_b32 v[160:161], v0 offset0:4 offset1:5
	s_addk_co_i32 s18, 0x7280
	v_add3_u32 v4, s19, v207 /*v463*/, v190 /*v446*/
	v_add3_u32 v5, s19, v209 /*v465*/, v200 /*v456*/
	;; [unrolled: 1-line block ×6, first 2 shown]
	s_set_vgpr_msb 0                        ;  msbs: dst=0 src0=0 src1=0 src2=0
	v_add_nc_u32_e32 v17, 0x1080, v0
	v_add_nc_u32_e32 v18, 0x1088, v0
	;; [unrolled: 1-line block ×12, first 2 shown]
	v_dual_lshlrev_b32 v0, 2, v1 :: v_dual_lshrrev_b32 v1, 1, v1
	v_dual_lshlrev_b32 v29, 2, v6 :: v_dual_lshrrev_b32 v6, 1, v6
	;; [unrolled: 1-line block ×8, first 2 shown]
	ds_load_u16 v89, v2
	ds_load_u16 v95, v3
	;; [unrolled: 1-line block ×4, first 2 shown]
	ds_load_b32 v107, v13
	ds_load_b32 v108, v15
	ds_load_b32 v109, v16
	ds_load_b32 v111, v14
	ds_load_2addr_b32 v[180:181], v21 offset1:1
	ds_load_2addr_b32 v[172:173], v22 offset1:1
	;; [unrolled: 1-line block ×12, first 2 shown]
	ds_load_b128 v[56:59], v0 offset:16896
	ds_load_b128 v[52:55], v0 offset:16912
	ds_load_b32 v157, v1 offset:30368
	ds_load_b128 v[60:63], v29 offset:16896
	ds_load_b32 v156, v6 offset:30368
	ds_load_b128 v[40:43], v29 offset:16912
	ds_load_b128 v[32:35], v30 offset:16896
	;; [unrolled: 1-line block ×3, first 2 shown]
	ds_load_b32 v149, v7 offset:30368
	ds_load_b128 v[8:11], v31 offset:16896
	ds_load_b32 v151, v36 offset:30368
	ds_load_b128 v[12:15], v31 offset:16912
	ds_load_b128 v[44:47], v39 offset:16896
	;; [unrolled: 1-line block ×3, first 2 shown]
	ds_load_b32 v153, v88 offset:30368
	ds_load_b128 v[16:19], v37 offset:16896
	ds_load_b128 v[20:23], v37 offset:16912
	ds_load_b32 v154, v38 offset:30368
	ds_load_b128 v[36:39], v84 offset:16896
	ds_load_b32 v148, v85 offset:30368
	ds_load_b128 v[28:31], v84 offset:16912
	ds_load_b128 v[4:7], v86 offset:16896
	ds_load_i8 v219, v86 offset:16911
	ds_load_b32 v158, v87 offset:30368
	ds_load_b128 v[0:3], v86 offset:16912
	ds_load_i8 v218, v86 offset:16927
	s_and_b32 s17, s15, 6
	s_wait_dscnt 0x19
	s_set_vgpr_msb 64                       ;  msbs: dst=1 src0=0 src1=0 src2=0
	v_bfe_i32 v121 /*v377*/, v57, 0, 8
	s_set_vgpr_msb 0                        ;  msbs: dst=0 src0=0 src1=0 src2=0
	v_dual_ashrrev_i32 v88, s17, v64 :: v_dual_ashrrev_i32 v84, s17, v65
	v_dual_ashrrev_i32 v64, s17, v66 :: v_dual_ashrrev_i32 v65, s17, v67
	;; [unrolled: 1-line block ×4, first 2 shown]
	s_delay_alu instid0(VALU_DEP_3)
	v_dual_ashrrev_i32 v245, 24, v58 :: v_dual_bitop2_b32 v152, 3, v65 bitop3:0x40
	v_bfe_u32 v67, v105, 4, 4
	v_bfe_u32 v85, v106, 4, 4
	v_dual_lshrrev_b32 v142, 16, v109 :: v_dual_bitop2_b32 v122, 15, v95 bitop3:0x40
	s_wait_dscnt 0x4
	v_lshrrev_b16 v145, 8, v5
	s_wait_dscnt 0x1
	s_set_vgpr_msb 64                       ;  msbs: dst=1 src0=0 src1=0 src2=0
	v_dual_ashrrev_i32 v90 /*v346*/, 24, v5 :: v_dual_ashrrev_i32 v32 /*v288*/, 24, v3
	v_bfe_i32 v146 /*v402*/, v5, 0, 8
	v_bfe_i32 v92 /*v348*/, v5, 16, 8
	s_set_vgpr_msb 0                        ;  msbs: dst=0 src0=0 src1=0 src2=0
	v_lshrrev_b16 v5, 8, v0
	v_lshrrev_b16 v116, 8, v105
	v_dual_lshrrev_b32 v140, 16, v111 :: v_dual_bitop2_b32 v118, 15, v105 bitop3:0x40
	v_lshrrev_b16 v110, 8, v106
	v_dual_lshrrev_b32 v144, 16, v108 :: v_dual_bitop2_b32 v112, 15, v106 bitop3:0x40
	v_cvt_f32_f16_e64 v161, v109
	v_cvt_f32_f16_e64 v160, v108
	v_dual_ashrrev_i32 v117, s17, v184 :: v_dual_ashrrev_i32 v121, s17, v181
	v_dual_ashrrev_i32 v119, s17, v180 :: v_dual_ashrrev_i32 v123, s17, v178
	;; [unrolled: 1-line block ×3, first 2 shown]
	v_dual_ashrrev_i32 v127, s17, v166 :: v_dual_bitop2_b32 v87, 3, v64 bitop3:0x40
	s_set_vgpr_msb 64                       ;  msbs: dst=1 src0=0 src1=0 src2=0
	v_bfe_u32 v34 /*v290*/, v64, 24, 2
	s_set_vgpr_msb 0                        ;  msbs: dst=0 src0=0 src1=0 src2=0
	v_bfe_u32 v108, v64, 8, 2
	v_bfe_u32 v109, v64, 16, 2
	;; [unrolled: 1-line block ×5, first 2 shown]
	v_dual_ashrrev_i32 v132, 24, v57 :: v_dual_bitop2_b32 v64, 3, v66 bitop3:0x40
	v_bfe_i32 v128, v57, 8, 8
	v_bfe_i32 v130, v57, 16, 8
	s_set_vgpr_msb 64                       ;  msbs: dst=1 src0=0 src1=0 src2=0
	v_bfe_i32 v109 /*v365*/, v52, 0, 8
	v_bfe_i32 v33 /*v289*/, v5, 0, 8
	s_set_vgpr_msb 4                        ;  msbs: dst=0 src0=0 src1=1 src2=0
	v_mul_i32_i24_e32 v5, v152, v121 /*v377*/
	s_set_vgpr_msb 0                        ;  msbs: dst=0 src0=0 src1=0 src2=0
	v_lshrrev_b16 v113, 8, v89
	v_lshrrev_b16 v114, 8, v95
	v_bfe_u32 v133, v89, 4, 4
	v_dual_lshrrev_b32 v138, 16, v107 :: v_dual_bitop2_b32 v120, 15, v89 bitop3:0x40
	v_bfe_u32 v89, v95, 4, 4
	v_cvt_f32_f16_e64 v162, v111
	v_dual_ashrrev_i32 v111, s17, v186 :: v_dual_ashrrev_i32 v115, s17, v187
	s_set_vgpr_msb 64                       ;  msbs: dst=1 src0=0 src1=0 src2=0
	v_dual_ashrrev_i32 v142 /*v398*/, s17, v176 :: v_dual_ashrrev_i32 v136 /*v392*/, s17, v185
	v_dual_ashrrev_i32 v131 /*v387*/, s17, v172 :: v_dual_ashrrev_i32 v128 /*v384*/, s17, v179
	s_set_vgpr_msb 0                        ;  msbs: dst=0 src0=0 src1=0 src2=0
	v_bfe_u32 v65, v66, 8, 2
	v_bfe_u32 v129, v66, 16, 2
	;; [unrolled: 1-line block ×3, first 2 shown]
	s_set_vgpr_msb 64                       ;  msbs: dst=1 src0=0 src1=0 src2=0
	v_bfe_i32 v104 /*v360*/, v52, 8, 8
	v_bfe_i32 v99 /*v355*/, v52, 16, 8
	v_dual_ashrrev_i32 v54 /*v310*/, 24, v52 :: v_dual_ashrrev_i32 v116 /*v372*/, 24, v61
	v_bfe_i32 v123 /*v379*/, v60, 0, 8
	s_set_vgpr_msb 0                        ;  msbs: dst=0 src0=0 src1=0 src2=0
	v_bfe_i32 v95, v60, 8, 8
	v_bfe_i32 v135, v60, 16, 8
	v_dual_ashrrev_i32 v134, 24, v60 :: v_dual_ashrrev_i32 v240, 24, v42
	s_set_vgpr_msb 64                       ;  msbs: dst=1 src0=0 src1=0 src2=0
	v_bfe_i32 v173 /*v429*/, v61, 0, 8
	s_set_vgpr_msb 0                        ;  msbs: dst=0 src0=0 src1=0 src2=0
	v_bfe_i32 v159, v61, 8, 8
	s_set_vgpr_msb 64                       ;  msbs: dst=1 src0=0 src1=0 src2=0
	v_bfe_i32 v115 /*v371*/, v61, 16, 8
	v_bfe_i32 v89 /*v345*/, v25, 0, 8
	;; [unrolled: 1-line block ×7, first 2 shown]
	s_set_vgpr_msb 0                        ;  msbs: dst=0 src0=0 src1=0 src2=0
	v_bfe_i32 v131, v8, 8, 8
	v_bfe_i32 v137, v8, 16, 8
	v_dual_ashrrev_i32 v192, 24, v8 :: v_dual_ashrrev_i32 v186, 24, v10
	v_bfe_i32 v8, v9, 0, 8
	s_set_vgpr_msb 64                       ;  msbs: dst=1 src0=0 src1=0 src2=0
	v_bfe_i32 v122 /*v378*/, v9, 8, 8
	v_bfe_i32 v117 /*v373*/, v9, 16, 8
	v_dual_ashrrev_i32 v118 /*v374*/, 24, v9 :: v_dual_ashrrev_i32 v66 /*v322*/, 24, v48
	s_set_vgpr_msb 0                        ;  msbs: dst=0 src0=0 src1=0 src2=0
	v_dual_ashrrev_i32 v57, 24, v59 :: v_dual_ashrrev_i32 v60, 24, v50
	s_set_vgpr_msb 64                       ;  msbs: dst=1 src0=0 src1=0 src2=0
	v_dual_ashrrev_i32 v78 /*v334*/, 24, v13 :: v_dual_ashrrev_i32 v145 /*v401*/, 24, v44
	v_dual_ashrrev_i32 v67 /*v323*/, 24, v49 :: v_dual_ashrrev_i32 v180 /*v436*/, 24, v16
	s_set_vgpr_msb 0                        ;  msbs: dst=0 src0=0 src1=0 src2=0
	v_bfe_i32 v61, v50, 16, 8
	v_bfe_i32 v252, v50, 8, 8
	s_set_vgpr_msb 64                       ;  msbs: dst=1 src0=0 src1=0 src2=0
	v_bfe_i32 v147 /*v403*/, v44, 0, 8
	v_bfe_i32 v149 /*v405*/, v44, 8, 8
	;; [unrolled: 1-line block ×3, first 2 shown]
	s_set_vgpr_msb 0                        ;  msbs: dst=0 src0=0 src1=0 src2=0
	v_bfe_i32 v254, v50, 0, 8
	v_bfe_i32 v222, v15, 0, 8
	;; [unrolled: 1-line block ×7, first 2 shown]
	s_set_vgpr_msb 64                       ;  msbs: dst=1 src0=0 src1=0 src2=0
	v_bfe_i32 v111 /*v367*/, v17, 16, 8
	v_dual_ashrrev_i32 v112 /*v368*/, 24, v17 :: v_dual_ashrrev_i32 v188 /*v444*/, 24, v36
	v_bfe_i32 v182 /*v438*/, v36, 0, 8
	s_set_vgpr_msb 0                        ;  msbs: dst=0 src0=0 src1=0 src2=0
	v_bfe_i32 v16, v36, 8, 8
	s_set_vgpr_msb 64                       ;  msbs: dst=1 src0=0 src1=0 src2=0
	v_bfe_i32 v187 /*v443*/, v36, 16, 8
	v_bfe_i32 v245 /*v501*/, v37, 0, 8
	;; [unrolled: 1-line block ×4, first 2 shown]
	v_dual_ashrrev_i32 v108 /*v364*/, 24, v37 :: v_dual_ashrrev_i32 v45 /*v301*/, 24, v28
	s_set_vgpr_msb 0                        ;  msbs: dst=0 src0=0 src1=0 src2=0
	v_bfe_i32 v228, v39, 8, 8
	v_dual_ashrrev_i32 v50, 24, v38 :: v_dual_ashrrev_i32 v36, 24, v39
	v_bfe_i32 v237, v39, 0, 8
	v_bfe_i32 v37, v39, 16, 8
	s_set_vgpr_msb 64                       ;  msbs: dst=1 src0=0 src1=0 src2=0
	v_dual_ashrrev_i32 v47 /*v303*/, 24, v25 :: v_dual_ashrrev_i32 v140 /*v396*/, 24, v4
	v_mul_lo_u32 v153 /*v409*/, 0x1010101, v67
	s_set_vgpr_msb 0                        ;  msbs: dst=0 src0=0 src1=0 src2=0
	v_bfe_i32 v172, v26, 16, 8
	v_dual_ashrrev_i32 v176, 24, v26 :: v_dual_bitop2_b32 v67, 3, v119 bitop3:0x40
	v_bfe_i32 v235, v31, 8, 8
	v_bfe_i32 v26, v31, 16, 8
	v_ashrrev_i32_e32 v25, 24, v31
	v_bfe_i32 v234, v31, 0, 8
	v_ashrrev_i32_e32 v31, 24, v15
	v_ashrrev_i32_e32 v15, 24, v19
	s_set_vgpr_msb 64                       ;  msbs: dst=1 src0=0 src1=0 src2=0
	v_bfe_u32 v29 /*v285*/, v119, 24, 2
	v_bfe_u32 v124 /*v380*/, v125, 16, 2
	;; [unrolled: 1-line block ×3, first 2 shown]
	v_lshrrev_b16 v80 /*v336*/, 8, v3
	v_bfe_u32 v162 /*v418*/, v117, 16, 2
	s_set_vgpr_msb 0                        ;  msbs: dst=0 src0=0 src1=0 src2=0
	v_bfe_u32 v203, v117, 24, 2
	s_set_vgpr_msb 64                       ;  msbs: dst=1 src0=0 src1=0 src2=0
	v_bfe_u32 v159 /*v415*/, v117, 8, 2
	s_set_vgpr_msb 0                        ;  msbs: dst=0 src0=0 src1=0 src2=0
	v_bfe_i32 v39, v3, 16, 8
	s_set_vgpr_msb 64                       ;  msbs: dst=1 src0=0 src1=0 src2=0
	v_bfe_i32 v28 /*v284*/, v3, 0, 8
	v_bfe_u32 v31 /*v287*/, v125, 24, 2
	v_dual_ashrrev_i32 v243 /*v499*/, s17, v175 :: v_dual_bitop2_b32 v199 /*v455*/, 3, v117 bitop3:0x40
	v_bfe_u32 v129 /*v385*/, v119, 8, 2
	s_set_vgpr_msb 0                        ;  msbs: dst=0 src0=0 src1=0 src2=0
	v_mul_i32_i24_e32 v117, v105, v130
	v_and_b32_e32 v3, 3, v125
	s_set_vgpr_msb 64                       ;  msbs: dst=1 src0=0 src1=0 src2=0
	v_bfe_u32 v127 /*v383*/, v125, 8, 2
	s_set_vgpr_msb 0                        ;  msbs: dst=0 src0=0 src1=0 src2=0
	v_mul_i32_i24_e32 v119, v106, v132
	s_set_vgpr_msb 4                        ;  msbs: dst=0 src0=0 src1=1 src2=0
	v_mul_i32_i24_e32 v125, v64, v109 /*v365*/
	s_set_vgpr_msb 0                        ;  msbs: dst=0 src0=0 src1=0 src2=0
	v_mad_i32_i24 v5, v150, v128, v5
	v_dual_ashrrev_i32 v242, 24, v62 :: v_dual_bitop2_b32 v86, 3, v136 bitop3:0x40
	v_bfe_i32 v155, v56, 0, 8
	s_set_vgpr_msb 64                       ;  msbs: dst=1 src0=0 src1=0 src2=0
	v_bfe_i32 v119 /*v375*/, v56, 8, 8
	v_bfe_i32 v120 /*v376*/, v56, 16, 8
	v_dual_ashrrev_i32 v25 /*v281*/, 24, v56 :: v_dual_ashrrev_i32 v58 /*v314*/, 24, v53
	s_set_vgpr_msb 0                        ;  msbs: dst=0 src0=0 src1=0 src2=0
	v_bfe_i32 v124, v58, 0, 8
	s_set_vgpr_msb 64                       ;  msbs: dst=1 src0=0 src1=0 src2=0
	v_bfe_i32 v24 /*v280*/, v58, 8, 8
	s_set_vgpr_msb 0                        ;  msbs: dst=0 src0=0 src1=0 src2=0
	v_bfe_i32 v244, v58, 16, 8
	v_bfe_i32 v246, v59, 0, 8
	;; [unrolled: 1-line block ×3, first 2 shown]
	s_set_vgpr_msb 64                       ;  msbs: dst=1 src0=0 src1=0 src2=0
	v_bfe_i32 v110 /*v366*/, v53, 0, 8
	v_bfe_i32 v106 /*v362*/, v53, 8, 8
	;; [unrolled: 1-line block ×5, first 2 shown]
	s_set_vgpr_msb 0                        ;  msbs: dst=0 src0=0 src1=0 src2=0
	v_bfe_i32 v229, v54, 16, 8
	v_bfe_i32 v250, v55, 0, 8
	;; [unrolled: 1-line block ×3, first 2 shown]
	s_set_vgpr_msb 64                       ;  msbs: dst=1 src0=0 src1=0 src2=0
	v_bfe_i32 v8 /*v264*/, v62, 0, 8
	v_bfe_i32 v9 /*v265*/, v62, 8, 8
	s_set_vgpr_msb 0                        ;  msbs: dst=0 src0=0 src1=0 src2=0
	v_bfe_i32 v241, v62, 16, 8
	v_bfe_i32 v243, v63, 0, 8
	;; [unrolled: 1-line block ×3, first 2 shown]
	s_set_vgpr_msb 64                       ;  msbs: dst=1 src0=0 src1=0 src2=0
	v_bfe_i32 v103 /*v359*/, v40, 0, 8
	v_bfe_i32 v96 /*v352*/, v40, 8, 8
	;; [unrolled: 1-line block ×3, first 2 shown]
	v_dual_ashrrev_i32 v95 /*v351*/, 24, v40 :: v_dual_ashrrev_i32 v97 /*v353*/, 24, v41
	v_bfe_i32 v10 /*v266*/, v42, 0, 8
	v_bfe_i32 v11 /*v267*/, v42, 8, 8
	s_set_vgpr_msb 0                        ;  msbs: dst=0 src0=0 src1=0 src2=0
	v_bfe_i32 v249, v42, 16, 8
	v_bfe_i32 v248, v43, 0, 8
	;; [unrolled: 1-line block ×4, first 2 shown]
	s_set_vgpr_msb 64                       ;  msbs: dst=1 src0=0 src1=0 src2=0
	v_bfe_i32 v174 /*v430*/, v32, 0, 8
	v_bfe_i32 v175 /*v431*/, v32, 8, 8
	s_set_vgpr_msb 0                        ;  msbs: dst=0 src0=0 src1=0 src2=0
	v_bfe_i32 v146, v32, 16, 8
	v_dual_ashrrev_i32 v189, 24, v32 :: v_dual_ashrrev_i32 v232, 24, v34
	s_set_vgpr_msb 64                       ;  msbs: dst=1 src0=0 src1=0 src2=0
	v_bfe_i32 v176 /*v432*/, v33, 0, 8
	v_bfe_i32 v181 /*v437*/, v33, 8, 8
	;; [unrolled: 1-line block ×3, first 2 shown]
	v_dual_ashrrev_i32 v114 /*v370*/, 24, v33 :: v_dual_ashrrev_i32 v76 /*v332*/, 24, v12
	v_bfe_i32 v2 /*v258*/, v34, 0, 8
	v_bfe_i32 v3 /*v259*/, v34, 8, 8
	s_set_vgpr_msb 0                        ;  msbs: dst=0 src0=0 src1=0 src2=0
	v_bfe_i32 v233, v34, 16, 8
	s_set_vgpr_msb 64                       ;  msbs: dst=1 src0=0 src1=0 src2=0
	v_bfe_i32 v82 /*v338*/, v12, 0, 8
	v_bfe_i32 v77 /*v333*/, v12, 8, 8
	;; [unrolled: 1-line block ×4, first 2 shown]
	s_set_vgpr_msb 0                        ;  msbs: dst=0 src0=0 src1=0 src2=0
	v_dual_ashrrev_i32 v184, 24, v54 :: v_dual_ashrrev_i32 v52, 24, v63
	v_bfe_i32 v53, v63, 16, 8
	v_bfe_i32 v56, v59, 16, 8
	s_set_vgpr_msb 64                       ;  msbs: dst=1 src0=0 src1=0 src2=0
	v_bfe_i32 v79 /*v335*/, v13, 8, 8
	v_bfe_i32 v75 /*v331*/, v13, 16, 8
	;; [unrolled: 1-line block ×4, first 2 shown]
	s_set_vgpr_msb 0                        ;  msbs: dst=0 src0=0 src1=0 src2=0
	v_bfe_i32 v182, v14, 16, 8
	v_bfe_i32 v33, v51, 16, 8
	;; [unrolled: 1-line block ×3, first 2 shown]
	v_dual_ashrrev_i32 v55, 24, v55 :: v_dual_ashrrev_i32 v58, 24, v46
	v_dual_ashrrev_i32 v32, 24, v51 :: v_dual_ashrrev_i32 v183, 24, v14
	s_set_vgpr_msb 64                       ;  msbs: dst=1 src0=0 src1=0 src2=0
	v_bfe_i32 v64 /*v320*/, v48, 16, 8
	v_bfe_i32 v65 /*v321*/, v49, 16, 8
	;; [unrolled: 1-line block ×5, first 2 shown]
	s_set_vgpr_msb 0                        ;  msbs: dst=0 src0=0 src1=0 src2=0
	v_bfe_i32 v253, v46, 0, 8
	v_bfe_i32 v13, v46, 8, 8
	;; [unrolled: 1-line block ×3, first 2 shown]
	s_set_vgpr_msb 64                       ;  msbs: dst=1 src0=0 src1=0 src2=0
	v_bfe_i32 v17 /*v273*/, v47, 0, 8
	v_bfe_i32 v16 /*v272*/, v47, 8, 8
	s_set_vgpr_msb 0                        ;  msbs: dst=0 src0=0 src1=0 src2=0
	v_bfe_i32 v40, v47, 16, 8
	s_set_vgpr_msb 64                       ;  msbs: dst=1 src0=0 src1=0 src2=0
	v_bfe_i32 v68 /*v324*/, v48, 0, 8
	v_bfe_i32 v70 /*v326*/, v49, 0, 8
	;; [unrolled: 1-line block ×3, first 2 shown]
	s_set_vgpr_msb 0                        ;  msbs: dst=0 src0=0 src1=0 src2=0
	v_dual_ashrrev_i32 v34, 24, v47 :: v_dual_ashrrev_i32 v179, 24, v18
	v_dual_ashrrev_i32 v46, 24, v43 :: v_dual_ashrrev_i32 v181, 24, v22
	v_bfe_i32 v12, v17, 8, 8
	v_bfe_i32 v178, v18, 16, 8
	;; [unrolled: 1-line block ×3, first 2 shown]
	s_set_vgpr_msb 64                       ;  msbs: dst=1 src0=0 src1=0 src2=0
	v_bfe_i32 v59 /*v315*/, v21, 0, 8
	v_bfe_i32 v39 /*v295*/, v21, 8, 8
	;; [unrolled: 1-line block ×3, first 2 shown]
	v_dual_ashrrev_i32 v52 /*v308*/, 24, v21 :: v_dual_ashrrev_i32 v43 /*v299*/, 24, v24
	v_bfe_i32 v14 /*v270*/, v22, 0, 8
	v_bfe_i32 v15 /*v271*/, v22, 8, 8
	s_set_vgpr_msb 0                        ;  msbs: dst=0 src0=0 src1=0 src2=0
	v_bfe_i32 v180, v22, 16, 8
	v_bfe_i32 v21, v38, 8, 8
	;; [unrolled: 1-line block ×4, first 2 shown]
	v_dual_ashrrev_i32 v38, 24, v35 :: v_dual_ashrrev_i32 v62, 24, v30
	v_bfe_i32 v51, v30, 16, 8
	s_set_vgpr_msb 1                        ;  msbs: dst=0 src0=1 src1=0 src2=0
	v_add_nc_u32_e32 v14, v111 /*v367*/, v141
	s_set_vgpr_msb 64                       ;  msbs: dst=1 src0=0 src1=0 src2=0
	v_bfe_i32 v18 /*v274*/, v30, 0, 8
	v_bfe_i32 v19 /*v275*/, v30, 8, 8
	s_set_vgpr_msb 0                        ;  msbs: dst=0 src0=0 src1=0 src2=0
	v_dual_ashrrev_i32 v30, 24, v11 :: v_dual_ashrrev_i32 v166, 24, v2
	s_set_vgpr_msb 64                       ;  msbs: dst=1 src0=0 src1=0 src2=0
	v_lshrrev_b16 v138 /*v394*/, 8, v6
	s_set_vgpr_msb 0                        ;  msbs: dst=0 src0=0 src1=0 src2=0
	v_ashrrev_i32_e32 v47, 24, v6
	s_set_vgpr_msb 64                       ;  msbs: dst=1 src0=0 src1=0 src2=0
	v_bfe_u32 v126 /*v382*/, v111, 16, 2
	v_bfe_u32 v30 /*v286*/, v111, 24, 2
	s_set_vgpr_msb 0                        ;  msbs: dst=0 src0=0 src1=0 src2=0
	v_bfe_i32 v48, v6, 16, 8
	s_set_vgpr_msb 64                       ;  msbs: dst=1 src0=0 src1=0 src2=0
	v_bfe_i32 v21 /*v277*/, v6, 0, 8
	v_bfe_u32 v91 /*v347*/, v126, 16, 2
	v_lshrrev_b16 v49 /*v305*/, 8, v2
	v_dual_ashrrev_i32 v61 /*v317*/, 24, v1 :: v_dual_bitop2_b32 v252 /*v508*/, 3, v126 bitop3:0x40
	s_set_vgpr_msb 0                        ;  msbs: dst=0 src0=0 src1=0 src2=0
	v_bfe_i32 v63, v2, 16, 8
	v_bfe_i32 v255, v2, 0, 8
	s_set_vgpr_msb 64                       ;  msbs: dst=1 src0=0 src1=0 src2=0
	v_bfe_u32 v94 /*v350*/, v126, 24, 2
	s_set_vgpr_msb 0                        ;  msbs: dst=0 src0=0 src1=0 src2=0
	v_and_b32_e32 v2, 3, v111
	s_set_vgpr_msb 64                       ;  msbs: dst=1 src0=0 src1=0 src2=0
	v_bfe_u32 v130 /*v386*/, v111, 8, 2
	s_set_vgpr_msb 4                        ;  msbs: dst=0 src0=0 src1=1 src2=0
	v_mul_i32_i24_e32 v6, v66, v54 /*v310*/
	v_mul_i32_i24_e32 v111, v129, v99 /*v355*/
	s_set_vgpr_msb 64                       ;  msbs: dst=1 src0=0 src1=0 src2=0
	v_bfe_u32 v255 /*v511*/, v126, 8, 2
	s_set_vgpr_msb 4                        ;  msbs: dst=0 src0=0 src1=1 src2=0
	v_mul_i32_i24_e32 v126, v87, v123 /*v379*/
	s_set_vgpr_msb 64                       ;  msbs: dst=1 src0=0 src1=0 src2=0
	v_add3_u32 v192 /*v448*/, v5, v117, v119
	s_set_vgpr_msb 4                        ;  msbs: dst=0 src0=0 src1=1 src2=0
	v_mad_i32_i24 v5, v65, v104 /*v360*/, v125
	v_cvt_f32_f16_e64 v163, v107
	v_bfe_i32 v236, v27, 0, 8
	s_set_vgpr_msb 64                       ;  msbs: dst=1 src0=0 src1=0 src2=0
	v_bfe_i32 v13 /*v269*/, v18, 8, 8
	s_set_vgpr_msb 0                        ;  msbs: dst=0 src0=0 src1=0 src2=0
	v_bfe_i32 v227, v19, 8, 8
	s_set_vgpr_msb 64                       ;  msbs: dst=1 src0=0 src1=0 src2=0
	v_bfe_i32 v44 /*v300*/, v28, 0, 8
	v_bfe_i32 v62 /*v318*/, v28, 8, 8
	;; [unrolled: 1-line block ×3, first 2 shown]
	s_set_vgpr_msb 0                        ;  msbs: dst=0 src0=0 src1=0 src2=0
	v_bfe_i32 v230, v27, 8, 8
	v_bfe_i32 v28, v27, 16, 8
	v_ashrrev_i32_e32 v27, 24, v27
	s_set_vgpr_msb 64                       ;  msbs: dst=1 src0=0 src1=0 src2=0
	v_add3_u32 v156 /*v412*/, v14, v178, v43
	s_set_vgpr_msb 0                        ;  msbs: dst=0 src0=0 src1=0 src2=0
	v_lshrrev_b16 v143, 8, v4
	v_add_nc_u32_e32 v14, v12, v139
	v_bfe_u32 v107, v127, 16, 2
	v_bfe_u32 v214, v127, 24, 2
	v_mul_i32_i24_e32 v213, v109, v135
	s_set_vgpr_msb 1                        ;  msbs: dst=0 src0=1 src1=0 src2=0
	v_mul_i32_i24_e32 v215, v34 /*v290*/, v134
	s_set_vgpr_msb 64                       ;  msbs: dst=1 src0=0 src1=0 src2=0
	v_dual_ashrrev_i32 v228 /*v484*/, s17, v170 :: v_dual_bitop2_b32 v163 /*v419*/, 3, v127 bitop3:0x40
	v_bfe_u32 v185 /*v441*/, v127, 8, 2
	s_set_vgpr_msb 4                        ;  msbs: dst=0 src0=0 src1=1 src2=0
	v_mul_i32_i24_e32 v127, v64, v103 /*v359*/
	s_set_vgpr_msb 64                       ;  msbs: dst=1 src0=0 src1=0 src2=0
	v_add3_u32 v166 /*v422*/, v5, v111, v6
	s_set_vgpr_msb 0                        ;  msbs: dst=0 src0=0 src1=0 src2=0
	v_mad_i32_i24 v111, v108, v95, v126
	s_set_vgpr_msb 64                       ;  msbs: dst=1 src0=0 src1=0 src2=0
	v_bfe_i32 v105 /*v361*/, v41, 0, 8
	v_bfe_i32 v98 /*v354*/, v41, 8, 8
	;; [unrolled: 1-line block ×3, first 2 shown]
	s_set_vgpr_msb 0                        ;  msbs: dst=0 src0=0 src1=0 src2=0
	v_bfe_i32 v220, v10, 16, 8
	v_bfe_i32 v41, v11, 16, 8
	s_set_vgpr_msb 64                       ;  msbs: dst=1 src0=0 src1=0 src2=0
	v_dual_ashrrev_i32 v240 /*v496*/, s17, v177 :: v_dual_bitop2_b32 v197 /*v453*/, 3, v115 bitop3:0x40
	s_set_vgpr_msb 4                        ;  msbs: dst=0 src0=0 src1=1 src2=0
	v_mul_i32_i24_e32 v212, v66, v95 /*v351*/
	s_set_vgpr_msb 64                       ;  msbs: dst=1 src0=0 src1=0 src2=0
	v_bfe_i32 v151 /*v407*/, v143, 0, 8
	s_set_vgpr_msb 4                        ;  msbs: dst=0 src0=0 src1=1 src2=0
	v_mul_i32_i24_e32 v143, v129, v85 /*v341*/
	v_mul_i32_i24_e32 v216, v87, v174 /*v430*/
	s_set_vgpr_msb 64                       ;  msbs: dst=1 src0=0 src1=0 src2=0
	v_add3_u32 v178 /*v434*/, v111, v213, v215
	s_set_vgpr_msb 4                        ;  msbs: dst=0 src0=0 src1=1 src2=0
	v_mad_i32_i24 v111, v65, v96 /*v352*/, v127
	s_set_vgpr_msb 0                        ;  msbs: dst=0 src0=0 src1=0 src2=0
	v_and_b32_e32 v177, 15, v114
	s_set_vgpr_msb 0x44                     ;  msbs: dst=1 src0=0 src1=1 src2=0
	v_add3_u32 v158 /*v414*/, v14, v13 /*v269*/, v227
	s_set_vgpr_msb 1                        ;  msbs: dst=0 src0=1 src1=0 src2=0
	v_add_nc_u32_e32 v14, v117 /*v373*/, v137
	s_set_vgpr_msb 64                       ;  msbs: dst=1 src0=0 src1=0 src2=0
	v_bfe_u32 v86 /*v342*/, v121, 16, 2
	v_bfe_u32 v93 /*v349*/, v121, 24, 2
	;; [unrolled: 1-line block ×4, first 2 shown]
	v_add3_u32 v161 /*v417*/, v14, v220, v41
	v_bfe_u32 v102 /*v358*/, v115, 24, 2
	s_set_vgpr_msb 0                        ;  msbs: dst=0 src0=0 src1=0 src2=0
	v_bfe_u32 v14, v115, 8, 2
	s_set_vgpr_msb 64                       ;  msbs: dst=1 src0=0 src1=0 src2=0
	v_dual_ashrrev_i32 v244 /*v500*/, s17, v174 :: v_dual_bitop2_b32 v195 /*v451*/, 3, v121 bitop3:0x40
	s_set_vgpr_msb 1                        ;  msbs: dst=0 src0=1 src1=0 src2=0
	v_mul_i32_i24_e32 v121, v34 /*v290*/, v189
	s_set_vgpr_msb 0                        ;  msbs: dst=0 src0=0 src1=0 src2=0
	v_mul_i32_i24_e32 v115, v109, v146
	s_set_vgpr_msb 0x44                     ;  msbs: dst=1 src0=0 src1=1 src2=0
	v_mul_i32_i24_e32 v135 /*v391*/, v87, v167 /*v423*/
	s_set_vgpr_msb 64                       ;  msbs: dst=1 src0=0 src1=0 src2=0
	v_add3_u32 v177 /*v433*/, v111, v143, v212
	s_set_vgpr_msb 4                        ;  msbs: dst=0 src0=0 src1=1 src2=0
	v_mad_i32_i24 v111, v108, v175 /*v431*/, v216
	s_set_vgpr_msb 1                        ;  msbs: dst=0 src0=1 src1=0 src2=0
	v_mul_i32_i24_e32 v211, v34 /*v290*/, v192
	s_set_vgpr_msb 64                       ;  msbs: dst=1 src0=0 src1=0 src2=0
	v_mul_i32_i24_e32 v154 /*v410*/, v109, v137
	s_set_vgpr_msb 0x44                     ;  msbs: dst=1 src0=0 src1=1 src2=0
	v_mul_i32_i24_e32 v157 /*v413*/, v64, v82 /*v338*/
	v_bfe_i32 v88 /*v344*/, v24, 0, 8
	s_set_vgpr_msb 64                       ;  msbs: dst=1 src0=0 src1=0 src2=0
	v_add3_u32 v164 /*v420*/, v111, v115, v121
	s_set_vgpr_msb 16                       ;  msbs: dst=0 src0=0 src1=0 src2=1
	v_mad_i32_i24 v111, v108, v131, v135 /*v391*/
	s_set_vgpr_msb 64                       ;  msbs: dst=1 src0=0 src1=0 src2=0
	v_bfe_i32 v55 /*v311*/, v20, 0, 8
	v_bfe_i32 v143 /*v399*/, v4, 0, 8
	;; [unrolled: 1-line block ×3, first 2 shown]
	s_set_vgpr_msb 0                        ;  msbs: dst=0 src0=0 src1=0 src2=0
	v_lshrrev_b16 v4, 8, v1
	s_set_vgpr_msb 64                       ;  msbs: dst=1 src0=0 src1=0 src2=0
	v_bfe_i32 v57 /*v313*/, v0, 0, 8
	v_bfe_i32 v53 /*v309*/, v1, 16, 8
	;; [unrolled: 1-line block ×3, first 2 shown]
	s_set_vgpr_msb 4                        ;  msbs: dst=0 src0=0 src1=1 src2=0
	v_mul_i32_i24_e32 v1, v66, v76 /*v332*/
	s_wait_xcnt 0x0
	s_set_vgpr_msb 0x44                     ;  msbs: dst=1 src0=0 src1=1 src2=0
	v_mul_i32_i24_e32 v169 /*v425*/, v129, v72 /*v328*/
	v_mul_i32_i24_e32 v172 /*v428*/, v87, v147 /*v403*/
	v_add3_u32 v165 /*v421*/, v111, v154 /*v410*/, v211
	s_set_vgpr_msb 20                       ;  msbs: dst=0 src0=0 src1=1 src2=1
	v_mad_i32_i24 v111, v65, v77 /*v333*/, v157 /*v413*/
	s_set_vgpr_msb 64                       ;  msbs: dst=1 src0=0 src1=0 src2=0
	v_dual_ashrrev_i32 v71 /*v327*/, 24, v45 :: v_dual_ashrrev_i32 v51 /*v307*/, 24, v20
	v_dual_ashrrev_i32 v48 /*v304*/, 24, v29 :: v_dual_ashrrev_i32 v56 /*v312*/, 24, v0
	v_bfe_i32 v50 /*v306*/, v0, 16, 8
	s_set_vgpr_msb 5                        ;  msbs: dst=0 src0=1 src1=1 src2=0
	v_mul_i32_i24_e32 v210, v34 /*v290*/, v145 /*v401*/
	s_set_vgpr_msb 4                        ;  msbs: dst=0 src0=0 src1=1 src2=0
	v_mul_i32_i24_e32 v217, v64, v88 /*v344*/
	s_set_vgpr_msb 0x44                     ;  msbs: dst=1 src0=0 src1=1 src2=0
	v_mul_i32_i24_e32 v179 /*v435*/, v109, v144 /*v400*/
	v_mul_i32_i24_e32 v201 /*v457*/, v64, v68 /*v324*/
	;; [unrolled: 1-line block ×3, first 2 shown]
	s_set_vgpr_msb 4                        ;  msbs: dst=0 src0=0 src1=1 src2=0
	v_mul_i32_i24_e32 v117, v64, v44 /*v300*/
	v_mul_i32_i24_e32 v64, v64, v57 /*v313*/
	v_add3_u32 v1, v111, v169 /*v425*/, v1
	s_set_vgpr_msb 20                       ;  msbs: dst=0 src0=0 src1=1 src2=1
	v_mad_i32_i24 v111, v108, v149 /*v405*/, v172 /*v428*/
	v_mul_i32_i24_e32 v204, v129, v50 /*v306*/
	v_mul_i32_i24_e32 v208, v66, v51 /*v307*/
	;; [unrolled: 1-line block ×3, first 2 shown]
	s_set_vgpr_msb 0x44                     ;  msbs: dst=1 src0=0 src1=1 src2=0
	v_mul_i32_i24_e32 v202 /*v458*/, v129, v64 /*v320*/
	s_set_vgpr_msb 64                       ;  msbs: dst=1 src0=0 src1=0 src2=0
	v_mul_i32_i24_e32 v203 /*v459*/, v87, v9
	s_set_vgpr_msb 0x44                     ;  msbs: dst=1 src0=0 src1=1 src2=0
	v_mul_i32_i24_e32 v210 /*v466*/, v66, v43 /*v299*/
	v_mul_i32_i24_e32 v211 /*v467*/, v66, v45 /*v301*/
	s_set_vgpr_msb 4                        ;  msbs: dst=0 src0=0 src1=1 src2=0
	v_mul_i32_i24_e32 v66, v66, v56 /*v312*/
	s_set_vgpr_msb 0x44                     ;  msbs: dst=1 src0=0 src1=1 src2=0
	v_add3_u32 v179 /*v435*/, v111, v179 /*v435*/, v210
	s_set_vgpr_msb 20                       ;  msbs: dst=0 src0=0 src1=1 src2=1
	v_mad_i32_i24 v111, v65, v73 /*v329*/, v201 /*v457*/
	s_set_vgpr_msb 5                        ;  msbs: dst=0 src0=1 src1=1 src2=0
	v_mul_i32_i24_e32 v115, v197 /*v453*/, v121 /*v377*/
	s_set_vgpr_msb 4                        ;  msbs: dst=0 src0=0 src1=1 src2=0
	v_mad_i32_i24 v64, v65, v33 /*v289*/, v64
	s_set_vgpr_msb 64                       ;  msbs: dst=1 src0=0 src1=0 src2=0
	v_bfe_i32 v35 /*v291*/, v24, 16, 8
	v_bfe_i32 v37 /*v293*/, v20, 8, 8
	;; [unrolled: 1-line block ×3, first 2 shown]
	s_set_vgpr_msb 1                        ;  msbs: dst=0 src0=1 src1=0 src2=0
	v_mul_i32_i24_e32 v201, v101 /*v357*/, v130
	v_mul_i32_i24_e32 v202, v102 /*v358*/, v132
	s_set_vgpr_msb 64                       ;  msbs: dst=1 src0=0 src1=0 src2=0
	v_dual_ashrrev_i32 v237 /*v493*/, s17, v173 :: v_dual_bitop2_b32 v194 /*v450*/, 3, v123 bitop3:0x40
	v_mul_i32_i24_e32 v204 /*v460*/, v109, v141
	s_set_vgpr_msb 0x45                     ;  msbs: dst=1 src0=1 src1=1 src2=0
	v_mul_i32_i24_e32 v205 /*v461*/, v34 /*v290*/, v180 /*v436*/
	s_set_vgpr_msb 0x44                     ;  msbs: dst=1 src0=0 src1=1 src2=0
	v_add3_u32 v227 /*v483*/, v111, v202 /*v458*/, v209
	s_set_vgpr_msb 16                       ;  msbs: dst=0 src0=0 src1=0 src2=1
	v_mad_i32_i24 v111, v108, v139, v203 /*v459*/
	s_set_vgpr_msb 64                       ;  msbs: dst=1 src0=0 src1=0 src2=0
	v_add3_u32 v220 /*v476*/, v64, v204, v66
	s_set_vgpr_msb 5                        ;  msbs: dst=0 src0=1 src1=1 src2=0
	v_mul_i32_i24_e32 v66, v199 /*v455*/, v109 /*v365*/
	s_set_vgpr_msb 0                        ;  msbs: dst=0 src0=0 src1=0 src2=0
	v_mad_i32_i24 v115, v14, v128, v115
	s_set_vgpr_msb 64                       ;  msbs: dst=1 src0=0 src1=0 src2=0
	v_bfe_u32 v155 /*v411*/, v123, 24, 2
	v_bfe_u32 v160 /*v416*/, v123, 16, 2
	s_set_vgpr_msb 5                        ;  msbs: dst=0 src0=1 src1=1 src2=0
	v_mul_i32_i24_e32 v199, v162 /*v418*/, v99 /*v355*/
	s_set_vgpr_msb 4                        ;  msbs: dst=0 src0=0 src1=1 src2=0
	v_mul_i32_i24_e32 v200, v203, v54 /*v310*/
	v_mul_i32_i24_e32 v206, v129, v38 /*v294*/
	;; [unrolled: 1-line block ×3, first 2 shown]
	s_set_vgpr_msb 64                       ;  msbs: dst=1 src0=0 src1=0 src2=0
	v_bfe_u32 v196 /*v452*/, v123, 8, 2
	s_set_vgpr_msb 4                        ;  msbs: dst=0 src0=0 src1=1 src2=0
	v_mul_i32_i24_e32 v129, v129, v41 /*v297*/
	s_set_vgpr_msb 0x54                     ;  msbs: dst=1 src0=0 src1=1 src2=1
	v_mul_i32_i24_e32 v208 /*v464*/, v87, v182 /*v438*/
	v_add3_u32 v229 /*v485*/, v111, v204 /*v460*/, v205 /*v461*/
	s_set_vgpr_msb 20                       ;  msbs: dst=0 src0=0 src1=1 src2=1
	v_mad_i32_i24 v111, v65, v37 /*v293*/, v206 /*v462*/
	s_set_vgpr_msb 64                       ;  msbs: dst=1 src0=0 src1=0 src2=0
	v_add3_u32 v172 /*v428*/, v115, v201, v202
	s_set_vgpr_msb 5                        ;  msbs: dst=0 src0=1 src1=1 src2=0
	v_mul_i32_i24_e32 v201, v194 /*v450*/, v109 /*v365*/
	v_mad_i32_i24 v66, v159 /*v415*/, v104 /*v360*/, v66
	s_set_vgpr_msb 64                       ;  msbs: dst=1 src0=0 src1=0 src2=0
	v_bfe_i32 v81 /*v337*/, v24, 8, 8
	v_bfe_i32 v4 /*v260*/, v10, 0, 8
	;; [unrolled: 1-line block ×3, first 2 shown]
	s_set_vgpr_msb 0                        ;  msbs: dst=0 src0=0 src1=0 src2=0
	v_bfe_i32 v187, v11, 0, 8
	v_bfe_i32 v185, v11, 8, 8
	s_set_vgpr_msb 64                       ;  msbs: dst=1 src0=0 src1=0 src2=0
	v_bfe_i32 v148 /*v404*/, v45, 0, 8
	v_bfe_i32 v150 /*v406*/, v45, 8, 8
	;; [unrolled: 1-line block ×3, first 2 shown]
	s_set_vgpr_msb 0                        ;  msbs: dst=0 src0=0 src1=0 src2=0
	v_bfe_i32 v10, v17, 0, 8
	v_bfe_i32 v226, v23, 0, 8
	;; [unrolled: 1-line block ×4, first 2 shown]
	s_set_vgpr_msb 64                       ;  msbs: dst=1 src0=0 src1=0 src2=0
	v_bfe_i32 v46 /*v302*/, v29, 0, 8
	v_bfe_i32 v63 /*v319*/, v29, 8, 8
	;; [unrolled: 1-line block ×3, first 2 shown]
	s_set_vgpr_msb 0                        ;  msbs: dst=0 src0=0 src1=0 src2=0
	v_ashrrev_i32_e32 v11, 24, v23
	s_set_vgpr_msb 64                       ;  msbs: dst=1 src0=0 src1=0 src2=0
	v_lshrrev_b16 v139 /*v395*/, 8, v7
	s_set_vgpr_msb 0                        ;  msbs: dst=0 src0=0 src1=0 src2=0
	v_ashrrev_i32_e32 v23, 24, v7
	v_bfe_i32 v29, v7, 16, 8
	s_set_vgpr_msb 5                        ;  msbs: dst=0 src0=1 src1=1 src2=0
	v_mul_i32_i24_e32 v196, v160 /*v416*/, v99 /*v355*/
	s_set_vgpr_msb 64                       ;  msbs: dst=1 src0=0 src1=0 src2=0
	v_bfe_i32 v27 /*v283*/, v7, 0, 8
	s_set_vgpr_msb 5                        ;  msbs: dst=0 src0=1 src1=1 src2=0
	v_mul_i32_i24_e32 v7, v155 /*v411*/, v54 /*v310*/
	s_set_vgpr_msb 4                        ;  msbs: dst=0 src0=0 src1=1 src2=0
	v_mul_i32_i24_e32 v207, v109, v187 /*v443*/
	s_set_vgpr_msb 0x45                     ;  msbs: dst=1 src0=1 src1=1 src2=0
	v_mul_i32_i24_e32 v209 /*v465*/, v34 /*v290*/, v188 /*v444*/
	s_set_vgpr_msb 64                       ;  msbs: dst=1 src0=0 src1=0 src2=0
	v_add3_u32 v225 /*v481*/, v111, v129, v208
	s_set_vgpr_msb 16                       ;  msbs: dst=0 src0=0 src1=0 src2=1
	v_mad_i32_i24 v111, v108, v16, v208 /*v464*/
	s_set_vgpr_msb 5                        ;  msbs: dst=0 src0=1 src1=1 src2=0
	v_mul_i32_i24_e32 v115, v195 /*v451*/, v121 /*v377*/
	s_set_vgpr_msb 64                       ;  msbs: dst=1 src0=0 src1=0 src2=0
	v_add3_u32 v208 /*v464*/, v66, v199, v200
	s_set_vgpr_msb 5                        ;  msbs: dst=0 src0=1 src1=1 src2=0
	v_mul_i32_i24_e32 v66, v252 /*v508*/, v121 /*v377*/
	v_mad_i32_i24 v200, v196 /*v452*/, v104 /*v360*/, v201
	s_set_vgpr_msb 1                        ;  msbs: dst=0 src0=1 src1=0 src2=0
	v_mul_i32_i24_e32 v195, v91 /*v347*/, v130
	v_mul_i32_i24_e32 v197, v86 /*v342*/, v130
	;; [unrolled: 1-line block ×3, first 2 shown]
	s_set_vgpr_msb 0x50                     ;  msbs: dst=1 src0=0 src1=0 src2=1
	v_add3_u32 v226 /*v482*/, v111, v207, v209 /*v465*/
	s_set_vgpr_msb 4                        ;  msbs: dst=0 src0=0 src1=1 src2=0
	v_mad_i32_i24 v111, v65, v81 /*v337*/, v217
	s_set_vgpr_msb 1                        ;  msbs: dst=0 src0=1 src1=0 src2=0
	v_mul_i32_i24_e32 v64, v94 /*v350*/, v132
	s_set_vgpr_msb 5                        ;  msbs: dst=0 src0=1 src1=1 src2=0
	v_mul_i32_i24_e32 v199, v163 /*v419*/, v109 /*v365*/
	s_set_vgpr_msb 1                        ;  msbs: dst=0 src0=1 src1=0 src2=0
	v_mad_i32_i24 v115, v193 /*v449*/, v128, v115
	s_set_vgpr_msb 64                       ;  msbs: dst=1 src0=0 src1=0 src2=0
	v_add3_u32 v201 /*v457*/, v200, v196, v7
	s_set_vgpr_msb 1                        ;  msbs: dst=0 src0=1 src1=0 src2=0
	v_mad_i32_i24 v7, v255 /*v511*/, v128, v66
	s_set_vgpr_msb 4                        ;  msbs: dst=0 src0=0 src1=1 src2=0
	v_mul_i32_i24_e32 v194, v107, v99 /*v355*/
	s_set_vgpr_msb 16                       ;  msbs: dst=0 src0=0 src1=0 src2=1
	v_add3_u32 v0, v111, v0, v210 /*v466*/
	s_set_vgpr_msb 4                        ;  msbs: dst=0 src0=0 src1=1 src2=0
	v_mad_i32_i24 v111, v65, v62 /*v318*/, v117
	v_mul_i32_i24_e32 v65, v214, v54 /*v310*/
	s_set_vgpr_msb 0                        ;  msbs: dst=0 src0=0 src1=0 src2=0
	v_add3_u32 v115, v115, v197, v198
	s_set_vgpr_msb 4                        ;  msbs: dst=0 src0=0 src1=1 src2=0
	v_mul_i32_i24_e32 v197, v2, v123 /*v379*/
	v_mul_i32_i24_e32 v196, v67, v123 /*v379*/
	s_set_vgpr_msb 0                        ;  msbs: dst=0 src0=0 src1=0 src2=0
	v_add3_u32 v7, v7, v195, v64
	s_set_vgpr_msb 5                        ;  msbs: dst=0 src0=1 src1=1 src2=0
	v_mad_i32_i24 v195, v185 /*v441*/, v104 /*v360*/, v199
	s_set_vgpr_msb 1                        ;  msbs: dst=0 src0=1 src1=0 src2=0
	v_mul_i32_i24_e32 v190, v125 /*v381*/, v135
	v_mul_i32_i24_e32 v191, v126 /*v382*/, v135
	;; [unrolled: 1-line block ×5, first 2 shown]
	s_set_vgpr_msb 5                        ;  msbs: dst=0 src0=1 src1=1 src2=0
	v_mul_i32_i24_e32 v198, v199 /*v455*/, v103 /*v359*/
	v_mul_i32_i24_e32 v200, v194 /*v450*/, v103 /*v359*/
	s_set_vgpr_msb 64                       ;  msbs: dst=1 src0=0 src1=0 src2=0
	v_add3_u32 v202 /*v458*/, v195, v194, v65
	s_set_vgpr_msb 4                        ;  msbs: dst=0 src0=0 src1=1 src2=0
	v_mul_i32_i24_e32 v65, v3, v123 /*v379*/
	s_set_vgpr_msb 1                        ;  msbs: dst=0 src0=1 src1=0 src2=0
	v_mad_i32_i24 v195, v130 /*v386*/, v95, v197
	v_mad_i32_i24 v196, v129 /*v385*/, v95, v196
	v_mul_i32_i24_e32 v188, v124 /*v380*/, v135
	s_set_vgpr_msb 0x41                     ;  msbs: dst=1 src0=1 src1=0 src2=0
	v_mul_i32_i24_e32 v205 /*v461*/, v31 /*v287*/, v134
	s_set_vgpr_msb 0x50                     ;  msbs: dst=1 src0=0 src1=0 src2=1
	v_add3_u32 v135 /*v391*/, v111, v206, v211 /*v467*/
	s_set_vgpr_msb 4                        ;  msbs: dst=0 src0=0 src1=1 src2=0
	v_mul_i32_i24_e32 v206, v203, v95 /*v351*/
	s_set_vgpr_msb 1                        ;  msbs: dst=0 src0=1 src1=0 src2=0
	v_mad_i32_i24 v111, v151 /*v407*/, v108, v119
	s_set_vgpr_msb 5                        ;  msbs: dst=0 src0=1 src1=1 src2=0
	v_mul_i32_i24_e32 v119, v162 /*v418*/, v85 /*v341*/
	v_mul_i32_i24_e32 v64, v160 /*v416*/, v85 /*v341*/
	;; [unrolled: 1-line block ×4, first 2 shown]
	s_set_vgpr_msb 64                       ;  msbs: dst=1 src0=0 src1=0 src2=0
	v_add3_u32 v203 /*v459*/, v195, v191, v193
	s_set_vgpr_msb 5                        ;  msbs: dst=0 src0=1 src1=1 src2=0
	v_mad_i32_i24 v195, v159 /*v415*/, v96 /*v352*/, v198
	s_set_vgpr_msb 64                       ;  msbs: dst=1 src0=0 src1=0 src2=0
	v_add3_u32 v209 /*v465*/, v196, v190, v117
	s_set_vgpr_msb 4                        ;  msbs: dst=0 src0=0 src1=1 src2=0
	v_mul_i32_i24_e32 v117, v67, v174 /*v430*/
	s_set_vgpr_msb 5                        ;  msbs: dst=0 src0=1 src1=1 src2=0
	v_mad_i32_i24 v196, v196 /*v452*/, v96 /*v352*/, v200
	s_set_vgpr_msb 1                        ;  msbs: dst=0 src0=1 src1=0 src2=0
	v_mad_i32_i24 v65, v127 /*v383*/, v95, v65
	s_set_vgpr_msb 4                        ;  msbs: dst=0 src0=0 src1=1 src2=0
	v_mul_i32_i24_e32 v191, v107, v85 /*v341*/
	v_mul_i32_i24_e32 v193, v214, v95 /*v351*/
	s_set_vgpr_msb 64                       ;  msbs: dst=1 src0=0 src1=0 src2=0
	v_add3_u32 v204 /*v460*/, v195, v119, v206
	s_set_vgpr_msb 4                        ;  msbs: dst=0 src0=0 src1=1 src2=0
	v_mul_i32_i24_e32 v119, v2, v174 /*v430*/
	s_set_vgpr_msb 64                       ;  msbs: dst=1 src0=0 src1=0 src2=0
	v_add3_u32 v210 /*v466*/, v196, v64, v66
	s_set_vgpr_msb 1                        ;  msbs: dst=0 src0=1 src1=0 src2=0
	v_mul_i32_i24_e32 v64, v125 /*v381*/, v146
	v_mul_i32_i24_e32 v66, v29 /*v285*/, v189
	s_set_vgpr_msb 0x50                     ;  msbs: dst=1 src0=0 src1=0 src2=1
	v_add3_u32 v212 /*v468*/, v65, v188, v205 /*v461*/
	s_set_vgpr_msb 4                        ;  msbs: dst=0 src0=0 src1=1 src2=0
	v_mul_i32_i24_e32 v65, v3, v174 /*v430*/
	s_set_vgpr_msb 5                        ;  msbs: dst=0 src0=1 src1=1 src2=0
	v_mad_i32_i24 v194, v185 /*v441*/, v96 /*v352*/, v194
	v_mad_i32_i24 v117, v129 /*v385*/, v175 /*v431*/, v117
	s_set_vgpr_msb 0x41                     ;  msbs: dst=1 src0=1 src1=0 src2=0
	v_mul_i32_i24_e32 v169 /*v425*/, v30 /*v286*/, v189
	s_set_vgpr_msb 1                        ;  msbs: dst=0 src0=1 src1=0 src2=0
	v_mul_i32_i24_e32 v217, v126 /*v382*/, v146
	v_mul_i32_i24_e32 v188, v124 /*v380*/, v146
	s_set_vgpr_msb 64                       ;  msbs: dst=1 src0=0 src1=0 src2=0
	v_add3_u32 v215 /*v471*/, v194, v191, v193
	s_set_vgpr_msb 1                        ;  msbs: dst=0 src0=1 src1=0 src2=0
	v_mul_i32_i24_e32 v191, v31 /*v287*/, v189
	s_set_vgpr_msb 4                        ;  msbs: dst=0 src0=0 src1=1 src2=0
	v_mul_i32_i24_e32 v193, v2, v167 /*v423*/
	s_set_vgpr_msb 5                        ;  msbs: dst=0 src0=1 src1=1 src2=0
	v_mad_i32_i24 v119, v130 /*v386*/, v175 /*v431*/, v119
	s_set_vgpr_msb 64                       ;  msbs: dst=1 src0=0 src1=0 src2=0
	v_add3_u32 v218 /*v474*/, v117, v64, v66
	s_set_vgpr_msb 5                        ;  msbs: dst=0 src0=1 src1=1 src2=0
	v_mul_i32_i24_e32 v64, v199 /*v455*/, v82 /*v338*/
	v_mad_i32_i24 v65, v127 /*v383*/, v175 /*v431*/, v65
	s_set_vgpr_msb 4                        ;  msbs: dst=0 src0=0 src1=1 src2=0
	v_mul_i32_i24_e32 v207, v203, v76 /*v332*/
	s_set_vgpr_msb 0x50                     ;  msbs: dst=1 src0=0 src1=0 src2=1
	v_add3_u32 v217 /*v473*/, v119, v217, v169 /*v425*/
	s_set_vgpr_msb 1                        ;  msbs: dst=0 src0=1 src1=0 src2=0
	v_mul_i32_i24_e32 v119, v126 /*v382*/, v137
	v_mul_i32_i24_e32 v194, v30 /*v286*/, v192
	s_set_vgpr_msb 5                        ;  msbs: dst=0 src0=1 src1=1 src2=0
	v_mul_i32_i24_e32 v66, v162 /*v418*/, v72 /*v328*/
	s_set_vgpr_msb 64                       ;  msbs: dst=1 src0=0 src1=0 src2=0
	v_add3_u32 v216 /*v472*/, v65, v188, v191
	s_set_vgpr_msb 4                        ;  msbs: dst=0 src0=0 src1=1 src2=0
	v_mul_i32_i24_e32 v65, v67, v167 /*v423*/
	s_set_vgpr_msb 1                        ;  msbs: dst=0 src0=1 src1=0 src2=0
	v_mad_i32_i24 v188, v130 /*v386*/, v131, v193
	s_set_vgpr_msb 5                        ;  msbs: dst=0 src0=1 src1=1 src2=0
	v_mad_i32_i24 v64, v159 /*v415*/, v77 /*v333*/, v64
	s_set_vgpr_msb 1                        ;  msbs: dst=0 src0=1 src1=0 src2=0
	v_add_nc_u32_e32 v123, v122 /*v378*/, v131
	v_mul_i32_i24_e32 v129, v124 /*v380*/, v137
	v_mul_i32_i24_e32 v208, v29 /*v285*/, v192
	;; [unrolled: 1-line block ×3, first 2 shown]
	s_set_vgpr_msb 5                        ;  msbs: dst=0 src0=1 src1=1 src2=0
	v_mul_i32_i24_e32 v137, v194 /*v450*/, v82 /*v338*/
	s_set_vgpr_msb 64                       ;  msbs: dst=1 src0=0 src1=0 src2=0
	v_add3_u32 v219 /*v475*/, v188, v119, v194
	s_set_vgpr_msb 4                        ;  msbs: dst=0 src0=0 src1=1 src2=0
	v_mul_i32_i24_e32 v188, v3, v167 /*v423*/
	s_set_vgpr_msb 64                       ;  msbs: dst=1 src0=0 src1=0 src2=0
	v_add3_u32 v205 /*v461*/, v64, v66, v207
	s_set_vgpr_msb 5                        ;  msbs: dst=0 src0=1 src1=1 src2=0
	v_mul_i32_i24_e32 v64, v163 /*v419*/, v82 /*v338*/
	s_set_vgpr_msb 1                        ;  msbs: dst=0 src0=1 src1=0 src2=0
	v_mad_i32_i24 v65, v129 /*v385*/, v131, v65
	s_set_vgpr_msb 5                        ;  msbs: dst=0 src0=1 src1=1 src2=0
	v_mul_i32_i24_e32 v147, v155 /*v411*/, v76 /*v332*/
	s_set_vgpr_msb 0x41                     ;  msbs: dst=1 src0=1 src1=0 src2=0
	v_mul_i32_i24_e32 v154 /*v410*/, v31 /*v287*/, v192
	s_set_vgpr_msb 5                        ;  msbs: dst=0 src0=1 src1=1 src2=0
	v_mul_i32_i24_e32 v119, v160 /*v416*/, v72 /*v328*/
	s_set_vgpr_msb 4                        ;  msbs: dst=0 src0=0 src1=1 src2=0
	v_mul_i32_i24_e32 v66, v107, v72 /*v328*/
	s_set_vgpr_msb 64                       ;  msbs: dst=1 src0=0 src1=0 src2=0
	v_add3_u32 v221 /*v477*/, v65, v117, v208
	s_set_vgpr_msb 4                        ;  msbs: dst=0 src0=0 src1=1 src2=0
	v_mul_i32_i24_e32 v65, v214, v76 /*v332*/
	s_set_vgpr_msb 0x44                     ;  msbs: dst=1 src0=0 src1=1 src2=0
	v_add3_u32 v169 /*v425*/, v123, v5 /*v261*/, v185
	s_set_vgpr_msb 0                        ;  msbs: dst=0 src0=0 src1=0 src2=0
	v_mul_i32_i24_e32 v117, v2, v9
	s_set_vgpr_msb 5                        ;  msbs: dst=0 src0=1 src1=1 src2=0
	v_mad_i32_i24 v123, v196 /*v452*/, v77 /*v333*/, v137
	s_set_vgpr_msb 1                        ;  msbs: dst=0 src0=1 src1=0 src2=0
	v_mad_i32_i24 v131, v127 /*v383*/, v131, v188
	s_set_vgpr_msb 5                        ;  msbs: dst=0 src0=1 src1=1 src2=0
	v_mad_i32_i24 v64, v185 /*v441*/, v77 /*v333*/, v64
	s_set_vgpr_msb 64                       ;  msbs: dst=1 src0=0 src1=0 src2=0
	v_mul_lo_u32 v184 /*v440*/, 0x1010101, v89
	s_set_vgpr_msb 5                        ;  msbs: dst=0 src0=1 src1=1 src2=0
	v_mul_i32_i24_e32 v89, v29 /*v285*/, v180 /*v436*/
	s_set_vgpr_msb 64                       ;  msbs: dst=1 src0=0 src1=0 src2=0
	v_add3_u32 v213 /*v469*/, v123, v119, v147
	s_set_vgpr_msb 1                        ;  msbs: dst=0 src0=1 src1=0 src2=0
	v_mul_i32_i24_e32 v119, v126 /*v382*/, v141
	s_set_vgpr_msb 5                        ;  msbs: dst=0 src0=1 src1=1 src2=0
	v_mul_i32_i24_e32 v123, v30 /*v286*/, v180 /*v436*/
	s_set_vgpr_msb 0x50                     ;  msbs: dst=1 src0=0 src1=0 src2=1
	v_add3_u32 v222 /*v478*/, v131, v129, v154 /*v410*/
	s_set_vgpr_msb 0                        ;  msbs: dst=0 src0=0 src1=0 src2=0
	v_mul_i32_i24_e32 v147, v67, v9
	v_add3_u32 v129, v64, v66, v65
	s_set_vgpr_msb 1                        ;  msbs: dst=0 src0=1 src1=0 src2=0
	v_mad_i32_i24 v66, v130 /*v386*/, v139, v117
	s_set_vgpr_msb 5                        ;  msbs: dst=0 src0=1 src1=1 src2=0
	v_mul_i32_i24_e32 v137, v199 /*v455*/, v55 /*v311*/
	s_set_vgpr_msb 1                        ;  msbs: dst=0 src0=1 src1=0 src2=0
	v_mul_i32_i24_e32 v64, v125 /*v381*/, v141
	s_set_vgpr_msb 0x44                     ;  msbs: dst=1 src0=0 src1=1 src2=0
	v_mul_i32_i24_e32 v214 /*v470*/, v203, v51 /*v307*/
	s_set_vgpr_msb 5                        ;  msbs: dst=0 src0=1 src1=1 src2=0
	v_mul_i32_i24_e32 v131, v162 /*v418*/, v41 /*v297*/
	s_set_vgpr_msb 0                        ;  msbs: dst=0 src0=0 src1=0 src2=0
	v_add3_u32 v123, v66, v119, v123
	s_set_vgpr_msb 1                        ;  msbs: dst=0 src0=1 src1=0 src2=0
	v_mad_i32_i24 v119, v129 /*v385*/, v139, v147
	s_set_vgpr_msb 5                        ;  msbs: dst=0 src0=1 src1=1 src2=0
	v_mul_i32_i24_e32 v65, v194 /*v450*/, v55 /*v311*/
	v_mad_i32_i24 v117, v159 /*v415*/, v37 /*v293*/, v137
	s_set_vgpr_msb 1                        ;  msbs: dst=0 src0=1 src1=0 src2=0
	v_mul_i32_i24_e32 v205, v141 /*v397*/, v109
	s_set_vgpr_msb 0x45                     ;  msbs: dst=1 src0=1 src1=1 src2=0
	v_mul_i32_i24_e32 v207 /*v463*/, v140 /*v396*/, v34 /*v290*/
	s_set_vgpr_msb 64                       ;  msbs: dst=1 src0=0 src1=0 src2=0
	v_add3_u32 v206 /*v462*/, v119, v64, v89
	s_set_vgpr_msb 0                        ;  msbs: dst=0 src0=0 src1=0 src2=0
	v_mul_i32_i24_e32 v64, v3, v9
	s_set_vgpr_msb 5                        ;  msbs: dst=0 src0=1 src1=1 src2=0
	v_mul_i32_i24_e32 v209, v31 /*v287*/, v180 /*v436*/
	v_mul_i32_i24_e32 v66, v160 /*v416*/, v41 /*v297*/
	s_set_vgpr_msb 0x50                     ;  msbs: dst=1 src0=0 src1=0 src2=1
	v_add3_u32 v214 /*v470*/, v117, v131, v214 /*v470*/
	s_set_vgpr_msb 5                        ;  msbs: dst=0 src0=1 src1=1 src2=0
	v_mul_i32_i24_e32 v117, v155 /*v411*/, v51 /*v307*/
	s_set_vgpr_msb 1                        ;  msbs: dst=0 src0=1 src1=0 src2=0
	v_mul_i32_i24_e32 v89, v124 /*v380*/, v141
	s_set_vgpr_msb 5                        ;  msbs: dst=0 src0=1 src1=1 src2=0
	v_mul_i32_i24_e32 v119, v163 /*v419*/, v55 /*v311*/
	v_mad_i32_i24 v65, v196 /*v452*/, v37 /*v293*/, v65
	s_set_vgpr_msb 1                        ;  msbs: dst=0 src0=1 src1=0 src2=0
	v_mad_i32_i24 v64, v127 /*v383*/, v139, v64
	s_set_vgpr_msb 16                       ;  msbs: dst=0 src0=0 src1=0 src2=1
	v_add3_u32 v111, v111, v205, v207 /*v463*/
	s_set_vgpr_msb 4                        ;  msbs: dst=0 src0=0 src1=1 src2=0
	v_mul_i32_i24_e32 v131, v2, v182 /*v438*/
	s_set_vgpr_msb 5                        ;  msbs: dst=0 src0=1 src1=1 src2=0
	v_mul_i32_i24_e32 v121, v30 /*v286*/, v188 /*v444*/
	s_set_vgpr_msb 64                       ;  msbs: dst=1 src0=0 src1=0 src2=0
	v_add3_u32 v207 /*v463*/, v65, v66, v117
	s_set_vgpr_msb 4                        ;  msbs: dst=0 src0=0 src1=1 src2=0
	v_mul_i32_i24_e32 v65, v214, v51 /*v307*/
	v_mul_i32_i24_e32 v66, v107, v41 /*v297*/
	s_set_vgpr_msb 64                       ;  msbs: dst=1 src0=0 src1=0 src2=0
	v_add3_u32 v211 /*v467*/, v64, v89, v209
	s_set_vgpr_msb 4                        ;  msbs: dst=0 src0=0 src1=1 src2=0
	v_mul_i32_i24_e32 v89, v67, v182 /*v438*/
	s_set_vgpr_msb 5                        ;  msbs: dst=0 src0=1 src1=1 src2=0
	v_mad_i32_i24 v117, v185 /*v441*/, v37 /*v293*/, v119
	v_mul_i32_i24_e32 v195, v199 /*v455*/, v88 /*v344*/
	v_mul_i32_i24_e32 v64, v126 /*v382*/, v187 /*v443*/
	s_set_vgpr_msb 1                        ;  msbs: dst=0 src0=1 src1=0 src2=0
	v_mad_i32_i24 v119, v130 /*v386*/, v16, v131
	v_mad_i32_i24 v89, v129 /*v385*/, v16, v89
	s_set_vgpr_msb 0                        ;  msbs: dst=0 src0=0 src1=0 src2=0
	v_add3_u32 v117, v117, v66, v65
	s_set_vgpr_msb 5                        ;  msbs: dst=0 src0=1 src1=1 src2=0
	v_mul_i32_i24_e32 v65, v125 /*v381*/, v187 /*v443*/
	v_mul_i32_i24_e32 v66, v29 /*v285*/, v188 /*v444*/
	s_set_vgpr_msb 4                        ;  msbs: dst=0 src0=0 src1=1 src2=0
	v_mul_i32_i24_e32 v125, v203, v43 /*v299*/
	s_set_vgpr_msb 5                        ;  msbs: dst=0 src0=1 src1=1 src2=0
	v_mul_i32_i24_e32 v190, v162 /*v418*/, v35 /*v291*/
	s_set_vgpr_msb 0                        ;  msbs: dst=0 src0=0 src1=0 src2=0
	v_add3_u32 v119, v119, v64, v121
	s_set_vgpr_msb 5                        ;  msbs: dst=0 src0=1 src1=1 src2=0
	v_mul_i32_i24_e32 v139, v194 /*v450*/, v44 /*v300*/
	s_set_vgpr_msb 0                        ;  msbs: dst=0 src0=0 src1=0 src2=0
	v_add3_u32 v121, v89, v65, v66
	s_set_vgpr_msb 5                        ;  msbs: dst=0 src0=1 src1=1 src2=0
	v_mul_i32_i24_e32 v65, v163 /*v419*/, v88 /*v344*/
	v_mad_i32_i24 v89, v159 /*v415*/, v81 /*v337*/, v195
	s_set_vgpr_msb 4                        ;  msbs: dst=0 src0=0 src1=1 src2=0
	v_mul_i32_i24_e32 v66, v214, v43 /*v299*/
	s_set_vgpr_msb 5                        ;  msbs: dst=0 src0=1 src1=1 src2=0
	v_mul_i32_i24_e32 v216, v155 /*v411*/, v45 /*v301*/
	s_set_vgpr_msb 0x45                     ;  msbs: dst=1 src0=1 src1=1 src2=0
	v_mul_i32_i24_e32 v157 /*v413*/, v160 /*v416*/, v38 /*v294*/
	s_set_vgpr_msb 5                        ;  msbs: dst=0 src0=1 src1=1 src2=0
	v_mad_i32_i24 v65, v185 /*v441*/, v81 /*v337*/, v65
	s_set_vgpr_msb 0                        ;  msbs: dst=0 src0=0 src1=0 src2=0
	v_add3_u32 v125, v89, v190, v125
	s_set_vgpr_msb 4                        ;  msbs: dst=0 src0=0 src1=1 src2=0
	v_mul_i32_i24_e32 v89, v107, v35 /*v291*/
	s_set_vgpr_msb 5                        ;  msbs: dst=0 src0=1 src1=1 src2=0
	v_mul_i32_i24_e32 v64, v194 /*v450*/, v88 /*v344*/
	v_mul_i32_i24_e32 v213, v31 /*v287*/, v188 /*v444*/
	;; [unrolled: 1-line block ×4, first 2 shown]
	s_set_vgpr_msb 0                        ;  msbs: dst=0 src0=0 src1=0 src2=0
	v_add3_u32 v195, v65, v89, v66
	s_set_vgpr_msb 4                        ;  msbs: dst=0 src0=0 src1=1 src2=0
	v_mul_i32_i24_e32 v65, v3, v182 /*v438*/
	s_set_vgpr_msb 5                        ;  msbs: dst=0 src0=1 src1=1 src2=0
	v_mad_i32_i24 v89, v196 /*v452*/, v62 /*v318*/, v139
	v_mul_i32_i24_e32 v131, v160 /*v416*/, v35 /*v291*/
	v_mul_i32_i24_e32 v137, v199 /*v455*/, v44 /*v300*/
	v_mad_i32_i24 v64, v196 /*v452*/, v81 /*v337*/, v64
	s_set_vgpr_msb 1                        ;  msbs: dst=0 src0=1 src1=0 src2=0
	v_mad_i32_i24 v65, v127 /*v383*/, v16, v65
	s_set_vgpr_msb 4                        ;  msbs: dst=0 src0=0 src1=1 src2=0
	v_add3_u32 v197, v89, v157 /*v413*/, v216
	s_set_vgpr_msb 5                        ;  msbs: dst=0 src0=1 src1=1 src2=0
	v_mul_i32_i24_e32 v89, v163 /*v419*/, v44 /*v300*/
	s_set_vgpr_msb 4                        ;  msbs: dst=0 src0=0 src1=1 src2=0
	v_mul_i32_i24_e32 v143, v214, v45 /*v301*/
	v_mul_i32_i24_e32 v212, v107, v38 /*v294*/
	;; [unrolled: 1-line block ×3, first 2 shown]
	s_set_vgpr_msb 0                        ;  msbs: dst=0 src0=0 src1=0 src2=0
	v_add3_u32 v131, v64, v131, v210
	s_set_vgpr_msb 5                        ;  msbs: dst=0 src0=1 src1=1 src2=0
	v_mul_i32_i24_e32 v64, v162 /*v418*/, v38 /*v294*/
	s_set_vgpr_msb 4                        ;  msbs: dst=0 src0=0 src1=1 src2=0
	v_mul_i32_i24_e32 v139, v2, v147 /*v403*/
	s_set_vgpr_msb 5                        ;  msbs: dst=0 src0=1 src1=1 src2=0
	v_mad_i32_i24 v137, v159 /*v415*/, v62 /*v318*/, v137
	s_set_vgpr_msb 0                        ;  msbs: dst=0 src0=0 src1=0 src2=0
	v_add3_u32 v199, v65, v211, v213
	s_set_vgpr_msb 1                        ;  msbs: dst=0 src0=1 src1=0 src2=0
	v_mul_i32_i24_e32 v65, v143 /*v399*/, v2
	s_set_vgpr_msb 5                        ;  msbs: dst=0 src0=1 src1=1 src2=0
	v_mad_i32_i24 v89, v185 /*v441*/, v62 /*v318*/, v89
	v_mul_i32_i24_e32 v126, v140 /*v396*/, v30 /*v286*/
	v_mul_i32_i24_e32 v127, v30 /*v286*/, v145 /*v401*/
	;; [unrolled: 1-line block ×3, first 2 shown]
	s_set_vgpr_msb 0                        ;  msbs: dst=0 src0=0 src1=0 src2=0
	v_add3_u32 v198, v137, v64, v215
	s_set_vgpr_msb 5                        ;  msbs: dst=0 src0=1 src1=1 src2=0
	v_mul_i32_i24_e32 v64, v199 /*v455*/, v68 /*v324*/
	v_mul_i32_i24_e32 v141, v141 /*v397*/, v126 /*v382*/
	s_set_vgpr_msb 0                        ;  msbs: dst=0 src0=0 src1=0 src2=0
	v_add3_u32 v201, v89, v212, v143
	s_set_vgpr_msb 1                        ;  msbs: dst=0 src0=1 src1=0 src2=0
	v_mul_i32_i24_e32 v143, v143 /*v399*/, v67
	s_set_vgpr_msb 5                        ;  msbs: dst=0 src0=1 src1=1 src2=0
	v_mad_i32_i24 v89, v130 /*v386*/, v149 /*v405*/, v139
	v_mad_i32_i24 v65, v151 /*v407*/, v130 /*v386*/, v65
	s_set_vgpr_msb 64                       ;  msbs: dst=1 src0=0 src1=0 src2=0
	v_mul_i32_i24_e32 v200 /*v456*/, v155, v67
	v_bfe_i32 v152 /*v408*/, v145, 0, 8
	s_set_vgpr_msb 4                        ;  msbs: dst=0 src0=0 src1=1 src2=0
	v_mul_i32_i24_e32 v145, v203, v66 /*v322*/
	s_set_vgpr_msb 5                        ;  msbs: dst=0 src0=1 src1=1 src2=0
	v_mul_i32_i24_e32 v137, v162 /*v418*/, v64 /*v320*/
	v_mul_i32_i24_e32 v147, v141 /*v397*/, v125 /*v381*/
	s_set_vgpr_msb 0                        ;  msbs: dst=0 src0=0 src1=0 src2=0
	v_add3_u32 v89, v89, v66, v127
	s_set_vgpr_msb 5                        ;  msbs: dst=0 src0=1 src1=1 src2=0
	v_mul_i32_i24_e32 v66, v140 /*v396*/, v29 /*v285*/
	s_set_vgpr_msb 1                        ;  msbs: dst=0 src0=1 src1=0 src2=0
	v_mul_i32_i24_e32 v139, v143 /*v399*/, v3
	s_set_vgpr_msb 5                        ;  msbs: dst=0 src0=1 src1=1 src2=0
	v_mad_i32_i24 v64, v159 /*v415*/, v73 /*v329*/, v64
	s_set_vgpr_msb 4                        ;  msbs: dst=0 src0=0 src1=1 src2=0
	v_mul_i32_i24_e32 v67, v67, v147 /*v403*/
	s_set_vgpr_msb 0                        ;  msbs: dst=0 src0=0 src1=0 src2=0
	v_add3_u32 v200, v65, v141, v126
	s_set_vgpr_msb 5                        ;  msbs: dst=0 src0=1 src1=1 src2=0
	v_mad_i32_i24 v141, v151 /*v407*/, v129 /*v385*/, v143
	v_mul_i32_i24_e32 v65, v125 /*v381*/, v144 /*v400*/
	s_set_vgpr_msb 0                        ;  msbs: dst=0 src0=0 src1=0 src2=0
	v_add3_u32 v127, v64, v137, v145
	s_set_vgpr_msb 5                        ;  msbs: dst=0 src0=1 src1=1 src2=0
	v_mul_i32_i24_e32 v64, v141 /*v397*/, v124 /*v380*/
	v_mul_i32_i24_e32 v137, v140 /*v396*/, v31 /*v287*/
	;; [unrolled: 1-line block ×3, first 2 shown]
	s_set_vgpr_msb 0                        ;  msbs: dst=0 src0=0 src1=0 src2=0
	v_add3_u32 v217, v141, v147, v66
	s_set_vgpr_msb 5                        ;  msbs: dst=0 src0=1 src1=1 src2=0
	v_mul_i32_i24_e32 v66, v194 /*v450*/, v68 /*v324*/
	v_mad_i32_i24 v139, v151 /*v407*/, v127 /*v383*/, v139
	v_mad_i32_i24 v67, v129 /*v385*/, v149 /*v405*/, v67
	v_mul_i32_i24_e32 v141, v155 /*v411*/, v66 /*v322*/
	v_mul_i32_i24_e32 v143, v194 /*v450*/, v57 /*v313*/
	v_mad_i32_i24 v66, v196 /*v452*/, v73 /*v329*/, v66
	s_set_vgpr_msb 0                        ;  msbs: dst=0 src0=0 src1=0 src2=0
	v_add3_u32 v213, v139, v64, v137
	s_set_vgpr_msb 5                        ;  msbs: dst=0 src0=1 src1=1 src2=0
	v_mul_i32_i24_e32 v64, v160 /*v416*/, v64 /*v320*/
	s_set_vgpr_msb 0                        ;  msbs: dst=0 src0=0 src1=0 src2=0
	v_add3_u32 v126, v67, v65, v126
	s_set_vgpr_msb 4                        ;  msbs: dst=0 src0=0 src1=1 src2=0
	v_mul_i32_i24_e32 v67, v3, v147 /*v403*/
	s_set_vgpr_msb 5                        ;  msbs: dst=0 src0=1 src1=1 src2=0
	v_mul_i32_i24_e32 v137, v31 /*v287*/, v145 /*v401*/
	v_mul_i32_i24_e32 v65, v124 /*v380*/, v144 /*v400*/
	s_set_vgpr_msb 0                        ;  msbs: dst=0 src0=0 src1=0 src2=0
	v_add3_u32 v202, v66, v64, v141
	s_set_vgpr_msb 4                        ;  msbs: dst=0 src0=0 src1=1 src2=0
	v_mul_i32_i24_e32 v66, v107, v64 /*v320*/
	s_set_vgpr_msb 5                        ;  msbs: dst=0 src0=1 src1=1 src2=0
	v_mad_i32_i24 v64, v127 /*v383*/, v149 /*v405*/, v67
	s_set_vgpr_msb 4                        ;  msbs: dst=0 src0=0 src1=1 src2=0
	v_mul_i32_i24_e32 v139, v214, v66 /*v322*/
	s_set_vgpr_msb 5                        ;  msbs: dst=0 src0=1 src1=1 src2=0
	v_mul_i32_i24_e32 v141, v155 /*v411*/, v56 /*v312*/
	v_mad_i32_i24 v143, v196 /*v452*/, v33 /*v289*/, v143
	s_set_vgpr_msb 0                        ;  msbs: dst=0 src0=0 src1=0 src2=0
	v_mul_i32_i24_e32 v87, v155, v87
	v_add3_u32 v212, v64, v65, v137
	s_set_vgpr_msb 5                        ;  msbs: dst=0 src0=1 src1=1 src2=0
	v_mul_i32_i24_e32 v65, v163 /*v419*/, v68 /*v324*/
	v_mul_i32_i24_e32 v137, v199 /*v455*/, v57 /*v313*/
	s_set_vgpr_msb 64                       ;  msbs: dst=1 src0=0 src1=0 src2=0
	v_ashrrev_i32_e32 v194 /*v450*/, s17, v169
	s_set_vgpr_msb 5                        ;  msbs: dst=0 src0=1 src1=1 src2=0
	v_mul_i32_i24_e32 v147, v163 /*v419*/, v57 /*v313*/
	s_set_vgpr_msb 64                       ;  msbs: dst=1 src0=0 src1=0 src2=0
	v_dual_ashrrev_i32 v199 /*v455*/, s17, v171 :: v_dual_bitop2_b32 v157 /*v413*/, 3, v88 bitop3:0x40
	s_set_vgpr_msb 5                        ;  msbs: dst=0 src0=1 src1=1 src2=0
	v_mad_i32_i24 v65, v185 /*v441*/, v73 /*v329*/, v65
	v_mad_i32_i24 v137, v159 /*v415*/, v33 /*v289*/, v137
	s_set_vgpr_msb 64                       ;  msbs: dst=1 src0=0 src1=0 src2=0
	v_and_b32_e32 v159 /*v415*/, 3, v104
	s_set_vgpr_msb 4                        ;  msbs: dst=0 src0=0 src1=1 src2=0
	v_mul_i32_i24_e32 v107, v107, v50 /*v306*/
	v_mul_i32_i24_e32 v145, v214, v56 /*v312*/
	s_set_vgpr_msb 0                        ;  msbs: dst=0 src0=0 src1=0 src2=0
	v_add3_u32 v196, v65, v66, v139
	s_set_vgpr_msb 5                        ;  msbs: dst=0 src0=1 src1=1 src2=0
	v_mul_i32_i24_e32 v139, v160 /*v416*/, v50 /*v306*/
	s_set_vgpr_msb 0                        ;  msbs: dst=0 src0=0 src1=0 src2=0
	v_bfe_u32 v65, v136, 8, 2
	s_set_vgpr_msb 5                        ;  msbs: dst=0 src0=1 src1=1 src2=0
	v_mul_i32_i24_e32 v66, v162 /*v418*/, v50 /*v306*/
	s_set_vgpr_msb 64                       ;  msbs: dst=1 src0=0 src1=0 src2=0
	v_bfe_u32 v160 /*v416*/, v88, 8, 2
	s_set_vgpr_msb 5                        ;  msbs: dst=0 src0=1 src1=1 src2=0
	v_mad_i32_i24 v147, v185 /*v441*/, v33 /*v289*/, v147
	s_set_vgpr_msb 0                        ;  msbs: dst=0 src0=0 src1=0 src2=0
	v_add3_u32 v139, v143, v139, v141
	s_set_vgpr_msb 1                        ;  msbs: dst=0 src0=1 src1=0 src2=0
	v_mul_i32_i24_e32 v141, v159 /*v415*/, v124
	s_set_vgpr_msb 4                        ;  msbs: dst=0 src0=0 src1=1 src2=0
	v_mul_i32_i24_e32 v174, v65, v106 /*v362*/
	s_set_vgpr_msb 64                       ;  msbs: dst=1 src0=0 src1=0 src2=0
	v_bfe_u32 v162 /*v418*/, v88, 16, 2
	v_bfe_u32 v163 /*v419*/, v88, 24, 2
	s_set_vgpr_msb 4                        ;  msbs: dst=0 src0=0 src1=1 src2=0
	v_mul_i32_i24_e32 v88, v65, v98 /*v354*/
	s_set_vgpr_msb 1                        ;  msbs: dst=0 src0=1 src1=0 src2=0
	v_add3_u32 v141, v192 /*v448*/, v141, v87
	s_set_vgpr_msb 4                        ;  msbs: dst=0 src0=0 src1=1 src2=0
	v_mul_i32_i24_e32 v87, v86, v110 /*v366*/
	s_set_vgpr_msb 0                        ;  msbs: dst=0 src0=0 src1=0 src2=0
	v_add3_u32 v145, v147, v107, v145
	v_mul_i32_i24_e32 v107, v152, v8
	s_set_vgpr_msb 4                        ;  msbs: dst=0 src0=0 src1=1 src2=0
	v_mul_i32_i24_e32 v64, v203, v56 /*v312*/
	v_mul_i32_i24_e32 v143, v152, v148 /*v404*/
	s_set_vgpr_msb 1                        ;  msbs: dst=0 src0=1 src1=0 src2=0
	v_add3_u32 v188, v166 /*v422*/, v87, v174
	s_set_vgpr_msb 4                        ;  msbs: dst=0 src0=0 src1=1 src2=0
	v_mul_i32_i24_e32 v87, v86, v105 /*v361*/
	v_mul_i32_i24_e32 v147, v152, v173 /*v429*/
	s_set_vgpr_msb 0                        ;  msbs: dst=0 src0=0 src1=0 src2=0
	v_add3_u32 v64, v137, v66, v64
	s_set_vgpr_msb 4                        ;  msbs: dst=0 src0=0 src1=1 src2=0
	v_mul_i32_i24_e32 v66, v86, v70 /*v326*/
	s_set_vgpr_msb 0                        ;  msbs: dst=0 src0=0 src1=0 src2=0
	v_mul_i32_i24_e32 v173, v150, v159
	s_set_vgpr_msb 1                        ;  msbs: dst=0 src0=1 src1=0 src2=0
	v_add3_u32 v190, v177 /*v433*/, v87, v88
	s_set_vgpr_msb 4                        ;  msbs: dst=0 src0=0 src1=1 src2=0
	v_mul_i32_i24_e32 v87, v150, v122 /*v378*/
	v_mul_i32_i24_e32 v88, v86, v84 /*v340*/
	s_set_vgpr_msb 64                       ;  msbs: dst=1 src0=0 src1=0 src2=0
	v_dual_ashrrev_i32 v185 /*v441*/, s17, v167 :: v_dual_bitop2_b32 v166 /*v422*/, 3, v84 bitop3:0x40
	v_dual_ashrrev_i32 v196 /*v452*/, s17, v168 :: v_dual_ashrrev_i32 v177 /*v433*/, s17, v165
	s_set_vgpr_msb 1                        ;  msbs: dst=0 src0=1 src1=0 src2=0
	v_add3_u32 v193, v165 /*v421*/, v107, v87
	s_set_vgpr_msb 4                        ;  msbs: dst=0 src0=0 src1=1 src2=0
	v_mul_i32_i24_e32 v87, v65, v79 /*v335*/
	v_mul_i32_i24_e32 v107, v150, v150 /*v406*/
	;; [unrolled: 1-line block ×4, first 2 shown]
	s_set_vgpr_msb 1                        ;  msbs: dst=0 src0=1 src1=0 src2=0
	v_add3_u32 v147, v178 /*v434*/, v147, v173
	s_set_vgpr_msb 64                       ;  msbs: dst=1 src0=0 src1=0 src2=0
	v_add3_u32 v241 /*v497*/, v1, v88, v87
	s_set_vgpr_msb 4                        ;  msbs: dst=0 src0=0 src1=1 src2=0
	v_mul_i32_i24_e32 v1, v65, v74 /*v330*/
	s_set_vgpr_msb 1                        ;  msbs: dst=0 src0=1 src1=0 src2=0
	v_add3_u32 v88, v179 /*v435*/, v143, v107
	s_set_vgpr_msb 0                        ;  msbs: dst=0 src0=0 src1=0 src2=0
	v_mul_i32_i24_e32 v87, v152, v10
	v_mul_i32_i24_e32 v107, v150, v12
	v_bfe_u32 v169, v84, 8, 2
	s_set_vgpr_msb 1                        ;  msbs: dst=0 src0=1 src1=0 src2=0
	v_add3_u32 v191, v164 /*v420*/, v168, v167
	s_set_vgpr_msb 64                       ;  msbs: dst=1 src0=0 src1=0 src2=0
	v_bfe_u32 v164 /*v420*/, v84, 16, 2
	v_dual_lshrrev_b32 v178 /*v434*/, 24, v84 :: v_dual_lshrrev_b32 v179 /*v435*/, 24, v94
	v_bfe_u32 v165 /*v421*/, v104, 8, 2
	s_set_vgpr_msb 1                        ;  msbs: dst=0 src0=1 src1=0 src2=0
	v_add3_u32 v84, v227 /*v483*/, v66, v1
	s_set_vgpr_msb 0                        ;  msbs: dst=0 src0=0 src1=0 src2=0
	v_bfe_u32 v175, v104, 16, 2
	v_bfe_u32 v173, v104, 24, 2
	s_set_vgpr_msb 1                        ;  msbs: dst=0 src0=1 src1=0 src2=0
	v_add3_u32 v104, v229 /*v485*/, v87, v107
	s_set_vgpr_msb 4                        ;  msbs: dst=0 src0=0 src1=1 src2=0
	v_mul_i32_i24_e32 v66, v152, v245 /*v501*/
	v_mul_i32_i24_e32 v87, v150, v189 /*v445*/
	;; [unrolled: 1-line block ×5, first 2 shown]
	s_set_vgpr_msb 64                       ;  msbs: dst=1 src0=0 src1=0 src2=0
	v_dual_ashrrev_i32 v192 /*v448*/, s17, v164 :: v_dual_bitop2_b32 v155 /*v411*/, 3, v94 bitop3:0x40
	s_set_vgpr_msb 0                        ;  msbs: dst=0 src0=0 src1=0 src2=0
	v_bfe_u32 v170, v94, 8, 2
	v_bfe_u32 v171, v94, 16, 2
	s_set_vgpr_msb 1                        ;  msbs: dst=0 src0=1 src1=0 src2=0
	v_add3_u32 v94, v226 /*v482*/, v66, v87
	s_set_vgpr_msb 4                        ;  msbs: dst=0 src0=0 src1=1 src2=0
	v_mul_i32_i24_e32 v66, v86, v89 /*v345*/
	v_mul_i32_i24_e32 v86, v86, v46 /*v302*/
	v_and_b32_e32 v24, 3, v142 /*v398*/
	v_mul_i32_i24_e32 v1, v65, v39 /*v295*/
	s_set_vgpr_msb 0                        ;  msbs: dst=0 src0=0 src1=0 src2=0
	v_mul_lo_u32 v20, 0x1010101, v85
	s_set_vgpr_msb 4                        ;  msbs: dst=0 src0=0 src1=1 src2=0
	v_mul_i32_i24_e32 v6, v152, v146 /*v402*/
	s_set_vgpr_msb 1                        ;  msbs: dst=0 src0=1 src1=0 src2=0
	v_add3_u32 v86, v135 /*v391*/, v86, v67
	s_set_vgpr_msb 64                       ;  msbs: dst=1 src0=0 src1=0 src2=0
	v_bfe_i32 v135 /*v391*/, v4, 0, 8
	s_set_vgpr_msb 0                        ;  msbs: dst=0 src0=0 src1=0 src2=0
	v_mul_i32_i24_e32 v85, v24, v124
	s_set_vgpr_msb 0x44                     ;  msbs: dst=1 src0=0 src1=1 src2=0
	v_mul_i32_i24_e32 v224 /*v480*/, v150, v152 /*v408*/
	s_set_vgpr_msb 0x41                     ;  msbs: dst=1 src0=1 src1=0 src2=0
	v_add3_u32 v242 /*v498*/, v225 /*v481*/, v137, v1
	s_set_vgpr_msb 4                        ;  msbs: dst=0 src0=0 src1=1 src2=0
	v_mul_i32_i24_e32 v1, v65, v83 /*v339*/
	v_mul_i32_i24_e32 v65, v65, v135 /*v391*/
	s_set_vgpr_msb 1                        ;  msbs: dst=0 src0=1 src1=0 src2=0
	v_and_b32_e32 v165, 0xffff, v122
	v_add_nc_u32_e32 v122, v114 /*v370*/, v189
	s_set_vgpr_msb 0                        ;  msbs: dst=0 src0=0 src1=0 src2=0
	v_mul_i32_i24_e32 v67, v155, v2
	s_set_vgpr_msb 64                       ;  msbs: dst=1 src0=0 src1=0 src2=0
	v_bfe_i32 v12 /*v268*/, v18, 0, 8
	s_set_vgpr_msb 16                       ;  msbs: dst=0 src0=0 src1=0 src2=1
	v_bfe_i32 v239, v19, 0, 8
	v_add_nc_u32_e32 v9, v10, v9
	v_add3_u32 v87, v111, v6, v224 /*v480*/
	s_set_vgpr_msb 1                        ;  msbs: dst=0 src0=1 src1=0 src2=0
	v_add3_u32 v111, v220 /*v476*/, v5, v65
	s_set_vgpr_msb 0x41                     ;  msbs: dst=1 src0=1 src1=0 src2=0
	v_add3_u32 v238 /*v494*/, v172 /*v428*/, v85, v67
	s_set_vgpr_msb 4                        ;  msbs: dst=0 src0=0 src1=1 src2=0
	v_and_b32_e32 v174, 3, v196 /*v452*/
	v_and_b32_e32 v65, 3, v185 /*v441*/
	s_set_vgpr_msb 1                        ;  msbs: dst=0 src0=1 src1=0 src2=0
	v_bfe_u32 v67, v185 /*v441*/, 8, 2
	s_set_vgpr_msb 0x44                     ;  msbs: dst=1 src0=0 src1=1 src2=0
	v_and_b32_e32 v190 /*v446*/, 3, v136 /*v392*/
	s_set_vgpr_msb 0x41                     ;  msbs: dst=1 src0=1 src1=0 src2=0
	v_bfe_u32 v191 /*v447*/, v136 /*v392*/, 8, 2
	s_set_vgpr_msb 0x44                     ;  msbs: dst=1 src0=0 src1=1 src2=0
	v_add3_u32 v253 /*v509*/, v9, v12 /*v268*/, v239
	s_set_vgpr_msb 0                        ;  msbs: dst=0 src0=0 src1=0 src2=0
	v_mul_i32_i24_e32 v6, v174, v124
	v_mul_i32_i24_e32 v3, v155, v3
	s_set_vgpr_msb 4                        ;  msbs: dst=0 src0=0 src1=1 src2=0
	v_mul_i32_i24_e32 v9, v65, v110 /*v366*/
	v_mul_i32_i24_e32 v85, v67, v106 /*v362*/
	s_set_vgpr_msb 0x44                     ;  msbs: dst=1 src0=0 src1=1 src2=0
	v_and_b32_e32 v251 /*v507*/, 3, v128 /*v384*/
	s_set_vgpr_msb 0                        ;  msbs: dst=0 src0=0 src1=0 src2=0
	v_add3_u32 v107, v0, v66, v1
	s_set_vgpr_msb 1                        ;  msbs: dst=0 src0=1 src1=0 src2=0
	v_bfe_u32 v66, v128 /*v384*/, 8, 2
	s_set_vgpr_msb 4                        ;  msbs: dst=0 src0=0 src1=1 src2=0
	v_add_nc_u32_e32 v4, v8, v167 /*v423*/
	s_set_vgpr_msb 64                       ;  msbs: dst=1 src0=0 src1=0 src2=0
	v_add3_u32 v229 /*v485*/, v7, v6, v3
	s_set_vgpr_msb 5                        ;  msbs: dst=0 src0=1 src1=1 src2=0
	v_mul_i32_i24_e32 v3, v197 /*v453*/, v173 /*v429*/
	s_set_vgpr_msb 0                        ;  msbs: dst=0 src0=0 src1=0 src2=0
	v_mul_i32_i24_e32 v6, v14, v159
	s_set_vgpr_msb 0x41                     ;  msbs: dst=1 src0=1 src1=0 src2=0
	v_add3_u32 v230 /*v486*/, v202 /*v458*/, v9, v85
	s_set_vgpr_msb 5                        ;  msbs: dst=0 src0=1 src1=1 src2=0
	v_mul_i32_i24_e32 v7, v190 /*v446*/, v105 /*v361*/
	v_mul_i32_i24_e32 v9, v191 /*v447*/, v98 /*v354*/
	s_set_vgpr_msb 0x44                     ;  msbs: dst=1 src0=0 src1=1 src2=0
	v_bfe_i32 v132 /*v388*/, v20, 16, 8
	v_bfe_i32 v154 /*v410*/, v20, 8, 8
	v_add3_u32 v254 /*v510*/, v4, v4 /*v260*/, v187
	v_bfe_i32 v246 /*v502*/, v20, 0, 8
	s_set_vgpr_msb 0x41                     ;  msbs: dst=1 src0=1 src1=0 src2=0
	v_add3_u32 v231 /*v487*/, v203 /*v459*/, v3, v6
	s_set_vgpr_msb 5                        ;  msbs: dst=0 src0=1 src1=1 src2=0
	v_mul_i32_i24_e32 v3, v195 /*v451*/, v173 /*v429*/
	s_set_vgpr_msb 1                        ;  msbs: dst=0 src0=1 src1=0 src2=0
	v_mul_i32_i24_e32 v6, v193 /*v449*/, v159
	s_set_vgpr_msb 0x41                     ;  msbs: dst=1 src0=1 src1=0 src2=0
	v_add3_u32 v232 /*v488*/, v204 /*v460*/, v7, v9
	s_set_vgpr_msb 5                        ;  msbs: dst=0 src0=1 src1=1 src2=0
	v_mul_i32_i24_e32 v7, v251 /*v507*/, v105 /*v361*/
	s_set_vgpr_msb 4                        ;  msbs: dst=0 src0=0 src1=1 src2=0
	v_mul_i32_i24_e32 v9, v66, v98 /*v354*/
	s_set_vgpr_msb 0x45                     ;  msbs: dst=1 src0=1 src1=1 src2=0
	v_mul_i32_i24_e32 v186 /*v442*/, v251 /*v507*/, v110 /*v366*/
	v_bfe_i32 v137 /*v393*/, v184 /*v440*/, 16, 8
	v_mul_i32_i24_e32 v171 /*v427*/, v161 /*v417*/, v132 /*v388*/
	v_mul_i32_i24_e32 v223 /*v479*/, v169 /*v425*/, v154 /*v410*/
	s_set_vgpr_msb 4                        ;  msbs: dst=0 src0=0 src1=1 src2=0
	v_mul_i32_i24_e32 v137, v66, v106 /*v362*/
	s_set_vgpr_msb 0x41                     ;  msbs: dst=1 src0=1 src1=0 src2=0
	v_bfe_i32 v249 /*v505*/, v184 /*v440*/, 8, 8
	s_set_vgpr_msb 5                        ;  msbs: dst=0 src0=1 src1=1 src2=0
	v_mul_i32_i24_e32 v4, v254 /*v510*/, v246 /*v502*/
	s_set_vgpr_msb 0x41                     ;  msbs: dst=1 src0=1 src1=0 src2=0
	v_bfe_i32 v250 /*v506*/, v184 /*v440*/, 0, 8
	v_add3_u32 v233 /*v489*/, v209 /*v465*/, v3, v6
	s_set_vgpr_msb 5                        ;  msbs: dst=0 src0=1 src1=1 src2=0
	v_mul_i32_i24_e32 v3, v252 /*v508*/, v173 /*v429*/
	s_set_vgpr_msb 1                        ;  msbs: dst=0 src0=1 src1=0 src2=0
	v_mul_i32_i24_e32 v6, v255 /*v511*/, v159
	s_set_vgpr_msb 0x41                     ;  msbs: dst=1 src0=1 src1=0 src2=0
	v_add3_u32 v234 /*v490*/, v210 /*v466*/, v7, v9
	s_set_vgpr_msb 4                        ;  msbs: dst=0 src0=0 src1=1 src2=0
	v_mul_i32_i24_e32 v7, v65, v105 /*v361*/
	v_mul_i32_i24_e32 v9, v67, v98 /*v354*/
	v_and_b32_e32 v17, 3, v131 /*v387*/
	s_set_vgpr_msb 0x45                     ;  msbs: dst=1 src0=1 src1=1 src2=0
	v_bfe_i32 v133 /*v389*/, v153 /*v409*/, 16, 8
	v_bfe_i32 v134 /*v390*/, v153 /*v409*/, 8, 8
	v_mul_i32_i24_e32 v170 /*v426*/, v161 /*v417*/, v137 /*v393*/
	s_set_vgpr_msb 5                        ;  msbs: dst=0 src0=1 src1=1 src2=0
	v_mul_i32_i24_e32 v2, v169 /*v425*/, v249 /*v505*/
	s_set_vgpr_msb 0x51                     ;  msbs: dst=1 src0=1 src1=0 src2=1
	v_add3_u32 v167 /*v423*/, v223 /*v479*/, v4, v171 /*v427*/
	s_set_vgpr_msb 5                        ;  msbs: dst=0 src0=1 src1=1 src2=0
	v_mul_i32_i24_e32 v4, v254 /*v510*/, v250 /*v506*/
	s_set_vgpr_msb 0x41                     ;  msbs: dst=1 src0=1 src1=0 src2=0
	v_bfe_i32 v248 /*v504*/, v153 /*v409*/, 0, 8
	v_and_b32_e32 v172 /*v428*/, 0xffff, v114
	v_and_b32_e32 v171 /*v427*/, 0xffff, v113
	s_set_vgpr_msb 0x45                     ;  msbs: dst=1 src0=1 src1=1 src2=0
	v_add3_u32 v236 /*v492*/, v201 /*v457*/, v186 /*v442*/, v137
	s_set_vgpr_msb 1                        ;  msbs: dst=0 src0=1 src1=0 src2=0
	v_add_nc_u32_e32 v137, v121 /*v377*/, v155
	s_set_vgpr_msb 0x41                     ;  msbs: dst=1 src0=1 src1=0 src2=0
	v_add3_u32 v224 /*v480*/, v212 /*v468*/, v3, v6
	s_set_vgpr_msb 5                        ;  msbs: dst=0 src0=1 src1=1 src2=0
	v_mul_i32_i24_e32 v3, v197 /*v453*/, v176 /*v432*/
	s_set_vgpr_msb 4                        ;  msbs: dst=0 src0=0 src1=1 src2=0
	v_mul_i32_i24_e32 v6, v14, v181 /*v437*/
	s_set_vgpr_msb 0x41                     ;  msbs: dst=1 src0=1 src1=0 src2=0
	v_add3_u32 v225 /*v481*/, v215 /*v471*/, v7, v9
	s_set_vgpr_msb 5                        ;  msbs: dst=0 src0=1 src1=1 src2=0
	v_mul_i32_i24_e32 v7, v195 /*v451*/, v176 /*v432*/
	v_mul_i32_i24_e32 v9, v193 /*v449*/, v181 /*v437*/
	s_set_vgpr_msb 64                       ;  msbs: dst=1 src0=0 src1=0 src2=0
	v_and_b32_e32 v121 /*v377*/, 15, v113
	s_set_vgpr_msb 5                        ;  msbs: dst=0 src0=1 src1=1 src2=0
	v_mul_i32_i24_e32 v113, v190 /*v446*/, v59 /*v315*/
	v_mul_i32_i24_e32 v114, v191 /*v447*/, v39 /*v295*/
	s_set_vgpr_msb 0x45                     ;  msbs: dst=1 src0=1 src1=1 src2=0
	v_mul_i32_i24_e32 v168 /*v424*/, v156 /*v412*/, v133 /*v389*/
	s_set_vgpr_msb 5                        ;  msbs: dst=0 src0=1 src1=1 src2=0
	v_mul_i32_i24_e32 v19, v158 /*v414*/, v134 /*v390*/
	s_set_vgpr_msb 0x50                     ;  msbs: dst=1 src0=0 src1=0 src2=1
	v_add3_u32 v170 /*v426*/, v2, v4, v170 /*v426*/
	s_set_vgpr_msb 5                        ;  msbs: dst=0 src0=1 src1=1 src2=0
	v_mul_i32_i24_e32 v2, v253 /*v509*/, v248 /*v504*/
	s_set_vgpr_msb 0x41                     ;  msbs: dst=1 src0=1 src1=0 src2=0
	v_add3_u32 v226 /*v482*/, v217 /*v473*/, v3, v6
	v_add3_u32 v227 /*v483*/, v218 /*v474*/, v7, v9
	s_set_vgpr_msb 5                        ;  msbs: dst=0 src0=1 src1=1 src2=0
	v_mul_i32_i24_e32 v6, v252 /*v508*/, v176 /*v432*/
	v_mul_i32_i24_e32 v7, v255 /*v511*/, v181 /*v437*/
	s_set_vgpr_msb 0x41                     ;  msbs: dst=1 src0=1 src1=0 src2=0
	v_add3_u32 v217 /*v473*/, v214 /*v470*/, v113, v114
	s_set_vgpr_msb 5                        ;  msbs: dst=0 src0=1 src1=1 src2=0
	v_add_nc_u32_e32 v114, v176 /*v432*/, v174 /*v430*/
	s_set_vgpr_msb 0x50                     ;  msbs: dst=1 src0=0 src1=0 src2=1
	v_mul_i32_i24_e32 v198 /*v454*/, v17, v124
	v_add3_u32 v168 /*v424*/, v19, v2, v168 /*v424*/
	s_set_vgpr_msb 4                        ;  msbs: dst=0 src0=0 src1=1 src2=0
	v_cvt_f32_f16_e64 v19, v138
	v_mul_i32_i24_e32 v138, v14, v122 /*v378*/
	s_set_vgpr_msb 0                        ;  msbs: dst=0 src0=0 src1=0 src2=0
	v_add_nc_u32_e32 v85, v159, v95
	s_set_vgpr_msb 0x54                     ;  msbs: dst=1 src0=0 src1=1 src2=1
	v_add3_u32 v235 /*v491*/, v115, v198 /*v454*/, v200 /*v456*/
	s_set_vgpr_msb 1                        ;  msbs: dst=0 src0=1 src1=0 src2=0
	v_mul_i32_i24_e32 v115, v197 /*v453*/, v8
	s_set_vgpr_msb 0x41                     ;  msbs: dst=1 src0=1 src1=0 src2=0
	v_add3_u32 v223 /*v479*/, v216 /*v472*/, v6, v7
	s_set_vgpr_msb 1                        ;  msbs: dst=0 src0=1 src1=0 src2=0
	v_mul_i32_i24_e32 v7, v195 /*v451*/, v8
	s_set_vgpr_msb 5                        ;  msbs: dst=0 src0=1 src1=1 src2=0
	v_mul_i32_i24_e32 v95, v255 /*v511*/, v122 /*v378*/
	s_set_vgpr_msb 1                        ;  msbs: dst=0 src0=1 src1=0 src2=0
	v_mul_i32_i24_e32 v8, v252 /*v508*/, v8
	s_set_vgpr_msb 0x41                     ;  msbs: dst=1 src0=1 src1=0 src2=0
	v_add3_u32 v220 /*v476*/, v219 /*v475*/, v115, v138
	s_set_vgpr_msb 4                        ;  msbs: dst=0 src0=0 src1=1 src2=0
	v_mul_i32_i24_e32 v115, v67, v79 /*v335*/
	s_set_vgpr_msb 5                        ;  msbs: dst=0 src0=1 src1=1 src2=0
	v_mul_i32_i24_e32 v18, v190 /*v446*/, v110 /*v366*/
	s_set_vgpr_msb 0x45                     ;  msbs: dst=1 src0=1 src1=1 src2=0
	v_mul_i32_i24_e32 v183 /*v439*/, v191 /*v447*/, v106 /*v362*/
	s_set_vgpr_msb 0x41                     ;  msbs: dst=1 src0=1 src1=0 src2=0
	v_add3_u32 v222 /*v478*/, v222 /*v478*/, v8, v95
	s_set_vgpr_msb 4                        ;  msbs: dst=0 src0=0 src1=1 src2=0
	v_mul_i32_i24_e32 v95, v65, v84 /*v340*/
	s_set_vgpr_msb 0                        ;  msbs: dst=0 src0=0 src1=0 src2=0
	v_mul_lo_u32 v133, 0x1010101, v133
	s_set_vgpr_msb 5                        ;  msbs: dst=0 src0=1 src1=1 src2=0
	v_mul_i32_i24_e32 v9, v193 /*v449*/, v122 /*v378*/
	s_set_vgpr_msb 0x51                     ;  msbs: dst=1 src0=1 src1=0 src2=1
	v_add3_u32 v239 /*v495*/, v208 /*v464*/, v18, v183 /*v439*/
	v_and_b32_e32 v183 /*v439*/, 0xffff, v116
	s_set_vgpr_msb 64                       ;  msbs: dst=1 src0=0 src1=0 src2=0
	v_add3_u32 v216 /*v472*/, v129, v95, v115
	s_set_vgpr_msb 1                        ;  msbs: dst=0 src0=1 src1=0 src2=0
	v_mul_i32_i24_e32 v95, v197 /*v453*/, v10
	s_set_vgpr_msb 0                        ;  msbs: dst=0 src0=0 src1=0 src2=0
	v_mul_i32_i24_e32 v115, v14, v12
	s_set_vgpr_msb 64                       ;  msbs: dst=1 src0=0 src1=0 src2=0
	v_and_b32_e32 v122 /*v378*/, 15, v116
	s_set_vgpr_msb 1                        ;  msbs: dst=0 src0=1 src1=0 src2=0
	v_mul_i32_i24_e32 v116, v193 /*v449*/, v12
	v_mul_i32_i24_e32 v12, v255 /*v511*/, v12
	s_set_vgpr_msb 0x41                     ;  msbs: dst=1 src0=1 src1=0 src2=0
	v_add3_u32 v221 /*v477*/, v221 /*v477*/, v7, v9
	s_set_vgpr_msb 64                       ;  msbs: dst=1 src0=0 src1=0 src2=0
	v_add3_u32 v215 /*v471*/, v123, v95, v115
	s_set_vgpr_msb 1                        ;  msbs: dst=0 src0=1 src1=0 src2=0
	v_mul_i32_i24_e32 v115, v195 /*v451*/, v10
	v_mul_i32_i24_e32 v10, v252 /*v508*/, v10
	s_set_vgpr_msb 5                        ;  msbs: dst=0 src0=1 src1=1 src2=0
	v_add_nc_u32_e32 v123, v108 /*v364*/, v188 /*v444*/
	v_mul_i32_i24_e32 v7, v190 /*v446*/, v84 /*v340*/
	v_mul_i32_i24_e32 v9, v191 /*v447*/, v79 /*v335*/
	s_set_vgpr_msb 0x41                     ;  msbs: dst=1 src0=1 src1=0 src2=0
	v_add3_u32 v206 /*v462*/, v206 /*v462*/, v115, v116
	s_set_vgpr_msb 5                        ;  msbs: dst=0 src0=1 src1=1 src2=0
	v_mul_i32_i24_e32 v115, v251 /*v507*/, v59 /*v315*/
	s_set_vgpr_msb 4                        ;  msbs: dst=0 src0=0 src1=1 src2=0
	v_mul_i32_i24_e32 v116, v66, v39 /*v295*/
	s_set_vgpr_msb 0x41                     ;  msbs: dst=1 src0=1 src1=0 src2=0
	v_add3_u32 v208 /*v464*/, v211 /*v467*/, v10, v12
	s_set_vgpr_msb 5                        ;  msbs: dst=0 src0=1 src1=1 src2=0
	v_mul_i32_i24_e32 v10, v197 /*v453*/, v245 /*v501*/
	s_set_vgpr_msb 4                        ;  msbs: dst=0 src0=0 src1=1 src2=0
	v_mul_i32_i24_e32 v12, v14, v189 /*v445*/
	s_set_vgpr_msb 5                        ;  msbs: dst=0 src0=1 src1=1 src2=0
	v_mul_i32_i24_e32 v8, v251 /*v507*/, v84 /*v340*/
	s_set_vgpr_msb 0x41                     ;  msbs: dst=1 src0=1 src1=0 src2=0
	v_add3_u32 v207 /*v463*/, v207 /*v463*/, v115, v116
	s_set_vgpr_msb 4                        ;  msbs: dst=0 src0=0 src1=1 src2=0
	v_mul_i32_i24_e32 v115, v65, v59 /*v315*/
	v_mul_i32_i24_e32 v116, v67, v39 /*v295*/
	s_set_vgpr_msb 0x41                     ;  msbs: dst=1 src0=1 src1=0 src2=0
	v_add3_u32 v219 /*v475*/, v205 /*v461*/, v7, v9
	s_set_vgpr_msb 4                        ;  msbs: dst=0 src0=0 src1=1 src2=0
	v_mul_i32_i24_e32 v9, v66, v79 /*v335*/
	s_set_vgpr_msb 64                       ;  msbs: dst=1 src0=0 src1=0 src2=0
	v_add3_u32 v210 /*v466*/, v119, v10, v12
	s_set_vgpr_msb 5                        ;  msbs: dst=0 src0=1 src1=1 src2=0
	v_mul_i32_i24_e32 v10, v191 /*v447*/, v83 /*v339*/
	s_set_vgpr_msb 64                       ;  msbs: dst=1 src0=0 src1=0 src2=0
	v_add3_u32 v209 /*v465*/, v117, v115, v116
	s_set_vgpr_msb 5                        ;  msbs: dst=0 src0=1 src1=1 src2=0
	v_mul_i32_i24_e32 v115, v193 /*v449*/, v189 /*v445*/
	v_mul_i32_i24_e32 v116, v195 /*v451*/, v245 /*v501*/
	;; [unrolled: 1-line block ×3, first 2 shown]
	s_set_vgpr_msb 0x41                     ;  msbs: dst=1 src0=1 src1=0 src2=0
	v_add3_u32 v218 /*v474*/, v213 /*v469*/, v8, v9
	v_and_b32_e32 v186 /*v442*/, 0xffff, v110
	s_set_vgpr_msb 5                        ;  msbs: dst=0 src0=1 src1=1 src2=0
	v_add_nc_u32_e32 v95, v173 /*v429*/, v123 /*v379*/
	s_set_vgpr_msb 64                       ;  msbs: dst=1 src0=0 src1=0 src2=0
	v_add3_u32 v211 /*v467*/, v121, v116, v115
	s_set_vgpr_msb 5                        ;  msbs: dst=0 src0=1 src1=1 src2=0
	v_mul_i32_i24_e32 v115, v251 /*v507*/, v89 /*v345*/
	s_set_vgpr_msb 4                        ;  msbs: dst=0 src0=0 src1=1 src2=0
	v_mul_i32_i24_e32 v116, v66, v83 /*v339*/
	s_set_vgpr_msb 64                       ;  msbs: dst=1 src0=0 src1=0 src2=0
	v_add3_u32 v212 /*v468*/, v125, v12, v10
	s_set_vgpr_msb 4                        ;  msbs: dst=0 src0=0 src1=1 src2=0
	v_mul_i32_i24_e32 v10, v65, v89 /*v345*/
	v_mul_i32_i24_e32 v12, v67, v83 /*v339*/
	s_set_vgpr_msb 5                        ;  msbs: dst=0 src0=1 src1=1 src2=0
	v_mul_i32_i24_e32 v117, v195 /*v451*/, v148 /*v404*/
	s_set_vgpr_msb 64                       ;  msbs: dst=1 src0=0 src1=0 src2=0
	v_add3_u32 v213 /*v469*/, v131, v115, v116
	s_set_vgpr_msb 4                        ;  msbs: dst=0 src0=0 src1=1 src2=0
	v_mul_i32_i24_e32 v115, v66, v63 /*v319*/
	s_set_vgpr_msb 5                        ;  msbs: dst=0 src0=1 src1=1 src2=0
	v_mul_i32_i24_e32 v116, v251 /*v507*/, v46 /*v302*/
	s_set_vgpr_msb 64                       ;  msbs: dst=1 src0=0 src1=0 src2=0
	v_add3_u32 v214 /*v470*/, v195, v10, v12
	s_set_vgpr_msb 5                        ;  msbs: dst=0 src0=1 src1=1 src2=0
	v_mul_i32_i24_e32 v10, v191 /*v447*/, v63 /*v319*/
	v_mul_i32_i24_e32 v12, v190 /*v446*/, v46 /*v302*/
	s_set_vgpr_msb 64                       ;  msbs: dst=1 src0=0 src1=0 src2=0
	v_and_b32_e32 v123 /*v379*/, 15, v110
	v_add3_u32 v204 /*v460*/, v197, v116, v115
	s_set_vgpr_msb 5                        ;  msbs: dst=0 src0=1 src1=1 src2=0
	v_mul_i32_i24_e32 v115, v252 /*v508*/, v245 /*v501*/
	v_mul_i32_i24_e32 v116, v255 /*v511*/, v189 /*v445*/
	s_set_vgpr_msb 64                       ;  msbs: dst=1 src0=0 src1=0 src2=0
	v_add3_u32 v205 /*v461*/, v198, v12, v10
	s_set_vgpr_msb 4                        ;  msbs: dst=0 src0=0 src1=1 src2=0
	v_mul_i32_i24_e32 v10, v67, v63 /*v319*/
	v_mul_i32_i24_e32 v12, v65, v46 /*v302*/
	s_set_vgpr_msb 5                        ;  msbs: dst=0 src0=1 src1=1 src2=0
	v_mul_i32_i24_e32 v110, v193 /*v449*/, v150 /*v406*/
	s_set_vgpr_msb 64                       ;  msbs: dst=1 src0=0 src1=0 src2=0
	v_add3_u32 v203 /*v459*/, v199, v115, v116
	s_set_vgpr_msb 4                        ;  msbs: dst=0 src0=0 src1=1 src2=0
	v_mul_i32_i24_e32 v115, v14, v150 /*v406*/
	s_set_vgpr_msb 5                        ;  msbs: dst=0 src0=1 src1=1 src2=0
	v_mul_i32_i24_e32 v116, v197 /*v453*/, v148 /*v404*/
	s_set_vgpr_msb 64                       ;  msbs: dst=1 src0=0 src1=0 src2=0
	v_add3_u32 v202 /*v458*/, v201, v12, v10
	s_set_vgpr_msb 5                        ;  msbs: dst=0 src0=1 src1=1 src2=0
	v_mul_i32_i24_e32 v10, v190 /*v446*/, v70 /*v326*/
	v_mul_i32_i24_e32 v12, v191 /*v447*/, v74 /*v330*/
	s_set_vgpr_msb 4                        ;  msbs: dst=0 src0=0 src1=1 src2=0
	v_mul_i32_i24_e32 v14, v14, v152 /*v408*/
	s_set_vgpr_msb 64                       ;  msbs: dst=1 src0=0 src1=0 src2=0
	v_add3_u32 v201 /*v457*/, v89, v116, v115
	s_set_vgpr_msb 5                        ;  msbs: dst=0 src0=1 src1=1 src2=0
	v_mul_i32_i24_e32 v89, v255 /*v511*/, v152 /*v408*/
	v_mul_i32_i24_e32 v115, v252 /*v508*/, v146 /*v402*/
	s_set_vgpr_msb 64                       ;  msbs: dst=1 src0=0 src1=0 src2=0
	v_add3_u32 v200 /*v456*/, v127, v10, v12
	s_set_vgpr_msb 5                        ;  msbs: dst=0 src0=1 src1=1 src2=0
	v_mul_i32_i24_e32 v10, v193 /*v449*/, v152 /*v408*/
	v_mul_i32_i24_e32 v12, v195 /*v451*/, v146 /*v402*/
	;; [unrolled: 1-line block ×3, first 2 shown]
	s_set_vgpr_msb 0                        ;  msbs: dst=0 src0=0 src1=0 src2=0
	v_and_b32_e32 v167, 0xffff, v112
	s_set_vgpr_msb 64                       ;  msbs: dst=1 src0=0 src1=0 src2=0
	v_add3_u32 v195 /*v451*/, v213, v115, v89
	s_set_vgpr_msb 1                        ;  msbs: dst=0 src0=1 src1=0 src2=0
	v_add_nc_u32_e32 v89, v189 /*v445*/, v16
	s_set_vgpr_msb 5                        ;  msbs: dst=0 src0=1 src1=1 src2=0
	v_mul_i32_i24_e32 v112, v252 /*v508*/, v148 /*v404*/
	s_set_vgpr_msb 64                       ;  msbs: dst=1 src0=0 src1=0 src2=0
	v_add3_u32 v193 /*v449*/, v126, v117, v110
	s_set_vgpr_msb 5                        ;  msbs: dst=0 src0=1 src1=1 src2=0
	v_mul_i32_i24_e32 v16, v251 /*v507*/, v70 /*v326*/
	s_set_vgpr_msb 4                        ;  msbs: dst=0 src0=0 src1=1 src2=0
	v_mul_i32_i24_e32 v110, v66, v74 /*v330*/
	s_set_vgpr_msb 5                        ;  msbs: dst=0 src0=1 src1=1 src2=0
	v_mul_i32_i24_e32 v115, v255 /*v511*/, v150 /*v406*/
	s_set_vgpr_msb 64                       ;  msbs: dst=1 src0=0 src1=0 src2=0
	v_bfe_u32 v247 /*v503*/, v136, 16, 2
	s_set_vgpr_msb 0                        ;  msbs: dst=0 src0=0 src1=0 src2=0
	v_bfe_u32 v136, v136, 24, 2
	s_set_vgpr_msb 64                       ;  msbs: dst=1 src0=0 src1=0 src2=0
	v_add3_u32 v198 /*v454*/, v200, v116, v14
	s_set_vgpr_msb 5                        ;  msbs: dst=0 src0=1 src1=1 src2=0
	v_mul_i32_i24_e32 v116, v190 /*v446*/, v60 /*v316*/
	s_set_vgpr_msb 64                       ;  msbs: dst=1 src0=0 src1=0 src2=0
	v_add3_u32 v190 /*v446*/, v202, v16, v110
	v_add3_u32 v189 /*v445*/, v212, v112, v115
	s_set_vgpr_msb 4                        ;  msbs: dst=0 src0=0 src1=1 src2=0
	v_mul_i32_i24_e32 v110, v65, v70 /*v326*/
	v_mul_i32_i24_e32 v115, v67, v74 /*v330*/
	s_set_vgpr_msb 5                        ;  msbs: dst=0 src0=1 src1=1 src2=0
	v_mul_i32_i24_e32 v119, v191 /*v447*/, v135 /*v391*/
	s_set_vgpr_msb 4                        ;  msbs: dst=0 src0=0 src1=1 src2=0
	v_mul_i32_i24_e32 v121, v136, v97 /*v353*/
	s_set_vgpr_msb 5                        ;  msbs: dst=0 src0=1 src1=1 src2=0
	v_mul_i32_i24_e32 v129, v247 /*v503*/, v87 /*v343*/
	s_set_vgpr_msb 4                        ;  msbs: dst=0 src0=0 src1=1 src2=0
	v_mul_i32_i24_e32 v131, v106, v116 /*v372*/
	s_set_vgpr_msb 64                       ;  msbs: dst=1 src0=0 src1=0 src2=0
	v_add3_u32 v191 /*v447*/, v196, v110, v115
	v_add3_u32 v188 /*v444*/, v64, v116, v119
	s_set_vgpr_msb 4                        ;  msbs: dst=0 src0=0 src1=1 src2=0
	v_mul_i32_i24_e32 v64, v105, v115 /*v371*/
	s_set_vgpr_msb 5                        ;  msbs: dst=0 src0=1 src1=1 src2=0
	v_mul_i32_i24_e32 v110, v251 /*v507*/, v60 /*v316*/
	s_set_vgpr_msb 4                        ;  msbs: dst=0 src0=0 src1=1 src2=0
	v_mul_i32_i24_e32 v66, v66, v135 /*v391*/
	v_mul_i32_i24_e32 v65, v65, v60 /*v316*/
	v_mul_i32_i24_e32 v67, v67, v135 /*v391*/
	v_cvt_f32_f16_e64 v5, v142
	s_set_vgpr_msb 0                        ;  msbs: dst=0 src0=0 src1=0 src2=0
	v_and_b32_e32 v168, 0xffff, v120
	v_and_b32_e32 v164, 0xffff, v118
	s_set_vgpr_msb 4                        ;  msbs: dst=0 src0=0 src1=1 src2=0
	v_mul_i32_i24_e32 v142, v106, v118 /*v374*/
	s_set_vgpr_msb 5                        ;  msbs: dst=0 src0=1 src1=1 src2=0
	v_add_nc_u32_e32 v113, v181 /*v437*/, v175 /*v431*/
	s_set_vgpr_msb 4                        ;  msbs: dst=0 src0=0 src1=1 src2=0
	v_mul_i32_i24_e32 v138, v106, v114 /*v370*/
	v_mul_i32_i24_e32 v143, v105, v113 /*v369*/
	s_set_vgpr_msb 1                        ;  msbs: dst=0 src0=1 src1=0 src2=0
	v_dual_add_nc_u32 v120, v115 /*v371*/, v135 :: v_dual_add_nc_u32 v126, v113 /*v369*/, v146
	s_set_vgpr_msb 4                        ;  msbs: dst=0 src0=0 src1=1 src2=0
	v_dual_add_nc_u32 v118, v132, v25 /*v281*/ :: v_dual_add_nc_u32 v112, v130, v120 /*v376*/
	v_add_nc_u32_e32 v125, v128, v119 /*v375*/
	s_set_vgpr_msb 1                        ;  msbs: dst=0 src0=1 src1=0 src2=0
	v_add_nc_u32_e32 v117, v116 /*v372*/, v134
	s_set_vgpr_msb 4                        ;  msbs: dst=0 src0=0 src1=1 src2=0
	v_mul_i32_i24_e32 v115, v136, v58 /*v314*/
	s_set_vgpr_msb 5                        ;  msbs: dst=0 src0=1 src1=1 src2=0
	v_dual_add_nc_u32 v128, v112 /*v368*/, v180 /*v436*/ :: v_dual_add_nc_u32 v130, v107 /*v363*/, v187 /*v443*/
	s_set_vgpr_msb 64                       ;  msbs: dst=1 src0=0 src1=0 src2=0
	v_add3_u32 v187 /*v443*/, v139, v110, v66
	s_set_vgpr_msb 5                        ;  msbs: dst=0 src0=1 src1=1 src2=0
	v_mul_i32_i24_e32 v66, v247 /*v503*/, v100 /*v356*/
	s_set_vgpr_msb 1                        ;  msbs: dst=0 src0=1 src1=0 src2=0
	v_mul_i32_i24_e32 v108, v119 /*v375*/, v108
	v_mul_i32_i24_e32 v110, v120 /*v376*/, v109
	s_set_vgpr_msb 4                        ;  msbs: dst=0 src0=0 src1=1 src2=0
	v_mul_i32_i24_e32 v139, v105, v117 /*v373*/
	s_set_vgpr_msb 5                        ;  msbs: dst=0 src0=1 src1=1 src2=0
	v_add_nc_u32_e32 v109, v245 /*v501*/, v182 /*v438*/
	s_set_vgpr_msb 64                       ;  msbs: dst=1 src0=0 src1=0 src2=0
	v_add3_u32 v182 /*v438*/, v145, v65, v67
	v_add3_u32 v176 /*v432*/, v147, v64, v131
	;; [unrolled: 1-line block ×3, first 2 shown]
	s_set_vgpr_msb 4                        ;  msbs: dst=0 src0=0 src1=1 src2=0
	v_mul_i32_i24_e32 v129, v136, v47 /*v303*/
	s_set_vgpr_msb 5                        ;  msbs: dst=0 src0=1 src1=1 src2=0
	v_mul_i32_i24_e32 v131, v247 /*v503*/, v36 /*v292*/
	s_set_vgpr_msb 4                        ;  msbs: dst=0 src0=0 src1=1 src2=0
	v_add3_u32 v145, v95, v8 /*v264*/, v243
	v_bfe_i32 v231, v35, 0, 8
	v_bfe_i32 v221, v35, 8, 8
	;; [unrolled: 1-line block ×3, first 2 shown]
	v_cvt_f32_f16_e64 v4, v144
	s_set_vgpr_msb 1                        ;  msbs: dst=0 src0=1 src1=0 src2=0
	v_add_nc_u32_e32 v127, v118 /*v374*/, v192
	s_set_vgpr_msb 4                        ;  msbs: dst=0 src0=0 src1=1 src2=0
	v_mul_i32_i24_e32 v132, v106, v71 /*v327*/
	s_set_vgpr_msb 64                       ;  msbs: dst=1 src0=0 src1=0 src2=0
	v_add3_u32 v181 /*v437*/, v141, v108, v110
	s_set_vgpr_msb 4                        ;  msbs: dst=0 src0=0 src1=1 src2=0
	v_mul_i32_i24_e32 v110, v136, v61 /*v317*/
	s_set_vgpr_msb 64                       ;  msbs: dst=1 src0=0 src1=0 src2=0
	v_add3_u32 v180 /*v436*/, v188, v66, v115
	s_set_vgpr_msb 5                        ;  msbs: dst=0 src0=1 src1=1 src2=0
	v_mul_i32_i24_e32 v115, v247 /*v503*/, v53 /*v309*/
	s_set_vgpr_msb 4                        ;  msbs: dst=0 src0=0 src1=1 src2=0
	v_mul_i32_i24_e32 v108, v106, v90 /*v346*/
	s_set_vgpr_msb 64                       ;  msbs: dst=1 src0=0 src1=0 src2=0
	v_add3_u32 v174 /*v430*/, v191, v143, v138
	s_set_vgpr_msb 4                        ;  msbs: dst=0 src0=0 src1=1 src2=0
	v_mul_i32_i24_e32 v138, v106, v108 /*v364*/
	s_set_vgpr_msb 64                       ;  msbs: dst=1 src0=0 src1=0 src2=0
	v_add3_u32 v173 /*v429*/, v193, v139, v142
	;; [unrolled: 4-line block ×3, first 2 shown]
	s_set_vgpr_msb 4                        ;  msbs: dst=0 src0=0 src1=1 src2=0
	v_mul_i32_i24_e32 v106, v106, v112 /*v368*/
	v_mul_i32_i24_e32 v192, v105, v111 /*v367*/
	s_set_vgpr_msb 0                        ;  msbs: dst=0 src0=0 src1=0 src2=0
	v_add3_u32 v139, v120, v241, v53
	v_add3_u32 v195, v118, v245, v57
	s_set_vgpr_msb 4                        ;  msbs: dst=0 src0=0 src1=1 src2=0
	v_add3_u32 v143, v85, v9 /*v265*/, v223
	s_set_vgpr_msb 0                        ;  msbs: dst=0 src0=0 src1=0 src2=0
	v_add3_u32 v141, v117, v242, v52
	s_set_vgpr_msb 4                        ;  msbs: dst=0 src0=0 src1=1 src2=0
	v_lshrrev_b32_e32 v144, 24, v184 /*v440*/
	s_set_vgpr_msb 0                        ;  msbs: dst=0 src0=0 src1=0 src2=0
	v_add3_u32 v95, v109, v22, v237
	s_set_vgpr_msb 4                        ;  msbs: dst=0 src0=0 src1=1 src2=0
	v_lshrrev_b32_e32 v109, 24, v153 /*v409*/
	s_set_vgpr_msb 0                        ;  msbs: dst=0 src0=0 src1=0 src2=0
	v_add3_u32 v118, v107, v131, v129
	s_set_vgpr_msb 4                        ;  msbs: dst=0 src0=0 src1=1 src2=0
	v_mul_i32_i24_e32 v107, v145, v248 /*v504*/
	v_mul_i32_i24_e32 v135, v105, v69 /*v325*/
	;; [unrolled: 1-line block ×3, first 2 shown]
	s_set_vgpr_msb 5                        ;  msbs: dst=0 src0=1 src1=1 src2=0
	v_mul_i32_i24_e32 v189, v247 /*v503*/, v42 /*v298*/
	s_set_vgpr_msb 0                        ;  msbs: dst=0 src0=0 src1=0 src2=0
	v_add3_u32 v64, v122, v232, v38
	v_add3_u32 v196, v123, v50, v36
	s_set_vgpr_msb 4                        ;  msbs: dst=0 src0=0 src1=1 src2=0
	v_add3_u32 v123, v125, v24 /*v280*/, v247
	s_set_vgpr_msb 0                        ;  msbs: dst=0 src0=0 src1=0 src2=0
	v_add3_u32 v125, v112, v244, v56
	v_add3_u32 v65, v126, v233, v35
	;; [unrolled: 1-line block ×4, first 2 shown]
	s_set_vgpr_msb 4                        ;  msbs: dst=0 src0=0 src1=1 src2=0
	v_mul_i32_i24_e32 v104, v139, v133 /*v389*/
	s_set_vgpr_msb 0                        ;  msbs: dst=0 src0=0 src1=0 src2=0
	v_add3_u32 v122, v94, v142, v138
	s_set_vgpr_msb 5                        ;  msbs: dst=0 src0=1 src1=1 src2=0
	v_mul_i32_i24_e32 v94, v251 /*v507*/, v248 /*v504*/
	s_set_vgpr_msb 0                        ;  msbs: dst=0 src0=0 src1=0 src2=0
	v_mul_i32_i24_e32 v126, v141, v109
	v_add3_u32 v110, v111, v115, v110
	s_set_vgpr_msb 4                        ;  msbs: dst=0 src0=0 src1=1 src2=0
	v_mul_i32_i24_e32 v115, v145, v246 /*v502*/
	v_mad_i32_i24 v107, v143, v134 /*v390*/, v107
	v_mul_i32_i24_e32 v116, v105, v92 /*v348*/
	v_mul_i32_i24_e32 v66, v136, v67 /*v323*/
	s_set_vgpr_msb 5                        ;  msbs: dst=0 src0=1 src1=1 src2=0
	v_mul_i32_i24_e32 v67, v247 /*v503*/, v65 /*v321*/
	s_set_vgpr_msb 4                        ;  msbs: dst=0 src0=0 src1=1 src2=0
	v_add3_u32 v85, v113, v3 /*v259*/, v221
	v_add3_u32 v137, v114, v2 /*v258*/, v231
	s_set_vgpr_msb 0                        ;  msbs: dst=0 src0=0 src1=0 src2=0
	v_add3_u32 v89, v89, v21, v228
	v_lshrrev_b32_e32 v113, 24, v20
	v_add3_u32 v124, v88, v135, v132
	v_mul_i32_i24_e32 v88, v195, v109
	s_set_vgpr_msb 1                        ;  msbs: dst=0 src0=1 src1=0 src2=0
	v_add3_u32 v120, v242 /*v498*/, v189, v146
	s_set_vgpr_msb 4                        ;  msbs: dst=0 src0=0 src1=1 src2=0
	v_mul_i32_i24_e32 v106, v125, v133 /*v389*/
	s_set_vgpr_msb 0                        ;  msbs: dst=0 src0=0 src1=0 src2=0
	v_add3_u32 v146, v107, v104, v126
	s_set_vgpr_msb 4                        ;  msbs: dst=0 src0=0 src1=1 src2=0
	v_mad_i32_i24 v94, v123, v134 /*v390*/, v94
	v_mad_i32_i24 v104, v143, v154 /*v410*/, v115
	v_mul_i32_i24_e32 v115, v95, v248 /*v504*/
	s_set_vgpr_msb 64                       ;  msbs: dst=1 src0=0 src1=0 src2=0
	v_add3_u32 v255 /*v511*/, v128, v179, v15
	s_set_vgpr_msb 0                        ;  msbs: dst=0 src0=0 src1=0 src2=0
	v_add3_u32 v128, v84, v67, v66
	v_mul_i32_i24_e32 v66, v196, v109
	s_set_vgpr_msb 4                        ;  msbs: dst=0 src0=0 src1=1 src2=0
	v_mul_i32_i24_e32 v84, v139, v132 /*v388*/
	s_set_vgpr_msb 0                        ;  msbs: dst=0 src0=0 src1=0 src2=0
	v_add3_u32 v108, v87, v116, v108
	s_set_vgpr_msb 5                        ;  msbs: dst=0 src0=1 src1=1 src2=0
	v_mul_i32_i24_e32 v116, v251 /*v507*/, v246 /*v502*/
	s_set_vgpr_msb 0                        ;  msbs: dst=0 src0=0 src1=0 src2=0
	v_mul_i32_i24_e32 v111, v141, v113
	s_set_vgpr_msb 4                        ;  msbs: dst=0 src0=0 src1=1 src2=0
	v_mul_i32_i24_e32 v107, v137, v246 /*v502*/
	s_set_vgpr_msb 0                        ;  msbs: dst=0 src0=0 src1=0 src2=0
	v_add3_u32 v88, v94, v106, v88
	s_set_vgpr_msb 4                        ;  msbs: dst=0 src0=0 src1=1 src2=0
	v_mul_i32_i24_e32 v106, v117, v133 /*v389*/
	v_mad_i32_i24 v115, v89, v134 /*v390*/, v115
	v_mul_i32_i24_e32 v119, v136, v48 /*v304*/
	s_set_vgpr_msb 5                        ;  msbs: dst=0 src0=1 src1=1 src2=0
	v_mul_i32_i24_e32 v121, v247 /*v503*/, v40 /*v296*/
	s_set_vgpr_msb 0                        ;  msbs: dst=0 src0=0 src1=0 src2=0
	v_mul_i32_i24_e32 v114, v64, v113
	s_set_vgpr_msb 4                        ;  msbs: dst=0 src0=0 src1=1 src2=0
	v_mul_i32_i24_e32 v94, v145, v250 /*v506*/
	s_set_vgpr_msb 0                        ;  msbs: dst=0 src0=0 src1=0 src2=0
	v_add3_u32 v84, v104, v84, v111
	s_set_vgpr_msb 4                        ;  msbs: dst=0 src0=0 src1=1 src2=0
	v_mad_i32_i24 v104, v123, v154 /*v410*/, v116
	s_set_vgpr_msb 0                        ;  msbs: dst=0 src0=0 src1=0 src2=0
	v_add3_u32 v116, v115, v106, v66
	s_set_vgpr_msb 4                        ;  msbs: dst=0 src0=0 src1=1 src2=0
	v_mul_i32_i24_e32 v66, v65, v132 /*v388*/
	v_mad_i32_i24 v106, v85, v154 /*v410*/, v107
	s_set_vgpr_msb 0                        ;  msbs: dst=0 src0=0 src1=0 src2=0
	v_add3_u32 v112, v86, v121, v119
	s_set_vgpr_msb 4                        ;  msbs: dst=0 src0=0 src1=1 src2=0
	v_mul_i32_i24_e32 v121, v139, v137 /*v393*/
	v_mul_i32_i24_e32 v111, v137, v250 /*v506*/
	v_mad_i32_i24 v94, v143, v249 /*v505*/, v94
	s_set_vgpr_msb 0                        ;  msbs: dst=0 src0=0 src1=0 src2=0
	v_add3_u32 v138, v106, v66, v114
	v_mul_i32_i24_e32 v106, v141, v144
	v_add3_u32 v105, v127, v186, v30
	s_set_vgpr_msb 5                        ;  msbs: dst=0 src0=1 src1=1 src2=0
	v_mul_i32_i24_e32 v119, v254 /*v510*/, v248 /*v504*/
	s_set_vgpr_msb 4                        ;  msbs: dst=0 src0=0 src1=1 src2=0
	v_mul_i32_i24_e32 v107, v65, v137 /*v393*/
	v_mad_i32_i24 v111, v85, v249 /*v505*/, v111
	s_set_vgpr_msb 0                        ;  msbs: dst=0 src0=0 src1=0 src2=0
	v_add3_u32 v106, v94, v121, v106
	v_mul_i32_i24_e32 v94, v64, v144
	v_cvt_f32_f16_e64 v18, v140
	s_set_vgpr_msb 4                        ;  msbs: dst=0 src0=0 src1=1 src2=0
	v_mul_i32_i24_e32 v134, v136, v78 /*v334*/
	s_set_vgpr_msb 5                        ;  msbs: dst=0 src0=1 src1=1 src2=0
	v_mul_i32_i24_e32 v140, v247 /*v503*/, v75 /*v331*/
	s_set_vgpr_msb 4                        ;  msbs: dst=0 src0=0 src1=1 src2=0
	v_mul_i32_i24_e32 v127, v137, v248 /*v504*/
	s_set_vgpr_msb 5                        ;  msbs: dst=0 src0=1 src1=1 src2=0
	v_mul_i32_i24_e32 v86, v161 /*v417*/, v133 /*v389*/
	s_set_vgpr_msb 0                        ;  msbs: dst=0 src0=0 src1=0 src2=0
	v_add3_u32 v114, v111, v107, v94
	v_mul_i32_i24_e32 v107, v105, v109
	s_set_vgpr_msb 5                        ;  msbs: dst=0 src0=1 src1=1 src2=0
	v_mad_i32_i24 v111, v169 /*v425*/, v134 /*v390*/, v119
	s_set_vgpr_msb 1                        ;  msbs: dst=0 src0=1 src1=0 src2=0
	v_add3_u32 v136, v241 /*v497*/, v140, v134
	s_set_vgpr_msb 4                        ;  msbs: dst=0 src0=0 src1=1 src2=0
	v_mul_i32_i24_e32 v94, v65, v133 /*v389*/
	s_set_vgpr_msb 0                        ;  msbs: dst=0 src0=0 src1=0 src2=0
	v_mul_i32_i24_e32 v67, v195, v113
	s_set_vgpr_msb 4                        ;  msbs: dst=0 src0=0 src1=1 src2=0
	v_mul_i32_i24_e32 v87, v125, v132 /*v388*/
	s_set_vgpr_msb 0                        ;  msbs: dst=0 src0=0 src1=0 src2=0
	v_add3_u32 v134, v111, v86, v107
	v_mul_i32_i24_e32 v86, v64, v109
	s_set_vgpr_msb 4                        ;  msbs: dst=0 src0=0 src1=1 src2=0
	v_mul_i32_i24_e32 v107, v95, v246 /*v502*/
	v_mad_i32_i24 v111, v85, v134 /*v390*/, v127
	s_set_vgpr_msb 5                        ;  msbs: dst=0 src0=1 src1=1 src2=0
	v_mul_i32_i24_e32 v66, v253 /*v509*/, v246 /*v502*/
	s_set_vgpr_msb 64                       ;  msbs: dst=1 src0=0 src1=0 src2=0
	v_lshrrev_b32_e32 v245 /*v501*/, 24, v133
	s_set_vgpr_msb 0                        ;  msbs: dst=0 src0=0 src1=0 src2=0
	v_lshrrev_b16 v20, 8, v133
	s_set_vgpr_msb 4                        ;  msbs: dst=0 src0=0 src1=1 src2=0
	v_mad_i32_i24 v107, v89, v154 /*v410*/, v107
	s_set_vgpr_msb 0                        ;  msbs: dst=0 src0=0 src1=0 src2=0
	v_add3_u32 v140, v111, v94, v86
	s_set_vgpr_msb 4                        ;  msbs: dst=0 src0=0 src1=1 src2=0
	v_mul_i32_i24_e32 v86, v117, v132 /*v388*/
	s_set_vgpr_msb 0                        ;  msbs: dst=0 src0=0 src1=0 src2=0
	v_mul_i32_i24_e32 v94, v196, v113
	s_set_vgpr_msb 64                       ;  msbs: dst=1 src0=0 src1=0 src2=0
	v_bfe_i32 v247 /*v503*/, v133, 0, 8
	v_bfe_i32 v252 /*v508*/, v133, 16, 8
	s_set_vgpr_msb 0                        ;  msbs: dst=0 src0=0 src1=0 src2=0
	v_add3_u32 v104, v104, v87, v67
	s_set_vgpr_msb 5                        ;  msbs: dst=0 src0=1 src1=1 src2=0
	v_mul_i32_i24_e32 v87, v253 /*v509*/, v250 /*v506*/
	v_mul_i32_i24_e32 v115, v156 /*v412*/, v132 /*v388*/
	s_set_vgpr_msb 0                        ;  msbs: dst=0 src0=0 src1=0 src2=0
	v_add3_u32 v133, v107, v86, v94
	s_set_vgpr_msb 1                        ;  msbs: dst=0 src0=1 src1=0 src2=0
	v_mul_i32_i24_e32 v94, v255 /*v511*/, v113
	s_set_vgpr_msb 5                        ;  msbs: dst=0 src0=1 src1=1 src2=0
	v_mad_i32_i24 v66, v158 /*v414*/, v154 /*v410*/, v66
	v_mul_i32_i24_e32 v67, v156 /*v412*/, v137 /*v393*/
	s_set_vgpr_msb 4                        ;  msbs: dst=0 src0=0 src1=1 src2=0
	v_mul_i32_i24_e32 v86, v95, v250 /*v506*/
	s_set_vgpr_msb 5                        ;  msbs: dst=0 src0=1 src1=1 src2=0
	v_mad_i32_i24 v87, v158 /*v414*/, v249 /*v505*/, v87
	s_set_vgpr_msb 64                       ;  msbs: dst=1 src0=0 src1=0 src2=0
	v_bfe_i32 v153 /*v409*/, v20, 0, 8
	s_set_vgpr_msb 0                        ;  msbs: dst=0 src0=0 src1=0 src2=0
	v_add3_u32 v192, v66, v115, v94
	s_set_vgpr_msb 1                        ;  msbs: dst=0 src0=1 src1=0 src2=0
	v_mul_i32_i24_e32 v94, v255 /*v511*/, v144
	s_set_vgpr_msb 4                        ;  msbs: dst=0 src0=0 src1=1 src2=0
	v_mul_i32_i24_e32 v66, v117, v137 /*v393*/
	s_set_vgpr_msb 5                        ;  msbs: dst=0 src0=1 src1=1 src2=0
	v_mul_i32_i24_e32 v20, v251 /*v507*/, v247 /*v503*/
	s_set_vgpr_msb 4                        ;  msbs: dst=0 src0=0 src1=1 src2=0
	v_mad_i32_i24 v86, v89, v249 /*v505*/, v86
	v_mul_i32_i24_e32 v64, v64, v245 /*v501*/
	s_set_vgpr_msb 0                        ;  msbs: dst=0 src0=0 src1=0 src2=0
	v_add3_u32 v135, v87, v67, v94
	v_mul_i32_i24_e32 v67, v196, v144
	s_set_vgpr_msb 4                        ;  msbs: dst=0 src0=0 src1=1 src2=0
	v_mad_i32_i24 v20, v123, v153 /*v409*/, v20
	v_mul_i32_i24_e32 v65, v65, v252 /*v508*/
	s_set_vgpr_msb 5                        ;  msbs: dst=0 src0=1 src1=1 src2=0
	v_add_nc_u32_e32 v94, v71 /*v327*/, v145 /*v401*/
	s_set_vgpr_msb 0x41                     ;  msbs: dst=1 src0=1 src1=0 src2=0
	v_bfe_i32 v139 /*v395*/, v139 /*v395*/, 0, 8
	s_set_vgpr_msb 0                        ;  msbs: dst=0 src0=0 src1=0 src2=0
	v_add3_u32 v132, v86, v66, v67
	s_set_vgpr_msb 4                        ;  msbs: dst=0 src0=0 src1=1 src2=0
	v_mul_i32_i24_e32 v66, v125, v252 /*v508*/
	v_mul_i32_i24_e32 v67, v195, v245 /*v501*/
	;; [unrolled: 1-line block ×3, first 2 shown]
	s_set_vgpr_msb 0                        ;  msbs: dst=0 src0=0 src1=0 src2=0
	v_add3_u32 v127, v94, v58, v34
	s_set_vgpr_msb 4                        ;  msbs: dst=0 src0=0 src1=1 src2=0
	v_mul_i32_i24_e32 v94, v196, v245 /*v501*/
	s_set_vgpr_msb 1                        ;  msbs: dst=0 src0=1 src1=0 src2=0
	v_bfe_u32 v121, v185 /*v441*/, 24, 2
	s_set_vgpr_msb 0                        ;  msbs: dst=0 src0=0 src1=0 src2=0
	v_add3_u32 v189, v20, v66, v67
	s_set_vgpr_msb 4                        ;  msbs: dst=0 src0=0 src1=1 src2=0
	v_mul_i32_i24_e32 v66, v145, v247 /*v503*/
	v_mul_i32_i24_e32 v67, v141, v245 /*v501*/
	s_set_vgpr_msb 5                        ;  msbs: dst=0 src0=1 src1=1 src2=0
	v_bfe_u32 v214, v185 /*v441*/, 16, 2
	v_mul_i32_i24_e32 v145, v94 /*v350*/, v112 /*v368*/
	v_mul_i32_i24_e32 v190, v91 /*v347*/, v107 /*v363*/
	s_set_vgpr_msb 4                        ;  msbs: dst=0 src0=0 src1=1 src2=0
	v_mad_i32_i24 v66, v143, v153 /*v409*/, v66
	s_set_vgpr_msb 5                        ;  msbs: dst=0 src0=1 src1=1 src2=0
	v_mul_i32_i24_e32 v143, v91 /*v347*/, v111 /*v367*/
	v_add_nc_u32_e32 v211, v98 /*v354*/, v96 /*v352*/
	s_set_vgpr_msb 4                        ;  msbs: dst=0 src0=0 src1=1 src2=0
	v_mul_i32_i24_e32 v188, v214, v40 /*v296*/
	v_mul_i32_i24_e32 v191, v121, v48 /*v304*/
	s_set_vgpr_msb 0                        ;  msbs: dst=0 src0=0 src1=0 src2=0
	v_add3_u32 v87, v66, v86, v67
	s_set_vgpr_msb 4                        ;  msbs: dst=0 src0=0 src1=1 src2=0
	v_mul_i32_i24_e32 v66, v137, v247 /*v503*/
	s_set_vgpr_msb 5                        ;  msbs: dst=0 src0=1 src1=1 src2=0
	v_mul_i32_i24_e32 v67, v255 /*v511*/, v245 /*v501*/
	v_mul_i32_i24_e32 v86, v156 /*v412*/, v252 /*v508*/
	s_set_vgpr_msb 0x41                     ;  msbs: dst=1 src0=1 src1=0 src2=0
	v_bfe_u32 v156 /*v412*/, v244 /*v500*/, 24, 2
	s_set_vgpr_msb 64                       ;  msbs: dst=1 src0=0 src1=0 src2=0
	v_add3_u32 v197 /*v453*/, v217, v12, v10
	s_set_vgpr_msb 4                        ;  msbs: dst=0 src0=0 src1=1 src2=0
	v_mad_i32_i24 v66, v85, v153 /*v409*/, v66
	s_set_vgpr_msb 5                        ;  msbs: dst=0 src0=1 src1=1 src2=0
	v_dual_add_nc_u32 v137, v110 /*v366*/, v109 /*v365*/ :: v_dual_add_nc_u32 v141, v105 /*v361*/, v103 /*v359*/
	s_set_vgpr_msb 0x44                     ;  msbs: dst=1 src0=0 src1=1 src2=0
	v_and_b32_e32 v110 /*v366*/, 3, v178 /*v434*/
	s_set_vgpr_msb 5                        ;  msbs: dst=0 src0=1 src1=1 src2=0
	v_add_nc_u32_e32 v205, v89 /*v345*/, v88 /*v344*/
	s_set_vgpr_msb 0                        ;  msbs: dst=0 src0=0 src1=0 src2=0
	v_add3_u32 v85, v66, v65, v64
	s_set_vgpr_msb 5                        ;  msbs: dst=0 src0=1 src1=1 src2=0
	v_mul_i32_i24_e32 v64, v254 /*v510*/, v247 /*v503*/
	s_set_vgpr_msb 4                        ;  msbs: dst=0 src0=0 src1=1 src2=0
	v_mul_i32_i24_e32 v65, v105, v245 /*v501*/
	s_set_vgpr_msb 5                        ;  msbs: dst=0 src0=1 src1=1 src2=0
	v_mul_i32_i24_e32 v66, v161 /*v417*/, v252 /*v508*/
	s_set_vgpr_msb 0x44                     ;  msbs: dst=1 src0=0 src1=1 src2=0
	v_and_b32_e32 v161 /*v417*/, 3, v244 /*v500*/
	v_add3_u32 v88 /*v344*/, v141, v10 /*v266*/, v248
	s_set_vgpr_msb 5                        ;  msbs: dst=0 src0=1 src1=1 src2=0
	v_mad_i32_i24 v64, v169 /*v425*/, v153 /*v409*/, v64
	s_set_vgpr_msb 0x44                     ;  msbs: dst=1 src0=0 src1=1 src2=0
	v_and_b32_e32 v169 /*v425*/, 3, v228 /*v484*/
	s_set_vgpr_msb 5                        ;  msbs: dst=0 src0=1 src1=1 src2=0
	v_mul_i32_i24_e32 v141, v94 /*v350*/, v90 /*v346*/
	s_set_vgpr_msb 4                        ;  msbs: dst=0 src0=0 src1=1 src2=0
	v_mul_i32_i24_e32 v209, v214, v65 /*v321*/
	s_set_vgpr_msb 5                        ;  msbs: dst=0 src0=1 src1=1 src2=0
	v_mul_i32_i24_e32 v208, v86 /*v342*/, v69 /*v325*/
	s_set_vgpr_msb 0                        ;  msbs: dst=0 src0=0 src1=0 src2=0
	v_add3_u32 v107, v64, v66, v65
	s_set_vgpr_msb 5                        ;  msbs: dst=0 src0=1 src1=1 src2=0
	v_mul_i32_i24_e32 v66, v253 /*v509*/, v247 /*v503*/
	v_bfe_u32 v64, v136 /*v392*/, 16, 2
	v_bfe_u32 v65, v136 /*v392*/, 24, 2
	s_set_vgpr_msb 0x41                     ;  msbs: dst=1 src0=1 src1=0 src2=0
	v_bfe_u32 v136 /*v392*/, v244 /*v500*/, 16, 2
	s_set_vgpr_msb 5                        ;  msbs: dst=0 src0=1 src1=1 src2=0
	v_mul_i32_i24_e32 v139, v157 /*v413*/, v22 /*v278*/
	v_mad_i32_i24 v66, v158 /*v414*/, v153 /*v409*/, v66
	s_set_vgpr_msb 0x41                     ;  msbs: dst=1 src0=1 src1=0 src2=0
	v_bfe_u32 v158 /*v414*/, v244 /*v500*/, 8, 2
	v_bfe_i32 v244 /*v500*/, v138 /*v394*/, 0, 8
	s_set_vgpr_msb 5                        ;  msbs: dst=0 src0=1 src1=1 src2=0
	v_mul_i32_i24_e32 v147, v157 /*v413*/, v10 /*v266*/
	v_mul_i32_i24_e32 v194, v160 /*v416*/, v7 /*v263*/
	s_set_vgpr_msb 64                       ;  msbs: dst=1 src0=0 src1=0 src2=0
	v_add3_u32 v254 /*v510*/, v66, v86, v67
	s_set_vgpr_msb 5                        ;  msbs: dst=0 src0=1 src1=1 src2=0
	v_dual_add_nc_u32 v66, v150 /*v406*/, v149 /*v405*/ :: v_dual_add_nc_u32 v67, v148 /*v404*/, v147 /*v403*/
	v_add_nc_u32_e32 v86, v69 /*v325*/, v144 /*v400*/
	s_set_vgpr_msb 0x44                     ;  msbs: dst=1 src0=0 src1=1 src2=0
	v_and_b32_e32 v149 /*v405*/, 3, v243 /*v499*/
	s_set_vgpr_msb 0x41                     ;  msbs: dst=1 src0=1 src1=0 src2=0
	v_bfe_u32 v148 /*v404*/, v199 /*v455*/, 8, 2
	s_set_vgpr_msb 16                       ;  msbs: dst=0 src0=0 src1=0 src2=1
	v_add3_u32 v126, v66, v13, v16 /*v272*/
	v_add3_u32 v129, v67, v253, v17 /*v273*/
	s_set_vgpr_msb 4                        ;  msbs: dst=0 src0=0 src1=1 src2=0
	v_mul_i32_i24_e32 v66, v95, v247 /*v503*/
	s_set_vgpr_msb 0                        ;  msbs: dst=0 src0=0 src1=0 src2=0
	v_add3_u32 v86, v86, v59, v40
	s_set_vgpr_msb 4                        ;  msbs: dst=0 src0=0 src1=1 src2=0
	v_mul_i32_i24_e32 v67, v117, v252 /*v508*/
	s_set_vgpr_msb 0x44                     ;  msbs: dst=1 src0=0 src1=1 src2=0
	v_lshrrev_b32_e32 v150 /*v406*/, 24, v199 /*v455*/
	v_and_b32_e32 v109 /*v365*/, 3, v179 /*v435*/
	s_set_vgpr_msb 4                        ;  msbs: dst=0 src0=0 src1=1 src2=0
	v_mad_i32_i24 v66, v89, v153 /*v409*/, v66
	v_mul_i32_i24_e32 v89, v129, v247 /*v503*/
	s_set_vgpr_msb 5                        ;  msbs: dst=0 src0=1 src1=1 src2=0
	v_dual_add_nc_u32 v210, v106 /*v362*/, v104 /*v360*/ :: v_dual_add_nc_u32 v193, v83 /*v339*/, v81 /*v337*/
	v_mul_i32_i24_e32 v206, v157 /*v413*/, v0 /*v256*/
	s_set_vgpr_msb 0                        ;  msbs: dst=0 src0=0 src1=0 src2=0
	v_add3_u32 v115, v66, v67, v94
	s_set_vgpr_msb 4                        ;  msbs: dst=0 src0=0 src1=1 src2=0
	v_mul_i32_i24_e32 v66, v86, v252 /*v508*/
	v_mul_i32_i24_e32 v67, v127, v245 /*v501*/
	v_mad_i32_i24 v89, v126, v153 /*v409*/, v89
	s_set_vgpr_msb 5                        ;  msbs: dst=0 src0=1 src1=1 src2=0
	v_add_nc_u32_e32 v94, v92 /*v348*/, v141 /*v397*/
	s_set_vgpr_msb 0x41                     ;  msbs: dst=1 src0=1 src1=0 src2=0
	v_bfe_u32 v141 /*v397*/, v237 /*v493*/, 8, 2
	s_set_vgpr_msb 5                        ;  msbs: dst=0 src0=1 src1=1 src2=0
	v_mul_i32_i24_e32 v207, v160 /*v416*/, v1 /*v257*/
	s_set_vgpr_msb 0x45                     ;  msbs: dst=1 src0=1 src1=1 src2=0
	v_add_nc_u32_e32 v98 /*v354*/, v74 /*v330*/, v73 /*v329*/
	s_set_vgpr_msb 0                        ;  msbs: dst=0 src0=0 src1=0 src2=0
	v_add3_u32 v111, v89, v66, v67
	s_set_vgpr_msb 5                        ;  msbs: dst=0 src0=1 src1=1 src2=0
	v_add_nc_u32_e32 v66, v146 /*v402*/, v143 /*v399*/
	v_dual_add_nc_u32 v67, v152 /*v408*/, v151 /*v407*/ :: v_dual_add_nc_u32 v89, v90 /*v346*/, v140 /*v396*/
	s_set_vgpr_msb 0x44                     ;  msbs: dst=1 src0=0 src1=1 src2=0
	v_and_b32_e32 v152 /*v408*/, 3, v194 /*v450*/
	s_set_vgpr_msb 0x41                     ;  msbs: dst=1 src0=1 src1=0 src2=0
	v_bfe_u32 v151 /*v407*/, v194 /*v450*/, 8, 2
	s_set_vgpr_msb 0x54                     ;  msbs: dst=1 src0=0 src1=1 src2=1
	v_add3_u32 v253 /*v509*/, v66, v21 /*v277*/, v27 /*v283*/
	s_set_vgpr_msb 5                        ;  msbs: dst=0 src0=1 src1=1 src2=0
	v_mul_i32_i24_e32 v66, v251 /*v507*/, v250 /*v506*/
	s_set_vgpr_msb 0                        ;  msbs: dst=0 src0=0 src1=0 src2=0
	v_add3_u32 v95, v89, v47, v23
	v_add3_u32 v89, v94, v48, v29
	s_set_vgpr_msb 0x54                     ;  msbs: dst=1 src0=0 src1=1 src2=1
	v_add3_u32 v138 /*v394*/, v67, v244 /*v500*/, v139 /*v395*/
	s_set_vgpr_msb 0                        ;  msbs: dst=0 src0=0 src1=0 src2=0
	v_mul_i32_i24_e32 v67, v195, v144
	s_set_vgpr_msb 4                        ;  msbs: dst=0 src0=0 src1=1 src2=0
	v_mul_i32_i24_e32 v94, v125, v137 /*v393*/
	v_mad_i32_i24 v66, v123, v249 /*v505*/, v66
	s_set_vgpr_msb 5                        ;  msbs: dst=0 src0=1 src1=1 src2=0
	v_mul_i32_i24_e32 v117, v253 /*v509*/, v250 /*v506*/
	v_mul_i32_i24_e32 v123, v253 /*v509*/, v248 /*v504*/
	s_set_vgpr_msb 4                        ;  msbs: dst=0 src0=0 src1=1 src2=0
	v_mul_i32_i24_e32 v125, v86, v133 /*v389*/
	s_set_vgpr_msb 0x44                     ;  msbs: dst=1 src0=0 src1=1 src2=0
	v_and_b32_e32 v146 /*v402*/, 3, v237 /*v493*/
	s_set_vgpr_msb 0                        ;  msbs: dst=0 src0=0 src1=0 src2=0
	v_add3_u32 v119, v66, v94, v67
	s_set_vgpr_msb 4                        ;  msbs: dst=0 src0=0 src1=1 src2=0
	v_mul_i32_i24_e32 v66, v89, v137 /*v393*/
	s_set_vgpr_msb 0                        ;  msbs: dst=0 src0=0 src1=0 src2=0
	v_mul_i32_i24_e32 v67, v95, v144
	s_set_vgpr_msb 5                        ;  msbs: dst=0 src0=1 src1=1 src2=0
	v_mad_i32_i24 v94, v138 /*v394*/, v249 /*v505*/, v117
	s_set_vgpr_msb 4                        ;  msbs: dst=0 src0=0 src1=1 src2=0
	v_mul_i32_i24_e32 v117, v86, v137 /*v393*/
	v_mul_i32_i24_e32 v86, v86, v132 /*v388*/
	s_set_vgpr_msb 0x44                     ;  msbs: dst=1 src0=0 src1=1 src2=0
	v_dual_lshrrev_b32 v137 /*v393*/, 16, v237 /*v493*/ :: v_dual_lshrrev_b32 v140 /*v396*/, 24, v237 /*v493*/
	s_set_vgpr_msb 0                        ;  msbs: dst=0 src0=0 src1=0 src2=0
	v_add3_u32 v94, v94, v66, v67
	s_set_vgpr_msb 4                        ;  msbs: dst=0 src0=0 src1=1 src2=0
	v_mul_i32_i24_e32 v66, v129, v250 /*v506*/
	s_set_vgpr_msb 0                        ;  msbs: dst=0 src0=0 src1=0 src2=0
	v_mul_i32_i24_e32 v67, v127, v144
	s_set_vgpr_msb 0x41                     ;  msbs: dst=1 src0=1 src1=0 src2=0
	v_bfe_u32 v237 /*v493*/, v228 /*v484*/, 8, 2
	v_mul_i32_i24_e32 v74 /*v330*/, v160 /*v416*/, v252
	s_set_vgpr_msb 0x44                     ;  msbs: dst=1 src0=0 src1=1 src2=0
	v_add3_u32 v179 /*v435*/, v137, v22 /*v278*/, v250
	s_set_vgpr_msb 4                        ;  msbs: dst=0 src0=0 src1=1 src2=0
	v_mad_i32_i24 v66, v126, v249 /*v505*/, v66
	s_set_vgpr_msb 5                        ;  msbs: dst=0 src0=1 src1=1 src2=0
	v_mul_i32_i24_e32 v137, v157 /*v413*/, v14 /*v270*/
	s_set_vgpr_msb 0x41                     ;  msbs: dst=1 src0=1 src1=0 src2=0
	v_mul_i32_i24_e32 v81 /*v337*/, v166 /*v422*/, v248
	s_set_vgpr_msb 0x45                     ;  msbs: dst=1 src0=1 src1=1 src2=0
	v_add_nc_u32_e32 v103 /*v359*/, v70 /*v326*/, v68 /*v324*/
	v_add_nc_u32_e32 v70 /*v326*/, v42 /*v298*/, v41 /*v297*/
	s_set_vgpr_msb 64                       ;  msbs: dst=1 src0=0 src1=0 src2=0
	v_add3_u32 v250 /*v506*/, v66, v117, v67
	s_set_vgpr_msb 0                        ;  msbs: dst=0 src0=0 src1=0 src2=0
	v_mul_i32_i24_e32 v66, v95, v109
	s_set_vgpr_msb 4                        ;  msbs: dst=0 src0=0 src1=1 src2=0
	v_mul_i32_i24_e32 v67, v89, v133 /*v389*/
	s_set_vgpr_msb 5                        ;  msbs: dst=0 src0=1 src1=1 src2=0
	v_mad_i32_i24 v117, v138 /*v394*/, v134 /*v390*/, v123
	s_set_vgpr_msb 0                        ;  msbs: dst=0 src0=0 src1=0 src2=0
	v_mul_i32_i24_e32 v123, v127, v109
	s_set_vgpr_msb 0x41                     ;  msbs: dst=1 src0=1 src1=0 src2=0
	v_bfe_u32 v133 /*v389*/, v228 /*v484*/, 24, 2
	v_mul_i32_i24_e32 v41 /*v297*/, v166 /*v422*/, v234
	v_bfe_i32 v68 /*v324*/, v80 /*v336*/, 0, 8
	s_set_vgpr_msb 64                       ;  msbs: dst=1 src0=0 src1=0 src2=0
	v_add3_u32 v249 /*v505*/, v117, v67, v66
	s_set_vgpr_msb 4                        ;  msbs: dst=0 src0=0 src1=1 src2=0
	v_mul_i32_i24_e32 v117, v129, v248 /*v504*/
	s_set_vgpr_msb 1                        ;  msbs: dst=0 src0=1 src1=0 src2=0
	v_bfe_u32 v66, v128 /*v384*/, 24, 2
	v_bfe_u32 v67, v128 /*v384*/, 16, 2
	s_set_vgpr_msb 0x41                     ;  msbs: dst=1 src0=1 src1=0 src2=0
	v_bfe_u32 v128 /*v384*/, v228 /*v484*/, 16, 2
	s_set_vgpr_msb 1                        ;  msbs: dst=0 src0=1 src1=0 src2=0
	v_bfe_u32 v142, v142 /*v398*/, 8, 2
	s_set_vgpr_msb 4                        ;  msbs: dst=0 src0=0 src1=1 src2=0
	v_mad_i32_i24 v117, v126, v134 /*v390*/, v117
	s_set_vgpr_msb 0x44                     ;  msbs: dst=1 src0=0 src1=1 src2=0
	v_and_b32_e32 v134 /*v390*/, 3, v199 /*v455*/
	s_set_vgpr_msb 4                        ;  msbs: dst=0 src0=0 src1=1 src2=0
	v_mul_i32_i24_e32 v203, v67, v65 /*v321*/
	v_mul_i32_i24_e32 v204, v66, v67 /*v323*/
	s_set_vgpr_msb 0x41                     ;  msbs: dst=1 src0=1 src1=0 src2=0
	v_bfe_u32 v147 /*v403*/, v243 /*v499*/, 8, 2
	s_set_vgpr_msb 64                       ;  msbs: dst=1 src0=0 src1=0 src2=0
	v_add3_u32 v248 /*v504*/, v117, v125, v123
	s_set_vgpr_msb 4                        ;  msbs: dst=0 src0=0 src1=1 src2=0
	v_mul_i32_i24_e32 v117, v129, v246 /*v502*/
	s_set_vgpr_msb 5                        ;  msbs: dst=0 src0=1 src1=1 src2=0
	v_mul_i32_i24_e32 v123, v253 /*v509*/, v246 /*v502*/
	s_set_vgpr_msb 0                        ;  msbs: dst=0 src0=0 src1=0 src2=0
	v_mul_i32_i24_e32 v125, v95, v113
	s_set_vgpr_msb 5                        ;  msbs: dst=0 src0=1 src1=1 src2=0
	v_mul_i32_i24_e32 v129, v101 /*v357*/, v111 /*v367*/
	s_set_vgpr_msb 0x41                     ;  msbs: dst=1 src0=1 src1=0 src2=0
	v_bfe_u32 v144 /*v400*/, v243 /*v499*/, 16, 2
	s_set_vgpr_msb 4                        ;  msbs: dst=0 src0=0 src1=1 src2=0
	v_mad_i32_i24 v117, v126, v154 /*v410*/, v117
	s_set_vgpr_msb 5                        ;  msbs: dst=0 src0=1 src1=1 src2=0
	v_mad_i32_i24 v123, v138 /*v394*/, v154 /*v410*/, v123
	s_set_vgpr_msb 4                        ;  msbs: dst=0 src0=0 src1=1 src2=0
	v_mul_i32_i24_e32 v126, v89, v132 /*v388*/
	s_set_vgpr_msb 0x44                     ;  msbs: dst=1 src0=0 src1=1 src2=0
	v_lshrrev_b32_e32 v132 /*v388*/, 16, v199 /*v455*/
	s_set_vgpr_msb 0x41                     ;  msbs: dst=1 src0=1 src1=0 src2=0
	v_bfe_u32 v199 /*v455*/, v196 /*v452*/, 8, 2
	s_set_vgpr_msb 0x44                     ;  msbs: dst=1 src0=0 src1=1 src2=0
	v_dual_lshrrev_b32 v145 /*v401*/, 24, v243 /*v499*/ :: v_dual_bitop2_b32 v154 /*v410*/, 3, v192 /*v448*/ bitop3:0x40
	s_set_vgpr_msb 64                       ;  msbs: dst=1 src0=0 src1=0 src2=0
	v_add3_u32 v246 /*v502*/, v123, v126, v125
	s_set_vgpr_msb 0                        ;  msbs: dst=0 src0=0 src1=0 src2=0
	v_mul_i32_i24_e32 v123, v127, v113
	s_set_vgpr_msb 5                        ;  msbs: dst=0 src0=1 src1=1 src2=0
	v_mul_i32_i24_e32 v125, v102 /*v358*/, v118 /*v374*/
	v_mul_i32_i24_e32 v126, v93 /*v349*/, v118 /*v374*/
	s_set_vgpr_msb 0x41                     ;  msbs: dst=1 src0=1 src1=0 src2=0
	v_bfe_u32 v243 /*v499*/, v131 /*v387*/, 8, 2
	v_mul_i32_i24_e32 v178 /*v434*/, v162 /*v418*/, v249
	s_set_vgpr_msb 0                        ;  msbs: dst=0 src0=0 src1=0 src2=0
	v_add3_u32 v86, v117, v86, v123
	s_set_vgpr_msb 5                        ;  msbs: dst=0 src0=1 src1=1 src2=0
	v_mul_i32_i24_e32 v117, v120 /*v376*/, v126 /*v382*/
	v_mul_i32_i24_e32 v123, v119 /*v375*/, v130 /*v386*/
	s_set_vgpr_msb 0x41                     ;  msbs: dst=1 src0=1 src1=0 src2=0
	v_bfe_u32 v130 /*v386*/, v196 /*v452*/, 16, 2
	v_bfe_u32 v126 /*v382*/, v196 /*v452*/, 24, 2
	s_set_vgpr_msb 1                        ;  msbs: dst=0 src0=1 src1=0 src2=0
	v_mul_i32_i24_e32 v217, v162 /*v418*/, v182
	s_set_vgpr_msb 0x44                     ;  msbs: dst=1 src0=0 src1=1 src2=0
	v_and_b32_e32 v241 /*v497*/, 3, v240 /*v496*/
	s_set_vgpr_msb 0x41                     ;  msbs: dst=1 src0=1 src1=0 src2=0
	v_add3_u32 v251 /*v507*/, v238 /*v494*/, v123, v117
	s_set_vgpr_msb 4                        ;  msbs: dst=0 src0=0 src1=1 src2=0
	v_mul_i32_i24_e32 v117, v65, v58 /*v314*/
	v_mul_i32_i24_e32 v123, v64, v100 /*v356*/
	s_set_vgpr_msb 0x41                     ;  msbs: dst=1 src0=1 src1=0 src2=0
	v_bfe_u32 v184 /*v440*/, v142 /*v398*/, 16, 2
	v_bfe_u32 v185 /*v441*/, v142 /*v398*/, 24, 2
	;; [unrolled: 1-line block ×4, first 2 shown]
	v_add3_u32 v238 /*v494*/, v239 /*v495*/, v123, v117
	s_set_vgpr_msb 5                        ;  msbs: dst=0 src0=1 src1=1 src2=0
	v_mul_i32_i24_e32 v117, v120 /*v376*/, v125 /*v381*/
	v_mul_i32_i24_e32 v123, v119 /*v375*/, v129 /*v385*/
	s_set_vgpr_msb 0x44                     ;  msbs: dst=1 src0=0 src1=1 src2=0
	v_dual_lshrrev_b32 v125 /*v381*/, 16, v194 /*v450*/ :: v_dual_lshrrev_b32 v129 /*v385*/, 24, v194 /*v450*/
	v_lshrrev_b32_e32 v240 /*v496*/, 24, v240 /*v496*/
	s_set_vgpr_msb 0x41                     ;  msbs: dst=1 src0=1 src1=0 src2=0
	v_bfe_u32 v143 /*v399*/, v131 /*v387*/, 16, 2
	v_add3_u32 v239 /*v495*/, v235 /*v491*/, v123, v117
	s_set_vgpr_msb 4                        ;  msbs: dst=0 src0=0 src1=1 src2=0
	v_mul_i32_i24_e32 v117, v66, v58 /*v314*/
	v_mul_i32_i24_e32 v123, v67, v100 /*v356*/
	s_set_vgpr_msb 0x41                     ;  msbs: dst=1 src0=1 src1=0 src2=0
	v_bfe_u32 v131 /*v387*/, v131 /*v387*/, 24, 2
	v_add3_u32 v70 /*v326*/, v70 /*v326*/, v180, v45
	s_set_vgpr_msb 64                       ;  msbs: dst=1 src0=0 src1=0 src2=0
	v_mul_i32_i24_e32 v83 /*v339*/, v169, v225
	s_set_vgpr_msb 0x45                     ;  msbs: dst=1 src0=1 src1=1 src2=0
	v_mul_i32_i24_e32 v138 /*v394*/, v138 /*v394*/, v153 /*v409*/
	s_set_vgpr_msb 0x41                     ;  msbs: dst=1 src0=1 src1=0 src2=0
	v_add3_u32 v235 /*v491*/, v236 /*v492*/, v123, v117
	s_set_vgpr_msb 5                        ;  msbs: dst=0 src0=1 src1=1 src2=0
	v_mul_i32_i24_e32 v117, v120 /*v376*/, v124 /*v380*/
	v_mul_i32_i24_e32 v123, v119 /*v375*/, v127 /*v383*/
	s_set_vgpr_msb 0x45                     ;  msbs: dst=1 src0=1 src1=1 src2=0
	v_bfe_u32 v127 /*v383*/, v192 /*v448*/, 8, 2
	v_bfe_u32 v119 /*v375*/, v192 /*v448*/, 16, 2
	;; [unrolled: 1-line block ×3, first 2 shown]
	v_add_nc_u32_e32 v192 /*v448*/, v87 /*v343*/, v85 /*v341*/
	s_set_vgpr_msb 0x41                     ;  msbs: dst=1 src0=1 src1=0 src2=0
	v_add3_u32 v194 /*v450*/, v229 /*v485*/, v123, v117
	s_set_vgpr_msb 4                        ;  msbs: dst=0 src0=0 src1=1 src2=0
	v_mul_i32_i24_e32 v117, v121, v58 /*v314*/
	v_mul_i32_i24_e32 v123, v214, v100 /*v356*/
	s_set_vgpr_msb 0x41                     ;  msbs: dst=1 src0=1 src1=0 src2=0
	v_add3_u32 v229 /*v485*/, v202 /*v458*/, v188, v191
	s_set_vgpr_msb 5                        ;  msbs: dst=0 src0=1 src1=1 src2=0
	v_mul_i32_i24_e32 v188, v86 /*v342*/, v92 /*v348*/
	v_mul_i32_i24_e32 v191, v157 /*v413*/, v6 /*v262*/
	s_set_vgpr_msb 0x45                     ;  msbs: dst=1 src0=1 src1=1 src2=0
	v_add_nc_u32_e32 v85 /*v341*/, v79 /*v335*/, v77 /*v333*/
	s_set_vgpr_msb 0x41                     ;  msbs: dst=1 src0=1 src1=0 src2=0
	v_add3_u32 v196 /*v452*/, v230 /*v486*/, v123, v117
	s_set_vgpr_msb 5                        ;  msbs: dst=0 src0=1 src1=1 src2=0
	v_mul_i32_i24_e32 v117, v102 /*v358*/, v116 /*v372*/
	v_mul_i32_i24_e32 v123, v101 /*v357*/, v115 /*v371*/
	s_set_vgpr_msb 0                        ;  msbs: dst=0 src0=0 src1=0 src2=0
	v_add3_u32 v216, v136, v191, v194
	s_set_vgpr_msb 1                        ;  msbs: dst=0 src0=1 src1=0 src2=0
	v_mul_i32_i24_e32 v136, v165 /*v421*/, v13
	s_set_vgpr_msb 0x45                     ;  msbs: dst=1 src0=1 src1=1 src2=0
	v_add_nc_u32_e32 v79 /*v335*/, v58 /*v314*/, v54 /*v310*/
	s_set_vgpr_msb 0x41                     ;  msbs: dst=1 src0=1 src1=0 src2=0
	v_mul_i32_i24_e32 v54 /*v310*/, v164 /*v420*/, v54
	v_add3_u32 v228 /*v484*/, v231 /*v487*/, v123, v117
	s_set_vgpr_msb 4                        ;  msbs: dst=0 src0=0 src1=1 src2=0
	v_mul_i32_i24_e32 v117, v65, v97 /*v353*/
	v_mul_i32_i24_e32 v123, v64, v87 /*v343*/
	s_set_vgpr_msb 0x41                     ;  msbs: dst=1 src0=1 src1=0 src2=0
	v_mul_i32_i24_e32 v58 /*v314*/, v164 /*v420*/, v42
	s_set_vgpr_msb 0x45                     ;  msbs: dst=1 src0=1 src1=1 src2=0
	v_dual_add_nc_u32 v100 /*v356*/, v100 /*v356*/, v99 /*v355*/ :: v_dual_bitop2_b32 v124 /*v380*/, 3, v177 /*v433*/ bitop3:0x40
	s_set_vgpr_msb 0x41                     ;  msbs: dst=1 src0=1 src1=0 src2=0
	v_mul_i32_i24_e32 v231 /*v487*/, v162 /*v418*/, v172
	s_set_vgpr_msb 1                        ;  msbs: dst=0 src0=1 src1=0 src2=0
	v_add3_u32 v199, v232 /*v488*/, v123, v117
	s_set_vgpr_msb 5                        ;  msbs: dst=0 src0=1 src1=1 src2=0
	v_mul_i32_i24_e32 v117, v93 /*v349*/, v116 /*v372*/
	v_mul_i32_i24_e32 v123, v86 /*v342*/, v115 /*v371*/
	s_set_vgpr_msb 0x41                     ;  msbs: dst=1 src0=1 src1=0 src2=0
	v_mul_i32_i24_e32 v232 /*v488*/, v162 /*v418*/, v180
	s_set_vgpr_msb 0x45                     ;  msbs: dst=1 src0=1 src1=1 src2=0
	v_mul_i32_i24_e32 v99 /*v355*/, v124 /*v380*/, v26 /*v282*/
	s_set_vgpr_msb 0x41                     ;  msbs: dst=1 src0=1 src1=0 src2=0
	v_add3_u32 v100 /*v356*/, v100 /*v356*/, v229, v54
	s_set_vgpr_msb 0x44                     ;  msbs: dst=1 src0=0 src1=1 src2=0
	v_and_b32_e32 v132 /*v388*/, 3, v132 /*v388*/
	s_set_vgpr_msb 1                        ;  msbs: dst=0 src0=1 src1=0 src2=0
	v_add3_u32 v200, v233 /*v489*/, v123, v117
	s_set_vgpr_msb 4                        ;  msbs: dst=0 src0=0 src1=1 src2=0
	v_mul_i32_i24_e32 v117, v66, v97 /*v353*/
	v_mul_i32_i24_e32 v123, v67, v87 /*v343*/
	s_set_vgpr_msb 0x41                     ;  msbs: dst=1 src0=1 src1=0 src2=0
	v_mul_i32_i24_e32 v233 /*v489*/, v163 /*v419*/, v176
	s_set_vgpr_msb 0x44                     ;  msbs: dst=1 src0=0 src1=1 src2=0
	v_and_b32_e32 v125 /*v381*/, 3, v125 /*v381*/
	v_and_b32_e32 v137 /*v393*/, 3, v137 /*v393*/
	s_set_vgpr_msb 1                        ;  msbs: dst=0 src0=1 src1=0 src2=0
	v_and_b32_e32 v177, 0xffff, v177
	v_add3_u32 v131, v234 /*v490*/, v123, v117
	s_set_vgpr_msb 5                        ;  msbs: dst=0 src0=1 src1=1 src2=0
	v_mul_i32_i24_e32 v117, v94 /*v350*/, v116 /*v372*/
	v_mul_i32_i24_e32 v123, v91 /*v347*/, v115 /*v371*/
	s_set_vgpr_msb 0x44                     ;  msbs: dst=1 src0=0 src1=1 src2=0
	v_lshrrev_b32_e32 v115 /*v371*/, 24, v177 /*v433*/
	s_set_vgpr_msb 0x41                     ;  msbs: dst=1 src0=1 src1=0 src2=0
	v_bfe_u32 v116 /*v372*/, v177 /*v433*/, 8, 2
	v_mul_i32_i24_e32 v234 /*v490*/, v163 /*v419*/, v181
	s_set_vgpr_msb 0                        ;  msbs: dst=0 src0=0 src1=0 src2=0
	v_mov_b32_e32 v14, v163
	s_set_vgpr_msb 1                        ;  msbs: dst=0 src0=1 src1=0 src2=0
	v_add3_u32 v201, v224 /*v480*/, v123, v117
	s_set_vgpr_msb 4                        ;  msbs: dst=0 src0=0 src1=1 src2=0
	v_mul_i32_i24_e32 v117, v121, v97 /*v353*/
	v_mul_i32_i24_e32 v123, v214, v87 /*v343*/
	s_set_vgpr_msb 0x45                     ;  msbs: dst=1 src0=1 src1=1 src2=0
	v_mul_i32_i24_e32 v77 /*v333*/, v116 /*v372*/, v23 /*v279*/
	v_and_b32_e32 v115 /*v371*/, 3, v115 /*v371*/
	s_set_vgpr_msb 0                        ;  msbs: dst=0 src0=0 src1=0 src2=0
	v_dual_mov_b32 v12, v162 :: v_dual_mov_b32 v20, v163
	s_set_vgpr_msb 1                        ;  msbs: dst=0 src0=1 src1=0 src2=0
	v_add3_u32 v202, v225 /*v481*/, v123, v117
	s_set_vgpr_msb 5                        ;  msbs: dst=0 src0=1 src1=1 src2=0
	v_mul_i32_i24_e32 v117, v102 /*v358*/, v114 /*v370*/
	v_mul_i32_i24_e32 v123, v101 /*v357*/, v113 /*v369*/
	s_set_vgpr_msb 0                        ;  msbs: dst=0 src0=0 src1=0 src2=0
	v_dual_mov_b32 v0, v157 :: v_dual_mov_b32 v1, v156
	v_dual_mov_b32 v10, v161 :: v_dual_mov_b32 v16, v161
	s_set_vgpr_msb 1                        ;  msbs: dst=0 src0=1 src1=0 src2=0
	v_add3_u32 v212, v226 /*v482*/, v123, v117
	s_set_vgpr_msb 5                        ;  msbs: dst=0 src0=1 src1=1 src2=0
	v_mul_i32_i24_e32 v117, v93 /*v349*/, v114 /*v370*/
	v_mul_i32_i24_e32 v123, v86 /*v342*/, v113 /*v369*/
	s_set_vgpr_msb 0                        ;  msbs: dst=0 src0=0 src1=0 src2=0
	v_dual_mov_b32 v6, v151 :: v_dual_mov_b32 v7, v149
	v_dual_mov_b32 v2, v156 :: v_dual_mov_b32 v3, v149
	s_set_vgpr_msb 1                        ;  msbs: dst=0 src0=1 src1=0 src2=0
	v_add3_u32 v127, v227 /*v483*/, v123, v117
	s_set_vgpr_msb 5                        ;  msbs: dst=0 src0=1 src1=1 src2=0
	v_mul_i32_i24_e32 v117, v91 /*v347*/, v113 /*v369*/
	v_mul_i32_i24_e32 v123, v94 /*v350*/, v114 /*v370*/
	s_set_vgpr_msb 0x44                     ;  msbs: dst=1 src0=0 src1=1 src2=0
	v_lshrrev_b32_e32 v114 /*v370*/, 16, v177 /*v433*/
	s_set_vgpr_msb 0x41                     ;  msbs: dst=1 src0=1 src1=0 src2=0
	v_mul_i32_i24_e32 v177 /*v433*/, v162 /*v418*/, v229
	s_set_vgpr_msb 64                       ;  msbs: dst=1 src0=0 src1=0 src2=0
	v_mul_i32_i24_e32 v113 /*v369*/, v171, v40
	s_set_vgpr_msb 0                        ;  msbs: dst=0 src0=0 src1=0 src2=0
	v_mov_b32_e32 v152, v157
	s_set_vgpr_msb 1                        ;  msbs: dst=0 src0=1 src1=0 src2=0
	v_add3_u32 v197, v223 /*v479*/, v117, v123
	s_set_vgpr_msb 5                        ;  msbs: dst=0 src0=1 src1=1 src2=0
	v_mul_i32_i24_e32 v117, v101 /*v357*/, v117 /*v373*/
	v_mul_i32_i24_e32 v123, v94 /*v350*/, v118 /*v374*/
	s_set_vgpr_msb 0x44                     ;  msbs: dst=1 src0=0 src1=1 src2=0
	v_and_b32_e32 v114 /*v370*/, 3, v114 /*v370*/
	s_set_vgpr_msb 0                        ;  msbs: dst=0 src0=0 src1=0 src2=0
	v_dual_mov_b32 v150, v149 :: v_dual_mov_b32 v155, v148
	s_set_vgpr_msb 1                        ;  msbs: dst=0 src0=1 src1=0 src2=0
	v_add3_u32 v198, v220 /*v476*/, v117, v125
	s_set_vgpr_msb 5                        ;  msbs: dst=0 src0=1 src1=1 src2=0
	v_mul_i32_i24_e32 v125, v91 /*v347*/, v117 /*v373*/
	v_mul_i32_i24_e32 v117, v86 /*v342*/, v117 /*v373*/
	s_set_vgpr_msb 0x45                     ;  msbs: dst=1 src0=1 src1=1 src2=0
	v_add_nc_u32_e32 v117 /*v373*/, v97 /*v353*/, v95 /*v351*/
	s_set_vgpr_msb 0x41                     ;  msbs: dst=1 src0=1 src1=0 src2=0
	v_mul_i32_i24_e32 v95 /*v351*/, v166 /*v422*/, v250
	s_set_vgpr_msb 0                        ;  msbs: dst=0 src0=0 src1=0 src2=0
	v_mov_b32_e32 v159, v153
	s_set_vgpr_msb 1                        ;  msbs: dst=0 src0=1 src1=0 src2=0
	v_add3_u32 v196, v222 /*v478*/, v125, v123
	s_set_vgpr_msb 4                        ;  msbs: dst=0 src0=0 src1=1 src2=0
	v_mul_i32_i24_e32 v123, v65, v78 /*v334*/
	v_mul_i32_i24_e32 v125, v64, v75 /*v331*/
	s_set_vgpr_msb 1                        ;  msbs: dst=0 src0=1 src1=0 src2=0
	v_add3_u32 v195, v221 /*v477*/, v117, v126
	s_set_vgpr_msb 4                        ;  msbs: dst=0 src0=0 src1=1 src2=0
	v_mul_i32_i24_e32 v126, v66, v78 /*v334*/
	v_mul_i32_i24_e32 v117, v65, v52 /*v308*/
	v_mov_b32_e32 v8, v153
	s_set_vgpr_msb 1                        ;  msbs: dst=0 src0=1 src1=0 src2=0
	v_add3_u32 v213, v219 /*v475*/, v125, v123
	s_set_vgpr_msb 4                        ;  msbs: dst=0 src0=0 src1=1 src2=0
	v_mul_i32_i24_e32 v123, v67, v75 /*v331*/
	s_set_vgpr_msb 5                        ;  msbs: dst=0 src0=1 src1=1 src2=0
	v_mul_i32_i24_e32 v125, v102 /*v358*/, v112 /*v368*/
	s_set_vgpr_msb 0                        ;  msbs: dst=0 src0=0 src1=0 src2=0
	v_mov_b32_e32 v9, v158
	s_add_co_i32 s15, s15, 2
	s_set_vgpr_msb 0x41                     ;  msbs: dst=1 src0=1 src1=0 src2=0
	v_add3_u32 v118 /*v374*/, v218 /*v474*/, v123, v126
	s_set_vgpr_msb 4                        ;  msbs: dst=0 src0=0 src1=1 src2=0
	v_mul_i32_i24_e32 v123, v121, v78 /*v334*/
	v_mul_i32_i24_e32 v126, v214, v75 /*v331*/
	s_set_vgpr_msb 0x41                     ;  msbs: dst=1 src0=1 src1=0 src2=0
	v_add3_u32 v218 /*v474*/, v208 /*v464*/, v143, v145
	s_set_vgpr_msb 5                        ;  msbs: dst=0 src0=1 src1=1 src2=0
	v_mul_i32_i24_e32 v143, v101 /*v357*/, v107 /*v363*/
	v_mul_i32_i24_e32 v145, v102 /*v358*/, v108 /*v364*/
	s_set_vgpr_msb 0x41                     ;  msbs: dst=1 src0=1 src1=0 src2=0
	v_add3_u32 v215 /*v471*/, v215 /*v471*/, v129, v125
	v_add3_u32 v216 /*v472*/, v216 /*v472*/, v126, v123
	s_set_vgpr_msb 4                        ;  msbs: dst=0 src0=0 src1=1 src2=0
	v_mul_i32_i24_e32 v126, v64, v42 /*v298*/
	v_mul_i32_i24_e32 v125, v65, v67 /*v323*/
	s_set_vgpr_msb 0x41                     ;  msbs: dst=1 src0=1 src1=0 src2=0
	v_add3_u32 v220 /*v476*/, v210 /*v466*/, v143, v145
	s_set_vgpr_msb 4                        ;  msbs: dst=0 src0=0 src1=1 src2=0
	v_mul_i32_i24_e32 v143, v65, v47 /*v303*/
	v_mul_i32_i24_e32 v145, v64, v36 /*v292*/
	s_set_vgpr_msb 0x41                     ;  msbs: dst=1 src0=1 src1=0 src2=0
	v_add3_u32 v217 /*v473*/, v217 /*v473*/, v126, v117
	s_set_vgpr_msb 5                        ;  msbs: dst=0 src0=1 src1=1 src2=0
	v_mul_i32_i24_e32 v117, v93 /*v349*/, v112 /*v368*/
	v_mul_i32_i24_e32 v126, v86 /*v342*/, v111 /*v367*/
	s_set_vgpr_msb 4                        ;  msbs: dst=0 src0=0 src1=1 src2=0
	v_mul_i32_i24_e32 v129, v64, v65 /*v321*/
	s_set_vgpr_msb 0x41                     ;  msbs: dst=1 src0=1 src1=0 src2=0
	v_add3_u32 v222 /*v478*/, v212 /*v468*/, v145, v143
	s_set_vgpr_msb 4                        ;  msbs: dst=0 src0=0 src1=1 src2=0
	v_mul_i32_i24_e32 v143, v121, v47 /*v303*/
	v_mul_i32_i24_e32 v145, v214, v36 /*v292*/
	s_set_vgpr_msb 0x41                     ;  msbs: dst=1 src0=1 src1=0 src2=0
	v_add3_u32 v223 /*v479*/, v206 /*v462*/, v126, v117
	s_set_vgpr_msb 4                        ;  msbs: dst=0 src0=0 src1=1 src2=0
	v_mul_i32_i24_e32 v117, v66, v52 /*v308*/
	v_mul_i32_i24_e32 v126, v67, v42 /*v298*/
	s_set_vgpr_msb 0x41                     ;  msbs: dst=1 src0=1 src1=0 src2=0
	v_add3_u32 v200 /*v456*/, v200 /*v456*/, v129, v125
	v_add3_u32 v210 /*v466*/, v214 /*v470*/, v145, v143
	s_set_vgpr_msb 4                        ;  msbs: dst=0 src0=0 src1=1 src2=0
	v_mul_i32_i24_e32 v145, v64, v40 /*v296*/
	v_mul_i32_i24_e32 v143, v67, v40 /*v296*/
	s_set_vgpr_msb 0x41                     ;  msbs: dst=1 src0=1 src1=0 src2=0
	v_add3_u32 v224 /*v480*/, v207 /*v463*/, v126, v117
	s_set_vgpr_msb 4                        ;  msbs: dst=0 src0=0 src1=1 src2=0
	v_mul_i32_i24_e32 v117, v121, v52 /*v308*/
	v_mul_i32_i24_e32 v126, v214, v42 /*v298*/
	;; [unrolled: 1-line block ×3, first 2 shown]
	s_set_vgpr_msb 5                        ;  msbs: dst=0 src0=1 src1=1 src2=0
	v_mul_i32_i24_e32 v125, v93 /*v349*/, v90 /*v346*/
	v_mul_i32_i24_e32 v129, v102 /*v358*/, v90 /*v346*/
	;; [unrolled: 1-line block ×3, first 2 shown]
	s_set_vgpr_msb 0x41                     ;  msbs: dst=1 src0=1 src1=0 src2=0
	v_add3_u32 v219 /*v475*/, v209 /*v465*/, v126, v117
	s_set_vgpr_msb 5                        ;  msbs: dst=0 src0=1 src1=1 src2=0
	v_mul_i32_i24_e32 v117, v86 /*v342*/, v107 /*v363*/
	v_mul_i32_i24_e32 v126, v93 /*v349*/, v108 /*v364*/
	s_set_vgpr_msb 1                        ;  msbs: dst=0 src0=1 src1=0 src2=0
	v_add3_u32 v215, v197 /*v453*/, v188, v125
	s_set_vgpr_msb 5                        ;  msbs: dst=0 src0=1 src1=1 src2=0
	v_mul_i32_i24_e32 v188, v91 /*v347*/, v92 /*v348*/
	s_set_vgpr_msb 0x41                     ;  msbs: dst=1 src0=1 src1=0 src2=0
	v_add3_u32 v180 /*v436*/, v180 /*v436*/, v139, v123
	s_set_vgpr_msb 5                        ;  msbs: dst=0 src0=1 src1=1 src2=0
	v_mul_i32_i24_e32 v139, v159 /*v415*/, v4 /*v260*/
	s_set_vgpr_msb 0x41                     ;  msbs: dst=1 src0=1 src1=0 src2=0
	v_add3_u32 v221 /*v477*/, v211 /*v467*/, v117, v126
	s_set_vgpr_msb 4                        ;  msbs: dst=0 src0=0 src1=1 src2=0
	v_mul_i32_i24_e32 v117, v66, v47 /*v303*/
	v_mul_i32_i24_e32 v126, v67, v36 /*v292*/
	;; [unrolled: 1-line block ×3, first 2 shown]
	s_set_vgpr_msb 0x45                     ;  msbs: dst=1 src0=1 src1=1 src2=0
	v_add_nc_u32_e32 v75 /*v331*/, v75 /*v331*/, v72 /*v328*/
	v_add_nc_u32_e32 v90 /*v346*/, v46 /*v302*/, v44 /*v300*/
	s_set_vgpr_msb 5                        ;  msbs: dst=0 src0=1 src1=1 src2=0
	v_add_nc_u32_e32 v123, v39 /*v295*/, v37 /*v293*/
	s_set_vgpr_msb 0x41                     ;  msbs: dst=1 src0=1 src1=0 src2=0
	v_add3_u32 v208 /*v464*/, v213 /*v469*/, v126, v117
	s_set_vgpr_msb 4                        ;  msbs: dst=0 src0=0 src1=1 src2=0
	v_mul_i32_i24_e32 v117, v65, v48 /*v304*/
	v_mul_i32_i24_e32 v126, v66, v48 /*v304*/
	;; [unrolled: 1-line block ×4, first 2 shown]
	s_set_vgpr_msb 0x41                     ;  msbs: dst=1 src0=1 src1=0 src2=0
	v_mul_i32_i24_e32 v39 /*v295*/, v166 /*v422*/, v226
	v_add3_u32 v214 /*v470*/, v205 /*v461*/, v145, v117
	s_set_vgpr_msb 5                        ;  msbs: dst=0 src0=1 src1=1 src2=0
	v_mul_i32_i24_e32 v117, v94 /*v350*/, v108 /*v364*/
	s_set_vgpr_msb 0x41                     ;  msbs: dst=1 src0=1 src1=0 src2=0
	v_add3_u32 v204 /*v460*/, v204 /*v460*/, v143, v126
	s_set_vgpr_msb 5                        ;  msbs: dst=0 src0=1 src1=1 src2=0
	v_mul_i32_i24_e32 v126, v101 /*v357*/, v69 /*v325*/
	v_mul_i32_i24_e32 v145, v102 /*v358*/, v71 /*v327*/
	s_set_vgpr_msb 0x41                     ;  msbs: dst=1 src0=1 src1=0 src2=0
	v_add3_u32 v226 /*v482*/, v188 /*v444*/, v64, v65
	v_add3_u32 v225 /*v481*/, v203 /*v459*/, v190, v117
	s_set_vgpr_msb 5                        ;  msbs: dst=0 src0=1 src1=1 src2=0
	v_add_nc_u32_e32 v190, v84 /*v340*/, v82 /*v338*/
	s_set_vgpr_msb 0x41                     ;  msbs: dst=1 src0=1 src1=0 src2=0
	v_add3_u32 v227 /*v483*/, v187 /*v443*/, v67, v66
	v_add3_u32 v230 /*v486*/, v201 /*v457*/, v126, v145
	s_set_vgpr_msb 5                        ;  msbs: dst=0 src0=1 src1=1 src2=0
	v_mul_i32_i24_e32 v145, v101 /*v357*/, v92 /*v348*/
	s_set_vgpr_msb 4                        ;  msbs: dst=0 src0=0 src1=1 src2=0
	v_mul_i32_i24_e32 v64, v214, v53 /*v309*/
	s_set_vgpr_msb 0x44                     ;  msbs: dst=1 src0=0 src1=1 src2=0
	v_add3_u32 v97 /*v353*/, v190, v6 /*v262*/, v222
	s_set_vgpr_msb 5                        ;  msbs: dst=0 src0=1 src1=1 src2=0
	v_dual_lshrrev_b32 v190, 4, v183 /*v439*/ :: v_dual_add_nc_u32 v65, v63 /*v319*/, v62 /*v318*/
	v_add_nc_u32_e32 v214, v48 /*v304*/, v45 /*v301*/
	s_set_vgpr_msb 4                        ;  msbs: dst=0 src0=0 src1=1 src2=0
	v_mul_i32_i24_e32 v66, v121, v61 /*v317*/
	s_set_vgpr_msb 0x41                     ;  msbs: dst=1 src0=1 src1=0 src2=0
	v_add3_u32 v236 /*v492*/, v198 /*v454*/, v145, v129
	s_set_vgpr_msb 0                        ;  msbs: dst=0 src0=0 src1=0 src2=0
	v_mul_lo_u32 v129, 0x1010101, v190
	s_set_vgpr_msb 4                        ;  msbs: dst=0 src0=0 src1=1 src2=0
	v_mul_i32_i24_e32 v190, v121, v67 /*v323*/
	v_add3_u32 v121, v65, v19 /*v275*/, v235
	s_set_vgpr_msb 5                        ;  msbs: dst=0 src0=1 src1=1 src2=0
	v_mul_i32_i24_e32 v65, v25 /*v281*/, v34 /*v290*/
	s_set_vgpr_msb 0x41                     ;  msbs: dst=1 src0=1 src1=0 src2=0
	v_add3_u32 v182 /*v438*/, v182 /*v438*/, v64, v66
	s_set_vgpr_msb 5                        ;  msbs: dst=0 src0=1 src1=1 src2=0
	v_mul_i32_i24_e32 v64, v165 /*v421*/, v24 /*v280*/
	v_dual_lshrrev_b32 v145, 4, v186 /*v442*/ :: v_dual_add_nc_u32 v67, v59 /*v315*/, v55 /*v311*/
	s_set_vgpr_msb 0x41                     ;  msbs: dst=1 src0=1 src1=0 src2=0
	v_add3_u32 v186 /*v442*/, v195 /*v451*/, v188, v141
	s_set_vgpr_msb 5                        ;  msbs: dst=0 src0=1 src1=1 src2=0
	v_mul_i32_i24_e32 v141, v93 /*v349*/, v71 /*v327*/
	s_set_vgpr_msb 0x41                     ;  msbs: dst=1 src0=1 src1=0 src2=0
	v_add3_u32 v181 /*v437*/, v181 /*v437*/, v65, v64
	s_set_vgpr_msb 5                        ;  msbs: dst=0 src0=1 src1=1 src2=0
	v_mul_i32_i24_e32 v65, v165 /*v421*/, v9 /*v265*/
	v_mul_i32_i24_e32 v66, v159 /*v415*/, v8 /*v264*/
	s_set_vgpr_msb 64                       ;  msbs: dst=1 src0=0 src1=0 src2=0
	v_mul_lo_u32 v183 /*v439*/, 0x1010101, v145
	s_set_vgpr_msb 5                        ;  msbs: dst=0 src0=1 src1=1 src2=0
	v_mul_i32_i24_e32 v145, v91 /*v347*/, v69 /*v325*/
	v_mul_i32_i24_e32 v188, v94 /*v350*/, v71 /*v327*/
	s_set_vgpr_msb 0x41                     ;  msbs: dst=1 src0=1 src1=0 src2=0
	v_add3_u32 v197 /*v453*/, v193 /*v449*/, v208, v141
	s_set_vgpr_msb 5                        ;  msbs: dst=0 src0=1 src1=1 src2=0
	v_mul_i32_i24_e32 v64, v165 /*v421*/, v3 /*v259*/
	s_set_vgpr_msb 1                        ;  msbs: dst=0 src0=1 src1=0 src2=0
	v_add3_u32 v141, v176 /*v432*/, v66, v65
	s_set_vgpr_msb 5                        ;  msbs: dst=0 src0=1 src1=1 src2=0
	v_mul_i32_i24_e32 v66, v159 /*v415*/, v2 /*v258*/
	v_mul_i32_i24_e32 v143, v160 /*v416*/, v11 /*v267*/
	s_set_vgpr_msb 0x41                     ;  msbs: dst=1 src0=1 src1=0 src2=0
	v_add3_u32 v201 /*v457*/, v189 /*v445*/, v145, v188
	s_set_vgpr_msb 1                        ;  msbs: dst=0 src0=1 src1=0 src2=0
	v_mul_i32_i24_e32 v208, v157 /*v413*/, v254
	s_set_vgpr_msb 0x41                     ;  msbs: dst=1 src0=1 src1=0 src2=0
	v_add3_u32 v202 /*v458*/, v191 /*v447*/, v209, v190
	s_set_vgpr_msb 1                        ;  msbs: dst=0 src0=1 src1=0 src2=0
	v_add3_u32 v145, v174 /*v430*/, v66, v64
	s_set_vgpr_msb 5                        ;  msbs: dst=0 src0=1 src1=1 src2=0
	v_mul_i32_i24_e32 v66, v165 /*v421*/, v5 /*v261*/
	v_mul_i32_i24_e32 v65, v160 /*v416*/, v15 /*v271*/
	s_set_vgpr_msb 1                        ;  msbs: dst=0 src0=1 src1=0 src2=0
	v_add3_u32 v188, v175 /*v431*/, v147, v143
	s_set_vgpr_msb 5                        ;  msbs: dst=0 src0=1 src1=1 src2=0
	v_mul_i32_i24_e32 v147, v159 /*v415*/, v12 /*v268*/
	s_set_vgpr_msb 1                        ;  msbs: dst=0 src0=1 src1=0 src2=0
	v_mul_i32_i24_e32 v190, v159 /*v415*/, v253
	s_set_vgpr_msb 0x41                     ;  msbs: dst=1 src0=1 src1=0 src2=0
	v_add3_u32 v173 /*v429*/, v173 /*v429*/, v139, v66
	s_set_vgpr_msb 5                        ;  msbs: dst=0 src0=1 src1=1 src2=0
	v_mul_i32_i24_e32 v139, v165 /*v421*/, v13 /*v269*/
	s_set_vgpr_msb 0x41                     ;  msbs: dst=1 src0=1 src1=0 src2=0
	v_add3_u32 v198 /*v454*/, v190 /*v446*/, v203, v204
	s_set_vgpr_msb 16                       ;  msbs: dst=0 src0=0 src1=0 src2=1
	v_add3_u32 v203, v128, v208, v74 /*v330*/
	s_set_vgpr_msb 0                        ;  msbs: dst=0 src0=0 src1=0 src2=0
	v_add3_u32 v194, v124, v190, v136
	s_set_vgpr_msb 0x44                     ;  msbs: dst=1 src0=0 src1=1 src2=0
	v_add3_u32 v102 /*v358*/, v193, v1 /*v257*/, v230
	s_set_vgpr_msb 0                        ;  msbs: dst=0 src0=0 src1=0 src2=0
	v_add3_u32 v190, v130, v147, v139
	s_set_vgpr_msb 5                        ;  msbs: dst=0 src0=1 src1=1 src2=0
	v_mul_i32_i24_e32 v130, v157 /*v413*/, v18 /*v274*/
	v_mul_i32_i24_e32 v208, v160 /*v416*/, v19 /*v275*/
	s_set_vgpr_msb 0                        ;  msbs: dst=0 src0=0 src1=0 src2=0
	v_add3_u32 v204, v120, v137, v65
	v_add3_u32 v193, v118, v206, v207
	s_set_vgpr_msb 5                        ;  msbs: dst=0 src0=1 src1=1 src2=0
	v_bfe_i32 v65, v49 /*v305*/, 0, 8
	v_mul_i32_i24_e32 v206, v159 /*v415*/, v21 /*v277*/
	v_mul_i32_i24_e32 v209, v165 /*v421*/, v244 /*v500*/
	s_set_vgpr_msb 0x41                     ;  msbs: dst=1 src0=1 src1=0 src2=0
	v_bfe_i32 v195 /*v451*/, v183 /*v439*/, 0, 8
	v_bfe_i32 v74 /*v330*/, v183 /*v439*/, 8, 8
	s_set_vgpr_msb 1                        ;  msbs: dst=0 src0=1 src1=0 src2=0
	v_mul_i32_i24_e32 v118, v157 /*v413*/, v255
	s_set_vgpr_msb 0                        ;  msbs: dst=0 src0=0 src1=0 src2=0
	v_add3_u32 v207, v112, v130, v208
	s_set_vgpr_msb 1                        ;  msbs: dst=0 src0=1 src1=0 src2=0
	v_mul_i32_i24_e32 v130, v160 /*v416*/, v65
	s_set_vgpr_msb 0                        ;  msbs: dst=0 src0=0 src1=0 src2=0
	v_add3_u32 v209, v108, v206, v209
	s_set_vgpr_msb 4                        ;  msbs: dst=0 src0=0 src1=1 src2=0
	v_add3_u32 v108, v205, v0 /*v256*/, v236
	s_set_vgpr_msb 1                        ;  msbs: dst=0 src0=1 src1=0 src2=0
	v_mul_i32_i24_e32 v143, v165 /*v421*/, v21
	v_mul_i32_i24_e32 v124, v159 /*v415*/, v22
	s_set_vgpr_msb 5                        ;  msbs: dst=0 src0=1 src1=1 src2=0
	v_mul_i32_i24_e32 v120, v102 /*v358*/, v74 /*v330*/
	s_set_vgpr_msb 0                        ;  msbs: dst=0 src0=0 src1=0 src2=0
	v_add3_u32 v208, v110, v118, v130
	s_set_vgpr_msb 4                        ;  msbs: dst=0 src0=0 src1=1 src2=0
	v_mul_i32_i24_e32 v110, v108, v195 /*v451*/
	s_set_vgpr_msb 0x41                     ;  msbs: dst=1 src0=1 src1=0 src2=0
	v_mul_i32_i24_e32 v82 /*v338*/, v166 /*v422*/, v236
	s_set_vgpr_msb 64                       ;  msbs: dst=1 src0=0 src1=0 src2=0
	v_bfe_i32 v203 /*v459*/, v129, 0, 8
	s_set_vgpr_msb 0x45                     ;  msbs: dst=1 src0=1 src1=1 src2=0
	v_dual_add_nc_u32 v71 /*v327*/, v67 /*v323*/, v66 /*v322*/ :: v_dual_add_nc_u32 v69 /*v325*/, v65 /*v321*/, v64 /*v320*/
	v_mul_i32_i24_e32 v65 /*v321*/, v166 /*v422*/, v26 /*v282*/
	v_mul_i32_i24_e32 v66 /*v322*/, v166 /*v422*/, v28 /*v284*/
	s_set_vgpr_msb 0x41                     ;  msbs: dst=1 src0=1 src1=0 src2=0
	v_mul_i32_i24_e32 v62 /*v318*/, v166 /*v422*/, v222
	s_set_vgpr_msb 0x45                     ;  msbs: dst=1 src0=1 src1=1 src2=0
	v_add_nc_u32_e32 v63 /*v319*/, v52 /*v308*/, v51 /*v307*/
	s_set_vgpr_msb 64                       ;  msbs: dst=1 src0=0 src1=0 src2=0
	v_bfe_i32 v73 /*v329*/, v129, 8, 8
	s_set_vgpr_msb 0x45                     ;  msbs: dst=1 src0=1 src1=1 src2=0
	v_add_nc_u32_e32 v166 /*v422*/, v40 /*v296*/, v38 /*v294*/
	s_set_vgpr_msb 0                        ;  msbs: dst=0 src0=0 src1=0 src2=0
	v_add3_u32 v191, v122, v124, v143
	s_set_vgpr_msb 5                        ;  msbs: dst=0 src0=1 src1=1 src2=0
	v_dual_add_nc_u32 v122, v53 /*v309*/, v50 /*v306*/ :: v_dual_lshrrev_b32 v124, 4, v172 /*v428*/
	s_set_vgpr_msb 0                        ;  msbs: dst=0 src0=0 src1=0 src2=0
	v_add3_u32 v205, v138, v110, v120
	s_set_vgpr_msb 5                        ;  msbs: dst=0 src0=1 src1=1 src2=0
	v_add3_u32 v110, v90 /*v346*/, v18 /*v274*/, v234
	s_set_vgpr_msb 0x44                     ;  msbs: dst=1 src0=0 src1=1 src2=0
	v_mul_i32_i24_e32 v80 /*v336*/, v121, v73 /*v329*/
	s_set_vgpr_msb 4                        ;  msbs: dst=0 src0=0 src1=1 src2=0
	v_add3_u32 v118, v210, v20 /*v276*/, v251
	s_set_vgpr_msb 0                        ;  msbs: dst=0 src0=0 src1=0 src2=0
	v_mul_lo_u32 v206, 0x1010101, v124
	s_set_vgpr_msb 0x45                     ;  msbs: dst=1 src0=1 src1=1 src2=0
	v_mul_i32_i24_e32 v89 /*v345*/, v179 /*v435*/, v203 /*v459*/
	s_set_vgpr_msb 4                        ;  msbs: dst=0 src0=0 src1=1 src2=0
	v_mul_i32_i24_e32 v124, v110, v203 /*v459*/
	v_add3_u32 v120, v211, v11 /*v267*/, v225
	s_set_vgpr_msb 0x45                     ;  msbs: dst=1 src0=1 src1=1 src2=0
	v_mul_i32_i24_e32 v87 /*v343*/, v88 /*v344*/, v203 /*v459*/
	v_mul_i32_i24_e32 v86 /*v342*/, v179 /*v435*/, v195 /*v451*/
	;; [unrolled: 1-line block ×3, first 2 shown]
	s_set_vgpr_msb 16                       ;  msbs: dst=0 src0=0 src1=0 src2=1
	v_add3_u32 v210, v116, v124, v80 /*v336*/
	s_set_vgpr_msb 4                        ;  msbs: dst=0 src0=0 src1=1 src2=0
	v_mul_i32_i24_e32 v116, v118, v73 /*v329*/
	s_set_vgpr_msb 5                        ;  msbs: dst=0 src0=1 src1=1 src2=0
	v_add_nc_u32_e32 v66, v36 /*v292*/, v35 /*v291*/
	s_set_vgpr_msb 0x44                     ;  msbs: dst=1 src0=0 src1=1 src2=0
	v_add3_u32 v107 /*v363*/, v123, v15 /*v271*/, v238
	v_bfe_i32 v80 /*v336*/, v206, 8, 8
	s_set_vgpr_msb 0x45                     ;  msbs: dst=1 src0=1 src1=1 src2=0
	v_add_nc_u32_e32 v78 /*v334*/, v78 /*v334*/, v76 /*v332*/
	s_set_vgpr_msb 0x44                     ;  msbs: dst=1 src0=0 src1=1 src2=0
	v_add3_u32 v108 /*v364*/, v88, v89 /*v345*/, v116
	s_set_vgpr_msb 4                        ;  msbs: dst=0 src0=0 src1=1 src2=0
	v_mul_i32_i24_e32 v88, v120, v73 /*v329*/
	v_bfe_i32 v116, v206, 0, 8
	s_set_vgpr_msb 5                        ;  msbs: dst=0 src0=1 src1=1 src2=0
	v_mul_i32_i24_e32 v124, v102 /*v358*/, v80 /*v336*/
	v_dual_add_nc_u32 v136, v61 /*v317*/, v56 /*v312*/ :: v_dual_lshrrev_b32 v112, 4, v171 /*v427*/
	s_set_vgpr_msb 0x44                     ;  msbs: dst=1 src0=0 src1=1 src2=0
	v_add3_u32 v111 /*v367*/, v146, v87 /*v343*/, v88
	s_set_vgpr_msb 4                        ;  msbs: dst=0 src0=0 src1=1 src2=0
	v_mul_i32_i24_e32 v88, v118, v74 /*v330*/
	s_set_vgpr_msb 0x45                     ;  msbs: dst=1 src0=1 src1=1 src2=0
	v_add3_u32 v105 /*v361*/, v85 /*v341*/, v7 /*v263*/, v224
	s_set_vgpr_msb 5                        ;  msbs: dst=0 src0=1 src1=1 src2=0
	v_mul_i32_i24_e32 v125, v97 /*v353*/, v203 /*v459*/
	v_dual_add_nc_u32 v64, v47 /*v303*/, v43 /*v299*/ :: v_dual_add_nc_u32 v128, v60 /*v316*/, v57 /*v313*/
	s_set_vgpr_msb 4                        ;  msbs: dst=0 src0=0 src1=1 src2=0
	v_add3_u32 v146, v104, v86 /*v342*/, v88
	v_mul_i32_i24_e32 v88, v120, v74 /*v330*/
	s_set_vgpr_msb 0                        ;  msbs: dst=0 src0=0 src1=0 src2=0
	v_mul_i32_i24_e32 v104, v108, v116
	s_set_vgpr_msb 64                       ;  msbs: dst=1 src0=0 src1=0 src2=0
	v_add3_u32 v86 /*v342*/, v122, v63, v39
	s_set_vgpr_msb 0x41                     ;  msbs: dst=1 src0=1 src1=0 src2=0
	v_mul_i32_i24_e32 v64 /*v320*/, v164 /*v420*/, v33
	v_mul_i32_i24_e32 v34 /*v290*/, v164 /*v420*/, v28
	s_set_vgpr_msb 0x44                     ;  msbs: dst=1 src0=0 src1=1 src2=0
	v_add3_u32 v84 /*v340*/, v84, v84 /*v340*/, v88
	s_set_vgpr_msb 4                        ;  msbs: dst=0 src0=0 src1=1 src2=0
	v_mul_i32_i24_e32 v88, v120, v80 /*v336*/
	s_set_vgpr_msb 64                       ;  msbs: dst=1 src0=0 src1=0 src2=0
	v_add3_u32 v112 /*v368*/, v114, v104, v124
	s_set_vgpr_msb 1                        ;  msbs: dst=0 src0=1 src1=0 src2=0
	v_mul_i32_i24_e32 v114, v88 /*v344*/, v116
	s_set_vgpr_msb 0                        ;  msbs: dst=0 src0=0 src1=0 src2=0
	v_mul_i32_i24_e32 v104, v105, v144
	s_set_vgpr_msb 4                        ;  msbs: dst=0 src0=0 src1=1 src2=0
	v_mul_i32_i24_e32 v84, v108, v203 /*v459*/
	s_set_vgpr_msb 0x41                     ;  msbs: dst=1 src0=1 src1=0 src2=0
	v_mul_i32_i24_e32 v35 /*v291*/, v164 /*v420*/, v44
	v_mul_i32_i24_e32 v36 /*v292*/, v164 /*v420*/, v45
	s_set_vgpr_msb 0                        ;  msbs: dst=0 src0=0 src1=0 src2=0
	v_add3_u32 v211, v106, v114, v88
	s_set_vgpr_msb 4                        ;  msbs: dst=0 src0=0 src1=1 src2=0
	v_add3_u32 v114, v67, v14 /*v270*/, v226
	s_set_vgpr_msb 0                        ;  msbs: dst=0 src0=0 src1=0 src2=0
	v_mul_i32_i24_e32 v106, v105, v113
	s_set_vgpr_msb 1                        ;  msbs: dst=0 src0=1 src1=0 src2=0
	v_mul_i32_i24_e32 v113, v255 /*v511*/, v109
	s_set_vgpr_msb 5                        ;  msbs: dst=0 src0=1 src1=1 src2=0
	v_mul_i32_i24_e32 v109, v97 /*v353*/, v195 /*v451*/
	s_set_vgpr_msb 1                        ;  msbs: dst=0 src0=1 src1=0 src2=0
	v_mul_i32_i24_e32 v88, v97 /*v353*/, v116
	s_set_vgpr_msb 4                        ;  msbs: dst=0 src0=0 src1=1 src2=0
	v_mul_i32_i24_e32 v67, v114, v203 /*v459*/
	s_set_vgpr_msb 0x41                     ;  msbs: dst=1 src0=1 src1=0 src2=0
	v_mul_i32_i24_e32 v37 /*v293*/, v164 /*v420*/, v26
	v_mul_i32_i24_e32 v38 /*v294*/, v164 /*v420*/, v39
	v_add3_u32 v91 /*v347*/, v167 /*v423*/, v106, v109
	s_set_vgpr_msb 5                        ;  msbs: dst=0 src0=1 src1=1 src2=0
	v_mul_i32_i24_e32 v106, v107 /*v363*/, v74 /*v330*/
	s_set_vgpr_msb 0x41                     ;  msbs: dst=1 src0=1 src1=0 src2=0
	v_add3_u32 v92 /*v348*/, v168 /*v424*/, v113, v67
	s_set_vgpr_msb 4                        ;  msbs: dst=0 src0=0 src1=1 src2=0
	v_mul_i32_i24_e32 v67, v114, v195 /*v451*/
	s_set_vgpr_msb 0x41                     ;  msbs: dst=1 src0=1 src1=0 src2=0
	v_add3_u32 v61 /*v317*/, v170 /*v426*/, v104, v88
	s_set_vgpr_msb 5                        ;  msbs: dst=0 src0=1 src1=1 src2=0
	v_mul_i32_i24_e32 v88, v102 /*v358*/, v73 /*v329*/
	s_set_vgpr_msb 4                        ;  msbs: dst=0 src0=0 src1=1 src2=0
	v_mul_i32_i24_e32 v104, v121, v74 /*v330*/
	s_set_vgpr_msb 1                        ;  msbs: dst=0 src0=1 src1=0 src2=0
	v_mul_i32_i24_e32 v117, v163 /*v419*/, v240
	s_set_vgpr_msb 64                       ;  msbs: dst=1 src0=0 src1=0 src2=0
	v_add3_u32 v87 /*v343*/, v192, v67, v106
	s_set_vgpr_msb 4                        ;  msbs: dst=0 src0=0 src1=1 src2=0
	v_mul_i32_i24_e32 v106, v110, v195 /*v451*/
	s_set_vgpr_msb 64                       ;  msbs: dst=1 src0=0 src1=0 src2=0
	v_add3_u32 v90 /*v346*/, v140, v84, v88
	s_set_vgpr_msb 5                        ;  msbs: dst=0 src0=1 src1=1 src2=0
	v_mul_i32_i24_e32 v84, v105 /*v361*/, v73 /*v329*/
	v_mul_i32_i24_e32 v88, v107 /*v363*/, v80 /*v336*/
	s_set_vgpr_msb 1                        ;  msbs: dst=0 src0=1 src1=0 src2=0
	v_mul_i32_i24_e32 v126, v163 /*v419*/, v184
	s_set_vgpr_msb 64                       ;  msbs: dst=1 src0=0 src1=0 src2=0
	v_add3_u32 v89 /*v345*/, v133, v106, v104
	s_set_vgpr_msb 0                        ;  msbs: dst=0 src0=0 src1=0 src2=0
	v_mul_lo_u32 v104, 0x1010101, v112
	s_set_vgpr_msb 64                       ;  msbs: dst=1 src0=0 src1=0 src2=0
	v_add3_u32 v96 /*v352*/, v134, v125, v84
	s_set_vgpr_msb 4                        ;  msbs: dst=0 src0=0 src1=1 src2=0
	v_mul_i32_i24_e32 v84, v121, v80 /*v336*/
	s_set_vgpr_msb 0                        ;  msbs: dst=0 src0=0 src1=0 src2=0
	v_mul_i32_i24_e32 v106, v110, v116
	s_set_vgpr_msb 0x41                     ;  msbs: dst=1 src0=1 src1=0 src2=0
	v_mul_i32_i24_e32 v190 /*v446*/, v162 /*v418*/, v61
	v_mul_i32_i24_e32 v193 /*v449*/, v163 /*v419*/, v60
	;; [unrolled: 1-line block ×3, first 2 shown]
	s_set_vgpr_msb 1                        ;  msbs: dst=0 src0=1 src1=0 src2=0
	v_mul_i32_i24_e32 v137, v162 /*v418*/, v51
	s_set_vgpr_msb 64                       ;  msbs: dst=1 src0=0 src1=0 src2=0
	v_add3_u32 v93 /*v349*/, v132, v106, v84
	s_set_vgpr_msb 0                        ;  msbs: dst=0 src0=0 src1=0 src2=0
	v_mul_i32_i24_e32 v106, v114, v116
	s_set_vgpr_msb 1                        ;  msbs: dst=0 src0=1 src1=0 src2=0
	v_mul_i32_i24_e32 v139, v163 /*v419*/, v62
	s_set_vgpr_msb 0                        ;  msbs: dst=0 src0=0 src1=0 src2=0
	v_bfe_i32 v192, v104, 8, 8
	v_lshrrev_b32_e32 v125, 24, v104
	s_set_vgpr_msb 1                        ;  msbs: dst=0 src0=1 src1=0 src2=0
	v_mul_i32_i24_e32 v143, v162 /*v418*/, v63
	s_set_vgpr_msb 64                       ;  msbs: dst=1 src0=0 src1=0 src2=0
	v_add3_u32 v94 /*v350*/, v135, v106, v88
	s_set_vgpr_msb 0                        ;  msbs: dst=0 src0=0 src1=0 src2=0
	v_bfe_i32 v106, v104, 0, 8
	v_mul_i32_i24_e32 v84, v120, v192
	v_mul_i32_i24_e32 v88, v118, v192
	s_set_vgpr_msb 1                        ;  msbs: dst=0 src0=1 src1=0 src2=0
	v_mul_i32_i24_e32 v147, v163 /*v419*/, v166
	s_set_vgpr_msb 0x45                     ;  msbs: dst=1 src0=1 src1=1 src2=0
	v_mul_i32_i24_e32 v55 /*v311*/, v155 /*v411*/, v27 /*v283*/
	s_set_vgpr_msb 1                        ;  msbs: dst=0 src0=1 src1=0 src2=0
	v_mul_i32_i24_e32 v112, v88 /*v344*/, v106
	s_set_vgpr_msb 0x41                     ;  msbs: dst=1 src0=1 src1=0 src2=0
	v_mul_i32_i24_e32 v43 /*v299*/, v155 /*v411*/, v239
	v_mul_i32_i24_e32 v47 /*v303*/, v155 /*v411*/, v237
	;; [unrolled: 1-line block ×4, first 2 shown]
	s_set_vgpr_msb 64                       ;  msbs: dst=1 src0=0 src1=0 src2=0
	v_add3_u32 v85 /*v341*/, v87, v112, v84
	s_set_vgpr_msb 17                       ;  msbs: dst=0 src0=1 src1=0 src2=1
	v_mul_i32_i24_e32 v87, v179 /*v435*/, v106
	v_mul_i32_i24_e32 v84, v105 /*v361*/, v192
	v_add3_u32 v112, v103 /*v359*/, v254, v26 /*v282*/
	s_set_vgpr_msb 64                       ;  msbs: dst=1 src0=0 src1=0 src2=0
	v_bfe_i32 v103 /*v359*/, v104, 16, 8
	s_set_vgpr_msb 0x45                     ;  msbs: dst=1 src0=1 src1=1 src2=0
	v_mul_i32_i24_e32 v53 /*v309*/, v155 /*v411*/, v17 /*v273*/
	s_set_vgpr_msb 64                       ;  msbs: dst=1 src0=0 src1=0 src2=0
	v_add3_u32 v88 /*v344*/, v189, v87, v88
	s_set_vgpr_msb 1                        ;  msbs: dst=0 src0=1 src1=0 src2=0
	v_mul_i32_i24_e32 v87, v97 /*v353*/, v106
	s_set_vgpr_msb 0                        ;  msbs: dst=0 src0=0 src1=0 src2=0
	v_mul_i32_i24_e32 v88, v121, v192
	s_set_vgpr_msb 0x41                     ;  msbs: dst=1 src0=1 src1=0 src2=0
	v_mul_i32_i24_e32 v56 /*v312*/, v155 /*v411*/, v246
	s_set_vgpr_msb 1                        ;  msbs: dst=0 src0=1 src1=0 src2=0
	v_mul_i32_i24_e32 v109, v155 /*v411*/, v243
	s_set_vgpr_msb 0x45                     ;  msbs: dst=1 src0=1 src1=1 src2=0
	v_mul_i32_i24_e32 v57 /*v313*/, v152 /*v408*/, v27 /*v283*/
	s_set_vgpr_msb 64                       ;  msbs: dst=1 src0=0 src1=0 src2=0
	v_add3_u32 v101 /*v357*/, v107, v87, v84
	s_set_vgpr_msb 1                        ;  msbs: dst=0 src0=1 src1=0 src2=0
	v_mul_i32_i24_e32 v84, v102 /*v358*/, v192
	s_set_vgpr_msb 0                        ;  msbs: dst=0 src0=0 src1=0 src2=0
	v_mul_i32_i24_e32 v107, v108, v106
	s_set_vgpr_msb 4                        ;  msbs: dst=0 src0=0 src1=1 src2=0
	v_mul_i32_i24_e32 v108, v118, v80 /*v336*/
	s_set_vgpr_msb 0                        ;  msbs: dst=0 src0=0 src1=0 src2=0
	v_mul_i32_i24_e32 v67, v175, v244
	v_mul_i32_i24_e32 v87, v175, v241
	s_set_vgpr_msb 5                        ;  msbs: dst=0 src0=1 src1=1 src2=0
	v_mul_i32_i24_e32 v138, v146 /*v402*/, v27 /*v283*/
	s_set_vgpr_msb 64                       ;  msbs: dst=1 src0=0 src1=0 src2=0
	v_add3_u32 v104 /*v360*/, v85, v107, v84
	s_set_vgpr_msb 0                        ;  msbs: dst=0 src0=0 src1=0 src2=0
	v_mul_i32_i24_e32 v84, v110, v106
	s_set_vgpr_msb 17                       ;  msbs: dst=0 src0=1 src1=0 src2=1
	v_add3_u32 v85, v98 /*v354*/, v252, v23 /*v279*/
	s_set_vgpr_msb 0x45                     ;  msbs: dst=1 src0=1 src1=1 src2=0
	v_mul_i32_i24_e32 v60 /*v316*/, v124 /*v380*/, v28 /*v284*/
	s_set_vgpr_msb 5                        ;  msbs: dst=0 src0=1 src1=1 src2=0
	v_mul_i32_i24_e32 v135, v134 /*v390*/, v28 /*v284*/
	v_mul_i32_i24_e32 v124, v149 /*v405*/, v28 /*v284*/
	s_set_vgpr_msb 64                       ;  msbs: dst=1 src0=0 src1=0 src2=0
	v_add3_u32 v102 /*v358*/, v115, v84, v88
	s_set_vgpr_msb 1                        ;  msbs: dst=0 src0=1 src1=0 src2=0
	v_mul_i32_i24_e32 v84, v107 /*v363*/, v192
	s_set_vgpr_msb 0                        ;  msbs: dst=0 src0=0 src1=0 src2=0
	v_mul_i32_i24_e32 v88, v114, v106
	v_mul_i32_i24_e32 v107, v85, v192
	s_set_vgpr_msb 0x44                     ;  msbs: dst=1 src0=0 src1=1 src2=0
	v_mul_i32_i24_e32 v67 /*v323*/, v169, v23 /*v279*/
	s_set_vgpr_msb 5                        ;  msbs: dst=0 src0=1 src1=1 src2=0
	v_mul_i32_i24_e32 v122, v147 /*v403*/, v23 /*v279*/
	s_set_vgpr_msb 64                       ;  msbs: dst=1 src0=0 src1=0 src2=0
	v_mul_i32_i24_e32 v165 /*v421*/, v173, v245
	s_set_vgpr_msb 0x41                     ;  msbs: dst=1 src0=1 src1=0 src2=0
	v_add3_u32 v106 /*v362*/, v254 /*v510*/, v88, v84
	s_set_vgpr_msb 1                        ;  msbs: dst=0 src0=1 src1=0 src2=0
	v_mul_i32_i24_e32 v84, v179 /*v435*/, v116
	s_set_vgpr_msb 0x50                     ;  msbs: dst=1 src0=0 src1=0 src2=1
	v_add3_u32 v179 /*v435*/, v136, v166, v32 /*v288*/
	v_mul_i32_i24_e32 v254 /*v510*/, v175, v233
	s_set_vgpr_msb 5                        ;  msbs: dst=0 src0=1 src1=1 src2=0
	v_mul_i32_i24_e32 v136, v148 /*v404*/, v23 /*v279*/
	v_mul_i32_i24_e32 v118, v149 /*v405*/, v26 /*v282*/
	s_set_vgpr_msb 64                       ;  msbs: dst=1 src0=0 src1=0 src2=0
	v_add3_u32 v97 /*v353*/, v119, v84, v108
	s_set_vgpr_msb 0                        ;  msbs: dst=0 src0=0 src1=0 src2=0
	v_mul_i32_i24_e32 v84, v112, v106
	s_set_vgpr_msb 1                        ;  msbs: dst=0 src0=1 src1=0 src2=0
	v_mul_i32_i24_e32 v104, v179 /*v435*/, v125
	s_set_vgpr_msb 5                        ;  msbs: dst=0 src0=1 src1=1 src2=0
	v_mul_i32_i24_e32 v130, v134 /*v390*/, v26 /*v282*/
	s_set_vgpr_msb 0x45                     ;  msbs: dst=1 src0=1 src1=1 src2=0
	v_add3_u32 v177 /*v433*/, v180 /*v436*/, v177 /*v433*/, v126
	s_set_vgpr_msb 0x50                     ;  msbs: dst=1 src0=0 src1=0 src2=1
	v_add3_u32 v180 /*v436*/, v216, v217, v188 /*v444*/
	s_set_vgpr_msb 64                       ;  msbs: dst=1 src0=0 src1=0 src2=0
	v_add3_u32 v98 /*v354*/, v111, v84, v107
	s_set_vgpr_msb 5                        ;  msbs: dst=0 src0=1 src1=1 src2=0
	v_mul_i32_i24_e32 v84, v86 /*v342*/, v103 /*v359*/
	s_set_vgpr_msb 16                       ;  msbs: dst=0 src0=0 src1=0 src2=1
	v_add3_u32 v107, v128, v255, v28 /*v284*/
	s_set_vgpr_msb 4                        ;  msbs: dst=0 src0=0 src1=1 src2=0
	v_mad_i32_i24 v119, v95, v245 /*v501*/, v104
	s_set_vgpr_msb 0                        ;  msbs: dst=0 src0=0 src1=0 src2=0
	v_mul_i32_i24_e32 v95, v112, v116
	s_set_vgpr_msb 4                        ;  msbs: dst=0 src0=0 src1=1 src2=0
	v_mul_i32_i24_e32 v111, v112, v195 /*v451*/
	v_mad_i32_i24 v140, v89, v252 /*v508*/, v84
	s_set_vgpr_msb 5                        ;  msbs: dst=0 src0=1 src1=1 src2=0
	v_add_nc_u32_e32 v89, v135 /*v391*/, v33 /*v289*/
	s_set_vgpr_msb 0                        ;  msbs: dst=0 src0=0 src1=0 src2=0
	v_mul_i32_i24_e32 v88, v107, v106
	v_mul_i32_i24_e32 v110, v107, v116
	s_set_vgpr_msb 64                       ;  msbs: dst=1 src0=0 src1=0 src2=0
	v_mul_i32_i24_e32 v252 /*v508*/, v175, v220
	v_mul_i32_i24_e32 v245 /*v501*/, v175, v59
	s_set_vgpr_msb 16                       ;  msbs: dst=0 src0=0 src1=0 src2=1
	v_add3_u32 v89, v89, v65, v68 /*v324*/
	s_set_vgpr_msb 5                        ;  msbs: dst=0 src0=1 src1=1 src2=0
	v_mad_i32_i24 v108, v253 /*v509*/, v247 /*v503*/, v88
	s_set_vgpr_msb 4                        ;  msbs: dst=0 src0=0 src1=1 src2=0
	v_mul_i32_i24_e32 v88, v85, v80 /*v336*/
	v_bfe_i32 v216, v129, 16, 8
	s_set_vgpr_msb 0x44                     ;  msbs: dst=1 src0=0 src1=1 src2=0
	v_add3_u32 v168 /*v424*/, v188, v178 /*v434*/, v117
	s_set_vgpr_msb 4                        ;  msbs: dst=0 src0=0 src1=1 src2=0
	v_mul_i32_i24_e32 v104, v89, v80 /*v336*/
	s_set_vgpr_msb 64                       ;  msbs: dst=1 src0=0 src1=0 src2=0
	v_mul_i32_i24_e32 v167 /*v423*/, v173, v242
	s_set_vgpr_msb 0x41                     ;  msbs: dst=1 src0=1 src1=0 src2=0
	v_add3_u32 v213 /*v469*/, v250 /*v506*/, v95, v88
	s_set_vgpr_msb 4                        ;  msbs: dst=0 src0=0 src1=1 src2=0
	v_mul_i32_i24_e32 v95, v85, v73 /*v329*/
	v_mul_i32_i24_e32 v85, v85, v74 /*v330*/
	s_set_vgpr_msb 0                        ;  msbs: dst=0 src0=0 src1=0 src2=0
	v_add3_u32 v123, v94, v110, v104
	s_set_vgpr_msb 4                        ;  msbs: dst=0 src0=0 src1=1 src2=0
	v_mul_i32_i24_e32 v104, v112, v203 /*v459*/
	v_mul_i32_i24_e32 v94, v89, v73 /*v329*/
	s_set_vgpr_msb 0x41                     ;  msbs: dst=1 src0=1 src1=0 src2=0
	v_add3_u32 v79 /*v335*/, v79 /*v335*/, v184, v55
	s_set_vgpr_msb 64                       ;  msbs: dst=1 src0=0 src1=0 src2=0
	v_add3_u32 v189 /*v445*/, v86, v111, v85
	s_set_vgpr_msb 5                        ;  msbs: dst=0 src0=1 src1=1 src2=0
	v_mul_i32_i24_e32 v85, v25 /*v281*/, v30 /*v286*/
	s_set_vgpr_msb 0x41                     ;  msbs: dst=1 src0=1 src1=0 src2=0
	v_add3_u32 v207 /*v463*/, v248 /*v504*/, v104, v95
	s_set_vgpr_msb 4                        ;  msbs: dst=0 src0=0 src1=1 src2=0
	v_mul_i32_i24_e32 v95, v107, v203 /*v459*/
	v_mul_i32_i24_e32 v107, v107, v195 /*v451*/
	;; [unrolled: 1-line block ×3, first 2 shown]
	s_set_vgpr_msb 64                       ;  msbs: dst=1 src0=0 src1=0 src2=0
	v_mul_i32_i24_e32 v248 /*v504*/, v173, v58
	v_mul_i32_i24_e32 v59 /*v315*/, v169, v235
	s_set_vgpr_msb 1                        ;  msbs: dst=0 src0=1 src1=0 src2=0
	v_add3_u32 v121, v249 /*v505*/, v95, v94
	s_set_vgpr_msb 4                        ;  msbs: dst=0 src0=0 src1=1 src2=0
	v_mul_i32_i24_e32 v95, v142, v24 /*v280*/
	s_set_vgpr_msb 0x41                     ;  msbs: dst=1 src0=1 src1=0 src2=0
	v_add3_u32 v205 /*v461*/, v246 /*v502*/, v107, v86
	s_set_vgpr_msb 5                        ;  msbs: dst=0 src0=1 src1=1 src2=0
	v_mul_i32_i24_e32 v86, v158 /*v414*/, v20 /*v276*/
	v_mul_i32_i24_e32 v94, v243 /*v499*/, v24 /*v280*/
	s_set_vgpr_msb 4                        ;  msbs: dst=0 src0=0 src1=1 src2=0
	v_mul_i32_i24_e32 v107, v17, v8 /*v264*/
	s_set_vgpr_msb 0x41                     ;  msbs: dst=1 src0=1 src1=0 src2=0
	v_add3_u32 v187 /*v443*/, v251 /*v507*/, v85, v95
	s_set_vgpr_msb 5                        ;  msbs: dst=0 src0=1 src1=1 src2=0
	v_mul_i32_i24_e32 v85, v161 /*v417*/, v22 /*v278*/
	v_mul_i32_i24_e32 v95, v25 /*v281*/, v29 /*v285*/
	s_set_vgpr_msb 64                       ;  msbs: dst=1 src0=0 src1=0 src2=0
	v_mul_i32_i24_e32 v246 /*v502*/, v175, v178
	s_set_vgpr_msb 0x54                     ;  msbs: dst=1 src0=0 src1=1 src2=1
	v_add3_u32 v178 /*v434*/, v194, v245 /*v501*/, v248 /*v504*/
	s_set_vgpr_msb 1                        ;  msbs: dst=0 src0=1 src1=0 src2=0
	v_mul_i32_i24_e32 v194, v133 /*v389*/, v240
	s_set_vgpr_msb 0x41                     ;  msbs: dst=1 src0=1 src1=0 src2=0
	v_add3_u32 v29 /*v285*/, v238 /*v494*/, v85, v86
	s_set_vgpr_msb 5                        ;  msbs: dst=0 src0=1 src1=1 src2=0
	v_mul_i32_i24_e32 v85, v237 /*v493*/, v20 /*v276*/
	v_mul_i32_i24_e32 v86, v169 /*v425*/, v22 /*v278*/
	s_set_vgpr_msb 0x41                     ;  msbs: dst=1 src0=1 src1=0 src2=0
	v_add3_u32 v171 /*v427*/, v239 /*v495*/, v95, v94
	s_set_vgpr_msb 5                        ;  msbs: dst=0 src0=1 src1=1 src2=0
	v_mul_i32_i24_e32 v95, v199 /*v455*/, v24 /*v280*/
	v_mul_i32_i24_e32 v94, v25 /*v281*/, v31 /*v287*/
	s_set_vgpr_msb 64                       ;  msbs: dst=1 src0=0 src1=0 src2=0
	v_mul_i32_i24_e32 v239 /*v495*/, v175, v49
	s_set_vgpr_msb 0x41                     ;  msbs: dst=1 src0=1 src1=0 src2=0
	v_add3_u32 v24 /*v280*/, v235 /*v491*/, v86, v85
	s_set_vgpr_msb 5                        ;  msbs: dst=0 src0=1 src1=1 src2=0
	v_mul_i32_i24_e32 v85, v154 /*v410*/, v22 /*v278*/
	v_mul_i32_i24_e32 v86, v127 /*v383*/, v20 /*v276*/
	s_set_vgpr_msb 0x41                     ;  msbs: dst=1 src0=1 src1=0 src2=0
	v_add3_u32 v206 /*v462*/, v194 /*v450*/, v94, v95
	s_set_vgpr_msb 4                        ;  msbs: dst=0 src0=0 src1=1 src2=0
	v_mul_i32_i24_e32 v94, v24, v8 /*v264*/
	v_mul_i32_i24_e32 v95, v142, v9 /*v265*/
	s_set_vgpr_msb 64                       ;  msbs: dst=1 src0=0 src1=0 src2=0
	v_mul_i32_i24_e32 v194 /*v450*/, v175, v48
	s_set_vgpr_msb 0x41                     ;  msbs: dst=1 src0=1 src1=0 src2=0
	v_add3_u32 v32 /*v288*/, v196 /*v452*/, v85, v86
	s_set_vgpr_msb 5                        ;  msbs: dst=0 src0=1 src1=1 src2=0
	v_mul_i32_i24_e32 v85, v161 /*v417*/, v10 /*v266*/
	v_mul_i32_i24_e32 v86, v158 /*v414*/, v11 /*v267*/
	s_set_vgpr_msb 0x41                     ;  msbs: dst=1 src0=1 src1=0 src2=0
	v_add3_u32 v203 /*v459*/, v228 /*v484*/, v94, v95
	s_set_vgpr_msb 5                        ;  msbs: dst=0 src0=1 src1=1 src2=0
	v_mul_i32_i24_e32 v94, v243 /*v499*/, v9 /*v265*/
	v_mul_i32_i24_e32 v95, v127 /*v383*/, v11 /*v267*/
	;; [unrolled: 1-line block ×3, first 2 shown]
	s_set_vgpr_msb 0                        ;  msbs: dst=0 src0=0 src1=0 src2=0
	v_add3_u32 v115, v199, v85, v86
	s_set_vgpr_msb 5                        ;  msbs: dst=0 src0=1 src1=1 src2=0
	v_mul_i32_i24_e32 v85, v169 /*v425*/, v10 /*v266*/
	v_mul_i32_i24_e32 v86, v237 /*v493*/, v11 /*v267*/
	s_set_vgpr_msb 64                       ;  msbs: dst=1 src0=0 src1=0 src2=0
	v_add3_u32 v209 /*v465*/, v200, v107, v94
	s_set_vgpr_msb 5                        ;  msbs: dst=0 src0=1 src1=1 src2=0
	v_mul_i32_i24_e32 v94, v154 /*v410*/, v10 /*v266*/
	s_set_vgpr_msb 1                        ;  msbs: dst=0 src0=1 src1=0 src2=0
	v_mul_i32_i24_e32 v199, v120 /*v376*/, v240
	s_set_vgpr_msb 64                       ;  msbs: dst=1 src0=0 src1=0 src2=0
	v_mul_i32_i24_e32 v249 /*v505*/, v173, v50
	v_add3_u32 v212 /*v468*/, v131, v85, v86
	s_set_vgpr_msb 4                        ;  msbs: dst=0 src0=0 src1=1 src2=0
	v_mul_i32_i24_e32 v85, v174, v8 /*v264*/
	s_set_vgpr_msb 5                        ;  msbs: dst=0 src0=1 src1=1 src2=0
	v_mul_i32_i24_e32 v86, v199 /*v455*/, v9 /*v265*/
	s_set_vgpr_msb 64                       ;  msbs: dst=1 src0=0 src1=0 src2=0
	v_add3_u32 v174 /*v430*/, v202, v94, v95
	s_set_vgpr_msb 4                        ;  msbs: dst=0 src0=0 src1=1 src2=0
	v_mul_i32_i24_e32 v94, v17, v2 /*v258*/
	s_set_vgpr_msb 5                        ;  msbs: dst=0 src0=1 src1=1 src2=0
	v_mul_i32_i24_e32 v95, v199 /*v455*/, v5 /*v261*/
	s_set_vgpr_msb 1                        ;  msbs: dst=0 src0=1 src1=0 src2=0
	v_mul_i32_i24_e32 v131, v127 /*v383*/, v252
	s_set_vgpr_msb 64                       ;  msbs: dst=1 src0=0 src1=0 src2=0
	v_add3_u32 v211 /*v467*/, v201, v85, v86
	s_set_vgpr_msb 4                        ;  msbs: dst=0 src0=0 src1=1 src2=0
	v_mul_i32_i24_e32 v85, v24, v2 /*v258*/
	v_mul_i32_i24_e32 v86, v142, v3 /*v259*/
	s_set_vgpr_msb 1                        ;  msbs: dst=0 src0=1 src1=0 src2=0
	v_mul_i32_i24_e32 v201, v156 /*v412*/, v240
	s_set_vgpr_msb 64                       ;  msbs: dst=1 src0=0 src1=0 src2=0
	v_mul_i32_i24_e32 v238 /*v494*/, v173, v179
	v_mul_i32_i24_e32 v228 /*v484*/, v173, v47
	s_set_vgpr_msb 0x54                     ;  msbs: dst=1 src0=0 src1=1 src2=1
	v_add3_u32 v188 /*v444*/, v191, v239 /*v495*/, v249 /*v505*/
	s_set_vgpr_msb 64                       ;  msbs: dst=1 src0=0 src1=0 src2=0
	v_add3_u32 v170 /*v426*/, v212, v85, v86
	s_set_vgpr_msb 5                        ;  msbs: dst=0 src0=1 src1=1 src2=0
	v_mul_i32_i24_e32 v85, v243 /*v499*/, v3 /*v259*/
	v_mul_i32_i24_e32 v86, v199 /*v455*/, v3 /*v259*/
	s_set_vgpr_msb 64                       ;  msbs: dst=1 src0=0 src1=0 src2=0
	v_mul_i32_i24_e32 v42 /*v298*/, v169, v238
	v_mul_i32_i24_e32 v45 /*v301*/, v169, v230
	;; [unrolled: 1-line block ×3, first 2 shown]
	v_add3_u32 v195 /*v451*/, v127, v94, v85
	s_set_vgpr_msb 4                        ;  msbs: dst=0 src0=0 src1=1 src2=0
	v_mul_i32_i24_e32 v85, v174, v2 /*v258*/
	v_mul_i32_i24_e32 v94, v24, v4 /*v260*/
	s_set_vgpr_msb 5                        ;  msbs: dst=0 src0=1 src1=1 src2=0
	v_mul_i32_i24_e32 v127, v237 /*v493*/, v19 /*v275*/
	s_set_vgpr_msb 0x50                     ;  msbs: dst=1 src0=0 src1=0 src2=1
	v_add3_u32 v167 /*v423*/, v141, v87, v167 /*v423*/
	s_set_vgpr_msb 1                        ;  msbs: dst=0 src0=1 src1=0 src2=0
	v_mul_i32_i24_e32 v212, v184 /*v440*/, v241
	s_set_vgpr_msb 64                       ;  msbs: dst=1 src0=0 src1=0 src2=0
	v_add3_u32 v191 /*v447*/, v197, v85, v86
	s_set_vgpr_msb 4                        ;  msbs: dst=0 src0=0 src1=1 src2=0
	v_mul_i32_i24_e32 v85, v142, v5 /*v261*/
	s_set_vgpr_msb 5                        ;  msbs: dst=0 src0=1 src1=1 src2=0
	v_mul_i32_i24_e32 v86, v243 /*v499*/, v5 /*v261*/
	s_set_vgpr_msb 1                        ;  msbs: dst=0 src0=1 src1=0 src2=0
	v_mul_i32_i24_e32 v197, v154 /*v410*/, v254
	s_set_vgpr_msb 0x41                     ;  msbs: dst=1 src0=1 src1=0 src2=0
	v_mul_i32_i24_e32 v5 /*v261*/, v147 /*v403*/, v238
	s_set_vgpr_msb 1                        ;  msbs: dst=0 src0=1 src1=0 src2=0
	v_mul_i32_i24_e32 v200, v143 /*v399*/, v241
	s_set_vgpr_msb 64                       ;  msbs: dst=1 src0=0 src1=0 src2=0
	v_add3_u32 v176 /*v432*/, v198, v94, v85
	s_set_vgpr_msb 4                        ;  msbs: dst=0 src0=0 src1=1 src2=0
	v_mul_i32_i24_e32 v85, v17, v4 /*v260*/
	v_mul_i32_i24_e32 v94, v174, v4 /*v260*/
	s_set_vgpr_msb 0x41                     ;  msbs: dst=1 src0=1 src1=0 src2=0
	v_add3_u32 v202 /*v458*/, v202 /*v458*/, v197, v131
	s_set_vgpr_msb 1                        ;  msbs: dst=0 src0=1 src1=0 src2=0
	v_mul_i32_i24_e32 v131, v154 /*v410*/, v255
	s_set_vgpr_msb 0x41                     ;  msbs: dst=1 src0=1 src1=0 src2=0
	v_mul_i32_i24_e32 v4 /*v260*/, v147 /*v403*/, v235
	s_set_vgpr_msb 64                       ;  msbs: dst=1 src0=0 src1=0 src2=0
	v_add3_u32 v175 /*v431*/, v195, v85, v86
	s_set_vgpr_msb 5                        ;  msbs: dst=0 src0=1 src1=1 src2=0
	v_mul_i32_i24_e32 v85, v161 /*v417*/, v6 /*v262*/
	v_mul_i32_i24_e32 v86, v158 /*v414*/, v7 /*v263*/
	s_set_vgpr_msb 64                       ;  msbs: dst=1 src0=0 src1=0 src2=0
	v_add3_u32 v172 /*v428*/, v196, v94, v95
	s_set_vgpr_msb 5                        ;  msbs: dst=0 src0=1 src1=1 src2=0
	v_mul_i32_i24_e32 v94, v154 /*v410*/, v6 /*v262*/
	v_mul_i32_i24_e32 v95, v127 /*v383*/, v7 /*v263*/
	s_set_vgpr_msb 0                        ;  msbs: dst=0 src0=0 src1=0 src2=0
	v_mul_i32_i24_e32 v195, v174, v253
	s_set_vgpr_msb 64                       ;  msbs: dst=1 src0=0 src1=0 src2=0
	v_add3_u32 v164 /*v420*/, v213, v85, v86
	s_set_vgpr_msb 5                        ;  msbs: dst=0 src0=1 src1=1 src2=0
	v_mul_i32_i24_e32 v85, v169 /*v425*/, v6 /*v262*/
	v_mul_i32_i24_e32 v86, v237 /*v493*/, v7 /*v263*/
	s_set_vgpr_msb 0x41                     ;  msbs: dst=1 src0=1 src1=0 src2=0
	v_add3_u32 v162 /*v418*/, v216 /*v472*/, v94, v95
	s_set_vgpr_msb 5                        ;  msbs: dst=0 src0=1 src1=1 src2=0
	v_mul_i32_i24_e32 v94, v161 /*v417*/, v14 /*v270*/
	v_mul_i32_i24_e32 v95, v158 /*v414*/, v15 /*v271*/
	s_set_vgpr_msb 1                        ;  msbs: dst=0 src0=1 src1=0 src2=0
	v_mul_i32_i24_e32 v196, v169 /*v425*/, v254
	s_set_vgpr_msb 0x41                     ;  msbs: dst=1 src0=1 src1=0 src2=0
	v_add3_u32 v163 /*v419*/, v118 /*v374*/, v85, v86
	s_set_vgpr_msb 4                        ;  msbs: dst=0 src0=0 src1=1 src2=0
	v_mul_i32_i24_e32 v85, v24, v12 /*v268*/
	v_mul_i32_i24_e32 v86, v142, v13 /*v269*/
	s_set_vgpr_msb 0x41                     ;  msbs: dst=1 src0=1 src1=0 src2=0
	v_add3_u32 v159 /*v415*/, v217 /*v473*/, v94, v95
	s_set_vgpr_msb 5                        ;  msbs: dst=0 src0=1 src1=1 src2=0
	v_mul_i32_i24_e32 v94, v169 /*v425*/, v14 /*v270*/
	v_mul_i32_i24_e32 v95, v237 /*v493*/, v15 /*v271*/
	s_set_vgpr_msb 1                        ;  msbs: dst=0 src0=1 src1=0 src2=0
	v_mul_i32_i24_e32 v141, v130 /*v386*/, v241
	s_set_vgpr_msb 0x41                     ;  msbs: dst=1 src0=1 src1=0 src2=0
	v_add3_u32 v160 /*v416*/, v215 /*v471*/, v85, v86
	s_set_vgpr_msb 4                        ;  msbs: dst=0 src0=0 src1=1 src2=0
	v_mul_i32_i24_e32 v85, v17, v12 /*v268*/
	s_set_vgpr_msb 5                        ;  msbs: dst=0 src0=1 src1=1 src2=0
	v_mul_i32_i24_e32 v86, v243 /*v499*/, v13 /*v269*/
	s_set_vgpr_msb 0x41                     ;  msbs: dst=1 src0=1 src1=0 src2=0
	v_add3_u32 v155 /*v411*/, v224 /*v480*/, v94, v95
	s_set_vgpr_msb 5                        ;  msbs: dst=0 src0=1 src1=1 src2=0
	v_mul_i32_i24_e32 v94, v154 /*v410*/, v14 /*v270*/
	v_mul_i32_i24_e32 v95, v127 /*v383*/, v15 /*v271*/
	s_set_vgpr_msb 0x41                     ;  msbs: dst=1 src0=1 src1=0 src2=0
	v_add3_u32 v224 /*v480*/, v192 /*v448*/, v249, v42
	s_set_vgpr_msb 1                        ;  msbs: dst=0 src0=1 src1=0 src2=0
	v_add3_u32 v111, v223 /*v479*/, v85, v86
	s_set_vgpr_msb 4                        ;  msbs: dst=0 src0=0 src1=1 src2=0
	v_mul_i32_i24_e32 v85, v174, v12 /*v268*/
	s_set_vgpr_msb 5                        ;  msbs: dst=0 src0=1 src1=1 src2=0
	v_mul_i32_i24_e32 v86, v199 /*v455*/, v13 /*v269*/
	s_set_vgpr_msb 0x41                     ;  msbs: dst=1 src0=1 src1=0 src2=0
	v_add3_u32 v135 /*v391*/, v219 /*v475*/, v94, v95
	s_set_vgpr_msb 0                        ;  msbs: dst=0 src0=0 src1=0 src2=0
	v_mul_i32_i24_e32 v94, v17, v22
	s_set_vgpr_msb 1                        ;  msbs: dst=0 src0=1 src1=0 src2=0
	v_mul_i32_i24_e32 v95, v243 /*v499*/, v21
	s_set_vgpr_msb 0x41                     ;  msbs: dst=1 src0=1 src1=0 src2=0
	v_bfe_i32 v219 /*v475*/, v183 /*v439*/, 16, 8
	v_add3_u32 v157 /*v413*/, v218 /*v474*/, v85, v86
	s_set_vgpr_msb 0                        ;  msbs: dst=0 src0=0 src1=0 src2=0
	v_mul_i32_i24_e32 v85, v24, v22
	v_mul_i32_i24_e32 v86, v142, v21
	;; [unrolled: 1-line block ×3, first 2 shown]
	s_set_vgpr_msb 1                        ;  msbs: dst=0 src0=1 src1=0 src2=0
	v_mul_i32_i24_e32 v21, v199 /*v455*/, v21
	s_set_vgpr_msb 0x41                     ;  msbs: dst=1 src0=1 src1=0 src2=0
	v_add3_u32 v118 /*v374*/, v221 /*v477*/, v94, v95
	s_set_vgpr_msb 5                        ;  msbs: dst=0 src0=1 src1=1 src2=0
	v_mul_i32_i24_e32 v94, v154 /*v410*/, v0 /*v256*/
	s_set_vgpr_msb 1                        ;  msbs: dst=0 src0=1 src1=0 src2=0
	v_add3_u32 v107, v220 /*v476*/, v85, v86
	s_set_vgpr_msb 5                        ;  msbs: dst=0 src0=1 src1=1 src2=0
	v_mul_i32_i24_e32 v85, v161 /*v417*/, v0 /*v256*/
	v_mul_i32_i24_e32 v86, v158 /*v414*/, v1 /*v257*/
	s_set_vgpr_msb 0x41                     ;  msbs: dst=1 src0=1 src1=0 src2=0
	v_add3_u32 v25 /*v281*/, v225 /*v481*/, v22, v21
	s_set_vgpr_msb 0                        ;  msbs: dst=0 src0=0 src1=0 src2=0
	v_mul_i32_i24_e32 v21, v24, v253
	v_mul_i32_i24_e32 v22, v142, v13
	s_set_vgpr_msb 5                        ;  msbs: dst=0 src0=1 src1=1 src2=0
	v_mul_i32_i24_e32 v95, v127 /*v383*/, v1 /*v257*/
	s_set_vgpr_msb 0x41                     ;  msbs: dst=1 src0=1 src1=0 src2=0
	v_add3_u32 v33 /*v289*/, v222 /*v478*/, v85, v86
	s_set_vgpr_msb 5                        ;  msbs: dst=0 src0=1 src1=1 src2=0
	v_mul_i32_i24_e32 v85, v169 /*v425*/, v0 /*v256*/
	v_mul_i32_i24_e32 v86, v237 /*v493*/, v1 /*v257*/
	s_set_vgpr_msb 0x41                     ;  msbs: dst=1 src0=1 src1=0 src2=0
	v_add3_u32 v27 /*v283*/, v230 /*v486*/, v21, v22
	s_set_vgpr_msb 1                        ;  msbs: dst=0 src0=1 src1=0 src2=0
	v_mul_i32_i24_e32 v21, v158 /*v414*/, v252
	v_mul_i32_i24_e32 v22, v161 /*v417*/, v254
	s_set_vgpr_msb 0x41                     ;  msbs: dst=1 src0=1 src1=0 src2=0
	v_add3_u32 v20 /*v276*/, v210 /*v466*/, v94, v95
	s_set_vgpr_msb 1                        ;  msbs: dst=0 src0=1 src1=0 src2=0
	v_add3_u32 v85, v208 /*v464*/, v85, v86
	s_set_vgpr_msb 5                        ;  msbs: dst=0 src0=1 src1=1 src2=0
	v_mul_i32_i24_e32 v86, v169 /*v425*/, v18 /*v274*/
	v_mul_i32_i24_e32 v94, v161 /*v417*/, v18 /*v274*/
	;; [unrolled: 1-line block ×3, first 2 shown]
	s_set_vgpr_msb 0x41                     ;  msbs: dst=1 src0=1 src1=0 src2=0
	v_add3_u32 v28 /*v284*/, v200 /*v456*/, v22, v21
	s_set_vgpr_msb 5                        ;  msbs: dst=0 src0=1 src1=1 src2=0
	v_mul_i32_i24_e32 v21, v243 /*v499*/, v244 /*v500*/
	s_set_vgpr_msb 4                        ;  msbs: dst=0 src0=0 src1=1 src2=0
	v_mul_i32_i24_e32 v22, v17, v21 /*v277*/
	s_set_vgpr_msb 0x41                     ;  msbs: dst=1 src0=1 src1=0 src2=0
	v_add3_u32 v22 /*v278*/, v204 /*v460*/, v86, v127
	v_add3_u32 v23 /*v279*/, v214 /*v470*/, v94, v95
	s_set_vgpr_msb 5                        ;  msbs: dst=0 src0=1 src1=1 src2=0
	v_mul_i32_i24_e32 v86, v154 /*v410*/, v18 /*v274*/
	v_mul_i32_i24_e32 v95, v127 /*v383*/, v19 /*v275*/
	s_set_vgpr_msb 64                       ;  msbs: dst=1 src0=0 src1=0 src2=0
	v_add3_u32 v31 /*v287*/, v215, v22, v21
	s_set_vgpr_msb 4                        ;  msbs: dst=0 src0=0 src1=1 src2=0
	v_mul_i32_i24_e32 v21, v174, v21 /*v277*/
	s_set_vgpr_msb 64                       ;  msbs: dst=1 src0=0 src1=0 src2=0
	v_add3_u32 v218 /*v474*/, v66, v172, v28
	s_set_vgpr_msb 1                        ;  msbs: dst=0 src0=1 src1=0 src2=0
	v_mul_i32_i24_e32 v22, v243 /*v499*/, v13
	v_mul_i32_i24_e32 v66, v199 /*v455*/, v13
	s_set_vgpr_msb 5                        ;  msbs: dst=0 src0=1 src1=1 src2=0
	v_mul_i32_i24_e32 v13, v199 /*v455*/, v244 /*v500*/
	s_set_vgpr_msb 0x41                     ;  msbs: dst=1 src0=1 src1=0 src2=0
	v_add3_u32 v26 /*v282*/, v229 /*v485*/, v86, v95
	s_set_vgpr_msb 4                        ;  msbs: dst=0 src0=0 src1=1 src2=0
	v_mul_i32_i24_e32 v86, v142, v244 /*v500*/
	s_set_vgpr_msb 1                        ;  msbs: dst=0 src0=1 src1=0 src2=0
	v_mul_i32_i24_e32 v174, v237 /*v493*/, v252
	s_set_vgpr_msb 64                       ;  msbs: dst=1 src0=0 src1=0 src2=0
	v_add3_u32 v222 /*v478*/, v64, v176, v27
	s_set_vgpr_msb 0x41                     ;  msbs: dst=1 src0=1 src1=0 src2=0
	v_add3_u32 v196 /*v452*/, v186 /*v442*/, v21, v13
	v_add3_u32 v221 /*v477*/, v166 /*v422*/, v51, v26
	s_set_vgpr_msb 64                       ;  msbs: dst=1 src0=0 src1=0 src2=0
	v_add3_u32 v223 /*v479*/, v214, v62, v25
	v_lshrrev_b32_e32 v186 /*v442*/, 24, v129
	s_set_vgpr_msb 4                        ;  msbs: dst=0 src0=0 src1=1 src2=0
	v_and_b32_e32 v142, 0xffff, v123 /*v379*/
	s_set_vgpr_msb 0x44                     ;  msbs: dst=1 src0=0 src1=1 src2=0
	v_lshrrev_b32_e32 v123 /*v379*/, 24, v183 /*v439*/
	s_set_vgpr_msb 0x41                     ;  msbs: dst=1 src0=1 src1=0 src2=0
	v_add3_u32 v200 /*v456*/, v198 /*v454*/, v196, v174
	v_add3_u32 v201 /*v457*/, v201 /*v457*/, v195, v66
	s_set_vgpr_msb 5                        ;  msbs: dst=0 src0=1 src1=1 src2=0
	v_mul_i32_i24_e32 v66, v218 /*v474*/, v219 /*v475*/
	s_set_vgpr_msb 0x51                     ;  msbs: dst=1 src0=1 src1=0 src2=1
	v_add3_u32 v166 /*v422*/, v181 /*v437*/, v67, v165 /*v421*/
	s_set_vgpr_msb 0x45                     ;  msbs: dst=1 src0=1 src1=1 src2=0
	v_mul_i32_i24_e32 v198 /*v454*/, v222 /*v478*/, v123 /*v379*/
	s_set_vgpr_msb 1                        ;  msbs: dst=0 src0=1 src1=0 src2=0
	v_mul_i32_i24_e32 v67, v221 /*v477*/, v216
	s_set_vgpr_msb 5                        ;  msbs: dst=0 src0=1 src1=1 src2=0
	v_mul_i32_i24_e32 v129, v223 /*v479*/, v186 /*v442*/
	s_set_vgpr_msb 0x41                     ;  msbs: dst=1 src0=1 src1=0 src2=0
	v_add3_u32 v225 /*v481*/, v117 /*v373*/, v240, v46
	s_set_vgpr_msb 64                       ;  msbs: dst=1 src0=0 src1=0 src2=0
	v_bfe_i32 v220 /*v476*/, v206, 16, 8
	s_set_vgpr_msb 0                        ;  msbs: dst=0 src0=0 src1=0 src2=0
	v_lshrrev_b32_e32 v240, 24, v206
	s_set_vgpr_msb 4                        ;  msbs: dst=0 src0=0 src1=1 src2=0
	v_mul_i32_i24_e32 v24, v24, v21 /*v277*/
	s_set_vgpr_msb 0x54                     ;  msbs: dst=1 src0=0 src1=1 src2=1
	v_add3_u32 v181 /*v437*/, v203, v190 /*v446*/, v193 /*v449*/
	s_set_vgpr_msb 64                       ;  msbs: dst=1 src0=0 src1=0 src2=0
	v_add3_u32 v190 /*v446*/, v207, v137, v139
	v_add3_u32 v117 /*v373*/, v210, v67, v129
	s_set_vgpr_msb 5                        ;  msbs: dst=0 src0=1 src1=1 src2=0
	v_mul_i32_i24_e32 v67, v224 /*v480*/, v220 /*v476*/
	s_set_vgpr_msb 1                        ;  msbs: dst=0 src0=1 src1=0 src2=0
	v_mul_i32_i24_e32 v129, v225 /*v481*/, v240
	s_set_vgpr_msb 0x50                     ;  msbs: dst=1 src0=0 src1=0 src2=1
	v_add3_u32 v198 /*v454*/, v205, v66, v198 /*v454*/
	s_set_vgpr_msb 5                        ;  msbs: dst=0 src0=1 src1=1 src2=0
	v_mul_i32_i24_e32 v66, v218 /*v474*/, v220 /*v476*/
	s_set_vgpr_msb 1                        ;  msbs: dst=0 src0=1 src1=0 src2=0
	v_mul_i32_i24_e32 v139, v222 /*v478*/, v240
	s_set_vgpr_msb 0x41                     ;  msbs: dst=1 src0=1 src1=0 src2=0
	v_add3_u32 v30 /*v286*/, v236 /*v492*/, v24, v86
	s_set_vgpr_msb 1                        ;  msbs: dst=0 src0=1 src1=0 src2=0
	v_mul_i32_i24_e32 v86, v158 /*v414*/, v65
	v_mul_i32_i24_e32 v127, v161 /*v417*/, v255
	;; [unrolled: 1-line block ×3, first 2 shown]
	s_set_vgpr_msb 64                       ;  msbs: dst=1 src0=0 src1=0 src2=0
	v_add3_u32 v199 /*v455*/, v211, v67, v129
	s_set_vgpr_msb 1                        ;  msbs: dst=0 src0=1 src1=0 src2=0
	v_add3_u32 v191, v112 /*v368*/, v66, v139
	s_set_vgpr_msb 5                        ;  msbs: dst=0 src0=1 src1=1 src2=0
	v_mul_i32_i24_e32 v66, v225 /*v481*/, v186 /*v442*/
	s_set_vgpr_msb 1                        ;  msbs: dst=0 src0=1 src1=0 src2=0
	v_mul_i32_i24_e32 v67, v224 /*v480*/, v216
	s_set_vgpr_msb 0x41                     ;  msbs: dst=1 src0=1 src1=0 src2=0
	v_mul_i32_i24_e32 v12 /*v268*/, v116 /*v372*/, v235
	v_mul_i32_i24_e32 v15 /*v271*/, v116 /*v372*/, v238
	;; [unrolled: 1-line block ×3, first 2 shown]
	v_add3_u32 v204 /*v460*/, v226 /*v482*/, v127, v86
	s_set_vgpr_msb 1                        ;  msbs: dst=0 src0=1 src1=0 src2=0
	v_mul_i32_i24_e32 v86, v169 /*v425*/, v255
	v_mul_i32_i24_e32 v65, v237 /*v493*/, v65
	s_set_vgpr_msb 0x41                     ;  msbs: dst=1 src0=1 src1=0 src2=0
	v_add3_u32 v210 /*v466*/, v182 /*v438*/, v131, v64
	s_set_vgpr_msb 0x54                     ;  msbs: dst=1 src0=0 src1=1 src2=1
	v_add3_u32 v182 /*v438*/, v190, v246 /*v502*/, v238 /*v494*/
	s_set_vgpr_msb 1                        ;  msbs: dst=0 src0=1 src1=0 src2=0
	v_mul_i32_i24_e32 v241, v149 /*v405*/, v236
	s_set_vgpr_msb 0x54                     ;  msbs: dst=1 src0=0 src1=1 src2=1
	v_add3_u32 v193 /*v449*/, v209, v194 /*v450*/, v228 /*v484*/
	s_set_vgpr_msb 64                       ;  msbs: dst=1 src0=0 src1=0 src2=0
	v_add3_u32 v194 /*v450*/, v208, v143, v147
	s_set_vgpr_msb 1                        ;  msbs: dst=0 src0=1 src1=0 src2=0
	v_mul_i32_i24_e32 v129, v134 /*v390*/, v236
	s_set_vgpr_msb 5                        ;  msbs: dst=0 src0=1 src1=1 src2=0
	v_mul_i32_i24_e32 v190, v79 /*v335*/, v186 /*v442*/
	s_set_vgpr_msb 1                        ;  msbs: dst=0 src0=1 src1=0 src2=0
	v_add3_u32 v203, v111 /*v367*/, v67, v66
	v_mul_i32_i24_e32 v66, v100 /*v356*/, v216
	v_mul_i32_i24_e32 v147, v124 /*v380*/, v236
	;; [unrolled: 1-line block ×9, first 2 shown]
	s_set_vgpr_msb 5                        ;  msbs: dst=0 src0=1 src1=1 src2=0
	v_mul_i32_i24_e32 v220, v225 /*v481*/, v123 /*v379*/
	v_mul_i32_i24_e32 v230, v224 /*v480*/, v219 /*v475*/
	s_set_vgpr_msb 64                       ;  msbs: dst=1 src0=0 src1=0 src2=0
	v_mul_i32_i24_e32 v76 /*v332*/, v169, v251
	v_mul_i32_i24_e32 v40 /*v296*/, v170, v227
	s_set_vgpr_msb 0                        ;  msbs: dst=0 src0=0 src1=0 src2=0
	v_mul_i32_i24_e32 v105, v170, v247
	v_mul_i32_i24_e32 v113, v170, v223
	s_set_vgpr_msb 5                        ;  msbs: dst=0 src0=1 src1=1 src2=0
	v_mul_i32_i24_e32 v133, v152 /*v408*/, v17 /*v273*/
	s_set_vgpr_msb 64                       ;  msbs: dst=1 src0=0 src1=0 src2=0
	v_mul_i32_i24_e32 v247 /*v503*/, v173, v186
	s_set_vgpr_msb 5                        ;  msbs: dst=0 src0=1 src1=1 src2=0
	v_mul_i32_i24_e32 v106, v146 /*v402*/, v17 /*v273*/
	s_set_vgpr_msb 0                        ;  msbs: dst=0 src0=0 src1=0 src2=0
	v_mul_i32_i24_e32 v88, v171, v56
	v_mul_i32_i24_e32 v104, v171, v53
	;; [unrolled: 1-line block ×6, first 2 shown]
	s_set_vgpr_msb 5                        ;  msbs: dst=0 src0=1 src1=1 src2=0
	v_mul_i32_i24_e32 v189, v241 /*v497*/, v17 /*v273*/
	s_set_vgpr_msb 0x41                     ;  msbs: dst=1 src0=1 src1=0 src2=0
	v_mul_i32_i24_e32 v3 /*v259*/, v149 /*v405*/, v234
	v_mul_i32_i24_e32 v7 /*v263*/, v242 /*v498*/, v227
	;; [unrolled: 1-line block ×5, first 2 shown]
	s_set_vgpr_msb 1                        ;  msbs: dst=0 src0=1 src1=0 src2=0
	v_mul_i32_i24_e32 v94, v152 /*v408*/, v237
	s_set_vgpr_msb 0x41                     ;  msbs: dst=1 src0=1 src1=0 src2=0
	v_mul_i32_i24_e32 v17 /*v273*/, v146 /*v402*/, v187
	s_set_vgpr_msb 0                        ;  msbs: dst=0 src0=0 src1=0 src2=0
	v_mul_i32_i24_e32 v17, v17, v253
	s_set_vgpr_msb 64                       ;  msbs: dst=1 src0=0 src1=0 src2=0
	v_mul_i32_i24_e32 v19 /*v275*/, v171, v29
	s_set_vgpr_msb 4                        ;  msbs: dst=0 src0=0 src1=1 src2=0
	v_and_b32_e32 v95, 0xffff, v121 /*v377*/
	v_and_b32_e32 v171, 0xffff, v122 /*v378*/
	s_set_vgpr_msb 0x41                     ;  msbs: dst=1 src0=1 src1=0 src2=0
	v_mul_i32_i24_e32 v216 /*v472*/, v184 /*v440*/, v244
	v_mul_i32_i24_e32 v217 /*v473*/, v185 /*v441*/, v245
	s_set_vgpr_msb 1                        ;  msbs: dst=0 src0=1 src1=0 src2=0
	v_mul_i32_i24_e32 v252, v241 /*v497*/, v246
	v_mul_i32_i24_e32 v253, v242 /*v498*/, v247
	;; [unrolled: 1-line block ×3, first 2 shown]
	s_set_vgpr_msb 0x41                     ;  msbs: dst=1 src0=1 src1=0 src2=0
	v_add3_u32 v208 /*v464*/, v227 /*v483*/, v86, v65
	s_set_vgpr_msb 1                        ;  msbs: dst=0 src0=1 src1=0 src2=0
	v_mul_i32_i24_e32 v255, v147 /*v403*/, v251
	v_mul_i32_i24_e32 v202, v143 /*v399*/, v244
	;; [unrolled: 1-line block ×3, first 2 shown]
	s_set_vgpr_msb 0x41                     ;  msbs: dst=1 src0=1 src1=0 src2=0
	v_mul_i32_i24_e32 v21 /*v277*/, v146 /*v402*/, v246
	v_mul_i32_i24_e32 v121 /*v377*/, v141 /*v397*/, v247
	s_set_vgpr_msb 1                        ;  msbs: dst=0 src0=1 src1=0 src2=0
	v_mul_i32_i24_e32 v86, v134 /*v390*/, v250
	s_set_vgpr_msb 0x41                     ;  msbs: dst=1 src0=1 src1=0 src2=0
	v_mul_i32_i24_e32 v122 /*v378*/, v148 /*v404*/, v251
	v_mul_i32_i24_e32 v214 /*v470*/, v130 /*v386*/, v244
	;; [unrolled: 1-line block ×3, first 2 shown]
	s_set_vgpr_msb 1                        ;  msbs: dst=0 src0=1 src1=0 src2=0
	v_mul_i32_i24_e32 v245, v152 /*v408*/, v246
	v_mul_i32_i24_e32 v246, v151 /*v407*/, v247
	;; [unrolled: 1-line block ×4, first 2 shown]
	s_set_vgpr_msb 0x54                     ;  msbs: dst=1 src0=0 src1=1 src2=1
	v_add3_u32 v169 /*v425*/, v145, v254 /*v510*/, v255 /*v511*/
	s_set_vgpr_msb 1                        ;  msbs: dst=0 src0=1 src1=0 src2=0
	v_mul_i32_i24_e32 v215, v185 /*v441*/, v242
	v_mul_i32_i24_e32 v244, v241 /*v497*/, v243
	;; [unrolled: 1-line block ×6, first 2 shown]
	s_set_vgpr_msb 0x41                     ;  msbs: dst=1 src0=1 src1=0 src2=0
	v_mul_i32_i24_e32 v127 /*v383*/, v141 /*v397*/, v223
	s_set_vgpr_msb 1                        ;  msbs: dst=0 src0=1 src1=0 src2=0
	v_mul_i32_i24_e32 v188, v128 /*v384*/, v249
	s_set_vgpr_msb 0x41                     ;  msbs: dst=1 src0=1 src1=0 src2=0
	v_mul_i32_i24_e32 v154 /*v410*/, v134 /*v390*/, v248
	s_set_vgpr_msb 0x54                     ;  msbs: dst=1 src0=0 src1=1 src2=1
	v_add3_u32 v183 /*v439*/, v204, v232 /*v488*/, v234 /*v490*/
	s_set_vgpr_msb 1                        ;  msbs: dst=0 src0=1 src1=0 src2=0
	v_mul_i32_i24_e32 v145, v126 /*v382*/, v242
	v_mul_i32_i24_e32 v242, v152 /*v408*/, v243
	s_set_vgpr_msb 0x41                     ;  msbs: dst=1 src0=1 src1=0 src2=0
	v_mul_i32_i24_e32 v161 /*v417*/, v151 /*v407*/, v223
	s_set_vgpr_msb 1                        ;  msbs: dst=0 src0=1 src1=0 src2=0
	v_mul_i32_i24_e32 v198, v119 /*v375*/, v249
	v_mul_i32_i24_e32 v249, v124 /*v380*/, v248
	;; [unrolled: 1-line block ×5, first 2 shown]
	v_add3_u32 v204, v108 /*v364*/, v66, v190
	v_mul_i32_i24_e32 v209, v242 /*v498*/, v223
	v_mul_i32_i24_e32 v210, v146 /*v402*/, v237
	v_mul_i32_i24_e32 v223, v141 /*v397*/, v227
	v_mul_i32_i24_e32 v66, v134 /*v390*/, v234
	v_mul_i32_i24_e32 v234, v185 /*v441*/, v186
	v_mul_i32_i24_e32 v227, v241 /*v497*/, v187
	v_mul_i32_i24_e32 v237, v131 /*v387*/, v186
	s_set_vgpr_msb 5                        ;  msbs: dst=0 src0=1 src1=1 src2=0
	v_mul_i32_i24_e32 v231, v105 /*v361*/, v80 /*v336*/
	s_set_vgpr_msb 0x41                     ;  msbs: dst=1 src0=1 src1=0 src2=0
	v_mul_i32_i24_e32 v80 /*v336*/, v126 /*v382*/, v186
	s_set_vgpr_msb 1                        ;  msbs: dst=0 src0=1 src1=0 src2=0
	v_mul_i32_i24_e32 v186, v152 /*v408*/, v187
	v_add3_u32 v187, v84 /*v340*/, v230, v220
	s_set_vgpr_msb 5                        ;  msbs: dst=0 src0=1 src1=1 src2=0
	v_mul_i32_i24_e32 v230, v100 /*v356*/, v219 /*v475*/
	s_set_vgpr_msb 0x44                     ;  msbs: dst=1 src0=0 src1=1 src2=0
	v_and_b32_e32 v84 /*v340*/, 3, v240 /*v496*/
	s_set_vgpr_msb 5                        ;  msbs: dst=0 src0=1 src1=1 src2=0
	v_mul_i32_i24_e32 v220, v79 /*v335*/, v123 /*v379*/
	s_set_vgpr_msb 0x41                     ;  msbs: dst=1 src0=1 src1=0 src2=0
	v_add3_u32 v75 /*v331*/, v75 /*v331*/, v182, v44
	v_mul_i32_i24_e32 v8 /*v264*/, v241 /*v497*/, v239
	v_mul_i32_i24_e32 v11 /*v267*/, v152 /*v408*/, v239
	s_set_vgpr_msb 1                        ;  msbs: dst=0 src0=1 src1=0 src2=0
	v_mul_i32_i24_e32 v197, v185 /*v441*/, v232
	s_set_vgpr_msb 0                        ;  msbs: dst=0 src0=0 src1=0 src2=0
	v_add3_u32 v220, v146, v230, v220
	s_set_vgpr_msb 1                        ;  msbs: dst=0 src0=1 src1=0 src2=0
	v_add3_u32 v230, v78 /*v334*/, v183, v31
	v_mul_i32_i24_e32 v195, v131 /*v387*/, v232
	s_set_vgpr_msb 0x41                     ;  msbs: dst=1 src0=1 src1=0 src2=0
	v_mul_i32_i24_e32 v112 /*v368*/, v126 /*v382*/, v232
	s_set_vgpr_msb 1                        ;  msbs: dst=0 src0=1 src1=0 src2=0
	v_mul_i32_i24_e32 v206, v146 /*v402*/, v239
	s_set_vgpr_msb 5                        ;  msbs: dst=0 src0=1 src1=1 src2=0
	v_mul_i32_i24_e32 v239, v107 /*v363*/, v73 /*v329*/
	v_mul_i32_i24_e32 v232, v75 /*v331*/, v220 /*v476*/
	s_set_vgpr_msb 0x41                     ;  msbs: dst=1 src0=1 src1=0 src2=0
	v_mul_i32_i24_e32 v107 /*v363*/, v75 /*v331*/, v216
	s_set_vgpr_msb 4                        ;  msbs: dst=0 src0=0 src1=1 src2=0
	v_mul_i32_i24_e32 v146, v230, v186 /*v442*/
	s_set_vgpr_msb 0x41                     ;  msbs: dst=1 src0=1 src1=0 src2=0
	v_mul_i32_i24_e32 v78 /*v334*/, v218 /*v474*/, v216
	s_set_vgpr_msb 0x45                     ;  msbs: dst=1 src0=1 src1=1 src2=0
	v_mul_i32_i24_e32 v74 /*v330*/, v105 /*v361*/, v74 /*v330*/
	s_set_vgpr_msb 1                        ;  msbs: dst=0 src0=1 src1=0 src2=0
	v_add3_u32 v231, v61 /*v317*/, v231, v232
	s_set_vgpr_msb 0x45                     ;  msbs: dst=1 src0=1 src1=1 src2=0
	v_mul_i32_i24_e32 v61 /*v317*/, v75 /*v331*/, v219 /*v475*/
	s_set_vgpr_msb 5                        ;  msbs: dst=0 src0=1 src1=1 src2=0
	v_add3_u32 v232, v96 /*v352*/, v107 /*v363*/, v146
	v_mul_i32_i24_e32 v146, v222 /*v478*/, v186 /*v442*/
	s_set_vgpr_msb 0x41                     ;  msbs: dst=1 src0=1 src1=0 src2=0
	v_add3_u32 v63 /*v319*/, v63 /*v319*/, v181, v11
	s_set_vgpr_msb 64                       ;  msbs: dst=1 src0=0 src1=0 src2=0
	v_mul_i32_i24_e32 v44 /*v300*/, v169, v224
	s_set_vgpr_msb 0x55                     ;  msbs: dst=1 src0=1 src1=1 src2=1
	v_add3_u32 v61 /*v317*/, v91 /*v347*/, v74 /*v330*/, v61 /*v317*/
	v_mul_i32_i24_e32 v91 /*v347*/, v221 /*v477*/, v220 /*v476*/
	s_set_vgpr_msb 0x45                     ;  msbs: dst=1 src0=1 src1=1 src2=0
	v_add3_u32 v78 /*v334*/, v90 /*v346*/, v78 /*v334*/, v146
	s_set_vgpr_msb 1                        ;  msbs: dst=0 src0=1 src1=0 src2=0
	v_mul_i32_i24_e32 v146, v70 /*v326*/, v216
	s_set_vgpr_msb 5                        ;  msbs: dst=0 src0=1 src1=1 src2=0
	v_mul_i32_i24_e32 v132, v116 /*v372*/, v68 /*v324*/
	s_set_vgpr_msb 0x41                     ;  msbs: dst=1 src0=1 src1=0 src2=0
	v_mul_i32_i24_e32 v6 /*v262*/, v149 /*v405*/, v226
	v_mul_i32_i24_e32 v14 /*v270*/, v124 /*v380*/, v226
	;; [unrolled: 1-line block ×3, first 2 shown]
	s_set_vgpr_msb 1                        ;  msbs: dst=0 src0=1 src1=0 src2=0
	v_add3_u32 v239, v92 /*v348*/, v239, v146
	v_mul_i32_i24_e32 v146, v223 /*v479*/, v240
	s_set_vgpr_msb 0x41                     ;  msbs: dst=1 src0=1 src1=0 src2=0
	v_mul_i32_i24_e32 v165 /*v421*/, v116 /*v372*/, v225
	s_set_vgpr_msb 1                        ;  msbs: dst=0 src0=1 src1=0 src2=0
	v_mul_i32_i24_e32 v139, v148 /*v404*/, v224
	v_mul_i32_i24_e32 v207, v147 /*v403*/, v225
	;; [unrolled: 1-line block ×5, first 2 shown]
	s_set_vgpr_msb 0x41                     ;  msbs: dst=1 src0=1 src1=0 src2=0
	v_mul_i32_i24_e32 v108 /*v364*/, v156 /*v412*/, v184
	v_mul_i32_i24_e32 v96 /*v352*/, v133 /*v389*/, v184
	;; [unrolled: 1-line block ×3, first 2 shown]
	s_set_vgpr_msb 1                        ;  msbs: dst=0 src0=1 src1=0 src2=0
	v_mul_i32_i24_e32 v184, v63 /*v319*/, v240
	s_set_vgpr_msb 0x45                     ;  msbs: dst=1 src0=1 src1=1 src2=0
	v_mul_i32_i24_e32 v74 /*v330*/, v70 /*v326*/, v220 /*v476*/
	v_add3_u32 v91 /*v347*/, v93 /*v349*/, v91 /*v347*/, v146
	s_set_vgpr_msb 5                        ;  msbs: dst=0 src0=1 src1=1 src2=0
	v_mul_i32_i24_e32 v146, v63 /*v319*/, v123 /*v379*/
	s_set_vgpr_msb 0x45                     ;  msbs: dst=1 src0=1 src1=1 src2=0
	v_mul_i32_i24_e32 v93 /*v349*/, v70 /*v326*/, v219 /*v475*/
	s_set_vgpr_msb 0                        ;  msbs: dst=0 src0=0 src1=0 src2=0
	v_mov_b32_e32 v24, v19
	s_set_vgpr_msb 0x41                     ;  msbs: dst=1 src0=1 src1=0 src2=0
	v_mul_i32_i24_e32 v73 /*v329*/, v225 /*v481*/, v125
	s_set_vgpr_msb 0x45                     ;  msbs: dst=1 src0=1 src1=1 src2=0
	v_add3_u32 v74 /*v330*/, v94 /*v350*/, v74 /*v330*/, v184
	s_set_vgpr_msb 5                        ;  msbs: dst=0 src0=1 src1=1 src2=0
	v_mul_i32_i24_e32 v184, v223 /*v479*/, v123 /*v379*/
	s_set_vgpr_msb 0x45                     ;  msbs: dst=1 src0=1 src1=1 src2=0
	v_mul_i32_i24_e32 v92 /*v348*/, v221 /*v477*/, v219 /*v475*/
	v_add3_u32 v87 /*v343*/, v87 /*v343*/, v93 /*v349*/, v146
	v_mul_i32_i24_e32 v93 /*v349*/, v224 /*v480*/, v103 /*v359*/
	s_set_vgpr_msb 5                        ;  msbs: dst=0 src0=1 src1=1 src2=0
	v_mul_i32_i24_e32 v146, v100 /*v356*/, v103 /*v359*/
	s_set_vgpr_msb 0x45                     ;  msbs: dst=1 src0=1 src1=1 src2=0
	v_mul_i32_i24_e32 v100 /*v356*/, v100 /*v356*/, v220 /*v476*/
	v_add3_u32 v89 /*v345*/, v89 /*v345*/, v92 /*v348*/, v184
	s_set_vgpr_msb 1                        ;  msbs: dst=0 src0=1 src1=0 src2=0
	v_mul_i32_i24_e32 v184, v79 /*v335*/, v125
	s_set_vgpr_msb 0x55                     ;  msbs: dst=1 src0=1 src1=1 src2=1
	v_add3_u32 v73 /*v329*/, v85 /*v341*/, v93 /*v349*/, v73 /*v329*/
	v_mul_i32_i24_e32 v85 /*v341*/, v218 /*v474*/, v103 /*v359*/
	s_set_vgpr_msb 0x41                     ;  msbs: dst=1 src0=1 src1=0 src2=0
	v_mul_i32_i24_e32 v93 /*v349*/, v222 /*v478*/, v125
	v_mul_i32_i24_e32 v79 /*v335*/, v79 /*v335*/, v240
	s_set_vgpr_msb 0                        ;  msbs: dst=0 src0=0 src1=0 src2=0
	v_mul_i32_i24_e32 v89, v89, v192
	s_set_vgpr_msb 0x45                     ;  msbs: dst=1 src0=1 src1=1 src2=0
	v_mul_i32_i24_e32 v75 /*v331*/, v75 /*v331*/, v103 /*v359*/
	s_set_vgpr_msb 0x41                     ;  msbs: dst=1 src0=1 src1=0 src2=0
	v_add3_u32 v71 /*v327*/, v71 /*v327*/, v60, v32
	s_set_vgpr_msb 0x55                     ;  msbs: dst=1 src0=1 src1=1 src2=1
	v_add3_u32 v85 /*v341*/, v104 /*v360*/, v85 /*v341*/, v93 /*v349*/
	s_set_vgpr_msb 64                       ;  msbs: dst=1 src0=0 src1=0 src2=0
	v_mul_i32_i24_e32 v93 /*v349*/, v230, v125
	s_set_vgpr_msb 0x41                     ;  msbs: dst=1 src0=1 src1=0 src2=0
	v_add3_u32 v69 /*v325*/, v69 /*v325*/, v61, v33
	s_set_vgpr_msb 0x55                     ;  msbs: dst=1 src0=1 src1=1 src2=1
	v_add3_u32 v79 /*v335*/, v97 /*v353*/, v100 /*v356*/, v79 /*v335*/
	v_mul_i32_i24_e32 v100 /*v356*/, v86 /*v342*/, v220 /*v476*/
	s_set_vgpr_msb 1                        ;  msbs: dst=0 src0=1 src1=0 src2=0
	v_add3_u32 v89, v138 /*v394*/, v89, v119
	v_mul_i32_i24_e32 v119, v179 /*v435*/, v240
	s_set_vgpr_msb 0x45                     ;  msbs: dst=1 src0=1 src1=1 src2=0
	v_mul_i32_i24_e32 v72 /*v328*/, v151 /*v407*/, v139 /*v395*/
	s_set_vgpr_msb 64                       ;  msbs: dst=1 src0=0 src1=0 src2=0
	v_mul_i32_i24_e32 v46 /*v302*/, v170, v228
	v_mul_i32_i24_e32 v48 /*v304*/, v170, v221
	;; [unrolled: 1-line block ×3, first 2 shown]
	s_set_vgpr_msb 0x44                     ;  msbs: dst=1 src0=0 src1=1 src2=0
	v_mul_i32_i24_e32 v52 /*v308*/, v170, v16 /*v272*/
	s_set_vgpr_msb 5                        ;  msbs: dst=0 src0=1 src1=1 src2=0
	v_mul_i32_i24_e32 v134, v151 /*v407*/, v16 /*v272*/
	v_mul_i32_i24_e32 v110, v141 /*v397*/, v16 /*v272*/
	;; [unrolled: 1-line block ×4, first 2 shown]
	s_set_vgpr_msb 0x45                     ;  msbs: dst=1 src0=1 src1=1 src2=0
	v_mul_i32_i24_e32 v2 /*v258*/, v242 /*v498*/, v16 /*v272*/
	s_set_vgpr_msb 0x41                     ;  msbs: dst=1 src0=1 src1=0 src2=0
	v_mul_i32_i24_e32 v16 /*v272*/, v141 /*v397*/, v185
	s_set_vgpr_msb 1                        ;  msbs: dst=0 src0=1 src1=0 src2=0
	v_mul_i32_i24_e32 v137, v141 /*v397*/, v221
	v_mul_i32_i24_e32 v67, v141 /*v397*/, v228
	s_set_vgpr_msb 0x55                     ;  msbs: dst=1 src0=1 src1=1 src2=1
	v_and_b32_e32 v107 /*v363*/, 3, v140 /*v396*/
	v_add3_u32 v75 /*v331*/, v101 /*v357*/, v75 /*v331*/, v93 /*v349*/
	s_set_vgpr_msb 0x41                     ;  msbs: dst=1 src0=1 src1=0 src2=0
	v_mul_i32_i24_e32 v101 /*v357*/, v63 /*v319*/, v125
	s_set_vgpr_msb 0x45                     ;  msbs: dst=1 src0=1 src1=1 src2=0
	v_mul_i32_i24_e32 v70 /*v326*/, v70 /*v326*/, v103 /*v359*/
	s_set_vgpr_msb 0x41                     ;  msbs: dst=1 src0=1 src1=0 src2=0
	v_mul_i32_i24_e32 v140 /*v396*/, v223 /*v479*/, v125
	s_set_vgpr_msb 0x45                     ;  msbs: dst=1 src0=1 src1=1 src2=0
	v_mul_i32_i24_e32 v141 /*v397*/, v221 /*v477*/, v103 /*v359*/
	s_set_vgpr_msb 1                        ;  msbs: dst=0 src0=1 src1=0 src2=0
	v_mul_i32_i24_e32 v125, v71 /*v327*/, v125
	s_set_vgpr_msb 0x45                     ;  msbs: dst=1 src0=1 src1=1 src2=0
	v_mul_i32_i24_e32 v103 /*v359*/, v69 /*v325*/, v103 /*v359*/
	s_set_vgpr_msb 4                        ;  msbs: dst=0 src0=0 src1=1 src2=0
	v_add3_u32 v119, v123, v100 /*v356*/, v119
	s_set_vgpr_msb 1                        ;  msbs: dst=0 src0=1 src1=0 src2=0
	v_mul_i32_i24_e32 v123, v86 /*v342*/, v216
	s_set_vgpr_msb 0x45                     ;  msbs: dst=1 src0=1 src1=1 src2=0
	v_mul_i32_i24_e32 v100 /*v356*/, v179 /*v435*/, v186 /*v442*/
	s_set_vgpr_msb 4                        ;  msbs: dst=0 src0=0 src1=1 src2=0
	v_mul_i32_i24_e32 v170, v170, v139 /*v395*/
	s_set_vgpr_msb 0x45                     ;  msbs: dst=1 src0=1 src1=1 src2=0
	v_mul_i32_i24_e32 v139 /*v395*/, v71 /*v327*/, v186 /*v442*/
	s_set_vgpr_msb 1                        ;  msbs: dst=0 src0=1 src1=0 src2=0
	v_mul_i32_i24_e32 v216, v69 /*v325*/, v216
	s_set_vgpr_msb 5                        ;  msbs: dst=0 src0=1 src1=1 src2=0
	v_mul_i32_i24_e32 v84, v148 /*v404*/, v68 /*v324*/
	v_mul_i32_i24_e32 v128, v147 /*v403*/, v68 /*v324*/
	s_set_vgpr_msb 1                        ;  msbs: dst=0 src0=1 src1=0 src2=0
	v_mul_i32_i24_e32 v127, v136 /*v392*/, v229
	v_mul_i32_i24_e32 v131, v128 /*v384*/, v229
	;; [unrolled: 1-line block ×3, first 2 shown]
	s_set_vgpr_msb 0x54                     ;  msbs: dst=1 src0=0 src1=1 src2=1
	v_add3_u32 v192 /*v448*/, v193, v231 /*v487*/, v233 /*v489*/
	s_set_vgpr_msb 1                        ;  msbs: dst=0 src0=1 src1=0 src2=0
	v_mul_i32_i24_e32 v196, v184 /*v440*/, v233
	v_mul_i32_i24_e32 v193, v134 /*v390*/, v222
	v_mul_i32_i24_e32 v229, v124 /*v380*/, v222
	v_mul_i32_i24_e32 v222, v149 /*v405*/, v222
	s_set_vgpr_msb 0x44                     ;  msbs: dst=1 src0=0 src1=1 src2=0
	v_and_b32_e32 v105 /*v361*/, 3, v145 /*v401*/
	v_and_b32_e32 v111 /*v367*/, 3, v150 /*v406*/
	;; [unrolled: 1-line block ×3, first 2 shown]
	s_set_vgpr_msb 0x41                     ;  msbs: dst=1 src0=1 src1=0 src2=0
	v_mul_i32_i24_e32 v90 /*v346*/, v136 /*v392*/, v182
	v_mul_i32_i24_e32 v129 /*v385*/, v156 /*v412*/, v183
	;; [unrolled: 1-line block ×4, first 2 shown]
	s_set_vgpr_msb 0x55                     ;  msbs: dst=1 src0=1 src1=1 src2=1
	v_add3_u32 v70 /*v326*/, v106 /*v362*/, v70 /*v326*/, v101 /*v357*/
	s_set_vgpr_msb 0x41                     ;  msbs: dst=1 src0=1 src1=0 src2=0
	v_mul_i32_i24_e32 v101 /*v357*/, v136 /*v392*/, v180
	v_mul_i32_i24_e32 v106 /*v362*/, v156 /*v412*/, v181
	s_set_vgpr_msb 0x55                     ;  msbs: dst=1 src0=1 src1=1 src2=1
	v_add3_u32 v102 /*v358*/, v102 /*v358*/, v141 /*v397*/, v140 /*v396*/
	s_set_vgpr_msb 0x41                     ;  msbs: dst=1 src0=1 src1=0 src2=0
	v_mul_i32_i24_e32 v140 /*v396*/, v143 /*v399*/, v178
	v_mul_i32_i24_e32 v141 /*v397*/, v131 /*v387*/, v179
	s_set_vgpr_msb 5                        ;  msbs: dst=0 src0=1 src1=1 src2=0
	v_add3_u32 v125, v98 /*v354*/, v103 /*v359*/, v125
	s_set_vgpr_msb 0x41                     ;  msbs: dst=1 src0=1 src1=0 src2=0
	v_mul_i32_i24_e32 v98 /*v354*/, v128 /*v384*/, v180
	v_mul_i32_i24_e32 v103 /*v359*/, v133 /*v389*/, v181
	v_mul_i32_i24_e32 v145 /*v401*/, v184 /*v440*/, v49
	s_set_vgpr_msb 1                        ;  msbs: dst=0 src0=1 src1=0 src2=0
	v_mul_i32_i24_e32 v192, v185 /*v441*/, v50
	s_set_vgpr_msb 0x45                     ;  msbs: dst=1 src0=1 src1=1 src2=0
	v_mul_i32_i24_e32 v138 /*v394*/, v69 /*v325*/, v220 /*v476*/
	s_set_vgpr_msb 0x41                     ;  msbs: dst=1 src0=1 src1=0 src2=0
	v_mul_i32_i24_e32 v146 /*v402*/, v71 /*v327*/, v240
	v_mul_i32_i24_e32 v147 /*v403*/, v136 /*v392*/, v172
	s_set_vgpr_msb 16                       ;  msbs: dst=0 src0=0 src1=0 src2=1
	v_add3_u32 v121, v121, v123, v100 /*v356*/
	s_set_vgpr_msb 1                        ;  msbs: dst=0 src0=1 src1=0 src2=0
	v_mul_i32_i24_e32 v123, v156 /*v412*/, v176
	s_set_vgpr_msb 0x41                     ;  msbs: dst=1 src0=1 src1=0 src2=0
	v_mul_i32_i24_e32 v100 /*v356*/, v128 /*v384*/, v172
	s_set_vgpr_msb 4                        ;  msbs: dst=0 src0=0 src1=1 src2=0
	v_mul_i32_i24_e32 v169, v169, v68 /*v324*/
	s_set_vgpr_msb 0x41                     ;  msbs: dst=1 src0=1 src1=0 src2=0
	v_mul_i32_i24_e32 v68 /*v324*/, v133 /*v389*/, v176
	s_set_vgpr_msb 17                       ;  msbs: dst=0 src0=1 src1=0 src2=1
	v_mul_i32_i24_e32 v172, v119 /*v375*/, v172
	v_mul_i32_i24_e32 v176, v120 /*v376*/, v176
	v_add3_u32 v216, v207 /*v463*/, v216, v139 /*v395*/
	s_set_vgpr_msb 0x41                     ;  msbs: dst=1 src0=1 src1=0 src2=0
	v_mul_i32_i24_e32 v139 /*v395*/, v128 /*v384*/, v51
	v_mul_i32_i24_e32 v148 /*v404*/, v133 /*v389*/, v62
	s_set_vgpr_msb 0x45                     ;  msbs: dst=1 src0=1 src1=1 src2=0
	v_mul_i32_i24_e32 v86 /*v342*/, v86 /*v342*/, v219 /*v475*/
	v_mul_i32_i24_e32 v149 /*v405*/, v179 /*v435*/, v123 /*v379*/
	;; [unrolled: 1-line block ×4, first 2 shown]
	s_set_vgpr_msb 0x41                     ;  msbs: dst=1 src0=1 src1=0 src2=0
	v_mul_i32_i24_e32 v9 /*v265*/, v242 /*v498*/, v228
	v_mul_i32_i24_e32 v13 /*v269*/, v151 /*v407*/, v228
	v_add3_u32 v197 /*v453*/, v197 /*v453*/, v17, v22
	s_set_vgpr_msb 0                        ;  msbs: dst=0 src0=0 src1=0 src2=0
	v_dual_mov_b32 v22, v5 :: v_dual_mov_b32 v21, v19
	s_set_vgpr_msb 1                        ;  msbs: dst=0 src0=1 src1=0 src2=0
	v_mul_i32_i24_e32 v126, v143 /*v399*/, v233
	v_mul_i32_i24_e32 v233, v130 /*v386*/, v233
	;; [unrolled: 1-line block ×6, first 2 shown]
	s_set_vgpr_msb 0x41                     ;  msbs: dst=1 src0=1 src1=0 src2=0
	v_mul_i32_i24_e32 v92 /*v348*/, v128 /*v384*/, v182
	v_mul_i32_i24_e32 v94 /*v350*/, v119 /*v375*/, v182
	s_set_vgpr_msb 1                        ;  msbs: dst=0 src0=1 src1=0 src2=0
	v_mul_i32_i24_e32 v182, v144 /*v400*/, v54
	s_set_vgpr_msb 0x41                     ;  msbs: dst=1 src0=1 src1=0 src2=0
	v_add3_u32 v88 /*v344*/, v88 /*v344*/, v146, v184
	s_set_vgpr_msb 1                        ;  msbs: dst=0 src0=1 src1=0 src2=0
	v_mul_i32_i24_e32 v184, v110 /*v366*/, v32
	v_mul_i32_i24_e32 v146, v144 /*v400*/, v44
	s_set_vgpr_msb 0x41                     ;  msbs: dst=1 src0=1 src1=0 src2=0
	v_mul_i32_i24_e32 v134 /*v390*/, v133 /*v389*/, v183
	s_set_vgpr_msb 1                        ;  msbs: dst=0 src0=1 src1=0 src2=0
	v_mul_i32_i24_e32 v183, v120 /*v376*/, v183
	v_mul_i32_i24_e32 v178, v130 /*v386*/, v178
	;; [unrolled: 1-line block ×5, first 2 shown]
	s_set_vgpr_msb 0x41                     ;  msbs: dst=1 src0=1 src1=0 src2=0
	v_mul_i32_i24_e32 v97 /*v353*/, v143 /*v399*/, v49
	s_set_vgpr_msb 0x55                     ;  msbs: dst=1 src0=1 src1=1 src2=1
	v_add3_u32 v138 /*v394*/, v213 /*v469*/, v138 /*v394*/, v146 /*v402*/
	s_set_vgpr_msb 0x41                     ;  msbs: dst=1 src0=1 src1=0 src2=0
	v_mul_i32_i24_e32 v146 /*v402*/, v131 /*v387*/, v50
	v_mul_i32_i24_e32 v150 /*v406*/, v110 /*v366*/, v27
	s_set_vgpr_msb 0x55                     ;  msbs: dst=1 src0=1 src1=1 src2=1
	v_add3_u32 v86 /*v342*/, v205 /*v461*/, v86 /*v342*/, v149 /*v405*/
	s_set_vgpr_msb 0x41                     ;  msbs: dst=1 src0=1 src1=0 src2=0
	v_mul_i32_i24_e32 v149 /*v405*/, v110 /*v366*/, v31
	;; [unrolled: 5-line block ×3, first 2 shown]
	s_set_vgpr_msb 0x55                     ;  msbs: dst=1 src0=1 src1=1 src2=1
	v_add3_u32 v153 /*v409*/, v187 /*v443*/, v216 /*v472*/, v217 /*v473*/
	s_set_vgpr_msb 0x41                     ;  msbs: dst=1 src0=1 src1=0 src2=0
	v_mul_i32_i24_e32 v187 /*v443*/, v144 /*v400*/, v42
	s_set_vgpr_msb 1                        ;  msbs: dst=0 src0=1 src1=0 src2=0
	v_add3_u32 v202, v171 /*v427*/, v202, v213
	v_mul_i32_i24_e32 v213, v144 /*v400*/, v28
	s_set_vgpr_msb 0x41                     ;  msbs: dst=1 src0=1 src1=0 src2=0
	v_mul_i32_i24_e32 v171 /*v427*/, v136 /*v392*/, v51
	s_set_vgpr_msb 0x55                     ;  msbs: dst=1 src0=1 src1=1 src2=1
	v_add3_u32 v189 /*v445*/, v206 /*v462*/, v214 /*v470*/, v215 /*v471*/
	s_set_vgpr_msb 0x41                     ;  msbs: dst=1 src0=1 src1=0 src2=0
	v_mul_i32_i24_e32 v205 /*v461*/, v156 /*v412*/, v62
	s_set_vgpr_msb 1                        ;  msbs: dst=0 src0=1 src1=0 src2=0
	v_mul_i32_i24_e32 v49, v130 /*v386*/, v49
	v_mul_i32_i24_e32 v50, v126 /*v382*/, v50
	;; [unrolled: 1-line block ×4, first 2 shown]
	s_set_vgpr_msb 0x41                     ;  msbs: dst=1 src0=1 src1=0 src2=0
	v_mul_i32_i24_e32 v206 /*v462*/, v110 /*v366*/, v11
	s_set_vgpr_msb 1                        ;  msbs: dst=0 src0=1 src1=0 src2=0
	v_add3_u32 v212, v203 /*v459*/, v212, v215
	v_mul_i32_i24_e32 v215, v110 /*v366*/, v25
	s_set_vgpr_msb 0                        ;  msbs: dst=0 src0=0 src1=0 src2=0
	v_add3_u32 v65, v115, v65, v201
	s_set_vgpr_msb 1                        ;  msbs: dst=0 src0=1 src1=0 src2=0
	v_mul_i32_i24_e32 v201, v144 /*v400*/, v45
	v_add3_u32 v64, v209 /*v465*/, v200, v64
	v_mul_i32_i24_e32 v200, v144 /*v400*/, v26
	s_set_vgpr_msb 0x41                     ;  msbs: dst=1 src0=1 src1=0 src2=0
	v_mul_i32_i24_e32 v207 /*v463*/, v184 /*v440*/, v59
	s_set_vgpr_msb 1                        ;  msbs: dst=0 src0=1 src1=0 src2=0
	v_add3_u32 v188, v212 /*v468*/, v188, v194
	v_mul_i32_i24_e32 v194, v185 /*v441*/, v58
	s_set_vgpr_msb 0x41                     ;  msbs: dst=1 src0=1 src1=0 src2=0
	v_mul_i32_i24_e32 v209 /*v465*/, v136 /*v392*/, v61
	s_set_vgpr_msb 1                        ;  msbs: dst=0 src0=1 src1=0 src2=0
	v_add3_u32 v141, v211 /*v467*/, v141, v145
	v_mul_i32_i24_e32 v145, v156 /*v412*/, v60
	s_set_vgpr_msb 0x41                     ;  msbs: dst=1 src0=1 src1=0 src2=0
	v_mul_i32_i24_e32 v184 /*v440*/, v184 /*v440*/, v48
	v_mul_i32_i24_e32 v185 /*v441*/, v185 /*v441*/, v47
	;; [unrolled: 1-line block ×5, first 2 shown]
	s_set_vgpr_msb 1                        ;  msbs: dst=0 src0=1 src1=0 src2=0
	v_mul_i32_i24_e32 v166, v120 /*v376*/, v166
	v_mul_i32_i24_e32 v60, v120 /*v376*/, v60
	s_set_vgpr_msb 0x41                     ;  msbs: dst=1 src0=1 src1=0 src2=0
	v_mul_i32_i24_e32 v120 /*v376*/, v128 /*v384*/, v61
	v_mul_i32_i24_e32 v136 /*v392*/, v136 /*v392*/, v63
	;; [unrolled: 1-line block ×3, first 2 shown]
	s_set_vgpr_msb 1                        ;  msbs: dst=0 src0=1 src1=0 src2=0
	v_mul_i32_i24_e32 v63, v119 /*v375*/, v63
	v_mul_i32_i24_e32 v61, v119 /*v375*/, v61
	s_set_vgpr_msb 0x41                     ;  msbs: dst=1 src0=1 src1=0 src2=0
	v_mul_i32_i24_e32 v119 /*v375*/, v143 /*v399*/, v48
	s_set_vgpr_msb 1                        ;  msbs: dst=0 src0=1 src1=0 src2=0
	v_mul_i32_i24_e32 v48, v130 /*v386*/, v48
	s_set_vgpr_msb 0x41                     ;  msbs: dst=1 src0=1 src1=0 src2=0
	v_mul_i32_i24_e32 v143 /*v399*/, v143 /*v399*/, v59
	s_set_vgpr_msb 1                        ;  msbs: dst=0 src0=1 src1=0 src2=0
	;; [unrolled: 4-line block ×4, first 2 shown]
	v_mul_i32_i24_e32 v58, v126 /*v382*/, v58
	v_add3_u32 v198, v174 /*v430*/, v198, v199
	v_mul_i32_i24_e32 v199, v144 /*v400*/, v39
	s_set_vgpr_msb 0x41                     ;  msbs: dst=1 src0=1 src1=0 src2=0
	v_mul_i32_i24_e32 v144 /*v400*/, v144 /*v400*/, v33
	s_wait_dscnt 0x0
	v_mul_i32_i24_e32 v110 /*v366*/, v110 /*v366*/, v218
	s_set_vgpr_msb 1                        ;  msbs: dst=0 src0=1 src1=0 src2=0
	v_add3_u32 v196, v170 /*v426*/, v196, v197
	s_set_vgpr_msb 0x41                     ;  msbs: dst=1 src0=1 src1=0 src2=0
	v_mul_i32_i24_e32 v170 /*v426*/, v109 /*v365*/, v52
	s_set_vgpr_msb 1                        ;  msbs: dst=0 src0=1 src1=0 src2=0
	v_add3_u32 v234, v176 /*v432*/, v235, v234
	s_set_vgpr_msb 0x41                     ;  msbs: dst=1 src0=1 src1=0 src2=0
	v_mul_i32_i24_e32 v176 /*v432*/, v105 /*v361*/, v55
	s_set_vgpr_msb 1                        ;  msbs: dst=0 src0=1 src1=0 src2=0
	v_add3_u32 v236, v175 /*v431*/, v236, v237
	v_mul_i32_i24_e32 v237, v111 /*v367*/, v46
	s_set_vgpr_msb 17                       ;  msbs: dst=0 src0=1 src1=0 src2=1
	v_add3_u32 v238, v172 /*v428*/, v238, v80 /*v336*/
	s_set_vgpr_msb 0x41                     ;  msbs: dst=1 src0=1 src1=0 src2=0
	v_mul_i32_i24_e32 v80 /*v336*/, v111 /*v367*/, v55
	s_set_vgpr_msb 17                       ;  msbs: dst=0 src0=1 src1=0 src2=1
	v_add3_u32 v127, v29 /*v285*/, v127, v108 /*v364*/
	s_set_vgpr_msb 0x41                     ;  msbs: dst=1 src0=1 src1=0 src2=0
	v_mul_i32_i24_e32 v29 /*v285*/, v115 /*v371*/, v46
	v_mul_i32_i24_e32 v108 /*v364*/, v115 /*v371*/, v55
	s_set_vgpr_msb 17                       ;  msbs: dst=0 src0=1 src1=0 src2=1
	v_add3_u32 v117, v32 /*v288*/, v117, v116 /*v372*/
	s_set_vgpr_msb 0x55                     ;  msbs: dst=1 src0=1 src1=1 src2=1
	v_add3_u32 v90 /*v346*/, v164 /*v420*/, v90 /*v346*/, v129 /*v385*/
	s_set_vgpr_msb 0x41                     ;  msbs: dst=1 src0=1 src1=0 src2=0
	v_mul_i32_i24_e32 v116 /*v372*/, v132 /*v388*/, v54
	v_mul_i32_i24_e32 v129 /*v385*/, v114 /*v370*/, v42
	s_set_vgpr_msb 0x55                     ;  msbs: dst=1 src0=1 src1=1 src2=1
	v_add3_u32 v93 /*v349*/, v160 /*v416*/, v104 /*v360*/, v93 /*v349*/
	s_set_vgpr_msb 0x41                     ;  msbs: dst=1 src0=1 src1=0 src2=0
	v_mul_i32_i24_e32 v104 /*v360*/, v114 /*v370*/, v28
	v_mul_i32_i24_e32 v160 /*v416*/, v111 /*v367*/, v25
	s_set_vgpr_msb 0x55                     ;  msbs: dst=1 src0=1 src1=1 src2=1
	v_add3_u32 v101 /*v357*/, v159 /*v415*/, v101 /*v357*/, v106 /*v362*/
	s_set_vgpr_msb 0x41                     ;  msbs: dst=1 src0=1 src1=0 src2=0
	v_mul_i32_i24_e32 v106 /*v362*/, v115 /*v371*/, v27
	s_set_vgpr_msb 1                        ;  msbs: dst=0 src0=1 src1=0 src2=0
	v_mul_i32_i24_e32 v54, v114 /*v370*/, v54
	s_set_vgpr_msb 0x41                     ;  msbs: dst=1 src0=1 src1=0 src2=0
	v_mul_i32_i24_e32 v213 /*v469*/, v105 /*v361*/, v31
	s_set_vgpr_msb 20                       ;  msbs: dst=0 src0=0 src1=1 src2=1
	v_add3_u32 v111, v111, v140 /*v396*/, v141 /*v397*/
	s_set_vgpr_msb 0x41                     ;  msbs: dst=1 src0=1 src1=0 src2=0
	v_mul_i32_i24_e32 v140 /*v396*/, v115 /*v371*/, v31
	v_mul_i32_i24_e32 v215 /*v471*/, v105 /*v361*/, v46
	s_set_vgpr_msb 0x55                     ;  msbs: dst=1 src0=1 src1=1 src2=1
	v_add3_u32 v98 /*v354*/, v155 /*v411*/, v98 /*v354*/, v103 /*v359*/
	s_set_vgpr_msb 0x41                     ;  msbs: dst=1 src0=1 src1=0 src2=0
	v_mul_i32_i24_e32 v103 /*v359*/, v105 /*v361*/, v27
	v_mul_i32_i24_e32 v217 /*v473*/, v111 /*v367*/, v31
	;; [unrolled: 1-line block ×4, first 2 shown]
	s_set_vgpr_msb 4                        ;  msbs: dst=0 src0=0 src1=1 src2=0
	v_add3_u32 v107, v107, v145 /*v401*/, v192
	s_set_vgpr_msb 0x41                     ;  msbs: dst=1 src0=1 src1=0 src2=0
	v_mul_i32_i24_e32 v145 /*v401*/, v114 /*v370*/, v45
	v_mul_i32_i24_e32 v225 /*v481*/, v114 /*v370*/, v26
	;; [unrolled: 1-line block ×3, first 2 shown]
	s_set_vgpr_msb 5                        ;  msbs: dst=0 src0=1 src1=1 src2=0
	v_add3_u32 v123, v33 /*v289*/, v147 /*v403*/, v123
	s_set_vgpr_msb 0x41                     ;  msbs: dst=1 src0=1 src1=0 src2=0
	v_mul_i32_i24_e32 v33 /*v289*/, v115 /*v371*/, v11
	v_mul_i32_i24_e32 v228 /*v484*/, v111 /*v367*/, v11
	s_set_vgpr_msb 1                        ;  msbs: dst=0 src0=1 src1=0 src2=0
	v_mul_i32_i24_e32 v11, v105 /*v361*/, v11
	s_set_vgpr_msb 0x41                     ;  msbs: dst=1 src0=1 src1=0 src2=0
	v_mul_i32_i24_e32 v229 /*v485*/, v105 /*v361*/, v25
	s_set_vgpr_msb 20                       ;  msbs: dst=0 src0=0 src1=1 src2=1
	v_add3_u32 v25, v85, v100 /*v356*/, v68 /*v324*/
	s_set_vgpr_msb 0x41                     ;  msbs: dst=1 src0=1 src1=0 src2=0
	v_mul_i32_i24_e32 v68 /*v324*/, v132 /*v388*/, v33
	v_mul_i32_i24_e32 v230 /*v486*/, v111 /*v367*/, v32
	;; [unrolled: 1-line block ×7, first 2 shown]
	s_set_vgpr_msb 1                        ;  msbs: dst=0 src0=1 src1=0 src2=0
	v_mul_i32_i24_e32 v218, v115 /*v371*/, v218
	s_set_vgpr_msb 0x41                     ;  msbs: dst=1 src0=1 src1=0 src2=0
	v_mul_i32_i24_e32 v115 /*v371*/, v115 /*v371*/, v32
	v_mul_i32_i24_e32 v233 /*v489*/, v107 /*v363*/, v23
	;; [unrolled: 1-line block ×3, first 2 shown]
	s_set_vgpr_msb 1                        ;  msbs: dst=0 src0=1 src1=0 src2=0
	v_add3_u32 v23, v20 /*v276*/, v172, v176
	s_set_vgpr_msb 21                       ;  msbs: dst=0 src0=1 src1=1 src2=1
	v_add3_u32 v172, v22 /*v278*/, v139 /*v395*/, v148 /*v404*/
	s_set_vgpr_msb 1                        ;  msbs: dst=0 src0=1 src1=0 src2=0
	v_add3_u32 v109, v167 /*v423*/, v109, v113
	s_set_vgpr_msb 0                        ;  msbs: dst=0 src0=0 src1=0 src2=0
	v_cvt_f32_i32_e32 v33, v220
	v_cvt_f32_i32_e32 v32, v187
	v_mad_i32_i24 v187, v230, v240, v231
	s_set_vgpr_msb 0x41                     ;  msbs: dst=1 src0=1 src1=0 src2=0
	v_mul_i32_i24_e32 v152 /*v408*/, v142 /*v398*/, v53
	v_mul_i32_i24_e32 v179 /*v435*/, v142 /*v398*/, v35
	s_set_vgpr_msb 1                        ;  msbs: dst=0 src0=1 src1=0 src2=0
	v_add3_u32 v126, v195 /*v451*/, v126, v195
	v_mul_i32_i24_e32 v195, v109 /*v365*/, v38
	s_set_vgpr_msb 17                       ;  msbs: dst=0 src0=1 src1=0 src2=1
	v_add3_u32 v233, v191 /*v447*/, v233, v112 /*v368*/
	s_set_vgpr_msb 0x41                     ;  msbs: dst=1 src0=1 src1=0 src2=0
	v_mul_i32_i24_e32 v191 /*v447*/, v109 /*v365*/, v15
	v_mul_i32_i24_e32 v175 /*v431*/, v107 /*v363*/, v57
	;; [unrolled: 1-line block ×4, first 2 shown]
	s_set_vgpr_msb 17                       ;  msbs: dst=0 src0=1 src1=0 src2=1
	v_add3_u32 v55, v24 /*v280*/, v131, v96 /*v352*/
	s_set_vgpr_msb 0x41                     ;  msbs: dst=1 src0=1 src1=0 src2=0
	v_mul_i32_i24_e32 v24 /*v280*/, v132 /*v388*/, v42
	v_mul_i32_i24_e32 v32 /*v288*/, v137 /*v393*/, v56
	v_mul_i32_i24_e32 v96 /*v352*/, v137 /*v393*/, v53
	s_set_vgpr_msb 5                        ;  msbs: dst=0 src0=1 src1=1 src2=0
	v_add3_u32 v183, v162 /*v418*/, v94 /*v350*/, v183
	s_set_vgpr_msb 0x41                     ;  msbs: dst=1 src0=1 src1=0 src2=0
	v_mul_i32_i24_e32 v94 /*v350*/, v124 /*v380*/, v38
	v_mul_i32_i24_e32 v162 /*v418*/, v132 /*v388*/, v26
	;; [unrolled: 1-line block ×5, first 2 shown]
	s_set_vgpr_msb 1                        ;  msbs: dst=0 src0=1 src1=0 src2=0
	v_add3_u32 v178, v157 /*v413*/, v178, v179
	s_set_vgpr_msb 0x41                     ;  msbs: dst=1 src0=1 src1=0 src2=0
	v_mul_i32_i24_e32 v157 /*v413*/, v132 /*v388*/, v28
	v_mul_i32_i24_e32 v218 /*v474*/, v107 /*v363*/, v38
	;; [unrolled: 1-line block ×3, first 2 shown]
	s_set_vgpr_msb 1                        ;  msbs: dst=0 src0=1 src1=0 src2=0
	v_add3_u32 v180, v135 /*v391*/, v180, v181
	s_set_vgpr_msb 0x41                     ;  msbs: dst=1 src0=1 src1=0 src2=0
	v_mul_i32_i24_e32 v135 /*v391*/, v132 /*v388*/, v45
	v_mul_i32_i24_e32 v132 /*v388*/, v132 /*v388*/, v39
	s_set_vgpr_msb 21                       ;  msbs: dst=0 src0=1 src1=1 src2=1
	v_add3_u32 v176, v23 /*v279*/, v171 /*v427*/, v205 /*v461*/
	s_set_vgpr_msb 0x41                     ;  msbs: dst=1 src0=1 src1=0 src2=0
	scratch_load_b32 v205 /*v461*/, off, off offset:72 ; 4-byte Folded Reload
	v_add3_u32 v20 /*v276*/, v25 /*v281*/, v49, v50
	s_set_vgpr_msb 1                        ;  msbs: dst=0 src0=1 src1=0 src2=0
	v_add3_u32 v62, v26 /*v282*/, v51, v62
	s_set_vgpr_msb 5                        ;  msbs: dst=0 src0=1 src1=1 src2=0
	v_add3_u32 v194, v27 /*v283*/, v207 /*v463*/, v194
	s_set_vgpr_msb 64                       ;  msbs: dst=1 src0=0 src1=0 src2=0
	scratch_load_b32 v207 /*v463*/, off, off offset:80 ; 4-byte Folded Reload
	s_set_vgpr_msb 5                        ;  msbs: dst=0 src0=1 src1=1 src2=0
	v_add3_u32 v145, v28 /*v284*/, v209 /*v465*/, v145
	s_set_vgpr_msb 0x55                     ;  msbs: dst=1 src0=1 src1=1 src2=1
	scratch_load_b32 v209 /*v465*/, off, off offset:88 ; 4-byte Folded Reload
	v_add3_u32 v22 /*v278*/, v30 /*v286*/, v184 /*v440*/, v185 /*v441*/
	s_clause 0x1
	scratch_load_b32 v185 /*v441*/, off, off offset:32
	scratch_load_b32 v184 /*v440*/, off, off offset:28
	s_set_vgpr_msb 0x41                     ;  msbs: dst=1 src0=1 src1=0 src2=0
	v_add3_u32 v25 /*v281*/, v196 /*v452*/, v48, v47
	s_set_vgpr_msb 0x55                     ;  msbs: dst=1 src0=1 src1=1 src2=1
	v_add3_u32 v27 /*v283*/, v200 /*v456*/, v120 /*v376*/, v211 /*v467*/
	s_clause 0x1
	scratch_load_b32 v211 /*v467*/, off, off offset:96
	scratch_load_b32 v200 /*v456*/, off, off offset:60
	s_set_vgpr_msb 1                        ;  msbs: dst=0 src0=1 src1=0 src2=0
	v_add3_u32 v58, v201 /*v457*/, v59, v58
	v_add3_u32 v59, v202 /*v458*/, v61, v60
	s_set_vgpr_msb 21                       ;  msbs: dst=0 src0=1 src1=1 src2=1
	v_add3_u32 v61, v208 /*v464*/, v128 /*v384*/, v133 /*v389*/
	s_set_vgpr_msb 1                        ;  msbs: dst=0 src0=1 src1=0 src2=0
	v_add3_u32 v63, v210 /*v466*/, v63, v166
	s_set_vgpr_msb 21                       ;  msbs: dst=0 src0=1 src1=1 src2=1
	v_add3_u32 v166, v168 /*v424*/, v81 /*v337*/, v83 /*v339*/
	s_set_vgpr_msb 0x55                     ;  msbs: dst=1 src0=1 src1=1 src2=1
	v_add3_u32 v30 /*v286*/, v181 /*v437*/, v65 /*v321*/, v67 /*v323*/
	scratch_load_b32 v181 /*v437*/, off, off offset:16 ; 4-byte Folded Reload
	v_add3_u32 v48 /*v304*/, v169 /*v425*/, v49 /*v305*/, v48 /*v304*/
	scratch_load_b64 v[168:169] /*v[424:425]*/, off, off th:TH_LOAD_LU ; 8-byte Folded Reload
	v_add3_u32 v40 /*v296*/, v182 /*v438*/, v43 /*v299*/, v40 /*v296*/
	scratch_load_b32 v182 /*v438*/, off, off offset:20 ; 4-byte Folded Reload
	v_add3_u32 v39 /*v295*/, v183 /*v439*/, v39 /*v295*/, v42 /*v298*/
	s_set_vgpr_msb 1                        ;  msbs: dst=0 src0=1 src1=0 src2=0
	v_cvt_f32_i32_e32 v39, v87 /*v343*/
	v_cvt_f32_i32_e32 v38, v89 /*v345*/
	s_set_vgpr_msb 0                        ;  msbs: dst=0 src0=0 src1=0 src2=0
	v_cvt_f32_i32_e32 v47, v125
	v_cvt_f32_i32_e32 v51, v121
	s_set_vgpr_msb 1                        ;  msbs: dst=0 src0=1 src1=0 src2=0
	v_cvt_f32_i32_e32 v52, v69 /*v325*/
	v_cvt_f32_i32_e32 v53, v86 /*v342*/
	s_set_vgpr_msb 20                       ;  msbs: dst=0 src0=0 src1=1 src2=1
	v_add3_u32 v121, v188, v154 /*v410*/, v158 /*v414*/
	v_add3_u32 v125, v202, v21 /*v277*/, v121 /*v377*/
	s_set_vgpr_msb 0                        ;  msbs: dst=0 src0=0 src1=0 src2=0
	v_add3_u32 v117, v117, v247, v250
	s_set_vgpr_msb 16                       ;  msbs: dst=0 src0=0 src1=0 src2=1
	v_add3_u32 v141, v141, v242, v161 /*v417*/
	s_set_vgpr_msb 1                        ;  msbs: dst=0 src0=1 src1=0 src2=0
	v_add3_u32 v188, v90 /*v346*/, v222, v226
	s_set_vgpr_msb 0                        ;  msbs: dst=0 src0=0 src1=0 src2=0
	v_add3_u32 v66, v172, v66, v214
	v_add3_u32 v147, v23, v147, v217
	;; [unrolled: 1-line block ×4, first 2 shown]
	s_set_vgpr_msb 16                       ;  msbs: dst=0 src0=0 src1=0 src2=1
	v_add3_u32 v104, v109, v104, v170 /*v426*/
	s_set_vgpr_msb 64                       ;  msbs: dst=1 src0=0 src1=0 src2=0
	scratch_load_b64 v[170:171] /*v[426:427]*/, off, off offset:8 th:TH_LOAD_LU ; 8-byte Folded Reload
	s_set_vgpr_msb 0                        ;  msbs: dst=0 src0=0 src1=0 src2=0
	v_pk_mul_f32 v[32:33], v[22:23], v[32:33] op_sel_hi:[0,1]
	v_cvt_f32_i32_e32 v23, v187
	s_set_vgpr_msb 0x41                     ;  msbs: dst=1 src0=1 src1=0 src2=0
	v_mul_i32_i24_e32 v195 /*v451*/, v109 /*v365*/, v30
	v_mul_i32_i24_e32 v155 /*v411*/, v124 /*v380*/, v30
	s_set_vgpr_msb 1                        ;  msbs: dst=0 src0=1 src1=0 src2=0
	v_mul_i32_i24_e32 v179, v84 /*v340*/, v30
	s_set_vgpr_msb 0x41                     ;  msbs: dst=1 src0=1 src1=0 src2=0
	v_mul_i32_i24_e32 v219 /*v475*/, v107 /*v363*/, v30
	s_clause 0x1
	scratch_load_b32 v201 /*v457*/, off, off offset:64
	scratch_load_b32 v183 /*v439*/, off, off offset:24
	s_set_vgpr_msb 21                       ;  msbs: dst=0 src0=1 src1=1 src2=1
	v_add3_u32 v60, v204 /*v460*/, v136 /*v392*/, v156 /*v412*/
	s_set_vgpr_msb 0x55                     ;  msbs: dst=1 src0=1 src1=1 src2=1
	s_clause 0x2
	scratch_load_b32 v204 /*v460*/, off, off offset:68
	scratch_load_b32 v208 /*v464*/, off, off offset:84
	;; [unrolled: 1-line block ×3, first 2 shown]
	v_add3_u32 v46 /*v302*/, v188 /*v444*/, v47 /*v303*/, v46 /*v302*/
	scratch_load_b32 v188 /*v444*/, off, off offset:44 ; 4-byte Folded Reload
	v_add3_u32 v41 /*v297*/, v190 /*v446*/, v41 /*v297*/, v59 /*v315*/
	scratch_load_b32 v190 /*v446*/, off, off offset:52 ; 4-byte Folded Reload
	s_set_vgpr_msb 0                        ;  msbs: dst=0 src0=0 src1=0 src2=0
	v_cvt_f32_i32_e32 v30, v203
	s_set_vgpr_msb 5                        ;  msbs: dst=0 src0=1 src1=1 src2=0
	v_mad_i32_i24 v203, v63 /*v319*/, v186 /*v442*/, v239
	s_set_vgpr_msb 0                        ;  msbs: dst=0 src0=0 src1=0 src2=0
	v_cvt_f32_i32_e32 v48, v119
	v_add3_u32 v119, v238, v186, v185
	s_set_vgpr_msb 1                        ;  msbs: dst=0 src0=1 src1=0 src2=0
	v_add3_u32 v185, v189 /*v445*/, v245, v246
	s_set_vgpr_msb 0                        ;  msbs: dst=0 src0=0 src1=0 src2=0
	v_add3_u32 v61, v61, v135, v84
	s_set_vgpr_msb 4                        ;  msbs: dst=0 src0=0 src1=1 src2=0
	v_add3_u32 v63, v63, v60 /*v316*/, v132
	s_set_vgpr_msb 17                       ;  msbs: dst=0 src0=1 src1=0 src2=1
	v_add3_u32 v120, v40 /*v296*/, v120, v191 /*v447*/
	s_set_vgpr_msb 64                       ;  msbs: dst=1 src0=0 src1=0 src2=0
	s_clause 0x2
	scratch_load_b32 v191 /*v447*/, off, off offset:56
	scratch_load_b32 v189 /*v445*/, off, off offset:48
	;; [unrolled: 1-line block ×3, first 2 shown]
	s_set_vgpr_msb 21                       ;  msbs: dst=0 src0=1 src1=1 src2=1
	v_add3_u32 v132, v39 /*v295*/, v36 /*v292*/, v206 /*v462*/
	s_set_vgpr_msb 0                        ;  msbs: dst=0 src0=0 src1=0 src2=0
	v_pk_mul_f32 v[38:39], v[22:23], v[38:39] op_sel_hi:[0,1]
	v_pk_mul_f32 v[52:53], v[22:23], v[52:53] op_sel_hi:[0,1]
	s_set_vgpr_msb 20                       ;  msbs: dst=0 src0=0 src1=1 src2=1
	v_add3_u32 v22, v125, v32 /*v288*/, v175 /*v431*/
	v_add3_u32 v125, v141, v159 /*v415*/, v212 /*v468*/
	s_set_vgpr_msb 64                       ;  msbs: dst=1 src0=0 src1=0 src2=0
	scratch_load_b32 v212 /*v468*/, off, off offset:100 ; 4-byte Folded Reload
	s_set_vgpr_msb 16                       ;  msbs: dst=0 src0=0 src1=0 src2=1
	v_add3_u32 v54, v117, v54, v108 /*v364*/
	v_add3_u32 v117, v188, v146, v213 /*v469*/
	s_set_vgpr_msb 64                       ;  msbs: dst=1 src0=0 src1=0 src2=0
	scratch_load_b32 v213 /*v469*/, off, off offset:104 ; 4-byte Folded Reload
	s_set_vgpr_msb 20                       ;  msbs: dst=0 src0=0 src1=1 src2=1
	v_add3_u32 v135, v172, v179 /*v435*/, v214 /*v470*/
	s_set_vgpr_msb 64                       ;  msbs: dst=1 src0=0 src1=0 src2=0
	s_clause 0x1
	scratch_load_b32 v214 /*v470*/, off, off offset:108
	scratch_load_b32 v206 /*v462*/, off, off offset:76
	s_set_vgpr_msb 20                       ;  msbs: dst=0 src0=0 src1=1 src2=1
	v_add3_u32 v65, v65, v187 /*v443*/, v215 /*v471*/
	s_set_vgpr_msb 64                       ;  msbs: dst=1 src0=0 src1=0 src2=0
	s_clause 0x1
	scratch_load_b32 v215 /*v471*/, off, off offset:112
	scratch_load_b32 v187 /*v443*/, off, off offset:40
	s_set_vgpr_msb 1                        ;  msbs: dst=0 src0=1 src1=0 src2=0
	v_mul_i32_i24_e32 v174, v142 /*v398*/, v56
	s_set_vgpr_msb 0x55                     ;  msbs: dst=1 src0=1 src1=1 src2=1
	v_add3_u32 v173 /*v429*/, v173 /*v429*/, v252 /*v508*/, v247 /*v503*/
	s_set_vgpr_msb 1                        ;  msbs: dst=0 src0=1 src1=0 src2=0
	v_mul_i32_i24_e32 v190, v142 /*v398*/, v41
	s_set_vgpr_msb 0x41                     ;  msbs: dst=1 src0=1 src1=0 src2=0
	v_mul_i32_i24_e32 v203 /*v459*/, v142 /*v398*/, v37
	s_set_vgpr_msb 1                        ;  msbs: dst=0 src0=1 src1=0 src2=0
	v_mul_i32_i24_e32 v115, v142 /*v398*/, v43
	s_set_vgpr_msb 0x41                     ;  msbs: dst=1 src0=1 src1=0 src2=0
	v_mul_i32_i24_e32 v126 /*v382*/, v142 /*v398*/, v40
	v_mul_i32_i24_e32 v142 /*v398*/, v142 /*v398*/, v29
	;; [unrolled: 1-line block ×3, first 2 shown]
	s_set_vgpr_msb 1                        ;  msbs: dst=0 src0=1 src1=0 src2=0
	v_mul_i32_i24_e32 v131, v125 /*v381*/, v41
	v_mul_i32_i24_e32 v56, v125 /*v381*/, v56
	s_set_vgpr_msb 0x41                     ;  msbs: dst=1 src0=1 src1=0 src2=0
	v_mul_i32_i24_e32 v164 /*v420*/, v137 /*v393*/, v37
	s_set_vgpr_msb 0x55                     ;  msbs: dst=1 src0=1 src1=1 src2=1
	v_add3_u32 v92 /*v348*/, v163 /*v419*/, v92 /*v348*/, v134 /*v390*/
	s_set_vgpr_msb 0x41                     ;  msbs: dst=1 src0=1 src1=0 src2=0
	v_mul_i32_i24_e32 v134 /*v390*/, v125 /*v381*/, v35
	v_mul_i32_i24_e32 v163 /*v419*/, v107 /*v363*/, v36
	;; [unrolled: 1-line block ×4, first 2 shown]
	s_set_vgpr_msb 1                        ;  msbs: dst=0 src0=1 src1=0 src2=0
	v_mul_i32_i24_e32 v181, v137 /*v393*/, v43
	s_set_vgpr_msb 0x41                     ;  msbs: dst=1 src0=1 src1=0 src2=0
	v_mul_i32_i24_e32 v224 /*v480*/, v125 /*v381*/, v37
	v_mul_i32_i24_e32 v226 /*v482*/, v125 /*v381*/, v43
	s_set_vgpr_msb 0x55                     ;  msbs: dst=1 src0=1 src1=1 src2=1
	v_add3_u32 v97 /*v353*/, v118 /*v374*/, v97 /*v353*/, v146 /*v402*/
	s_set_vgpr_msb 0x41                     ;  msbs: dst=1 src0=1 src1=0 src2=0
	v_mul_i32_i24_e32 v146 /*v402*/, v124 /*v380*/, v36
	v_mul_i32_i24_e32 v147 /*v403*/, v84 /*v340*/, v36
	s_set_vgpr_msb 1                        ;  msbs: dst=0 src0=1 src1=0 src2=0
	v_mul_i32_i24_e32 v85, v137 /*v393*/, v29
	s_set_vgpr_msb 0x41                     ;  msbs: dst=1 src0=1 src1=0 src2=0
	v_mul_i32_i24_e32 v100 /*v356*/, v137 /*v393*/, v40
	v_mul_i32_i24_e32 v137 /*v393*/, v125 /*v381*/, v40
	;; [unrolled: 1-line block ×3, first 2 shown]
	s_set_vgpr_msb 0                        ;  msbs: dst=0 src0=0 src1=0 src2=0
	v_cvt_f32_i32_e32 v29, v191
	s_set_vgpr_msb 1                        ;  msbs: dst=0 src0=1 src1=0 src2=0
	v_cvt_f32_i32_e32 v28, v199 /*v455*/
	v_cvt_f32_i32_e32 v37, v91 /*v347*/
	;; [unrolled: 1-line block ×4, first 2 shown]
	s_set_vgpr_msb 0                        ;  msbs: dst=0 src0=0 src1=0 src2=0
	v_add3_u32 v89, v108, v140, v89
	s_set_vgpr_msb 0x41                     ;  msbs: dst=1 src0=1 src1=0 src2=0
	v_mul_i32_i24_e32 v174 /*v430*/, v109 /*v365*/, v34
	s_set_vgpr_msb 1                        ;  msbs: dst=0 src0=1 src1=0 src2=0
	v_mul_i32_i24_e32 v197, v109 /*v365*/, v57
	s_set_vgpr_msb 0x41                     ;  msbs: dst=1 src0=1 src1=0 src2=0
	v_mul_i32_i24_e32 v109 /*v365*/, v109 /*v365*/, v219
	s_set_vgpr_msb 0x55                     ;  msbs: dst=1 src0=1 src1=1 src2=1
	v_add3_u32 v23 /*v279*/, v31 /*v287*/, v119 /*v375*/, v130 /*v386*/
	v_add3_u32 v26 /*v282*/, v197 /*v453*/, v143 /*v399*/, v131 /*v387*/
	s_set_vgpr_msb 5                        ;  msbs: dst=0 src0=1 src1=1 src2=0
	v_add3_u32 v105, v166 /*v422*/, v56 /*v312*/, v105
	s_set_vgpr_msb 0x55                     ;  msbs: dst=1 src0=1 src1=1 src2=1
	v_add3_u32 v28 /*v284*/, v178 /*v434*/, v53 /*v309*/, v52 /*v308*/
	v_add3_u32 v31 /*v287*/, v173 /*v429*/, v51 /*v307*/, v50 /*v306*/
	s_set_vgpr_msb 5                        ;  msbs: dst=0 src0=1 src1=1 src2=0
	v_add3_u32 v170, v193 /*v449*/, v55 /*v311*/, v170
	v_cvt_f32_i32_e32 v49, v138 /*v394*/
	s_set_vgpr_msb 0                        ;  msbs: dst=0 src0=0 src1=0 src2=0
	v_add3_u32 v108, v234, v227, v228
	s_set_vgpr_msb 16                       ;  msbs: dst=0 src0=0 src1=0 src2=1
	v_add3_u32 v86, v55, v86, v122 /*v378*/
	v_add3_u32 v64, v64, v251, v127 /*v383*/
	s_set_vgpr_msb 0                        ;  msbs: dst=0 src0=0 src1=0 src2=0
	v_add3_u32 v127, v127, v254, v255
	v_add3_u32 v143, v233, v143, v221
	s_set_vgpr_msb 1                        ;  msbs: dst=0 src0=1 src1=0 src2=0
	v_add3_u32 v67, v97 /*v353*/, v210, v67
	s_set_vgpr_msb 0                        ;  msbs: dst=0 src0=0 src1=0 src2=0
	v_add3_u32 v196, v212, v244, v209
	v_add3_u32 v126, v126, v248, v137
	s_set_vgpr_msb 16                       ;  msbs: dst=0 src0=0 src1=0 src2=1
	v_add3_u32 v129, v25, v129, v18 /*v274*/
	s_set_vgpr_msb 20                       ;  msbs: dst=0 src0=0 src1=1 src2=1
	v_add3_u32 v137, v236, v17 /*v273*/, v16 /*v272*/
	s_set_vgpr_msb 0                        ;  msbs: dst=0 src0=0 src1=0 src2=0
	v_pk_mul_f32 v[28:29], v[18:19], v[28:29] op_sel_hi:[0,1]
	v_pk_mul_f32 v[36:37], v[18:19], v[36:37] op_sel_hi:[0,1]
	v_pk_mul_f32 v[46:47], v[18:19], v[46:47]
	v_cvt_f32_i32_e32 v19, v89
	v_mov_b32_e32 v13, v18
	s_set_vgpr_msb 1                        ;  msbs: dst=0 src0=1 src1=0 src2=0
	v_mul_i32_i24_e32 v192, v107 /*v363*/, v15
	s_set_vgpr_msb 0x41                     ;  msbs: dst=1 src0=1 src1=0 src2=0
	v_mul_i32_i24_e32 v118 /*v374*/, v124 /*v380*/, v15
	s_set_vgpr_msb 1                        ;  msbs: dst=0 src0=1 src1=0 src2=0
	v_mul_i32_i24_e32 v15, v84 /*v340*/, v15
	s_set_vgpr_msb 0                        ;  msbs: dst=0 src0=0 src1=0 src2=0
	v_add3_u32 v111, v111, v206, v223
	v_add3_u32 v87, v123, v241, v205
	s_set_vgpr_msb 1                        ;  msbs: dst=0 src0=1 src1=0 src2=0
	v_add3_u32 v123, v92 /*v348*/, v193, v139
	s_set_vgpr_msb 20                       ;  msbs: dst=0 src0=0 src1=1 src2=1
	v_add3_u32 v139, v180, v14 /*v270*/, v15 /*v271*/
	v_add3_u32 v107, v107, v10 /*v266*/, v9 /*v265*/
	s_set_vgpr_msb 21                       ;  msbs: dst=0 src0=1 src1=1 src2=1
	v_add3_u32 v180, v93 /*v349*/, v8 /*v264*/, v7 /*v263*/
	s_set_vgpr_msb 1                        ;  msbs: dst=0 src0=1 src1=0 src2=0
	v_add3_u32 v106, v26 /*v282*/, v106, v110
	s_set_vgpr_msb 0                        ;  msbs: dst=0 src0=0 src1=0 src2=0
	v_add3_u32 v58, v58, v133, v134
	s_set_vgpr_msb 21                       ;  msbs: dst=0 src0=1 src1=1 src2=1
	v_add3_u32 v110, v28 /*v284*/, v113 /*v369*/, v174 /*v430*/
	s_set_vgpr_msb 0                        ;  msbs: dst=0 src0=0 src1=0 src2=0
	v_add3_u32 v88, v105, v88, v197
	s_set_vgpr_msb 1                        ;  msbs: dst=0 src0=1 src1=0 src2=0
	v_add3_u32 v114, v48 /*v304*/, v114, v195
	s_set_vgpr_msb 17                       ;  msbs: dst=0 src0=1 src1=0 src2=1
	v_add3_u32 v112, v31 /*v287*/, v112, v195 /*v451*/
	v_add3_u32 v116, v46 /*v302*/, v116, v112 /*v368*/
	s_set_vgpr_msb 20                       ;  msbs: dst=0 src0=0 src1=1 src2=1
	v_add3_u32 v133, v170, v19 /*v275*/, v109 /*v365*/
	s_set_vgpr_msb 16                       ;  msbs: dst=0 src0=0 src1=0 src2=1
	v_pk_mul_f32 v[48:49], v[18:19], v[48:49] op_sel_hi:[0,1]
	v_add3_u32 v18, v127, v182, v176 /*v432*/
	s_set_vgpr_msb 20                       ;  msbs: dst=0 src0=0 src1=1 src2=1
	v_add3_u32 v64, v64, v96 /*v352*/, v172 /*v428*/
	v_add3_u32 v86, v86, v116 /*v372*/, v80 /*v336*/
	;; [unrolled: 1-line block ×5, first 2 shown]
	s_set_vgpr_msb 0                        ;  msbs: dst=0 src0=0 src1=0 src2=0
	v_add3_u32 v108, v108, v190, v179
	s_set_vgpr_msb 16                       ;  msbs: dst=0 src0=0 src1=0 src2=1
	v_add3_u32 v119, v119, v131, v155 /*v411*/
	s_set_vgpr_msb 20                       ;  msbs: dst=0 src0=0 src1=1 src2=1
	v_add3_u32 v131, v137, v216 /*v472*/, v219 /*v475*/
	v_add3_u32 v129, v129, v157 /*v413*/, v220 /*v476*/
	v_mad_i32_i24 v191, v230, v123 /*v379*/, v61 /*v317*/
	s_set_vgpr_msb 0                        ;  msbs: dst=0 src0=0 src1=0 src2=0
	v_add3_u32 v111, v111, v181, v192
	v_add3_u32 v15, v180, v115, v15
	s_set_vgpr_msb 20                       ;  msbs: dst=0 src0=0 src1=1 src2=1
	v_add3_u32 v107, v107, v203 /*v459*/, v147 /*v403*/
	s_set_vgpr_msb 0                        ;  msbs: dst=0 src0=0 src1=0 src2=0
	v_mul_lo_u32 v110, v110, v168
	v_mul_lo_u32 v104, v104, v168
	v_mul_lo_u32 v88, v88, v168
	v_mul_lo_u32 v112, v112, v168
	v_mul_lo_u32 v114, v114, v168
	v_mul_lo_u32 v116, v116, v168
	v_mul_lo_u32 v120, v120, v168
	v_mul_lo_u32 v133, v133, v168
	v_mul_lo_u32 v86, v86, v171
	v_mul_lo_u32 v64, v64, v164
	v_mul_lo_u32 v89, v89, v167
	v_mul_lo_u32 v67, v67, v164
	v_mul_lo_u32 v125, v125, v167
	v_mul_lo_u32 v135, v135, v165
	v_mul_lo_u32 v127, v127, v165
	v_mul_lo_u32 v108, v108, v165
	v_mul_lo_u32 v129, v129, v171
	v_mul_lo_u32 v131, v131, v164
	s_set_vgpr_msb 1                        ;  msbs: dst=0 src0=1 src1=0 src2=0
	v_mul_i32_i24_e32 v235, v84 /*v340*/, v57
	v_mul_i32_i24_e32 v57, v124 /*v380*/, v57
	;; [unrolled: 1-line block ×3, first 2 shown]
	s_set_vgpr_msb 0x41                     ;  msbs: dst=1 src0=1 src1=0 src2=0
	v_mul_i32_i24_e32 v84 /*v340*/, v84 /*v340*/, v34
	v_mul_i32_i24_e32 v107 /*v363*/, v107 /*v363*/, v34
	;; [unrolled: 1-line block ×3, first 2 shown]
	s_set_vgpr_msb 21                       ;  msbs: dst=0 src0=1 src1=1 src2=1
	v_add3_u32 v113, v177 /*v433*/, v95 /*v351*/, v76 /*v332*/
	s_set_vgpr_msb 0x55                     ;  msbs: dst=1 src0=1 src1=1 src2=1
	v_add3_u32 v45 /*v301*/, v192 /*v448*/, v82 /*v338*/, v45 /*v301*/
	v_add3_u32 v44 /*v300*/, v180 /*v436*/, v62 /*v318*/, v44 /*v300*/
	s_set_vgpr_msb 5                        ;  msbs: dst=0 src0=1 src1=1 src2=0
	v_add3_u32 v169, v194 /*v450*/, v66 /*v322*/, v169
	v_cvt_f32_i32_e32 v27, v198 /*v454*/
	v_cvt_f32_i32_e32 v26, v117 /*v373*/
	s_set_vgpr_msb 0                        ;  msbs: dst=0 src0=0 src1=0 src2=0
	v_cvt_f32_i32_e32 v31, v204
	s_set_vgpr_msb 1                        ;  msbs: dst=0 src0=1 src1=0 src2=0
	v_cvt_f32_i32_e32 v35, v78 /*v334*/
	s_set_vgpr_msb 0                        ;  msbs: dst=0 src0=0 src1=0 src2=0
	v_cvt_f32_i32_e32 v34, v232
	s_set_vgpr_msb 1                        ;  msbs: dst=0 src0=1 src1=0 src2=0
	v_cvt_f32_i32_e32 v41, v73 /*v329*/
	v_cvt_f32_i32_e32 v40, v88 /*v344*/
	v_cvt_f32_i32_e32 v43, v75 /*v331*/
	v_cvt_f32_i32_e32 v42, v85 /*v341*/
	v_cvt_f32_i32_e32 v45, v102 /*v358*/
	v_cvt_f32_i32_e32 v44, v70 /*v326*/
	s_set_vgpr_msb 16                       ;  msbs: dst=0 src0=0 src1=0 src2=1
	v_cvt_f32_i32_e32 v50, v216
	v_add3_u32 v140, v198, v249, v165 /*v421*/
	s_set_vgpr_msb 1                        ;  msbs: dst=0 src0=1 src1=0 src2=0
	v_add3_u32 v186, v153 /*v409*/, v252, v253
	s_set_vgpr_msb 0                        ;  msbs: dst=0 src0=0 src1=0 src2=0
	v_cvt_f32_i32_e32 v25, v191
	s_set_vgpr_msb 17                       ;  msbs: dst=0 src0=1 src1=0 src2=1
	v_add3_u32 v94, v20 /*v276*/, v94, v13 /*v269*/
	s_set_vgpr_msb 16                       ;  msbs: dst=0 src0=0 src1=0 src2=1
	v_add3_u32 v189, v194, v189, v2 /*v258*/
	s_set_vgpr_msb 1                        ;  msbs: dst=0 src0=1 src1=0 src2=0
	v_add3_u32 v173, v22 /*v278*/, v175, v173
	s_set_vgpr_msb 0                        ;  msbs: dst=0 src0=0 src1=0 src2=0
	v_mul_lo_u32 v54, v54, v142
	v_mul_lo_u32 v119, v119, v167
	v_mul_lo_u32 v111, v111, v164
	v_mul_lo_u32 v107, v107, v165
	v_mul_lo_u32 v15, v15, v165
	v_mov_b32_e32 v17, v5
	v_add3_u32 v183, v183, v229, v224
	s_set_vgpr_msb 1                        ;  msbs: dst=0 src0=1 src1=0 src2=0
	v_add3_u32 v198, v98 /*v354*/, v225, v208
	s_set_vgpr_msb 21                       ;  msbs: dst=0 src0=1 src1=1 src2=1
	v_add3_u32 v193, v101 /*v357*/, v6 /*v262*/, v5 /*v261*/
	s_set_vgpr_msb 20                       ;  msbs: dst=0 src0=0 src1=1 src2=1
	v_add3_u32 v176, v176, v3 /*v259*/, v4 /*v260*/
	s_set_vgpr_msb 0                        ;  msbs: dst=0 src0=0 src1=0 src2=0
	v_add3_u32 v60, v60, v124, v128
	v_add3_u32 v118, v145, v118, v122
	s_set_vgpr_msb 5                        ;  msbs: dst=0 src0=1 src1=1 src2=0
	v_add3_u32 v122, v30 /*v286*/, v64 /*v320*/, v184
	s_set_vgpr_msb 21                       ;  msbs: dst=0 src0=1 src1=1 src2=1
	v_add3_u32 v105, v44 /*v300*/, v35 /*v291*/, v149 /*v405*/
	v_add3_u32 v109, v45 /*v301*/, v34 /*v290*/, v150 /*v406*/
	s_set_vgpr_msb 20                       ;  msbs: dst=0 src0=0 src1=1 src2=1
	v_add3_u32 v124, v166, v58 /*v314*/, v71 /*v327*/
	v_add3_u32 v113, v113, v54 /*v310*/, v151 /*v407*/
	s_set_vgpr_msb 5                        ;  msbs: dst=0 src0=1 src1=1 src2=0
	v_add3_u32 v128, v41 /*v297*/, v37 /*v293*/, v215
	s_set_vgpr_msb 20                       ;  msbs: dst=0 src0=0 src1=1 src2=1
	v_add3_u32 v134, v169, v38 /*v294*/, v110 /*v366*/
	s_set_vgpr_msb 0                        ;  msbs: dst=0 src0=0 src1=0 src2=0
	v_pk_mul_f32 v[26:27], v[4:5], v[26:27]
	v_pk_mul_f32 v[30:31], v[4:5], v[30:31] op_sel_hi:[0,1]
	v_pk_mul_f32 v[34:35], v[4:5], v[34:35] op_sel_hi:[0,1]
	;; [unrolled: 1-line block ×6, first 2 shown]
	v_add3_u32 v5, v186, v174, v235
	s_set_vgpr_msb 4                        ;  msbs: dst=0 src0=0 src1=1 src2=0
	v_add3_u32 v24, v121, v24 /*v280*/, v237
	s_set_vgpr_msb 20                       ;  msbs: dst=0 src0=0 src1=1 src2=1
	v_add3_u32 v121, v147, v104 /*v360*/, v106 /*v362*/
	v_add3_u32 v66, v66, v162 /*v418*/, v160 /*v416*/
	s_set_vgpr_msb 0                        ;  msbs: dst=0 src0=0 src1=0 src2=0
	v_add3_u32 v56, v185, v56, v57
	s_set_vgpr_msb 20                       ;  msbs: dst=0 src0=0 src1=1 src2=1
	v_add3_u32 v57, v140, v129 /*v385*/, v29 /*v285*/
	s_set_vgpr_msb 16                       ;  msbs: dst=0 src0=0 src1=0 src2=1
	v_add3_u32 v87, v87, v213, v103 /*v359*/
	s_set_vgpr_msb 20                       ;  msbs: dst=0 src0=0 src1=1 src2=1
	v_add3_u32 v126, v126, v222 /*v478*/, v218 /*v474*/
	v_add3_u32 v123, v123, v221 /*v477*/, v217 /*v473*/
	s_set_vgpr_msb 4                        ;  msbs: dst=0 src0=0 src1=1 src2=0
	v_add3_u32 v63, v63, v231 /*v487*/, v218
	s_set_vgpr_msb 20                       ;  msbs: dst=0 src0=0 src1=1 src2=1
	v_add3_u32 v58, v58, v137 /*v393*/, v124 /*v380*/
	s_set_vgpr_msb 1                        ;  msbs: dst=0 src0=1 src1=0 src2=0
	v_add3_u32 v138, v23 /*v279*/, v138, v144
	s_set_vgpr_msb 20                       ;  msbs: dst=0 src0=0 src1=1 src2=1
	v_add3_u32 v94, v94, v224 /*v480*/, v146 /*v402*/
	v_add3_u32 v139, v139, v145 /*v401*/, v33 /*v289*/
	s_set_vgpr_msb 4                        ;  msbs: dst=0 src0=0 src1=1 src2=0
	v_add3_u32 v141, v173, v142 /*v398*/, v219
	s_set_vgpr_msb 20                       ;  msbs: dst=0 src0=0 src1=1 src2=1
	v_add3_u32 v143, v189, v126 /*v382*/, v84 /*v340*/
	v_add3_u32 v61, v61, v132 /*v388*/, v111 /*v367*/
	;; [unrolled: 1-line block ×3, first 2 shown]
	s_set_vgpr_msb 1                        ;  msbs: dst=0 src0=1 src1=0 src2=0
	v_add3_u32 v130, v27 /*v283*/, v130, v136
	s_set_vgpr_msb 20                       ;  msbs: dst=0 src0=0 src1=1 src2=1
	v_add3_u32 v136, v183, v223 /*v479*/, v140 /*v396*/
	v_add3_u32 v115, v198, v135 /*v391*/, v228 /*v484*/
	s_set_vgpr_msb 16                       ;  msbs: dst=0 src0=0 src1=0 src2=1
	v_add3_u32 v140, v176, v200, v229 /*v485*/
	s_set_vgpr_msb 0                        ;  msbs: dst=0 src0=0 src1=0 src2=0
	v_add3_u32 v11, v193, v201, v11
	v_mul_lo_u32 v5, v5, v165
	v_mul_lo_u32 v58, v58, v167
	;; [unrolled: 1-line block ×3, first 2 shown]
	v_mad_u32 v110, v122, v95, v110
	v_mad_u32 v88, v113, v95, v88
	;; [unrolled: 1-line block ×18, first 2 shown]
	s_set_vgpr_msb 21                       ;  msbs: dst=0 src0=1 src1=1 src2=1
	v_add3_u32 v84, v25 /*v281*/, v57 /*v313*/, v72 /*v328*/
	s_set_vgpr_msb 20                       ;  msbs: dst=0 src0=0 src1=1 src2=1
	v_add3_u32 v59, v59, v99 /*v355*/, v77 /*v333*/
	s_set_vgpr_msb 16                       ;  msbs: dst=0 src0=0 src1=0 src2=1
	v_add3_u32 v85, v138, v85, v233 /*v489*/
	v_mul_lo_u32 v138, v139, v142
	v_mul_lo_u32 v94, v94, v167
	;; [unrolled: 1-line block ×6, first 2 shown]
	s_set_vgpr_msb 20                       ;  msbs: dst=0 src0=0 src1=1 src2=1
	v_add3_u32 v62, v62, v1 /*v257*/, v12 /*v268*/
	v_add3_u32 v178, v178, v11 /*v267*/, v0 /*v256*/
	s_set_vgpr_msb 0                        ;  msbs: dst=0 src0=0 src1=0 src2=0
	v_mad_u32 v54, v56, v167, v54
	v_mad_u32 v117, v136, v142, v119
	;; [unrolled: 1-line block ×5, first 2 shown]
	s_set_vgpr_msb 20                       ;  msbs: dst=0 src0=0 src1=1 src2=1
	v_add3_u32 v59, v59, v114 /*v370*/, v115 /*v371*/
	v_add3_u32 v84, v84, v125 /*v381*/, v234 /*v490*/
	;; [unrolled: 1-line block ×6, first 2 shown]
	s_set_vgpr_msb 16                       ;  msbs: dst=0 src0=0 src1=0 src2=1
	v_add3_u32 v60, v60, v199, v232 /*v488*/
	s_set_vgpr_msb 0                        ;  msbs: dst=0 src0=0 src1=0 src2=0
	v_mad_u32 v5, v18, v177, v5
	v_mad_u32 v121, v84, v167, v63
	;; [unrolled: 1-line block ×3, first 2 shown]
	v_cvt_f32_i32_e32 v59, v104
	v_cvt_f32_i32_e32 v58, v88
	;; [unrolled: 1-line block ×13, first 2 shown]
	v_mad_u32 v94, v62, v142, v94
	v_mad_u32 v119, v137, v167, v138
	;; [unrolled: 1-line block ×6, first 2 shown]
	v_cvt_f32_i32_e32 v55, v203
	v_cvt_f32_i32_e32 v85, v54
	;; [unrolled: 1-line block ×4, first 2 shown]
	v_pk_fma_f32 v[40:41], v[14:15], v[58:59], v[40:41] op_sel_hi:[0,1,1] neg_lo:[0,0,1] neg_hi:[0,0,1]
	v_pk_mul_f32 v[18:19], v[20:21], v[18:19]
	v_pk_fma_f32 v[20:21], v[160:161], v[66:67], v[26:27] neg_lo:[0,0,1] neg_hi:[0,0,1]
	v_pk_fma_f32 v[26:27], v[162:163], v[86:87], v[28:29] op_sel_hi:[0,1,1] neg_lo:[0,0,1] neg_hi:[0,0,1]
	v_pk_fma_f32 v[28:29], v[160:161], v[64:65], v[30:31] op_sel_hi:[0,1,1] neg_lo:[0,0,1] neg_hi:[0,0,1]
	v_pk_mul_f32 v[12:13], v[12:13], v[22:23]
	v_pk_fma_f32 v[22:23], v[160:161], v[88:89], v[34:35] op_sel_hi:[0,1,1] neg_lo:[0,0,1] neg_hi:[0,0,1]
	v_mov_b32_e32 v161, v4
	v_pk_mul_f32 v[16:17], v[16:17], v[24:25]
	v_pk_fma_f32 v[102:103], v[0:1], v[40:41], v[102:103]
	v_cvt_f32_i32_e32 v57, v110
	v_cvt_f32_i32_e32 v61, v105
	v_pk_mul_f32 v[0:1], v[160:161], v[54:55]
	v_cvt_f32_i32_e32 v60, v109
	v_cvt_f32_i32_e32 v63, v113
	;; [unrolled: 1-line block ×14, first 2 shown]
	v_dual_sub_f32 v18, v18, v19 :: v_dual_sub_f32 v12, v12, v13
	v_pk_fma_f32 v[90:91], v[6:7], v[22:23], v[90:91]
	v_sub_f32_e32 v6, v16, v17
	s_delay_alu instid0(VALU_DEP_3)
	v_dual_sub_f32 v13, v0, v1 :: v_dual_mul_f32 v0, v158, v18
	v_pk_fma_f32 v[42:43], v[14:15], v[60:61], v[42:43] op_sel_hi:[0,1,1] neg_lo:[0,0,1] neg_hi:[0,0,1]
	v_pk_fma_f32 v[14:15], v[14:15], v[62:63], v[44:45] op_sel_hi:[0,1,1] neg_lo:[0,0,1] neg_hi:[0,0,1]
	;; [unrolled: 1-line block ×7, first 2 shown]
	v_pk_fma_f32 v[34:35], v[162:163], v[56:57], v[46:47] neg_lo:[0,0,1] neg_hi:[0,0,1]
	v_pk_fma_f32 v[96:97], v[2:3], v[26:27], v[96:97]
	v_pk_fma_f32 v[76:77], v[148:149], v[20:21], v[76:77]
	v_mov_b32_e32 v149, v154
	v_pk_fma_f32 v[2:3], v[160:161], v[108:109], v[50:51] op_sel_hi:[0,1,1] neg_lo:[0,0,1] neg_hi:[0,0,1]
	v_dual_mul_f32 v1, v151, v12 :: v_dual_mul_f32 v7, v151, v6
	v_mul_f32_e32 v6, v154, v13
	v_pk_fma_f32 v[92:93], v[150:151], v[42:43], v[92:93]
	v_pk_fma_f32 v[80:81], v[154:155], v[14:15], v[80:81]
	;; [unrolled: 1-line block ×6, first 2 shown]
	s_wait_loadcnt 0x12
	s_set_vgpr_msb 0x50                     ;  msbs: dst=1 src0=0 src1=0 src2=1
	v_pk_fma_f32 v[168:169] /*v[424:425]*/, v[8:9], v[10:11], v[168:169] /*v[424:425]*/
	s_set_vgpr_msb 0                        ;  msbs: dst=0 src0=0 src1=0 src2=0
	v_pk_fma_f32 v[70:71], v[152:153], v[34:35], v[70:71]
	v_pk_fma_f32 v[72:73], v[148:149], v[4:5], v[72:73]
	s_wait_loadcnt 0x10
	s_set_vgpr_msb 0x50                     ;  msbs: dst=1 src0=0 src1=0 src2=1
	v_pk_fma_f32 v[170:171] /*v[426:427]*/, v[8:9], v[2:3], v[170:171] /*v[426:427]*/
	s_set_vgpr_msb 0                        ;  msbs: dst=0 src0=0 src1=0 src2=0
	v_pk_add_f32 v[74:75], v[74:75], v[0:1]
	v_pk_add_f32 v[82:83], v[82:83], v[6:7]
	s_cmp_lt_u32 s15, s16
	s_cbranch_scc1 .LBB167_13
; %bb.14:                               ;   in Loop: Header=BB167_9 Depth=2
	s_wait_loadcnt 0x0
	s_wait_storecnt 0x0
	s_barrier_signal -1
	s_barrier_wait -1
	s_set_vgpr_msb 64                       ;  msbs: dst=1 src0=0 src1=0 src2=0
	s_clause 0x13
	scratch_load_b32 v167 /*v423*/, off, off offset:120
	scratch_load_b32 v172 /*v428*/, off, off offset:124
	;; [unrolled: 1-line block ×18, first 2 shown]
	scratch_load_b64 v[202:203] /*v[458:459]*/, off, off offset:192
	scratch_load_b32 v216 /*v472*/, off, off offset:116
	s_cmp_eq_u32 s13, 4
	s_cselect_b32 s15, -1, 0
	s_delay_alu instid0(SALU_CYCLE_1)
	s_and_b32 vcc_lo, exec_lo, s15
	s_set_vgpr_msb 0                        ;  msbs: dst=0 src0=0 src1=0 src2=0
	s_cbranch_vccz .LBB167_9
	s_branch .LBB167_6
.LBB167_15:
	scratch_load_b32 v1, off, off offset:200 th:TH_LOAD_LU ; 4-byte Folded Reload
	s_wait_loadcnt 0x14
	s_set_vgpr_msb 1                        ;  msbs: dst=0 src0=1 src1=0 src2=0
	v_mov_b32_e32 v2, v167 /*v423*/
	scratch_load_b32 v0, off, off offset:432 ; 4-byte Folded Reload
	s_mov_b32 s0, exec_lo
	s_wait_loadcnt 0x0
	v_cmpx_gt_u32_e64 s4, v0
	s_set_vgpr_msb 0                        ;  msbs: dst=0 src0=0 src1=0 src2=0
	s_cbranch_execz .LBB167_3
.LBB167_16:
	v_mul_lo_u32 v5, v0, s6
	v_add_nc_u32_e32 v0, s14, v2
	s_delay_alu instid0(VALU_DEP_1)
	v_cmp_gt_u32_e32 vcc_lo, s6, v0
	s_and_saveexec_b32 s1, vcc_lo
	s_cbranch_execz .LBB167_18
; %bb.17:
	v_bfe_u32 v2, v102, 16, 1
	v_cmp_o_f32_e64 s0, v102, v102
	v_add_nc_u32_e32 v3, v0, v5
	s_delay_alu instid0(VALU_DEP_3) | instskip(NEXT) | instid1(VALU_DEP_1)
	v_add3_u32 v2, v102, v2, 0x7fff
	v_lshrrev_b32_e32 v2, 16, v2
	s_delay_alu instid0(VALU_DEP_1)
	v_cndmask_b32_e64 v2, 0x7fc0, v2, s0
	s_wait_kmcnt 0x0
	global_store_b16 v3, v2, s[8:9] scale_offset
.LBB167_18:
	s_wait_xcnt 0x0
	s_or_b32 exec_lo, exec_lo, s1
	v_add_nc_u32_e32 v2, 32, v0
	s_delay_alu instid0(VALU_DEP_1)
	v_cmp_gt_u32_e64 s0, s6, v2
	s_and_saveexec_b32 s2, s0
	s_cbranch_execz .LBB167_20
; %bb.19:
	v_bfe_u32 v3, v70, 16, 1
	v_cmp_o_f32_e64 s1, v70, v70
	v_add_nc_u32_e32 v4, v2, v5
	s_delay_alu instid0(VALU_DEP_3) | instskip(NEXT) | instid1(VALU_DEP_1)
	v_add3_u32 v3, v70, v3, 0x7fff
	v_lshrrev_b32_e32 v3, 16, v3
	s_delay_alu instid0(VALU_DEP_1)
	v_cndmask_b32_e64 v3, 0x7fc0, v3, s1
	s_wait_kmcnt 0x0
	global_store_b16 v4, v3, s[8:9] scale_offset
.LBB167_20:
	s_wait_xcnt 0x0
	s_or_b32 exec_lo, exec_lo, s2
	v_add_nc_u32_e32 v3, 64, v0
	s_delay_alu instid0(VALU_DEP_1)
	v_cmp_gt_u32_e64 s1, s6, v3
	s_and_saveexec_b32 s3, s1
	;; [unrolled: 19-line block ×3, first 2 shown]
	s_cbranch_execz .LBB167_24
; %bb.23:
	v_bfe_u32 v6, v99, 16, 1
	v_cmp_o_f32_e64 s3, v99, v99
	v_add_nc_u32_e32 v5, v4, v5
	s_delay_alu instid0(VALU_DEP_3) | instskip(NEXT) | instid1(VALU_DEP_1)
	v_add3_u32 v6, v99, v6, 0x7fff
	v_lshrrev_b32_e32 v6, 16, v6
	s_delay_alu instid0(VALU_DEP_1)
	v_cndmask_b32_e64 v6, 0x7fc0, v6, s3
	s_wait_kmcnt 0x0
	global_store_b16 v5, v6, s[8:9] scale_offset
.LBB167_24:
	s_wait_xcnt 0x0
	s_or_b32 exec_lo, exec_lo, s5
	v_add3_u32 v5, v1, s7, 8
	s_delay_alu instid0(VALU_DEP_1)
	v_cmp_gt_u32_e64 s3, s4, v5
	s_and_b32 exec_lo, exec_lo, s3
	s_cbranch_execz .LBB167_3
; %bb.25:
	v_mul_lo_u32 v5, v5, s6
	s_and_saveexec_b32 s5, vcc_lo
	s_cbranch_execnz .LBB167_65
; %bb.26:
	s_or_b32 exec_lo, exec_lo, s5
	s_and_saveexec_b32 s5, s0
	s_cbranch_execnz .LBB167_66
.LBB167_27:
	s_or_b32 exec_lo, exec_lo, s5
	s_and_saveexec_b32 s5, s1
	s_cbranch_execnz .LBB167_67
.LBB167_28:
	s_or_b32 exec_lo, exec_lo, s5
	s_and_saveexec_b32 s5, s2
	s_cbranch_execz .LBB167_30
.LBB167_29:
	v_bfe_u32 v6, v98, 16, 1
	v_cmp_o_f32_e64 s3, v98, v98
	v_add_nc_u32_e32 v5, v5, v4
	s_delay_alu instid0(VALU_DEP_3) | instskip(NEXT) | instid1(VALU_DEP_1)
	v_add3_u32 v6, v98, v6, 0x7fff
	v_lshrrev_b32_e32 v6, 16, v6
	s_delay_alu instid0(VALU_DEP_1)
	v_cndmask_b32_e64 v6, 0x7fc0, v6, s3
	s_wait_kmcnt 0x0
	global_store_b16 v5, v6, s[8:9] scale_offset
.LBB167_30:
	s_wait_xcnt 0x0
	s_or_b32 exec_lo, exec_lo, s5
	v_add3_u32 v5, v1, s7, 16
	s_delay_alu instid0(VALU_DEP_1)
	v_cmp_gt_u32_e64 s3, s4, v5
	s_and_b32 exec_lo, exec_lo, s3
	s_cbranch_execz .LBB167_3
; %bb.31:
	v_mul_lo_u32 v5, v5, s6
	s_and_saveexec_b32 s5, vcc_lo
	s_cbranch_execnz .LBB167_68
; %bb.32:
	s_or_b32 exec_lo, exec_lo, s5
	s_and_saveexec_b32 s5, s0
	s_cbranch_execnz .LBB167_69
.LBB167_33:
	s_or_b32 exec_lo, exec_lo, s5
	s_and_saveexec_b32 s5, s1
	s_cbranch_execnz .LBB167_70
.LBB167_34:
	s_or_b32 exec_lo, exec_lo, s5
	s_and_saveexec_b32 s5, s2
	s_cbranch_execz .LBB167_36
.LBB167_35:
	v_bfe_u32 v6, v77, 16, 1
	v_cmp_o_f32_e64 s3, v77, v77
	v_add_nc_u32_e32 v5, v5, v4
	s_delay_alu instid0(VALU_DEP_3) | instskip(NEXT) | instid1(VALU_DEP_1)
	v_add3_u32 v6, v77, v6, 0x7fff
	v_lshrrev_b32_e32 v6, 16, v6
	s_delay_alu instid0(VALU_DEP_1)
	v_cndmask_b32_e64 v6, 0x7fc0, v6, s3
	s_wait_kmcnt 0x0
	global_store_b16 v5, v6, s[8:9] scale_offset
.LBB167_36:
	s_wait_xcnt 0x0
	s_or_b32 exec_lo, exec_lo, s5
	v_add3_u32 v5, v1, s7, 24
	s_delay_alu instid0(VALU_DEP_1)
	v_cmp_gt_u32_e64 s3, s4, v5
	s_and_b32 exec_lo, exec_lo, s3
	s_cbranch_execz .LBB167_3
; %bb.37:
	v_mul_lo_u32 v5, v5, s6
	s_and_saveexec_b32 s5, vcc_lo
	s_cbranch_execnz .LBB167_71
; %bb.38:
	s_or_b32 exec_lo, exec_lo, s5
	s_and_saveexec_b32 s5, s0
	s_cbranch_execnz .LBB167_72
.LBB167_39:
	s_or_b32 exec_lo, exec_lo, s5
	s_and_saveexec_b32 s5, s1
	s_cbranch_execnz .LBB167_73
.LBB167_40:
	s_or_b32 exec_lo, exec_lo, s5
	s_and_saveexec_b32 s5, s2
	s_cbranch_execz .LBB167_42
.LBB167_41:
	v_bfe_u32 v6, v83, 16, 1
	v_cmp_o_f32_e64 s3, v83, v83
	v_add_nc_u32_e32 v5, v5, v4
	s_delay_alu instid0(VALU_DEP_3) | instskip(NEXT) | instid1(VALU_DEP_1)
	v_add3_u32 v6, v83, v6, 0x7fff
	v_lshrrev_b32_e32 v6, 16, v6
	s_delay_alu instid0(VALU_DEP_1)
	v_cndmask_b32_e64 v6, 0x7fc0, v6, s3
	s_wait_kmcnt 0x0
	global_store_b16 v5, v6, s[8:9] scale_offset
.LBB167_42:
	s_wait_xcnt 0x0
	s_or_b32 exec_lo, exec_lo, s5
	v_add3_u32 v5, v1, s7, 32
	s_delay_alu instid0(VALU_DEP_1)
	v_cmp_gt_u32_e64 s3, s4, v5
	s_and_b32 exec_lo, exec_lo, s3
	s_cbranch_execz .LBB167_3
; %bb.43:
	v_mul_lo_u32 v5, v5, s6
	s_and_saveexec_b32 s5, vcc_lo
	s_cbranch_execnz .LBB167_74
; %bb.44:
	s_or_b32 exec_lo, exec_lo, s5
	s_and_saveexec_b32 s5, s0
	s_cbranch_execnz .LBB167_75
.LBB167_45:
	s_or_b32 exec_lo, exec_lo, s5
	s_and_saveexec_b32 s5, s1
	s_cbranch_execnz .LBB167_76
.LBB167_46:
	s_or_b32 exec_lo, exec_lo, s5
	s_and_saveexec_b32 s5, s2
	s_cbranch_execz .LBB167_48
.LBB167_47:
	v_bfe_u32 v6, v73, 16, 1
	v_cmp_o_f32_e64 s3, v73, v73
	v_add_nc_u32_e32 v5, v5, v4
	s_delay_alu instid0(VALU_DEP_3) | instskip(NEXT) | instid1(VALU_DEP_1)
	v_add3_u32 v6, v73, v6, 0x7fff
	v_lshrrev_b32_e32 v6, 16, v6
	s_delay_alu instid0(VALU_DEP_1)
	v_cndmask_b32_e64 v6, 0x7fc0, v6, s3
	s_wait_kmcnt 0x0
	global_store_b16 v5, v6, s[8:9] scale_offset
.LBB167_48:
	s_wait_xcnt 0x0
	s_or_b32 exec_lo, exec_lo, s5
	v_add3_u32 v5, v1, s7, 40
	s_delay_alu instid0(VALU_DEP_1)
	v_cmp_gt_u32_e64 s3, s4, v5
	s_and_b32 exec_lo, exec_lo, s3
	s_cbranch_execz .LBB167_3
; %bb.49:
	v_mul_lo_u32 v5, v5, s6
	s_and_saveexec_b32 s5, vcc_lo
	s_cbranch_execnz .LBB167_77
; %bb.50:
	s_or_b32 exec_lo, exec_lo, s5
	s_and_saveexec_b32 s5, s0
	s_cbranch_execnz .LBB167_78
.LBB167_51:
	s_or_b32 exec_lo, exec_lo, s5
	s_and_saveexec_b32 s5, s1
	s_cbranch_execnz .LBB167_79
.LBB167_52:
	s_or_b32 exec_lo, exec_lo, s5
	s_and_saveexec_b32 s5, s2
	s_cbranch_execz .LBB167_54
.LBB167_53:
	v_bfe_u32 v6, v72, 16, 1
	v_cmp_o_f32_e64 s3, v72, v72
	v_add_nc_u32_e32 v5, v5, v4
	s_delay_alu instid0(VALU_DEP_3) | instskip(NEXT) | instid1(VALU_DEP_1)
	v_add3_u32 v6, v72, v6, 0x7fff
	v_lshrrev_b32_e32 v6, 16, v6
	s_delay_alu instid0(VALU_DEP_1)
	v_cndmask_b32_e64 v6, 0x7fc0, v6, s3
	s_wait_kmcnt 0x0
	global_store_b16 v5, v6, s[8:9] scale_offset
.LBB167_54:
	s_wait_xcnt 0x0
	s_or_b32 exec_lo, exec_lo, s5
	v_add3_u32 v5, v1, s7, 48
	s_delay_alu instid0(VALU_DEP_1)
	v_cmp_gt_u32_e64 s3, s4, v5
	s_and_b32 exec_lo, exec_lo, s3
	s_cbranch_execz .LBB167_3
; %bb.55:
	v_mul_lo_u32 v5, v5, s6
	s_and_saveexec_b32 s5, vcc_lo
	s_cbranch_execnz .LBB167_80
; %bb.56:
	s_or_b32 exec_lo, exec_lo, s5
	s_and_saveexec_b32 s5, s0
	s_cbranch_execnz .LBB167_81
.LBB167_57:
	s_or_b32 exec_lo, exec_lo, s5
	s_and_saveexec_b32 s5, s1
	s_cbranch_execnz .LBB167_82
.LBB167_58:
	s_or_b32 exec_lo, exec_lo, s5
	s_and_saveexec_b32 s5, s2
	s_cbranch_execz .LBB167_60
.LBB167_59:
	s_set_vgpr_msb 5                        ;  msbs: dst=0 src0=1 src1=1 src2=0
	v_bfe_u32 v6, v169 /*v425*/, 16, 1
	v_cmp_o_f32_e64 s3, v169 /*v425*/, v169 /*v425*/
	s_set_vgpr_msb 0                        ;  msbs: dst=0 src0=0 src1=0 src2=0
	v_add_nc_u32_e32 v5, v5, v4
	s_set_vgpr_msb 1                        ;  msbs: dst=0 src0=1 src1=0 src2=0
	v_add3_u32 v6, v169 /*v425*/, v6, 0x7fff
	s_delay_alu instid0(VALU_DEP_1) | instskip(NEXT) | instid1(VALU_DEP_1)
	v_lshrrev_b32_e32 v6, 16, v6
	v_cndmask_b32_e64 v6, 0x7fc0, v6, s3
	s_wait_kmcnt 0x0
	s_set_vgpr_msb 0                        ;  msbs: dst=0 src0=0 src1=0 src2=0
	global_store_b16 v5, v6, s[8:9] scale_offset
.LBB167_60:
	s_wait_xcnt 0x0
	s_or_b32 exec_lo, exec_lo, s5
	v_add3_u32 v1, v1, s7, 56
	s_delay_alu instid0(VALU_DEP_1)
	v_cmp_gt_u32_e64 s3, s4, v1
	s_and_b32 exec_lo, exec_lo, s3
	s_cbranch_execz .LBB167_3
; %bb.61:
	v_mul_lo_u32 v1, v1, s6
	s_and_saveexec_b32 s3, vcc_lo
	s_cbranch_execnz .LBB167_83
; %bb.62:
	s_or_b32 exec_lo, exec_lo, s3
	s_and_saveexec_b32 s3, s0
	s_cbranch_execnz .LBB167_84
.LBB167_63:
	s_or_b32 exec_lo, exec_lo, s3
	s_and_saveexec_b32 s0, s1
	s_cbranch_execnz .LBB167_85
.LBB167_64:
	s_or_b32 exec_lo, exec_lo, s0
	s_delay_alu instid0(SALU_CYCLE_1)
	s_and_b32 exec_lo, exec_lo, s2
	s_cbranch_execz .LBB167_3
	s_branch .LBB167_86
.LBB167_65:
	v_bfe_u32 v6, v103, 16, 1
	v_cmp_o_f32_e64 s3, v103, v103
	s_delay_alu instid0(VALU_DEP_3) | instskip(NEXT) | instid1(VALU_DEP_3)
	v_add_nc_u32_e32 v7, v5, v0
	v_add3_u32 v6, v103, v6, 0x7fff
	s_delay_alu instid0(VALU_DEP_1) | instskip(NEXT) | instid1(VALU_DEP_1)
	v_lshrrev_b32_e32 v6, 16, v6
	v_cndmask_b32_e64 v6, 0x7fc0, v6, s3
	s_wait_kmcnt 0x0
	global_store_b16 v7, v6, s[8:9] scale_offset
	s_wait_xcnt 0x0
	s_or_b32 exec_lo, exec_lo, s5
	s_and_saveexec_b32 s5, s0
	s_cbranch_execz .LBB167_27
.LBB167_66:
	v_bfe_u32 v6, v96, 16, 1
	v_cmp_o_f32_e64 s3, v96, v96
	s_delay_alu instid0(VALU_DEP_3) | instskip(NEXT) | instid1(VALU_DEP_3)
	v_add_nc_u32_e32 v7, v5, v2
	v_add3_u32 v6, v96, v6, 0x7fff
	s_delay_alu instid0(VALU_DEP_1) | instskip(NEXT) | instid1(VALU_DEP_1)
	v_lshrrev_b32_e32 v6, 16, v6
	v_cndmask_b32_e64 v6, 0x7fc0, v6, s3
	s_wait_kmcnt 0x0
	global_store_b16 v7, v6, s[8:9] scale_offset
	s_wait_xcnt 0x0
	s_or_b32 exec_lo, exec_lo, s5
	s_and_saveexec_b32 s5, s1
	s_cbranch_execz .LBB167_28
.LBB167_67:
	v_bfe_u32 v6, v100, 16, 1
	v_cmp_o_f32_e64 s3, v100, v100
	v_add_nc_u32_e32 v7, v5, v3
	s_delay_alu instid0(VALU_DEP_3) | instskip(NEXT) | instid1(VALU_DEP_1)
	v_add3_u32 v6, v100, v6, 0x7fff
	v_lshrrev_b32_e32 v6, 16, v6
	s_delay_alu instid0(VALU_DEP_1)
	v_cndmask_b32_e64 v6, 0x7fc0, v6, s3
	s_wait_kmcnt 0x0
	global_store_b16 v7, v6, s[8:9] scale_offset
	s_wait_xcnt 0x0
	s_or_b32 exec_lo, exec_lo, s5
	s_and_saveexec_b32 s5, s2
	s_cbranch_execnz .LBB167_29
	s_branch .LBB167_30
.LBB167_68:
	v_bfe_u32 v6, v92, 16, 1
	v_cmp_o_f32_e64 s3, v92, v92
	s_delay_alu instid0(VALU_DEP_3) | instskip(NEXT) | instid1(VALU_DEP_3)
	v_add_nc_u32_e32 v7, v5, v0
	v_add3_u32 v6, v92, v6, 0x7fff
	s_delay_alu instid0(VALU_DEP_1) | instskip(NEXT) | instid1(VALU_DEP_1)
	v_lshrrev_b32_e32 v6, 16, v6
	v_cndmask_b32_e64 v6, 0x7fc0, v6, s3
	s_wait_kmcnt 0x0
	global_store_b16 v7, v6, s[8:9] scale_offset
	s_wait_xcnt 0x0
	s_or_b32 exec_lo, exec_lo, s5
	s_and_saveexec_b32 s5, s0
	s_cbranch_execz .LBB167_33
.LBB167_69:
	v_bfe_u32 v6, v97, 16, 1
	v_cmp_o_f32_e64 s3, v97, v97
	s_delay_alu instid0(VALU_DEP_3) | instskip(NEXT) | instid1(VALU_DEP_3)
	v_add_nc_u32_e32 v7, v5, v2
	v_add3_u32 v6, v97, v6, 0x7fff
	s_delay_alu instid0(VALU_DEP_1) | instskip(NEXT) | instid1(VALU_DEP_1)
	v_lshrrev_b32_e32 v6, 16, v6
	v_cndmask_b32_e64 v6, 0x7fc0, v6, s3
	s_wait_kmcnt 0x0
	global_store_b16 v7, v6, s[8:9] scale_offset
	s_wait_xcnt 0x0
	s_or_b32 exec_lo, exec_lo, s5
	s_and_saveexec_b32 s5, s1
	s_cbranch_execz .LBB167_34
.LBB167_70:
	v_bfe_u32 v6, v91, 16, 1
	v_cmp_o_f32_e64 s3, v91, v91
	v_add_nc_u32_e32 v7, v5, v3
	s_delay_alu instid0(VALU_DEP_3) | instskip(NEXT) | instid1(VALU_DEP_1)
	v_add3_u32 v6, v91, v6, 0x7fff
	v_lshrrev_b32_e32 v6, 16, v6
	s_delay_alu instid0(VALU_DEP_1)
	v_cndmask_b32_e64 v6, 0x7fc0, v6, s3
	s_wait_kmcnt 0x0
	global_store_b16 v7, v6, s[8:9] scale_offset
	s_wait_xcnt 0x0
	s_or_b32 exec_lo, exec_lo, s5
	s_and_saveexec_b32 s5, s2
	s_cbranch_execnz .LBB167_35
	s_branch .LBB167_36
.LBB167_71:
	v_bfe_u32 v6, v93, 16, 1
	v_cmp_o_f32_e64 s3, v93, v93
	s_delay_alu instid0(VALU_DEP_3) | instskip(NEXT) | instid1(VALU_DEP_3)
	v_add_nc_u32_e32 v7, v5, v0
	v_add3_u32 v6, v93, v6, 0x7fff
	s_delay_alu instid0(VALU_DEP_1) | instskip(NEXT) | instid1(VALU_DEP_1)
	v_lshrrev_b32_e32 v6, 16, v6
	v_cndmask_b32_e64 v6, 0x7fc0, v6, s3
	s_wait_kmcnt 0x0
	global_store_b16 v7, v6, s[8:9] scale_offset
	s_wait_xcnt 0x0
	s_or_b32 exec_lo, exec_lo, s5
	s_and_saveexec_b32 s5, s0
	s_cbranch_execz .LBB167_39
.LBB167_72:
	v_bfe_u32 v6, v75, 16, 1
	v_cmp_o_f32_e64 s3, v75, v75
	s_delay_alu instid0(VALU_DEP_3) | instskip(NEXT) | instid1(VALU_DEP_3)
	v_add_nc_u32_e32 v7, v5, v2
	v_add3_u32 v6, v75, v6, 0x7fff
	s_delay_alu instid0(VALU_DEP_1) | instskip(NEXT) | instid1(VALU_DEP_1)
	v_lshrrev_b32_e32 v6, 16, v6
	v_cndmask_b32_e64 v6, 0x7fc0, v6, s3
	s_wait_kmcnt 0x0
	global_store_b16 v7, v6, s[8:9] scale_offset
	s_wait_xcnt 0x0
	s_or_b32 exec_lo, exec_lo, s5
	s_and_saveexec_b32 s5, s1
	s_cbranch_execz .LBB167_40
.LBB167_73:
	v_bfe_u32 v6, v90, 16, 1
	v_cmp_o_f32_e64 s3, v90, v90
	v_add_nc_u32_e32 v7, v5, v3
	s_delay_alu instid0(VALU_DEP_3) | instskip(NEXT) | instid1(VALU_DEP_1)
	v_add3_u32 v6, v90, v6, 0x7fff
	v_lshrrev_b32_e32 v6, 16, v6
	s_delay_alu instid0(VALU_DEP_1)
	v_cndmask_b32_e64 v6, 0x7fc0, v6, s3
	s_wait_kmcnt 0x0
	global_store_b16 v7, v6, s[8:9] scale_offset
	s_wait_xcnt 0x0
	s_or_b32 exec_lo, exec_lo, s5
	s_and_saveexec_b32 s5, s2
	s_cbranch_execnz .LBB167_41
	s_branch .LBB167_42
.LBB167_74:
	v_bfe_u32 v6, v80, 16, 1
	v_cmp_o_f32_e64 s3, v80, v80
	s_delay_alu instid0(VALU_DEP_3) | instskip(NEXT) | instid1(VALU_DEP_3)
	v_add_nc_u32_e32 v7, v5, v0
	v_add3_u32 v6, v80, v6, 0x7fff
	s_delay_alu instid0(VALU_DEP_1) | instskip(NEXT) | instid1(VALU_DEP_1)
	v_lshrrev_b32_e32 v6, 16, v6
	v_cndmask_b32_e64 v6, 0x7fc0, v6, s3
	s_wait_kmcnt 0x0
	global_store_b16 v7, v6, s[8:9] scale_offset
	s_wait_xcnt 0x0
	s_or_b32 exec_lo, exec_lo, s5
	s_and_saveexec_b32 s5, s0
	s_cbranch_execz .LBB167_45
.LBB167_75:
	v_bfe_u32 v6, v78, 16, 1
	v_cmp_o_f32_e64 s3, v78, v78
	s_delay_alu instid0(VALU_DEP_3) | instskip(NEXT) | instid1(VALU_DEP_3)
	v_add_nc_u32_e32 v7, v5, v2
	v_add3_u32 v6, v78, v6, 0x7fff
	s_delay_alu instid0(VALU_DEP_1) | instskip(NEXT) | instid1(VALU_DEP_1)
	v_lshrrev_b32_e32 v6, 16, v6
	v_cndmask_b32_e64 v6, 0x7fc0, v6, s3
	s_wait_kmcnt 0x0
	global_store_b16 v7, v6, s[8:9] scale_offset
	s_wait_xcnt 0x0
	s_or_b32 exec_lo, exec_lo, s5
	s_and_saveexec_b32 s5, s1
	s_cbranch_execz .LBB167_46
.LBB167_76:
	v_bfe_u32 v6, v82, 16, 1
	v_cmp_o_f32_e64 s3, v82, v82
	v_add_nc_u32_e32 v7, v5, v3
	s_delay_alu instid0(VALU_DEP_3) | instskip(NEXT) | instid1(VALU_DEP_1)
	v_add3_u32 v6, v82, v6, 0x7fff
	v_lshrrev_b32_e32 v6, 16, v6
	s_delay_alu instid0(VALU_DEP_1)
	v_cndmask_b32_e64 v6, 0x7fc0, v6, s3
	s_wait_kmcnt 0x0
	global_store_b16 v7, v6, s[8:9] scale_offset
	s_wait_xcnt 0x0
	s_or_b32 exec_lo, exec_lo, s5
	s_and_saveexec_b32 s5, s2
	s_cbranch_execnz .LBB167_47
	s_branch .LBB167_48
.LBB167_77:
	v_bfe_u32 v6, v81, 16, 1
	v_cmp_o_f32_e64 s3, v81, v81
	s_delay_alu instid0(VALU_DEP_3) | instskip(NEXT) | instid1(VALU_DEP_3)
	v_add_nc_u32_e32 v7, v5, v0
	v_add3_u32 v6, v81, v6, 0x7fff
	s_delay_alu instid0(VALU_DEP_1) | instskip(NEXT) | instid1(VALU_DEP_1)
	v_lshrrev_b32_e32 v6, 16, v6
	v_cndmask_b32_e64 v6, 0x7fc0, v6, s3
	s_wait_kmcnt 0x0
	global_store_b16 v7, v6, s[8:9] scale_offset
	s_wait_xcnt 0x0
	s_or_b32 exec_lo, exec_lo, s5
	s_and_saveexec_b32 s5, s0
	s_cbranch_execz .LBB167_51
.LBB167_78:
	v_bfe_u32 v6, v79, 16, 1
	v_cmp_o_f32_e64 s3, v79, v79
	s_delay_alu instid0(VALU_DEP_3) | instskip(NEXT) | instid1(VALU_DEP_3)
	v_add_nc_u32_e32 v7, v5, v2
	v_add3_u32 v6, v79, v6, 0x7fff
	s_delay_alu instid0(VALU_DEP_1) | instskip(NEXT) | instid1(VALU_DEP_1)
	v_lshrrev_b32_e32 v6, 16, v6
	v_cndmask_b32_e64 v6, 0x7fc0, v6, s3
	s_wait_kmcnt 0x0
	global_store_b16 v7, v6, s[8:9] scale_offset
	s_wait_xcnt 0x0
	s_or_b32 exec_lo, exec_lo, s5
	s_and_saveexec_b32 s5, s1
	s_cbranch_execz .LBB167_52
.LBB167_79:
	v_bfe_u32 v6, v76, 16, 1
	v_cmp_o_f32_e64 s3, v76, v76
	v_add_nc_u32_e32 v7, v5, v3
	s_delay_alu instid0(VALU_DEP_3) | instskip(NEXT) | instid1(VALU_DEP_1)
	v_add3_u32 v6, v76, v6, 0x7fff
	v_lshrrev_b32_e32 v6, 16, v6
	s_delay_alu instid0(VALU_DEP_1)
	v_cndmask_b32_e64 v6, 0x7fc0, v6, s3
	s_wait_kmcnt 0x0
	global_store_b16 v7, v6, s[8:9] scale_offset
	s_wait_xcnt 0x0
	s_or_b32 exec_lo, exec_lo, s5
	s_and_saveexec_b32 s5, s2
	s_cbranch_execnz .LBB167_53
	s_branch .LBB167_54
.LBB167_80:
	v_bfe_u32 v6, v74, 16, 1
	v_cmp_o_f32_e64 s3, v74, v74
	s_delay_alu instid0(VALU_DEP_3) | instskip(NEXT) | instid1(VALU_DEP_3)
	v_add_nc_u32_e32 v7, v5, v0
	v_add3_u32 v6, v74, v6, 0x7fff
	s_delay_alu instid0(VALU_DEP_1) | instskip(NEXT) | instid1(VALU_DEP_1)
	v_lshrrev_b32_e32 v6, 16, v6
	v_cndmask_b32_e64 v6, 0x7fc0, v6, s3
	s_wait_kmcnt 0x0
	global_store_b16 v7, v6, s[8:9] scale_offset
	s_wait_xcnt 0x0
	s_or_b32 exec_lo, exec_lo, s5
	s_and_saveexec_b32 s5, s0
	s_cbranch_execz .LBB167_57
.LBB167_81:
	v_bfe_u32 v6, v68, 16, 1
	v_cmp_o_f32_e64 s3, v68, v68
	s_delay_alu instid0(VALU_DEP_3) | instskip(NEXT) | instid1(VALU_DEP_3)
	v_add_nc_u32_e32 v7, v5, v2
	v_add3_u32 v6, v68, v6, 0x7fff
	s_delay_alu instid0(VALU_DEP_1) | instskip(NEXT) | instid1(VALU_DEP_1)
	v_lshrrev_b32_e32 v6, 16, v6
	v_cndmask_b32_e64 v6, 0x7fc0, v6, s3
	s_wait_kmcnt 0x0
	global_store_b16 v7, v6, s[8:9] scale_offset
	s_wait_xcnt 0x0
	s_or_b32 exec_lo, exec_lo, s5
	s_and_saveexec_b32 s5, s1
	s_cbranch_execz .LBB167_58
.LBB167_82:
	s_set_vgpr_msb 5                        ;  msbs: dst=0 src0=1 src1=1 src2=0
	v_bfe_u32 v6, v171 /*v427*/, 16, 1
	v_cmp_o_f32_e64 s3, v171 /*v427*/, v171 /*v427*/
	s_set_vgpr_msb 0                        ;  msbs: dst=0 src0=0 src1=0 src2=0
	v_add_nc_u32_e32 v7, v5, v3
	s_set_vgpr_msb 1                        ;  msbs: dst=0 src0=1 src1=0 src2=0
	v_add3_u32 v6, v171 /*v427*/, v6, 0x7fff
	s_delay_alu instid0(VALU_DEP_1) | instskip(NEXT) | instid1(VALU_DEP_1)
	v_lshrrev_b32_e32 v6, 16, v6
	v_cndmask_b32_e64 v6, 0x7fc0, v6, s3
	s_wait_kmcnt 0x0
	s_set_vgpr_msb 0                        ;  msbs: dst=0 src0=0 src1=0 src2=0
	global_store_b16 v7, v6, s[8:9] scale_offset
	s_wait_xcnt 0x0
	s_or_b32 exec_lo, exec_lo, s5
	s_and_saveexec_b32 s5, s2
	s_cbranch_execnz .LBB167_59
	s_branch .LBB167_60
.LBB167_83:
	v_bfe_u32 v5, v71, 16, 1
	v_cmp_o_f32_e32 vcc_lo, v71, v71
	s_delay_alu instid0(VALU_DEP_3) | instskip(NEXT) | instid1(VALU_DEP_3)
	v_add_nc_u32_e32 v0, v1, v0
	v_add3_u32 v5, v71, v5, 0x7fff
	s_delay_alu instid0(VALU_DEP_1) | instskip(NEXT) | instid1(VALU_DEP_1)
	v_lshrrev_b32_e32 v5, 16, v5
	v_cndmask_b32_e32 v5, 0x7fc0, v5, vcc_lo
	s_wait_kmcnt 0x0
	global_store_b16 v0, v5, s[8:9] scale_offset
	s_wait_xcnt 0x0
	s_or_b32 exec_lo, exec_lo, s3
	s_and_saveexec_b32 s3, s0
	s_cbranch_execz .LBB167_63
.LBB167_84:
	v_bfe_u32 v0, v69, 16, 1
	v_cmp_o_f32_e32 vcc_lo, v69, v69
	s_delay_alu instid0(VALU_DEP_3) | instskip(NEXT) | instid1(VALU_DEP_3)
	v_add_nc_u32_e32 v2, v1, v2
	v_add3_u32 v0, v69, v0, 0x7fff
	s_delay_alu instid0(VALU_DEP_1) | instskip(NEXT) | instid1(VALU_DEP_1)
	v_lshrrev_b32_e32 v0, 16, v0
	v_cndmask_b32_e32 v0, 0x7fc0, v0, vcc_lo
	s_wait_kmcnt 0x0
	global_store_b16 v2, v0, s[8:9] scale_offset
	s_wait_xcnt 0x0
	s_or_b32 exec_lo, exec_lo, s3
	s_and_saveexec_b32 s0, s1
	s_cbranch_execz .LBB167_64
.LBB167_85:
	s_set_vgpr_msb 5                        ;  msbs: dst=0 src0=1 src1=1 src2=0
	v_bfe_u32 v0, v170 /*v426*/, 16, 1
	v_cmp_o_f32_e32 vcc_lo, v170 /*v426*/, v170 /*v426*/
	s_set_vgpr_msb 0                        ;  msbs: dst=0 src0=0 src1=0 src2=0
	v_add_nc_u32_e32 v2, v1, v3
	s_set_vgpr_msb 1                        ;  msbs: dst=0 src0=1 src1=0 src2=0
	v_add3_u32 v0, v170 /*v426*/, v0, 0x7fff
	s_delay_alu instid0(VALU_DEP_1) | instskip(NEXT) | instid1(VALU_DEP_1)
	v_lshrrev_b32_e32 v0, 16, v0
	v_cndmask_b32_e32 v0, 0x7fc0, v0, vcc_lo
	s_wait_kmcnt 0x0
	s_set_vgpr_msb 0                        ;  msbs: dst=0 src0=0 src1=0 src2=0
	global_store_b16 v2, v0, s[8:9] scale_offset
	s_wait_xcnt 0x0
	s_or_b32 exec_lo, exec_lo, s0
	s_delay_alu instid0(SALU_CYCLE_1)
	s_and_b32 exec_lo, exec_lo, s2
	s_cbranch_execz .LBB167_3
.LBB167_86:
	s_set_vgpr_msb 5                        ;  msbs: dst=0 src0=1 src1=1 src2=0
	v_bfe_u32 v0, v168 /*v424*/, 16, 1
	v_cmp_o_f32_e32 vcc_lo, v168 /*v424*/, v168 /*v424*/
	s_set_vgpr_msb 0                        ;  msbs: dst=0 src0=0 src1=0 src2=0
	v_add_nc_u32_e32 v1, v1, v4
	s_set_vgpr_msb 1                        ;  msbs: dst=0 src0=1 src1=0 src2=0
	v_add3_u32 v0, v168 /*v424*/, v0, 0x7fff
	s_delay_alu instid0(VALU_DEP_1) | instskip(NEXT) | instid1(VALU_DEP_1)
	v_lshrrev_b32_e32 v0, 16, v0
	v_cndmask_b32_e32 v0, 0x7fc0, v0, vcc_lo
	s_wait_kmcnt 0x0
	s_set_vgpr_msb 0                        ;  msbs: dst=0 src0=0 src1=0 src2=0
	global_store_b16 v1, v0, s[8:9] scale_offset
	s_sendmsg sendmsg(MSG_DEALLOC_VGPRS)
	s_endpgm
	.section	.rodata,"a",@progbits
	.p2align	6, 0x0
	.amdhsa_kernel _ZL12mul_mat_q2_KIN3c108BFloat16ELb0EEvPKvS3_PT_iiiii
		.amdhsa_group_segment_fixed_size 31392
		.amdhsa_private_segment_fixed_size 440
		.amdhsa_kernarg_size 44
		.amdhsa_user_sgpr_count 2
		.amdhsa_user_sgpr_dispatch_ptr 0
		.amdhsa_user_sgpr_queue_ptr 0
		.amdhsa_user_sgpr_kernarg_segment_ptr 1
		.amdhsa_user_sgpr_dispatch_id 0
		.amdhsa_user_sgpr_kernarg_preload_length 0
		.amdhsa_user_sgpr_kernarg_preload_offset 0
		.amdhsa_user_sgpr_private_segment_size 0
		.amdhsa_wavefront_size32 1
		.amdhsa_uses_dynamic_stack 0
		.amdhsa_enable_private_segment 1
		.amdhsa_system_sgpr_workgroup_id_x 1
		.amdhsa_system_sgpr_workgroup_id_y 1
		.amdhsa_system_sgpr_workgroup_id_z 0
		.amdhsa_system_sgpr_workgroup_info 0
		.amdhsa_system_vgpr_workitem_id 1
		.amdhsa_next_free_vgpr 512
		.amdhsa_next_free_sgpr 22
		.amdhsa_named_barrier_count 0
		.amdhsa_reserve_vcc 1
		.amdhsa_float_round_mode_32 0
		.amdhsa_float_round_mode_16_64 0
		.amdhsa_float_denorm_mode_32 3
		.amdhsa_float_denorm_mode_16_64 3
		.amdhsa_fp16_overflow 0
		.amdhsa_memory_ordered 1
		.amdhsa_forward_progress 1
		.amdhsa_inst_pref_size 255
		.amdhsa_round_robin_scheduling 0
		.amdhsa_exception_fp_ieee_invalid_op 0
		.amdhsa_exception_fp_denorm_src 0
		.amdhsa_exception_fp_ieee_div_zero 0
		.amdhsa_exception_fp_ieee_overflow 0
		.amdhsa_exception_fp_ieee_underflow 0
		.amdhsa_exception_fp_ieee_inexact 0
		.amdhsa_exception_int_div_zero 0
	.end_amdhsa_kernel
	.section	.text._ZL12mul_mat_q2_KIN3c108BFloat16ELb0EEvPKvS3_PT_iiiii,"axG",@progbits,_ZL12mul_mat_q2_KIN3c108BFloat16ELb0EEvPKvS3_PT_iiiii,comdat
.Lfunc_end167:
	.size	_ZL12mul_mat_q2_KIN3c108BFloat16ELb0EEvPKvS3_PT_iiiii, .Lfunc_end167-_ZL12mul_mat_q2_KIN3c108BFloat16ELb0EEvPKvS3_PT_iiiii
                                        ; -- End function
	.set _ZL12mul_mat_q2_KIN3c108BFloat16ELb0EEvPKvS3_PT_iiiii.num_vgpr, 512
	.set _ZL12mul_mat_q2_KIN3c108BFloat16ELb0EEvPKvS3_PT_iiiii.num_agpr, 0
	.set _ZL12mul_mat_q2_KIN3c108BFloat16ELb0EEvPKvS3_PT_iiiii.numbered_sgpr, 22
	.set _ZL12mul_mat_q2_KIN3c108BFloat16ELb0EEvPKvS3_PT_iiiii.num_named_barrier, 0
	.set _ZL12mul_mat_q2_KIN3c108BFloat16ELb0EEvPKvS3_PT_iiiii.private_seg_size, 440
	.set _ZL12mul_mat_q2_KIN3c108BFloat16ELb0EEvPKvS3_PT_iiiii.uses_vcc, 1
	.set _ZL12mul_mat_q2_KIN3c108BFloat16ELb0EEvPKvS3_PT_iiiii.uses_flat_scratch, 1
	.set _ZL12mul_mat_q2_KIN3c108BFloat16ELb0EEvPKvS3_PT_iiiii.has_dyn_sized_stack, 0
	.set _ZL12mul_mat_q2_KIN3c108BFloat16ELb0EEvPKvS3_PT_iiiii.has_recursion, 0
	.set _ZL12mul_mat_q2_KIN3c108BFloat16ELb0EEvPKvS3_PT_iiiii.has_indirect_call, 0
	.section	.AMDGPU.csdata,"",@progbits
; Kernel info:
; codeLenInByte = 55728
; TotalNumSgprs: 24
; NumVgprs: 512
; ScratchSize: 440
; MemoryBound: 0
; FloatMode: 240
; IeeeMode: 1
; LDSByteSize: 31392 bytes/workgroup (compile time only)
; SGPRBlocks: 0
; VGPRBlocks: 31
; NumSGPRsForWavesPerEU: 24
; NumVGPRsForWavesPerEU: 512
; NamedBarCnt: 0
; Occupancy: 2
; WaveLimiterHint : 0
; COMPUTE_PGM_RSRC2:SCRATCH_EN: 1
; COMPUTE_PGM_RSRC2:USER_SGPR: 2
; COMPUTE_PGM_RSRC2:TRAP_HANDLER: 0
; COMPUTE_PGM_RSRC2:TGID_X_EN: 1
; COMPUTE_PGM_RSRC2:TGID_Y_EN: 1
; COMPUTE_PGM_RSRC2:TGID_Z_EN: 0
; COMPUTE_PGM_RSRC2:TIDIG_COMP_CNT: 1
	.section	.text._ZL12mul_mat_q2_KIN3c108BFloat16ELb1EEvPKvS3_PT_iiiii,"axG",@progbits,_ZL12mul_mat_q2_KIN3c108BFloat16ELb1EEvPKvS3_PT_iiiii,comdat
	.globl	_ZL12mul_mat_q2_KIN3c108BFloat16ELb1EEvPKvS3_PT_iiiii ; -- Begin function _ZL12mul_mat_q2_KIN3c108BFloat16ELb1EEvPKvS3_PT_iiiii
	.p2align	8
	.type	_ZL12mul_mat_q2_KIN3c108BFloat16ELb1EEvPKvS3_PT_iiiii,@function
_ZL12mul_mat_q2_KIN3c108BFloat16ELb1EEvPKvS3_PT_iiiii: ; @_ZL12mul_mat_q2_KIN3c108BFloat16ELb1EEvPKvS3_PT_iiiii
; %bb.0:
	s_clause 0x1
	s_load_b128 s[4:7], s[0:1], 0x18
	s_load_b32 s12, s[0:1], 0x28
	s_bfe_u32 s2, ttmp6, 0x4000c
	s_bfe_u32 s8, ttmp6, 0x40010
	s_add_co_i32 s2, s2, 1
	s_and_b32 s3, ttmp6, 15
	s_mul_i32 s2, ttmp9, s2
	s_add_co_i32 s8, s8, 1
	s_add_co_i32 s3, s3, s2
	s_mul_i32 s2, ttmp7, s8
	s_bfe_u32 s8, ttmp6, 0x40004
	s_getreg_b32 s9, hwreg(HW_REG_IB_STS2, 6, 4)
	s_add_co_i32 s8, s8, s2
	s_cmp_eq_u32 s9, 0
	v_bfe_u32 v48, v0, 10, 10
	s_cselect_b32 s8, ttmp7, s8
	v_and_b32_e32 v72, 0x3ff, v0
	s_cselect_b32 s2, ttmp9, s3
	s_lshl_b32 s13, s8, 6
	s_mov_b32 s3, 0
	s_wait_kmcnt 0x0
	s_cmp_gt_i32 s4, 0xff
	s_cbranch_scc1 .LBB168_4
; %bb.1:
	v_bfe_u32 v1, v0, 10, 10
	v_and_b32_e32 v2, 0x3ff, v0
	s_delay_alu instid0(VALU_DEP_2)
	v_add_nc_u32_e32 v3, s13, v1
	scratch_store_b32 off, v3, off offset:536 ; 4-byte Folded Spill
	s_load_b64 s[8:9], s[0:1], 0x10
	s_and_not1_b32 vcc_lo, exec_lo, s3
	s_lshl_b32 s14, s2, 7
	s_cbranch_vccz .LBB168_5
; %bb.2:
	v_dual_mov_b32 v74, 0 :: v_dual_mov_b32 v75, 0
	v_mov_b64_e32 v[64:65], 0
	v_mov_b64_e32 v[94:95], 0
	;; [unrolled: 1-line block ×6, first 2 shown]
	v_dual_mov_b32 v87, 0 :: v_dual_mov_b32 v79, 0
	v_dual_mov_b32 v78, 0 :: v_dual_mov_b32 v86, 0
	;; [unrolled: 1-line block ×9, first 2 shown]
	scratch_load_b32 v0, off, off offset:536 ; 4-byte Folded Reload
	s_mov_b32 s0, exec_lo
	s_wait_loadcnt 0x0
	v_cmpx_gt_u32_e64 s6, v0
	s_cbranch_execnz .LBB168_16
.LBB168_3:
	s_sendmsg sendmsg(MSG_DEALLOC_VGPRS)
	s_endpgm
.LBB168_4:
                                        ; implicit-def: $vgpr1
                                        ; implicit-def: $vgpr2
                                        ; implicit-def: $vgpr3
                                        ; kill: killed $vgpr3
	s_load_b64 s[8:9], s[0:1], 0x10
	s_lshl_b32 s14, s2, 7
.LBB168_5:
	v_dual_lshlrev_b32 v1, 2, v72 :: v_dual_mov_b32 v51, 0
	v_bfe_u32 v2, v0, 1, 9
	s_not_b32 s16, s14
	v_and_b32_e32 v42, 1, v0
	s_delay_alu instid0(VALU_DEP_3) | instskip(NEXT) | instid1(VALU_DEP_3)
	v_dual_add_nc_u32 v24, 16, v48 :: v_dual_bitop2_b32 v50, 60, v1 bitop3:0x40
	v_lshl_add_u32 v2, v48, 4, v2
	s_add_co_i32 s5, s5, s16
	s_delay_alu instid0(SALU_CYCLE_1) | instskip(NEXT) | instid1(VALU_DEP_3)
	v_dual_add_nc_u32 v20, 8, v48 :: v_dual_min_i32 v21, s5, v48
	v_min_i32_e32 v28, s5, v24
	s_delay_alu instid0(VALU_DEP_3) | instskip(SKIP_2) | instid1(VALU_DEP_4)
	v_and_b32_e32 v2, 0x7f, v2
	v_dual_mov_b32 v40, v42 :: v_dual_add_nc_u32 v26, 32, v48
	v_add_nc_u32_e32 v27, 40, v48
	v_mad_u32 v3, 0x84, v28, v1
	s_delay_alu instid0(VALU_DEP_4) | instskip(SKIP_3) | instid1(VALU_DEP_4)
	v_dual_add_nc_u32 v25, 24, v48 :: v_dual_min_i32 v23, s5, v2
	v_mad_u32 v2, 0x84, v21, v1
	v_min_i32_e32 v22, s5, v20
	v_dual_add_nc_u32 v32, 48, v48 :: v_dual_min_i32 v30, s5, v26
	v_min_i32_e32 v29, s5, v25
	v_dual_add_nc_u32 v15, s13, v48 :: v_dual_min_i32 v31, s5, v27
	s_clause 0x2
	scratch_store_b64 off, v[40:41], off offset:268
	scratch_store_b32 off, v3, off offset:256
	scratch_store_b64 off, v[50:51], off offset:240
	s_wait_xcnt 0x1
	v_mad_u32 v3, 0x84, v29, v1
	scratch_store_b32 off, v2, off offset:248 ; 4-byte Folded Spill
	s_wait_xcnt 0x0
	v_mad_u32 v2, 0x84, v22, v1
	v_lshlrev_b32_e32 v40, 2, v42
	v_mad_u32 v42, 0x84, v31, v1
	s_ashr_i32 s10, s4, 31
	s_ashr_i32 s11, s7, 31
	s_lshr_b32 s10, s10, 24
	s_lshr_b32 s11, s11, 27
	s_add_co_i32 s4, s4, s10
	v_dual_add_nc_u32 v8, 16, v15 :: v_dual_add_nc_u32 v10, 24, v15
	s_clause 0x1
	scratch_store_b32 off, v3, off offset:260
	scratch_store_b32 off, v2, off offset:252
	s_wait_xcnt 0x1
	v_mad_u32 v3, 0x84, v30, v1
	s_wait_xcnt 0x0
	v_ashrrev_i32_e32 v2, 31, v23
	s_ashr_i32 s15, s4, 8
	s_add_co_i32 s4, s7, s11
	s_add_co_i32 s7, s6, -1
	v_cvt_f64_u32_e32 v[4:5], v15
	v_lshrrev_b32_e32 v2, 28, v2
	v_cvt_f64_u32_e32 v[10:11], v10
	v_cvt_f64_u32_e32 v[8:9], v8
	v_dual_add_nc_u32 v6, 8, v15 :: v_dual_add_nc_u32 v14, 40, v15
	s_delay_alu instid0(VALU_DEP_4)
	v_dual_add_nc_u32 v17, 48, v15 :: v_dual_add_nc_u32 v2, v23, v2
	s_clause 0x1
	scratch_store_b32 off, v3, off offset:264
	scratch_store_b32 off, v15, off offset:536
	s_wait_xcnt 0x1
	v_bfe_u32 v3, v0, 3, 7
	v_cvt_f64_u32_e32 v[6:7], v6
	v_dual_ashrrev_i32 v33, 4, v2 :: v_dual_add_nc_u32 v12, 32, v15
	v_and_b32_e32 v38, 7, v0
	s_delay_alu instid0(VALU_DEP_4) | instskip(SKIP_1) | instid1(VALU_DEP_4)
	v_lshl_add_u32 v34, v48, 2, v3
	v_cvt_f64_i32_e32 v[2:3], s7
	v_lshlrev_b32_e32 v33, 2, v33
	v_cvt_f64_u32_e32 v[12:13], v12
	v_bfe_u32 v43, v0, 2, 8
	v_min_i32_e32 v35, s5, v34
	v_add_min_i32_e64 v37, v34, 32, s5
	s_ashr_i32 s4, s4, 5
	v_lshlrev_b32_e32 v41, 2, v38
	v_lshl_add_u32 v46, v48, 3, v43
	v_ashrrev_i32_e32 v16, 31, v35
	v_dual_add_nc_u32 v18, 56, v15 :: v_dual_ashrrev_i32 v39, 31, v37
	s_wait_xcnt 0x0
	v_cvt_f64_u32_e32 v[14:15], v14
	s_delay_alu instid0(VALU_DEP_3)
	v_dual_lshrrev_b32 v36, 30, v16 :: v_dual_bitop2_b32 v46, 63, v46 bitop3:0x40
	v_cvt_f64_u32_e32 v[16:17], v17
	v_cvt_f64_u32_e32 v[18:19], v18
	v_lshrrev_b32_e32 v39, 30, v39
	v_add3_u32 v33, v33, v40, 0x7280
	v_add_min_i32_e64 v40, v34, 64, s5
	v_add_min_i32_e64 v34, 0x60, v34, s5
	s_delay_alu instid0(VALU_DEP_4) | instskip(SKIP_1) | instid1(VALU_DEP_3)
	v_dual_add_nc_u32 v36, v35, v36 :: v_dual_add_nc_u32 v39, v37, v39
	s_load_b128 s[0:3], s[0:1], 0x0
	v_ashrrev_i32_e32 v44, 31, v40
	v_cmp_lt_u32_e32 vcc_lo, 3, v38
	s_delay_alu instid0(VALU_DEP_3)
	v_and_b32_e32 v36, -4, v36
	s_mul_i32 s10, s15, s14
	v_mov_b64_e32 v[70:71], 0
	v_dual_lshrrev_b32 v44, 30, v44 :: v_dual_ashrrev_i32 v45, 31, v34
	v_mov_b64_e32 v[68:69], 0
	v_min_num_f64_e32 v[4:5], v[4:5], v[2:3]
	v_mov_b64_e32 v[98:99], 0
	s_delay_alu instid0(VALU_DEP_4) | instskip(SKIP_2) | instid1(VALU_DEP_3)
	v_dual_min_num_f64 v[10:11], v[10:11], v[2:3] :: v_dual_add_nc_u32 v44, v40, v44
	v_dual_min_num_f64 v[6:7], v[6:7], v[2:3] :: v_dual_lshrrev_b32 v45, 30, v45
	v_min_num_f64_e32 v[8:9], v[8:9], v[2:3]
	v_dual_min_num_f64 v[12:13], v[12:13], v[2:3] :: v_dual_bitop2_b32 v44, -4, v44 bitop3:0x40
	v_mov_b64_e32 v[66:67], 0
	v_mov_b64_e32 v[94:95], 0
	;; [unrolled: 1-line block ×3, first 2 shown]
	v_min_num_f64_e32 v[14:15], v[14:15], v[2:3]
	v_mov_b64_e32 v[212:213], 0
	v_mov_b64_e32 v[78:79], 0
	v_min_num_f64_e32 v[16:17], v[16:17], v[2:3]
	v_min_num_f64_e32 v[2:3], v[18:19], v[2:3]
	v_and_b32_e32 v19, -4, v39
	v_dual_add_nc_u32 v18, v34, v45 :: v_dual_bitop2_b32 v39, s13, v46 bitop3:0x54
	v_and_b32_e32 v45, 3, v0
	v_mov_b64_e32 v[74:75], 0
	v_mov_b64_e32 v[90:91], 0
	s_delay_alu instid0(VALU_DEP_4) | instskip(NEXT) | instid1(VALU_DEP_4)
	v_min_i32_e32 v39, s7, v39
	v_dual_lshlrev_b32 v47, 2, v45 :: v_dual_bitop2_b32 v18, -4, v18 bitop3:0x40
	v_mov_b64_e32 v[82:83], 0
	v_mov_b64_e32 v[92:93], 0
	;; [unrolled: 1-line block ×6, first 2 shown]
	v_cvt_i32_f64_e32 v4, v[4:5]
	v_lshlrev_b32_e32 v5, 5, v37
	s_ashr_i32 s11, s10, 31
	v_cvt_i32_f64_e32 v10, v[10:11]
	v_lshlrev_b32_e32 v11, 5, v34
	v_mad_u32 v39, v39, s4, v45
	v_cvt_i32_f64_e32 v6, v[6:7]
	scratch_store_b32 off, v42, off offset:276 ; 4-byte Folded Spill
	s_wait_xcnt 0x0
	v_min_i32_e32 v42, s5, v32
	v_cvt_i32_f64_e32 v8, v[8:9]
	v_lshlrev_b32_e32 v9, 5, v40
	v_add3_u32 v19, v19, v41, 0x6200
	v_cvt_i32_f64_e32 v12, v[12:13]
	v_add3_u32 v36, v36, v41, 0x6200
	v_add3_u32 v44, v44, v41, 0x6200
	s_delay_alu instid0(VALU_DEP_4)
	v_dual_add_nc_u32 v5, v19, v5 :: v_dual_bitop2_b32 v7, 31, v0 bitop3:0x40
	scratch_store_b32 off, v39, off offset:280 ; 4-byte Folded Spill
	s_wait_xcnt 0x0
	v_lshlrev_b32_e32 v39, 3, v23
	v_add3_u32 v18, v18, v41, 0x6200
	v_add_nc_u32_e32 v41, 56, v48
	v_lshl_or_b32 v45, v46, 4, v47
	v_lshlrev_b32_e32 v46, 5, v35
	v_cvt_i32_f64_e32 v14, v[14:15]
	v_lshlrev_b32_e32 v15, 7, v20
	v_cvt_i32_f64_e32 v47, v[2:3]
	v_add_nc_u32_e32 v3, v33, v39
	v_lshl_or_b32 v7, v7, 2, 0x4200
	v_dual_lshlrev_b32 v13, 7, v48 :: v_dual_lshlrev_b32 v2, 7, v25
	v_cvt_i32_f64_e32 v16, v[16:17]
	v_dual_lshlrev_b32 v17, 7, v24 :: v_dual_add_nc_u32 v33, v36, v46
	v_add_nc_u32_e32 v11, v18, v11
	scratch_store_b32 off, v5, off offset:292 ; 4-byte Folded Spill
	s_wait_xcnt 0x0
	v_lshlrev_b32_e32 v5, 7, v32
	scratch_store_b32 off, v3, off offset:284 ; 4-byte Folded Spill
	s_wait_xcnt 0x0
	v_dual_lshlrev_b32 v3, 7, v26 :: v_dual_add_nc_u32 v9, v44, v9
	v_dual_add_nc_u32 v211, v7, v15 :: v_dual_add_nc_u32 v73, v7, v13
	v_dual_add_nc_u32 v215, v7, v2 :: v_dual_add_nc_u32 v214, v7, v17
	s_delay_alu instid0(VALU_DEP_3)
	v_dual_add_nc_u32 v216, v7, v3 :: v_dual_bitop2_b32 v2, 12, v1 bitop3:0x40
	v_mov_b32_e32 v3, v51
	s_clause 0x1
	scratch_store_b32 off, v33, off offset:288
	scratch_store_b32 off, v9, off offset:296
	v_add_nc_u32_e32 v218, v7, v5
	v_mul_lo_u32 v222, s4, v6
	scratch_store_b64 off, v[2:3], off offset:304 ; 8-byte Folded Spill
	s_wait_xcnt 0x0
	v_mad_u32 v2, 0x84, v42, v1
	v_dual_add_nc_u32 v6, 64, v72 :: v_dual_min_i32 v5, s5, v41
	scratch_store_b32 off, v11, off offset:300 ; 4-byte Folded Spill
	v_mul_lo_u32 v225, s4, v12
	v_dual_lshlrev_b32 v33, 7, v27 :: v_dual_lshlrev_b32 v9, 7, v41
	v_lshrrev_b32_e32 v12, 4, v6
	s_wait_xcnt 0x0
	v_add_min_i32_e64 v11, 0x50, v48, s5
	v_add_min_i32_e64 v13, 0x58, v48, s5
	v_add_nc_u32_e32 v217, v7, v33
	scratch_store_b32 off, v2, off offset:312 ; 4-byte Folded Spill
	s_wait_xcnt 0x0
	v_mad_u32 v2, 0x84, v5, v1
	v_add_nc_u32_e32 v219, v7, v9
	v_add_min_i32_e64 v7, v48, 64, s5
	v_add_min_i32_e64 v9, 0x48, v48, s5
	;; [unrolled: 1-line block ×6, first 2 shown]
	v_mul_lo_u32 v221, s4, v4
	v_mul_lo_u32 v223, s4, v8
	;; [unrolled: 1-line block ×3, first 2 shown]
	scratch_store_b32 off, v2, off offset:316 ; 4-byte Folded Spill
	s_wait_xcnt 0x0
	v_mad_u32 v2, 0x84, v7, v1
	v_mul_lo_u32 v226, s4, v14
	v_mul_lo_u32 v227, s4, v16
	s_set_vgpr_msb 64                       ;  msbs: dst=1 src0=0 src1=0 src2=0
	v_mul_lo_u32 v188 /*v444*/, s4, v47
	v_dual_lshlrev_b32 v195 /*v451*/, 5, v41 :: v_dual_lshlrev_b32 v198 /*v454*/, 5, v6
	s_set_vgpr_msb 0                        ;  msbs: dst=0 src0=0 src1=0 src2=0
	v_lshrrev_b32_e32 v10, 2, v6
	v_add_nc_u32_e32 v220, 0x76a0, v45
	s_set_vgpr_msb 64                       ;  msbs: dst=1 src0=0 src1=0 src2=0
	v_dual_lshlrev_b32 v189 /*v445*/, 5, v20 :: v_dual_lshlrev_b32 v191 /*v447*/, 5, v25
	v_dual_lshlrev_b32 v190 /*v446*/, 5, v24 :: v_dual_lshlrev_b32 v192 /*v448*/, 5, v26
	scratch_store_b32 off, v2, off offset:320 ; 4-byte Folded Spill
	s_wait_xcnt 0x0
	s_set_vgpr_msb 0                        ;  msbs: dst=0 src0=0 src1=0 src2=0
	v_mad_u32 v2, 0x84, v9, v1
	s_set_vgpr_msb 64                       ;  msbs: dst=1 src0=0 src1=0 src2=0
	v_dual_lshlrev_b32 v193 /*v449*/, 5, v27 :: v_dual_lshlrev_b32 v194 /*v450*/, 5, v32
	v_mul_u32_u24_e32 v212 /*v468*/, 0x84, v72
	v_dual_lshlrev_b32 v213 /*v469*/, 5, v72 :: v_dual_lshlrev_b32 v214 /*v470*/, 3, v72
	s_mul_u64 s[10:11], s[10:11], 0x54
	s_mov_b32 s5, 0
	s_wait_kmcnt 0x0
	s_add_nc_u64 s[0:1], s[0:1], s[10:11]
	s_mov_b32 s4, s5
	v_lshlrev_b32_e32 v207 /*v463*/, 2, v10
	scratch_store_b32 off, v2, off offset:324 ; 4-byte Folded Spill
	s_wait_xcnt 0x0
	s_set_vgpr_msb 0                        ;  msbs: dst=0 src0=0 src1=0 src2=0
	v_mad_u32 v2, 0x84, v11, v1
	s_set_vgpr_msb 64                       ;  msbs: dst=1 src0=0 src1=0 src2=0
	v_lshlrev_b32_e32 v204 /*v460*/, 2, v43
	scratch_store_b32 off, v2, off offset:328 ; 4-byte Folded Spill
	s_wait_xcnt 0x0
	s_set_vgpr_msb 0                        ;  msbs: dst=0 src0=0 src1=0 src2=0
	v_mad_u32 v2, 0x84, v13, v1
	scratch_store_b32 off, v2, off offset:332 ; 4-byte Folded Spill
	s_wait_xcnt 0x0
	v_mad_u32 v2, 0x84, v15, v1
	scratch_store_b32 off, v2, off offset:336 ; 4-byte Folded Spill
	s_wait_xcnt 0x0
	;; [unrolled: 3-line block ×5, first 2 shown]
	v_dual_add_nc_u32 v1, 32, v72 :: v_dual_bitop2_b32 v2, 28, v1 bitop3:0x40
	s_delay_alu instid0(VALU_DEP_1) | instskip(SKIP_1) | instid1(VALU_DEP_2)
	v_lshrrev_b32_e32 v4, 2, v1
	s_set_vgpr_msb 64                       ;  msbs: dst=1 src0=0 src1=0 src2=0
	v_add_nc_u64_e32 v[202:203] /*v[458:459]*/, s[2:3], v[2:3]
	s_set_vgpr_msb 0                        ;  msbs: dst=0 src0=0 src1=0 src2=0
	v_bfe_u32 v2, v0, 4, 6
	v_mul_lo_u32 v0, v21, s15
	v_lshrrev_b32_e32 v8, 4, v1
	s_set_vgpr_msb 64                       ;  msbs: dst=1 src0=0 src1=0 src2=0
	v_dual_lshlrev_b32 v196 /*v452*/, 5, v1 :: v_dual_lshlrev_b32 v197 /*v453*/, 3, v1
	s_set_vgpr_msb 0                        ;  msbs: dst=0 src0=0 src1=0 src2=0
	v_add_nc_u32_e32 v1, 0x60, v72
	s_set_vgpr_msb 64                       ;  msbs: dst=1 src0=0 src1=0 src2=0
	v_lshlrev_b32_e32 v205 /*v461*/, 2, v4
	v_dual_lshlrev_b32 v211 /*v467*/, 5, v48 :: v_dual_lshlrev_b32 v215 /*v471*/, 2, v2
	scratch_store_b64 off, v[0:1], off offset:360 ; 8-byte Folded Spill
	s_wait_xcnt 0x0
	s_set_vgpr_msb 0                        ;  msbs: dst=0 src0=0 src1=0 src2=0
	v_mul_lo_u32 v0, v22, s15
	scratch_store_b64 off, v[0:1], off offset:368 ; 8-byte Folded Spill
	s_wait_xcnt 0x0
	v_mul_lo_u32 v0, v28, s15
	scratch_store_b64 off, v[0:1], off offset:376 ; 8-byte Folded Spill
	s_wait_xcnt 0x0
	;; [unrolled: 3-line block ×19, first 2 shown]
	v_mul_lo_u32 v0, v34, s15
	s_clause 0x1
	scratch_store_b64 off, v[0:1], off offset:520
	scratch_store_b32 off, v48, off offset:540
	s_wait_xcnt 0x1
	v_mov_b32_e32 v0, v2
	s_set_vgpr_msb 64                       ;  msbs: dst=1 src0=0 src1=0 src2=0
	v_dual_lshlrev_b32 v199 /*v455*/, 3, v6 :: v_dual_lshlrev_b32 v200 /*v456*/, 5, v1
	s_set_vgpr_msb 0                        ;  msbs: dst=0 src0=0 src1=0 src2=0
	v_dual_lshrrev_b32 v6, 2, v1 :: v_dual_lshrrev_b32 v14, 4, v1
	s_set_vgpr_msb 64                       ;  msbs: dst=1 src0=0 src1=0 src2=0
	v_dual_lshlrev_b32 v201 /*v457*/, 3, v1 :: v_dual_lshlrev_b32 v206 /*v462*/, 2, v8
	s_delay_alu instid0(VALU_DEP_2) | instskip(NEXT) | instid1(VALU_DEP_3)
	v_dual_lshlrev_b32 v208 /*v464*/, 2, v12 :: v_dual_lshlrev_b32 v209 /*v465*/, 2, v6
	v_lshlrev_b32_e32 v210 /*v466*/, 2, v14
	scratch_store_b64 off, v[0:1], off offset:352 ; 8-byte Folded Spill
	s_wait_xcnt 0x0
	s_set_vgpr_msb 0                        ;  msbs: dst=0 src0=0 src1=0 src2=0
	v_cndmask_b32_e64 v0, 0, 1, vcc_lo
	s_clause 0x2d
	scratch_store_b64 off, v[0:1], off offset:528
	scratch_store_b32 off, v72, off offset:160
	scratch_store_b32 off, v73, off offset:164
	;; [unrolled: 1-line block ×17, first 2 shown]
	s_set_vgpr_msb 4                        ;  msbs: dst=0 src0=0 src1=1 src2=0
	scratch_store_b32 off, v188 /*v444*/, off offset:228
	scratch_store_b32 off, v189 /*v445*/, off offset:56
	;; [unrolled: 1-line block ×14, first 2 shown]
	scratch_store_b64 off, v[202:203] /*v[458:459]*/, off offset:232
	scratch_store_b32 off, v204 /*v460*/, off offset:108
	scratch_store_b32 off, v205 /*v461*/, off offset:112
	;; [unrolled: 1-line block ×12, first 2 shown]
	s_set_vgpr_msb 0                        ;  msbs: dst=0 src0=0 src1=0 src2=0
	s_branch .LBB168_7
.LBB168_6:                              ;   in Loop: Header=BB168_7 Depth=1
	s_add_co_i32 s4, s4, 2
	s_delay_alu instid0(SALU_CYCLE_1)
	s_cmp_ge_i32 s4, s15
	s_cbranch_scc1 .LBB168_15
.LBB168_7:                              ; =>This Loop Header: Depth=1
                                        ;     Child Loop BB168_9 Depth 2
                                        ;       Child Loop BB168_11 Depth 3
                                        ;       Child Loop BB168_13 Depth 3
	s_clause 0x2
	scratch_load_b64 v[0:1], off, off offset:352
	scratch_load_b64 v[2:3], off, off offset:360
	;; [unrolled: 1-line block ×3, first 2 shown]
	s_mul_u64 s[10:11], s[4:5], 0x54
	s_lshl_b32 s7, s4, 3
	s_add_nc_u64 s[10:11], s[0:1], s[10:11]
	s_wait_loadcnt 0x2
	v_mad_nc_u64_u32 v[0:1], 0x54, v0, s[10:11]
	s_wait_loadcnt 0x1
	s_delay_alu instid0(VALU_DEP_1) | instskip(SKIP_1) | instid1(VALU_DEP_1)
	v_mad_nc_i64_i32 v[2:3], 0x54, v2, v[0:1]
	s_wait_loadcnt 0x0
	v_add_nc_u64_e32 v[2:3], v[2:3], v[4:5]
	global_load_b32 v2, v[2:3], off offset:16
	scratch_load_b32 v3, off, off offset:248 ; 4-byte Folded Reload
	s_wait_loadcnt 0x0
	ds_store_b32 v3, v2
	scratch_load_b64 v[2:3], off, off offset:368 ; 8-byte Folded Reload
	s_wait_loadcnt 0x0
	v_mad_nc_i64_i32 v[2:3], 0x54, v2, v[0:1]
	s_delay_alu instid0(VALU_DEP_1)
	v_add_nc_u64_e32 v[2:3], v[2:3], v[4:5]
	global_load_b32 v2, v[2:3], off offset:16
	scratch_load_b32 v3, off, off offset:252 ; 4-byte Folded Reload
	s_wait_loadcnt 0x0
	ds_store_b32 v3, v2
	scratch_load_b64 v[2:3], off, off offset:376 ; 8-byte Folded Reload
	s_wait_loadcnt 0x0
	v_mad_nc_i64_i32 v[2:3], 0x54, v2, v[0:1]
	s_delay_alu instid0(VALU_DEP_1)
	;; [unrolled: 9-line block ×15, first 2 shown]
	v_add_nc_u64_e32 v[0:1], v[0:1], v[4:5]
	global_load_b32 v0, v[0:1], off offset:16
	s_clause 0x1
	scratch_load_b32 v1, off, off offset:348
	scratch_load_b64 v[2:3], off, off offset:268
	s_wait_loadcnt 0x1
	ds_store_b32 v1, v0
	scratch_load_b64 v[0:1], off, off offset:488 ; 8-byte Folded Reload
	s_wait_loadcnt 0x0
	v_mad_nc_i64_i32 v[0:1], 0x54, v0, s[10:11]
	s_delay_alu instid0(VALU_DEP_1)
	v_mad_nc_u64_u32 v[0:1], 0x54, v2, v[0:1]
	global_load_b32 v0, v[0:1], off offset:80
	s_clause 0x1
	scratch_load_b32 v1, off, off offset:284
	scratch_load_b64 v[2:3], off, off offset:304
	s_wait_loadcnt 0x1
	ds_store_b32 v1, v0
	scratch_load_b64 v[0:1], off, off offset:528 ; 8-byte Folded Reload
	s_wait_loadcnt 0x0
	v_mad_nc_u64_u32 v[0:1], 0x54, v0, s[10:11]
	s_mov_b32 s10, 0
	s_delay_alu instid0(VALU_DEP_1)
	v_add_nc_u64_e32 v[0:1], v[0:1], v[2:3]
	scratch_load_b64 v[2:3], off, off offset:496 ; 8-byte Folded Reload
	s_wait_loadcnt 0x0
	v_mad_nc_i64_i32 v[2:3], 0x54, v2, v[0:1]
	global_load_b32 v2, v[2:3], off
	scratch_load_b32 v3, off, off offset:288 ; 4-byte Folded Reload
	s_wait_loadcnt 0x0
	ds_store_b32 v3, v2
	scratch_load_b64 v[2:3], off, off offset:504 ; 8-byte Folded Reload
	s_wait_loadcnt 0x0
	v_mad_nc_i64_i32 v[2:3], 0x54, v2, v[0:1]
	global_load_b32 v2, v[2:3], off
	scratch_load_b32 v3, off, off offset:292 ; 4-byte Folded Reload
	s_wait_loadcnt 0x0
	ds_store_b32 v3, v2
	;; [unrolled: 7-line block ×4, first 2 shown]
	scratch_load_b32 v0, off, off offset:280 ; 4-byte Folded Reload
	s_wait_loadcnt 0x0
	s_set_vgpr_msb 64                       ;  msbs: dst=1 src0=0 src1=0 src2=0
	v_add_nc_u32_e32 v216 /*v472*/, s7, v0
	s_set_vgpr_msb 4                        ;  msbs: dst=0 src0=0 src1=1 src2=0
	scratch_store_b32 off, v216 /*v472*/, off offset:156 ; 4-byte Folded Spill
	s_set_vgpr_msb 0                        ;  msbs: dst=0 src0=0 src1=0 src2=0
	s_branch .LBB168_9
.LBB168_8:                              ;   in Loop: Header=BB168_9 Depth=2
                                        ; implicit-def: $sgpr10
	s_and_b32 vcc_lo, exec_lo, s11
	s_cbranch_vccnz .LBB168_6
.LBB168_9:                              ;   Parent Loop BB168_7 Depth=1
                                        ; =>  This Loop Header: Depth=2
                                        ;       Child Loop BB168_11 Depth 3
                                        ;       Child Loop BB168_13 Depth 3
	s_lshr_b32 s11, s10, 1
	s_delay_alu instid0(SALU_CYCLE_1) | instskip(NEXT) | instid1(SALU_CYCLE_1)
	s_or_b32 s11, s11, s4
	s_cmp_lt_i32 s11, s15
	s_mov_b32 s11, -1
	s_cbranch_scc0 .LBB168_8
; %bb.10:                               ;   in Loop: Header=BB168_9 Depth=2
	s_wait_loadcnt 0x13
	v_lshl_add_u32 v0, s10, 5, v72
	s_or_b32 s16, s10, 1
	s_lshl_b32 s17, s10, 3
	s_lshl_b32 s11, s16, 3
	s_delay_alu instid0(VALU_DEP_1) | instskip(NEXT) | instid1(VALU_DEP_1)
	v_lshrrev_b32_e32 v0, 3, v0
	v_add_nc_u32_e32 v2, s7, v0
	s_wait_loadcnt 0x9
	s_delay_alu instid0(VALU_DEP_1) | instskip(SKIP_2) | instid1(VALU_DEP_1)
	v_add_nc_u32_e32 v0, v2, v221
	s_wait_loadcnt 0x1
	s_set_vgpr_msb 16                       ;  msbs: dst=0 src0=0 src1=0 src2=1
	v_mad_nc_i64_i32 v[0:1], v0, 36, v[202:203] /*v[458:459]*/
	global_load_b32 v0, v[0:1], off offset:4
	s_wait_loadcnt 0x0
	ds_store_b32 v73, v0
	s_wait_xcnt 0x0
	v_add_nc_u32_e32 v0, v2, v222
	s_delay_alu instid0(VALU_DEP_1)
	v_mad_nc_i64_i32 v[0:1], v0, 36, v[202:203] /*v[458:459]*/
	global_load_b32 v0, v[0:1], off offset:4
	s_wait_loadcnt 0x0
	ds_store_b32 v211, v0
	s_wait_xcnt 0x0
	v_add_nc_u32_e32 v0, v2, v223
	s_delay_alu instid0(VALU_DEP_1)
	;; [unrolled: 7-line block ×6, first 2 shown]
	v_mad_nc_i64_i32 v[0:1], v0, 36, v[202:203] /*v[458:459]*/
	global_load_b32 v0, v[0:1], off offset:4
	s_wait_loadcnt 0x0
	ds_store_b32 v218, v0
	s_wait_xcnt 0x0
	s_set_vgpr_msb 4                        ;  msbs: dst=0 src0=0 src1=1 src2=0
	v_add_nc_u32_e32 v0, v2, v188 /*v444*/
	s_set_vgpr_msb 16                       ;  msbs: dst=0 src0=0 src1=0 src2=1
	s_delay_alu instid0(VALU_DEP_1)
	v_mad_nc_i64_i32 v[0:1], v0, 36, v[202:203] /*v[458:459]*/
	global_load_b32 v0, v[0:1], off offset:4
	s_wait_loadcnt 0x0
	ds_store_b32 v219, v0
	s_wait_xcnt 0x0
	v_lshl_add_u32 v0, s10, 2, v216 /*v472*/
	s_delay_alu instid0(VALU_DEP_1)
	v_mad_nc_u64_u32 v[0:1], v0, 36, s[2:3]
	global_load_b32 v0, v[0:1], off
	s_wait_loadcnt 0x0
	s_wait_xcnt 0x0
	v_cvt_f32_f16_e32 v0, v0
	ds_store_b32 v220, v0
	s_wait_storecnt_dscnt 0x0
	s_barrier_signal -1
	s_barrier_wait -1
.LBB168_11:                             ;   Parent Loop BB168_7 Depth=1
                                        ;     Parent Loop BB168_9 Depth=2
                                        ; =>    This Inner Loop Header: Depth=3
	s_lshl_b32 s18, s17, 2
	s_and_b32 s19, s17, 0x3ffffff8
	s_and_b32 s18, s18, 24
	s_set_vgpr_msb 16                       ;  msbs: dst=0 src0=0 src1=0 src2=1
	v_lshl_add_u32 v85, s19, 2, v212 /*v468*/
	s_set_vgpr_msb 4                        ;  msbs: dst=0 src0=0 src1=1 src2=0
	v_or_b32_e32 v22, s18, v211 /*v467*/
	v_or_b32_e32 v23, s18, v189 /*v445*/
	;; [unrolled: 1-line block ×3, first 2 shown]
	s_and_b32 s19, s17, 0x7ffffffe
	s_delay_alu instid0(SALU_CYCLE_1)
	s_addk_co_i32 s19, 0x6200
	s_set_vgpr_msb 0                        ;  msbs: dst=0 src0=0 src1=0 src2=0
	v_dual_lshlrev_b32 v4, 2, v22 :: v_dual_lshlrev_b32 v17, 2, v23
	v_lshlrev_b32_e32 v12, 2, v16
	ds_load_b128 v[0:3], v4 offset:16896
	ds_load_b128 v[4:7], v4 offset:16912
	;; [unrolled: 1-line block ×5, first 2 shown]
	s_wait_dscnt 0x4
	v_bfe_i32 v166, v0, 0, 8
	v_bfe_i32 v12, v0, 8, 8
	;; [unrolled: 1-line block ×3, first 2 shown]
	s_wait_dscnt 0x3
	v_dual_ashrrev_i32 v14, 24, v0 :: v_dual_ashrrev_i32 v153, 24, v5
	s_set_vgpr_msb 64                       ;  msbs: dst=1 src0=0 src1=0 src2=0
	v_bfe_i32 v97 /*v353*/, v1, 0, 8
	v_bfe_i32 v94 /*v350*/, v1, 8, 8
	;; [unrolled: 1-line block ×3, first 2 shown]
	s_wait_dscnt 0x2
	v_dual_ashrrev_i32 v96 /*v352*/, 24, v1 :: v_dual_ashrrev_i32 v104 /*v360*/, 24, v8
	v_bfe_i32 v98 /*v354*/, v2, 0, 8
	s_set_vgpr_msb 0                        ;  msbs: dst=0 src0=0 src1=0 src2=0
	v_bfe_i32 v15, v2, 8, 8
	v_bfe_i32 v150, v2, 16, 8
	v_ashrrev_i32_e32 v158, 24, v2
	v_bfe_i32 v29, v3, 0, 8
	v_bfe_i32 v31, v3, 8, 8
	;; [unrolled: 1-line block ×3, first 2 shown]
	s_wait_dscnt 0x0
	v_dual_ashrrev_i32 v30, 24, v3 :: v_dual_ashrrev_i32 v159, 24, v38
	ds_load_b128 v[0:3], v17 offset:16912
	s_set_vgpr_msb 64                       ;  msbs: dst=1 src0=0 src1=0 src2=0
	v_bfe_i32 v102 /*v358*/, v8, 0, 8
	v_bfe_i32 v105 /*v361*/, v9, 0, 8
	s_set_vgpr_msb 4                        ;  msbs: dst=0 src0=0 src1=1 src2=0
	v_or_b32_e32 v17, s18, v193 /*v449*/
	s_set_vgpr_msb 64                       ;  msbs: dst=1 src0=0 src1=0 src2=0
	v_bfe_i32 v103 /*v359*/, v8, 8, 8
	v_bfe_i32 v101 /*v357*/, v8, 16, 8
	s_set_vgpr_msb 0                        ;  msbs: dst=0 src0=0 src1=0 src2=0
	v_dual_ashrrev_i32 v25, 24, v7 :: v_dual_ashrrev_i32 v59, 24, v36
	v_dual_lshlrev_b32 v8, 2, v17 :: v_dual_ashrrev_i32 v35, 24, v39
	v_ashrrev_i32_e32 v60, 24, v37
	v_bfe_i32 v61, v36, 16, 8
	v_bfe_i32 v62, v37, 16, 8
	s_set_vgpr_msb 64                       ;  msbs: dst=1 src0=0 src1=0 src2=0
	v_bfe_i32 v36 /*v292*/, v36, 8, 8
	v_bfe_i32 v37 /*v293*/, v37, 8, 8
	;; [unrolled: 1-line block ×5, first 2 shown]
	v_dual_ashrrev_i32 v77 /*v333*/, 24, v9 :: v_dual_ashrrev_i32 v87 /*v343*/, 24, v18
	s_wait_dscnt 0x0
	v_bfe_i32 v56 /*v312*/, v0, 0, 8
	v_bfe_i32 v57 /*v313*/, v0, 8, 8
	s_set_vgpr_msb 0                        ;  msbs: dst=0 src0=0 src1=0 src2=0
	v_bfe_i32 v154, v0, 16, 8
	v_dual_ashrrev_i32 v155, 24, v0 :: v_dual_ashrrev_i32 v157, 24, v1
	s_set_vgpr_msb 64                       ;  msbs: dst=1 src0=0 src1=0 src2=0
	v_bfe_i32 v59 /*v315*/, v1, 0, 8
	v_bfe_i32 v60 /*v316*/, v1, 8, 8
	s_set_vgpr_msb 0                        ;  msbs: dst=0 src0=0 src1=0 src2=0
	v_bfe_i32 v156, v1, 16, 8
	s_set_vgpr_msb 64                       ;  msbs: dst=1 src0=0 src1=0 src2=0
	v_bfe_i32 v34 /*v290*/, v2, 0, 8
	v_bfe_i32 v35 /*v291*/, v2, 8, 8
	s_set_vgpr_msb 0                        ;  msbs: dst=0 src0=0 src1=0 src2=0
	v_bfe_i32 v250, v2, 16, 8
	v_dual_ashrrev_i32 v251, 24, v2 :: v_dual_ashrrev_i32 v37, 24, v3
	v_bfe_i32 v181, v3, 0, 8
	v_bfe_i32 v182, v3, 8, 8
	;; [unrolled: 1-line block ×3, first 2 shown]
	ds_load_b128 v[0:3], v8 offset:16896
	s_set_vgpr_msb 64                       ;  msbs: dst=1 src0=0 src1=0 src2=0
	v_bfe_i32 v84 /*v340*/, v18, 0, 8
	v_bfe_i32 v85 /*v341*/, v18, 8, 8
	;; [unrolled: 1-line block ×3, first 2 shown]
	s_set_vgpr_msb 4                        ;  msbs: dst=0 src0=0 src1=1 src2=0
	v_or_b32_e32 v18, s18, v190 /*v446*/
	v_bfe_i32 v168, v4, 0, 8
	v_bfe_i32 v173, v4, 8, 8
	;; [unrolled: 1-line block ×3, first 2 shown]
	s_set_vgpr_msb 0                        ;  msbs: dst=0 src0=0 src1=0 src2=0
	v_dual_ashrrev_i32 v151, 24, v4 :: v_dual_ashrrev_i32 v245, 24, v10
	v_bfe_i32 v243, v38, 16, 8
	s_set_vgpr_msb 64                       ;  msbs: dst=1 src0=0 src1=0 src2=0
	v_bfe_i32 v28 /*v284*/, v38, 8, 8
	v_bfe_i32 v29 /*v285*/, v38, 0, 8
	s_set_vgpr_msb 0                        ;  msbs: dst=0 src0=0 src1=0 src2=0
	v_lshlrev_b32_e32 v4, 2, v18
	s_set_vgpr_msb 64                       ;  msbs: dst=1 src0=0 src1=0 src2=0
	v_bfe_i32 v46 /*v302*/, v5, 0, 8
	v_bfe_i32 v47 /*v303*/, v5, 8, 8
	s_set_vgpr_msb 0                        ;  msbs: dst=0 src0=0 src1=0 src2=0
	v_bfe_i32 v152, v5, 16, 8
	s_set_vgpr_msb 64                       ;  msbs: dst=1 src0=0 src1=0 src2=0
	v_bfe_i32 v25 /*v281*/, v6, 0, 8
	v_bfe_i32 v24 /*v280*/, v6, 8, 8
	s_set_vgpr_msb 0                        ;  msbs: dst=0 src0=0 src1=0 src2=0
	v_bfe_i32 v47, v6, 16, 8
	s_wait_dscnt 0x0
	v_ashrrev_i32_e32 v38, 24, v3
	v_bfe_i32 v33, v7, 0, 8
	v_bfe_i32 v32, v7, 8, 8
	v_dual_ashrrev_i32 v242, 24, v6 :: v_dual_ashrrev_i32 v27, 24, v11
	v_bfe_i32 v24, v7, 16, 8
	s_set_vgpr_msb 64                       ;  msbs: dst=1 src0=0 src1=0 src2=0
	v_dual_ashrrev_i32 v79 /*v335*/, 24, v19 :: v_dual_ashrrev_i32 v110 /*v366*/, 24, v0
	v_bfe_i32 v108 /*v364*/, v0, 0, 8
	v_bfe_i32 v109 /*v365*/, v0, 8, 8
	;; [unrolled: 1-line block ×6, first 2 shown]
	v_ashrrev_i32_e32 v81 /*v337*/, 24, v1
	v_bfe_i32 v32 /*v288*/, v2, 0, 8
	v_bfe_i32 v33 /*v289*/, v2, 8, 8
	s_set_vgpr_msb 0                        ;  msbs: dst=0 src0=0 src1=0 src2=0
	v_bfe_i32 v248, v2, 16, 8
	v_ashrrev_i32_e32 v249, 24, v2
	v_bfe_i32 v179, v3, 0, 8
	v_bfe_i32 v180, v3, 8, 8
	;; [unrolled: 1-line block ×3, first 2 shown]
	ds_load_b128 v[0:3], v4 offset:16896
	ds_load_b128 v[4:7], v4 offset:16912
	s_set_vgpr_msb 64                       ;  msbs: dst=1 src0=0 src1=0 src2=0
	v_bfe_i32 v88 /*v344*/, v19, 0, 8
	v_bfe_i32 v89 /*v345*/, v19, 8, 8
	;; [unrolled: 1-line block ×3, first 2 shown]
	s_set_vgpr_msb 4                        ;  msbs: dst=0 src0=0 src1=1 src2=0
	v_or_b32_e32 v19, s18, v191 /*v447*/
	v_bfe_i32 v34, v39, 16, 8
	v_bfe_i32 v174, v39, 8, 8
	;; [unrolled: 1-line block ×3, first 2 shown]
	s_set_vgpr_msb 0                        ;  msbs: dst=0 src0=0 src1=0 src2=0
	v_dual_ashrrev_i32 v247, 24, v20 :: v_dual_ashrrev_i32 v40, 24, v21
	v_bfe_i32 v177, v21, 0, 8
	v_bfe_i32 v178, v21, 8, 8
	;; [unrolled: 1-line block ×3, first 2 shown]
	s_set_vgpr_msb 4                        ;  msbs: dst=0 src0=0 src1=1 src2=0
	v_or_b32_e32 v21, s18, v194 /*v450*/
	s_set_vgpr_msb 64                       ;  msbs: dst=1 src0=0 src1=0 src2=0
	v_bfe_i32 v76 /*v332*/, v9, 16, 8
	v_bfe_i32 v30 /*v286*/, v20, 0, 8
	;; [unrolled: 1-line block ×3, first 2 shown]
	s_set_vgpr_msb 4                        ;  msbs: dst=0 src0=0 src1=1 src2=0
	v_bfe_i32 v246, v20, 16, 8
	v_or_b32_e32 v20, s18, v192 /*v448*/
	s_wait_dscnt 0x1
	s_set_vgpr_msb 64                       ;  msbs: dst=1 src0=0 src1=0 src2=0
	v_bfe_i32 v114 /*v370*/, v0, 0, 8
	v_bfe_i32 v115 /*v371*/, v0, 8, 8
	v_bfe_i32 v113 /*v369*/, v0, 16, 8
	v_ashrrev_i32_e32 v116 /*v372*/, 24, v0
	v_bfe_i32 v117 /*v373*/, v1, 0, 8
	v_bfe_i32 v118 /*v374*/, v1, 8, 8
	;; [unrolled: 1-line block ×3, first 2 shown]
	v_ashrrev_i32_e32 v83 /*v339*/, 24, v1
	v_bfe_i32 v41 /*v297*/, v2, 0, 8
	v_bfe_i32 v42 /*v298*/, v2, 8, 8
	s_set_vgpr_msb 0                        ;  msbs: dst=0 src0=0 src1=0 src2=0
	v_bfe_i32 v254, v2, 16, 8
	v_dual_ashrrev_i32 v255, 24, v2 :: v_dual_ashrrev_i32 v42, 24, v3
	v_bfe_i32 v183, v3, 0, 8
	v_bfe_i32 v184, v3, 8, 8
	;; [unrolled: 1-line block ×3, first 2 shown]
	ds_load_b128 v[0:3], v8 offset:16912
	s_wait_dscnt 0x1
	v_bfe_i32 v167, v4, 0, 8
	s_set_vgpr_msb 64                       ;  msbs: dst=1 src0=0 src1=0 src2=0
	v_bfe_i32 v65 /*v321*/, v4, 8, 8
	s_set_vgpr_msb 0                        ;  msbs: dst=0 src0=0 src1=0 src2=0
	v_bfe_i32 v160, v4, 16, 8
	v_dual_ashrrev_i32 v172, 24, v4 :: v_dual_ashrrev_i32 v253, 24, v6
	v_lshlrev_b32_e32 v4, 2, v19
	s_set_vgpr_msb 64                       ;  msbs: dst=1 src0=0 src1=0 src2=0
	v_ashrrev_i32_e32 v16 /*v272*/, 24, v5
	s_set_vgpr_msb 0                        ;  msbs: dst=0 src0=0 src1=0 src2=0
	v_ashrrev_i32_e32 v48, 24, v7
	s_set_vgpr_msb 64                       ;  msbs: dst=1 src0=0 src1=0 src2=0
	v_bfe_i32 v66 /*v322*/, v5, 0, 8
	v_bfe_i32 v67 /*v323*/, v5, 8, 8
	s_set_vgpr_msb 0                        ;  msbs: dst=0 src0=0 src1=0 src2=0
	v_bfe_i32 v161, v5, 16, 8
	s_set_vgpr_msb 64                       ;  msbs: dst=1 src0=0 src1=0 src2=0
	v_bfe_i32 v38 /*v294*/, v6, 0, 8
	v_bfe_i32 v39 /*v295*/, v6, 8, 8
	s_set_vgpr_msb 0                        ;  msbs: dst=0 src0=0 src1=0 src2=0
	v_bfe_i32 v185, v7, 0, 8
	v_bfe_i32 v252, v6, 16, 8
	v_bfe_i32 v187, v7, 8, 8
	v_bfe_i32 v46, v7, 16, 8
	s_and_b32 s18, s17, 6
	s_set_vgpr_msb 64                       ;  msbs: dst=1 src0=0 src1=0 src2=0
	v_bfe_i32 v26 /*v282*/, v10, 0, 8
	s_wait_dscnt 0x0
	v_bfe_i32 v68 /*v324*/, v0, 0, 8
	v_bfe_i32 v69 /*v325*/, v0, 8, 8
	s_set_vgpr_msb 0                        ;  msbs: dst=0 src0=0 src1=0 src2=0
	v_bfe_i32 v170, v0, 16, 8
	s_set_vgpr_msb 64                       ;  msbs: dst=1 src0=0 src1=0 src2=0
	v_bfe_i32 v70 /*v326*/, v1, 0, 8
	v_bfe_i32 v71 /*v327*/, v1, 8, 8
	v_bfe_i32 v17 /*v273*/, v1, 16, 8
	v_dual_ashrrev_i32 v18 /*v274*/, 24, v0 :: v_dual_ashrrev_i32 v19 /*v275*/, 24, v1
	v_bfe_i32 v0 /*v256*/, v2, 16, 8
	v_ashrrev_i32_e32 v1 /*v257*/, 24, v2
	s_set_vgpr_msb 0                        ;  msbs: dst=0 src0=0 src1=0 src2=0
	v_bfe_i32 v186, v3, 8, 8
	v_bfe_i32 v44, v3, 16, 8
	v_ashrrev_i32_e32 v45, 24, v3
	s_set_vgpr_msb 64                       ;  msbs: dst=1 src0=0 src1=0 src2=0
	v_bfe_i32 v44 /*v300*/, v2, 0, 8
	s_set_vgpr_msb 0                        ;  msbs: dst=0 src0=0 src1=0 src2=0
	v_bfe_i32 v188, v3, 0, 8
	s_set_vgpr_msb 64                       ;  msbs: dst=1 src0=0 src1=0 src2=0
	v_bfe_i32 v45 /*v301*/, v2, 8, 8
	s_set_vgpr_msb 0                        ;  msbs: dst=0 src0=0 src1=0 src2=0
	ds_load_b128 v[0:3], v4 offset:16912
	s_set_vgpr_msb 64                       ;  msbs: dst=1 src0=0 src1=0 src2=0
	v_bfe_i32 v27 /*v283*/, v10, 8, 8
	s_set_vgpr_msb 0                        ;  msbs: dst=0 src0=0 src1=0 src2=0
	v_bfe_i32 v244, v10, 16, 8
	v_bfe_i32 v171, v11, 0, 8
	;; [unrolled: 1-line block ×4, first 2 shown]
	s_wait_dscnt 0x0
	s_set_vgpr_msb 64                       ;  msbs: dst=1 src0=0 src1=0 src2=0
	v_bfe_i32 v63 /*v319*/, v0, 0, 8
	v_bfe_i32 v61 /*v317*/, v0, 8, 8
	;; [unrolled: 1-line block ×3, first 2 shown]
	v_ashrrev_i32_e32 v2 /*v258*/, 24, v0
	v_bfe_i32 v64 /*v320*/, v1, 0, 8
	v_bfe_i32 v62 /*v318*/, v1, 8, 8
	;; [unrolled: 1-line block ×3, first 2 shown]
	v_dual_ashrrev_i32 v10 /*v266*/, 24, v1 :: v_dual_ashrrev_i32 v4 /*v260*/, 24, v2
	v_bfe_i32 v48 /*v304*/, v2, 0, 8
	v_bfe_i32 v49 /*v305*/, v2, 8, 8
	;; [unrolled: 1-line block ×3, first 2 shown]
	s_set_vgpr_msb 0                        ;  msbs: dst=0 src0=0 src1=0 src2=0
	v_bfe_i32 v189, v3, 0, 8
	v_bfe_i32 v234, v3, 8, 8
	;; [unrolled: 1-line block ×3, first 2 shown]
	v_ashrrev_i32_e32 v50, 24, v3
	ds_load_b128 v[0:3], v4 offset:16896
	v_lshlrev_b32_e32 v4, 2, v20
	s_wait_dscnt 0x0
	s_set_vgpr_msb 64                       ;  msbs: dst=1 src0=0 src1=0 src2=0
	v_bfe_i32 v134 /*v390*/, v0, 0, 8
	v_bfe_i32 v135 /*v391*/, v0, 8, 8
	;; [unrolled: 1-line block ×3, first 2 shown]
	v_dual_ashrrev_i32 v125 /*v381*/, 24, v0 :: v_dual_ashrrev_i32 v91 /*v347*/, 24, v1
	v_bfe_i32 v127 /*v383*/, v1, 0, 8
	v_bfe_i32 v128 /*v384*/, v1, 8, 8
	;; [unrolled: 1-line block ×6, first 2 shown]
	v_ashrrev_i32_e32 v6 /*v262*/, 24, v2
	s_set_vgpr_msb 0                        ;  msbs: dst=0 src0=0 src1=0 src2=0
	v_bfe_i32 v235, v3, 0, 8
	v_bfe_i32 v236, v3, 8, 8
	;; [unrolled: 1-line block ×3, first 2 shown]
	v_ashrrev_i32_e32 v52, 24, v3
	ds_load_b128 v[0:3], v4 offset:16896
	ds_load_b128 v[4:7], v4 offset:16912
	s_wait_dscnt 0x1
	s_set_vgpr_msb 64                       ;  msbs: dst=1 src0=0 src1=0 src2=0
	v_bfe_i32 v131 /*v387*/, v0, 0, 8
	v_bfe_i32 v132 /*v388*/, v0, 8, 8
	;; [unrolled: 1-line block ×3, first 2 shown]
	v_ashrrev_i32_e32 v126 /*v382*/, 24, v0
	s_set_vgpr_msb 0                        ;  msbs: dst=0 src0=0 src1=0 src2=0
	v_lshlrev_b32_e32 v0, 2, v21
	s_set_vgpr_msb 64                       ;  msbs: dst=1 src0=0 src1=0 src2=0
	v_dual_ashrrev_i32 v93 /*v349*/, 24, v1 :: v_dual_ashrrev_i32 v9 /*v265*/, 24, v2
	v_bfe_i32 v52 /*v308*/, v2, 0, 8
	v_bfe_i32 v53 /*v309*/, v2, 8, 8
	;; [unrolled: 1-line block ×3, first 2 shown]
	s_set_vgpr_msb 0                        ;  msbs: dst=0 src0=0 src1=0 src2=0
	v_bfe_i32 v237, v3, 0, 8
	v_bfe_i32 v238, v3, 8, 8
	;; [unrolled: 1-line block ×3, first 2 shown]
	v_ashrrev_i32_e32 v54, 24, v3
	s_wait_dscnt 0x0
	s_set_vgpr_msb 64                       ;  msbs: dst=1 src0=0 src1=0 src2=0
	v_bfe_i32 v73 /*v329*/, v4, 0, 8
	v_bfe_i32 v72 /*v328*/, v4, 8, 8
	;; [unrolled: 1-line block ×3, first 2 shown]
	v_dual_ashrrev_i32 v20 /*v276*/, 24, v4 :: v_dual_ashrrev_i32 v22 /*v278*/, 24, v5
	v_bfe_i32 v75 /*v331*/, v5, 0, 8
	v_bfe_i32 v74 /*v330*/, v5, 8, 8
	;; [unrolled: 1-line block ×3, first 2 shown]
	s_set_vgpr_msb 0                        ;  msbs: dst=0 src0=0 src1=0 src2=0
	ds_load_i8 v57, v0 offset:16911
	ds_load_b128 v[2:5], v0 offset:16896
	s_set_vgpr_msb 64                       ;  msbs: dst=1 src0=0 src1=0 src2=0
	v_bfe_i32 v129 /*v385*/, v1, 0, 8
	v_bfe_i32 v130 /*v386*/, v1, 8, 8
	;; [unrolled: 1-line block ×3, first 2 shown]
	s_set_vgpr_msb 0                        ;  msbs: dst=0 src0=0 src1=0 src2=0
	v_add_nc_u32_e32 v1, 0x1080, v85
	ds_load_2addr_b32 v[8:9], v1 offset1:1
	ds_load_i8 v162, v0 offset:16927
	s_set_vgpr_msb 64                       ;  msbs: dst=1 src0=0 src1=0 src2=0
	v_bfe_i32 v54 /*v310*/, v6, 0, 8
	v_bfe_i32 v55 /*v311*/, v6, 8, 8
	;; [unrolled: 1-line block ×3, first 2 shown]
	v_ashrrev_i32_e32 v12 /*v268*/, 24, v6
	s_set_vgpr_msb 0                        ;  msbs: dst=0 src0=0 src1=0 src2=0
	v_bfe_i32 v239, v7, 0, 8
	v_bfe_i32 v240, v7, 8, 8
	;; [unrolled: 1-line block ×3, first 2 shown]
	s_wait_dscnt 0x2
	v_dual_ashrrev_i32 v56, 24, v7 :: v_dual_ashrrev_i32 v175, 24, v5
	v_lshrrev_b16 v6, 8, v2
	s_set_vgpr_msb 64                       ;  msbs: dst=1 src0=0 src1=0 src2=0
	v_lshrrev_b16 v137 /*v393*/, 8, v3
	v_dual_ashrrev_i32 v121 /*v377*/, 24, v2 :: v_dual_ashrrev_i32 v13 /*v269*/, 24, v4
	v_bfe_i32 v123 /*v379*/, v2, 0, 8
	v_bfe_i32 v122 /*v378*/, v2, 16, 8
	v_ashrrev_i32_e32 v99 /*v355*/, 24, v3
	v_bfe_i32 v124 /*v380*/, v3, 0, 8
	v_bfe_i32 v100 /*v356*/, v3, 16, 8
	s_set_vgpr_msb 0                        ;  msbs: dst=0 src0=0 src1=0 src2=0
	ds_load_b128 v[0:3], v0 offset:16912
	s_set_vgpr_msb 64                       ;  msbs: dst=1 src0=0 src1=0 src2=0
	v_lshrrev_b16 v120 /*v376*/, 8, v4
	v_bfe_i32 v14 /*v270*/, v4, 16, 8
	v_bfe_i32 v58 /*v314*/, v4, 0, 8
	s_wait_dscnt 0x2
	s_set_vgpr_msb 0                        ;  msbs: dst=0 src0=0 src1=0 src2=0
	v_ashrrev_i32_e32 v4, s18, v9
	s_set_vgpr_msb 64                       ;  msbs: dst=1 src0=0 src1=0 src2=0
	v_lshrrev_b16 v119 /*v375*/, 8, v5
	s_set_vgpr_msb 0                        ;  msbs: dst=0 src0=0 src1=0 src2=0
	v_bfe_i32 v58, v5, 16, 8
	v_bfe_i32 v241, v5, 0, 8
	s_set_vgpr_msb 64                       ;  msbs: dst=1 src0=0 src1=0 src2=0
	v_bfe_i32 v148 /*v404*/, v6, 0, 8
	s_set_vgpr_msb 0x41                     ;  msbs: dst=1 src0=1 src1=0 src2=0
	v_bfe_i32 v137 /*v393*/, v137 /*v393*/, 0, 8
	s_set_vgpr_msb 0                        ;  msbs: dst=0 src0=0 src1=0 src2=0
	v_ashrrev_i32_e32 v8, s18, v8
	s_delay_alu instid0(VALU_DEP_1)
	v_bfe_u32 v145, v8, 24, 2
	v_bfe_u32 v146, v8, 16, 2
	s_wait_dscnt 0x0
	v_dual_ashrrev_i32 v100, 24, v0 :: v_dual_ashrrev_i32 v108, 24, v3
	v_and_b32_e32 v122, 3, v4
	v_lshrrev_b16 v7, 8, v0
	v_bfe_i32 v110, v0, 16, 8
	v_bfe_i32 v101, v0, 0, 8
	v_bfe_u32 v121, v4, 8, 2
	v_bfe_u32 v105, v4, 16, 2
	v_bfe_u32 v113, v4, 24, 2
	s_set_vgpr_msb 4                        ;  msbs: dst=0 src0=0 src1=1 src2=0
	v_mul_i32_i24_e32 v0, v122, v97 /*v353*/
	s_set_vgpr_msb 0                        ;  msbs: dst=0 src0=0 src1=0 src2=0
	v_lshrrev_b16 v120, 8, v1
	v_lshrrev_b16 v112, 8, v2
	v_bfe_i32 v111, v1, 16, 8
	v_bfe_i32 v106, v1, 0, 8
	v_dual_ashrrev_i32 v104, 24, v1 :: v_dual_ashrrev_i32 v107, 24, v2
	v_bfe_i32 v109, v2, 16, 8
	v_bfe_i32 v84, v2, 0, 8
	s_set_vgpr_msb 4                        ;  msbs: dst=0 src0=0 src1=1 src2=0
	v_mad_i32_i24 v0, v121, v94 /*v350*/, v0
	v_mul_i32_i24_e32 v1, v105, v95 /*v351*/
	v_mul_i32_i24_e32 v2, v113, v96 /*v352*/
	s_set_vgpr_msb 0                        ;  msbs: dst=0 src0=0 src1=0 src2=0
	v_lshrrev_b16 v96, 8, v3
	v_bfe_i32 v163, v3, 16, 8
	v_bfe_i32 v97, v3, 0, 8
	;; [unrolled: 1-line block ×3, first 2 shown]
	v_add3_u32 v123, v0, v1, v2
	s_set_vgpr_msb 20                       ;  msbs: dst=0 src0=0 src1=1 src2=1
	v_add3_u32 v0, s19, v205 /*v461*/, v196 /*v452*/
	s_set_vgpr_msb 0                        ;  msbs: dst=0 src0=0 src1=0 src2=0
	v_add_nc_u32_e32 v1, 0x1098, v85
	v_bfe_i32 v112, v112, 0, 8
	v_bfe_i32 v96, v96, 0, 8
	s_set_vgpr_msb 4                        ;  msbs: dst=0 src0=0 src1=1 src2=0
	v_mul_i32_i24_e32 v147, v146, v101 /*v357*/
	ds_load_u16 v164, v0
	s_set_vgpr_msb 0                        ;  msbs: dst=0 src0=0 src1=0 src2=0
	v_add_nc_u32_e32 v0, 0x1090, v85
	ds_load_2addr_b32 v[10:11], v0 offset1:1
	ds_load_2addr_b32 v[0:1], v1 offset1:1
	s_set_vgpr_msb 4                        ;  msbs: dst=0 src0=0 src1=1 src2=0
	v_mul_i32_i24_e32 v148, v145, v104 /*v360*/
	s_wait_dscnt 0x0
	s_set_vgpr_msb 0                        ;  msbs: dst=0 src0=0 src1=0 src2=0
	v_dual_ashrrev_i32 v2, s18, v10 :: v_dual_ashrrev_i32 v0, s18, v0
	s_delay_alu instid0(VALU_DEP_1) | instskip(SKIP_3) | instid1(VALU_DEP_4)
	v_dual_ashrrev_i32 v1, s18, v1 :: v_dual_bitop2_b32 v9, 3, v2 bitop3:0x40
	v_bfe_u32 v10, v2, 8, 2
	v_bfe_u32 v124, v2, 16, 2
	;; [unrolled: 1-line block ×3, first 2 shown]
	v_mul_i32_i24_e32 v2, v9, v168
	s_delay_alu instid0(VALU_DEP_3) | instskip(NEXT) | instid1(VALU_DEP_3)
	v_mul_i32_i24_e32 v3, v124, v63
	v_mul_i32_i24_e32 v4, v125, v151
	v_mul_i32_i24_e32 v149, v125, v155
	s_delay_alu instid0(VALU_DEP_4) | instskip(NEXT) | instid1(VALU_DEP_1)
	v_mad_i32_i24 v2, v10, v173, v2
	v_add3_u32 v126, v2, v3, v4
	v_add_nc_u32_e32 v2, 0x2100, v85
	v_add_nc_u32_e32 v3, 0x2108, v85
	;; [unrolled: 1-line block ×3, first 2 shown]
	ds_load_2addr_b32 v[102:103], v2 offset1:1
	ds_load_2addr_b32 v[2:3], v3 offset1:1
	;; [unrolled: 1-line block ×3, first 2 shown]
	s_wait_dscnt 0x2
	v_ashrrev_i32_e32 v4, s18, v103
	s_wait_dscnt 0x1
	v_ashrrev_i32_e32 v3, s18, v3
	s_wait_dscnt 0x0
	s_delay_alu instid0(VALU_DEP_2)
	v_dual_ashrrev_i32 v115, s18, v115 :: v_dual_bitop2_b32 v127, 3, v4 bitop3:0x40
	v_bfe_u32 v128, v4, 8, 2
	v_bfe_u32 v129, v4, 16, 2
	;; [unrolled: 1-line block ×3, first 2 shown]
	s_set_vgpr_msb 64                       ;  msbs: dst=1 src0=0 src1=0 src2=0
	v_bfe_u32 v177 /*v433*/, v115, 8, 2
	s_set_vgpr_msb 4                        ;  msbs: dst=0 src0=0 src1=1 src2=0
	v_mul_i32_i24_e32 v4, v127, v97 /*v353*/
	v_mul_i32_i24_e32 v5, v129, v95 /*v351*/
	;; [unrolled: 1-line block ×3, first 2 shown]
	s_delay_alu instid0(VALU_DEP_3) | instskip(SKIP_1) | instid1(VALU_DEP_1)
	v_mad_i32_i24 v4, v128, v94 /*v350*/, v4
	s_set_vgpr_msb 0                        ;  msbs: dst=0 src0=0 src1=0 src2=0
	v_add3_u32 v131, v4, v5, v103
	v_ashrrev_i32_e32 v4, s18, v114
	s_delay_alu instid0(VALU_DEP_1) | instskip(SKIP_3) | instid1(VALU_DEP_4)
	v_and_b32_e32 v103, 3, v4
	v_bfe_u32 v114, v4, 8, 2
	v_bfe_u32 v132, v4, 16, 2
	;; [unrolled: 1-line block ×3, first 2 shown]
	v_mul_i32_i24_e32 v4, v103, v168
	s_delay_alu instid0(VALU_DEP_3) | instskip(NEXT) | instid1(VALU_DEP_3)
	v_mul_i32_i24_e32 v5, v132, v63
	v_mul_i32_i24_e32 v116, v133, v151
	;; [unrolled: 1-line block ×3, first 2 shown]
	s_delay_alu instid0(VALU_DEP_4) | instskip(NEXT) | instid1(VALU_DEP_1)
	v_mad_i32_i24 v4, v114, v173, v4
	v_add3_u32 v134, v4, v5, v116
	v_add_nc_u32_e32 v4, 0x3180, v85
	ds_load_2addr_b32 v[116:117], v4 offset1:1
	s_wait_dscnt 0x0
	v_ashrrev_i32_e32 v4, s18, v117
	s_delay_alu instid0(VALU_DEP_1)
	v_and_b32_e32 v135, 3, v4
	v_bfe_u32 v136, v4, 8, 2
	v_bfe_u32 v137, v4, 16, 2
	;; [unrolled: 1-line block ×3, first 2 shown]
	s_set_vgpr_msb 4                        ;  msbs: dst=0 src0=0 src1=1 src2=0
	v_mul_i32_i24_e32 v4, v135, v97 /*v353*/
	s_delay_alu instid0(VALU_DEP_3) | instskip(NEXT) | instid1(VALU_DEP_3)
	v_mul_i32_i24_e32 v5, v137, v95 /*v351*/
	v_mul_i32_i24_e32 v117, v138, v96 /*v352*/
	s_delay_alu instid0(VALU_DEP_3) | instskip(SKIP_1) | instid1(VALU_DEP_1)
	v_mad_i32_i24 v4, v136, v94 /*v350*/, v4
	s_set_vgpr_msb 0                        ;  msbs: dst=0 src0=0 src1=0 src2=0
	v_add3_u32 v139, v4, v5, v117
	s_set_vgpr_msb 20                       ;  msbs: dst=0 src0=0 src1=1 src2=1
	v_add3_u32 v4, s19, v209 /*v465*/, v200 /*v456*/
	s_set_vgpr_msb 0                        ;  msbs: dst=0 src0=0 src1=0 src2=0
	v_add_nc_u32_e32 v5, 0x3198, v85
	ds_load_u16 v165, v4
	v_add_nc_u32_e32 v4, 0x3190, v85
	ds_load_2addr_b32 v[118:119], v4 offset1:1
	ds_load_2addr_b32 v[4:5], v5 offset1:1
	s_wait_dscnt 0x1
	v_dual_ashrrev_i32 v117, s18, v118 :: v_dual_ashrrev_i32 v119, s18, v119
	s_wait_dscnt 0x0
	v_dual_ashrrev_i32 v4, s18, v4 :: v_dual_ashrrev_i32 v5, s18, v5
	s_delay_alu instid0(VALU_DEP_2) | instskip(SKIP_3) | instid1(VALU_DEP_4)
	v_and_b32_e32 v118, 3, v117
	v_bfe_u32 v140, v117, 8, 2
	v_bfe_u32 v141, v117, 16, 2
	;; [unrolled: 1-line block ×3, first 2 shown]
	v_mul_i32_i24_e32 v142, v118, v168
	s_delay_alu instid0(VALU_DEP_3) | instskip(NEXT) | instid1(VALU_DEP_3)
	v_mul_i32_i24_e32 v143, v141, v63
	v_mul_i32_i24_e32 v144, v117, v151
	s_delay_alu instid0(VALU_DEP_3) | instskip(NEXT) | instid1(VALU_DEP_1)
	v_mad_i32_i24 v142, v140, v173, v142
	v_add3_u32 v142, v142, v143, v144
	v_and_b32_e32 v143, 3, v8
	v_bfe_u32 v144, v8, 8, 2
	s_set_vgpr_msb 4                        ;  msbs: dst=0 src0=0 src1=1 src2=0
	s_delay_alu instid0(VALU_DEP_2) | instskip(SKIP_3) | instid1(VALU_DEP_2)
	v_mul_i32_i24_e32 v8, v143, v102 /*v358*/
	s_set_vgpr_msb 1                        ;  msbs: dst=0 src0=1 src1=0 src2=0
	v_mul_i32_i24_e32 v6, v123 /*v379*/, v143
	s_set_vgpr_msb 4                        ;  msbs: dst=0 src0=0 src1=1 src2=0
	v_mad_i32_i24 v8, v144, v103 /*v359*/, v8
	s_set_vgpr_msb 1                        ;  msbs: dst=0 src0=1 src1=0 src2=0
	s_delay_alu instid0(VALU_DEP_2) | instskip(SKIP_1) | instid1(VALU_DEP_2)
	v_mad_i32_i24 v6, v148 /*v404*/, v144, v6
	s_set_vgpr_msb 0                        ;  msbs: dst=0 src0=0 src1=0 src2=0
	v_add3_u32 v147, v8, v147, v148
	s_set_vgpr_msb 4                        ;  msbs: dst=0 src0=0 src1=1 src2=0
	v_mul_i32_i24_e32 v8, v9, v56 /*v312*/
	s_set_vgpr_msb 0                        ;  msbs: dst=0 src0=0 src1=0 src2=0
	v_mul_i32_i24_e32 v148, v124, v154
	s_set_vgpr_msb 4                        ;  msbs: dst=0 src0=0 src1=1 src2=0
	s_delay_alu instid0(VALU_DEP_2) | instskip(SKIP_1) | instid1(VALU_DEP_1)
	v_mad_i32_i24 v8, v10, v57 /*v313*/, v8
	s_set_vgpr_msb 0                        ;  msbs: dst=0 src0=0 src1=0 src2=0
	v_add3_u32 v148, v8, v148, v149
	v_ashrrev_i32_e32 v8, s18, v102
	s_delay_alu instid0(VALU_DEP_1)
	v_and_b32_e32 v149, 3, v8
	v_bfe_u32 v190, v8, 8, 2
	v_bfe_u32 v191, v8, 24, 2
	;; [unrolled: 1-line block ×3, first 2 shown]
	s_set_vgpr_msb 4                        ;  msbs: dst=0 src0=0 src1=1 src2=0
	v_mul_i32_i24_e32 v8, v149, v102 /*v358*/
	s_delay_alu instid0(VALU_DEP_3) | instskip(NEXT) | instid1(VALU_DEP_3)
	v_mul_i32_i24_e32 v193, v191, v104 /*v360*/
	v_mul_i32_i24_e32 v102, v192, v101 /*v357*/
	s_delay_alu instid0(VALU_DEP_3) | instskip(SKIP_1) | instid1(VALU_DEP_1)
	v_mad_i32_i24 v8, v190, v103 /*v359*/, v8
	s_set_vgpr_msb 0                        ;  msbs: dst=0 src0=0 src1=0 src2=0
	v_add3_u32 v193, v8, v102, v193
	s_set_vgpr_msb 4                        ;  msbs: dst=0 src0=0 src1=1 src2=0
	v_mul_i32_i24_e32 v8, v103, v56 /*v312*/
	s_set_vgpr_msb 0                        ;  msbs: dst=0 src0=0 src1=0 src2=0
	v_mul_i32_i24_e32 v102, v132, v154
	s_set_vgpr_msb 4                        ;  msbs: dst=0 src0=0 src1=1 src2=0
	s_delay_alu instid0(VALU_DEP_2) | instskip(SKIP_1) | instid1(VALU_DEP_1)
	v_mad_i32_i24 v8, v114, v57 /*v313*/, v8
	s_set_vgpr_msb 0                        ;  msbs: dst=0 src0=0 src1=0 src2=0
	v_add3_u32 v194, v8, v102, v194
	v_ashrrev_i32_e32 v8, s18, v116
	s_delay_alu instid0(VALU_DEP_1)
	v_and_b32_e32 v195, 3, v8
	v_bfe_u32 v196, v8, 8, 2
	v_bfe_u32 v197, v8, 24, 2
	;; [unrolled: 1-line block ×3, first 2 shown]
	s_set_vgpr_msb 4                        ;  msbs: dst=0 src0=0 src1=1 src2=0
	v_mul_i32_i24_e32 v8, v195, v102 /*v358*/
	s_delay_alu instid0(VALU_DEP_3) | instskip(NEXT) | instid1(VALU_DEP_3)
	v_mul_i32_i24_e32 v116, v197, v104 /*v360*/
	v_mul_i32_i24_e32 v102, v198, v101 /*v357*/
	s_delay_alu instid0(VALU_DEP_3) | instskip(SKIP_1) | instid1(VALU_DEP_1)
	v_mad_i32_i24 v8, v196, v103 /*v359*/, v8
	s_set_vgpr_msb 0                        ;  msbs: dst=0 src0=0 src1=0 src2=0
	v_add3_u32 v199, v8, v102, v116
	s_set_vgpr_msb 4                        ;  msbs: dst=0 src0=0 src1=1 src2=0
	v_mul_i32_i24_e32 v8, v118, v56 /*v312*/
	s_set_vgpr_msb 0                        ;  msbs: dst=0 src0=0 src1=0 src2=0
	v_mul_i32_i24_e32 v102, v141, v154
	v_mul_i32_i24_e32 v116, v117, v155
	s_set_vgpr_msb 4                        ;  msbs: dst=0 src0=0 src1=1 src2=0
	v_mad_i32_i24 v8, v140, v57 /*v313*/, v8
	s_set_vgpr_msb 0                        ;  msbs: dst=0 src0=0 src1=0 src2=0
	s_delay_alu instid0(VALU_DEP_1) | instskip(SKIP_4) | instid1(VALU_DEP_3)
	v_add3_u32 v200, v8, v102, v116
	s_set_vgpr_msb 4                        ;  msbs: dst=0 src0=0 src1=1 src2=0
	v_mul_i32_i24_e32 v8, v143, v114 /*v370*/
	v_mul_i32_i24_e32 v102, v146, v113 /*v369*/
	v_mul_i32_i24_e32 v116, v145, v116 /*v372*/
	v_mad_i32_i24 v8, v144, v115 /*v371*/, v8
	s_set_vgpr_msb 0                        ;  msbs: dst=0 src0=0 src1=0 src2=0
	s_delay_alu instid0(VALU_DEP_1) | instskip(SKIP_4) | instid1(VALU_DEP_3)
	v_add3_u32 v201, v8, v102, v116
	s_set_vgpr_msb 4                        ;  msbs: dst=0 src0=0 src1=1 src2=0
	v_mul_i32_i24_e32 v8, v149, v114 /*v370*/
	v_mul_i32_i24_e32 v102, v192, v113 /*v369*/
	v_mul_i32_i24_e32 v116, v191, v116 /*v372*/
	;; [unrolled: 8-line block ×17, first 2 shown]
	v_mad_i32_i24 v8, v190, v109 /*v365*/, v8
	s_set_vgpr_msb 64                       ;  msbs: dst=1 src0=0 src1=0 src2=0
	s_delay_alu instid0(VALU_DEP_1)
	v_add3_u32 v138 /*v394*/, v8, v102, v116
	s_set_vgpr_msb 0                        ;  msbs: dst=0 src0=0 src1=0 src2=0
	v_mul_i32_i24_e32 v8, v9, v167
	v_mul_i32_i24_e32 v102, v124, v160
	v_mul_i32_i24_e32 v116, v125, v172
	s_set_vgpr_msb 4                        ;  msbs: dst=0 src0=0 src1=1 src2=0
	s_delay_alu instid0(VALU_DEP_3) | instskip(SKIP_1) | instid1(VALU_DEP_1)
	v_mad_i32_i24 v8, v10, v65 /*v321*/, v8
	s_set_vgpr_msb 64                       ;  msbs: dst=1 src0=0 src1=0 src2=0
	v_add3_u32 v139 /*v395*/, v8, v102, v116
	s_set_vgpr_msb 0                        ;  msbs: dst=0 src0=0 src1=0 src2=0
	v_mul_i32_i24_e32 v8, v103, v167
	v_mul_i32_i24_e32 v102, v132, v160
	v_mul_i32_i24_e32 v116, v133, v172
	s_set_vgpr_msb 4                        ;  msbs: dst=0 src0=0 src1=1 src2=0
	s_delay_alu instid0(VALU_DEP_3) | instskip(SKIP_1) | instid1(VALU_DEP_1)
	v_mad_i32_i24 v8, v114, v65 /*v321*/, v8
	s_set_vgpr_msb 64                       ;  msbs: dst=1 src0=0 src1=0 src2=0
	;; [unrolled: 9-line block ×3, first 2 shown]
	v_add3_u32 v141 /*v397*/, v8, v102, v116
	s_set_vgpr_msb 4                        ;  msbs: dst=0 src0=0 src1=1 src2=0
	v_mul_i32_i24_e32 v8, v103, v68 /*v324*/
	s_set_vgpr_msb 0                        ;  msbs: dst=0 src0=0 src1=0 src2=0
	v_mul_i32_i24_e32 v102, v132, v170
	s_set_vgpr_msb 4                        ;  msbs: dst=0 src0=0 src1=1 src2=0
	v_mul_i32_i24_e32 v116, v133, v18 /*v274*/
	v_mad_i32_i24 v8, v114, v69 /*v325*/, v8
	s_set_vgpr_msb 64                       ;  msbs: dst=1 src0=0 src1=0 src2=0
	s_delay_alu instid0(VALU_DEP_1)
	v_add3_u32 v142 /*v398*/, v8, v102, v116
	s_set_vgpr_msb 4                        ;  msbs: dst=0 src0=0 src1=1 src2=0
	v_mul_i32_i24_e32 v8, v9, v68 /*v324*/
	s_set_vgpr_msb 0                        ;  msbs: dst=0 src0=0 src1=0 src2=0
	v_mul_i32_i24_e32 v102, v124, v170
	s_set_vgpr_msb 4                        ;  msbs: dst=0 src0=0 src1=1 src2=0
	v_mul_i32_i24_e32 v116, v125, v18 /*v274*/
	v_mad_i32_i24 v8, v10, v69 /*v325*/, v8
	s_set_vgpr_msb 64                       ;  msbs: dst=1 src0=0 src1=0 src2=0
	s_delay_alu instid0(VALU_DEP_1) | instskip(SKIP_4) | instid1(VALU_DEP_3)
	v_add3_u32 v143 /*v399*/, v8, v102, v116
	s_set_vgpr_msb 4                        ;  msbs: dst=0 src0=0 src1=1 src2=0
	v_mul_i32_i24_e32 v8, v195, v108 /*v364*/
	v_mul_i32_i24_e32 v102, v198, v107 /*v363*/
	;; [unrolled: 1-line block ×3, first 2 shown]
	v_mad_i32_i24 v8, v196, v109 /*v365*/, v8
	s_set_vgpr_msb 64                       ;  msbs: dst=1 src0=0 src1=0 src2=0
	s_delay_alu instid0(VALU_DEP_1)
	v_add3_u32 v144 /*v400*/, v8, v102, v116
	s_set_vgpr_msb 4                        ;  msbs: dst=0 src0=0 src1=1 src2=0
	v_mul_i32_i24_e32 v8, v118, v68 /*v324*/
	s_set_vgpr_msb 0                        ;  msbs: dst=0 src0=0 src1=0 src2=0
	v_mul_i32_i24_e32 v102, v141, v170
	s_set_vgpr_msb 4                        ;  msbs: dst=0 src0=0 src1=1 src2=0
	v_mul_i32_i24_e32 v116, v117, v18 /*v274*/
	v_mad_i32_i24 v8, v140, v69 /*v325*/, v8
	s_set_vgpr_msb 64                       ;  msbs: dst=1 src0=0 src1=0 src2=0
	s_delay_alu instid0(VALU_DEP_1) | instskip(SKIP_4) | instid1(VALU_DEP_3)
	v_add3_u32 v145 /*v401*/, v8, v102, v116
	s_set_vgpr_msb 4                        ;  msbs: dst=0 src0=0 src1=1 src2=0
	v_mul_i32_i24_e32 v8, v143, v84 /*v340*/
	v_mul_i32_i24_e32 v102, v146, v86 /*v342*/
	;; [unrolled: 1-line block ×3, first 2 shown]
	v_mad_i32_i24 v8, v144, v85 /*v341*/, v8
	s_set_vgpr_msb 64                       ;  msbs: dst=1 src0=0 src1=0 src2=0
	s_delay_alu instid0(VALU_DEP_1)
	v_add3_u32 v146 /*v402*/, v8, v102, v116
	s_set_vgpr_msb 4                        ;  msbs: dst=0 src0=0 src1=1 src2=0
	v_mul_i32_i24_e32 v8, v9, v40 /*v296*/
	s_set_vgpr_msb 0                        ;  msbs: dst=0 src0=0 src1=0 src2=0
	v_mul_i32_i24_e32 v102, v124, v61
	v_mul_i32_i24_e32 v116, v125, v59
	s_set_vgpr_msb 4                        ;  msbs: dst=0 src0=0 src1=1 src2=0
	v_mad_i32_i24 v8, v10, v36 /*v292*/, v8
	s_set_vgpr_msb 64                       ;  msbs: dst=1 src0=0 src1=0 src2=0
	s_delay_alu instid0(VALU_DEP_1) | instskip(SKIP_4) | instid1(VALU_DEP_1)
	v_add3_u32 v147 /*v403*/, v8, v102, v116
	s_set_vgpr_msb 1                        ;  msbs: dst=0 src0=1 src1=0 src2=0
	v_mul_i32_i24_e32 v8, v122 /*v378*/, v146
	v_mul_i32_i24_e32 v102, v121 /*v377*/, v145
	s_set_vgpr_msb 64                       ;  msbs: dst=1 src0=0 src1=0 src2=0
	v_add3_u32 v149 /*v405*/, v6, v8, v102
	s_set_vgpr_msb 1                        ;  msbs: dst=0 src0=1 src1=0 src2=0
	v_mul_i32_i24_e32 v6, v123 /*v379*/, v149
	v_mul_i32_i24_e32 v8, v122 /*v378*/, v192
	;; [unrolled: 1-line block ×3, first 2 shown]
	s_delay_alu instid0(VALU_DEP_3) | instskip(SKIP_1) | instid1(VALU_DEP_1)
	v_mad_i32_i24 v6, v148 /*v404*/, v190, v6
	s_set_vgpr_msb 64                       ;  msbs: dst=1 src0=0 src1=0 src2=0
	v_add3_u32 v150 /*v406*/, v6, v8, v102
	s_set_vgpr_msb 1                        ;  msbs: dst=0 src0=1 src1=0 src2=0
	v_mul_i32_i24_e32 v6, v123 /*v379*/, v195
	v_mul_i32_i24_e32 v8, v122 /*v378*/, v198
	;; [unrolled: 1-line block ×3, first 2 shown]
	s_delay_alu instid0(VALU_DEP_3) | instskip(SKIP_1) | instid1(VALU_DEP_1)
	v_mad_i32_i24 v6, v148 /*v404*/, v196, v6
	s_set_vgpr_msb 64                       ;  msbs: dst=1 src0=0 src1=0 src2=0
	v_add3_u32 v151 /*v407*/, v6, v8, v102
	s_set_vgpr_msb 4                        ;  msbs: dst=0 src0=0 src1=1 src2=0
	v_mul_i32_i24_e32 v6, v149, v84 /*v340*/
	v_mul_i32_i24_e32 v8, v192, v86 /*v342*/
	;; [unrolled: 1-line block ×3, first 2 shown]
	s_delay_alu instid0(VALU_DEP_3) | instskip(SKIP_1) | instid1(VALU_DEP_1)
	v_mad_i32_i24 v6, v190, v85 /*v341*/, v6
	s_set_vgpr_msb 64                       ;  msbs: dst=1 src0=0 src1=0 src2=0
	v_add3_u32 v152 /*v408*/, v6, v8, v102
	s_set_vgpr_msb 4                        ;  msbs: dst=0 src0=0 src1=1 src2=0
	v_mul_i32_i24_e32 v6, v103, v40 /*v296*/
	s_set_vgpr_msb 0                        ;  msbs: dst=0 src0=0 src1=0 src2=0
	v_mul_i32_i24_e32 v8, v132, v61
	v_mul_i32_i24_e32 v102, v133, v59
	s_set_vgpr_msb 4                        ;  msbs: dst=0 src0=0 src1=1 src2=0
	v_mad_i32_i24 v6, v114, v36 /*v292*/, v6
	s_set_vgpr_msb 64                       ;  msbs: dst=1 src0=0 src1=0 src2=0
	s_delay_alu instid0(VALU_DEP_1)
	v_add3_u32 v153 /*v409*/, v6, v8, v102
	s_set_vgpr_msb 4                        ;  msbs: dst=0 src0=0 src1=1 src2=0
	v_mul_i32_i24_e32 v6, v195, v84 /*v340*/
	v_mul_i32_i24_e32 v8, v198, v86 /*v342*/
	;; [unrolled: 1-line block ×3, first 2 shown]
	s_set_vgpr_msb 0                        ;  msbs: dst=0 src0=0 src1=0 src2=0
	v_mul_i32_i24_e32 v197, v14, v197
	s_set_vgpr_msb 4                        ;  msbs: dst=0 src0=0 src1=1 src2=0
	v_mad_i32_i24 v6, v196, v85 /*v341*/, v6
	s_set_vgpr_msb 64                       ;  msbs: dst=1 src0=0 src1=0 src2=0
	s_delay_alu instid0(VALU_DEP_1)
	v_add3_u32 v154 /*v410*/, v6, v8, v102
	s_set_vgpr_msb 4                        ;  msbs: dst=0 src0=0 src1=1 src2=0
	v_mul_i32_i24_e32 v6, v118, v40 /*v296*/
	s_set_vgpr_msb 0                        ;  msbs: dst=0 src0=0 src1=0 src2=0
	v_mul_i32_i24_e32 v8, v141, v61
	v_mul_i32_i24_e32 v102, v117, v59
	s_set_vgpr_msb 4                        ;  msbs: dst=0 src0=0 src1=1 src2=0
	v_mad_i32_i24 v6, v140, v36 /*v292*/, v6
	s_set_vgpr_msb 64                       ;  msbs: dst=1 src0=0 src1=0 src2=0
	s_delay_alu instid0(VALU_DEP_1)
	v_add3_u32 v155 /*v411*/, v6, v8, v102
	s_set_vgpr_msb 0                        ;  msbs: dst=0 src0=0 src1=0 src2=0
	v_bfe_i32 v102, v7, 0, 8
	v_mul_i32_i24_e32 v6, v9, v101
	v_mul_i32_i24_e32 v7, v124, v110
	v_mul_i32_i24_e32 v8, v125, v100
	s_delay_alu instid0(VALU_DEP_3) | instskip(NEXT) | instid1(VALU_DEP_1)
	v_mad_i32_i24 v6, v10, v102, v6
	v_add3_u32 v124, v6, v7, v8
	v_mul_i32_i24_e32 v6, v103, v101
	v_mul_i32_i24_e32 v7, v132, v110
	v_mul_i32_i24_e32 v8, v133, v100
	s_delay_alu instid0(VALU_DEP_3) | instskip(NEXT) | instid1(VALU_DEP_1)
	v_mad_i32_i24 v6, v114, v102, v6
	v_add3_u32 v125, v6, v7, v8
	;; [unrolled: 6-line block ×3, first 2 shown]
	ds_load_2addr_b32 v[8:9], v85 offset1:1
	ds_load_2addr_b32 v[6:7], v85 offset0:2 offset1:3
	ds_load_2addr_b32 v[116:117], v85 offset0:4 offset1:5
	s_wait_dscnt 0x2
	v_dual_ashrrev_i32 v9, s18, v9 :: v_dual_ashrrev_i32 v8, s18, v8
	s_wait_dscnt 0x0
	v_ashrrev_i32_e32 v117, s18, v117
	s_delay_alu instid0(VALU_DEP_2)
	v_and_b32_e32 v132, 3, v9
	v_bfe_u32 v133, v9, 8, 2
	v_bfe_u32 v140, v9, 16, 2
	;; [unrolled: 1-line block ×3, first 2 shown]
	s_set_vgpr_msb 64                       ;  msbs: dst=1 src0=0 src1=0 src2=0
	v_bfe_u32 v159 /*v415*/, v8, 8, 2
	s_set_vgpr_msb 4                        ;  msbs: dst=0 src0=0 src1=1 src2=0
	v_mul_i32_i24_e32 v9, v132, v97 /*v353*/
	s_set_vgpr_msb 64                       ;  msbs: dst=1 src0=0 src1=0 src2=0
	v_bfe_u32 v160 /*v416*/, v8, 16, 2
	s_set_vgpr_msb 4                        ;  msbs: dst=0 src0=0 src1=1 src2=0
	v_mul_i32_i24_e32 v10, v140, v95 /*v351*/
	v_mul_i32_i24_e32 v103, v141, v96 /*v352*/
	v_mad_i32_i24 v9, v133, v94 /*v350*/, v9
	s_set_vgpr_msb 0x45                     ;  msbs: dst=1 src0=1 src1=1 src2=0
	v_mul_i32_i24_e32 v161 /*v417*/, v160 /*v416*/, v101 /*v357*/
	s_set_vgpr_msb 64                       ;  msbs: dst=1 src0=0 src1=0 src2=0
	s_delay_alu instid0(VALU_DEP_2) | instskip(SKIP_2) | instid1(VALU_DEP_1)
	v_add3_u32 v156 /*v412*/, v9, v10, v103
	s_set_vgpr_msb 0                        ;  msbs: dst=0 src0=0 src1=0 src2=0
	v_ashrrev_i32_e32 v9, s18, v116
	v_and_b32_e32 v10, 3, v9
	v_bfe_u32 v114, v9, 8, 2
	v_bfe_u32 v116, v9, 16, 2
	;; [unrolled: 1-line block ×3, first 2 shown]
	s_delay_alu instid0(VALU_DEP_4)
	v_mul_i32_i24_e32 v103, v10, v168
	s_set_vgpr_msb 1                        ;  msbs: dst=0 src0=1 src1=0 src2=0
	v_add_nc_u32_e32 v168, v46 /*v302*/, v168
	s_set_vgpr_msb 64                       ;  msbs: dst=1 src0=0 src1=0 src2=0
	v_mul_i32_i24_e32 v157 /*v413*/, v116, v63
	v_mul_i32_i24_e32 v158 /*v414*/, v9, v151
	;; [unrolled: 1-line block ×3, first 2 shown]
	s_set_vgpr_msb 0                        ;  msbs: dst=0 src0=0 src1=0 src2=0
	v_mad_i32_i24 v103, v114, v173, v103
	s_set_vgpr_msb 0x44                     ;  msbs: dst=1 src0=0 src1=1 src2=0
	v_mul_i32_i24_e32 v166 /*v422*/, v9, v2 /*v258*/
	s_set_vgpr_msb 64                       ;  msbs: dst=1 src0=0 src1=0 src2=0
	v_mul_i32_i24_e32 v168 /*v424*/, v9, v59
	s_set_vgpr_msb 0x44                     ;  msbs: dst=1 src0=0 src1=1 src2=0
	v_mul_i32_i24_e32 v170 /*v426*/, v9, v20 /*v276*/
	s_set_vgpr_msb 64                       ;  msbs: dst=1 src0=0 src1=0 src2=0
	v_mul_i32_i24_e32 v172 /*v428*/, v9, v172
	s_set_vgpr_msb 0x54                     ;  msbs: dst=1 src0=0 src1=1 src2=1
	v_add3_u32 v157 /*v413*/, v103, v157 /*v413*/, v158 /*v414*/
	s_set_vgpr_msb 64                       ;  msbs: dst=1 src0=0 src1=0 src2=0
	v_and_b32_e32 v158 /*v414*/, 3, v8
	s_set_vgpr_msb 0                        ;  msbs: dst=0 src0=0 src1=0 src2=0
	v_bfe_u32 v103, v8, 24, 2
	s_set_vgpr_msb 0x44                     ;  msbs: dst=1 src0=0 src1=1 src2=0
	v_mul_i32_i24_e32 v173 /*v429*/, v9, v18 /*v274*/
	s_set_vgpr_msb 0                        ;  msbs: dst=0 src0=0 src1=0 src2=0
	v_mul_i32_i24_e32 v9, v9, v100
	s_set_vgpr_msb 1                        ;  msbs: dst=0 src0=1 src1=0 src2=0
	v_add_nc_u32_e32 v173, v47 /*v303*/, v173
	s_set_vgpr_msb 5                        ;  msbs: dst=0 src0=1 src1=1 src2=0
	v_mul_i32_i24_e32 v8, v158 /*v414*/, v102 /*v358*/
	s_set_vgpr_msb 0x44                     ;  msbs: dst=1 src0=0 src1=1 src2=0
	v_mul_i32_i24_e32 v162 /*v418*/, v103, v104 /*v360*/
	v_mul_i32_i24_e32 v164 /*v420*/, v103, v116 /*v372*/
	;; [unrolled: 1-line block ×4, first 2 shown]
	s_set_vgpr_msb 5                        ;  msbs: dst=0 src0=1 src1=1 src2=0
	v_mad_i32_i24 v8, v159 /*v415*/, v103 /*v359*/, v8
	s_set_vgpr_msb 0x44                     ;  msbs: dst=1 src0=0 src1=1 src2=0
	v_mul_i32_i24_e32 v169 /*v425*/, v103, v126 /*v382*/
	v_mul_i32_i24_e32 v171 /*v427*/, v103, v110 /*v366*/
	s_set_vgpr_msb 0x41                     ;  msbs: dst=1 src0=1 src1=0 src2=0
	v_mul_i32_i24_e32 v174 /*v430*/, v121 /*v377*/, v103
	s_set_vgpr_msb 0x45                     ;  msbs: dst=1 src0=1 src1=1 src2=0
	v_add_nc_u32_e32 v87 /*v343*/, v79 /*v335*/, v87 /*v343*/
	s_set_vgpr_msb 0x54                     ;  msbs: dst=1 src0=0 src1=1 src2=1
	v_add3_u32 v161 /*v417*/, v8, v161 /*v417*/, v162 /*v418*/
	s_set_vgpr_msb 4                        ;  msbs: dst=0 src0=0 src1=1 src2=0
	v_mul_i32_i24_e32 v8, v10, v56 /*v312*/
	s_set_vgpr_msb 64                       ;  msbs: dst=1 src0=0 src1=0 src2=0
	v_mul_i32_i24_e32 v162 /*v418*/, v116, v154
	s_set_vgpr_msb 0x41                     ;  msbs: dst=1 src0=1 src1=0 src2=0
	v_add3_u32 v87 /*v343*/, v87 /*v343*/, v247, v40
	s_set_vgpr_msb 4                        ;  msbs: dst=0 src0=0 src1=1 src2=0
	v_mad_i32_i24 v8, v114, v57 /*v313*/, v8
	s_set_vgpr_msb 0x54                     ;  msbs: dst=1 src0=0 src1=1 src2=1
	s_delay_alu instid0(VALU_DEP_1)
	v_add3_u32 v162 /*v418*/, v8, v162 /*v418*/, v163 /*v419*/
	s_set_vgpr_msb 5                        ;  msbs: dst=0 src0=1 src1=1 src2=0
	v_mul_i32_i24_e32 v8, v158 /*v414*/, v114 /*v370*/
	s_set_vgpr_msb 0x45                     ;  msbs: dst=1 src0=1 src1=1 src2=0
	v_mul_i32_i24_e32 v163 /*v419*/, v160 /*v416*/, v113 /*v369*/
	s_set_vgpr_msb 5                        ;  msbs: dst=0 src0=1 src1=1 src2=0
	s_delay_alu instid0(VALU_DEP_2) | instskip(SKIP_1) | instid1(VALU_DEP_1)
	v_mad_i32_i24 v8, v159 /*v415*/, v115 /*v371*/, v8
	s_set_vgpr_msb 0x54                     ;  msbs: dst=1 src0=0 src1=1 src2=1
	v_add3_u32 v163 /*v419*/, v8, v163 /*v419*/, v164 /*v420*/
	s_set_vgpr_msb 5                        ;  msbs: dst=0 src0=1 src1=1 src2=0
	v_mul_i32_i24_e32 v8, v158 /*v414*/, v134 /*v390*/
	s_set_vgpr_msb 0x45                     ;  msbs: dst=1 src0=1 src1=1 src2=0
	v_mul_i32_i24_e32 v164 /*v420*/, v160 /*v416*/, v136 /*v392*/
	v_add_nc_u32_e32 v134 /*v390*/, v127 /*v383*/, v134 /*v390*/
	s_set_vgpr_msb 5                        ;  msbs: dst=0 src0=1 src1=1 src2=0
	v_mad_i32_i24 v8, v159 /*v415*/, v135 /*v391*/, v8
	s_set_vgpr_msb 0x45                     ;  msbs: dst=1 src0=1 src1=1 src2=0
	s_delay_alu instid0(VALU_DEP_2) | instskip(SKIP_1) | instid1(VALU_DEP_2)
	v_add3_u32 v134 /*v390*/, v134 /*v390*/, v50 /*v306*/, v235
	s_set_vgpr_msb 0x54                     ;  msbs: dst=1 src0=0 src1=1 src2=1
	v_add3_u32 v164 /*v420*/, v8, v164 /*v420*/, v165 /*v421*/
	s_set_vgpr_msb 4                        ;  msbs: dst=0 src0=0 src1=1 src2=0
	v_mul_i32_i24_e32 v8, v10, v63 /*v319*/
	s_set_vgpr_msb 0x44                     ;  msbs: dst=1 src0=0 src1=1 src2=0
	v_mul_i32_i24_e32 v165 /*v421*/, v116, v7 /*v263*/
	s_set_vgpr_msb 4                        ;  msbs: dst=0 src0=0 src1=1 src2=0
	s_delay_alu instid0(VALU_DEP_2) | instskip(SKIP_1) | instid1(VALU_DEP_1)
	v_mad_i32_i24 v8, v114, v61 /*v317*/, v8
	s_set_vgpr_msb 0x54                     ;  msbs: dst=1 src0=0 src1=1 src2=1
	v_add3_u32 v165 /*v421*/, v8, v165 /*v421*/, v166 /*v422*/
	s_set_vgpr_msb 5                        ;  msbs: dst=0 src0=1 src1=1 src2=0
	v_mul_i32_i24_e32 v8, v158 /*v414*/, v84 /*v340*/
	s_set_vgpr_msb 0x45                     ;  msbs: dst=1 src0=1 src1=1 src2=0
	v_mul_i32_i24_e32 v166 /*v422*/, v160 /*v416*/, v86 /*v342*/
	v_dual_add_nc_u32 v84 /*v340*/, v88 /*v344*/, v84 /*v340*/ :: v_dual_add_nc_u32 v86 /*v342*/, v78 /*v334*/, v86 /*v342*/
	s_set_vgpr_msb 5                        ;  msbs: dst=0 src0=1 src1=1 src2=0
	v_mad_i32_i24 v8, v159 /*v415*/, v85 /*v341*/, v8
	s_set_vgpr_msb 0x45                     ;  msbs: dst=1 src0=1 src1=1 src2=0
	v_add_nc_u32_e32 v85 /*v341*/, v89 /*v345*/, v85 /*v341*/
	v_add3_u32 v84 /*v340*/, v84 /*v340*/, v30 /*v286*/, v177
	s_set_vgpr_msb 0x41                     ;  msbs: dst=1 src0=1 src1=0 src2=0
	v_add3_u32 v86 /*v342*/, v86 /*v342*/, v246, v39
	s_set_vgpr_msb 0x54                     ;  msbs: dst=1 src0=0 src1=1 src2=1
	v_add3_u32 v166 /*v422*/, v8, v166 /*v422*/, v167 /*v423*/
	s_set_vgpr_msb 4                        ;  msbs: dst=0 src0=0 src1=1 src2=0
	v_mul_i32_i24_e32 v8, v10, v40 /*v296*/
	s_set_vgpr_msb 64                       ;  msbs: dst=1 src0=0 src1=0 src2=0
	v_mul_i32_i24_e32 v167 /*v423*/, v116, v61
	s_set_vgpr_msb 0x45                     ;  msbs: dst=1 src0=1 src1=1 src2=0
	v_add3_u32 v85 /*v341*/, v85 /*v341*/, v31 /*v287*/, v178
	s_set_vgpr_msb 4                        ;  msbs: dst=0 src0=0 src1=1 src2=0
	v_mad_i32_i24 v8, v114, v36 /*v292*/, v8
	s_set_vgpr_msb 0x54                     ;  msbs: dst=1 src0=0 src1=1 src2=1
	s_delay_alu instid0(VALU_DEP_1)
	v_add3_u32 v167 /*v423*/, v8, v167 /*v423*/, v168 /*v424*/
	s_set_vgpr_msb 5                        ;  msbs: dst=0 src0=1 src1=1 src2=0
	v_mul_i32_i24_e32 v8, v158 /*v414*/, v131 /*v387*/
	s_set_vgpr_msb 0x45                     ;  msbs: dst=1 src0=1 src1=1 src2=0
	v_mul_i32_i24_e32 v168 /*v424*/, v160 /*v416*/, v133 /*v389*/
	v_add_nc_u32_e32 v131 /*v387*/, v129 /*v385*/, v131 /*v387*/
	s_set_vgpr_msb 5                        ;  msbs: dst=0 src0=1 src1=1 src2=0
	v_mad_i32_i24 v8, v159 /*v415*/, v132 /*v388*/, v8
	s_set_vgpr_msb 0x45                     ;  msbs: dst=1 src0=1 src1=1 src2=0
	v_add_nc_u32_e32 v132 /*v388*/, v130 /*v386*/, v132 /*v388*/
	v_add3_u32 v131 /*v387*/, v131 /*v387*/, v52 /*v308*/, v237
	s_set_vgpr_msb 0x54                     ;  msbs: dst=1 src0=0 src1=1 src2=1
	v_add3_u32 v168 /*v424*/, v8, v168 /*v424*/, v169 /*v425*/
	s_set_vgpr_msb 4                        ;  msbs: dst=0 src0=0 src1=1 src2=0
	v_mul_i32_i24_e32 v8, v10, v73 /*v329*/
	s_set_vgpr_msb 0x44                     ;  msbs: dst=1 src0=0 src1=1 src2=0
	v_mul_i32_i24_e32 v169 /*v425*/, v116, v21 /*v277*/
	s_set_vgpr_msb 0x45                     ;  msbs: dst=1 src0=1 src1=1 src2=0
	v_add3_u32 v132 /*v388*/, v132 /*v388*/, v53 /*v309*/, v238
	s_set_vgpr_msb 4                        ;  msbs: dst=0 src0=0 src1=1 src2=0
	v_mad_i32_i24 v8, v114, v72 /*v328*/, v8
	s_set_vgpr_msb 0x54                     ;  msbs: dst=1 src0=0 src1=1 src2=1
	s_delay_alu instid0(VALU_DEP_1)
	v_add3_u32 v169 /*v425*/, v8, v169 /*v425*/, v170 /*v426*/
	s_set_vgpr_msb 5                        ;  msbs: dst=0 src0=1 src1=1 src2=0
	v_mul_i32_i24_e32 v8, v158 /*v414*/, v108 /*v364*/
	s_set_vgpr_msb 0x45                     ;  msbs: dst=1 src0=1 src1=1 src2=0
	v_mul_i32_i24_e32 v170 /*v426*/, v160 /*v416*/, v107 /*v363*/
	s_set_vgpr_msb 5                        ;  msbs: dst=0 src0=1 src1=1 src2=0
	s_delay_alu instid0(VALU_DEP_2) | instskip(SKIP_1) | instid1(VALU_DEP_1)
	v_mad_i32_i24 v8, v159 /*v415*/, v109 /*v365*/, v8
	s_set_vgpr_msb 0x54                     ;  msbs: dst=1 src0=0 src1=1 src2=1
	v_add3_u32 v170 /*v426*/, v8, v170 /*v426*/, v171 /*v427*/
	s_set_vgpr_msb 0                        ;  msbs: dst=0 src0=0 src1=0 src2=0
	v_mul_i32_i24_e32 v8, v10, v167
	s_set_vgpr_msb 64                       ;  msbs: dst=1 src0=0 src1=0 src2=0
	v_mul_i32_i24_e32 v171 /*v427*/, v116, v160
	s_set_vgpr_msb 4                        ;  msbs: dst=0 src0=0 src1=1 src2=0
	s_delay_alu instid0(VALU_DEP_2) | instskip(SKIP_1) | instid1(VALU_DEP_1)
	v_mad_i32_i24 v8, v114, v65 /*v321*/, v8
	s_set_vgpr_msb 0x54                     ;  msbs: dst=1 src0=0 src1=1 src2=1
	v_add3_u32 v171 /*v427*/, v8, v171 /*v427*/, v172 /*v428*/
	s_set_vgpr_msb 4                        ;  msbs: dst=0 src0=0 src1=1 src2=0
	v_mul_i32_i24_e32 v8, v10, v68 /*v324*/
	s_set_vgpr_msb 64                       ;  msbs: dst=1 src0=0 src1=0 src2=0
	v_mul_i32_i24_e32 v172 /*v428*/, v116, v170
	s_set_vgpr_msb 0                        ;  msbs: dst=0 src0=0 src1=0 src2=0
	v_mul_i32_i24_e32 v10, v10, v101
	v_add_nc_u32_e32 v101, v106, v101
	s_set_vgpr_msb 4                        ;  msbs: dst=0 src0=0 src1=1 src2=0
	v_mad_i32_i24 v8, v114, v69 /*v325*/, v8
	s_set_vgpr_msb 0                        ;  msbs: dst=0 src0=0 src1=0 src2=0
	v_mad_i32_i24 v10, v114, v102, v10
	v_add3_u32 v101, v101, v84, v97
	v_add_nc_u32_e32 v102, v120, v102
	s_set_vgpr_msb 0x54                     ;  msbs: dst=1 src0=0 src1=1 src2=1
	v_add3_u32 v172 /*v428*/, v8, v172 /*v428*/, v173 /*v429*/
	s_set_vgpr_msb 5                        ;  msbs: dst=0 src0=1 src1=1 src2=0
	v_mul_i32_i24_e32 v8, v123 /*v379*/, v158 /*v414*/
	s_set_vgpr_msb 0x45                     ;  msbs: dst=1 src0=1 src1=1 src2=0
	v_mul_i32_i24_e32 v173 /*v429*/, v122 /*v378*/, v160 /*v416*/
	s_set_vgpr_msb 0                        ;  msbs: dst=0 src0=0 src1=0 src2=0
	v_add3_u32 v102, v102, v112, v96
	s_set_vgpr_msb 5                        ;  msbs: dst=0 src0=1 src1=1 src2=0
	v_mad_i32_i24 v8, v148 /*v404*/, v159 /*v415*/, v8
	s_set_vgpr_msb 0x54                     ;  msbs: dst=1 src0=0 src1=1 src2=1
	s_delay_alu instid0(VALU_DEP_1)
	v_add3_u32 v173 /*v429*/, v8, v173 /*v429*/, v174 /*v430*/
	s_set_vgpr_msb 0                        ;  msbs: dst=0 src0=0 src1=0 src2=0
	v_mul_i32_i24_e32 v8, v116, v110
	s_set_vgpr_msb 64                       ;  msbs: dst=1 src0=0 src1=0 src2=0
	v_ashrrev_i32_e32 v174 /*v430*/, s18, v11
	s_set_vgpr_msb 0x44                     ;  msbs: dst=1 src0=0 src1=1 src2=0
	v_mul_i32_i24_e32 v158 /*v414*/, v166, v158 /*v414*/
	s_set_vgpr_msb 0                        ;  msbs: dst=0 src0=0 src1=0 src2=0
	v_add_nc_u32_e32 v110, v111, v110
	v_add3_u32 v116, v10, v8, v9
	v_add_nc_u32_e32 v8, 0x1088, v85
	v_mul_i32_i24_e32 v10, v166, v143
	s_set_vgpr_msb 0x44                     ;  msbs: dst=1 src0=0 src1=1 src2=0
	v_and_b32_e32 v175 /*v431*/, 3, v174 /*v430*/
	s_set_vgpr_msb 0x41                     ;  msbs: dst=1 src0=1 src1=0 src2=0
	v_bfe_u32 v176 /*v432*/, v174 /*v430*/, 8, 2
	s_set_vgpr_msb 0                        ;  msbs: dst=0 src0=0 src1=0 src2=0
	v_add3_u32 v110, v110, v109, v163
	ds_load_2addr_b32 v[8:9], v8 offset1:1
	s_set_vgpr_msb 5                        ;  msbs: dst=0 src0=1 src1=1 src2=0
	v_mul_i32_i24_e32 v11, v176 /*v432*/, v47 /*v303*/
	s_wait_dscnt 0x0
	s_set_vgpr_msb 0                        ;  msbs: dst=0 src0=0 src1=0 src2=0
	v_ashrrev_i32_e32 v8, s18, v8
	v_mul_i32_i24_e32 v195, v166, v195
	v_dual_ashrrev_i32 v9, s18, v9 :: v_dual_add_nc_u32 v59, v60, v59
	s_delay_alu instid0(VALU_DEP_3) | instskip(SKIP_1) | instid1(VALU_DEP_1)
	v_and_b32_e32 v143, 3, v8
	s_set_vgpr_msb 4                        ;  msbs: dst=0 src0=0 src1=1 src2=0
	v_mul_i32_i24_e32 v114, v143, v98 /*v354*/
	s_set_vgpr_msb 0                        ;  msbs: dst=0 src0=0 src1=0 src2=0
	s_delay_alu instid0(VALU_DEP_1) | instskip(SKIP_4) | instid1(VALU_DEP_2)
	v_add3_u32 v123, v123, v114, v10
	s_set_vgpr_msb 5                        ;  msbs: dst=0 src0=1 src1=1 src2=0
	v_mul_i32_i24_e32 v10, v175 /*v431*/, v46 /*v302*/
	s_set_vgpr_msb 0                        ;  msbs: dst=0 src0=0 src1=0 src2=0
	v_ashrrev_i32_e32 v114, s18, v2
	v_add3_u32 v126, v126, v10, v11
	v_mul_i32_i24_e32 v10, v166, v149
	s_delay_alu instid0(VALU_DEP_3) | instskip(SKIP_3) | instid1(VALU_DEP_2)
	v_and_b32_e32 v149, 3, v114
	s_set_vgpr_msb 5                        ;  msbs: dst=0 src0=1 src1=1 src2=0
	v_mul_i32_i24_e32 v11, v177 /*v433*/, v47 /*v303*/
	s_set_vgpr_msb 4                        ;  msbs: dst=0 src0=0 src1=1 src2=0
	v_mul_i32_i24_e32 v2, v149, v98 /*v354*/
	s_set_vgpr_msb 0                        ;  msbs: dst=0 src0=0 src1=0 src2=0
	s_delay_alu instid0(VALU_DEP_1) | instskip(SKIP_2) | instid1(VALU_DEP_1)
	v_add3_u32 v131, v131, v2, v10
	v_and_b32_e32 v2, 3, v115
	s_set_vgpr_msb 4                        ;  msbs: dst=0 src0=0 src1=1 src2=0
	v_mul_i32_i24_e32 v10, v2, v46 /*v302*/
	s_set_vgpr_msb 0                        ;  msbs: dst=0 src0=0 src1=0 src2=0
	s_delay_alu instid0(VALU_DEP_1)
	v_add3_u32 v134, v134, v10, v11
	v_add_nc_u32_e32 v10, 0x3188, v85
	ds_load_2addr_b32 v[10:11], v10 offset1:1
	s_wait_dscnt 0x0
	s_set_vgpr_msb 64                       ;  msbs: dst=1 src0=0 src1=0 src2=0
	v_ashrrev_i32_e32 v178 /*v434*/, s18, v10
	s_set_vgpr_msb 0x44                     ;  msbs: dst=1 src0=0 src1=1 src2=0
	s_delay_alu instid0(VALU_DEP_1) | instskip(SKIP_1) | instid1(VALU_DEP_1)
	v_and_b32_e32 v179 /*v435*/, 3, v178 /*v434*/
	s_set_vgpr_msb 5                        ;  msbs: dst=0 src0=1 src1=1 src2=0
	v_mul_i32_i24_e32 v10, v179 /*v435*/, v98 /*v354*/
	s_set_vgpr_msb 0                        ;  msbs: dst=0 src0=0 src1=0 src2=0
	s_delay_alu instid0(VALU_DEP_1) | instskip(SKIP_3) | instid1(VALU_DEP_2)
	v_add3_u32 v139, v139, v10, v195
	v_and_b32_e32 v10, 3, v119
	v_bfe_u32 v195, v119, 8, 2
	s_set_vgpr_msb 0x44                     ;  msbs: dst=1 src0=0 src1=1 src2=0
	v_mul_i32_i24_e32 v180 /*v436*/, v10, v46 /*v302*/
	s_delay_alu instid0(VALU_DEP_2) | instskip(SKIP_1) | instid1(VALU_DEP_1)
	v_mul_i32_i24_e32 v181 /*v437*/, v195, v47 /*v303*/
	s_set_vgpr_msb 20                       ;  msbs: dst=0 src0=0 src1=1 src2=1
	v_add3_u32 v142, v142, v180 /*v436*/, v181 /*v437*/
	s_set_vgpr_msb 0x44                     ;  msbs: dst=1 src0=0 src1=1 src2=0
	v_mul_i32_i24_e32 v180 /*v436*/, v122, v105 /*v361*/
	v_mul_i32_i24_e32 v181 /*v437*/, v121, v106 /*v362*/
	s_set_vgpr_msb 20                       ;  msbs: dst=0 src0=0 src1=1 src2=1
	s_delay_alu instid0(VALU_DEP_1) | instskip(SKIP_4) | instid1(VALU_DEP_1)
	v_add3_u32 v147, v147, v180 /*v436*/, v181 /*v437*/
	s_set_vgpr_msb 0x45                     ;  msbs: dst=1 src0=1 src1=1 src2=0
	v_mul_i32_i24_e32 v180 /*v436*/, v175 /*v431*/, v59 /*v315*/
	v_mul_i32_i24_e32 v181 /*v437*/, v176 /*v432*/, v60 /*v316*/
	s_set_vgpr_msb 20                       ;  msbs: dst=0 src0=0 src1=1 src2=1
	v_add3_u32 v148, v148, v180 /*v436*/, v181 /*v437*/
	s_set_vgpr_msb 0x44                     ;  msbs: dst=1 src0=0 src1=1 src2=0
	v_mul_i32_i24_e32 v180 /*v436*/, v127, v105 /*v361*/
	v_mul_i32_i24_e32 v181 /*v437*/, v128, v106 /*v362*/
	s_set_vgpr_msb 20                       ;  msbs: dst=0 src0=0 src1=1 src2=1
	s_delay_alu instid0(VALU_DEP_1)
	v_add3_u32 v193, v193, v180 /*v436*/, v181 /*v437*/
	s_set_vgpr_msb 0x44                     ;  msbs: dst=1 src0=0 src1=1 src2=0
	v_mul_i32_i24_e32 v180 /*v436*/, v2, v59 /*v315*/
	s_set_vgpr_msb 0x45                     ;  msbs: dst=1 src0=1 src1=1 src2=0
	v_mul_i32_i24_e32 v181 /*v437*/, v177 /*v433*/, v60 /*v316*/
	s_set_vgpr_msb 20                       ;  msbs: dst=0 src0=0 src1=1 src2=1
	s_delay_alu instid0(VALU_DEP_1) | instskip(SKIP_4) | instid1(VALU_DEP_1)
	v_add3_u32 v194, v194, v180 /*v436*/, v181 /*v437*/
	s_set_vgpr_msb 0x44                     ;  msbs: dst=1 src0=0 src1=1 src2=0
	v_mul_i32_i24_e32 v180 /*v436*/, v135, v105 /*v361*/
	v_mul_i32_i24_e32 v181 /*v437*/, v136, v106 /*v362*/
	s_set_vgpr_msb 20                       ;  msbs: dst=0 src0=0 src1=1 src2=1
	v_add3_u32 v199, v199, v180 /*v436*/, v181 /*v437*/
	s_set_vgpr_msb 0x44                     ;  msbs: dst=1 src0=0 src1=1 src2=0
	v_mul_i32_i24_e32 v180 /*v436*/, v10, v59 /*v315*/
	v_mul_i32_i24_e32 v181 /*v437*/, v195, v60 /*v316*/
	s_set_vgpr_msb 20                       ;  msbs: dst=0 src0=0 src1=1 src2=1
	s_delay_alu instid0(VALU_DEP_1) | instskip(SKIP_4) | instid1(VALU_DEP_1)
	v_add3_u32 v200, v200, v180 /*v436*/, v181 /*v437*/
	s_set_vgpr_msb 0x44                     ;  msbs: dst=1 src0=0 src1=1 src2=0
	v_mul_i32_i24_e32 v180 /*v436*/, v122, v117 /*v373*/
	v_mul_i32_i24_e32 v181 /*v437*/, v121, v118 /*v374*/
	s_set_vgpr_msb 20                       ;  msbs: dst=0 src0=0 src1=1 src2=1
	v_add3_u32 v201, v201, v180 /*v436*/, v181 /*v437*/
	s_set_vgpr_msb 0x44                     ;  msbs: dst=1 src0=0 src1=1 src2=0
	v_mul_i32_i24_e32 v180 /*v436*/, v127, v117 /*v373*/
	v_mul_i32_i24_e32 v181 /*v437*/, v128, v118 /*v374*/
	;; [unrolled: 11-line block ×4, first 2 shown]
	v_mul_i32_i24_e32 v127 /*v383*/, v132, v127 /*v383*/
	s_set_vgpr_msb 20                       ;  msbs: dst=0 src0=0 src1=1 src2=1
	s_delay_alu instid0(VALU_DEP_2) | instskip(SKIP_4) | instid1(VALU_DEP_1)
	v_add3_u32 v208, v208, v180 /*v436*/, v181 /*v437*/
	s_set_vgpr_msb 0x45                     ;  msbs: dst=1 src0=1 src1=1 src2=0
	v_mul_i32_i24_e32 v180 /*v436*/, v175 /*v431*/, v64 /*v320*/
	v_mul_i32_i24_e32 v181 /*v437*/, v176 /*v432*/, v62 /*v318*/
	s_set_vgpr_msb 20                       ;  msbs: dst=0 src0=0 src1=1 src2=1
	v_add3_u32 v205, v205, v180 /*v436*/, v181 /*v437*/
	s_set_vgpr_msb 0x44                     ;  msbs: dst=1 src0=0 src1=1 src2=0
	v_mul_i32_i24_e32 v180 /*v436*/, v2, v64 /*v320*/
	s_set_vgpr_msb 0x45                     ;  msbs: dst=1 src0=1 src1=1 src2=0
	v_mul_i32_i24_e32 v181 /*v437*/, v177 /*v433*/, v62 /*v318*/
	s_set_vgpr_msb 20                       ;  msbs: dst=0 src0=0 src1=1 src2=1
	s_delay_alu instid0(VALU_DEP_1) | instskip(SKIP_4) | instid1(VALU_DEP_1)
	v_add3_u32 v207, v207, v180 /*v436*/, v181 /*v437*/
	s_set_vgpr_msb 0x44                     ;  msbs: dst=1 src0=0 src1=1 src2=0
	v_mul_i32_i24_e32 v180 /*v436*/, v10, v64 /*v320*/
	v_mul_i32_i24_e32 v181 /*v437*/, v195, v62 /*v318*/
	s_set_vgpr_msb 20                       ;  msbs: dst=0 src0=0 src1=1 src2=1
	v_add3_u32 v209, v209, v180 /*v436*/, v181 /*v437*/
	s_set_vgpr_msb 0x44                     ;  msbs: dst=1 src0=0 src1=1 src2=0
	v_mul_i32_i24_e32 v180 /*v436*/, v122, v129 /*v385*/
	v_mul_i32_i24_e32 v181 /*v437*/, v121, v130 /*v386*/
	s_set_vgpr_msb 20                       ;  msbs: dst=0 src0=0 src1=1 src2=1
	s_delay_alu instid0(VALU_DEP_1) | instskip(SKIP_4) | instid1(VALU_DEP_1)
	v_add3_u32 v210, v210, v180 /*v436*/, v181 /*v437*/
	s_set_vgpr_msb 0x45                     ;  msbs: dst=1 src0=1 src1=1 src2=0
	v_mul_i32_i24_e32 v180 /*v436*/, v175 /*v431*/, v75 /*v331*/
	v_mul_i32_i24_e32 v181 /*v437*/, v176 /*v432*/, v74 /*v330*/
	s_set_vgpr_msb 20                       ;  msbs: dst=0 src0=0 src1=1 src2=1
	v_add3_u32 v228, v228, v180 /*v436*/, v181 /*v437*/
	s_set_vgpr_msb 0x44                     ;  msbs: dst=1 src0=0 src1=1 src2=0
	v_mul_i32_i24_e32 v180 /*v436*/, v127, v129 /*v385*/
	v_mul_i32_i24_e32 v181 /*v437*/, v128, v130 /*v386*/
	s_set_vgpr_msb 20                       ;  msbs: dst=0 src0=0 src1=1 src2=1
	s_delay_alu instid0(VALU_DEP_1)
	v_add3_u32 v229, v229, v180 /*v436*/, v181 /*v437*/
	s_set_vgpr_msb 0x44                     ;  msbs: dst=1 src0=0 src1=1 src2=0
	v_mul_i32_i24_e32 v180 /*v436*/, v2, v75 /*v331*/
	s_set_vgpr_msb 0x45                     ;  msbs: dst=1 src0=1 src1=1 src2=0
	v_mul_i32_i24_e32 v181 /*v437*/, v177 /*v433*/, v74 /*v330*/
	s_set_vgpr_msb 20                       ;  msbs: dst=0 src0=0 src1=1 src2=1
	s_delay_alu instid0(VALU_DEP_1)
	v_add3_u32 v230, v230, v180 /*v436*/, v181 /*v437*/
	s_set_vgpr_msb 0x44                     ;  msbs: dst=1 src0=0 src1=1 src2=0
	v_mul_i32_i24_e32 v180 /*v436*/, v135, v129 /*v385*/
	v_mul_i32_i24_e32 v181 /*v437*/, v136, v130 /*v386*/
	;; [unrolled: 1-line block ×4, first 2 shown]
	s_set_vgpr_msb 20                       ;  msbs: dst=0 src0=0 src1=1 src2=1
	s_delay_alu instid0(VALU_DEP_3)
	v_add3_u32 v231, v231, v180 /*v436*/, v181 /*v437*/
	s_set_vgpr_msb 0x44                     ;  msbs: dst=1 src0=0 src1=1 src2=0
	v_mul_i32_i24_e32 v180 /*v436*/, v10, v75 /*v331*/
	v_mul_i32_i24_e32 v181 /*v437*/, v195, v74 /*v330*/
	s_set_vgpr_msb 0x55                     ;  msbs: dst=1 src0=1 src1=1 src2=1
	v_add3_u32 v129 /*v385*/, v168 /*v424*/, v129 /*v385*/, v130 /*v386*/
	s_set_vgpr_msb 20                       ;  msbs: dst=0 src0=0 src1=1 src2=1
	s_delay_alu instid0(VALU_DEP_2) | instskip(SKIP_4) | instid1(VALU_DEP_1)
	v_add3_u32 v232, v232, v180 /*v436*/, v181 /*v437*/
	s_set_vgpr_msb 0x44                     ;  msbs: dst=1 src0=0 src1=1 src2=0
	v_mul_i32_i24_e32 v180 /*v436*/, v122, v111 /*v367*/
	v_mul_i32_i24_e32 v181 /*v437*/, v121, v112 /*v368*/
	s_set_vgpr_msb 20                       ;  msbs: dst=0 src0=0 src1=1 src2=1
	v_add3_u32 v233, v233, v180 /*v436*/, v181 /*v437*/
	s_set_vgpr_msb 0x44                     ;  msbs: dst=1 src0=0 src1=1 src2=0
	v_mul_i32_i24_e32 v180 /*v436*/, v127, v111 /*v367*/
	v_mul_i32_i24_e32 v181 /*v437*/, v128, v112 /*v368*/
	s_set_vgpr_msb 0x55                     ;  msbs: dst=1 src0=1 src1=1 src2=1
	s_delay_alu instid0(VALU_DEP_1) | instskip(SKIP_2) | instid1(VALU_DEP_1)
	v_add3_u32 v138 /*v394*/, v138 /*v394*/, v180 /*v436*/, v181 /*v437*/
	v_mul_i32_i24_e32 v180 /*v436*/, v175 /*v431*/, v66 /*v322*/
	v_mul_i32_i24_e32 v181 /*v437*/, v176 /*v432*/, v67 /*v323*/
	v_add3_u32 v139 /*v395*/, v139 /*v395*/, v180 /*v436*/, v181 /*v437*/
	s_set_vgpr_msb 0x44                     ;  msbs: dst=1 src0=0 src1=1 src2=0
	v_mul_i32_i24_e32 v180 /*v436*/, v2, v66 /*v322*/
	s_set_vgpr_msb 0x55                     ;  msbs: dst=1 src0=1 src1=1 src2=1
	v_mul_i32_i24_e32 v181 /*v437*/, v177 /*v433*/, v67 /*v323*/
	s_delay_alu instid0(VALU_DEP_1) | instskip(SKIP_4) | instid1(VALU_DEP_1)
	v_add3_u32 v140 /*v396*/, v140 /*v396*/, v180 /*v436*/, v181 /*v437*/
	s_set_vgpr_msb 0x44                     ;  msbs: dst=1 src0=0 src1=1 src2=0
	v_mul_i32_i24_e32 v180 /*v436*/, v10, v66 /*v322*/
	v_mul_i32_i24_e32 v181 /*v437*/, v195, v67 /*v323*/
	s_set_vgpr_msb 0x55                     ;  msbs: dst=1 src0=1 src1=1 src2=1
	v_add3_u32 v141 /*v397*/, v141 /*v397*/, v180 /*v436*/, v181 /*v437*/
	s_set_vgpr_msb 0x44                     ;  msbs: dst=1 src0=0 src1=1 src2=0
	v_mul_i32_i24_e32 v180 /*v436*/, v2, v70 /*v326*/
	s_set_vgpr_msb 0x55                     ;  msbs: dst=1 src0=1 src1=1 src2=1
	v_mul_i32_i24_e32 v181 /*v437*/, v177 /*v433*/, v71 /*v327*/
	s_delay_alu instid0(VALU_DEP_1) | instskip(SKIP_2) | instid1(VALU_DEP_1)
	v_add3_u32 v142 /*v398*/, v142 /*v398*/, v180 /*v436*/, v181 /*v437*/
	v_mul_i32_i24_e32 v180 /*v436*/, v175 /*v431*/, v70 /*v326*/
	v_mul_i32_i24_e32 v181 /*v437*/, v176 /*v432*/, v71 /*v327*/
	v_add3_u32 v143 /*v399*/, v143 /*v399*/, v180 /*v436*/, v181 /*v437*/
	s_set_vgpr_msb 0x44                     ;  msbs: dst=1 src0=0 src1=1 src2=0
	v_mul_i32_i24_e32 v180 /*v436*/, v135, v111 /*v367*/
	v_mul_i32_i24_e32 v181 /*v437*/, v136, v112 /*v368*/
	s_set_vgpr_msb 0x55                     ;  msbs: dst=1 src0=1 src1=1 src2=1
	s_delay_alu instid0(VALU_DEP_1) | instskip(SKIP_4) | instid1(VALU_DEP_1)
	v_add3_u32 v144 /*v400*/, v144 /*v400*/, v180 /*v436*/, v181 /*v437*/
	s_set_vgpr_msb 0x44                     ;  msbs: dst=1 src0=0 src1=1 src2=0
	v_mul_i32_i24_e32 v180 /*v436*/, v10, v70 /*v326*/
	v_mul_i32_i24_e32 v181 /*v437*/, v195, v71 /*v327*/
	s_set_vgpr_msb 0x55                     ;  msbs: dst=1 src0=1 src1=1 src2=1
	v_add3_u32 v145 /*v401*/, v145 /*v401*/, v180 /*v436*/, v181 /*v437*/
	s_set_vgpr_msb 0x44                     ;  msbs: dst=1 src0=0 src1=1 src2=0
	v_mul_i32_i24_e32 v180 /*v436*/, v122, v88 /*v344*/
	v_mul_i32_i24_e32 v181 /*v437*/, v121, v89 /*v345*/
	s_set_vgpr_msb 4                        ;  msbs: dst=0 src0=0 src1=1 src2=0
	v_mul_i32_i24_e32 v122, v122, v124 /*v380*/
	v_mul_i32_i24_e32 v121, v121, v137 /*v393*/
	s_set_vgpr_msb 0x55                     ;  msbs: dst=1 src0=1 src1=1 src2=1
	v_add3_u32 v146 /*v402*/, v146 /*v402*/, v180 /*v436*/, v181 /*v437*/
	v_mul_i32_i24_e32 v180 /*v436*/, v175 /*v431*/, v43 /*v299*/
	s_set_vgpr_msb 1                        ;  msbs: dst=0 src0=1 src1=0 src2=0
	v_add3_u32 v121, v149 /*v405*/, v122, v121
	s_set_vgpr_msb 4                        ;  msbs: dst=0 src0=0 src1=1 src2=0
	v_mul_i32_i24_e32 v122, v127, v124 /*v380*/
	s_set_vgpr_msb 0x44                     ;  msbs: dst=1 src0=0 src1=1 src2=0
	v_mul_i32_i24_e32 v149 /*v405*/, v128, v137 /*v393*/
	s_set_vgpr_msb 4                        ;  msbs: dst=0 src0=0 src1=1 src2=0
	v_mul_i32_i24_e32 v127, v127, v88 /*v344*/
	v_mul_i32_i24_e32 v128, v128, v89 /*v345*/
	s_set_vgpr_msb 0x45                     ;  msbs: dst=1 src0=1 src1=1 src2=0
	v_mul_i32_i24_e32 v181 /*v437*/, v176 /*v432*/, v37 /*v293*/
	s_set_vgpr_msb 17                       ;  msbs: dst=0 src0=1 src1=0 src2=1
	v_add3_u32 v122, v150 /*v406*/, v122, v149 /*v405*/
	s_set_vgpr_msb 0x44                     ;  msbs: dst=1 src0=0 src1=1 src2=0
	v_mul_i32_i24_e32 v149 /*v405*/, v135, v124 /*v380*/
	v_mul_i32_i24_e32 v150 /*v406*/, v136, v137 /*v393*/
	s_set_vgpr_msb 1                        ;  msbs: dst=0 src0=1 src1=0 src2=0
	v_add3_u32 v127, v152 /*v408*/, v127, v128
	s_set_vgpr_msb 4                        ;  msbs: dst=0 src0=0 src1=1 src2=0
	v_mul_i32_i24_e32 v128, v2, v43 /*v299*/
	v_mul_i32_i24_e32 v135, v135, v88 /*v344*/
	;; [unrolled: 1-line block ×3, first 2 shown]
	s_set_vgpr_msb 0x55                     ;  msbs: dst=1 src0=1 src1=1 src2=1
	v_add3_u32 v149 /*v405*/, v151 /*v407*/, v149 /*v405*/, v150 /*v406*/
	v_mul_i32_i24_e32 v150 /*v406*/, v177 /*v433*/, v37 /*v293*/
	s_set_vgpr_msb 0x41                     ;  msbs: dst=1 src0=1 src1=0 src2=0
	v_mul_i32_i24_e32 v151 /*v407*/, v176 /*v432*/, v120
	s_set_vgpr_msb 0                        ;  msbs: dst=0 src0=0 src1=0 src2=0
	v_mul_i32_i24_e32 v2, v2, v106
	s_set_vgpr_msb 1                        ;  msbs: dst=0 src0=1 src1=0 src2=0
	v_add3_u32 v135, v154 /*v410*/, v135, v136
	s_set_vgpr_msb 4                        ;  msbs: dst=0 src0=0 src1=1 src2=0
	v_mul_i32_i24_e32 v136, v10, v43 /*v299*/
	s_set_vgpr_msb 17                       ;  msbs: dst=0 src0=1 src1=0 src2=1
	v_add3_u32 v128, v153 /*v409*/, v128, v150 /*v406*/
	s_set_vgpr_msb 0x44                     ;  msbs: dst=1 src0=0 src1=1 src2=0
	v_mul_i32_i24_e32 v150 /*v406*/, v195, v37 /*v293*/
	s_set_vgpr_msb 0x55                     ;  msbs: dst=1 src0=1 src1=1 src2=1
	v_add3_u32 v147 /*v403*/, v147 /*v403*/, v180 /*v436*/, v181 /*v437*/
	s_set_vgpr_msb 17                       ;  msbs: dst=0 src0=1 src1=0 src2=1
	s_delay_alu instid0(VALU_DEP_2) | instskip(SKIP_3) | instid1(VALU_DEP_1)
	v_add3_u32 v136, v155 /*v411*/, v136, v150 /*v406*/
	s_set_vgpr_msb 0x41                     ;  msbs: dst=1 src0=1 src1=0 src2=0
	v_mul_i32_i24_e32 v150 /*v406*/, v175 /*v431*/, v106
	s_set_vgpr_msb 20                       ;  msbs: dst=0 src0=0 src1=1 src2=1
	v_add3_u32 v124, v124, v150 /*v406*/, v151 /*v407*/
	s_set_vgpr_msb 0x41                     ;  msbs: dst=1 src0=1 src1=0 src2=0
	v_mul_i32_i24_e32 v150 /*v406*/, v177 /*v433*/, v120
	s_set_vgpr_msb 16                       ;  msbs: dst=0 src0=0 src1=0 src2=1
	s_delay_alu instid0(VALU_DEP_1) | instskip(SKIP_3) | instid1(VALU_DEP_1)
	v_add3_u32 v125, v125, v2, v150 /*v406*/
	v_mul_i32_i24_e32 v2, v10, v106
	v_mul_i32_i24_e32 v10, v195, v120
	s_set_vgpr_msb 0                        ;  msbs: dst=0 src0=0 src1=0 src2=0
	v_add3_u32 v118, v118, v2, v10
	v_bfe_u32 v2, v165, 4, 4
	s_set_vgpr_msb 5                        ;  msbs: dst=0 src0=1 src1=1 src2=0
	v_add_nc_u32_e32 v10, v128 /*v384*/, v135 /*v391*/
	s_set_vgpr_msb 0x44                     ;  msbs: dst=1 src0=0 src1=1 src2=0
	v_mul_i32_i24_e32 v128 /*v384*/, v133, v128 /*v384*/
	s_set_vgpr_msb 0                        ;  msbs: dst=0 src0=0 src1=0 src2=0
	v_mul_lo_u32 v195, 0x1010101, v2
	s_set_vgpr_msb 5                        ;  msbs: dst=0 src0=1 src1=1 src2=0
	v_add_nc_u32_e32 v2, v90 /*v346*/, v136 /*v392*/
	s_set_vgpr_msb 0x44                     ;  msbs: dst=1 src0=0 src1=1 src2=0
	v_add3_u32 v136 /*v392*/, v10, v51 /*v307*/, v236
	s_set_vgpr_msb 0x55                     ;  msbs: dst=1 src0=1 src1=1 src2=1
	v_add3_u32 v127 /*v383*/, v164 /*v420*/, v127 /*v383*/, v128 /*v384*/
	s_set_vgpr_msb 0x44                     ;  msbs: dst=1 src0=0 src1=1 src2=0
	v_add3_u32 v135 /*v391*/, v2, v5 /*v261*/, v51
	v_bfe_i32 v150 /*v406*/, v195, 16, 8
	v_bfe_i32 v151 /*v407*/, v195, 8, 8
	;; [unrolled: 1-line block ×3, first 2 shown]
	s_set_vgpr_msb 0                        ;  msbs: dst=0 src0=0 src1=0 src2=0
	v_lshrrev_b32_e32 v195, 24, v195
	s_set_vgpr_msb 5                        ;  msbs: dst=0 src0=1 src1=1 src2=0
	v_mul_i32_i24_e32 v2, v135 /*v391*/, v150 /*v406*/
	v_mul_i32_i24_e32 v10, v136 /*v392*/, v151 /*v407*/
	s_set_vgpr_msb 0x45                     ;  msbs: dst=1 src0=1 src1=1 src2=0
	v_mul_i32_i24_e32 v153 /*v409*/, v134 /*v390*/, v152 /*v408*/
	s_set_vgpr_msb 0x44                     ;  msbs: dst=1 src0=0 src1=1 src2=0
	s_delay_alu instid0(VALU_DEP_1) | instskip(SKIP_3) | instid1(VALU_DEP_1)
	v_add3_u32 v153 /*v409*/, v10, v153 /*v409*/, v2
	s_set_vgpr_msb 0                        ;  msbs: dst=0 src0=0 src1=0 src2=0
	v_bfe_u32 v2, v164, 4, 4
	s_set_vgpr_msb 0x41                     ;  msbs: dst=1 src0=1 src1=0 src2=0
	v_mul_lo_u32 v154 /*v410*/, 0x1010101, v2
	s_delay_alu instid0(VALU_DEP_1) | instskip(SKIP_3) | instid1(VALU_DEP_3)
	v_bfe_i32 v155 /*v411*/, v154 /*v410*/, 16, 8
	v_bfe_i32 v175 /*v431*/, v154 /*v410*/, 8, 8
	;; [unrolled: 1-line block ×3, first 2 shown]
	s_set_vgpr_msb 5                        ;  msbs: dst=0 src0=1 src1=1 src2=0
	v_mul_i32_i24_e32 v2, v135 /*v391*/, v155 /*v411*/
	s_delay_alu instid0(VALU_DEP_3) | instskip(SKIP_3) | instid1(VALU_DEP_1)
	v_mul_i32_i24_e32 v10, v136 /*v392*/, v175 /*v431*/
	s_set_vgpr_msb 0x45                     ;  msbs: dst=1 src0=1 src1=1 src2=0
	v_mul_i32_i24_e32 v177 /*v433*/, v134 /*v390*/, v176 /*v432*/
	s_set_vgpr_msb 0x44                     ;  msbs: dst=1 src0=0 src1=1 src2=0
	v_add3_u32 v177 /*v433*/, v10, v177 /*v433*/, v2
	s_set_vgpr_msb 20                       ;  msbs: dst=0 src0=0 src1=1 src2=1
	v_add3_u32 v2, s19, v207 /*v463*/, v198 /*v454*/
	ds_load_u16 v10, v2
	s_wait_dscnt 0x0
	v_bfe_u32 v2, v10, 4, 4
	s_set_vgpr_msb 64                       ;  msbs: dst=1 src0=0 src1=0 src2=0
	s_delay_alu instid0(VALU_DEP_1)
	v_mul_lo_u32 v180 /*v436*/, 0x1010101, v2
	s_set_vgpr_msb 5                        ;  msbs: dst=0 src0=1 src1=1 src2=0
	v_add_nc_u32_e32 v2, v92 /*v348*/, v133 /*v389*/
	s_set_vgpr_msb 0                        ;  msbs: dst=0 src0=0 src1=0 src2=0
	v_lshrrev_b32_e32 v16, 1, v16
	s_set_vgpr_msb 0x44                     ;  msbs: dst=1 src0=0 src1=1 src2=0
	s_delay_alu instid0(VALU_DEP_2) | instskip(SKIP_1) | instid1(VALU_DEP_4)
	v_add3_u32 v133 /*v389*/, v2, v8 /*v264*/, v53
	s_set_vgpr_msb 0x41                     ;  msbs: dst=1 src0=1 src1=0 src2=0
	v_bfe_i32 v181 /*v437*/, v180 /*v436*/, 16, 8
	v_bfe_i32 v182 /*v438*/, v180 /*v436*/, 8, 8
	;; [unrolled: 1-line block ×3, first 2 shown]
	s_set_vgpr_msb 5                        ;  msbs: dst=0 src0=1 src1=1 src2=0
	s_delay_alu instid0(VALU_DEP_3) | instskip(SKIP_3) | instid1(VALU_DEP_1)
	v_mul_i32_i24_e32 v2, v133 /*v389*/, v181 /*v437*/
	s_set_vgpr_msb 0x45                     ;  msbs: dst=1 src0=1 src1=1 src2=0
	v_mul_i32_i24_e32 v184 /*v440*/, v132 /*v388*/, v182 /*v438*/
	v_mul_i32_i24_e32 v185 /*v441*/, v131 /*v387*/, v183 /*v439*/
	v_add3_u32 v184 /*v440*/, v184 /*v440*/, v185 /*v441*/, v2
	s_set_vgpr_msb 0                        ;  msbs: dst=0 src0=0 src1=0 src2=0
	v_ashrrev_i32_e32 v2, s18, v6
	s_delay_alu instid0(VALU_DEP_1) | instskip(SKIP_1) | instid1(VALU_DEP_1)
	v_and_b32_e32 v6, 3, v2
	s_set_vgpr_msb 0x44                     ;  msbs: dst=1 src0=0 src1=1 src2=0
	v_mul_i32_i24_e32 v185 /*v441*/, v6, v98 /*v354*/
	s_set_vgpr_msb 0x55                     ;  msbs: dst=1 src0=1 src1=1 src2=1
	s_delay_alu instid0(VALU_DEP_1) | instskip(SKIP_4) | instid1(VALU_DEP_2)
	v_add3_u32 v156 /*v412*/, v156 /*v412*/, v185 /*v441*/, v158 /*v414*/
	s_set_vgpr_msb 64                       ;  msbs: dst=1 src0=0 src1=0 src2=0
	v_and_b32_e32 v158 /*v414*/, 3, v117
	v_bfe_u32 v185 /*v441*/, v117, 8, 2
	s_set_vgpr_msb 0x55                     ;  msbs: dst=1 src0=1 src1=1 src2=1
	v_mul_i32_i24_e32 v128 /*v384*/, v158 /*v414*/, v64 /*v320*/
	s_delay_alu instid0(VALU_DEP_2)
	v_mul_i32_i24_e32 v164 /*v420*/, v185 /*v441*/, v62 /*v318*/
	v_mul_i32_i24_e32 v186 /*v442*/, v158 /*v414*/, v46 /*v302*/
	;; [unrolled: 1-line block ×5, first 2 shown]
	v_add3_u32 v128 /*v384*/, v165 /*v421*/, v128 /*v384*/, v164 /*v420*/
	s_set_vgpr_msb 0x44                     ;  msbs: dst=1 src0=0 src1=1 src2=0
	v_mul_i32_i24_e32 v164 /*v420*/, v132, v88 /*v344*/
	v_mul_i32_i24_e32 v165 /*v421*/, v133, v89 /*v345*/
	s_set_vgpr_msb 0x55                     ;  msbs: dst=1 src0=1 src1=1 src2=1
	v_add3_u32 v157 /*v413*/, v157 /*v413*/, v186 /*v442*/, v187 /*v443*/
	s_set_vgpr_msb 0x44                     ;  msbs: dst=1 src0=0 src1=1 src2=0
	v_mul_i32_i24_e32 v186 /*v442*/, v132, v105 /*v361*/
	v_mul_i32_i24_e32 v187 /*v443*/, v133, v106 /*v362*/
	v_add3_u32 v46 /*v302*/, v168, v25 /*v281*/, v33
	s_set_vgpr_msb 0x55                     ;  msbs: dst=1 src0=1 src1=1 src2=1
	v_add3_u32 v164 /*v420*/, v166 /*v422*/, v164 /*v420*/, v165 /*v421*/
	v_mul_i32_i24_e32 v165 /*v421*/, v158 /*v414*/, v43 /*v299*/
	v_mul_i32_i24_e32 v166 /*v422*/, v185 /*v441*/, v37 /*v293*/
	v_add3_u32 v161 /*v417*/, v161 /*v417*/, v186 /*v442*/, v187 /*v443*/
	v_mul_i32_i24_e32 v186 /*v442*/, v158 /*v414*/, v59 /*v315*/
	v_mul_i32_i24_e32 v187 /*v443*/, v185 /*v441*/, v60 /*v316*/
	s_set_vgpr_msb 0x44                     ;  msbs: dst=1 src0=0 src1=1 src2=0
	v_add3_u32 v47 /*v303*/, v173, v24 /*v280*/, v32
	s_set_vgpr_msb 0x55                     ;  msbs: dst=1 src0=1 src1=1 src2=1
	v_add3_u32 v165 /*v421*/, v167 /*v423*/, v165 /*v421*/, v166 /*v422*/
	v_mul_i32_i24_e32 v166 /*v422*/, v185 /*v441*/, v74 /*v330*/
	s_set_vgpr_msb 0x44                     ;  msbs: dst=1 src0=0 src1=1 src2=0
	v_mul_i32_i24_e32 v167 /*v423*/, v133, v112 /*v368*/
	s_set_vgpr_msb 0x55                     ;  msbs: dst=1 src0=1 src1=1 src2=1
	v_add3_u32 v162 /*v418*/, v162 /*v418*/, v186 /*v442*/, v187 /*v443*/
	s_set_vgpr_msb 0x44                     ;  msbs: dst=1 src0=0 src1=1 src2=0
	v_mul_i32_i24_e32 v186 /*v442*/, v132, v117 /*v373*/
	v_mul_i32_i24_e32 v187 /*v443*/, v133, v118 /*v374*/
	s_set_vgpr_msb 0x55                     ;  msbs: dst=1 src0=1 src1=1 src2=1
	v_add3_u32 v130 /*v386*/, v169 /*v425*/, v130 /*v386*/, v166 /*v422*/
	s_set_vgpr_msb 0x44                     ;  msbs: dst=1 src0=0 src1=1 src2=0
	v_mul_i32_i24_e32 v166 /*v422*/, v132, v111 /*v367*/
	s_set_vgpr_msb 4                        ;  msbs: dst=0 src0=0 src1=1 src2=0
	v_mul_i32_i24_e32 v132, v132, v124 /*v380*/
	v_mul_i32_i24_e32 v133, v133, v137 /*v393*/
	s_set_vgpr_msb 0x55                     ;  msbs: dst=1 src0=1 src1=1 src2=1
	v_add3_u32 v163 /*v419*/, v163 /*v419*/, v186 /*v442*/, v187 /*v443*/
	v_mul_i32_i24_e32 v169 /*v425*/, v185 /*v441*/, v71 /*v327*/
	v_add3_u32 v166 /*v422*/, v170 /*v426*/, v166 /*v422*/, v167 /*v423*/
	v_mul_i32_i24_e32 v167 /*v423*/, v158 /*v414*/, v66 /*v322*/
	s_set_vgpr_msb 1                        ;  msbs: dst=0 src0=1 src1=0 src2=0
	v_add3_u32 v132, v173 /*v429*/, v132, v133
	v_mul_i32_i24_e32 v133, v158 /*v414*/, v106
	s_set_vgpr_msb 0x55                     ;  msbs: dst=1 src0=1 src1=1 src2=1
	v_add3_u32 v167 /*v423*/, v171 /*v427*/, v167 /*v423*/, v168 /*v424*/
	v_mul_i32_i24_e32 v168 /*v424*/, v158 /*v414*/, v70 /*v326*/
	s_set_vgpr_msb 0x41                     ;  msbs: dst=1 src0=1 src1=0 src2=0
	v_mul_i32_i24_e32 v158 /*v414*/, v185 /*v441*/, v120
	s_set_vgpr_msb 0x55                     ;  msbs: dst=1 src0=1 src1=1 src2=1
	s_delay_alu instid0(VALU_DEP_2) | instskip(SKIP_1) | instid1(VALU_DEP_2)
	v_add3_u32 v168 /*v424*/, v172 /*v428*/, v168 /*v424*/, v169 /*v425*/
	s_set_vgpr_msb 16                       ;  msbs: dst=0 src0=0 src1=0 src2=1
	v_add3_u32 v116, v116, v133, v158 /*v414*/
	v_mul_i32_i24_e32 v133, v12, v144
	v_mul_i32_i24_e32 v144, v13, v146
	s_set_vgpr_msb 0                        ;  msbs: dst=0 src0=0 src1=0 src2=0
	s_delay_alu instid0(VALU_DEP_1) | instskip(SKIP_4) | instid1(VALU_DEP_2)
	v_add3_u32 v123, v123, v133, v144
	s_set_vgpr_msb 1                        ;  msbs: dst=0 src0=1 src1=0 src2=0
	v_bfe_u32 v133, v174 /*v430*/, 16, 2
	v_bfe_u32 v144, v174 /*v430*/, 24, 2
	s_set_vgpr_msb 0                        ;  msbs: dst=0 src0=0 src1=0 src2=0
	v_mul_i32_i24_e32 v146, v133, v152
	s_set_vgpr_msb 64                       ;  msbs: dst=1 src0=0 src1=0 src2=0
	s_delay_alu instid0(VALU_DEP_2) | instskip(SKIP_1) | instid1(VALU_DEP_1)
	v_mul_i32_i24_e32 v158 /*v414*/, v144, v153
	s_set_vgpr_msb 16                       ;  msbs: dst=0 src0=0 src1=0 src2=1
	v_add3_u32 v126, v126, v146, v158 /*v414*/
	v_mul_i32_i24_e32 v146, v12, v190
	v_mul_i32_i24_e32 v190, v13, v192
	s_set_vgpr_msb 0                        ;  msbs: dst=0 src0=0 src1=0 src2=0
	s_delay_alu instid0(VALU_DEP_1) | instskip(SKIP_2) | instid1(VALU_DEP_2)
	v_add3_u32 v131, v131, v146, v190
	v_bfe_u32 v146, v115, 16, 2
	v_bfe_u32 v115, v115, 24, 2
	v_mul_i32_i24_e32 v190, v146, v152
	s_delay_alu instid0(VALU_DEP_2) | instskip(NEXT) | instid1(VALU_DEP_1)
	v_mul_i32_i24_e32 v192, v115, v153
	v_add3_u32 v134, v134, v190, v192
	v_mul_i32_i24_e32 v190, v12, v196
	v_mul_i32_i24_e32 v192, v13, v198
	s_delay_alu instid0(VALU_DEP_1) | instskip(SKIP_2) | instid1(VALU_DEP_2)
	v_add3_u32 v139, v139, v190, v192
	v_bfe_u32 v190, v119, 16, 2
	v_bfe_u32 v119, v119, 24, 2
	v_mul_i32_i24_e32 v192, v190, v152
	s_delay_alu instid0(VALU_DEP_2) | instskip(SKIP_1) | instid1(VALU_DEP_2)
	v_mul_i32_i24_e32 v196, v119, v153
	v_mul_i32_i24_e32 v198, v119, v157
	v_add3_u32 v142, v142, v192, v196
	s_set_vgpr_msb 4                        ;  msbs: dst=0 src0=0 src1=1 src2=0
	v_mul_i32_i24_e32 v192, v105, v76 /*v332*/
	v_mul_i32_i24_e32 v196, v113, v77 /*v333*/
	s_set_vgpr_msb 0                        ;  msbs: dst=0 src0=0 src1=0 src2=0
	s_delay_alu instid0(VALU_DEP_1) | instskip(SKIP_2) | instid1(VALU_DEP_1)
	v_add3_u32 v147, v147, v192, v196
	v_mul_i32_i24_e32 v192, v133, v156
	v_mul_i32_i24_e32 v196, v144, v157
	v_add3_u32 v148, v148, v192, v196
	s_set_vgpr_msb 4                        ;  msbs: dst=0 src0=0 src1=1 src2=0
	v_mul_i32_i24_e32 v192, v129, v76 /*v332*/
	v_mul_i32_i24_e32 v196, v130, v77 /*v333*/
	s_set_vgpr_msb 0                        ;  msbs: dst=0 src0=0 src1=0 src2=0
	s_delay_alu instid0(VALU_DEP_1) | instskip(SKIP_2) | instid1(VALU_DEP_1)
	v_add3_u32 v192, v193, v192, v196
	v_mul_i32_i24_e32 v193, v146, v156
	v_mul_i32_i24_e32 v196, v115, v157
	v_add3_u32 v193, v194, v193, v196
	s_set_vgpr_msb 4                        ;  msbs: dst=0 src0=0 src1=1 src2=0
	v_mul_i32_i24_e32 v194, v137, v76 /*v332*/
	v_mul_i32_i24_e32 v196, v138, v77 /*v333*/
	s_set_vgpr_msb 0                        ;  msbs: dst=0 src0=0 src1=0 src2=0
	s_delay_alu instid0(VALU_DEP_1) | instskip(SKIP_4) | instid1(VALU_DEP_2)
	v_add3_u32 v194, v199, v194, v196
	v_mul_i32_i24_e32 v196, v190, v156
	s_set_vgpr_msb 4                        ;  msbs: dst=0 src0=0 src1=1 src2=0
	v_mul_i32_i24_e32 v199, v113, v83 /*v339*/
	s_set_vgpr_msb 0                        ;  msbs: dst=0 src0=0 src1=0 src2=0
	v_add3_u32 v196, v200, v196, v198
	s_set_vgpr_msb 4                        ;  msbs: dst=0 src0=0 src1=1 src2=0
	v_mul_i32_i24_e32 v198, v105, v82 /*v338*/
	v_mul_i32_i24_e32 v200, v130, v83 /*v339*/
	s_set_vgpr_msb 0                        ;  msbs: dst=0 src0=0 src1=0 src2=0
	s_delay_alu instid0(VALU_DEP_2) | instskip(SKIP_4) | instid1(VALU_DEP_2)
	v_add3_u32 v198, v201, v198, v199
	s_set_vgpr_msb 4                        ;  msbs: dst=0 src0=0 src1=1 src2=0
	v_mul_i32_i24_e32 v199, v129, v82 /*v338*/
	v_mul_i32_i24_e32 v201, v138, v83 /*v339*/
	s_set_vgpr_msb 0                        ;  msbs: dst=0 src0=0 src1=0 src2=0
	v_add3_u32 v199, v202, v199, v200
	s_set_vgpr_msb 4                        ;  msbs: dst=0 src0=0 src1=1 src2=0
	v_mul_i32_i24_e32 v200, v137, v82 /*v338*/
	v_mul_i32_i24_e32 v202, v113, v91 /*v347*/
	s_set_vgpr_msb 0                        ;  msbs: dst=0 src0=0 src1=0 src2=0
	s_delay_alu instid0(VALU_DEP_2) | instskip(SKIP_4) | instid1(VALU_DEP_2)
	v_add3_u32 v200, v203, v200, v201
	s_set_vgpr_msb 4                        ;  msbs: dst=0 src0=0 src1=1 src2=0
	v_mul_i32_i24_e32 v201, v105, v90 /*v346*/
	v_mul_i32_i24_e32 v203, v130, v91 /*v347*/
	s_set_vgpr_msb 0                        ;  msbs: dst=0 src0=0 src1=0 src2=0
	v_add3_u32 v201, v204, v201, v202
	s_set_vgpr_msb 4                        ;  msbs: dst=0 src0=0 src1=1 src2=0
	v_mul_i32_i24_e32 v202, v129, v90 /*v346*/
	v_mul_i32_i24_e32 v204, v138, v91 /*v347*/
	s_set_vgpr_msb 0                        ;  msbs: dst=0 src0=0 src1=0 src2=0
	s_delay_alu instid0(VALU_DEP_2) | instskip(SKIP_4) | instid1(VALU_DEP_2)
	v_add3_u32 v202, v206, v202, v203
	s_set_vgpr_msb 4                        ;  msbs: dst=0 src0=0 src1=1 src2=0
	v_mul_i32_i24_e32 v203, v137, v90 /*v346*/
	v_mul_i32_i24_e32 v206, v144, v10 /*v266*/
	s_set_vgpr_msb 0                        ;  msbs: dst=0 src0=0 src1=0 src2=0
	v_add3_u32 v203, v208, v203, v204
	s_set_vgpr_msb 4                        ;  msbs: dst=0 src0=0 src1=1 src2=0
	v_mul_i32_i24_e32 v204, v133, v15 /*v271*/
	v_mul_i32_i24_e32 v208, v113, v93 /*v349*/
	s_set_vgpr_msb 0                        ;  msbs: dst=0 src0=0 src1=0 src2=0
	s_delay_alu instid0(VALU_DEP_2) | instskip(SKIP_4) | instid1(VALU_DEP_1)
	v_add3_u32 v204, v205, v204, v206
	s_set_vgpr_msb 4                        ;  msbs: dst=0 src0=0 src1=1 src2=0
	v_mul_i32_i24_e32 v205, v146, v15 /*v271*/
	v_mul_i32_i24_e32 v206, v115, v10 /*v266*/
	s_set_vgpr_msb 0                        ;  msbs: dst=0 src0=0 src1=0 src2=0
	v_add3_u32 v205, v207, v205, v206
	s_set_vgpr_msb 4                        ;  msbs: dst=0 src0=0 src1=1 src2=0
	v_mul_i32_i24_e32 v206, v190, v15 /*v271*/
	v_mul_i32_i24_e32 v207, v119, v10 /*v266*/
	s_set_vgpr_msb 0                        ;  msbs: dst=0 src0=0 src1=0 src2=0
	s_delay_alu instid0(VALU_DEP_1) | instskip(SKIP_4) | instid1(VALU_DEP_2)
	v_add3_u32 v206, v209, v206, v207
	s_set_vgpr_msb 4                        ;  msbs: dst=0 src0=0 src1=1 src2=0
	v_mul_i32_i24_e32 v207, v105, v92 /*v348*/
	v_mul_i32_i24_e32 v209, v144, v22 /*v278*/
	s_set_vgpr_msb 0                        ;  msbs: dst=0 src0=0 src1=0 src2=0
	v_add3_u32 v207, v210, v207, v208
	s_set_vgpr_msb 4                        ;  msbs: dst=0 src0=0 src1=1 src2=0
	v_mul_i32_i24_e32 v208, v133, v23 /*v279*/
	v_mul_i32_i24_e32 v210, v130, v93 /*v349*/
	s_set_vgpr_msb 0                        ;  msbs: dst=0 src0=0 src1=0 src2=0
	s_delay_alu instid0(VALU_DEP_2) | instskip(SKIP_4) | instid1(VALU_DEP_2)
	v_add3_u32 v208, v228, v208, v209
	s_set_vgpr_msb 4                        ;  msbs: dst=0 src0=0 src1=1 src2=0
	v_mul_i32_i24_e32 v209, v129, v92 /*v348*/
	v_mul_i32_i24_e32 v228, v115, v22 /*v278*/
	s_set_vgpr_msb 0                        ;  msbs: dst=0 src0=0 src1=0 src2=0
	v_add3_u32 v209, v229, v209, v210
	s_set_vgpr_msb 4                        ;  msbs: dst=0 src0=0 src1=1 src2=0
	v_mul_i32_i24_e32 v210, v146, v23 /*v279*/
	v_mul_i32_i24_e32 v229, v138, v93 /*v349*/
	s_set_vgpr_msb 0                        ;  msbs: dst=0 src0=0 src1=0 src2=0
	s_delay_alu instid0(VALU_DEP_2) | instskip(SKIP_4) | instid1(VALU_DEP_2)
	;; [unrolled: 11-line block ×3, first 2 shown]
	v_add3_u32 v229, v232, v229, v230
	s_set_vgpr_msb 4                        ;  msbs: dst=0 src0=0 src1=1 src2=0
	v_mul_i32_i24_e32 v230, v105, v80 /*v336*/
	v_mul_i32_i24_e32 v232, v130, v81 /*v337*/
	s_set_vgpr_msb 0                        ;  msbs: dst=0 src0=0 src1=0 src2=0
	v_add3_u32 v230, v233, v230, v231
	s_set_vgpr_msb 4                        ;  msbs: dst=0 src0=0 src1=1 src2=0
	v_mul_i32_i24_e32 v231, v129, v80 /*v336*/
	v_mul_i32_i24_e32 v233, v144, v16 /*v272*/
	s_set_vgpr_msb 1                        ;  msbs: dst=0 src0=1 src1=0 src2=0
	s_delay_alu instid0(VALU_DEP_2)
	v_add3_u32 v231, v138 /*v394*/, v231, v232
	s_set_vgpr_msb 0                        ;  msbs: dst=0 src0=0 src1=0 src2=0
	v_mul_i32_i24_e32 v232, v133, v161
	s_set_vgpr_msb 0x44                     ;  msbs: dst=1 src0=0 src1=1 src2=0
	v_mul_i32_i24_e32 v138 /*v394*/, v115, v16 /*v272*/
	s_set_vgpr_msb 1                        ;  msbs: dst=0 src0=1 src1=0 src2=0
	s_delay_alu instid0(VALU_DEP_2)
	v_add3_u32 v232, v139 /*v395*/, v232, v233
	s_set_vgpr_msb 0                        ;  msbs: dst=0 src0=0 src1=0 src2=0
	v_mul_i32_i24_e32 v233, v146, v161
	s_set_vgpr_msb 0x44                     ;  msbs: dst=1 src0=0 src1=1 src2=0
	v_mul_i32_i24_e32 v139 /*v395*/, v119, v16 /*v272*/
	s_set_vgpr_msb 17                       ;  msbs: dst=0 src0=1 src1=0 src2=1
	s_delay_alu instid0(VALU_DEP_2)
	v_add3_u32 v233, v140 /*v396*/, v233, v138 /*v394*/
	s_set_vgpr_msb 64                       ;  msbs: dst=1 src0=0 src1=0 src2=0
	v_mul_i32_i24_e32 v138 /*v394*/, v190, v161
	s_set_vgpr_msb 0x44                     ;  msbs: dst=1 src0=0 src1=1 src2=0
	v_mul_i32_i24_e32 v140 /*v396*/, v115, v19 /*v275*/
	s_set_vgpr_msb 0x55                     ;  msbs: dst=1 src0=1 src1=1 src2=1
	s_delay_alu instid0(VALU_DEP_2) | instskip(SKIP_4) | instid1(VALU_DEP_2)
	v_add3_u32 v138 /*v394*/, v141 /*v397*/, v138 /*v394*/, v139 /*v395*/
	s_set_vgpr_msb 0x44                     ;  msbs: dst=1 src0=0 src1=1 src2=0
	v_mul_i32_i24_e32 v139 /*v395*/, v146, v17 /*v273*/
	v_mul_i32_i24_e32 v141 /*v397*/, v144, v19 /*v275*/
	s_set_vgpr_msb 0x55                     ;  msbs: dst=1 src0=1 src1=1 src2=1
	v_add3_u32 v139 /*v395*/, v142 /*v398*/, v139 /*v395*/, v140 /*v396*/
	s_set_vgpr_msb 0x44                     ;  msbs: dst=1 src0=0 src1=1 src2=0
	v_mul_i32_i24_e32 v140 /*v396*/, v133, v17 /*v273*/
	v_mul_i32_i24_e32 v142 /*v398*/, v138, v81 /*v337*/
	s_set_vgpr_msb 0x55                     ;  msbs: dst=1 src0=1 src1=1 src2=1
	s_delay_alu instid0(VALU_DEP_2) | instskip(SKIP_4) | instid1(VALU_DEP_2)
	v_add3_u32 v140 /*v396*/, v143 /*v399*/, v140 /*v396*/, v141 /*v397*/
	s_set_vgpr_msb 0x44                     ;  msbs: dst=1 src0=0 src1=1 src2=0
	v_mul_i32_i24_e32 v141 /*v397*/, v137, v80 /*v336*/
	v_mul_i32_i24_e32 v143 /*v399*/, v119, v19 /*v275*/
	s_set_vgpr_msb 0x55                     ;  msbs: dst=1 src0=1 src1=1 src2=1
	v_add3_u32 v141 /*v397*/, v144 /*v400*/, v141 /*v397*/, v142 /*v398*/
	s_set_vgpr_msb 0x44                     ;  msbs: dst=1 src0=0 src1=1 src2=0
	v_mul_i32_i24_e32 v142 /*v398*/, v190, v17 /*v273*/
	v_mul_i32_i24_e32 v144 /*v400*/, v113, v79 /*v335*/
	s_set_vgpr_msb 4                        ;  msbs: dst=0 src0=0 src1=1 src2=0
	v_mul_i32_i24_e32 v113, v113, v99 /*v355*/
	s_set_vgpr_msb 0x55                     ;  msbs: dst=1 src0=1 src1=1 src2=1
	v_add3_u32 v142 /*v398*/, v145 /*v401*/, v142 /*v398*/, v143 /*v399*/
	s_set_vgpr_msb 0x44                     ;  msbs: dst=1 src0=0 src1=1 src2=0
	v_mul_i32_i24_e32 v143 /*v399*/, v105, v78 /*v334*/
	s_set_vgpr_msb 4                        ;  msbs: dst=0 src0=0 src1=1 src2=0
	v_mul_i32_i24_e32 v105, v105, v100 /*v356*/
	s_set_vgpr_msb 64                       ;  msbs: dst=1 src0=0 src1=0 src2=0
	v_mul_i32_i24_e32 v145 /*v401*/, v144, v60
	s_set_vgpr_msb 0x55                     ;  msbs: dst=1 src0=1 src1=1 src2=1
	v_add3_u32 v143 /*v399*/, v146 /*v402*/, v143 /*v399*/, v144 /*v400*/
	s_set_vgpr_msb 0                        ;  msbs: dst=0 src0=0 src1=0 src2=0
	v_add3_u32 v105, v121, v105, v113
	s_set_vgpr_msb 4                        ;  msbs: dst=0 src0=0 src1=1 src2=0
	v_mul_i32_i24_e32 v113, v129, v100 /*v356*/
	v_mul_i32_i24_e32 v121, v130, v99 /*v355*/
	s_set_vgpr_msb 64                       ;  msbs: dst=1 src0=0 src1=0 src2=0
	v_mul_i32_i24_e32 v144 /*v400*/, v133, v62
	s_set_vgpr_msb 0                        ;  msbs: dst=0 src0=0 src1=0 src2=0
	s_delay_alu instid0(VALU_DEP_2)
	v_add3_u32 v113, v122, v113, v121
	s_set_vgpr_msb 4                        ;  msbs: dst=0 src0=0 src1=1 src2=0
	v_mul_i32_i24_e32 v121, v137, v100 /*v356*/
	v_mul_i32_i24_e32 v122, v138, v99 /*v355*/
	s_set_vgpr_msb 0x55                     ;  msbs: dst=1 src0=1 src1=1 src2=1
	v_add3_u32 v144 /*v400*/, v147 /*v403*/, v144 /*v400*/, v145 /*v401*/
	s_set_vgpr_msb 1                        ;  msbs: dst=0 src0=1 src1=0 src2=0
	s_delay_alu instid0(VALU_DEP_2)
	v_add3_u32 v121, v149 /*v405*/, v121, v122
	s_set_vgpr_msb 4                        ;  msbs: dst=0 src0=0 src1=1 src2=0
	v_mul_i32_i24_e32 v122, v129, v78 /*v334*/
	v_mul_i32_i24_e32 v129, v130, v79 /*v335*/
	s_set_vgpr_msb 0                        ;  msbs: dst=0 src0=0 src1=0 src2=0
	v_mul_i32_i24_e32 v130, v119, v60
	v_mul_i32_i24_e32 v119, v119, v104
	s_delay_alu instid0(VALU_DEP_3) | instskip(SKIP_3) | instid1(VALU_DEP_2)
	v_add3_u32 v122, v127, v122, v129
	v_mul_i32_i24_e32 v127, v146, v62
	v_mul_i32_i24_e32 v129, v115, v60
	;; [unrolled: 1-line block ×3, first 2 shown]
	v_add3_u32 v127, v128, v127, v129
	s_set_vgpr_msb 4                        ;  msbs: dst=0 src0=0 src1=1 src2=0
	v_mul_i32_i24_e32 v128, v137, v78 /*v334*/
	v_mul_i32_i24_e32 v129, v138, v79 /*v335*/
	s_set_vgpr_msb 0x44                     ;  msbs: dst=1 src0=0 src1=1 src2=0
	v_mul_i32_i24_e32 v78 /*v334*/, v140, v78 /*v334*/
	v_mul_i32_i24_e32 v79 /*v335*/, v141, v79 /*v335*/
	s_set_vgpr_msb 0                        ;  msbs: dst=0 src0=0 src1=0 src2=0
	v_add3_u32 v128, v135, v128, v129
	v_mul_i32_i24_e32 v129, v190, v62
	s_set_vgpr_msb 4                        ;  msbs: dst=0 src0=0 src1=1 src2=0
	v_lshrrev_b32_e32 v135, 24, v180 /*v436*/
	s_set_vgpr_msb 0x55                     ;  msbs: dst=1 src0=1 src1=1 src2=1
	v_add3_u32 v78 /*v334*/, v164 /*v420*/, v78 /*v334*/, v79 /*v335*/
	s_set_vgpr_msb 0                        ;  msbs: dst=0 src0=0 src1=0 src2=0
	v_lshrrev_b32_e32 v21, 1, v21
	v_add3_u32 v129, v136, v129, v130
	v_mul_i32_i24_e32 v130, v133, v111
	v_mul_i32_i24_e32 v133, v144, v104
	s_set_vgpr_msb 1                        ;  msbs: dst=0 src0=1 src1=0 src2=0
	v_add_nc_u32_e32 v144, v95 /*v351*/, v13
	s_set_vgpr_msb 4                        ;  msbs: dst=0 src0=0 src1=1 src2=0
	v_mul_i32_i24_e32 v13, v13, v160 /*v416*/
	s_set_vgpr_msb 0                        ;  msbs: dst=0 src0=0 src1=0 src2=0
	v_add3_u32 v124, v124, v130, v133
	v_mul_i32_i24_e32 v130, v146, v111
	s_set_vgpr_msb 5                        ;  msbs: dst=0 src0=1 src1=1 src2=0
	v_add_nc_u32_e32 v133, v76 /*v332*/, v101 /*v357*/
	s_set_vgpr_msb 1                        ;  msbs: dst=0 src0=1 src1=0 src2=0
	v_add_nc_u32_e32 v146, v96 /*v352*/, v14
	s_set_vgpr_msb 0                        ;  msbs: dst=0 src0=0 src1=0 src2=0
	v_add3_u32 v144, v144, v150, v28
	s_set_vgpr_msb 0x44                     ;  msbs: dst=1 src0=0 src1=1 src2=0
	v_mul_i32_i24_e32 v76 /*v332*/, v140, v76 /*v332*/
	s_set_vgpr_msb 0                        ;  msbs: dst=0 src0=0 src1=0 src2=0
	v_add3_u32 v115, v125, v130, v115
	v_mul_i32_i24_e32 v125, v190, v111
	s_set_vgpr_msb 5                        ;  msbs: dst=0 src0=1 src1=1 src2=0
	v_add_nc_u32_e32 v130, v77 /*v333*/, v104 /*v360*/
	s_set_vgpr_msb 0                        ;  msbs: dst=0 src0=0 src1=0 src2=0
	v_add3_u32 v133, v133, v244, v26
	v_add3_u32 v146, v146, v158, v30
	s_set_vgpr_msb 4                        ;  msbs: dst=0 src0=0 src1=1 src2=0
	v_mul_i32_i24_e32 v190, v144, v181 /*v437*/
	s_set_vgpr_msb 0                        ;  msbs: dst=0 src0=0 src1=0 src2=0
	v_add3_u32 v118, v118, v125, v119
	s_set_vgpr_msb 5                        ;  msbs: dst=0 src0=1 src1=1 src2=0
	v_dual_add_nc_u32 v119, v105 /*v361*/, v102 /*v358*/ :: v_dual_add_nc_u32 v125, v106 /*v362*/, v103 /*v359*/
	s_set_vgpr_msb 0                        ;  msbs: dst=0 src0=0 src1=0 src2=0
	v_add3_u32 v130, v130, v245, v27
	s_set_vgpr_msb 4                        ;  msbs: dst=0 src0=0 src1=1 src2=0
	v_mul_i32_i24_e32 v138, v133, v181 /*v437*/
	s_set_vgpr_msb 0x44                     ;  msbs: dst=1 src0=0 src1=1 src2=0
	v_mul_i32_i24_e32 v95 /*v351*/, v133, v150 /*v406*/
	s_set_vgpr_msb 4                        ;  msbs: dst=0 src0=0 src1=1 src2=0
	v_add3_u32 v119, v119, v26 /*v282*/, v171
	v_add3_u32 v125, v125, v27 /*v283*/, v169
	s_set_vgpr_msb 0                        ;  msbs: dst=0 src0=0 src1=0 src2=0
	v_mul_i32_i24_e32 v137, v130, v135
	s_set_vgpr_msb 64                       ;  msbs: dst=1 src0=0 src1=0 src2=0
	v_mul_i32_i24_e32 v96 /*v352*/, v146, v195
	s_set_vgpr_msb 0x45                     ;  msbs: dst=1 src0=1 src1=1 src2=0
	v_add_nc_u32_e32 v104 /*v360*/, v83 /*v339*/, v116 /*v372*/
	s_set_vgpr_msb 4                        ;  msbs: dst=0 src0=0 src1=1 src2=0
	v_mul_i32_i24_e32 v136, v119, v183 /*v439*/
	s_set_vgpr_msb 0x45                     ;  msbs: dst=1 src0=1 src1=1 src2=0
	v_add_nc_u32_e32 v105 /*v361*/, v82 /*v338*/, v113 /*v369*/
	v_mul_i32_i24_e32 v116 /*v372*/, v133 /*v389*/, v150 /*v406*/
	s_set_vgpr_msb 0x44                     ;  msbs: dst=1 src0=0 src1=1 src2=0
	v_mul_i32_i24_e32 v77 /*v333*/, v141, v77 /*v333*/
	s_set_vgpr_msb 0x41                     ;  msbs: dst=1 src0=1 src1=0 src2=0
	v_add3_u32 v104 /*v360*/, v104 /*v360*/, v255, v42
	s_set_vgpr_msb 4                        ;  msbs: dst=0 src0=0 src1=1 src2=0
	v_mad_i32_i24 v136, v125, v182 /*v438*/, v136
	s_set_vgpr_msb 0x41                     ;  msbs: dst=1 src0=1 src1=0 src2=0
	v_add3_u32 v105 /*v361*/, v105 /*v361*/, v254, v43
	s_set_vgpr_msb 0x44                     ;  msbs: dst=1 src0=0 src1=1 src2=0
	v_mul_i32_i24_e32 v82 /*v338*/, v140, v82 /*v338*/
	s_set_vgpr_msb 0x55                     ;  msbs: dst=1 src0=1 src1=1 src2=1
	v_add3_u32 v76 /*v332*/, v161 /*v417*/, v76 /*v332*/, v77 /*v333*/
	s_set_vgpr_msb 0x44                     ;  msbs: dst=1 src0=0 src1=1 src2=0
	v_mul_i32_i24_e32 v83 /*v339*/, v141, v83 /*v339*/
	s_set_vgpr_msb 0                        ;  msbs: dst=0 src0=0 src1=0 src2=0
	v_add3_u32 v136, v136, v138, v137
	s_set_vgpr_msb 1                        ;  msbs: dst=0 src0=1 src1=0 src2=0
	v_dual_add_nc_u32 v137, v97 /*v353*/, v166 :: v_dual_add_nc_u32 v138, v94 /*v350*/, v12
	s_set_vgpr_msb 64                       ;  msbs: dst=1 src0=0 src1=0 src2=0
	v_mul_i32_i24_e32 v94 /*v350*/, v146, v135
	s_set_vgpr_msb 0x45                     ;  msbs: dst=1 src0=1 src1=1 src2=0
	v_add_nc_u32_e32 v97 /*v353*/, v81 /*v337*/, v110 /*v366*/
	s_set_vgpr_msb 4                        ;  msbs: dst=0 src0=0 src1=1 src2=0
	v_mul_i32_i24_e32 v12, v12, v159 /*v415*/
	v_add3_u32 v137, v137, v98 /*v354*/, v29
	s_set_vgpr_msb 0                        ;  msbs: dst=0 src0=0 src1=0 src2=0
	v_add3_u32 v138, v138, v15, v31
	s_set_vgpr_msb 0x45                     ;  msbs: dst=1 src0=1 src1=1 src2=0
	v_add_nc_u32_e32 v98 /*v354*/, v80 /*v336*/, v107 /*v363*/
	s_set_vgpr_msb 0x41                     ;  msbs: dst=1 src0=1 src1=0 src2=0
	v_add3_u32 v97 /*v353*/, v97 /*v353*/, v249, v38
	s_set_vgpr_msb 0x45                     ;  msbs: dst=1 src0=1 src1=1 src2=0
	v_mul_i32_i24_e32 v107 /*v363*/, v105 /*v361*/, v150 /*v406*/
	s_set_vgpr_msb 4                        ;  msbs: dst=0 src0=0 src1=1 src2=0
	v_mul_i32_i24_e32 v166, v137, v183 /*v439*/
	s_set_vgpr_msb 0x55                     ;  msbs: dst=1 src0=1 src1=1 src2=1
	v_add3_u32 v82 /*v338*/, v163 /*v419*/, v82 /*v338*/, v83 /*v339*/
	s_set_vgpr_msb 0x41                     ;  msbs: dst=1 src0=1 src1=0 src2=0
	v_add3_u32 v98 /*v354*/, v98 /*v354*/, v248, v41
	v_mul_i32_i24_e32 v102 /*v358*/, v97 /*v353*/, v135
	s_set_vgpr_msb 0x44                     ;  msbs: dst=1 src0=0 src1=1 src2=0
	v_mul_i32_i24_e32 v83 /*v339*/, v140, v90 /*v346*/
	s_set_vgpr_msb 4                        ;  msbs: dst=0 src0=0 src1=1 src2=0
	v_mad_i32_i24 v166, v138, v182 /*v438*/, v166
	s_set_vgpr_msb 0x44                     ;  msbs: dst=1 src0=0 src1=1 src2=0
	v_mul_i32_i24_e32 v80 /*v336*/, v140, v80 /*v336*/
	s_set_vgpr_msb 0x45                     ;  msbs: dst=1 src0=1 src1=1 src2=0
	v_mul_i32_i24_e32 v103 /*v359*/, v98 /*v354*/, v181 /*v437*/
	s_set_vgpr_msb 0x44                     ;  msbs: dst=1 src0=0 src1=1 src2=0
	v_mul_i32_i24_e32 v81 /*v337*/, v141, v81 /*v337*/
	s_set_vgpr_msb 16                       ;  msbs: dst=0 src0=0 src1=0 src2=1
	v_lshrrev_b32_e32 v18, 1, v18
	v_add3_u32 v190, v166, v190, v94 /*v350*/
	s_set_vgpr_msb 4                        ;  msbs: dst=0 src0=0 src1=1 src2=0
	v_mul_i32_i24_e32 v166, v119, v152 /*v408*/
	s_set_vgpr_msb 64                       ;  msbs: dst=1 src0=0 src1=0 src2=0
	v_mul_i32_i24_e32 v94 /*v350*/, v130, v195
	s_set_vgpr_msb 0x55                     ;  msbs: dst=1 src0=1 src1=1 src2=1
	v_add3_u32 v80 /*v336*/, v166 /*v422*/, v80 /*v336*/, v81 /*v337*/
	s_set_vgpr_msb 0                        ;  msbs: dst=0 src0=0 src1=0 src2=0
	v_dual_lshrrev_b32 v19, 1, v19 :: v_dual_lshrrev_b32 v20, 1, v20
	s_set_vgpr_msb 4                        ;  msbs: dst=0 src0=0 src1=1 src2=0
	v_mad_i32_i24 v166, v125, v151 /*v407*/, v166
	s_set_vgpr_msb 0x54                     ;  msbs: dst=1 src0=0 src1=1 src2=1
	s_delay_alu instid0(VALU_DEP_1)
	v_add3_u32 v94 /*v350*/, v166, v95 /*v351*/, v94 /*v350*/
	s_set_vgpr_msb 4                        ;  msbs: dst=0 src0=0 src1=1 src2=0
	v_mul_i32_i24_e32 v166, v137, v152 /*v408*/
	s_set_vgpr_msb 0x44                     ;  msbs: dst=1 src0=0 src1=1 src2=0
	v_mul_i32_i24_e32 v95 /*v351*/, v144, v150 /*v406*/
	s_set_vgpr_msb 4                        ;  msbs: dst=0 src0=0 src1=1 src2=0
	s_delay_alu instid0(VALU_DEP_2) | instskip(SKIP_1) | instid1(VALU_DEP_1)
	v_mad_i32_i24 v166, v138, v151 /*v407*/, v166
	s_set_vgpr_msb 0x54                     ;  msbs: dst=1 src0=0 src1=1 src2=1
	v_add3_u32 v95 /*v351*/, v166, v95 /*v351*/, v96 /*v352*/
	s_set_vgpr_msb 5                        ;  msbs: dst=0 src0=1 src1=1 src2=0
	v_add_nc_u32_e32 v166, v111 /*v367*/, v108 /*v364*/
	s_set_vgpr_msb 0x45                     ;  msbs: dst=1 src0=1 src1=1 src2=0
	v_add_nc_u32_e32 v96 /*v352*/, v112 /*v368*/, v109 /*v365*/
	s_set_vgpr_msb 0x41                     ;  msbs: dst=1 src0=1 src1=0 src2=0
	v_mul_i32_i24_e32 v108 /*v364*/, v104 /*v360*/, v195
	s_set_vgpr_msb 0x44                     ;  msbs: dst=1 src0=0 src1=1 src2=0
	v_mul_i32_i24_e32 v109 /*v365*/, v133, v155 /*v411*/
	s_set_vgpr_msb 0x45                     ;  msbs: dst=1 src0=1 src1=1 src2=0
	v_mul_i32_i24_e32 v112 /*v368*/, v135 /*v391*/, v181 /*v437*/
	s_set_vgpr_msb 0x44                     ;  msbs: dst=1 src0=0 src1=1 src2=0
	v_add3_u32 v101 /*v357*/, v166, v32 /*v288*/, v179
	s_set_vgpr_msb 0x45                     ;  msbs: dst=1 src0=1 src1=1 src2=0
	v_add3_u32 v96 /*v352*/, v96 /*v352*/, v33 /*v289*/, v180
	s_set_vgpr_msb 5                        ;  msbs: dst=0 src0=1 src1=1 src2=0
	s_delay_alu instid0(VALU_DEP_2) | instskip(NEXT) | instid1(VALU_DEP_1)
	v_mul_i32_i24_e32 v166, v101 /*v357*/, v183 /*v439*/
	v_mad_i32_i24 v166, v96 /*v352*/, v182 /*v438*/, v166
	s_set_vgpr_msb 0x54                     ;  msbs: dst=1 src0=0 src1=1 src2=1
	s_delay_alu instid0(VALU_DEP_1)
	v_add3_u32 v102 /*v358*/, v166, v103 /*v359*/, v102 /*v358*/
	s_set_vgpr_msb 5                        ;  msbs: dst=0 src0=1 src1=1 src2=0
	v_add_nc_u32_e32 v166, v117 /*v373*/, v114 /*v370*/
	s_set_vgpr_msb 0x45                     ;  msbs: dst=1 src0=1 src1=1 src2=0
	v_add_nc_u32_e32 v103 /*v359*/, v118 /*v374*/, v115 /*v371*/
	s_set_vgpr_msb 0x41                     ;  msbs: dst=1 src0=1 src1=0 src2=0
	v_mul_i32_i24_e32 v114 /*v370*/, v104 /*v360*/, v135
	v_mul_i32_i24_e32 v115 /*v371*/, v97 /*v353*/, v195
	s_set_vgpr_msb 0x44                     ;  msbs: dst=1 src0=0 src1=1 src2=0
	v_add3_u32 v106 /*v362*/, v166, v41 /*v297*/, v183
	s_set_vgpr_msb 0x45                     ;  msbs: dst=1 src0=1 src1=1 src2=0
	v_add3_u32 v103 /*v359*/, v103 /*v359*/, v42 /*v298*/, v184
	s_set_vgpr_msb 5                        ;  msbs: dst=0 src0=1 src1=1 src2=0
	s_delay_alu instid0(VALU_DEP_2) | instskip(NEXT) | instid1(VALU_DEP_1)
	v_mul_i32_i24_e32 v166, v106 /*v362*/, v152 /*v408*/
	v_mad_i32_i24 v166, v103 /*v359*/, v151 /*v407*/, v166
	s_set_vgpr_msb 0x54                     ;  msbs: dst=1 src0=0 src1=1 src2=1
	s_delay_alu instid0(VALU_DEP_1) | instskip(SKIP_4) | instid1(VALU_DEP_2)
	v_add3_u32 v107 /*v363*/, v166, v107 /*v363*/, v108 /*v364*/
	v_lshrrev_b32_e32 v108 /*v364*/, 24, v154 /*v410*/
	s_set_vgpr_msb 4                        ;  msbs: dst=0 src0=0 src1=1 src2=0
	v_mul_i32_i24_e32 v166, v119, v176 /*v432*/
	s_set_vgpr_msb 0x44                     ;  msbs: dst=1 src0=0 src1=1 src2=0
	v_mul_i32_i24_e32 v110 /*v366*/, v130, v108 /*v364*/
	s_set_vgpr_msb 4                        ;  msbs: dst=0 src0=0 src1=1 src2=0
	s_delay_alu instid0(VALU_DEP_2) | instskip(SKIP_3) | instid1(VALU_DEP_2)
	v_mad_i32_i24 v166, v125, v175 /*v431*/, v166
	s_set_vgpr_msb 0x45                     ;  msbs: dst=1 src0=1 src1=1 src2=0
	v_mul_i32_i24_e32 v111 /*v367*/, v104 /*v360*/, v108 /*v364*/
	s_set_vgpr_msb 0x54                     ;  msbs: dst=1 src0=0 src1=1 src2=1
	v_add3_u32 v109 /*v365*/, v166, v109 /*v365*/, v110 /*v366*/
	s_set_vgpr_msb 5                        ;  msbs: dst=0 src0=1 src1=1 src2=0
	v_mul_i32_i24_e32 v166, v106 /*v362*/, v176 /*v432*/
	s_set_vgpr_msb 0x45                     ;  msbs: dst=1 src0=1 src1=1 src2=0
	v_mul_i32_i24_e32 v110 /*v366*/, v105 /*v361*/, v155 /*v411*/
	s_set_vgpr_msb 5                        ;  msbs: dst=0 src0=1 src1=1 src2=0
	s_delay_alu instid0(VALU_DEP_2) | instskip(SKIP_1) | instid1(VALU_DEP_1)
	v_mad_i32_i24 v166, v103 /*v359*/, v175 /*v431*/, v166
	s_set_vgpr_msb 0x54                     ;  msbs: dst=1 src0=0 src1=1 src2=1
	v_add3_u32 v110 /*v366*/, v166, v110 /*v366*/, v111 /*v367*/
	s_set_vgpr_msb 5                        ;  msbs: dst=0 src0=1 src1=1 src2=0
	v_add_nc_u32_e32 v166, v91 /*v347*/, v125 /*v381*/
	s_set_vgpr_msb 0x45                     ;  msbs: dst=1 src0=1 src1=1 src2=0
	v_mul_i32_i24_e32 v125 /*v381*/, v97 /*v353*/, v108 /*v364*/
	s_set_vgpr_msb 0x44                     ;  msbs: dst=1 src0=0 src1=1 src2=0
	s_delay_alu instid0(VALU_DEP_2) | instskip(SKIP_3) | instid1(VALU_DEP_2)
	v_add3_u32 v111 /*v367*/, v166, v6 /*v262*/, v52
	s_set_vgpr_msb 5                        ;  msbs: dst=0 src0=1 src1=1 src2=0
	v_mul_i32_i24_e32 v166, v134 /*v390*/, v183 /*v439*/
	s_set_vgpr_msb 0x41                     ;  msbs: dst=1 src0=1 src1=0 src2=0
	v_mul_i32_i24_e32 v113 /*v369*/, v111 /*v367*/, v135
	s_set_vgpr_msb 5                        ;  msbs: dst=0 src0=1 src1=1 src2=0
	s_delay_alu instid0(VALU_DEP_2) | instskip(SKIP_1) | instid1(VALU_DEP_1)
	v_mad_i32_i24 v166, v136 /*v392*/, v182 /*v438*/, v166
	s_set_vgpr_msb 0x54                     ;  msbs: dst=1 src0=0 src1=1 src2=1
	v_add3_u32 v112 /*v368*/, v166, v112 /*v368*/, v113 /*v369*/
	s_set_vgpr_msb 5                        ;  msbs: dst=0 src0=1 src1=1 src2=0
	v_mul_i32_i24_e32 v166, v106 /*v362*/, v183 /*v439*/
	s_set_vgpr_msb 0x45                     ;  msbs: dst=1 src0=1 src1=1 src2=0
	v_mul_i32_i24_e32 v113 /*v369*/, v105 /*v361*/, v181 /*v437*/
	s_set_vgpr_msb 5                        ;  msbs: dst=0 src0=1 src1=1 src2=0
	s_delay_alu instid0(VALU_DEP_2) | instskip(SKIP_1) | instid1(VALU_DEP_1)
	v_mad_i32_i24 v166, v103 /*v359*/, v182 /*v438*/, v166
	s_set_vgpr_msb 0x54                     ;  msbs: dst=1 src0=0 src1=1 src2=1
	v_add3_u32 v113 /*v369*/, v166, v113 /*v369*/, v114 /*v370*/
	s_set_vgpr_msb 5                        ;  msbs: dst=0 src0=1 src1=1 src2=0
	v_mul_i32_i24_e32 v166, v101 /*v357*/, v152 /*v408*/
	s_set_vgpr_msb 0x45                     ;  msbs: dst=1 src0=1 src1=1 src2=0
	v_mul_i32_i24_e32 v114 /*v370*/, v98 /*v354*/, v150 /*v406*/
	s_set_vgpr_msb 5                        ;  msbs: dst=0 src0=1 src1=1 src2=0
	s_delay_alu instid0(VALU_DEP_2) | instskip(SKIP_1) | instid1(VALU_DEP_1)
	v_mad_i32_i24 v166, v96 /*v352*/, v151 /*v407*/, v166
	s_set_vgpr_msb 0x54                     ;  msbs: dst=1 src0=0 src1=1 src2=1
	v_add3_u32 v114 /*v370*/, v166, v114 /*v370*/, v115 /*v371*/
	s_set_vgpr_msb 5                        ;  msbs: dst=0 src0=1 src1=1 src2=0
	v_add_nc_u32_e32 v166, v93 /*v349*/, v126 /*v382*/
	s_set_vgpr_msb 0x44                     ;  msbs: dst=1 src0=0 src1=1 src2=0
	s_delay_alu instid0(VALU_DEP_1) | instskip(SKIP_3) | instid1(VALU_DEP_2)
	v_add3_u32 v115 /*v371*/, v166, v9 /*v265*/, v54
	s_set_vgpr_msb 5                        ;  msbs: dst=0 src0=1 src1=1 src2=0
	v_mul_i32_i24_e32 v166, v131 /*v387*/, v152 /*v408*/
	s_set_vgpr_msb 0x41                     ;  msbs: dst=1 src0=1 src1=0 src2=0
	v_mul_i32_i24_e32 v117 /*v373*/, v115 /*v371*/, v195
	s_set_vgpr_msb 5                        ;  msbs: dst=0 src0=1 src1=1 src2=0
	s_delay_alu instid0(VALU_DEP_2) | instskip(SKIP_3) | instid1(VALU_DEP_2)
	v_mad_i32_i24 v166, v132 /*v388*/, v151 /*v407*/, v166
	s_set_vgpr_msb 0x45                     ;  msbs: dst=1 src0=1 src1=1 src2=0
	v_mul_i32_i24_e32 v118 /*v374*/, v115 /*v371*/, v108 /*v364*/
	s_set_vgpr_msb 0x54                     ;  msbs: dst=1 src0=0 src1=1 src2=1
	v_add3_u32 v116 /*v372*/, v166, v116 /*v372*/, v117 /*v373*/
	s_set_vgpr_msb 5                        ;  msbs: dst=0 src0=1 src1=1 src2=0
	v_mul_i32_i24_e32 v166, v131 /*v387*/, v176 /*v432*/
	s_set_vgpr_msb 0x45                     ;  msbs: dst=1 src0=1 src1=1 src2=0
	v_mul_i32_i24_e32 v117 /*v373*/, v133 /*v389*/, v155 /*v411*/
	s_set_vgpr_msb 5                        ;  msbs: dst=0 src0=1 src1=1 src2=0
	s_delay_alu instid0(VALU_DEP_2) | instskip(SKIP_1) | instid1(VALU_DEP_1)
	v_mad_i32_i24 v166, v132 /*v388*/, v175 /*v431*/, v166
	s_set_vgpr_msb 0x54                     ;  msbs: dst=1 src0=0 src1=1 src2=1
	v_add3_u32 v117 /*v373*/, v166, v117 /*v373*/, v118 /*v374*/
	s_set_vgpr_msb 5                        ;  msbs: dst=0 src0=1 src1=1 src2=0
	v_mul_i32_i24_e32 v166, v101 /*v357*/, v176 /*v432*/
	s_set_vgpr_msb 0x45                     ;  msbs: dst=1 src0=1 src1=1 src2=0
	v_mul_i32_i24_e32 v118 /*v374*/, v98 /*v354*/, v155 /*v411*/
	s_set_vgpr_msb 5                        ;  msbs: dst=0 src0=1 src1=1 src2=0
	s_delay_alu instid0(VALU_DEP_2) | instskip(SKIP_1) | instid1(VALU_DEP_1)
	v_mad_i32_i24 v166, v96 /*v352*/, v175 /*v431*/, v166
	s_set_vgpr_msb 0x54                     ;  msbs: dst=1 src0=0 src1=1 src2=1
	v_add3_u32 v118 /*v374*/, v166, v118 /*v374*/, v125 /*v381*/
	s_set_vgpr_msb 20                       ;  msbs: dst=0 src0=0 src1=1 src2=1
	v_add3_u32 v166, s19, v204 /*v460*/, v213 /*v469*/
	ds_load_u16 v166, v166
	s_wait_dscnt 0x0
	s_set_vgpr_msb 0x44                     ;  msbs: dst=1 src0=0 src1=1 src2=0
	v_bfe_u32 v125 /*v381*/, v166, 4, 4
	s_delay_alu instid0(VALU_DEP_1) | instskip(NEXT) | instid1(VALU_DEP_1)
	v_mul_lo_u32 v125 /*v381*/, 0x1010101, v125 /*v381*/
	v_lshrrev_b16 v126 /*v382*/, 8, v125 /*v381*/
	s_set_vgpr_msb 0x41                     ;  msbs: dst=1 src0=1 src1=0 src2=0
	v_bfe_i32 v145 /*v401*/, v125 /*v381*/, 0, 8
	s_set_vgpr_msb 0x44                     ;  msbs: dst=1 src0=0 src1=1 src2=0
	v_lshrrev_b32_e32 v146 /*v402*/, 24, v125 /*v381*/
	s_set_vgpr_msb 0x41                     ;  msbs: dst=1 src0=1 src1=0 src2=0
	v_bfe_i32 v125 /*v381*/, v125 /*v381*/, 16, 8
	v_bfe_i32 v126 /*v382*/, v126 /*v382*/, 0, 8
	s_set_vgpr_msb 4                        ;  msbs: dst=0 src0=0 src1=1 src2=0
	v_mul_i32_i24_e32 v119, v119, v145 /*v401*/
	s_set_vgpr_msb 0x44                     ;  msbs: dst=1 src0=0 src1=1 src2=0
	v_mul_i32_i24_e32 v147 /*v403*/, v137, v145 /*v401*/
	s_set_vgpr_msb 0x45                     ;  msbs: dst=1 src0=1 src1=1 src2=0
	v_mul_i32_i24_e32 v101 /*v357*/, v101 /*v357*/, v145 /*v401*/
	s_set_vgpr_msb 4                        ;  msbs: dst=0 src0=0 src1=1 src2=0
	v_mul_i32_i24_e32 v137, v137, v176 /*v432*/
	s_set_vgpr_msb 0x44                     ;  msbs: dst=1 src0=0 src1=1 src2=0
	v_mul_i32_i24_e32 v149 /*v405*/, v144, v125 /*v381*/
	s_set_vgpr_msb 4                        ;  msbs: dst=0 src0=0 src1=1 src2=0
	v_mad_i32_i24 v119, v125, v126 /*v382*/, v119
	v_mul_i32_i24_e32 v125, v130, v146 /*v402*/
	v_mul_i32_i24_e32 v130, v133, v125 /*v381*/
	s_set_vgpr_msb 5                        ;  msbs: dst=0 src0=1 src1=1 src2=0
	v_mul_i32_i24_e32 v133, v104 /*v360*/, v146 /*v402*/
	s_set_vgpr_msb 0x54                     ;  msbs: dst=1 src0=0 src1=1 src2=1
	v_mad_i32_i24 v147 /*v403*/, v138, v126 /*v382*/, v147 /*v403*/
	s_set_vgpr_msb 0x55                     ;  msbs: dst=1 src0=1 src1=1 src2=1
	v_mad_i32_i24 v96 /*v352*/, v96 /*v352*/, v126 /*v382*/, v101 /*v357*/
	v_mul_i32_i24_e32 v98 /*v354*/, v98 /*v354*/, v125 /*v381*/
	s_set_vgpr_msb 0                        ;  msbs: dst=0 src0=0 src1=0 src2=0
	v_add3_u32 v119, v119, v130, v125
	s_set_vgpr_msb 5                        ;  msbs: dst=0 src0=1 src1=1 src2=0
	v_mul_i32_i24_e32 v125, v106 /*v362*/, v145 /*v401*/
	v_mul_i32_i24_e32 v130, v105 /*v361*/, v125 /*v381*/
	s_set_vgpr_msb 0x45                     ;  msbs: dst=1 src0=1 src1=1 src2=0
	v_mul_i32_i24_e32 v97 /*v353*/, v97 /*v353*/, v146 /*v402*/
	v_mul_i32_i24_e32 v88 /*v344*/, v84 /*v340*/, v145 /*v401*/
	s_set_vgpr_msb 4                        ;  msbs: dst=0 src0=0 src1=1 src2=0
	v_mad_i32_i24 v137, v138, v175 /*v431*/, v137
	s_set_vgpr_msb 5                        ;  msbs: dst=0 src0=1 src1=1 src2=0
	v_mad_i32_i24 v125, v103 /*v359*/, v126 /*v382*/, v125
	s_set_vgpr_msb 4                        ;  msbs: dst=0 src0=0 src1=1 src2=0
	v_mul_i32_i24_e32 v138, v144, v155 /*v411*/
	v_mul_i32_i24_e32 v144, v146, v108 /*v364*/
	s_set_vgpr_msb 0x55                     ;  msbs: dst=1 src0=1 src1=1 src2=1
	v_mul_i32_i24_e32 v103 /*v359*/, v111 /*v367*/, v146 /*v402*/
	v_add3_u32 v96 /*v352*/, v96 /*v352*/, v98 /*v354*/, v97 /*v353*/
	s_set_vgpr_msb 0                        ;  msbs: dst=0 src0=0 src1=0 src2=0
	v_add3_u32 v125, v125, v130, v133
	s_set_vgpr_msb 5                        ;  msbs: dst=0 src0=1 src1=1 src2=0
	v_mul_i32_i24_e32 v130, v134 /*v390*/, v145 /*v401*/
	v_mul_i32_i24_e32 v133, v135 /*v391*/, v125 /*v381*/
	s_set_vgpr_msb 0x55                     ;  msbs: dst=1 src0=1 src1=1 src2=1
	v_mad_i32_i24 v88 /*v344*/, v85 /*v341*/, v126 /*v382*/, v88 /*v344*/
	v_mul_i32_i24_e32 v89 /*v345*/, v86 /*v342*/, v125 /*v381*/
	v_mul_i32_i24_e32 v97 /*v353*/, v87 /*v343*/, v146 /*v402*/
	s_set_vgpr_msb 5                        ;  msbs: dst=0 src0=1 src1=1 src2=0
	v_mad_i32_i24 v130, v136 /*v392*/, v126 /*v382*/, v130
	s_set_vgpr_msb 0                        ;  msbs: dst=0 src0=0 src1=0 src2=0
	v_add3_u32 v137, v137, v138, v144
	s_set_vgpr_msb 5                        ;  msbs: dst=0 src0=1 src1=1 src2=0
	v_add_nc_u32_e32 v138, v124 /*v380*/, v123 /*v379*/
	s_set_vgpr_msb 0x44                     ;  msbs: dst=1 src0=0 src1=1 src2=0
	v_mul_i32_i24_e32 v154 /*v410*/, v146, v146 /*v402*/
	s_set_vgpr_msb 0x55                     ;  msbs: dst=1 src0=1 src1=1 src2=1
	v_add3_u32 v88 /*v344*/, v88 /*v344*/, v89 /*v345*/, v97 /*v353*/
	s_set_vgpr_msb 16                       ;  msbs: dst=0 src0=0 src1=0 src2=1
	v_add3_u32 v130, v130, v133, v103 /*v359*/
	s_set_vgpr_msb 5                        ;  msbs: dst=0 src0=1 src1=1 src2=0
	v_mul_i32_i24_e32 v133, v131 /*v387*/, v145 /*v401*/
	v_add_nc_u32_e32 v144, v137 /*v393*/, v148 /*v404*/
	v_bfe_i32 v146, v120 /*v376*/, 0, 8
	s_set_vgpr_msb 0x45                     ;  msbs: dst=1 src0=1 src1=1 src2=0
	v_dual_add_nc_u32 v89 /*v345*/, v99 /*v355*/, v121 /*v377*/ :: v_dual_add_nc_u32 v97 /*v353*/, v100 /*v356*/, v122 /*v378*/
	v_bfe_i32 v98 /*v354*/, v119 /*v375*/, 0, 8
	s_set_vgpr_msb 4                        ;  msbs: dst=0 src0=0 src1=1 src2=0
	v_add3_u32 v138, v138, v58 /*v314*/, v241
	s_set_vgpr_msb 5                        ;  msbs: dst=0 src0=1 src1=1 src2=0
	v_mad_i32_i24 v133, v132 /*v388*/, v126 /*v382*/, v133
	s_set_vgpr_msb 0x45                     ;  msbs: dst=1 src0=1 src1=1 src2=0
	v_mul_i32_i24_e32 v103 /*v359*/, v133 /*v389*/, v125 /*v381*/
	v_mul_i32_i24_e32 v104 /*v360*/, v115 /*v371*/, v146 /*v402*/
	v_add3_u32 v89 /*v345*/, v89 /*v345*/, v13 /*v269*/, v175
	v_add3_u32 v97 /*v353*/, v97 /*v353*/, v14 /*v270*/, v58
	s_set_vgpr_msb 16                       ;  msbs: dst=0 src0=0 src1=0 src2=1
	v_add3_u32 v144, v144, v146, v98 /*v354*/
	s_set_vgpr_msb 0x44                     ;  msbs: dst=1 src0=0 src1=1 src2=0
	v_mul_i32_i24_e32 v101 /*v357*/, v138, v176 /*v432*/
	s_set_vgpr_msb 20                       ;  msbs: dst=0 src0=0 src1=1 src2=1
	v_add3_u32 v133, v133, v103 /*v359*/, v104 /*v360*/
	s_set_vgpr_msb 0x45                     ;  msbs: dst=1 src0=1 src1=1 src2=0
	v_mul_i32_i24_e32 v104 /*v360*/, v89 /*v345*/, v108 /*v364*/
	v_mul_i32_i24_e32 v103 /*v359*/, v97 /*v353*/, v155 /*v411*/
	;; [unrolled: 1-line block ×3, first 2 shown]
	s_set_vgpr_msb 0x54                     ;  msbs: dst=1 src0=0 src1=1 src2=1
	v_mad_i32_i24 v101 /*v357*/, v144, v175 /*v431*/, v101 /*v357*/
	s_set_vgpr_msb 0x41                     ;  msbs: dst=1 src0=1 src1=0 src2=0
	v_mul_i32_i24_e32 v106 /*v362*/, v89 /*v345*/, v135
	v_mul_i32_i24_e32 v119 /*v375*/, v87 /*v343*/, v135
	v_mul_i32_i24_e32 v87 /*v343*/, v87 /*v343*/, v195
	s_set_vgpr_msb 1                        ;  msbs: dst=0 src0=1 src1=0 src2=0
	v_mul_i32_i24_e32 v135, v115 /*v371*/, v135
	s_set_vgpr_msb 0x55                     ;  msbs: dst=1 src0=1 src1=1 src2=1
	v_add3_u32 v101 /*v357*/, v101 /*v357*/, v103 /*v359*/, v104 /*v360*/
	v_mul_i32_i24_e32 v103 /*v359*/, v84 /*v340*/, v176 /*v432*/
	v_mul_i32_i24_e32 v104 /*v360*/, v86 /*v342*/, v155 /*v411*/
	v_add3_u32 v147 /*v403*/, v147 /*v403*/, v149 /*v405*/, v154 /*v410*/
	s_delay_alu instid0(VALU_DEP_3) | instskip(NEXT) | instid1(VALU_DEP_1)
	v_mad_i32_i24 v103 /*v359*/, v85 /*v341*/, v175 /*v431*/, v103 /*v359*/
	v_add3_u32 v103 /*v359*/, v103 /*v359*/, v104 /*v360*/, v105 /*v361*/
	s_set_vgpr_msb 0x44                     ;  msbs: dst=1 src0=0 src1=1 src2=0
	v_mul_i32_i24_e32 v104 /*v360*/, v138, v183 /*v439*/
	s_set_vgpr_msb 0x45                     ;  msbs: dst=1 src0=1 src1=1 src2=0
	v_mul_i32_i24_e32 v105 /*v361*/, v97 /*v353*/, v181 /*v437*/
	s_set_vgpr_msb 0x54                     ;  msbs: dst=1 src0=0 src1=1 src2=1
	s_delay_alu instid0(VALU_DEP_2) | instskip(SKIP_1) | instid1(VALU_DEP_1)
	v_mad_i32_i24 v104 /*v360*/, v144, v182 /*v438*/, v104 /*v360*/
	s_set_vgpr_msb 0x55                     ;  msbs: dst=1 src0=1 src1=1 src2=1
	v_add3_u32 v104 /*v360*/, v104 /*v360*/, v105 /*v361*/, v106 /*v362*/
	v_mul_i32_i24_e32 v105 /*v361*/, v84 /*v340*/, v183 /*v439*/
	v_mul_i32_i24_e32 v84 /*v340*/, v84 /*v340*/, v152 /*v408*/
	;; [unrolled: 1-line block ×4, first 2 shown]
	s_delay_alu instid0(VALU_DEP_4) | instskip(NEXT) | instid1(VALU_DEP_4)
	v_mad_i32_i24 v105 /*v361*/, v85 /*v341*/, v182 /*v438*/, v105 /*v361*/
	v_mad_i32_i24 v84 /*v340*/, v85 /*v341*/, v151 /*v407*/, v84 /*v340*/
	s_set_vgpr_msb 0x44                     ;  msbs: dst=1 src0=0 src1=1 src2=0
	v_mul_i32_i24_e32 v85 /*v341*/, v138, v152 /*v408*/
	s_set_vgpr_msb 0x55                     ;  msbs: dst=1 src0=1 src1=1 src2=1
	v_add3_u32 v105 /*v361*/, v105 /*v361*/, v106 /*v362*/, v119 /*v375*/
	v_add3_u32 v84 /*v340*/, v84 /*v340*/, v86 /*v342*/, v87 /*v343*/
	s_set_vgpr_msb 0x41                     ;  msbs: dst=1 src0=1 src1=0 src2=0
	v_add3_u32 v86 /*v342*/, v156 /*v412*/, v12, v13
	s_set_vgpr_msb 0                        ;  msbs: dst=0 src0=0 src1=0 src2=0
	v_bfe_u32 v12, v117, 16, 2
	v_bfe_u32 v13, v117, 24, 2
	s_set_vgpr_msb 0x54                     ;  msbs: dst=1 src0=0 src1=1 src2=1
	v_mad_i32_i24 v85 /*v341*/, v144, v151 /*v407*/, v85 /*v341*/
	s_set_vgpr_msb 0x45                     ;  msbs: dst=1 src0=1 src1=1 src2=0
	v_mul_i32_i24_e32 v106 /*v362*/, v97 /*v353*/, v150 /*v406*/
	s_set_vgpr_msb 0x41                     ;  msbs: dst=1 src0=1 src1=0 src2=0
	v_mul_i32_i24_e32 v119 /*v375*/, v89 /*v345*/, v195
	s_set_vgpr_msb 0                        ;  msbs: dst=0 src0=0 src1=0 src2=0
	v_mul_i32_i24_e32 v117, v12, v152
	s_set_vgpr_msb 64                       ;  msbs: dst=1 src0=0 src1=0 src2=0
	v_mul_i32_i24_e32 v87 /*v343*/, v13, v153
	v_mul_i32_i24_e32 v77 /*v333*/, v12, v156
	s_set_vgpr_msb 0x44                     ;  msbs: dst=1 src0=0 src1=1 src2=0
	v_mul_i32_i24_e32 v90 /*v346*/, v13, v10 /*v266*/
	s_set_vgpr_msb 64                       ;  msbs: dst=1 src0=0 src1=0 src2=0
	v_mul_i32_i24_e32 v79 /*v335*/, v12, v62
	v_mul_i32_i24_e32 v81 /*v337*/, v12, v161
	s_set_vgpr_msb 17                       ;  msbs: dst=0 src0=1 src1=0 src2=1
	v_add3_u32 v117, v157 /*v413*/, v117, v87 /*v343*/
	s_set_vgpr_msb 64                       ;  msbs: dst=1 src0=0 src1=0 src2=0
	v_mul_i32_i24_e32 v87 /*v343*/, v13, v157
	s_set_vgpr_msb 0x55                     ;  msbs: dst=1 src0=1 src1=1 src2=1
	v_add3_u32 v85 /*v341*/, v85 /*v341*/, v106 /*v362*/, v119 /*v375*/
	s_delay_alu instid0(VALU_DEP_2)
	v_add3_u32 v77 /*v333*/, v162 /*v418*/, v77 /*v333*/, v87 /*v343*/
	s_set_vgpr_msb 0x44                     ;  msbs: dst=1 src0=0 src1=1 src2=0
	v_mul_i32_i24_e32 v87 /*v343*/, v141, v91 /*v347*/
	v_mul_i32_i24_e32 v91 /*v347*/, v141, v93 /*v349*/
	s_set_vgpr_msb 4                        ;  msbs: dst=0 src0=0 src1=1 src2=0
	v_mul_i32_i24_e32 v141, v141, v99 /*v355*/
	s_set_vgpr_msb 0x44                     ;  msbs: dst=1 src0=0 src1=1 src2=0
	v_mul_i32_i24_e32 v93 /*v349*/, v13, v19 /*v275*/
	s_set_vgpr_msb 0x55                     ;  msbs: dst=1 src0=1 src1=1 src2=1
	v_add3_u32 v83 /*v339*/, v127 /*v383*/, v83 /*v339*/, v87 /*v343*/
	s_set_vgpr_msb 0x44                     ;  msbs: dst=1 src0=0 src1=1 src2=0
	v_mul_i32_i24_e32 v87 /*v343*/, v12, v15 /*v271*/
	s_set_vgpr_msb 0x55                     ;  msbs: dst=1 src0=1 src1=1 src2=1
	s_delay_alu instid0(VALU_DEP_1)
	v_add3_u32 v87 /*v343*/, v128 /*v384*/, v87 /*v343*/, v90 /*v346*/
	s_set_vgpr_msb 64                       ;  msbs: dst=1 src0=0 src1=0 src2=0
	v_mul_i32_i24_e32 v90 /*v346*/, v13, v60
	s_set_vgpr_msb 0                        ;  msbs: dst=0 src0=0 src1=0 src2=0
	v_add_nc_u32_e32 v60, v62, v61
	s_set_vgpr_msb 0x55                     ;  msbs: dst=1 src0=1 src1=1 src2=1
	s_delay_alu instid0(VALU_DEP_2)
	v_add3_u32 v79 /*v335*/, v165 /*v421*/, v79 /*v335*/, v90 /*v346*/
	s_set_vgpr_msb 0x44                     ;  msbs: dst=1 src0=0 src1=1 src2=0
	v_mul_i32_i24_e32 v90 /*v346*/, v140, v92 /*v348*/
	v_mul_i32_i24_e32 v92 /*v348*/, v13, v22 /*v278*/
	s_set_vgpr_msb 4                        ;  msbs: dst=0 src0=0 src1=1 src2=0
	v_mul_i32_i24_e32 v140, v140, v100 /*v356*/
	s_set_vgpr_msb 0x55                     ;  msbs: dst=1 src0=1 src1=1 src2=1
	v_add3_u32 v90 /*v346*/, v129 /*v385*/, v90 /*v346*/, v91 /*v347*/
	s_set_vgpr_msb 0x44                     ;  msbs: dst=1 src0=0 src1=1 src2=0
	v_mul_i32_i24_e32 v91 /*v347*/, v12, v23 /*v279*/
	s_set_vgpr_msb 0                        ;  msbs: dst=0 src0=0 src1=0 src2=0
	v_add3_u32 v132, v132, v140, v141
	v_bfe_u32 v140, v8, 8, 2
	v_and_b32_e32 v141, 3, v0
	s_set_vgpr_msb 0x55                     ;  msbs: dst=1 src0=1 src1=1 src2=1
	v_add3_u32 v91 /*v347*/, v130 /*v386*/, v91 /*v347*/, v92 /*v348*/
	s_set_vgpr_msb 0x44                     ;  msbs: dst=1 src0=0 src1=1 src2=0
	v_mul_i32_i24_e32 v92 /*v348*/, v13, v16 /*v272*/
	s_set_vgpr_msb 0                        ;  msbs: dst=0 src0=0 src1=0 src2=0
	v_mul_i32_i24_e32 v13, v13, v104
	s_set_vgpr_msb 0x44                     ;  msbs: dst=1 src0=0 src1=1 src2=0
	v_mul_i32_i24_e32 v127 /*v383*/, v140, v31 /*v287*/
	s_set_vgpr_msb 0x55                     ;  msbs: dst=1 src0=1 src1=1 src2=1
	v_add3_u32 v81 /*v337*/, v167 /*v423*/, v81 /*v337*/, v92 /*v348*/
	s_set_vgpr_msb 0x44                     ;  msbs: dst=1 src0=0 src1=1 src2=0
	v_mul_i32_i24_e32 v92 /*v348*/, v12, v17 /*v273*/
	s_set_vgpr_msb 0                        ;  msbs: dst=0 src0=0 src1=0 src2=0
	v_mul_i32_i24_e32 v12, v12, v111
	s_set_vgpr_msb 0x55                     ;  msbs: dst=1 src0=1 src1=1 src2=1
	s_delay_alu instid0(VALU_DEP_2) | instskip(SKIP_1) | instid1(VALU_DEP_2)
	v_add3_u32 v92 /*v348*/, v168 /*v424*/, v92 /*v348*/, v93 /*v349*/
	s_set_vgpr_msb 0                        ;  msbs: dst=0 src0=0 src1=0 src2=0
	v_add3_u32 v116, v116, v12, v13
	v_mul_i32_i24_e32 v12, v14, v145
	v_mul_i32_i24_e32 v13, v140, v15
	v_bfe_u32 v145, v0, 8, 2
	s_delay_alu instid0(VALU_DEP_2) | instskip(SKIP_2) | instid1(VALU_DEP_3)
	v_add3_u32 v123, v123, v12, v13
	s_set_vgpr_msb 4                        ;  msbs: dst=0 src0=0 src1=1 src2=0
	v_mul_i32_i24_e32 v12, v141, v25 /*v281*/
	v_mul_i32_i24_e32 v13, v145, v24 /*v280*/
	s_set_vgpr_msb 0x44                     ;  msbs: dst=1 src0=0 src1=1 src2=0
	v_mul_i32_i24_e32 v122 /*v378*/, v145, v45 /*v301*/
	v_mul_i32_i24_e32 v128 /*v384*/, v145, v28 /*v284*/
	s_set_vgpr_msb 0                        ;  msbs: dst=0 src0=0 src1=0 src2=0
	v_add3_u32 v126, v126, v12, v13
	v_mul_i32_i24_e32 v12, v14, v191
	v_bfe_u32 v191, v114, 8, 2
	v_mul_i32_i24_e32 v14, v14, v103
	v_bfe_u32 v103, v2, 8, 2
	s_delay_alu instid0(VALU_DEP_3) | instskip(NEXT) | instid1(VALU_DEP_1)
	v_mul_i32_i24_e32 v13, v191, v15
	v_add3_u32 v131, v131, v12, v13
	v_add_nc_u32_e32 v12, 0x2118, v85
	ds_load_2addr_b32 v[12:13], v12 offset1:1
	s_wait_dscnt 0x0
	s_set_vgpr_msb 64                       ;  msbs: dst=1 src0=0 src1=0 src2=0
	v_ashrrev_i32_e32 v93 /*v349*/, s18, v12
	s_set_vgpr_msb 4                        ;  msbs: dst=0 src0=0 src1=1 src2=0
	s_delay_alu instid0(VALU_DEP_1) | instskip(SKIP_3) | instid1(VALU_DEP_2)
	v_and_b32_e32 v12, 3, v93 /*v349*/
	s_set_vgpr_msb 0x41                     ;  msbs: dst=1 src0=1 src1=0 src2=0
	v_bfe_u32 v99 /*v355*/, v93 /*v349*/, 8, 2
	s_set_vgpr_msb 0x44                     ;  msbs: dst=1 src0=0 src1=1 src2=0
	v_mul_i32_i24_e32 v100 /*v356*/, v12, v25 /*v281*/
	s_set_vgpr_msb 0x45                     ;  msbs: dst=1 src0=1 src1=1 src2=0
	s_delay_alu instid0(VALU_DEP_2) | instskip(SKIP_2) | instid1(VALU_DEP_2)
	v_mul_i32_i24_e32 v106 /*v362*/, v99 /*v355*/, v24 /*v280*/
	v_mul_i32_i24_e32 v121 /*v377*/, v99 /*v355*/, v45 /*v301*/
	s_set_vgpr_msb 20                       ;  msbs: dst=0 src0=0 src1=1 src2=1
	v_add3_u32 v134, v134, v100 /*v356*/, v106 /*v362*/
	s_set_vgpr_msb 0x41                     ;  msbs: dst=1 src0=1 src1=0 src2=0
	v_bfe_u32 v100 /*v356*/, v178 /*v434*/, 8, 2
	s_delay_alu instid0(VALU_DEP_1)
	v_mul_i32_i24_e32 v106 /*v362*/, v100 /*v356*/, v15
	s_set_vgpr_msb 0x45                     ;  msbs: dst=1 src0=1 src1=1 src2=0
	v_mul_i32_i24_e32 v123 /*v379*/, v100 /*v356*/, v33 /*v289*/
	s_set_vgpr_msb 16                       ;  msbs: dst=0 src0=0 src1=0 src2=1
	v_mul_i32_i24_e32 v15, v103, v15
	v_add3_u32 v139, v139, v197, v106 /*v362*/
	v_and_b32_e32 v197, 3, v4
	s_set_vgpr_msb 0x44                     ;  msbs: dst=1 src0=0 src1=1 src2=0
	v_bfe_u32 v106 /*v362*/, v4, 8, 2
	s_delay_alu instid0(VALU_DEP_2) | instskip(SKIP_1) | instid1(VALU_DEP_2)
	v_mul_i32_i24_e32 v119 /*v375*/, v197, v25 /*v281*/
	s_set_vgpr_msb 0x45                     ;  msbs: dst=1 src0=1 src1=1 src2=0
	v_mul_i32_i24_e32 v120 /*v376*/, v106 /*v362*/, v24 /*v280*/
	v_mul_i32_i24_e32 v124 /*v380*/, v106 /*v362*/, v45 /*v301*/
	s_set_vgpr_msb 20                       ;  msbs: dst=0 src0=0 src1=1 src2=1
	s_delay_alu instid0(VALU_DEP_2) | instskip(SKIP_4) | instid1(VALU_DEP_1)
	v_add3_u32 v142, v142, v119 /*v375*/, v120 /*v376*/
	s_set_vgpr_msb 0x44                     ;  msbs: dst=1 src0=0 src1=1 src2=0
	v_mul_i32_i24_e32 v119 /*v375*/, v143, v26 /*v282*/
	v_mul_i32_i24_e32 v120 /*v376*/, v140, v27 /*v283*/
	s_set_vgpr_msb 20                       ;  msbs: dst=0 src0=0 src1=1 src2=1
	v_add3_u32 v147, v147, v119 /*v375*/, v120 /*v376*/
	s_set_vgpr_msb 0x44                     ;  msbs: dst=1 src0=0 src1=1 src2=0
	v_mul_i32_i24_e32 v119 /*v375*/, v141, v34 /*v290*/
	v_mul_i32_i24_e32 v120 /*v376*/, v145, v35 /*v291*/
	s_set_vgpr_msb 20                       ;  msbs: dst=0 src0=0 src1=1 src2=1
	s_delay_alu instid0(VALU_DEP_1) | instskip(SKIP_4) | instid1(VALU_DEP_1)
	v_add3_u32 v148, v148, v119 /*v375*/, v120 /*v376*/
	s_set_vgpr_msb 0x44                     ;  msbs: dst=1 src0=0 src1=1 src2=0
	v_mul_i32_i24_e32 v119 /*v375*/, v149, v26 /*v282*/
	v_mul_i32_i24_e32 v120 /*v376*/, v191, v27 /*v283*/
	s_set_vgpr_msb 20                       ;  msbs: dst=0 src0=0 src1=1 src2=1
	v_add3_u32 v192, v192, v119 /*v375*/, v120 /*v376*/
	s_set_vgpr_msb 0x44                     ;  msbs: dst=1 src0=0 src1=1 src2=0
	v_mul_i32_i24_e32 v119 /*v375*/, v12, v34 /*v290*/
	s_set_vgpr_msb 0x45                     ;  msbs: dst=1 src0=1 src1=1 src2=0
	v_mul_i32_i24_e32 v120 /*v376*/, v99 /*v355*/, v35 /*v291*/
	s_set_vgpr_msb 20                       ;  msbs: dst=0 src0=0 src1=1 src2=1
	s_delay_alu instid0(VALU_DEP_1) | instskip(SKIP_4) | instid1(VALU_DEP_1)
	v_add3_u32 v193, v193, v119 /*v375*/, v120 /*v376*/
	s_set_vgpr_msb 0x45                     ;  msbs: dst=1 src0=1 src1=1 src2=0
	v_mul_i32_i24_e32 v119 /*v375*/, v179 /*v435*/, v26 /*v282*/
	v_mul_i32_i24_e32 v120 /*v376*/, v100 /*v356*/, v27 /*v283*/
	s_set_vgpr_msb 20                       ;  msbs: dst=0 src0=0 src1=1 src2=1
	v_add3_u32 v194, v194, v119 /*v375*/, v120 /*v376*/
	s_set_vgpr_msb 0x44                     ;  msbs: dst=1 src0=0 src1=1 src2=0
	v_mul_i32_i24_e32 v119 /*v375*/, v197, v34 /*v290*/
	s_set_vgpr_msb 0x45                     ;  msbs: dst=1 src0=1 src1=1 src2=0
	v_mul_i32_i24_e32 v120 /*v376*/, v106 /*v362*/, v35 /*v291*/
	s_set_vgpr_msb 20                       ;  msbs: dst=0 src0=0 src1=1 src2=1
	s_delay_alu instid0(VALU_DEP_1) | instskip(SKIP_4) | instid1(VALU_DEP_1)
	v_add3_u32 v196, v196, v119 /*v375*/, v120 /*v376*/
	s_set_vgpr_msb 0x44                     ;  msbs: dst=1 src0=0 src1=1 src2=0
	v_mul_i32_i24_e32 v119 /*v375*/, v143, v41 /*v297*/
	v_mul_i32_i24_e32 v120 /*v376*/, v140, v42 /*v298*/
	s_set_vgpr_msb 20                       ;  msbs: dst=0 src0=0 src1=1 src2=1
	v_add3_u32 v198, v198, v119 /*v375*/, v120 /*v376*/
	s_set_vgpr_msb 0x44                     ;  msbs: dst=1 src0=0 src1=1 src2=0
	v_mul_i32_i24_e32 v119 /*v375*/, v149, v41 /*v297*/
	v_mul_i32_i24_e32 v120 /*v376*/, v191, v42 /*v298*/
	s_set_vgpr_msb 20                       ;  msbs: dst=0 src0=0 src1=1 src2=1
	s_delay_alu instid0(VALU_DEP_1) | instskip(SKIP_4) | instid1(VALU_DEP_1)
	v_add3_u32 v199, v199, v119 /*v375*/, v120 /*v376*/
	s_set_vgpr_msb 0x45                     ;  msbs: dst=1 src0=1 src1=1 src2=0
	v_mul_i32_i24_e32 v119 /*v375*/, v179 /*v435*/, v41 /*v297*/
	v_mul_i32_i24_e32 v120 /*v376*/, v100 /*v356*/, v42 /*v298*/
	s_set_vgpr_msb 20                       ;  msbs: dst=0 src0=0 src1=1 src2=1
	v_add3_u32 v200, v200, v119 /*v375*/, v120 /*v376*/
	s_set_vgpr_msb 0x44                     ;  msbs: dst=1 src0=0 src1=1 src2=0
	v_mul_i32_i24_e32 v119 /*v375*/, v143, v50 /*v306*/
	v_mul_i32_i24_e32 v120 /*v376*/, v140, v51 /*v307*/
	s_set_vgpr_msb 20                       ;  msbs: dst=0 src0=0 src1=1 src2=1
	s_delay_alu instid0(VALU_DEP_1) | instskip(SKIP_4) | instid1(VALU_DEP_1)
	v_add3_u32 v201, v201, v119 /*v375*/, v120 /*v376*/
	s_set_vgpr_msb 0x44                     ;  msbs: dst=1 src0=0 src1=1 src2=0
	v_mul_i32_i24_e32 v119 /*v375*/, v149, v50 /*v306*/
	v_mul_i32_i24_e32 v120 /*v376*/, v191, v51 /*v307*/
	s_set_vgpr_msb 20                       ;  msbs: dst=0 src0=0 src1=1 src2=1
	v_add3_u32 v202, v202, v119 /*v375*/, v120 /*v376*/
	s_set_vgpr_msb 0x45                     ;  msbs: dst=1 src0=1 src1=1 src2=0
	v_mul_i32_i24_e32 v119 /*v375*/, v179 /*v435*/, v50 /*v306*/
	v_mul_i32_i24_e32 v120 /*v376*/, v100 /*v356*/, v51 /*v307*/
	s_set_vgpr_msb 20                       ;  msbs: dst=0 src0=0 src1=1 src2=1
	s_delay_alu instid0(VALU_DEP_1) | instskip(SKIP_4) | instid1(VALU_DEP_1)
	v_add3_u32 v203, v203, v119 /*v375*/, v120 /*v376*/
	s_set_vgpr_msb 0x44                     ;  msbs: dst=1 src0=0 src1=1 src2=0
	v_mul_i32_i24_e32 v119 /*v375*/, v141, v48 /*v304*/
	v_mul_i32_i24_e32 v120 /*v376*/, v145, v49 /*v305*/
	s_set_vgpr_msb 20                       ;  msbs: dst=0 src0=0 src1=1 src2=1
	v_add3_u32 v204, v204, v119 /*v375*/, v120 /*v376*/
	s_set_vgpr_msb 0x44                     ;  msbs: dst=1 src0=0 src1=1 src2=0
	v_mul_i32_i24_e32 v119 /*v375*/, v12, v48 /*v304*/
	s_set_vgpr_msb 0x45                     ;  msbs: dst=1 src0=1 src1=1 src2=0
	v_mul_i32_i24_e32 v120 /*v376*/, v99 /*v355*/, v49 /*v305*/
	s_set_vgpr_msb 20                       ;  msbs: dst=0 src0=0 src1=1 src2=1
	s_delay_alu instid0(VALU_DEP_1)
	v_add3_u32 v205, v205, v119 /*v375*/, v120 /*v376*/
	s_set_vgpr_msb 0x44                     ;  msbs: dst=1 src0=0 src1=1 src2=0
	v_mul_i32_i24_e32 v119 /*v375*/, v197, v48 /*v304*/
	s_set_vgpr_msb 0x45                     ;  msbs: dst=1 src0=1 src1=1 src2=0
	v_mul_i32_i24_e32 v120 /*v376*/, v106 /*v362*/, v49 /*v305*/
	s_set_vgpr_msb 20                       ;  msbs: dst=0 src0=0 src1=1 src2=1
	s_delay_alu instid0(VALU_DEP_1) | instskip(SKIP_4) | instid1(VALU_DEP_1)
	v_add3_u32 v206, v206, v119 /*v375*/, v120 /*v376*/
	s_set_vgpr_msb 0x44                     ;  msbs: dst=1 src0=0 src1=1 src2=0
	v_mul_i32_i24_e32 v119 /*v375*/, v143, v52 /*v308*/
	v_mul_i32_i24_e32 v120 /*v376*/, v140, v53 /*v309*/
	s_set_vgpr_msb 20                       ;  msbs: dst=0 src0=0 src1=1 src2=1
	v_add3_u32 v207, v207, v119 /*v375*/, v120 /*v376*/
	s_set_vgpr_msb 0x44                     ;  msbs: dst=1 src0=0 src1=1 src2=0
	v_mul_i32_i24_e32 v119 /*v375*/, v141, v54 /*v310*/
	v_mul_i32_i24_e32 v120 /*v376*/, v145, v55 /*v311*/
	s_set_vgpr_msb 20                       ;  msbs: dst=0 src0=0 src1=1 src2=1
	s_delay_alu instid0(VALU_DEP_1) | instskip(SKIP_4) | instid1(VALU_DEP_1)
	v_add3_u32 v208, v208, v119 /*v375*/, v120 /*v376*/
	s_set_vgpr_msb 0x44                     ;  msbs: dst=1 src0=0 src1=1 src2=0
	v_mul_i32_i24_e32 v119 /*v375*/, v149, v52 /*v308*/
	v_mul_i32_i24_e32 v120 /*v376*/, v191, v53 /*v309*/
	s_set_vgpr_msb 20                       ;  msbs: dst=0 src0=0 src1=1 src2=1
	v_add3_u32 v209, v209, v119 /*v375*/, v120 /*v376*/
	s_set_vgpr_msb 0x44                     ;  msbs: dst=1 src0=0 src1=1 src2=0
	v_mul_i32_i24_e32 v119 /*v375*/, v12, v54 /*v310*/
	s_set_vgpr_msb 0x45                     ;  msbs: dst=1 src0=1 src1=1 src2=0
	v_mul_i32_i24_e32 v120 /*v376*/, v99 /*v355*/, v55 /*v311*/
	s_set_vgpr_msb 20                       ;  msbs: dst=0 src0=0 src1=1 src2=1
	s_delay_alu instid0(VALU_DEP_1) | instskip(SKIP_4) | instid1(VALU_DEP_1)
	v_add3_u32 v210, v210, v119 /*v375*/, v120 /*v376*/
	s_set_vgpr_msb 0x45                     ;  msbs: dst=1 src0=1 src1=1 src2=0
	v_mul_i32_i24_e32 v119 /*v375*/, v179 /*v435*/, v52 /*v308*/
	v_mul_i32_i24_e32 v120 /*v376*/, v100 /*v356*/, v53 /*v309*/
	s_set_vgpr_msb 20                       ;  msbs: dst=0 src0=0 src1=1 src2=1
	v_add3_u32 v228, v228, v119 /*v375*/, v120 /*v376*/
	s_set_vgpr_msb 0x44                     ;  msbs: dst=1 src0=0 src1=1 src2=0
	v_mul_i32_i24_e32 v119 /*v375*/, v197, v54 /*v310*/
	s_set_vgpr_msb 0x45                     ;  msbs: dst=1 src0=1 src1=1 src2=0
	v_mul_i32_i24_e32 v120 /*v376*/, v106 /*v362*/, v55 /*v311*/
	s_set_vgpr_msb 20                       ;  msbs: dst=0 src0=0 src1=1 src2=1
	s_delay_alu instid0(VALU_DEP_1)
	v_add3_u32 v229, v229, v119 /*v375*/, v120 /*v376*/
	s_set_vgpr_msb 0x44                     ;  msbs: dst=1 src0=0 src1=1 src2=0
	v_mul_i32_i24_e32 v119 /*v375*/, v143, v32 /*v288*/
	v_mul_i32_i24_e32 v120 /*v376*/, v140, v33 /*v289*/
	s_set_vgpr_msb 0                        ;  msbs: dst=0 src0=0 src1=0 src2=0
	v_mul_i32_i24_e32 v140, v140, v146
	s_set_vgpr_msb 20                       ;  msbs: dst=0 src0=0 src1=1 src2=1
	s_delay_alu instid0(VALU_DEP_2)
	v_add3_u32 v230, v230, v119 /*v375*/, v120 /*v376*/
	s_set_vgpr_msb 0x44                     ;  msbs: dst=1 src0=0 src1=1 src2=0
	v_mul_i32_i24_e32 v119 /*v375*/, v149, v32 /*v288*/
	v_mul_i32_i24_e32 v120 /*v376*/, v191, v33 /*v289*/
	;; [unrolled: 1-line block ×3, first 2 shown]
	s_set_vgpr_msb 20                       ;  msbs: dst=0 src0=0 src1=1 src2=1
	s_delay_alu instid0(VALU_DEP_2) | instskip(SKIP_4) | instid1(VALU_DEP_1)
	v_add3_u32 v231, v231, v119 /*v375*/, v120 /*v376*/
	s_set_vgpr_msb 0x44                     ;  msbs: dst=1 src0=0 src1=1 src2=0
	v_mul_i32_i24_e32 v119 /*v375*/, v141, v38 /*v294*/
	v_mul_i32_i24_e32 v120 /*v376*/, v145, v39 /*v295*/
	s_set_vgpr_msb 20                       ;  msbs: dst=0 src0=0 src1=1 src2=1
	v_add3_u32 v232, v232, v119 /*v375*/, v120 /*v376*/
	s_set_vgpr_msb 0x44                     ;  msbs: dst=1 src0=0 src1=1 src2=0
	v_mul_i32_i24_e32 v119 /*v375*/, v12, v38 /*v294*/
	s_set_vgpr_msb 0x45                     ;  msbs: dst=1 src0=1 src1=1 src2=0
	v_mul_i32_i24_e32 v120 /*v376*/, v99 /*v355*/, v39 /*v295*/
	s_set_vgpr_msb 20                       ;  msbs: dst=0 src0=0 src1=1 src2=1
	s_delay_alu instid0(VALU_DEP_1) | instskip(SKIP_4) | instid1(VALU_DEP_1)
	v_add3_u32 v233, v233, v119 /*v375*/, v120 /*v376*/
	s_set_vgpr_msb 0x44                     ;  msbs: dst=1 src0=0 src1=1 src2=0
	v_mul_i32_i24_e32 v119 /*v375*/, v197, v38 /*v294*/
	s_set_vgpr_msb 0x55                     ;  msbs: dst=1 src0=1 src1=1 src2=1
	v_mul_i32_i24_e32 v120 /*v376*/, v106 /*v362*/, v39 /*v295*/
	v_add3_u32 v119 /*v375*/, v138 /*v394*/, v119 /*v375*/, v120 /*v376*/
	s_set_vgpr_msb 0x44                     ;  msbs: dst=1 src0=0 src1=1 src2=0
	v_mul_i32_i24_e32 v120 /*v376*/, v12, v44 /*v300*/
	s_set_vgpr_msb 0x55                     ;  msbs: dst=1 src0=1 src1=1 src2=1
	s_delay_alu instid0(VALU_DEP_1) | instskip(SKIP_3) | instid1(VALU_DEP_1)
	v_add3_u32 v120 /*v376*/, v139 /*v395*/, v120 /*v376*/, v121 /*v377*/
	s_set_vgpr_msb 0x44                     ;  msbs: dst=1 src0=0 src1=1 src2=0
	v_mul_i32_i24_e32 v121 /*v377*/, v141, v44 /*v300*/
	s_set_vgpr_msb 0x55                     ;  msbs: dst=1 src0=1 src1=1 src2=1
	v_add3_u32 v121 /*v377*/, v140 /*v396*/, v121 /*v377*/, v122 /*v378*/
	v_mul_i32_i24_e32 v122 /*v378*/, v179 /*v435*/, v32 /*v288*/
	s_set_vgpr_msb 0x44                     ;  msbs: dst=1 src0=0 src1=1 src2=0
	v_mul_i32_i24_e32 v32 /*v288*/, v6, v32 /*v288*/
	s_set_vgpr_msb 0x55                     ;  msbs: dst=1 src0=1 src1=1 src2=1
	s_delay_alu instid0(VALU_DEP_2) | instskip(SKIP_4) | instid1(VALU_DEP_2)
	v_add3_u32 v122 /*v378*/, v141 /*v397*/, v122 /*v378*/, v123 /*v379*/
	s_set_vgpr_msb 0x44                     ;  msbs: dst=1 src0=0 src1=1 src2=0
	v_mul_i32_i24_e32 v123 /*v379*/, v197, v44 /*v300*/
	s_set_vgpr_msb 0x55                     ;  msbs: dst=1 src0=1 src1=1 src2=1
	v_add3_u32 v32 /*v288*/, v80 /*v336*/, v32 /*v288*/, v33 /*v289*/
	v_add3_u32 v123 /*v379*/, v142 /*v398*/, v123 /*v379*/, v124 /*v380*/
	s_set_vgpr_msb 0x44                     ;  msbs: dst=1 src0=0 src1=1 src2=0
	v_mul_i32_i24_e32 v124 /*v380*/, v143, v30 /*v286*/
	s_set_vgpr_msb 4                        ;  msbs: dst=0 src0=0 src1=1 src2=0
	v_mul_i32_i24_e32 v143, v143, v58 /*v314*/
	s_set_vgpr_msb 0x55                     ;  msbs: dst=1 src0=1 src1=1 src2=1
	s_delay_alu instid0(VALU_DEP_2) | instskip(SKIP_1) | instid1(VALU_DEP_2)
	v_add3_u32 v124 /*v380*/, v143 /*v399*/, v124 /*v380*/, v127 /*v383*/
	s_set_vgpr_msb 0                        ;  msbs: dst=0 src0=0 src1=0 src2=0
	v_add3_u32 v105, v105, v143, v140
	s_set_vgpr_msb 4                        ;  msbs: dst=0 src0=0 src1=1 src2=0
	v_mul_i32_i24_e32 v140, v149, v58 /*v314*/
	s_set_vgpr_msb 0                        ;  msbs: dst=0 src0=0 src1=0 src2=0
	v_mul_i32_i24_e32 v143, v191, v146
	s_set_vgpr_msb 0x44                     ;  msbs: dst=1 src0=0 src1=1 src2=0
	v_mul_i32_i24_e32 v127 /*v383*/, v141, v29 /*v285*/
	s_set_vgpr_msb 0                        ;  msbs: dst=0 src0=0 src1=0 src2=0
	s_delay_alu instid0(VALU_DEP_2)
	v_add3_u32 v113, v113, v140, v143
	s_set_vgpr_msb 5                        ;  msbs: dst=0 src0=1 src1=1 src2=0
	v_mul_i32_i24_e32 v140, v179 /*v435*/, v58 /*v314*/
	s_set_vgpr_msb 1                        ;  msbs: dst=0 src0=1 src1=0 src2=0
	v_mul_i32_i24_e32 v143, v100 /*v356*/, v146
	s_set_vgpr_msb 0x55                     ;  msbs: dst=1 src0=1 src1=1 src2=1
	v_add3_u32 v127 /*v383*/, v144 /*v400*/, v127 /*v383*/, v128 /*v384*/
	s_set_vgpr_msb 0                        ;  msbs: dst=0 src0=0 src1=0 src2=0
	s_delay_alu instid0(VALU_DEP_2) | instskip(SKIP_4) | instid1(VALU_DEP_1)
	v_add3_u32 v121, v121, v140, v143
	s_set_vgpr_msb 4                        ;  msbs: dst=0 src0=0 src1=1 src2=0
	v_mul_i32_i24_e32 v140, v149, v30 /*v286*/
	v_mul_i32_i24_e32 v143, v191, v31 /*v287*/
	s_set_vgpr_msb 0                        ;  msbs: dst=0 src0=0 src1=0 src2=0
	v_add3_u32 v122, v122, v140, v143
	s_set_vgpr_msb 4                        ;  msbs: dst=0 src0=0 src1=1 src2=0
	v_mul_i32_i24_e32 v140, v12, v29 /*v285*/
	s_set_vgpr_msb 5                        ;  msbs: dst=0 src0=1 src1=1 src2=0
	v_mul_i32_i24_e32 v143, v99 /*v355*/, v28 /*v284*/
	s_set_vgpr_msb 0                        ;  msbs: dst=0 src0=0 src1=0 src2=0
	v_mul_i32_i24_e32 v12, v12, v84
	s_delay_alu instid0(VALU_DEP_2)
	v_add3_u32 v127, v127, v140, v143
	s_set_vgpr_msb 5                        ;  msbs: dst=0 src0=1 src1=1 src2=0
	v_mul_i32_i24_e32 v140, v179 /*v435*/, v30 /*v286*/
	v_mul_i32_i24_e32 v143, v100 /*v356*/, v31 /*v287*/
	s_set_vgpr_msb 0x44                     ;  msbs: dst=1 src0=0 src1=1 src2=0
	v_mul_i32_i24_e32 v30 /*v286*/, v6, v30 /*v286*/
	v_mul_i32_i24_e32 v31 /*v287*/, v103, v31 /*v287*/
	s_set_vgpr_msb 0                        ;  msbs: dst=0 src0=0 src1=0 src2=0
	v_add3_u32 v128, v128, v140, v143
	s_set_vgpr_msb 4                        ;  msbs: dst=0 src0=0 src1=1 src2=0
	v_mul_i32_i24_e32 v140, v197, v29 /*v285*/
	s_set_vgpr_msb 5                        ;  msbs: dst=0 src0=1 src1=1 src2=0
	v_mul_i32_i24_e32 v143, v106 /*v362*/, v28 /*v284*/
	s_set_vgpr_msb 0x55                     ;  msbs: dst=1 src0=1 src1=1 src2=1
	v_add3_u32 v30 /*v286*/, v78 /*v334*/, v30 /*v286*/, v31 /*v287*/
	s_set_vgpr_msb 0x44                     ;  msbs: dst=1 src0=0 src1=1 src2=0
	v_mul_i32_i24_e32 v31 /*v287*/, v103, v53 /*v309*/
	s_set_vgpr_msb 0                        ;  msbs: dst=0 src0=0 src1=0 src2=0
	v_add3_u32 v129, v129, v140, v143
	v_mul_i32_i24_e32 v140, v141, v84
	v_mul_i32_i24_e32 v141, v145, v112
	s_delay_alu instid0(VALU_DEP_1)
	v_add3_u32 v124, v124, v140, v141
	s_set_vgpr_msb 1                        ;  msbs: dst=0 src0=1 src1=0 src2=0
	v_mul_i32_i24_e32 v140, v99 /*v355*/, v112
	s_set_vgpr_msb 5                        ;  msbs: dst=0 src0=1 src1=1 src2=0
	v_add_nc_u32_e32 v141, v67 /*v323*/, v65 /*v321*/
	s_set_vgpr_msb 0x45                     ;  msbs: dst=1 src0=1 src1=1 src2=0
	v_add_nc_u32_e32 v65 /*v321*/, v71 /*v327*/, v69 /*v325*/
	s_set_vgpr_msb 0                        ;  msbs: dst=0 src0=0 src1=0 src2=0
	v_add3_u32 v115, v115, v12, v140
	v_mul_i32_i24_e32 v12, v197, v84
	s_set_vgpr_msb 1                        ;  msbs: dst=0 src0=1 src1=0 src2=0
	v_mul_i32_i24_e32 v140, v106 /*v362*/, v112
	s_set_vgpr_msb 4                        ;  msbs: dst=0 src0=0 src1=1 src2=0
	v_add3_u32 v141, v141, v39 /*v295*/, v187
	s_set_vgpr_msb 5                        ;  msbs: dst=0 src0=1 src1=1 src2=0
	v_add_nc_u32_e32 v197, v70 /*v326*/, v68 /*v324*/
	s_set_vgpr_msb 0x45                     ;  msbs: dst=1 src0=1 src1=1 src2=0
	v_add3_u32 v65 /*v321*/, v65 /*v321*/, v45 /*v301*/, v186
	s_set_vgpr_msb 0                        ;  msbs: dst=0 src0=0 src1=0 src2=0
	v_add3_u32 v118, v118, v12, v140
	v_lshrrev_b16 v12, 8, v165
	s_set_vgpr_msb 1                        ;  msbs: dst=0 src0=1 src1=0 src2=0
	v_add_nc_u32_e32 v140, v66 /*v322*/, v167
	s_delay_alu instid0(VALU_DEP_2) | instskip(SKIP_1) | instid1(VALU_DEP_2)
	v_and_b32_e32 v143, 0xffff, v12
	s_set_vgpr_msb 4                        ;  msbs: dst=0 src0=0 src1=1 src2=0
	v_add3_u32 v140, v140, v38 /*v294*/, v185
	s_set_vgpr_msb 0                        ;  msbs: dst=0 src0=0 src1=0 src2=0
	s_delay_alu instid0(VALU_DEP_2) | instskip(NEXT) | instid1(VALU_DEP_1)
	v_lshrrev_b32_e32 v143, 4, v143
	v_mul_lo_u32 v143, 0x1010101, v143
	s_delay_alu instid0(VALU_DEP_1) | instskip(SKIP_1) | instid1(VALU_DEP_2)
	v_bfe_i32 v145, v143, 0, 8
	v_bfe_i32 v149, v143, 8, 8
	v_mul_i32_i24_e32 v167, v140, v145
	s_delay_alu instid0(VALU_DEP_2) | instskip(SKIP_1) | instid1(VALU_DEP_1)
	v_mul_i32_i24_e32 v191, v141, v149
	s_set_vgpr_msb 1                        ;  msbs: dst=0 src0=1 src1=0 src2=0
	v_add3_u32 v191, v107 /*v363*/, v167, v191
	v_lshrrev_b16 v167, 8, v10
	v_and_b32_e32 v10, 15, v10
	s_set_vgpr_msb 64                       ;  msbs: dst=1 src0=0 src1=0 src2=0
	s_delay_alu instid0(VALU_DEP_2) | instskip(SKIP_1) | instid1(VALU_DEP_2)
	v_and_b32_e32 v66 /*v322*/, 0xffff, v167
	s_set_vgpr_msb 0                        ;  msbs: dst=0 src0=0 src1=0 src2=0
	v_and_b32_e32 v10, 0xffff, v10
	s_set_vgpr_msb 0x44                     ;  msbs: dst=1 src0=0 src1=1 src2=0
	s_delay_alu instid0(VALU_DEP_2) | instskip(NEXT) | instid1(VALU_DEP_1)
	v_lshrrev_b32_e32 v66 /*v322*/, 4, v66 /*v322*/
	v_mul_lo_u32 v66 /*v322*/, 0x1010101, v66 /*v322*/
	s_set_vgpr_msb 0x41                     ;  msbs: dst=1 src0=1 src1=0 src2=0
	s_delay_alu instid0(VALU_DEP_1) | instskip(SKIP_2) | instid1(VALU_DEP_2)
	v_bfe_i32 v67 /*v323*/, v66 /*v322*/, 0, 8
	v_bfe_i32 v68 /*v324*/, v66 /*v322*/, 8, 8
	s_set_vgpr_msb 5                        ;  msbs: dst=0 src0=1 src1=1 src2=0
	v_mul_i32_i24_e32 v168, v46 /*v302*/, v67 /*v323*/
	s_delay_alu instid0(VALU_DEP_2)
	v_mul_i32_i24_e32 v173, v47 /*v303*/, v68 /*v324*/
	s_set_vgpr_msb 0x45                     ;  msbs: dst=1 src0=1 src1=1 src2=0
	v_mul_i32_i24_e32 v70 /*v326*/, v65 /*v321*/, v68 /*v324*/
	s_set_vgpr_msb 0x44                     ;  msbs: dst=1 src0=0 src1=1 src2=0
	v_mul_i32_i24_e32 v100 /*v356*/, v141, v68 /*v324*/
	s_set_vgpr_msb 0                        ;  msbs: dst=0 src0=0 src1=0 src2=0
	v_add3_u32 v190, v190, v168, v173
	s_set_vgpr_msb 5                        ;  msbs: dst=0 src0=1 src1=1 src2=0
	v_dual_add_nc_u32 v168, v59 /*v315*/, v56 /*v312*/ :: v_dual_add_nc_u32 v173, v60 /*v316*/, v57 /*v313*/
	s_set_vgpr_msb 4                        ;  msbs: dst=0 src0=0 src1=1 src2=0
	v_add3_u32 v197, v197, v44 /*v300*/, v188
	s_set_vgpr_msb 0x44                     ;  msbs: dst=1 src0=0 src1=1 src2=0
	s_delay_alu instid0(VALU_DEP_2) | instskip(SKIP_1) | instid1(VALU_DEP_3)
	v_add3_u32 v56 /*v312*/, v168, v34 /*v290*/, v181
	v_add3_u32 v57 /*v313*/, v173, v35 /*v291*/, v182
	v_mul_i32_i24_e32 v69 /*v325*/, v197, v67 /*v323*/
	s_set_vgpr_msb 5                        ;  msbs: dst=0 src0=1 src1=1 src2=0
	s_delay_alu instid0(VALU_DEP_3) | instskip(NEXT) | instid1(VALU_DEP_3)
	v_mul_i32_i24_e32 v168, v56 /*v312*/, v67 /*v323*/
	v_mul_i32_i24_e32 v173, v57 /*v313*/, v68 /*v324*/
	s_set_vgpr_msb 0x55                     ;  msbs: dst=1 src0=1 src1=1 src2=1
	v_add3_u32 v69 /*v325*/, v102 /*v358*/, v69 /*v325*/, v70 /*v326*/
	s_set_vgpr_msb 0                        ;  msbs: dst=0 src0=0 src1=0 src2=0
	s_delay_alu instid0(VALU_DEP_2) | instskip(SKIP_4) | instid1(VALU_DEP_1)
	v_add3_u32 v136, v136, v168, v173
	s_set_vgpr_msb 1                        ;  msbs: dst=0 src0=1 src1=0 src2=0
	v_mul_i32_i24_e32 v168, v46 /*v302*/, v145
	v_mul_i32_i24_e32 v173, v47 /*v303*/, v149
	s_set_vgpr_msb 0x41                     ;  msbs: dst=1 src0=1 src1=0 src2=0
	v_add3_u32 v59 /*v315*/, v95 /*v351*/, v168, v173
	s_set_vgpr_msb 1                        ;  msbs: dst=0 src0=1 src1=0 src2=0
	v_mul_i32_i24_e32 v168, v56 /*v312*/, v145
	v_mul_i32_i24_e32 v173, v57 /*v313*/, v149
	s_set_vgpr_msb 0x41                     ;  msbs: dst=1 src0=1 src1=0 src2=0
	s_delay_alu instid0(VALU_DEP_1) | instskip(SKIP_2) | instid1(VALU_DEP_1)
	v_add3_u32 v60 /*v316*/, v94 /*v350*/, v168, v173
	s_set_vgpr_msb 0                        ;  msbs: dst=0 src0=0 src1=0 src2=0
	v_lshrrev_b16 v168, 8, v164
	v_and_b32_e32 v173, 0xffff, v168
	s_delay_alu instid0(VALU_DEP_1) | instskip(SKIP_1) | instid1(VALU_DEP_1)
	v_lshrrev_b32_e32 v173, 4, v173
	s_set_vgpr_msb 0x41                     ;  msbs: dst=1 src0=1 src1=0 src2=0
	v_mul_lo_u32 v70 /*v326*/, 0x1010101, v173
	s_delay_alu instid0(VALU_DEP_1) | instskip(SKIP_2) | instid1(VALU_DEP_2)
	v_bfe_i32 v71 /*v327*/, v70 /*v326*/, 0, 8
	v_bfe_i32 v94 /*v350*/, v70 /*v326*/, 8, 8
	s_set_vgpr_msb 4                        ;  msbs: dst=0 src0=0 src1=1 src2=0
	v_mul_i32_i24_e32 v173, v140, v71 /*v327*/
	s_set_vgpr_msb 0x44                     ;  msbs: dst=1 src0=0 src1=1 src2=0
	s_delay_alu instid0(VALU_DEP_2)
	v_mul_i32_i24_e32 v95 /*v351*/, v141, v94 /*v350*/
	s_set_vgpr_msb 0x45                     ;  msbs: dst=1 src0=1 src1=1 src2=0
	v_mul_i32_i24_e32 v99 /*v355*/, v57 /*v313*/, v94 /*v350*/
	v_mul_i32_i24_e32 v102 /*v358*/, v65 /*v321*/, v94 /*v350*/
	s_set_vgpr_msb 4                        ;  msbs: dst=0 src0=0 src1=1 src2=0
	v_mul_i32_i24_e32 v120, v101, v71 /*v327*/
	s_set_vgpr_msb 0x51                     ;  msbs: dst=1 src0=1 src1=0 src2=1
	v_add3_u32 v95 /*v351*/, v110 /*v366*/, v173, v95 /*v351*/
	s_set_vgpr_msb 5                        ;  msbs: dst=0 src0=1 src1=1 src2=0
	v_mul_i32_i24_e32 v173, v56 /*v312*/, v71 /*v327*/
	s_set_vgpr_msb 0x51                     ;  msbs: dst=1 src0=1 src1=0 src2=1
	s_delay_alu instid0(VALU_DEP_1) | instskip(SKIP_3) | instid1(VALU_DEP_1)
	v_add3_u32 v99 /*v355*/, v109 /*v365*/, v173, v99 /*v355*/
	s_set_vgpr_msb 5                        ;  msbs: dst=0 src0=1 src1=1 src2=0
	v_add_nc_u32_e32 v173, v64 /*v320*/, v63 /*v319*/
	s_set_vgpr_msb 0x44                     ;  msbs: dst=1 src0=0 src1=1 src2=0
	v_add3_u32 v63 /*v319*/, v173, v48 /*v304*/, v189
	s_set_vgpr_msb 5                        ;  msbs: dst=0 src0=1 src1=1 src2=0
	v_mul_i32_i24_e32 v173, v111 /*v367*/, v108 /*v364*/
	s_set_vgpr_msb 0x45                     ;  msbs: dst=1 src0=1 src1=1 src2=0
	s_delay_alu instid0(VALU_DEP_2) | instskip(SKIP_1) | instid1(VALU_DEP_1)
	v_mul_i32_i24_e32 v64 /*v320*/, v63 /*v319*/, v71 /*v327*/
	s_set_vgpr_msb 0x51                     ;  msbs: dst=1 src0=1 src1=0 src2=1
	v_add3_u32 v64 /*v320*/, v177 /*v433*/, v173, v64 /*v320*/
	s_set_vgpr_msb 4                        ;  msbs: dst=0 src0=0 src1=1 src2=0
	v_mul_i32_i24_e32 v173, v140, v67 /*v323*/
	s_set_vgpr_msb 0x51                     ;  msbs: dst=1 src0=1 src1=0 src2=1
	s_delay_alu instid0(VALU_DEP_1) | instskip(SKIP_3) | instid1(VALU_DEP_1)
	v_add3_u32 v100 /*v356*/, v113 /*v369*/, v173, v100 /*v356*/
	s_set_vgpr_msb 5                        ;  msbs: dst=0 src0=1 src1=1 src2=0
	v_add_nc_u32_e32 v173, v62 /*v318*/, v61 /*v317*/
	s_set_vgpr_msb 0x44                     ;  msbs: dst=1 src0=0 src1=1 src2=0
	v_add3_u32 v61 /*v317*/, v173, v49 /*v305*/, v234
	s_set_vgpr_msb 5                        ;  msbs: dst=0 src0=1 src1=1 src2=0
	v_mul_i32_i24_e32 v173, v63 /*v319*/, v67 /*v323*/
	s_set_vgpr_msb 0x45                     ;  msbs: dst=1 src0=1 src1=1 src2=0
	s_delay_alu instid0(VALU_DEP_2) | instskip(SKIP_1) | instid1(VALU_DEP_1)
	v_mul_i32_i24_e32 v62 /*v318*/, v61 /*v317*/, v68 /*v324*/
	s_set_vgpr_msb 0x51                     ;  msbs: dst=1 src0=1 src1=0 src2=1
	v_add3_u32 v62 /*v318*/, v112 /*v368*/, v173, v62 /*v318*/
	s_set_vgpr_msb 1                        ;  msbs: dst=0 src0=1 src1=0 src2=0
	v_mul_i32_i24_e32 v173, v111 /*v367*/, v195
	v_mul_i32_i24_e32 v195, v63 /*v319*/, v145
	s_delay_alu instid0(VALU_DEP_1)
	v_add3_u32 v195, v153 /*v409*/, v173, v195
	s_set_vgpr_msb 5                        ;  msbs: dst=0 src0=1 src1=1 src2=0
	v_add_nc_u32_e32 v173, v75 /*v331*/, v73 /*v329*/
	s_set_vgpr_msb 0x41                     ;  msbs: dst=1 src0=1 src1=0 src2=0
	v_mul_i32_i24_e32 v75 /*v331*/, v65 /*v321*/, v149
	s_set_vgpr_msb 0x44                     ;  msbs: dst=1 src0=0 src1=1 src2=0
	s_delay_alu instid0(VALU_DEP_2) | instskip(SKIP_1) | instid1(VALU_DEP_1)
	v_add3_u32 v73 /*v329*/, v173, v54 /*v310*/, v239
	s_set_vgpr_msb 5                        ;  msbs: dst=0 src0=1 src1=1 src2=0
	v_mul_i32_i24_e32 v173, v73 /*v329*/, v67 /*v323*/
	s_set_vgpr_msb 1                        ;  msbs: dst=0 src0=1 src1=0 src2=0
	s_delay_alu instid0(VALU_DEP_1) | instskip(SKIP_3) | instid1(VALU_DEP_1)
	v_add3_u32 v135, v184 /*v440*/, v135, v173
	s_set_vgpr_msb 5                        ;  msbs: dst=0 src0=1 src1=1 src2=0
	v_add_nc_u32_e32 v173, v74 /*v330*/, v72 /*v328*/
	s_set_vgpr_msb 0x44                     ;  msbs: dst=1 src0=0 src1=1 src2=0
	v_add3_u32 v72 /*v328*/, v173, v55 /*v311*/, v240
	s_set_vgpr_msb 1                        ;  msbs: dst=0 src0=1 src1=0 src2=0
	v_mul_i32_i24_e32 v173, v73 /*v329*/, v145
	s_set_vgpr_msb 0x41                     ;  msbs: dst=1 src0=1 src1=0 src2=0
	s_delay_alu instid0(VALU_DEP_2) | instskip(SKIP_3) | instid1(VALU_DEP_2)
	v_mul_i32_i24_e32 v74 /*v330*/, v72 /*v328*/, v149
	s_set_vgpr_msb 0x45                     ;  msbs: dst=1 src0=1 src1=1 src2=0
	v_mul_i32_i24_e32 v106 /*v362*/, v72 /*v328*/, v94 /*v350*/
	s_set_vgpr_msb 0x51                     ;  msbs: dst=1 src0=1 src1=0 src2=1
	v_add3_u32 v74 /*v330*/, v116 /*v372*/, v173, v74 /*v330*/
	s_set_vgpr_msb 0                        ;  msbs: dst=0 src0=0 src1=0 src2=0
	v_mul_i32_i24_e32 v173, v197, v145
	s_set_vgpr_msb 0x51                     ;  msbs: dst=1 src0=1 src1=0 src2=1
	s_delay_alu instid0(VALU_DEP_1) | instskip(SKIP_3) | instid1(VALU_DEP_1)
	v_add3_u32 v75 /*v331*/, v114 /*v370*/, v173, v75 /*v331*/
	s_set_vgpr_msb 4                        ;  msbs: dst=0 src0=0 src1=1 src2=0
	v_mul_i32_i24_e32 v173, v197, v71 /*v327*/
	s_set_vgpr_msb 0x51                     ;  msbs: dst=1 src0=1 src1=0 src2=1
	v_add3_u32 v102 /*v358*/, v118 /*v374*/, v173, v102 /*v358*/
	s_set_vgpr_msb 5                        ;  msbs: dst=0 src0=1 src1=1 src2=0
	v_mul_i32_i24_e32 v173, v73 /*v329*/, v71 /*v327*/
	s_set_vgpr_msb 0x51                     ;  msbs: dst=1 src0=1 src1=0 src2=1
	s_delay_alu instid0(VALU_DEP_1) | instskip(SKIP_3) | instid1(VALU_DEP_1)
	v_add3_u32 v106 /*v362*/, v117 /*v373*/, v173, v106 /*v362*/
	s_set_vgpr_msb 0                        ;  msbs: dst=0 src0=0 src1=0 src2=0
	v_lshrrev_b16 v173, 8, v166
	s_set_vgpr_msb 64                       ;  msbs: dst=1 src0=0 src1=0 src2=0
	v_and_b32_e32 v107 /*v363*/, 0xffff, v173
	s_set_vgpr_msb 0x44                     ;  msbs: dst=1 src0=0 src1=1 src2=0
	s_delay_alu instid0(VALU_DEP_1) | instskip(NEXT) | instid1(VALU_DEP_1)
	v_lshrrev_b32_e32 v107 /*v363*/, 4, v107 /*v363*/
	v_mul_lo_u32 v107 /*v363*/, 0x1010101, v107 /*v363*/
	s_set_vgpr_msb 0x41                     ;  msbs: dst=1 src0=1 src1=0 src2=0
	s_delay_alu instid0(VALU_DEP_1)
	v_bfe_i32 v108 /*v364*/, v107 /*v363*/, 0, 8
	v_bfe_i32 v109 /*v365*/, v107 /*v363*/, 8, 8
	s_set_vgpr_msb 1                        ;  msbs: dst=0 src0=1 src1=0 src2=0
	v_bfe_i32 v111, v107 /*v363*/, 16, 8
	s_set_vgpr_msb 4                        ;  msbs: dst=0 src0=0 src1=1 src2=0
	v_mul_i32_i24_e32 v140, v140, v108 /*v364*/
	v_mul_i32_i24_e32 v141, v141, v109 /*v365*/
	;; [unrolled: 1-line block ×3, first 2 shown]
	s_set_vgpr_msb 0x45                     ;  msbs: dst=1 src0=1 src1=1 src2=0
	v_mul_i32_i24_e32 v56 /*v312*/, v56 /*v312*/, v108 /*v364*/
	v_mul_i32_i24_e32 v57 /*v313*/, v57 /*v313*/, v109 /*v365*/
	s_set_vgpr_msb 4                        ;  msbs: dst=0 src0=0 src1=1 src2=0
	v_mul_i32_i24_e32 v62, v102, v109 /*v365*/
	s_set_vgpr_msb 0                        ;  msbs: dst=0 src0=0 src1=0 src2=0
	v_add3_u32 v125, v125, v140, v141
	s_set_vgpr_msb 4                        ;  msbs: dst=0 src0=0 src1=1 src2=0
	v_mul_i32_i24_e32 v140, v197, v108 /*v364*/
	s_set_vgpr_msb 5                        ;  msbs: dst=0 src0=1 src1=1 src2=0
	v_mul_i32_i24_e32 v141, v65 /*v321*/, v109 /*v365*/
	v_mul_i32_i24_e32 v197, v72 /*v328*/, v109 /*v365*/
	s_set_vgpr_msb 4                        ;  msbs: dst=0 src0=0 src1=1 src2=0
	v_mad_i32_i24 v106, v138, v145 /*v401*/, v106
	s_set_vgpr_msb 20                       ;  msbs: dst=0 src0=0 src1=1 src2=1
	v_add3_u32 v119, v119, v56 /*v312*/, v57 /*v313*/
	s_set_vgpr_msb 0x45                     ;  msbs: dst=1 src0=1 src1=1 src2=0
	v_mul_i32_i24_e32 v56 /*v312*/, v46 /*v302*/, v108 /*v364*/
	s_set_vgpr_msb 1                        ;  msbs: dst=0 src0=1 src1=0 src2=0
	v_add3_u32 v140, v96 /*v352*/, v140, v141
	s_set_vgpr_msb 5                        ;  msbs: dst=0 src0=1 src1=1 src2=0
	v_mul_i32_i24_e32 v141, v73 /*v329*/, v108 /*v364*/
	s_set_vgpr_msb 0x45                     ;  msbs: dst=1 src0=1 src1=1 src2=0
	v_mul_i32_i24_e32 v57 /*v313*/, v47 /*v303*/, v109 /*v365*/
	s_set_vgpr_msb 0                        ;  msbs: dst=0 src0=0 src1=0 src2=0
	s_delay_alu instid0(VALU_DEP_2)
	v_add3_u32 v133, v133, v141, v197
	s_set_vgpr_msb 5                        ;  msbs: dst=0 src0=1 src1=1 src2=0
	v_mul_i32_i24_e32 v141, v46 /*v302*/, v71 /*v327*/
	v_mul_i32_i24_e32 v197, v47 /*v303*/, v94 /*v350*/
	s_set_vgpr_msb 0x44                     ;  msbs: dst=1 src0=0 src1=1 src2=0
	v_mul_i32_i24_e32 v46 /*v302*/, v102, v68 /*v324*/
	s_set_vgpr_msb 0x55                     ;  msbs: dst=1 src0=1 src1=1 src2=1
	v_add3_u32 v56 /*v312*/, v147 /*v403*/, v56 /*v312*/, v57 /*v313*/
	v_mul_i32_i24_e32 v57 /*v313*/, v63 /*v319*/, v108 /*v364*/
	v_mul_i32_i24_e32 v63 /*v319*/, v61 /*v317*/, v109 /*v365*/
	s_set_vgpr_msb 0                        ;  msbs: dst=0 src0=0 src1=0 src2=0
	v_add3_u32 v137, v137, v141, v197
	s_set_vgpr_msb 5                        ;  msbs: dst=0 src0=1 src1=1 src2=0
	v_add_nc_u32_e32 v141, v43 /*v299*/, v40 /*v296*/
	v_add_nc_u32_e32 v197, v37 /*v293*/, v36 /*v292*/
	s_set_vgpr_msb 20                       ;  msbs: dst=0 src0=0 src1=1 src2=1
	v_add3_u32 v130, v130, v57 /*v313*/, v63 /*v319*/
	s_set_vgpr_msb 4                        ;  msbs: dst=0 src0=0 src1=1 src2=0
	v_add3_u32 v141, v141, v29 /*v285*/, v176
	v_add3_u32 v197, v197, v28 /*v284*/, v174
	s_delay_alu instid0(VALU_DEP_2) | instskip(SKIP_1) | instid1(VALU_DEP_2)
	v_mul_i32_i24_e32 v138, v141, v71 /*v327*/
	s_set_vgpr_msb 0x44                     ;  msbs: dst=1 src0=0 src1=1 src2=0
	v_mul_i32_i24_e32 v40 /*v296*/, v197, v94 /*v350*/
	v_mul_i32_i24_e32 v43 /*v299*/, v197, v68 /*v324*/
	v_mul_i32_i24_e32 v36 /*v292*/, v141, v108 /*v364*/
	v_mul_i32_i24_e32 v37 /*v293*/, v197, v109 /*v365*/
	s_set_vgpr_msb 0                        ;  msbs: dst=0 src0=0 src1=0 src2=0
	v_mul_i32_i24_e32 v197, v197, v149
	s_set_vgpr_msb 17                       ;  msbs: dst=0 src0=1 src1=0 src2=1
	v_add3_u32 v138, v103 /*v359*/, v138, v40 /*v296*/
	s_set_vgpr_msb 0x44                     ;  msbs: dst=1 src0=0 src1=1 src2=0
	v_mul_i32_i24_e32 v40 /*v296*/, v102, v94 /*v350*/
	s_set_vgpr_msb 0x55                     ;  msbs: dst=1 src0=1 src1=1 src2=1
	v_add3_u32 v36 /*v292*/, v88 /*v344*/, v36 /*v292*/, v37 /*v293*/
	s_set_vgpr_msb 64                       ;  msbs: dst=1 src0=0 src1=0 src2=0
	v_mul_i32_i24_e32 v37 /*v293*/, v110, v111
	s_set_vgpr_msb 17                       ;  msbs: dst=0 src0=1 src1=0 src2=1
	v_add3_u32 v120, v101 /*v357*/, v120, v40 /*v296*/
	s_set_vgpr_msb 0x44                     ;  msbs: dst=1 src0=0 src1=1 src2=0
	v_mul_i32_i24_e32 v40 /*v296*/, v141, v67 /*v323*/
	s_set_vgpr_msb 0                        ;  msbs: dst=0 src0=0 src1=0 src2=0
	v_mul_i32_i24_e32 v141, v141, v145
	s_set_vgpr_msb 0x55                     ;  msbs: dst=1 src0=1 src1=1 src2=1
	v_mad_i32_i24 v37 /*v293*/, v97 /*v353*/, v125 /*v381*/, v37 /*v293*/
	v_add3_u32 v40 /*v296*/, v105 /*v361*/, v40 /*v296*/, v43 /*v299*/
	s_set_vgpr_msb 0x44                     ;  msbs: dst=1 src0=0 src1=1 src2=0
	v_mul_i32_i24_e32 v43 /*v299*/, v101, v67 /*v323*/
	s_set_vgpr_msb 0                        ;  msbs: dst=0 src0=0 src1=0 src2=0
	v_mul_i32_i24_e32 v101, v101, v145
	v_mul_i32_i24_e32 v145, v102, v149
	s_set_vgpr_msb 1                        ;  msbs: dst=0 src0=1 src1=0 src2=0
	v_add3_u32 v141, v84 /*v340*/, v141, v197
	s_set_vgpr_msb 0x55                     ;  msbs: dst=1 src0=1 src1=1 src2=1
	v_add3_u32 v43 /*v299*/, v104 /*v360*/, v43 /*v299*/, v46 /*v302*/
	s_set_vgpr_msb 1                        ;  msbs: dst=0 src0=1 src1=0 src2=0
	v_add3_u32 v101, v85 /*v341*/, v101, v145
	v_add3_u32 v145, v86 /*v342*/, v14, v15
	s_set_vgpr_msb 0                        ;  msbs: dst=0 src0=0 src1=0 src2=0
	ds_load_2addr_b32 v[14:15], v85 offset0:6 offset1:7
	v_add_nc_u32_e32 v100, v104, v100
	s_set_vgpr_msb 4                        ;  msbs: dst=0 src0=0 src1=1 src2=0
	v_lshrrev_b32_e32 v104, 24, v107 /*v363*/
	s_wait_dscnt 0x0
	s_set_vgpr_msb 0                        ;  msbs: dst=0 src0=0 src1=0 src2=0
	v_ashrrev_i32_e32 v85, s18, v14
	v_add3_u32 v100, v100, v107, v108
	s_delay_alu instid0(VALU_DEP_2) | instskip(NEXT) | instid1(VALU_DEP_2)
	v_and_b32_e32 v14, 3, v85
	v_mul_i32_i24_e32 v108, v100, v104
	s_set_vgpr_msb 4                        ;  msbs: dst=0 src0=0 src1=1 src2=0
	s_delay_alu instid0(VALU_DEP_2)
	v_mul_i32_i24_e32 v197, v14, v25 /*v281*/
	s_set_vgpr_msb 0x44                     ;  msbs: dst=1 src0=0 src1=1 src2=0
	v_bfe_u32 v25 /*v281*/, v85, 8, 2
	v_mul_i32_i24_e32 v29 /*v285*/, v14, v29 /*v285*/
	v_mul_i32_i24_e32 v33 /*v289*/, v14, v38 /*v294*/
	s_set_vgpr_msb 5                        ;  msbs: dst=0 src0=1 src1=1 src2=0
	v_mad_i32_i24 v108, v89 /*v345*/, v146 /*v402*/, v108
	s_set_vgpr_msb 0x45                     ;  msbs: dst=1 src0=1 src1=1 src2=0
	v_mul_i32_i24_e32 v24 /*v280*/, v25 /*v281*/, v24 /*v280*/
	v_mul_i32_i24_e32 v28 /*v284*/, v25 /*v281*/, v28 /*v284*/
	;; [unrolled: 1-line block ×3, first 2 shown]
	s_set_vgpr_msb 16                       ;  msbs: dst=0 src0=0 src1=0 src2=1
	s_delay_alu instid0(VALU_DEP_3)
	v_add3_u32 v117, v117, v197, v24 /*v280*/
	s_set_vgpr_msb 4                        ;  msbs: dst=0 src0=0 src1=1 src2=0
	v_mul_i32_i24_e32 v197, v6, v26 /*v282*/
	s_set_vgpr_msb 0x44                     ;  msbs: dst=1 src0=0 src1=1 src2=0
	v_mul_i32_i24_e32 v24 /*v280*/, v103, v27 /*v283*/
	s_set_vgpr_msb 0x45                     ;  msbs: dst=1 src0=1 src1=1 src2=0
	v_mul_i32_i24_e32 v26 /*v282*/, v25 /*v281*/, v35 /*v291*/
	s_set_vgpr_msb 0x44                     ;  msbs: dst=1 src0=0 src1=1 src2=0
	v_mul_i32_i24_e32 v27 /*v283*/, v103, v42 /*v298*/
	s_set_vgpr_msb 0x55                     ;  msbs: dst=1 src0=1 src1=1 src2=1
	v_mul_i32_i24_e32 v35 /*v291*/, v25 /*v281*/, v49 /*v305*/
	v_add3_u32 v28 /*v284*/, v79 /*v335*/, v29 /*v285*/, v28 /*v284*/
	s_set_vgpr_msb 17                       ;  msbs: dst=0 src0=1 src1=0 src2=1
	v_add3_u32 v197, v76 /*v332*/, v197, v24 /*v280*/
	s_set_vgpr_msb 0x44                     ;  msbs: dst=1 src0=0 src1=1 src2=0
	v_mul_i32_i24_e32 v24 /*v280*/, v14, v34 /*v290*/
	v_mul_i32_i24_e32 v34 /*v290*/, v103, v51 /*v307*/
	;; [unrolled: 1-line block ×3, first 2 shown]
	s_set_vgpr_msb 0                        ;  msbs: dst=0 src0=0 src1=0 src2=0
	v_mul_i32_i24_e32 v103, v103, v146
	s_set_vgpr_msb 0x55                     ;  msbs: dst=1 src0=1 src1=1 src2=1
	v_add3_u32 v24 /*v280*/, v77 /*v333*/, v24 /*v280*/, v26 /*v282*/
	s_set_vgpr_msb 0x44                     ;  msbs: dst=1 src0=0 src1=1 src2=0
	v_mul_i32_i24_e32 v26 /*v282*/, v6, v41 /*v297*/
	s_set_vgpr_msb 0x55                     ;  msbs: dst=1 src0=1 src1=1 src2=1
	v_add3_u32 v29 /*v285*/, v90 /*v346*/, v29 /*v285*/, v31 /*v287*/
	s_set_vgpr_msb 0x44                     ;  msbs: dst=1 src0=0 src1=1 src2=0
	v_mul_i32_i24_e32 v31 /*v287*/, v14, v54 /*v310*/
	;; [unrolled: 4-line block ×3, first 2 shown]
	s_set_vgpr_msb 4                        ;  msbs: dst=0 src0=0 src1=1 src2=0
	v_mul_i32_i24_e32 v6, v6, v58 /*v314*/
	s_set_vgpr_msb 0x55                     ;  msbs: dst=1 src0=1 src1=1 src2=1
	s_delay_alu instid0(VALU_DEP_2)
	v_add3_u32 v27 /*v283*/, v83 /*v339*/, v27 /*v283*/, v34 /*v290*/
	s_set_vgpr_msb 0x44                     ;  msbs: dst=1 src0=0 src1=1 src2=0
	v_mul_i32_i24_e32 v34 /*v290*/, v14, v48 /*v304*/
	s_set_vgpr_msb 0                        ;  msbs: dst=0 src0=0 src1=0 src2=0
	v_add3_u32 v103, v132, v6, v103
	v_mul_i32_i24_e32 v6, v14, v84
	s_set_vgpr_msb 0x55                     ;  msbs: dst=1 src0=1 src1=1 src2=1
	v_add3_u32 v34 /*v290*/, v87 /*v343*/, v34 /*v290*/, v35 /*v291*/
	v_mul_i32_i24_e32 v35 /*v291*/, v25 /*v281*/, v55 /*v311*/
	s_delay_alu instid0(VALU_DEP_1) | instskip(SKIP_1) | instid1(VALU_DEP_1)
	v_add3_u32 v31 /*v287*/, v91 /*v347*/, v31 /*v287*/, v35 /*v291*/
	v_mul_i32_i24_e32 v35 /*v291*/, v25 /*v281*/, v39 /*v295*/
	v_add3_u32 v33 /*v289*/, v81 /*v337*/, v33 /*v289*/, v35 /*v291*/
	s_set_vgpr_msb 0x44                     ;  msbs: dst=1 src0=0 src1=1 src2=0
	v_mul_i32_i24_e32 v35 /*v291*/, v14, v44 /*v300*/
	s_set_vgpr_msb 1                        ;  msbs: dst=0 src0=1 src1=0 src2=0
	v_mul_i32_i24_e32 v14, v25 /*v281*/, v112
	s_set_vgpr_msb 0x55                     ;  msbs: dst=1 src0=1 src1=1 src2=1
	s_delay_alu instid0(VALU_DEP_2) | instskip(SKIP_1) | instid1(VALU_DEP_2)
	v_add3_u32 v35 /*v291*/, v92 /*v348*/, v35 /*v291*/, v38 /*v294*/
	s_set_vgpr_msb 0                        ;  msbs: dst=0 src0=0 src1=0 src2=0
	v_add3_u32 v84, v116, v6, v14
	v_bfe_u32 v6, v8, 16, 2
	v_bfe_u32 v8, v8, 24, 2
	s_delay_alu instid0(VALU_DEP_2) | instskip(NEXT) | instid1(VALU_DEP_2)
	v_mul_i32_i24_e32 v14, v6, v150
	v_mul_i32_i24_e32 v112, v8, v158
	s_set_vgpr_msb 64                       ;  msbs: dst=1 src0=0 src1=0 src2=0
	v_mul_i32_i24_e32 v47 /*v303*/, v8, v247
	s_set_vgpr_msb 0                        ;  msbs: dst=0 src0=0 src1=0 src2=0
	s_delay_alu instid0(VALU_DEP_2) | instskip(SKIP_2) | instid1(VALU_DEP_2)
	v_add3_u32 v112, v123, v14, v112
	v_bfe_u32 v14, v114, 16, 2
	v_bfe_u32 v114, v114, 24, 2
	v_mul_i32_i24_e32 v116, v14, v150
	s_delay_alu instid0(VALU_DEP_2) | instskip(NEXT) | instid1(VALU_DEP_1)
	v_mul_i32_i24_e32 v123, v114, v158
	v_add3_u32 v116, v131, v116, v123
	s_set_vgpr_msb 1                        ;  msbs: dst=0 src0=1 src1=0 src2=0
	v_bfe_u32 v123, v178 /*v434*/, 16, 2
	v_bfe_u32 v131, v178 /*v434*/, 24, 2
	s_set_vgpr_msb 0                        ;  msbs: dst=0 src0=0 src1=0 src2=0
	s_delay_alu instid0(VALU_DEP_2) | instskip(NEXT) | instid1(VALU_DEP_2)
	v_mul_i32_i24_e32 v132, v123, v150
	v_mul_i32_i24_e32 v146, v131, v158
	s_set_vgpr_msb 64                       ;  msbs: dst=1 src0=0 src1=0 src2=0
	v_mul_i32_i24_e32 v45 /*v301*/, v131, v249
	s_set_vgpr_msb 0                        ;  msbs: dst=0 src0=0 src1=0 src2=0
	s_delay_alu instid0(VALU_DEP_2) | instskip(SKIP_2) | instid1(VALU_DEP_1)
	v_add3_u32 v132, v139, v132, v146
	v_mul_i32_i24_e32 v139, v6, v244
	v_mul_i32_i24_e32 v146, v8, v245
	v_add3_u32 v139, v147, v139, v146
	v_bfe_u32 v146, v0, 16, 2
	v_bfe_u32 v0, v0, 24, 2
	s_delay_alu instid0(VALU_DEP_2) | instskip(SKIP_1) | instid1(VALU_DEP_2)
	v_mul_i32_i24_e32 v147, v146, v250
	s_set_vgpr_msb 64                       ;  msbs: dst=1 src0=0 src1=0 src2=0
	v_mul_i32_i24_e32 v25 /*v281*/, v0, v251
	s_set_vgpr_msb 0x44                     ;  msbs: dst=1 src0=0 src1=1 src2=0
	v_mul_i32_i24_e32 v44 /*v300*/, v0, v1 /*v257*/
	s_set_vgpr_msb 64                       ;  msbs: dst=1 src0=0 src1=0 src2=0
	v_mul_i32_i24_e32 v48 /*v304*/, v0, v159
	s_set_vgpr_msb 16                       ;  msbs: dst=0 src0=0 src1=0 src2=1
	v_add3_u32 v147, v148, v147, v25 /*v281*/
	v_mul_i32_i24_e32 v148, v14, v244
	s_set_vgpr_msb 64                       ;  msbs: dst=1 src0=0 src1=0 src2=0
	v_mul_i32_i24_e32 v25 /*v281*/, v114, v245
	s_set_vgpr_msb 16                       ;  msbs: dst=0 src0=0 src1=0 src2=1
	s_delay_alu instid0(VALU_DEP_1)
	v_add3_u32 v148, v192, v148, v25 /*v281*/
	s_set_vgpr_msb 1                        ;  msbs: dst=0 src0=1 src1=0 src2=0
	v_bfe_u32 v192, v93 /*v349*/, 16, 2
	s_set_vgpr_msb 0x41                     ;  msbs: dst=1 src0=1 src1=0 src2=0
	v_bfe_u32 v25 /*v281*/, v93 /*v349*/, 24, 2
	s_set_vgpr_msb 64                       ;  msbs: dst=1 src0=0 src1=0 src2=0
	s_delay_alu instid0(VALU_DEP_2) | instskip(SKIP_1) | instid1(VALU_DEP_2)
	v_mul_i32_i24_e32 v38 /*v294*/, v192, v250
	s_set_vgpr_msb 0x41                     ;  msbs: dst=1 src0=1 src1=0 src2=0
	v_mul_i32_i24_e32 v39 /*v295*/, v25 /*v281*/, v251
	s_set_vgpr_msb 0x45                     ;  msbs: dst=1 src0=1 src1=1 src2=0
	v_mul_i32_i24_e32 v42 /*v298*/, v25 /*v281*/, v1 /*v257*/
	s_set_vgpr_msb 20                       ;  msbs: dst=0 src0=0 src1=1 src2=1
	s_delay_alu instid0(VALU_DEP_2) | instskip(SKIP_4) | instid1(VALU_DEP_1)
	v_add3_u32 v193, v193, v38 /*v294*/, v39 /*v295*/
	s_set_vgpr_msb 64                       ;  msbs: dst=1 src0=0 src1=0 src2=0
	v_mul_i32_i24_e32 v38 /*v294*/, v123, v244
	v_mul_i32_i24_e32 v39 /*v295*/, v131, v245
	s_set_vgpr_msb 20                       ;  msbs: dst=0 src0=0 src1=1 src2=1
	v_add3_u32 v194, v194, v38 /*v294*/, v39 /*v295*/
	s_set_vgpr_msb 64                       ;  msbs: dst=1 src0=0 src1=0 src2=0
	v_bfe_u32 v38 /*v294*/, v4, 16, 2
	s_set_vgpr_msb 0                        ;  msbs: dst=0 src0=0 src1=0 src2=0
	v_bfe_u32 v4, v4, 24, 2
	s_set_vgpr_msb 0x41                     ;  msbs: dst=1 src0=1 src1=0 src2=0
	s_delay_alu instid0(VALU_DEP_2) | instskip(SKIP_1) | instid1(VALU_DEP_2)
	v_mul_i32_i24_e32 v39 /*v295*/, v38 /*v294*/, v250
	s_set_vgpr_msb 64                       ;  msbs: dst=1 src0=0 src1=0 src2=0
	v_mul_i32_i24_e32 v41 /*v297*/, v4, v251
	s_set_vgpr_msb 0x44                     ;  msbs: dst=1 src0=0 src1=1 src2=0
	v_mul_i32_i24_e32 v46 /*v302*/, v4, v1 /*v257*/
	s_set_vgpr_msb 20                       ;  msbs: dst=0 src0=0 src1=1 src2=1
	s_delay_alu instid0(VALU_DEP_2) | instskip(SKIP_4) | instid1(VALU_DEP_1)
	v_add3_u32 v196, v196, v39 /*v295*/, v41 /*v297*/
	s_set_vgpr_msb 64                       ;  msbs: dst=1 src0=0 src1=0 src2=0
	v_mul_i32_i24_e32 v39 /*v295*/, v6, v254
	v_mul_i32_i24_e32 v41 /*v297*/, v8, v255
	s_set_vgpr_msb 20                       ;  msbs: dst=0 src0=0 src1=1 src2=1
	v_add3_u32 v198, v198, v39 /*v295*/, v41 /*v297*/
	s_set_vgpr_msb 64                       ;  msbs: dst=1 src0=0 src1=0 src2=0
	v_mul_i32_i24_e32 v39 /*v295*/, v14, v254
	v_mul_i32_i24_e32 v41 /*v297*/, v114, v255
	s_set_vgpr_msb 20                       ;  msbs: dst=0 src0=0 src1=1 src2=1
	s_delay_alu instid0(VALU_DEP_1) | instskip(SKIP_4) | instid1(VALU_DEP_1)
	v_add3_u32 v199, v199, v39 /*v295*/, v41 /*v297*/
	s_set_vgpr_msb 64                       ;  msbs: dst=1 src0=0 src1=0 src2=0
	v_mul_i32_i24_e32 v39 /*v295*/, v123, v254
	v_mul_i32_i24_e32 v41 /*v297*/, v131, v255
	s_set_vgpr_msb 20                       ;  msbs: dst=0 src0=0 src1=1 src2=1
	v_add3_u32 v200, v200, v39 /*v295*/, v41 /*v297*/
	s_set_vgpr_msb 0x44                     ;  msbs: dst=1 src0=0 src1=1 src2=0
	v_mul_i32_i24_e32 v39 /*v295*/, v6, v5 /*v261*/
	v_mul_i32_i24_e32 v41 /*v297*/, v8, v6 /*v262*/
	s_set_vgpr_msb 20                       ;  msbs: dst=0 src0=0 src1=1 src2=1
	s_delay_alu instid0(VALU_DEP_1) | instskip(SKIP_4) | instid1(VALU_DEP_1)
	v_add3_u32 v201, v201, v39 /*v295*/, v41 /*v297*/
	s_set_vgpr_msb 0x44                     ;  msbs: dst=1 src0=0 src1=1 src2=0
	v_mul_i32_i24_e32 v39 /*v295*/, v14, v5 /*v261*/
	v_mul_i32_i24_e32 v41 /*v297*/, v114, v6 /*v262*/
	s_set_vgpr_msb 20                       ;  msbs: dst=0 src0=0 src1=1 src2=1
	v_add3_u32 v202, v202, v39 /*v295*/, v41 /*v297*/
	s_set_vgpr_msb 0x44                     ;  msbs: dst=1 src0=0 src1=1 src2=0
	v_mul_i32_i24_e32 v39 /*v295*/, v123, v5 /*v261*/
	v_mul_i32_i24_e32 v41 /*v297*/, v131, v6 /*v262*/
	s_set_vgpr_msb 20                       ;  msbs: dst=0 src0=0 src1=1 src2=1
	s_delay_alu instid0(VALU_DEP_1) | instskip(SKIP_4) | instid1(VALU_DEP_1)
	v_add3_u32 v203, v203, v39 /*v295*/, v41 /*v297*/
	s_set_vgpr_msb 64                       ;  msbs: dst=1 src0=0 src1=0 src2=0
	v_mul_i32_i24_e32 v39 /*v295*/, v146, v47
	v_mul_i32_i24_e32 v41 /*v297*/, v0, v242
	s_set_vgpr_msb 20                       ;  msbs: dst=0 src0=0 src1=1 src2=1
	v_add3_u32 v126, v126, v39 /*v295*/, v41 /*v297*/
	s_set_vgpr_msb 64                       ;  msbs: dst=1 src0=0 src1=0 src2=0
	v_mul_i32_i24_e32 v39 /*v295*/, v192, v47
	s_set_vgpr_msb 0x41                     ;  msbs: dst=1 src0=1 src1=0 src2=0
	v_mul_i32_i24_e32 v41 /*v297*/, v25 /*v281*/, v242
	s_set_vgpr_msb 20                       ;  msbs: dst=0 src0=0 src1=1 src2=1
	s_delay_alu instid0(VALU_DEP_1)
	v_add3_u32 v134, v134, v39 /*v295*/, v41 /*v297*/
	s_set_vgpr_msb 0x41                     ;  msbs: dst=1 src0=1 src1=0 src2=0
	v_mul_i32_i24_e32 v39 /*v295*/, v38 /*v294*/, v47
	s_set_vgpr_msb 64                       ;  msbs: dst=1 src0=0 src1=0 src2=0
	v_mul_i32_i24_e32 v41 /*v297*/, v4, v242
	s_set_vgpr_msb 20                       ;  msbs: dst=0 src0=0 src1=1 src2=1
	s_delay_alu instid0(VALU_DEP_1) | instskip(SKIP_4) | instid1(VALU_DEP_1)
	v_add3_u32 v142, v142, v39 /*v295*/, v41 /*v297*/
	s_set_vgpr_msb 0x44                     ;  msbs: dst=1 src0=0 src1=1 src2=0
	v_mul_i32_i24_e32 v39 /*v295*/, v146, v3 /*v259*/
	v_mul_i32_i24_e32 v41 /*v297*/, v0, v4 /*v260*/
	s_set_vgpr_msb 20                       ;  msbs: dst=0 src0=0 src1=1 src2=1
	v_add3_u32 v204, v204, v39 /*v295*/, v41 /*v297*/
	s_set_vgpr_msb 0x44                     ;  msbs: dst=1 src0=0 src1=1 src2=0
	v_mul_i32_i24_e32 v39 /*v295*/, v192, v3 /*v259*/
	s_set_vgpr_msb 0x45                     ;  msbs: dst=1 src0=1 src1=1 src2=0
	v_mul_i32_i24_e32 v41 /*v297*/, v25 /*v281*/, v4 /*v260*/
	s_set_vgpr_msb 20                       ;  msbs: dst=0 src0=0 src1=1 src2=1
	s_delay_alu instid0(VALU_DEP_1)
	v_add3_u32 v205, v205, v39 /*v295*/, v41 /*v297*/
	s_set_vgpr_msb 0x45                     ;  msbs: dst=1 src0=1 src1=1 src2=0
	v_mul_i32_i24_e32 v39 /*v295*/, v38 /*v294*/, v3 /*v259*/
	s_set_vgpr_msb 0x44                     ;  msbs: dst=1 src0=0 src1=1 src2=0
	v_mul_i32_i24_e32 v41 /*v297*/, v4, v4 /*v260*/
	s_set_vgpr_msb 20                       ;  msbs: dst=0 src0=0 src1=1 src2=1
	s_delay_alu instid0(VALU_DEP_1) | instskip(SKIP_4) | instid1(VALU_DEP_1)
	v_add3_u32 v206, v206, v39 /*v295*/, v41 /*v297*/
	s_set_vgpr_msb 0x44                     ;  msbs: dst=1 src0=0 src1=1 src2=0
	v_mul_i32_i24_e32 v39 /*v295*/, v6, v8 /*v264*/
	v_mul_i32_i24_e32 v41 /*v297*/, v8, v9 /*v265*/
	s_set_vgpr_msb 20                       ;  msbs: dst=0 src0=0 src1=1 src2=1
	v_add3_u32 v207, v207, v39 /*v295*/, v41 /*v297*/
	s_set_vgpr_msb 0x44                     ;  msbs: dst=1 src0=0 src1=1 src2=0
	v_mul_i32_i24_e32 v39 /*v295*/, v146, v11 /*v267*/
	v_mul_i32_i24_e32 v41 /*v297*/, v0, v12 /*v268*/
	s_set_vgpr_msb 20                       ;  msbs: dst=0 src0=0 src1=1 src2=1
	s_delay_alu instid0(VALU_DEP_1) | instskip(SKIP_4) | instid1(VALU_DEP_1)
	v_add3_u32 v208, v208, v39 /*v295*/, v41 /*v297*/
	s_set_vgpr_msb 0x44                     ;  msbs: dst=1 src0=0 src1=1 src2=0
	v_mul_i32_i24_e32 v39 /*v295*/, v14, v8 /*v264*/
	v_mul_i32_i24_e32 v41 /*v297*/, v114, v9 /*v265*/
	s_set_vgpr_msb 20                       ;  msbs: dst=0 src0=0 src1=1 src2=1
	v_add3_u32 v209, v209, v39 /*v295*/, v41 /*v297*/
	s_set_vgpr_msb 0x44                     ;  msbs: dst=1 src0=0 src1=1 src2=0
	v_mul_i32_i24_e32 v39 /*v295*/, v192, v11 /*v267*/
	s_set_vgpr_msb 0x45                     ;  msbs: dst=1 src0=1 src1=1 src2=0
	v_mul_i32_i24_e32 v41 /*v297*/, v25 /*v281*/, v12 /*v268*/
	s_set_vgpr_msb 20                       ;  msbs: dst=0 src0=0 src1=1 src2=1
	s_delay_alu instid0(VALU_DEP_1) | instskip(SKIP_4) | instid1(VALU_DEP_1)
	v_add3_u32 v210, v210, v39 /*v295*/, v41 /*v297*/
	s_set_vgpr_msb 0x44                     ;  msbs: dst=1 src0=0 src1=1 src2=0
	v_mul_i32_i24_e32 v39 /*v295*/, v123, v8 /*v264*/
	v_mul_i32_i24_e32 v41 /*v297*/, v131, v9 /*v265*/
	s_set_vgpr_msb 20                       ;  msbs: dst=0 src0=0 src1=1 src2=1
	v_add3_u32 v228, v228, v39 /*v295*/, v41 /*v297*/
	s_set_vgpr_msb 0x45                     ;  msbs: dst=1 src0=1 src1=1 src2=0
	v_mul_i32_i24_e32 v39 /*v295*/, v38 /*v294*/, v11 /*v267*/
	s_set_vgpr_msb 0x44                     ;  msbs: dst=1 src0=0 src1=1 src2=0
	v_mul_i32_i24_e32 v41 /*v297*/, v4, v12 /*v268*/
	s_set_vgpr_msb 20                       ;  msbs: dst=0 src0=0 src1=1 src2=1
	s_delay_alu instid0(VALU_DEP_1)
	v_add3_u32 v229, v229, v39 /*v295*/, v41 /*v297*/
	s_set_vgpr_msb 64                       ;  msbs: dst=1 src0=0 src1=0 src2=0
	v_mul_i32_i24_e32 v39 /*v295*/, v6, v248
	v_mul_i32_i24_e32 v41 /*v297*/, v8, v249
	s_set_vgpr_msb 20                       ;  msbs: dst=0 src0=0 src1=1 src2=1
	v_mul_i32_i24_e32 v8, v8, v13 /*v269*/
	s_delay_alu instid0(VALU_DEP_2) | instskip(SKIP_4) | instid1(VALU_DEP_1)
	v_add3_u32 v230, v230, v39 /*v295*/, v41 /*v297*/
	s_set_vgpr_msb 64                       ;  msbs: dst=1 src0=0 src1=0 src2=0
	v_mul_i32_i24_e32 v39 /*v295*/, v14, v248
	v_mul_i32_i24_e32 v41 /*v297*/, v114, v249
	s_set_vgpr_msb 20                       ;  msbs: dst=0 src0=0 src1=1 src2=1
	v_add3_u32 v231, v231, v39 /*v295*/, v41 /*v297*/
	s_set_vgpr_msb 64                       ;  msbs: dst=1 src0=0 src1=0 src2=0
	v_mul_i32_i24_e32 v39 /*v295*/, v146, v252
	v_mul_i32_i24_e32 v41 /*v297*/, v0, v253
	s_set_vgpr_msb 0                        ;  msbs: dst=0 src0=0 src1=0 src2=0
	v_mul_i32_i24_e32 v0, v0, v107
	s_set_vgpr_msb 20                       ;  msbs: dst=0 src0=0 src1=1 src2=1
	s_delay_alu instid0(VALU_DEP_2)
	v_add3_u32 v232, v232, v39 /*v295*/, v41 /*v297*/
	s_set_vgpr_msb 64                       ;  msbs: dst=1 src0=0 src1=0 src2=0
	v_mul_i32_i24_e32 v39 /*v295*/, v192, v252
	s_set_vgpr_msb 0x41                     ;  msbs: dst=1 src0=1 src1=0 src2=0
	v_mul_i32_i24_e32 v41 /*v297*/, v25 /*v281*/, v253
	s_set_vgpr_msb 20                       ;  msbs: dst=0 src0=0 src1=1 src2=1
	s_delay_alu instid0(VALU_DEP_1)
	v_add3_u32 v233, v233, v39 /*v295*/, v41 /*v297*/
	s_set_vgpr_msb 0x41                     ;  msbs: dst=1 src0=1 src1=0 src2=0
	v_mul_i32_i24_e32 v39 /*v295*/, v38 /*v294*/, v252
	s_set_vgpr_msb 64                       ;  msbs: dst=1 src0=0 src1=0 src2=0
	v_mul_i32_i24_e32 v41 /*v297*/, v4, v253
	s_set_vgpr_msb 0x55                     ;  msbs: dst=1 src0=1 src1=1 src2=1
	s_delay_alu instid0(VALU_DEP_1) | instskip(SKIP_3) | instid1(VALU_DEP_1)
	v_add3_u32 v39 /*v295*/, v119 /*v375*/, v39 /*v295*/, v41 /*v297*/
	s_set_vgpr_msb 0x44                     ;  msbs: dst=1 src0=0 src1=1 src2=0
	v_mul_i32_i24_e32 v41 /*v297*/, v192, v0 /*v256*/
	s_set_vgpr_msb 0x55                     ;  msbs: dst=1 src0=1 src1=1 src2=1
	v_add3_u32 v41 /*v297*/, v120 /*v376*/, v41 /*v297*/, v42 /*v298*/
	s_set_vgpr_msb 0x44                     ;  msbs: dst=1 src0=0 src1=1 src2=0
	v_mul_i32_i24_e32 v42 /*v298*/, v146, v0 /*v256*/
	s_set_vgpr_msb 0x55                     ;  msbs: dst=1 src0=1 src1=1 src2=1
	s_delay_alu instid0(VALU_DEP_1) | instskip(SKIP_3) | instid1(VALU_DEP_1)
	v_add3_u32 v42 /*v298*/, v121 /*v377*/, v42 /*v298*/, v44 /*v300*/
	s_set_vgpr_msb 64                       ;  msbs: dst=1 src0=0 src1=0 src2=0
	v_mul_i32_i24_e32 v44 /*v300*/, v123, v248
	s_set_vgpr_msb 0x55                     ;  msbs: dst=1 src0=1 src1=1 src2=1
	v_add3_u32 v44 /*v300*/, v122 /*v378*/, v44 /*v300*/, v45 /*v301*/
	v_mul_i32_i24_e32 v45 /*v301*/, v38 /*v294*/, v0 /*v256*/
	s_delay_alu instid0(VALU_DEP_1)
	v_add3_u32 v45 /*v301*/, v123 /*v379*/, v45 /*v301*/, v46 /*v302*/
	s_set_vgpr_msb 64                       ;  msbs: dst=1 src0=0 src1=0 src2=0
	v_mul_i32_i24_e32 v46 /*v302*/, v6, v246
	s_set_vgpr_msb 4                        ;  msbs: dst=0 src0=0 src1=1 src2=0
	v_mul_i32_i24_e32 v6, v6, v14 /*v270*/
	s_set_vgpr_msb 0x55                     ;  msbs: dst=1 src0=1 src1=1 src2=1
	s_delay_alu instid0(VALU_DEP_2) | instskip(SKIP_1) | instid1(VALU_DEP_2)
	v_add3_u32 v46 /*v302*/, v124 /*v380*/, v46 /*v302*/, v47 /*v303*/
	s_set_vgpr_msb 0                        ;  msbs: dst=0 src0=0 src1=0 src2=0
	v_add3_u32 v105, v105, v6, v8
	s_set_vgpr_msb 4                        ;  msbs: dst=0 src0=0 src1=1 src2=0
	v_mul_i32_i24_e32 v6, v14, v14 /*v270*/
	v_mul_i32_i24_e32 v8, v114, v13 /*v269*/
	s_set_vgpr_msb 64                       ;  msbs: dst=1 src0=0 src1=0 src2=0
	v_mul_i32_i24_e32 v47 /*v303*/, v146, v243
	s_set_vgpr_msb 0                        ;  msbs: dst=0 src0=0 src1=0 src2=0
	s_delay_alu instid0(VALU_DEP_2)
	v_add3_u32 v113, v113, v6, v8
	s_set_vgpr_msb 4                        ;  msbs: dst=0 src0=0 src1=1 src2=0
	v_mul_i32_i24_e32 v6, v123, v14 /*v270*/
	v_mul_i32_i24_e32 v8, v131, v13 /*v269*/
	s_set_vgpr_msb 0x55                     ;  msbs: dst=1 src0=1 src1=1 src2=1
	v_add3_u32 v47 /*v303*/, v127 /*v383*/, v47 /*v303*/, v48 /*v304*/
	s_set_vgpr_msb 0                        ;  msbs: dst=0 src0=0 src1=0 src2=0
	s_delay_alu instid0(VALU_DEP_2) | instskip(SKIP_2) | instid1(VALU_DEP_1)
	v_add3_u32 v121, v121, v6, v8
	v_mul_i32_i24_e32 v6, v14, v246
	v_mul_i32_i24_e32 v8, v114, v247
	v_add3_u32 v114, v122, v6, v8
	v_mul_i32_i24_e32 v6, v192, v243
	s_set_vgpr_msb 1                        ;  msbs: dst=0 src0=1 src1=0 src2=0
	v_mul_i32_i24_e32 v8, v25 /*v281*/, v159
	s_set_vgpr_msb 0                        ;  msbs: dst=0 src0=0 src1=0 src2=0
	s_delay_alu instid0(VALU_DEP_1) | instskip(SKIP_2) | instid1(VALU_DEP_1)
	v_add3_u32 v122, v127, v6, v8
	v_mul_i32_i24_e32 v6, v123, v246
	v_mul_i32_i24_e32 v8, v131, v247
	v_add3_u32 v123, v128, v6, v8
	s_set_vgpr_msb 1                        ;  msbs: dst=0 src0=1 src1=0 src2=0
	v_mul_i32_i24_e32 v6, v38 /*v294*/, v243
	s_set_vgpr_msb 0                        ;  msbs: dst=0 src0=0 src1=0 src2=0
	v_mul_i32_i24_e32 v8, v4, v159
	v_mul_i32_i24_e32 v4, v4, v107
	s_set_vgpr_msb 4                        ;  msbs: dst=0 src0=0 src1=1 src2=0
	v_lshrrev_b32_e32 v128, 24, v66 /*v322*/
	s_set_vgpr_msb 0                        ;  msbs: dst=0 src0=0 src1=0 src2=0
	v_add3_u32 v127, v129, v6, v8
	v_mul_i32_i24_e32 v6, v146, v109
	s_set_vgpr_msb 1                        ;  msbs: dst=0 src0=1 src1=0 src2=0
	v_mul_i32_i24_e32 v8, v25 /*v281*/, v107
	v_bfe_i32 v129, v66 /*v322*/, 16, 8
	s_set_vgpr_msb 0                        ;  msbs: dst=0 src0=0 src1=0 src2=0
	v_add3_u32 v0, v124, v6, v0
	v_mul_i32_i24_e32 v6, v192, v109
	v_lshrrev_b32_e32 v192, 24, v143
	v_bfe_i32 v143, v143, 16, 8
	s_delay_alu instid0(VALU_DEP_3)
	v_add3_u32 v115, v115, v6, v8
	s_set_vgpr_msb 1                        ;  msbs: dst=0 src0=1 src1=0 src2=0
	v_mul_i32_i24_e32 v6, v38 /*v294*/, v109
	v_add_nc_u32_e32 v8, v17 /*v273*/, v170
	s_set_vgpr_msb 0x44                     ;  msbs: dst=1 src0=0 src1=1 src2=0
	v_lshrrev_b32_e32 v17 /*v273*/, 24, v70 /*v326*/
	s_set_vgpr_msb 0                        ;  msbs: dst=0 src0=0 src1=0 src2=0
	v_add3_u32 v4, v118, v6, v4
	s_set_vgpr_msb 5                        ;  msbs: dst=0 src0=1 src1=1 src2=0
	v_add_nc_u32_e32 v6, v19 /*v275*/, v18 /*v274*/
	s_set_vgpr_msb 4                        ;  msbs: dst=0 src0=0 src1=1 src2=0
	v_add3_u32 v124, v8, v0 /*v256*/, v44
	s_set_vgpr_msb 0x41                     ;  msbs: dst=1 src0=1 src1=0 src2=0
	v_bfe_i32 v18 /*v274*/, v70 /*v326*/, 16, 8
	s_set_vgpr_msb 4                        ;  msbs: dst=0 src0=0 src1=1 src2=0
	v_add3_u32 v118, v6, v1 /*v257*/, v45
	s_set_vgpr_msb 0                        ;  msbs: dst=0 src0=0 src1=0 src2=0
	v_mul_i32_i24_e32 v8, v124, v129
	s_delay_alu instid0(VALU_DEP_2) | instskip(SKIP_1) | instid1(VALU_DEP_1)
	v_mul_i32_i24_e32 v6, v118, v128
	s_set_vgpr_msb 1                        ;  msbs: dst=0 src0=1 src1=0 src2=0
	v_add3_u32 v170, v69 /*v325*/, v8, v6
	v_add_nc_u32_e32 v6, v16 /*v272*/, v172
	s_set_vgpr_msb 0                        ;  msbs: dst=0 src0=0 src1=0 src2=0
	v_add_nc_u32_e32 v8, v161, v160
	s_delay_alu instid0(VALU_DEP_2) | instskip(NEXT) | instid1(VALU_DEP_2)
	v_add3_u32 v131, v6, v253, v48
	v_add3_u32 v146, v8, v252, v46
	s_delay_alu instid0(VALU_DEP_2) | instskip(NEXT) | instid1(VALU_DEP_2)
	v_mul_i32_i24_e32 v6, v131, v192
	v_mul_i32_i24_e32 v8, v146, v143
	s_delay_alu instid0(VALU_DEP_1) | instskip(SKIP_1) | instid1(VALU_DEP_1)
	v_add3_u32 v172, v191, v8, v6
	v_dual_add_nc_u32 v6, v156, v154 :: v_dual_add_nc_u32 v8, v157, v155
	v_add3_u32 v191, v6, v250, v36
	s_set_vgpr_msb 64                       ;  msbs: dst=1 src0=0 src1=0 src2=0
	s_delay_alu instid0(VALU_DEP_2) | instskip(SKIP_1) | instid1(VALU_DEP_2)
	v_add3_u32 v16 /*v272*/, v8, v251, v37
	s_set_vgpr_msb 4                        ;  msbs: dst=0 src0=0 src1=1 src2=0
	v_mul_i32_i24_e32 v8, v191, v18 /*v274*/
	s_set_vgpr_msb 5                        ;  msbs: dst=0 src0=1 src1=1 src2=0
	s_delay_alu instid0(VALU_DEP_2) | instskip(SKIP_1) | instid1(VALU_DEP_1)
	v_mul_i32_i24_e32 v6, v16 /*v272*/, v17 /*v273*/
	s_set_vgpr_msb 1                        ;  msbs: dst=0 src0=1 src1=0 src2=0
	v_add3_u32 v160, v99 /*v355*/, v8, v6
	s_set_vgpr_msb 4                        ;  msbs: dst=0 src0=0 src1=1 src2=0
	v_mul_i32_i24_e32 v6, v131, v17 /*v273*/
	v_mul_i32_i24_e32 v8, v146, v18 /*v274*/
	s_set_vgpr_msb 1                        ;  msbs: dst=0 src0=1 src1=0 src2=0
	s_delay_alu instid0(VALU_DEP_1)
	v_add3_u32 v161, v95 /*v351*/, v8, v6
	s_set_vgpr_msb 0                        ;  msbs: dst=0 src0=0 src1=0 src2=0
	v_mul_i32_i24_e32 v6, v191, v129
	s_set_vgpr_msb 1                        ;  msbs: dst=0 src0=1 src1=0 src2=0
	v_mul_i32_i24_e32 v8, v16 /*v272*/, v128
	s_set_vgpr_msb 0                        ;  msbs: dst=0 src0=0 src1=0 src2=0
	s_delay_alu instid0(VALU_DEP_1)
	v_add3_u32 v156, v136, v6, v8
	v_add_nc_u32_e32 v6, v152, v63
	v_add_nc_u32_e32 v8, v153, v151
	s_set_vgpr_msb 4                        ;  msbs: dst=0 src0=0 src1=1 src2=0
	v_mul_i32_i24_e32 v153, v118, v17 /*v273*/
	s_set_vgpr_msb 0                        ;  msbs: dst=0 src0=0 src1=0 src2=0
	v_add3_u32 v63, v6, v47, v24
	v_add3_u32 v136, v8, v242, v25
	s_delay_alu instid0(VALU_DEP_2) | instskip(NEXT) | instid1(VALU_DEP_2)
	v_mul_i32_i24_e32 v6, v63, v129
	v_mul_i32_i24_e32 v8, v136, v128
	v_mul_i32_i24_e32 v14, v136, v192
	s_set_vgpr_msb 4                        ;  msbs: dst=0 src0=0 src1=1 src2=0
	v_mul_i32_i24_e32 v61, v63, v18 /*v274*/
	s_set_vgpr_msb 0                        ;  msbs: dst=0 src0=0 src1=0 src2=0
	v_add3_u32 v157, v190, v6, v8
	v_mul_i32_i24_e32 v6, v191, v143
	s_set_vgpr_msb 1                        ;  msbs: dst=0 src0=1 src1=0 src2=0
	v_mul_i32_i24_e32 v8, v16 /*v272*/, v192
	s_set_vgpr_msb 0                        ;  msbs: dst=0 src0=0 src1=0 src2=0
	v_mul_i32_i24_e32 v191, v191, v111
	s_set_vgpr_msb 1                        ;  msbs: dst=0 src0=1 src1=0 src2=0
	s_delay_alu instid0(VALU_DEP_2) | instskip(SKIP_2) | instid1(VALU_DEP_2)
	v_add3_u32 v6, v60 /*v316*/, v6, v8
	s_set_vgpr_msb 0                        ;  msbs: dst=0 src0=0 src1=0 src2=0
	v_mul_i32_i24_e32 v8, v63, v143
	v_cvt_f32_i32_e32 v6, v6
	s_set_vgpr_msb 1                        ;  msbs: dst=0 src0=1 src1=0 src2=0
	s_delay_alu instid0(VALU_DEP_2) | instskip(SKIP_3) | instid1(VALU_DEP_1)
	v_add3_u32 v8, v59 /*v315*/, v8, v14
	s_set_vgpr_msb 5                        ;  msbs: dst=0 src0=1 src1=1 src2=0
	v_add_nc_u32_e32 v14, v15 /*v271*/, v7 /*v263*/
	s_set_vgpr_msb 4                        ;  msbs: dst=0 src0=0 src1=1 src2=0
	v_add3_u32 v151, v14, v3 /*v259*/, v49
	s_set_vgpr_msb 5                        ;  msbs: dst=0 src0=1 src1=1 src2=0
	v_mul_i32_i24_e32 v14, v61 /*v317*/, v94 /*v350*/
	s_set_vgpr_msb 4                        ;  msbs: dst=0 src0=0 src1=1 src2=0
	s_delay_alu instid0(VALU_DEP_2) | instskip(SKIP_1) | instid1(VALU_DEP_1)
	v_mul_i32_i24_e32 v152, v151, v18 /*v274*/
	s_set_vgpr_msb 1                        ;  msbs: dst=0 src0=1 src1=0 src2=0
	v_add3_u32 v190, v64 /*v320*/, v14, v152
	s_set_vgpr_msb 5                        ;  msbs: dst=0 src0=1 src1=1 src2=0
	v_add_nc_u32_e32 v14, v10 /*v266*/, v2 /*v258*/
	s_set_vgpr_msb 0                        ;  msbs: dst=0 src0=0 src1=0 src2=0
	v_mul_i32_i24_e32 v152, v151, v129
	s_set_vgpr_msb 64                       ;  msbs: dst=1 src0=0 src1=0 src2=0
	v_mul_i32_i24_e32 v2 /*v258*/, v118, v192
	s_set_vgpr_msb 0                        ;  msbs: dst=0 src0=0 src1=0 src2=0
	v_mul_i32_i24_e32 v118, v118, v104
	s_set_vgpr_msb 64                       ;  msbs: dst=1 src0=0 src1=0 src2=0
	v_mul_i32_i24_e32 v10 /*v266*/, v136, v104
	s_set_vgpr_msb 0x44                     ;  msbs: dst=1 src0=0 src1=1 src2=0
	v_add3_u32 v15 /*v271*/, v14, v4 /*v260*/, v50
	s_set_vgpr_msb 1                        ;  msbs: dst=0 src0=1 src1=0 src2=0
	s_delay_alu instid0(VALU_DEP_1) | instskip(NEXT) | instid1(VALU_DEP_1)
	v_mul_i32_i24_e32 v14, v15 /*v271*/, v128
	v_add3_u32 v154, v62 /*v318*/, v152, v14
	s_set_vgpr_msb 0                        ;  msbs: dst=0 src0=0 src1=0 src2=0
	v_mul_i32_i24_e32 v14, v131, v128
	v_mul_i32_i24_e32 v152, v146, v129
	;; [unrolled: 1-line block ×4, first 2 shown]
	s_set_vgpr_msb 1                        ;  msbs: dst=0 src0=1 src1=0 src2=0
	s_delay_alu instid0(VALU_DEP_3)
	v_add3_u32 v155, v100 /*v356*/, v152, v14
	v_mul_i32_i24_e32 v14, v61 /*v317*/, v149
	s_set_vgpr_msb 0                        ;  msbs: dst=0 src0=0 src1=0 src2=0
	v_mul_i32_i24_e32 v149, v151, v143
	s_set_vgpr_msb 5                        ;  msbs: dst=0 src0=1 src1=1 src2=0
	v_mul_i32_i24_e32 v152, v72 /*v328*/, v68 /*v324*/
	s_set_vgpr_msb 0                        ;  msbs: dst=0 src0=0 src1=0 src2=0
	v_add3_u32 v125, v125, v146, v131
	v_mul_i32_i24_e32 v131, v151, v111
	s_set_vgpr_msb 1                        ;  msbs: dst=0 src0=1 src1=0 src2=0
	v_mul_i32_i24_e32 v146, v15 /*v271*/, v104
	s_set_vgpr_msb 0                        ;  msbs: dst=0 src0=0 src1=0 src2=0
	v_add3_u32 v149, v195, v14, v149
	s_set_vgpr_msb 5                        ;  msbs: dst=0 src0=1 src1=1 src2=0
	v_add_nc_u32_e32 v14, v23 /*v279*/, v21 /*v277*/
	s_set_vgpr_msb 0                        ;  msbs: dst=0 src0=0 src1=0 src2=0
	v_add3_u32 v130, v130, v131, v146
	s_set_vgpr_msb 4                        ;  msbs: dst=0 src0=0 src1=1 src2=0
	s_delay_alu instid0(VALU_DEP_2) | instskip(SKIP_1) | instid1(VALU_DEP_1)
	v_add3_u32 v195, v14, v11 /*v267*/, v55
	s_set_vgpr_msb 0                        ;  msbs: dst=0 src0=0 src1=0 src2=0
	v_mul_i32_i24_e32 v14, v195, v129
	v_mul_i32_i24_e32 v131, v195, v111
	s_delay_alu instid0(VALU_DEP_2) | instskip(SKIP_3) | instid1(VALU_DEP_1)
	v_add3_u32 v135, v135, v152, v14
	s_set_vgpr_msb 5                        ;  msbs: dst=0 src0=1 src1=1 src2=0
	v_add_nc_u32_e32 v14, v22 /*v278*/, v20 /*v276*/
	s_set_vgpr_msb 0x44                     ;  msbs: dst=1 src0=0 src1=1 src2=0
	v_add3_u32 v19 /*v275*/, v14, v12 /*v268*/, v56
	s_set_vgpr_msb 4                        ;  msbs: dst=0 src0=0 src1=1 src2=0
	v_mul_i32_i24_e32 v14, v195, v18 /*v274*/
	s_set_vgpr_msb 5                        ;  msbs: dst=0 src0=1 src1=1 src2=0
	s_delay_alu instid0(VALU_DEP_2)
	v_mul_i32_i24_e32 v152, v19 /*v275*/, v17 /*v273*/
	s_set_vgpr_msb 1                        ;  msbs: dst=0 src0=1 src1=0 src2=0
	v_mul_i32_i24_e32 v146, v19 /*v275*/, v104
	s_set_vgpr_msb 0x41                     ;  msbs: dst=1 src0=1 src1=0 src2=0
	v_mul_i32_i24_e32 v7 /*v263*/, v19 /*v275*/, v192
	s_set_vgpr_msb 1                        ;  msbs: dst=0 src0=1 src1=0 src2=0
	v_add3_u32 v152, v106 /*v362*/, v14, v152
	s_set_vgpr_msb 4                        ;  msbs: dst=0 src0=0 src1=1 src2=0
	v_mul_i32_i24_e32 v14, v124, v18 /*v274*/
	s_set_vgpr_msb 0                        ;  msbs: dst=0 src0=0 src1=0 src2=0
	v_add3_u32 v131, v133, v131, v146
	v_add3_u32 v133, v60, v243, v34
	v_bfe_u32 v146, v3, 8, 2
	s_set_vgpr_msb 1                        ;  msbs: dst=0 src0=1 src1=0 src2=0
	v_add3_u32 v153, v102 /*v358*/, v14, v153
	s_set_vgpr_msb 0                        ;  msbs: dst=0 src0=0 src1=0 src2=0
	v_mul_i32_i24_e32 v14, v124, v143
	v_mul_i32_i24_e32 v124, v124, v111
	;; [unrolled: 1-line block ×3, first 2 shown]
	s_set_vgpr_msb 17                       ;  msbs: dst=0 src0=1 src1=0 src2=1
	s_delay_alu instid0(VALU_DEP_3)
	v_add3_u32 v14, v75 /*v331*/, v14, v2 /*v258*/
	s_set_vgpr_msb 0                        ;  msbs: dst=0 src0=0 src1=0 src2=0
	v_add3_u32 v118, v140, v124, v118
	v_add3_u32 v124, v59, v159, v35
	s_set_vgpr_msb 64                       ;  msbs: dst=1 src0=0 src1=0 src2=0
	v_mul_i32_i24_e32 v2 /*v258*/, v195, v143
	s_set_vgpr_msb 0                        ;  msbs: dst=0 src0=0 src1=0 src2=0
	s_delay_alu instid0(VALU_DEP_2) | instskip(SKIP_1) | instid1(VALU_DEP_2)
	v_mul_i32_i24_e32 v59, v124, v104
	s_set_vgpr_msb 0x55                     ;  msbs: dst=1 src0=1 src1=1 src2=1
	v_add3_u32 v2 /*v258*/, v74 /*v330*/, v2 /*v258*/, v7 /*v263*/
	s_set_vgpr_msb 64                       ;  msbs: dst=1 src0=0 src1=0 src2=0
	v_mul_i32_i24_e32 v7 /*v263*/, v63, v111
	s_set_vgpr_msb 4                        ;  msbs: dst=0 src0=0 src1=1 src2=0
	v_mul_i32_i24_e32 v63, v124, v17 /*v273*/
	s_set_vgpr_msb 1                        ;  msbs: dst=0 src0=1 src1=0 src2=0
	v_add3_u32 v59, v36 /*v292*/, v60, v59
	s_set_vgpr_msb 4                        ;  msbs: dst=0 src0=0 src1=1 src2=0
	v_mul_i32_i24_e32 v60, v136, v17 /*v273*/
	s_set_vgpr_msb 0x55                     ;  msbs: dst=1 src0=1 src1=1 src2=1
	v_add3_u32 v38 /*v294*/, v56 /*v312*/, v7 /*v263*/, v10 /*v266*/
	s_set_vgpr_msb 0x41                     ;  msbs: dst=1 src0=1 src1=0 src2=0
	v_mul_i32_i24_e32 v7 /*v263*/, v16 /*v272*/, v104
	s_set_vgpr_msb 0                        ;  msbs: dst=0 src0=0 src1=0 src2=0
	v_mul_i32_i24_e32 v104, v100, v128
	v_cvt_f32_i32_e32 v59, v59
	v_add3_u32 v60, v137, v61, v60
	s_set_vgpr_msb 4                        ;  msbs: dst=0 src0=0 src1=1 src2=0
	v_mul_i32_i24_e32 v61, v144, v126 /*v382*/
	s_set_vgpr_msb 16                       ;  msbs: dst=0 src0=0 src1=0 src2=1
	v_add3_u32 v119, v119, v191, v7 /*v263*/
	s_set_vgpr_msb 0                        ;  msbs: dst=0 src0=0 src1=0 src2=0
	s_delay_alu instid0(VALU_DEP_2)
	v_add3_u32 v102, v61, v62, v108
	s_set_vgpr_msb 4                        ;  msbs: dst=0 src0=0 src1=1 src2=0
	v_mul_i32_i24_e32 v61, v110, v18 /*v274*/
	v_mul_i32_i24_e32 v62, v100, v17 /*v273*/
	s_set_vgpr_msb 0                        ;  msbs: dst=0 src0=0 src1=0 src2=0
	v_mul_i32_i24_e32 v108, v124, v128
	v_mul_i32_i24_e32 v100, v100, v192
	s_delay_alu instid0(VALU_DEP_3) | instskip(SKIP_3) | instid1(VALU_DEP_1)
	v_add3_u32 v61, v120, v61, v62
	s_set_vgpr_msb 4                        ;  msbs: dst=0 src0=0 src1=1 src2=0
	v_mul_i32_i24_e32 v62, v133, v18 /*v274*/
	s_set_vgpr_msb 0                        ;  msbs: dst=0 src0=0 src1=0 src2=0
	v_add3_u32 v62, v138, v62, v63
	v_mul_i32_i24_e32 v63, v110, v129
	s_set_vgpr_msb 1                        ;  msbs: dst=0 src0=1 src1=0 src2=0
	s_delay_alu instid0(VALU_DEP_1) | instskip(SKIP_3) | instid1(VALU_DEP_1)
	v_add3_u32 v63, v43 /*v299*/, v63, v104
	s_set_vgpr_msb 0                        ;  msbs: dst=0 src0=0 src1=0 src2=0
	v_mul_i32_i24_e32 v104, v133, v129
	s_set_vgpr_msb 1                        ;  msbs: dst=0 src0=1 src1=0 src2=0
	v_add3_u32 v151, v40 /*v296*/, v104, v108
	s_set_vgpr_msb 0                        ;  msbs: dst=0 src0=0 src1=0 src2=0
	v_mul_i32_i24_e32 v104, v110, v143
	s_set_vgpr_msb 64                       ;  msbs: dst=1 src0=0 src1=0 src2=0
	s_delay_alu instid0(VALU_DEP_1) | instskip(SKIP_4) | instid1(VALU_DEP_1)
	v_add3_u32 v7 /*v263*/, v101, v104, v100
	s_set_vgpr_msb 0                        ;  msbs: dst=0 src0=0 src1=0 src2=0
	v_mul_i32_i24_e32 v100, v133, v143
	v_mul_i32_i24_e32 v101, v124, v192
	s_set_vgpr_msb 64                       ;  msbs: dst=1 src0=0 src1=0 src2=0
	v_add3_u32 v10 /*v266*/, v141, v100, v101
	s_set_vgpr_msb 0                        ;  msbs: dst=0 src0=0 src1=0 src2=0
	v_bfe_u32 v100, v2, 16, 2
	v_bfe_u32 v2, v2, 24, 2
	s_delay_alu instid0(VALU_DEP_2) | instskip(NEXT) | instid1(VALU_DEP_2)
	v_mul_i32_i24_e32 v101, v100, v150
	v_mul_i32_i24_e32 v104, v2, v158
	;; [unrolled: 1-line block ×4, first 2 shown]
	s_set_vgpr_msb 4                        ;  msbs: dst=0 src0=0 src1=1 src2=0
	v_mul_i32_i24_e32 v124, v2, v6 /*v262*/
	v_mul_i32_i24_e32 v136, v2, v9 /*v265*/
	s_set_vgpr_msb 0                        ;  msbs: dst=0 src0=0 src1=0 src2=0
	v_add3_u32 v101, v145, v101, v104
	v_mul_i32_i24_e32 v104, v100, v244
	v_mul_i32_i24_e32 v138, v2, v249
	;; [unrolled: 1-line block ×3, first 2 shown]
	v_ashrrev_i32_e32 v244, s18, v15
	s_delay_alu instid0(VALU_DEP_4) | instskip(SKIP_2) | instid1(VALU_DEP_4)
	v_add3_u32 v104, v197, v104, v108
	v_bfe_u32 v108, v85, 16, 2
	v_bfe_u32 v85, v85, 24, 2
	v_and_b32_e32 v15, 3, v244
	s_delay_alu instid0(VALU_DEP_3) | instskip(NEXT) | instid1(VALU_DEP_3)
	v_mul_i32_i24_e32 v110, v108, v250
	v_mul_i32_i24_e32 v111, v85, v251
	v_mul_i32_i24_e32 v47, v108, v47
	v_mul_i32_i24_e32 v129, v85, v159
	s_set_vgpr_msb 4                        ;  msbs: dst=0 src0=0 src1=1 src2=0
	v_mul_i32_i24_e32 v133, v85, v4 /*v260*/
	v_mul_i32_i24_e32 v137, v85, v12 /*v268*/
	s_set_vgpr_msb 1                        ;  msbs: dst=0 src0=1 src1=0 src2=0
	v_add3_u32 v110, v24 /*v280*/, v110, v111
	s_set_vgpr_msb 0                        ;  msbs: dst=0 src0=0 src1=0 src2=0
	v_mul_i32_i24_e32 v111, v100, v254
	v_mul_i32_i24_e32 v140, v85, v253
	s_set_vgpr_msb 4                        ;  msbs: dst=0 src0=0 src1=1 src2=0
	v_mul_i32_i24_e32 v141, v85, v1 /*v257*/
	s_set_vgpr_msb 1                        ;  msbs: dst=0 src0=1 src1=0 src2=0
	v_add3_u32 v111, v26 /*v282*/, v111, v120
	s_set_vgpr_msb 4                        ;  msbs: dst=0 src0=0 src1=1 src2=0
	v_mul_i32_i24_e32 v120, v100, v5 /*v261*/
	s_set_vgpr_msb 1                        ;  msbs: dst=0 src0=1 src1=0 src2=0
	s_delay_alu instid0(VALU_DEP_1) | instskip(SKIP_3) | instid1(VALU_DEP_2)
	v_add3_u32 v120, v27 /*v283*/, v120, v124
	s_set_vgpr_msb 0                        ;  msbs: dst=0 src0=0 src1=0 src2=0
	v_mul_i32_i24_e32 v124, v85, v242
	v_mul_i32_i24_e32 v85, v85, v107
	v_add3_u32 v117, v117, v47, v124
	v_mul_i32_i24_e32 v47, v100, v246
	v_mul_i32_i24_e32 v124, v2, v247
	s_set_vgpr_msb 4                        ;  msbs: dst=0 src0=0 src1=1 src2=0
	v_mul_i32_i24_e32 v2, v2, v13 /*v269*/
	s_set_vgpr_msb 1                        ;  msbs: dst=0 src0=1 src1=0 src2=0
	s_delay_alu instid0(VALU_DEP_2) | instskip(SKIP_3) | instid1(VALU_DEP_1)
	v_add3_u32 v124, v30 /*v286*/, v47, v124
	s_set_vgpr_msb 0                        ;  msbs: dst=0 src0=0 src1=0 src2=0
	v_mul_i32_i24_e32 v47, v108, v243
	s_set_vgpr_msb 1                        ;  msbs: dst=0 src0=1 src1=0 src2=0
	v_add3_u32 v129, v28 /*v284*/, v47, v129
	s_set_vgpr_msb 4                        ;  msbs: dst=0 src0=0 src1=1 src2=0
	v_mul_i32_i24_e32 v47, v108, v3 /*v259*/
	s_set_vgpr_msb 1                        ;  msbs: dst=0 src0=1 src1=0 src2=0
	s_delay_alu instid0(VALU_DEP_1) | instskip(SKIP_3) | instid1(VALU_DEP_1)
	v_add3_u32 v133, v34 /*v290*/, v47, v133
	s_set_vgpr_msb 4                        ;  msbs: dst=0 src0=0 src1=1 src2=0
	v_mul_i32_i24_e32 v47, v100, v8 /*v264*/
	s_set_vgpr_msb 1                        ;  msbs: dst=0 src0=1 src1=0 src2=0
	v_add3_u32 v136, v29 /*v285*/, v47, v136
	s_set_vgpr_msb 4                        ;  msbs: dst=0 src0=0 src1=1 src2=0
	v_mul_i32_i24_e32 v47, v108, v11 /*v267*/
	s_set_vgpr_msb 1                        ;  msbs: dst=0 src0=1 src1=0 src2=0
	s_delay_alu instid0(VALU_DEP_1) | instskip(SKIP_3) | instid1(VALU_DEP_1)
	v_add3_u32 v137, v31 /*v287*/, v47, v137
	s_set_vgpr_msb 0                        ;  msbs: dst=0 src0=0 src1=0 src2=0
	v_mul_i32_i24_e32 v47, v100, v248
	s_set_vgpr_msb 1                        ;  msbs: dst=0 src0=1 src1=0 src2=0
	v_add3_u32 v138, v32 /*v288*/, v47, v138
	s_set_vgpr_msb 0                        ;  msbs: dst=0 src0=0 src1=0 src2=0
	v_mul_i32_i24_e32 v47, v108, v252
	s_set_vgpr_msb 1                        ;  msbs: dst=0 src0=1 src1=0 src2=0
	s_delay_alu instid0(VALU_DEP_1) | instskip(SKIP_3) | instid1(VALU_DEP_1)
	v_add3_u32 v140, v33 /*v289*/, v47, v140
	s_set_vgpr_msb 4                        ;  msbs: dst=0 src0=0 src1=1 src2=0
	v_mul_i32_i24_e32 v47, v108, v0 /*v256*/
	s_set_vgpr_msb 1                        ;  msbs: dst=0 src0=1 src1=0 src2=0
	v_add3_u32 v141, v35 /*v291*/, v47, v141
	s_set_vgpr_msb 4                        ;  msbs: dst=0 src0=0 src1=1 src2=0
	v_mul_i32_i24_e32 v47, v100, v14 /*v270*/
	s_set_vgpr_msb 0                        ;  msbs: dst=0 src0=0 src1=0 src2=0
	s_delay_alu instid0(VALU_DEP_1) | instskip(SKIP_1) | instid1(VALU_DEP_1)
	v_add3_u32 v2, v103, v47, v2
	v_mul_i32_i24_e32 v47, v108, v109
	v_add3_u32 v84, v84, v47, v85
	v_and_b32_e32 v47, 3, v9
	v_bfe_u32 v85, v9, 8, 2
	s_delay_alu instid0(VALU_DEP_2) | instskip(NEXT) | instid1(VALU_DEP_2)
	v_mul_i32_i24_e32 v100, v47, v235
	v_mul_i32_i24_e32 v103, v85, v236
	;; [unrolled: 1-line block ×3, first 2 shown]
	s_delay_alu instid0(VALU_DEP_2) | instskip(SKIP_2) | instid1(VALU_DEP_2)
	v_add3_u32 v100, v201, v100, v103
	v_ashrrev_i32_e32 v103, s18, v11
	v_mul_i32_i24_e32 v201, v146, v238
	v_and_b32_e32 v11, 3, v103
	v_bfe_u32 v107, v103, 8, 2
	s_delay_alu instid0(VALU_DEP_2) | instskip(NEXT) | instid1(VALU_DEP_2)
	v_mul_i32_i24_e32 v108, v11, v235
	v_mul_i32_i24_e32 v109, v107, v236
	;; [unrolled: 1-line block ×3, first 2 shown]
	s_delay_alu instid0(VALU_DEP_2) | instskip(SKIP_1) | instid1(VALU_DEP_1)
	v_add3_u32 v108, v203, v108, v109
	v_ashrrev_i32_e32 v109, s18, v13
	v_and_b32_e32 v13, 3, v109
	v_bfe_u32 v143, v109, 8, 2
	s_delay_alu instid0(VALU_DEP_2) | instskip(NEXT) | instid1(VALU_DEP_2)
	v_mul_i32_i24_e32 v144, v13, v181
	v_mul_i32_i24_e32 v145, v143, v182
	;; [unrolled: 1-line block ×3, first 2 shown]
	s_delay_alu instid0(VALU_DEP_2) | instskip(SKIP_2) | instid1(VALU_DEP_2)
	v_add3_u32 v144, v193, v144, v145
	v_and_b32_e32 v145, 3, v3
	v_mul_i32_i24_e32 v193, v107, v31
	v_mul_i32_i24_e32 v150, v145, v29
	s_delay_alu instid0(VALU_DEP_1) | instskip(SKIP_2) | instid1(VALU_DEP_1)
	v_add3_u32 v116, v116, v150, v158
	v_mul_i32_i24_e32 v150, v13, v33
	v_mul_i32_i24_e32 v158, v143, v32
	v_add3_u32 v134, v134, v150, v158
	v_mul_i32_i24_e32 v150, v145, v171
	v_mul_i32_i24_e32 v158, v146, v169
	s_delay_alu instid0(VALU_DEP_1) | instskip(SKIP_2) | instid1(VALU_DEP_2)
	v_add3_u32 v148, v148, v150, v158
	v_and_b32_e32 v150, 3, v5
	v_bfe_u32 v158, v5, 8, 2
	v_mul_i32_i24_e32 v159, v150, v181
	s_delay_alu instid0(VALU_DEP_2) | instskip(SKIP_1) | instid1(VALU_DEP_2)
	v_mul_i32_i24_e32 v191, v158, v182
	v_mul_i32_i24_e32 v197, v158, v234
	v_add3_u32 v191, v196, v159, v191
	v_mul_i32_i24_e32 v159, v11, v29
	s_delay_alu instid0(VALU_DEP_1) | instskip(SKIP_2) | instid1(VALU_DEP_1)
	v_add3_u32 v132, v132, v159, v193
	v_mul_i32_i24_e32 v159, v150, v33
	v_mul_i32_i24_e32 v193, v158, v32
	v_add3_u32 v142, v142, v159, v193
	v_mul_i32_i24_e32 v159, v11, v171
	v_mul_i32_i24_e32 v193, v107, v169
	s_delay_alu instid0(VALU_DEP_1) | instskip(SKIP_2) | instid1(VALU_DEP_1)
	v_add3_u32 v193, v194, v159, v193
	v_mul_i32_i24_e32 v159, v47, v29
	v_mul_i32_i24_e32 v194, v85, v31
	v_add3_u32 v112, v112, v159, v194
	v_and_b32_e32 v159, 3, v1
	v_bfe_u32 v194, v1, 8, 2
	s_delay_alu instid0(VALU_DEP_2) | instskip(NEXT) | instid1(VALU_DEP_2)
	v_mul_i32_i24_e32 v195, v159, v33
	v_mul_i32_i24_e32 v196, v194, v32
	s_delay_alu instid0(VALU_DEP_1) | instskip(SKIP_2) | instid1(VALU_DEP_1)
	v_add3_u32 v126, v126, v195, v196
	v_mul_i32_i24_e32 v195, v159, v189
	v_mul_i32_i24_e32 v196, v194, v234
	v_add3_u32 v195, v204, v195, v196
	v_mul_i32_i24_e32 v196, v150, v189
	v_mul_i32_i24_e32 v204, v107, v184
	s_delay_alu instid0(VALU_DEP_2) | instskip(SKIP_2) | instid1(VALU_DEP_2)
	v_add3_u32 v196, v206, v196, v197
	v_mul_i32_i24_e32 v197, v145, v237
	v_mul_i32_i24_e32 v206, v143, v186
	v_add3_u32 v197, v209, v197, v201
	v_mul_i32_i24_e32 v201, v13, v239
	v_mul_i32_i24_e32 v209, v158, v187
	s_delay_alu instid0(VALU_DEP_2) | instskip(SKIP_2) | instid1(VALU_DEP_2)
	v_add3_u32 v201, v210, v201, v203
	v_mul_i32_i24_e32 v203, v11, v183
	v_mul_i32_i24_e32 v210, v85, v184
	v_add3_u32 v200, v200, v203, v204
	v_mul_i32_i24_e32 v203, v145, v179
	v_mul_i32_i24_e32 v204, v146, v180
	s_delay_alu instid0(VALU_DEP_1) | instskip(SKIP_3) | instid1(VALU_DEP_2)
	v_add3_u32 v203, v231, v203, v204
	v_mul_i32_i24_e32 v204, v13, v188
	v_mul_i32_i24_e32 v231, v143, v234
	s_set_vgpr_msb 1                        ;  msbs: dst=0 src0=1 src1=0 src2=0
	v_add3_u32 v204, v41 /*v297*/, v204, v206
	s_set_vgpr_msb 0                        ;  msbs: dst=0 src0=0 src1=0 src2=0
	v_mul_i32_i24_e32 v206, v150, v185
	s_set_vgpr_msb 1                        ;  msbs: dst=0 src0=1 src1=0 src2=0
	s_delay_alu instid0(VALU_DEP_1) | instskip(SKIP_2) | instid1(VALU_DEP_1)
	v_add3_u32 v206, v39 /*v295*/, v206, v209
	s_set_vgpr_msb 0                        ;  msbs: dst=0 src0=0 src1=0 src2=0
	v_mul_i32_i24_e32 v209, v47, v183
	v_add3_u32 v198, v198, v209, v210
	v_mul_i32_i24_e32 v209, v47, v171
	v_mul_i32_i24_e32 v210, v85, v169
	s_delay_alu instid0(VALU_DEP_1) | instskip(SKIP_2) | instid1(VALU_DEP_1)
	v_add3_u32 v139, v139, v209, v210
	v_mul_i32_i24_e32 v209, v159, v181
	v_mul_i32_i24_e32 v210, v194, v182
	v_add3_u32 v147, v147, v209, v210
	v_mul_i32_i24_e32 v209, v159, v185
	v_mul_i32_i24_e32 v210, v194, v187
	s_delay_alu instid0(VALU_DEP_1) | instskip(SKIP_2) | instid1(VALU_DEP_2)
	v_add3_u32 v209, v232, v209, v210
	v_mul_i32_i24_e32 v210, v13, v189
	v_mul_i32_i24_e32 v232, v146, v236
	v_add3_u32 v205, v205, v210, v231
	v_mul_i32_i24_e32 v210, v145, v183
	v_mul_i32_i24_e32 v231, v146, v184
	s_delay_alu instid0(VALU_DEP_1) | instskip(SKIP_2) | instid1(VALU_DEP_1)
	v_add3_u32 v199, v199, v210, v231
	v_mul_i32_i24_e32 v210, v13, v185
	v_mul_i32_i24_e32 v231, v143, v187
	v_add3_u32 v210, v233, v210, v231
	v_mul_i32_i24_e32 v231, v145, v235
	v_mul_i32_i24_e32 v233, v158, v186
	s_delay_alu instid0(VALU_DEP_2) | instskip(SKIP_2) | instid1(VALU_DEP_1)
	v_add3_u32 v202, v202, v231, v232
	v_mul_i32_i24_e32 v231, v150, v239
	v_mul_i32_i24_e32 v232, v158, v240
	v_add3_u32 v229, v229, v231, v232
	v_mul_i32_i24_e32 v231, v11, v179
	v_mul_i32_i24_e32 v232, v107, v180
	s_set_vgpr_msb 1                        ;  msbs: dst=0 src0=1 src1=0 src2=0
	s_delay_alu instid0(VALU_DEP_1) | instskip(SKIP_3) | instid1(VALU_DEP_1)
	v_add3_u32 v231, v44 /*v300*/, v231, v232
	s_set_vgpr_msb 0                        ;  msbs: dst=0 src0=0 src1=0 src2=0
	v_mul_i32_i24_e32 v232, v150, v188
	s_set_vgpr_msb 1                        ;  msbs: dst=0 src0=1 src1=0 src2=0
	v_add3_u32 v232, v45 /*v301*/, v232, v233
	s_set_vgpr_msb 0                        ;  msbs: dst=0 src0=0 src1=0 src2=0
	v_mul_i32_i24_e32 v233, v11, v237
	s_delay_alu instid0(VALU_DEP_1) | instskip(SKIP_2) | instid1(VALU_DEP_1)
	v_add3_u32 v228, v228, v233, v242
	v_mul_i32_i24_e32 v233, v47, v179
	v_mul_i32_i24_e32 v242, v85, v180
	v_add3_u32 v230, v230, v233, v242
	v_mul_i32_i24_e32 v233, v47, v237
	v_mul_i32_i24_e32 v242, v85, v238
	s_set_vgpr_msb 4                        ;  msbs: dst=0 src0=0 src1=1 src2=0
	v_mul_i32_i24_e32 v85, v85, v98 /*v354*/
	s_set_vgpr_msb 0                        ;  msbs: dst=0 src0=0 src1=0 src2=0
	s_delay_alu instid0(VALU_DEP_2) | instskip(SKIP_2) | instid1(VALU_DEP_1)
	v_add3_u32 v207, v207, v233, v242
	v_mul_i32_i24_e32 v233, v159, v239
	v_mul_i32_i24_e32 v242, v194, v240
	v_add3_u32 v208, v208, v233, v242
	v_mul_i32_i24_e32 v233, v159, v188
	v_mul_i32_i24_e32 v242, v194, v186
	s_set_vgpr_msb 1                        ;  msbs: dst=0 src0=1 src1=0 src2=0
	s_delay_alu instid0(VALU_DEP_1) | instskip(SKIP_4) | instid1(VALU_DEP_2)
	v_add3_u32 v233, v42 /*v298*/, v233, v242
	s_set_vgpr_msb 0                        ;  msbs: dst=0 src0=0 src1=0 src2=0
	v_mul_i32_i24_e32 v242, v47, v177
	v_mul_i32_i24_e32 v47, v47, v241
	s_set_vgpr_msb 0x41                     ;  msbs: dst=1 src0=1 src1=0 src2=0
	v_add3_u32 v11 /*v267*/, v46 /*v302*/, v242, v243
	s_set_vgpr_msb 0                        ;  msbs: dst=0 src0=0 src1=0 src2=0
	s_delay_alu instid0(VALU_DEP_2)
	v_add3_u32 v85, v105, v47, v85
	v_mul_i32_i24_e32 v47, v145, v241
	s_set_vgpr_msb 4                        ;  msbs: dst=0 src0=0 src1=1 src2=0
	v_mul_i32_i24_e32 v105, v146, v98 /*v354*/
	s_set_vgpr_msb 0                        ;  msbs: dst=0 src0=0 src1=0 src2=0
	v_ashrrev_i32_e32 v243, s18, v7
	s_lshr_b32 s18, s17, 2
	s_add_co_i32 s17, s17, 2
	s_and_b32 s18, s18, 0x3ffffffc
	v_add3_u32 v105, v113, v47, v105
	v_mul_i32_i24_e32 v47, v13, v176
	v_mul_i32_i24_e32 v113, v143, v174
	;; [unrolled: 1-line block ×3, first 2 shown]
	v_and_b32_e32 v7, 3, v243
	s_addk_co_i32 s18, 0x7280
	s_cmp_lt_u32 s17, s11
	v_add3_u32 v113, v122, v47, v113
	v_mul_i32_i24_e32 v47, v159, v97
	v_mul_i32_i24_e32 v122, v194, v96
	s_delay_alu instid0(VALU_DEP_1)
	v_add3_u32 v0, v0, v47, v122
	v_mul_i32_i24_e32 v47, v159, v176
	v_mul_i32_i24_e32 v122, v194, v174
	s_set_vgpr_msb 5                        ;  msbs: dst=0 src0=1 src1=1 src2=0
	v_mad_i32_i24 v159, v15 /*v271*/, v17 /*v273*/, v190
	s_set_vgpr_msb 1                        ;  msbs: dst=0 src0=1 src1=0 src2=0
	s_delay_alu instid0(VALU_DEP_2) | instskip(SKIP_3) | instid1(VALU_DEP_1)
	v_add3_u32 v122, v47 /*v303*/, v47, v122
	s_set_vgpr_msb 0                        ;  msbs: dst=0 src0=0 src1=0 src2=0
	v_mul_i32_i24_e32 v47, v145, v177
	v_mul_i32_i24_e32 v145, v146, v178
	v_add3_u32 v114, v114, v47, v145
	v_mul_i32_i24_e32 v47, v143, v96
	s_delay_alu instid0(VALU_DEP_1) | instskip(SKIP_3) | instid1(VALU_DEP_2)
	v_add3_u32 v115, v115, v13, v47
	v_mul_i32_i24_e32 v13, v11, v177
	v_mul_i32_i24_e32 v47, v107, v178
	;; [unrolled: 1-line block ×3, first 2 shown]
	v_add3_u32 v123, v123, v13, v47
	v_mul_i32_i24_e32 v13, v150, v97
	v_mul_i32_i24_e32 v47, v158, v96
	s_delay_alu instid0(VALU_DEP_1)
	v_add3_u32 v4, v4, v13, v47
	s_set_vgpr_msb 4                        ;  msbs: dst=0 src0=0 src1=1 src2=0
	v_mul_i32_i24_e32 v13, v107, v98 /*v354*/
	v_add3_u32 v47, v106, v37 /*v293*/, v102
	v_bfe_u32 v102, v243, 8, 2
	s_set_vgpr_msb 0                        ;  msbs: dst=0 src0=0 src1=0 src2=0
	s_delay_alu instid0(VALU_DEP_3)
	v_add3_u32 v107, v121, v11, v13
	v_mul_i32_i24_e32 v11, v150, v176
	v_mul_i32_i24_e32 v13, v158, v174
	s_set_vgpr_msb 1                        ;  msbs: dst=0 src0=1 src1=0 src2=0
	v_mad_i32_i24 v150, v19 /*v275*/, v128, v135
	v_mad_i32_i24 v158, v15 /*v271*/, v192, v149
	s_set_vgpr_msb 0                        ;  msbs: dst=0 src0=0 src1=0 src2=0
	v_add3_u32 v121, v127, v11, v13
	v_mul_i32_i24_e32 v11, v7, v171
	v_mul_i32_i24_e32 v13, v102, v169
	s_delay_alu instid0(VALU_DEP_1) | instskip(SKIP_2) | instid1(VALU_DEP_1)
	v_add3_u32 v13, v104, v11, v13
	v_mul_i32_i24_e32 v11, v7, v29
	v_mul_i32_i24_e32 v29, v102, v31
	v_add3_u32 v242, v101, v11, v29
	v_bfe_u32 v29, v244, 8, 2
	v_mul_i32_i24_e32 v11, v15, v33
	s_delay_alu instid0(VALU_DEP_2) | instskip(SKIP_1) | instid1(VALU_DEP_2)
	v_mul_i32_i24_e32 v31, v29, v32
	v_mul_i32_i24_e32 v32, v29, v182
	v_add3_u32 v11, v117, v11, v31
	v_mul_i32_i24_e32 v31, v15, v181
	s_delay_alu instid0(VALU_DEP_1) | instskip(SKIP_2) | instid1(VALU_DEP_1)
	v_add3_u32 v169, v110, v31, v32
	v_mul_i32_i24_e32 v31, v7, v177
	v_mul_i32_i24_e32 v32, v102, v178
	v_add3_u32 v247, v124, v31, v32
	v_mul_i32_i24_e32 v31, v15, v176
	v_mul_i32_i24_e32 v32, v29, v174
	s_delay_alu instid0(VALU_DEP_1) | instskip(SKIP_2) | instid1(VALU_DEP_1)
	v_add3_u32 v246, v129, v31, v32
	v_mul_i32_i24_e32 v31, v7, v235
	v_mul_i32_i24_e32 v32, v102, v236
	v_add3_u32 v174, v120, v31, v32
	v_mul_i32_i24_e32 v31, v7, v183
	;; [unrolled: 7-line block ×4, first 2 shown]
	v_mul_i32_i24_e32 v32, v102, v238
	v_mul_i32_i24_e32 v7, v7, v241
	s_delay_alu instid0(VALU_DEP_2) | instskip(SKIP_2) | instid1(VALU_DEP_1)
	v_add3_u32 v189, v136, v31, v32
	v_mul_i32_i24_e32 v31, v15, v239
	v_mul_i32_i24_e32 v32, v29, v240
	v_add3_u32 v180, v137, v31, v32
	v_mul_i32_i24_e32 v31, v15, v188
	v_mul_i32_i24_e32 v32, v29, v186
	s_delay_alu instid0(VALU_DEP_1) | instskip(SKIP_3) | instid1(VALU_DEP_1)
	v_add3_u32 v188, v141, v31, v32
	s_set_vgpr_msb 4                        ;  msbs: dst=0 src0=0 src1=1 src2=0
	v_mul_i32_i24_e32 v31, v102, v98 /*v354*/
	s_set_vgpr_msb 0                        ;  msbs: dst=0 src0=0 src1=0 src2=0
	v_add3_u32 v183, v2, v7, v31
	v_mul_i32_i24_e32 v2, v15, v97
	v_mul_i32_i24_e32 v7, v29, v96
	s_delay_alu instid0(VALU_DEP_1) | instskip(SKIP_2) | instid1(VALU_DEP_2)
	v_add3_u32 v184, v84, v2, v7
	v_lshrrev_b32_e32 v2, 24, v9
	v_bfe_u32 v7, v9, 16, 2
	v_and_b32_e32 v2, 3, v2
	s_delay_alu instid0(VALU_DEP_2) | instskip(NEXT) | instid1(VALU_DEP_2)
	v_mul_i32_i24_e32 v9, v7, v28
	v_mul_i32_i24_e32 v15, v2, v30
	s_delay_alu instid0(VALU_DEP_1) | instskip(SKIP_2) | instid1(VALU_DEP_2)
	v_add3_u32 v186, v112, v9, v15
	v_lshrrev_b32_e32 v9, 24, v1
	v_bfe_u32 v1, v1, 16, 2
	v_and_b32_e32 v9, 3, v9
	s_delay_alu instid0(VALU_DEP_2) | instskip(NEXT) | instid1(VALU_DEP_2)
	v_mul_i32_i24_e32 v15, v1, v24
	v_mul_i32_i24_e32 v29, v9, v25
	s_delay_alu instid0(VALU_DEP_1) | instskip(SKIP_1) | instid1(VALU_DEP_1)
	v_add3_u32 v182, v126, v15, v29
	v_dual_lshrrev_b32 v15, 24, v3 :: v_dual_lshrrev_b32 v3, 16, v3
	v_and_b32_e32 v29, 3, v15
	s_delay_alu instid0(VALU_DEP_2) | instskip(NEXT) | instid1(VALU_DEP_2)
	v_and_b32_e32 v3, 3, v3
	v_mul_i32_i24_e32 v15, v29, v30
	s_delay_alu instid0(VALU_DEP_2) | instskip(NEXT) | instid1(VALU_DEP_1)
	v_mul_i32_i24_e32 v31, v3, v28
	v_add3_u32 v176, v116, v31, v15
	v_dual_lshrrev_b32 v15, 24, v109 :: v_dual_lshrrev_b32 v31, 16, v109
	v_mul_i32_i24_e32 v84, v3, v26
	s_delay_alu instid0(VALU_DEP_2) | instskip(NEXT) | instid1(VALU_DEP_3)
	v_and_b32_e32 v32, 3, v15
	v_and_b32_e32 v31, 3, v31
	s_delay_alu instid0(VALU_DEP_2) | instskip(NEXT) | instid1(VALU_DEP_2)
	v_mul_i32_i24_e32 v15, v32, v37
	v_mul_i32_i24_e32 v33, v31, v36
	s_delay_alu instid0(VALU_DEP_1) | instskip(SKIP_1) | instid1(VALU_DEP_1)
	v_add3_u32 v15, v144, v33, v15
	v_mul_i32_i24_e32 v33, v29, v27
	v_add3_u32 v181, v148, v84, v33
	v_mul_i32_i24_e32 v33, v32, v25
	v_mul_i32_i24_e32 v84, v31, v24
	s_delay_alu instid0(VALU_DEP_1) | instskip(SKIP_2) | instid1(VALU_DEP_1)
	v_add3_u32 v234, v134, v84, v33
	v_mul_i32_i24_e32 v33, v3, v41
	v_mul_i32_i24_e32 v84, v29, v38
	v_add3_u32 v187, v203, v33, v84
	v_dual_lshrrev_b32 v33, 16, v103 :: v_dual_lshrrev_b32 v84, 24, v103
	s_delay_alu instid0(VALU_DEP_1) | instskip(NEXT) | instid1(VALU_DEP_2)
	v_and_b32_e32 v33, 3, v33
	v_and_b32_e32 v84, 3, v84
	s_delay_alu instid0(VALU_DEP_2) | instskip(NEXT) | instid1(VALU_DEP_2)
	v_mul_i32_i24_e32 v96, v33, v43
	v_mul_i32_i24_e32 v97, v84, v42
	s_delay_alu instid0(VALU_DEP_1) | instskip(SKIP_1) | instid1(VALU_DEP_1)
	v_add3_u32 v171, v200, v96, v97
	v_dual_lshrrev_b32 v96, 16, v5 :: v_dual_lshrrev_b32 v5, 24, v5
	v_and_b32_e32 v96, 3, v96
	s_delay_alu instid0(VALU_DEP_2) | instskip(NEXT) | instid1(VALU_DEP_2)
	v_and_b32_e32 v5, 3, v5
	v_mul_i32_i24_e32 v97, v96, v46
	s_delay_alu instid0(VALU_DEP_2) | instskip(NEXT) | instid1(VALU_DEP_1)
	v_mul_i32_i24_e32 v101, v5, v48
	v_add3_u32 v177, v206, v97, v101
	v_mul_i32_i24_e32 v97, v31, v44
	v_mul_i32_i24_e32 v101, v32, v45
	s_delay_alu instid0(VALU_DEP_1) | instskip(SKIP_2) | instid1(VALU_DEP_1)
	v_add3_u32 v237, v204, v97, v101
	v_mul_i32_i24_e32 v97, v84, v30
	v_mul_i32_i24_e32 v101, v33, v28
	v_add3_u32 v235, v132, v101, v97
	v_mul_i32_i24_e32 v97, v5, v37
	v_mul_i32_i24_e32 v101, v96, v36
	s_delay_alu instid0(VALU_DEP_1) | instskip(SKIP_2) | instid1(VALU_DEP_1)
	v_add3_u32 v185, v191, v101, v97
	v_mul_i32_i24_e32 v97, v84, v27
	v_mul_i32_i24_e32 v101, v33, v26
	v_add3_u32 v236, v193, v101, v97
	v_mul_i32_i24_e32 v97, v5, v25
	v_mul_i32_i24_e32 v101, v96, v24
	s_delay_alu instid0(VALU_DEP_1) | instskip(SKIP_2) | instid1(VALU_DEP_1)
	v_add3_u32 v238, v142, v101, v97
	v_mul_i32_i24_e32 v97, v1, v49
	v_mul_i32_i24_e32 v101, v9, v50
	v_add3_u32 v249, v195, v97, v101
	v_mul_i32_i24_e32 v97, v7, v26
	v_mul_i32_i24_e32 v101, v2, v27
	s_set_vgpr_msb 64                       ;  msbs: dst=1 src0=0 src1=0 src2=0
	s_delay_alu instid0(VALU_DEP_1) | instskip(SKIP_4) | instid1(VALU_DEP_1)
	v_add3_u32 v0 /*v256*/, v139, v97, v101
	s_set_vgpr_msb 0                        ;  msbs: dst=0 src0=0 src1=0 src2=0
	v_mul_i32_i24_e32 v97, v7, v43
	v_mul_i32_i24_e32 v101, v2, v42
	s_set_vgpr_msb 64                       ;  msbs: dst=1 src0=0 src1=0 src2=0
	v_add3_u32 v5 /*v261*/, v198, v97, v101
	s_set_vgpr_msb 0                        ;  msbs: dst=0 src0=0 src1=0 src2=0
	v_mul_i32_i24_e32 v97, v1, v46
	v_mul_i32_i24_e32 v101, v9, v48
	s_delay_alu instid0(VALU_DEP_1) | instskip(SKIP_3) | instid1(VALU_DEP_1)
	v_add3_u32 v254, v209, v97, v101
	v_mul_i32_i24_e32 v97, v1, v36
	v_mul_i32_i24_e32 v101, v9, v37
	s_set_vgpr_msb 64                       ;  msbs: dst=1 src0=0 src1=0 src2=0
	v_add3_u32 v1 /*v257*/, v147, v97, v101
	s_set_vgpr_msb 0                        ;  msbs: dst=0 src0=0 src1=0 src2=0
	v_mul_i32_i24_e32 v97, v7, v51
	v_mul_i32_i24_e32 v101, v2, v52
	s_set_vgpr_msb 64                       ;  msbs: dst=1 src0=0 src1=0 src2=0
	s_delay_alu instid0(VALU_DEP_1) | instskip(SKIP_3) | instid1(VALU_DEP_1)
	v_add3_u32 v8 /*v264*/, v100, v97, v101
	s_set_vgpr_msb 0                        ;  msbs: dst=0 src0=0 src1=0 src2=0
	v_mul_i32_i24_e32 v97, v33, v51
	v_mul_i32_i24_e32 v100, v84, v52
	v_add3_u32 v239, v108, v97, v100
	v_mul_i32_i24_e32 v97, v3, v51
	v_mul_i32_i24_e32 v100, v29, v52
	s_delay_alu instid0(VALU_DEP_1) | instskip(SKIP_2) | instid1(VALU_DEP_1)
	v_add3_u32 v250, v202, v97, v100
	v_mul_i32_i24_e32 v97, v31, v46
	v_mul_i32_i24_e32 v100, v32, v48
	v_add3_u32 v255, v210, v97, v100
	v_mul_i32_i24_e32 v97, v29, v42
	v_mul_i32_i24_e32 v100, v3, v43
	s_set_vgpr_msb 64                       ;  msbs: dst=1 src0=0 src1=0 src2=0
	s_delay_alu instid0(VALU_DEP_1) | instskip(SKIP_3) | instid1(VALU_DEP_1)
	v_add3_u32 v3 /*v259*/, v199, v100, v97
	s_set_vgpr_msb 0                        ;  msbs: dst=0 src0=0 src1=0 src2=0
	v_mul_i32_i24_e32 v97, v32, v50
	v_mul_i32_i24_e32 v100, v31, v49
	v_add3_u32 v253, v205, v100, v97
	v_mul_i32_i24_e32 v97, v5, v50
	v_mul_i32_i24_e32 v100, v96, v49
	s_delay_alu instid0(VALU_DEP_1) | instskip(SKIP_3) | instid1(VALU_DEP_1)
	v_add3_u32 v240, v196, v100, v97
	v_mul_i32_i24_e32 v97, v3, v53
	v_mul_i32_i24_e32 v100, v29, v54
	s_set_vgpr_msb 64                       ;  msbs: dst=1 src0=0 src1=0 src2=0
	v_add3_u32 v6 /*v262*/, v197, v97, v100
	s_set_vgpr_msb 0                        ;  msbs: dst=0 src0=0 src1=0 src2=0
	v_mul_i32_i24_e32 v97, v33, v53
	v_mul_i32_i24_e32 v100, v84, v54
	s_delay_alu instid0(VALU_DEP_1) | instskip(SKIP_2) | instid1(VALU_DEP_1)
	v_add3_u32 v251, v228, v97, v100
	v_mul_i32_i24_e32 v97, v96, v44
	v_mul_i32_i24_e32 v100, v5, v45
	v_add3_u32 v241, v232, v97, v100
	v_mul_i32_i24_e32 v97, v33, v41
	v_mul_i32_i24_e32 v100, v84, v38
	s_delay_alu instid0(VALU_DEP_1) | instskip(SKIP_3) | instid1(VALU_DEP_1)
	v_add3_u32 v252, v231, v97, v100
	v_mul_i32_i24_e32 v97, v96, v55
	v_mul_i32_i24_e32 v100, v5, v56
	s_set_vgpr_msb 64                       ;  msbs: dst=1 src0=0 src1=0 src2=0
	v_add3_u32 v4 /*v260*/, v229, v97, v100
	s_set_vgpr_msb 0                        ;  msbs: dst=0 src0=0 src1=0 src2=0
	v_mul_i32_i24_e32 v97, v7, v53
	v_mul_i32_i24_e32 v100, v2, v54
	s_set_vgpr_msb 64                       ;  msbs: dst=1 src0=0 src1=0 src2=0
	s_delay_alu instid0(VALU_DEP_1) | instskip(SKIP_4) | instid1(VALU_DEP_1)
	v_add3_u32 v16 /*v272*/, v207, v97, v100
	s_set_vgpr_msb 0                        ;  msbs: dst=0 src0=0 src1=0 src2=0
	v_mul_i32_i24_e32 v97, v7, v41
	v_mul_i32_i24_e32 v100, v2, v38
	s_set_vgpr_msb 64                       ;  msbs: dst=1 src0=0 src1=0 src2=0
	v_add3_u32 v19 /*v275*/, v230, v97, v100
	s_set_vgpr_msb 0                        ;  msbs: dst=0 src0=0 src1=0 src2=0
	v_mul_i32_i24_e32 v97, v31, v55
	v_mul_i32_i24_e32 v100, v32, v56
	s_set_vgpr_msb 64                       ;  msbs: dst=1 src0=0 src1=0 src2=0
	s_delay_alu instid0(VALU_DEP_1) | instskip(SKIP_4) | instid1(VALU_DEP_1)
	v_add3_u32 v9 /*v265*/, v201, v97, v100
	s_set_vgpr_msb 0                        ;  msbs: dst=0 src0=0 src1=0 src2=0
	v_mul_i32_i24_e32 v97, v1, v44
	v_mul_i32_i24_e32 v100, v9, v45
	s_set_vgpr_msb 64                       ;  msbs: dst=1 src0=0 src1=0 src2=0
	v_add3_u32 v15 /*v271*/, v233, v97, v100
	s_set_vgpr_msb 0                        ;  msbs: dst=0 src0=0 src1=0 src2=0
	v_mul_i32_i24_e32 v97, v1, v55
	v_mul_i32_i24_e32 v100, v9, v56
	s_set_vgpr_msb 64                       ;  msbs: dst=1 src0=0 src1=0 src2=0
	s_delay_alu instid0(VALU_DEP_1)
	v_add3_u32 v18 /*v274*/, v208, v97, v100
	s_set_vgpr_msb 0                        ;  msbs: dst=0 src0=0 src1=0 src2=0
	v_mul_i32_i24_e32 v97, v7, v58
	v_mul_i32_i24_e32 v100, v2, v57
	;; [unrolled: 1-line block ×4, first 2 shown]
	s_set_vgpr_msb 64                       ;  msbs: dst=1 src0=0 src1=0 src2=0
	s_delay_alu instid0(VALU_DEP_3)
	v_add3_u32 v22 /*v278*/, v85, v97, v100
	s_set_vgpr_msb 1                        ;  msbs: dst=0 src0=1 src1=0 src2=0
	v_cvt_f32_i32_e32 v85, v7 /*v263*/
	s_set_vgpr_msb 0x41                     ;  msbs: dst=1 src0=1 src1=0 src2=0
	v_add3_u32 v24 /*v280*/, v11 /*v267*/, v7, v2
	s_set_vgpr_msb 0                        ;  msbs: dst=0 src0=0 src1=0 src2=0
	v_mul_i32_i24_e32 v2, v31, v34
	v_mul_i32_i24_e32 v7, v32, v35
	s_set_vgpr_msb 64                       ;  msbs: dst=1 src0=0 src1=0 src2=0
	s_delay_alu instid0(VALU_DEP_1)
	v_add3_u32 v11 /*v267*/, v113, v2, v7
	s_set_vgpr_msb 0                        ;  msbs: dst=0 src0=0 src1=0 src2=0
	v_mul_i32_i24_e32 v2, v3, v58
	v_mul_i32_i24_e32 v7, v29, v175
	v_cvt_f32_i32_e32 v113, v47
	s_set_vgpr_msb 64                       ;  msbs: dst=1 src0=0 src1=0 src2=0
	s_delay_alu instid0(VALU_DEP_2)
	v_add3_u32 v17 /*v273*/, v105, v2, v7
	s_set_vgpr_msb 0                        ;  msbs: dst=0 src0=0 src1=0 src2=0
	v_mul_i32_i24_e32 v2, v1, v34
	v_mul_i32_i24_e32 v7, v9, v35
	;; [unrolled: 1-line block ×3, first 2 shown]
	s_set_vgpr_msb 64                       ;  msbs: dst=1 src0=0 src1=0 src2=0
	s_delay_alu instid0(VALU_DEP_2)
	v_add3_u32 v23 /*v279*/, v122, v2, v7
	s_set_vgpr_msb 0                        ;  msbs: dst=0 src0=0 src1=0 src2=0
	v_mul_i32_i24_e32 v2, v9, v162
	s_set_vgpr_msb 20                       ;  msbs: dst=0 src0=0 src1=1 src2=1
	v_add3_u32 v7, s18, v215 /*v471*/, v214 /*v470*/
	s_set_vgpr_msb 1                        ;  msbs: dst=0 src0=1 src1=0 src2=0
	v_cvt_f32_i32_e32 v9, v2 /*v258*/
	s_set_vgpr_msb 64                       ;  msbs: dst=1 src0=0 src1=0 src2=0
	v_add3_u32 v25 /*v281*/, v0, v1, v2
	s_set_vgpr_msb 0                        ;  msbs: dst=0 src0=0 src1=0 src2=0
	v_mul_i32_i24_e32 v0, v31, v163
	v_mul_i32_i24_e32 v1, v32, v162
	v_cvt_f32_i32_e32 v2, v125
	s_set_vgpr_msb 64                       ;  msbs: dst=1 src0=0 src1=0 src2=0
	s_delay_alu instid0(VALU_DEP_2)
	v_add3_u32 v21 /*v277*/, v115, v0, v1
	s_set_vgpr_msb 0                        ;  msbs: dst=0 src0=0 src1=0 src2=0
	v_mul_i32_i24_e32 v0, v3, v39
	v_mul_i32_i24_e32 v1, v29, v40
	v_cvt_f32_i32_e32 v3, v130
	s_set_vgpr_msb 64                       ;  msbs: dst=1 src0=0 src1=0 src2=0
	s_delay_alu instid0(VALU_DEP_2) | instskip(SKIP_4) | instid1(VALU_DEP_1)
	v_add3_u32 v20 /*v276*/, v114, v0, v1
	s_set_vgpr_msb 0                        ;  msbs: dst=0 src0=0 src1=0 src2=0
	v_mul_i32_i24_e32 v0, v96, v163
	v_mul_i32_i24_e32 v1, v5, v162
	s_set_vgpr_msb 64                       ;  msbs: dst=1 src0=0 src1=0 src2=0
	v_add3_u32 v14 /*v270*/, v4, v0, v1
	s_set_vgpr_msb 0                        ;  msbs: dst=0 src0=0 src1=0 src2=0
	v_mul_i32_i24_e32 v0, v33, v39
	v_mul_i32_i24_e32 v1, v84, v40
	v_cvt_f32_i32_e32 v4, v131
	s_set_vgpr_msb 64                       ;  msbs: dst=1 src0=0 src1=0 src2=0
	s_delay_alu instid0(VALU_DEP_2)
	v_add3_u32 v13 /*v269*/, v123, v0, v1
	s_set_vgpr_msb 0                        ;  msbs: dst=0 src0=0 src1=0 src2=0
	v_mul_i32_i24_e32 v0, v96, v34
	ds_load_b32 v96, v7
	v_mul_i32_i24_e32 v1, v5, v35
	v_cvt_f32_i32_e32 v5, v118
	s_set_vgpr_msb 64                       ;  msbs: dst=1 src0=0 src1=0 src2=0
	s_delay_alu instid0(VALU_DEP_2) | instskip(SKIP_4) | instid1(VALU_DEP_2)
	v_add3_u32 v12 /*v268*/, v121, v0, v1
	s_wait_dscnt 0x0
	s_set_vgpr_msb 0                        ;  msbs: dst=0 src0=0 src1=0 src2=0
	v_lshrrev_b32_e32 v7, 16, v96
	v_mul_i32_i24_e32 v1, v33, v58
	v_cvt_f32_f16_e32 v29, v7
	v_cvt_f32_i32_e32 v7, v8
	v_cvt_f32_i32_e32 v8, v14
	s_set_vgpr_msb 20                       ;  msbs: dst=0 src0=0 src1=1 src2=1
	v_add3_u32 v14, s18, v210 /*v466*/, v201 /*v457*/
	v_mov_b32_e32 v32, v29
	ds_load_b32 v97, v14
	s_set_vgpr_msb 0                        ;  msbs: dst=0 src0=0 src1=0 src2=0
	v_pk_mul_f32 v[2:3], v[32:33], v[2:3] op_sel_hi:[0,1]
	v_pk_mul_f32 v[4:5], v[32:33], v[4:5] op_sel_hi:[0,1]
	s_wait_dscnt 0x0
	v_lshrrev_b32_e32 v14, 16, v97
	v_mul_i32_i24_e32 v0, v84, v175
	s_set_vgpr_msb 1                        ;  msbs: dst=0 src0=1 src1=0 src2=0
	v_cvt_f32_i32_e32 v84, v10 /*v266*/
	s_set_vgpr_msb 0                        ;  msbs: dst=0 src0=0 src1=0 src2=0
	v_cvt_f32_f16_e32 v31, v14
	v_add3_u32 v175, v107, v1, v0
	v_cvt_f32_i32_e32 v1, v119
	s_set_vgpr_msb 1                        ;  msbs: dst=0 src0=1 src1=0 src2=0
	v_cvt_f32_i32_e32 v0, v38 /*v294*/
	s_set_vgpr_msb 0                        ;  msbs: dst=0 src0=0 src1=0 src2=0
	v_mov_b32_e32 v14, v31
	s_delay_alu instid0(VALU_DEP_2) | instskip(NEXT) | instid1(VALU_DEP_2)
	v_pk_mul_f32 v[0:1], v[32:33], v[0:1] op_sel_hi:[0,1]
	v_pk_mul_f32 v[32:33], v[14:15], v[6:7] op_sel_hi:[0,1]
	;; [unrolled: 1-line block ×4, first 2 shown]
	v_lshrrev_b32_e32 v14, 24, v243
	v_bfe_u32 v84, v243, 16, 2
	s_delay_alu instid0(VALU_DEP_2) | instskip(NEXT) | instid1(VALU_DEP_2)
	v_and_b32_e32 v14, 3, v14
	v_mul_i32_i24_e32 v39, v84, v39
	v_mul_i32_i24_e32 v26, v84, v26
	;; [unrolled: 1-line block ×3, first 2 shown]
	s_delay_alu instid0(VALU_DEP_4) | instskip(SKIP_2) | instid1(VALU_DEP_3)
	v_mul_i32_i24_e32 v40, v14, v40
	v_mul_i32_i24_e32 v27, v14, v27
	;; [unrolled: 1-line block ×3, first 2 shown]
	v_add3_u32 v85, v247, v39, v40
	v_lshrrev_b32_e32 v39, 24, v244
	v_bfe_u32 v40, v244, 16, 2
	v_add3_u32 v13, v13, v26, v27
	v_add3_u32 v28, v242, v28, v30
	s_delay_alu instid0(VALU_DEP_4) | instskip(NEXT) | instid1(VALU_DEP_4)
	v_and_b32_e32 v39, 3, v39
	v_mul_i32_i24_e32 v26, v40, v49
	v_mul_i32_i24_e32 v34, v40, v34
	;; [unrolled: 1-line block ×3, first 2 shown]
	s_delay_alu instid0(VALU_DEP_4) | instskip(SKIP_3) | instid1(VALU_DEP_4)
	v_mul_i32_i24_e32 v27, v39, v50
	v_mul_i32_i24_e32 v35, v39, v35
	;; [unrolled: 1-line block ×4, first 2 shown]
	v_add3_u32 v26, v248, v26, v27
	v_mul_i32_i24_e32 v27, v40, v46
	v_add3_u32 v100, v246, v34, v35
	v_mul_i32_i24_e32 v34, v39, v37
	;; [unrolled: 2-line block ×4, first 2 shown]
	v_mul_i32_i24_e32 v25, v14, v42
	s_delay_alu instid0(VALU_DEP_2) | instskip(NEXT) | instid1(VALU_DEP_2)
	v_add3_u32 v30, v169, v30, v34
	v_add3_u32 v25, v178, v11, v25
	v_mul_i32_i24_e32 v11, v84, v51
	v_mul_i32_i24_e32 v34, v14, v52
	s_delay_alu instid0(VALU_DEP_1) | instskip(SKIP_2) | instid1(VALU_DEP_1)
	v_add3_u32 v36, v174, v11, v34
	v_mul_i32_i24_e32 v11, v84, v53
	v_mul_i32_i24_e32 v34, v14, v54
	v_add3_u32 v37, v189, v11, v34
	v_mul_i32_i24_e32 v11, v84, v41
	v_mul_i32_i24_e32 v34, v14, v38
	v_mul_i32_i24_e32 v14, v14, v57
	v_cvt_f32_i32_e32 v57, v63
	v_cvt_f32_i32_e32 v63, v62
	v_cvt_f32_i32_e32 v62, v61
	v_add3_u32 v43, v179, v11, v34
	v_mul_i32_i24_e32 v11, v40, v44
	v_mul_i32_i24_e32 v34, v39, v45
	s_delay_alu instid0(VALU_DEP_1) | instskip(SKIP_3) | instid1(VALU_DEP_2)
	v_add3_u32 v45, v188, v11, v34
	v_mul_i32_i24_e32 v11, v40, v55
	v_mul_i32_i24_e32 v34, v39, v56
	v_cvt_f32_i32_e32 v56, v151
	v_add3_u32 v46, v180, v11, v34
	v_mul_i32_i24_e32 v11, v84, v58
	v_mul_i32_i24_e32 v34, v39, v162
	v_cvt_f32_i32_e32 v58, v60
	s_delay_alu instid0(VALU_DEP_3) | instskip(SKIP_2) | instid1(VALU_DEP_2)
	v_add3_u32 v14, v183, v11, v14
	v_mul_i32_i24_e32 v11, v40, v163
	v_and_b32_e32 v40, 15, v168
	v_add3_u32 v49, v184, v11, v34
	v_and_b32_e32 v11, 15, v164
	s_delay_alu instid0(VALU_DEP_3) | instskip(NEXT) | instid1(VALU_DEP_2)
	v_and_b32_e32 v48, 0xffff, v40
	v_and_b32_e32 v11, 0xffff, v11
	s_delay_alu instid0(VALU_DEP_1)
	v_mul_lo_u32 v34, v186, v11
	s_set_vgpr_msb 1                        ;  msbs: dst=0 src0=1 src1=0 src2=0
	v_mul_lo_u32 v35, v5 /*v261*/, v11
	v_mul_lo_u32 v38, v0 /*v256*/, v11
	;; [unrolled: 1-line block ×7, first 2 shown]
	s_set_vgpr_msb 0                        ;  msbs: dst=0 src0=0 src1=0 src2=0
	v_mad_u32 v162, v182, v48, v34
	v_mad_u32 v35, v254, v48, v35
	s_set_vgpr_msb 1                        ;  msbs: dst=0 src0=1 src1=0 src2=0
	v_mad_u32 v34, v1 /*v257*/, v48, v38
	s_set_vgpr_msb 0                        ;  msbs: dst=0 src0=0 src1=0 src2=0
	v_mad_u32 v40, v249, v48, v39
	s_set_vgpr_msb 1                        ;  msbs: dst=0 src0=1 src1=0 src2=0
	v_mad_u32 v51, v15 /*v271*/, v48, v41
	v_mad_u32 v50, v18 /*v274*/, v48, v42
	v_mad_u32 v164, v23 /*v279*/, v48, v44
	v_mad_u32 v163, v25 /*v281*/, v48, v11
	v_and_b32_e32 v11, 15, v167
	s_set_vgpr_msb 0                        ;  msbs: dst=0 src0=0 src1=0 src2=0
	v_mul_lo_u32 v41, v187, v10
	v_mul_lo_u32 v42, v250, v10
	s_set_vgpr_msb 1                        ;  msbs: dst=0 src0=1 src1=0 src2=0
	v_mul_lo_u32 v48, v6 /*v262*/, v10
	s_set_vgpr_msb 0                        ;  msbs: dst=0 src0=0 src1=0 src2=0
	v_cvt_f32_i32_e32 v35, v35
	v_and_b32_e32 v11, 0xffff, v11
	v_cvt_f32_i32_e32 v34, v34
	v_cvt_f32_i32_e32 v51, v51
	;; [unrolled: 1-line block ×4, first 2 shown]
	v_mul_lo_u32 v39, v255, v11
	v_mul_lo_u32 v38, v234, v11
	v_mad_u32 v52, v237, v11, v41
	v_cvt_f32_i32_e32 v104, v162
	s_set_vgpr_msb 1                        ;  msbs: dst=0 src0=1 src1=0 src2=0
	v_mad_u32 v169, v9 /*v265*/, v11, v48
	v_mad_u32 v44, v3 /*v259*/, v10, v39
	v_mul_lo_u32 v39, v21 /*v277*/, v11
	s_set_vgpr_msb 0                        ;  msbs: dst=0 src0=0 src1=0 src2=0
	v_mad_u32 v38, v176, v10, v38
	s_delay_alu instid0(VALU_DEP_4) | instskip(SKIP_1) | instid1(VALU_DEP_3)
	v_cvt_f32_i32_e32 v84, v169
	s_set_vgpr_msb 1                        ;  msbs: dst=0 src0=1 src1=0 src2=0
	v_mad_u32 v167, v17 /*v273*/, v10, v39
	s_set_vgpr_msb 0                        ;  msbs: dst=0 src0=0 src1=0 src2=0
	v_mul_lo_u32 v39, v181, v10
	s_set_vgpr_msb 1                        ;  msbs: dst=0 src0=1 src1=0 src2=0
	v_mul_lo_u32 v10, v20 /*v276*/, v10
	s_set_vgpr_msb 0                        ;  msbs: dst=0 src0=0 src1=0 src2=0
	v_cvt_f32_i32_e32 v55, v38
	s_delay_alu instid0(VALU_DEP_4) | instskip(NEXT) | instid1(VALU_DEP_4)
	v_cvt_f32_i32_e32 v101, v167
	v_mad_u32 v39, v15, v11, v39
	v_mad_u32 v15, v253, v11, v42
	s_set_vgpr_msb 1                        ;  msbs: dst=0 src0=1 src1=0 src2=0
	v_mad_u32 v168, v11 /*v267*/, v11, v10
	v_and_b32_e32 v11, 15, v12
	v_and_b32_e32 v10, 15, v165
	s_delay_alu instid0(VALU_DEP_2) | instskip(NEXT) | instid1(VALU_DEP_2)
	v_and_b32_e32 v11, 0xffff, v11
	v_and_b32_e32 v10, 0xffff, v10
	s_set_vgpr_msb 0                        ;  msbs: dst=0 src0=0 src1=0 src2=0
	s_delay_alu instid0(VALU_DEP_2) | instskip(NEXT) | instid1(VALU_DEP_2)
	v_mul_lo_u32 v12, v238, v11
	v_mul_lo_u32 v42, v236, v10
	;; [unrolled: 1-line block ×4, first 2 shown]
	s_delay_alu instid0(VALU_DEP_4)
	v_mad_u32 v41, v235, v10, v12
	s_set_vgpr_msb 1                        ;  msbs: dst=0 src0=1 src1=0 src2=0
	v_mul_lo_u32 v12, v4 /*v260*/, v11
	s_set_vgpr_msb 0                        ;  msbs: dst=0 src0=0 src1=0 src2=0
	v_mad_u32 v42, v185, v11, v42
	v_mad_u32 v48, v240, v11, v48
	;; [unrolled: 1-line block ×3, first 2 shown]
	v_cvt_f32_i32_e32 v53, v157
	v_mad_u32 v180, v251, v10, v12
	s_set_vgpr_msb 1                        ;  msbs: dst=0 src0=1 src1=0 src2=0
	v_mul_lo_u32 v12, v14 /*v270*/, v11
	s_set_vgpr_msb 0                        ;  msbs: dst=0 src0=0 src1=0 src2=0
	v_cvt_f32_i32_e32 v42, v42
	v_cvt_f32_i32_e32 v48, v48
	s_delay_alu instid0(VALU_DEP_3) | instskip(SKIP_4) | instid1(VALU_DEP_3)
	v_mad_u32 v165, v175, v10, v12
	v_mul_lo_u32 v12, v171, v10
	s_set_vgpr_msb 1                        ;  msbs: dst=0 src0=1 src1=0 src2=0
	v_mul_lo_u32 v10, v13 /*v269*/, v10
	s_set_vgpr_msb 0                        ;  msbs: dst=0 src0=0 src1=0 src2=0
	v_cvt_f32_i32_e32 v103, v165
	s_delay_alu instid0(VALU_DEP_3) | instskip(SKIP_1) | instid1(VALU_DEP_3)
	v_mad_u32 v54, v177, v11, v12
	s_set_vgpr_msb 1                        ;  msbs: dst=0 src0=1 src1=0 src2=0
	v_mad_u32 v171, v12 /*v268*/, v11, v10
	v_dual_lshrrev_b32 v10, 1, v22 :: v_dual_lshrrev_b32 v12, 1, v23
	s_set_vgpr_msb 0                        ;  msbs: dst=0 src0=0 src1=0 src2=0
	ds_load_b32 v11, v10 offset:30368
	ds_load_b32 v10, v12 offset:30368
	v_and_b32_e32 v12, 15, v166
	v_cvt_f32_i32_e32 v102, v171
	s_delay_alu instid0(VALU_DEP_2) | instskip(NEXT) | instid1(VALU_DEP_1)
	v_and_b32_e32 v12, 0xffff, v12
	v_mul_lo_u32 v22, v85, v12
	v_mul_lo_u32 v13, v13, v12
	;; [unrolled: 1-line block ×8, first 2 shown]
	v_and_b32_e32 v14, 15, v173
	v_cvt_f32_i32_e32 v43, v41
	v_cvt_f32_i32_e32 v41, v159
	;; [unrolled: 1-line block ×3, first 2 shown]
	s_delay_alu instid0(VALU_DEP_4) | instskip(NEXT) | instid1(VALU_DEP_1)
	v_and_b32_e32 v14, 0xffff, v14
	v_mad_u32 v174, v100, v14, v22
	s_set_vgpr_msb 20                       ;  msbs: dst=0 src0=0 src1=1 src2=1
	v_add3_u32 v22, s18, v208 /*v464*/, v199 /*v455*/
	s_set_vgpr_msb 0                        ;  msbs: dst=0 src0=0 src1=0 src2=0
	v_mad_u32 v175, v30, v14, v13
	s_set_vgpr_msb 20                       ;  msbs: dst=0 src0=0 src1=1 src2=1
	v_add3_u32 v13, s18, v206 /*v462*/, v197 /*v453*/
	s_set_vgpr_msb 0                        ;  msbs: dst=0 src0=0 src1=0 src2=0
	v_mad_u32 v166, v24, v14, v23
	v_mad_u32 v177, v26, v14, v28
	ds_load_b32 v24, v22
	ds_load_b32 v28, v13
	ds_load_b32 v13, v18 offset:30368
	v_lshrrev_b32_e32 v23, 1, v17
	v_mad_u32 v173, v27, v14, v25
	v_mad_u32 v178, v46, v14, v37
	;; [unrolled: 1-line block ×4, first 2 shown]
	ds_load_b32 v17, v19 offset:30368
	ds_load_b32 v14, v20 offset:30368
	;; [unrolled: 1-line block ×3, first 2 shown]
	v_cvt_f32_i32_e32 v19, v172
	v_cvt_f32_f16_e32 v23, v97
	v_cvt_f32_i32_e32 v25, v54
	ds_load_b32 v20, v21 offset:30368
	v_cvt_f32_i32_e32 v54, v39
	v_cvt_f32_f16_e32 v27, v96
	v_cvt_f32_i32_e32 v37, v161
	v_cvt_f32_i32_e32 v36, v160
	v_mov_b32_e32 v46, v23
	v_cvt_f32_i32_e32 v45, v44
	v_cvt_f32_i32_e32 v44, v15
	s_wait_dscnt 0x6
	v_lshrrev_b32_e32 v18, 16, v24
	v_cvt_f32_f16_e32 v22, v24
	v_cvt_f32_i32_e32 v24, v52
	v_cvt_f32_i32_e32 v52, v156
	s_wait_dscnt 0x5
	v_cvt_f32_f16_e32 v26, v28
	v_cvt_f32_f16_e32 v30, v18
	v_cvt_f32_i32_e32 v18, v170
	v_pk_fma_f32 v[32:33], v[46:47], v[42:43], v[32:33] op_sel_hi:[0,1,1] neg_lo:[0,0,1] neg_hi:[0,0,1]
	v_cvt_f32_i32_e32 v49, v158
	v_mov_b32_e32 v42, v26
	v_pk_mul_f32 v[52:53], v[30:31], v[52:53] op_sel_hi:[0,1]
	v_pk_mul_f32 v[18:19], v[30:31], v[18:19]
	v_pk_mul_f32 v[56:57], v[30:31], v[56:57] op_sel_hi:[0,1]
	v_cvt_f32_i32_e32 v107, v175
	v_cvt_f32_i32_e32 v106, v166
	v_pk_fma_f32 v[38:39], v[22:23], v[54:55], v[52:53] op_sel_hi:[0,1,1] neg_lo:[0,0,1] neg_hi:[0,0,1]
	v_pk_fma_f32 v[24:25], v[22:23], v[24:25], v[18:19] neg_lo:[0,0,1] neg_hi:[0,0,1]
	ds_load_b32 v19, v16 offset:30368
	v_lshrrev_b32_e32 v16, 16, v28
	v_cvt_f32_i32_e32 v53, v155
	v_cvt_f32_i32_e32 v52, v154
	;; [unrolled: 1-line block ×4, first 2 shown]
	v_cvt_f32_f16_e32 v28, v16
	s_wait_dscnt 0x5
	v_mov_b32_e32 v16, v13
	v_pk_mul_f32 v[52:53], v[30:31], v[52:53] op_sel_hi:[0,1]
	v_cvt_f32_i32_e32 v109, v177
	v_cvt_f32_i32_e32 v108, v173
	v_pk_mul_f32 v[54:55], v[28:29], v[54:55] op_sel_hi:[0,1]
	v_pk_mul_f32 v[36:37], v[28:29], v[36:37] op_sel_hi:[0,1]
	v_mov_b32_e32 v43, v28
	v_pk_fma_f32 v[44:45], v[22:23], v[44:45], v[52:53] op_sel_hi:[0,1,1] neg_lo:[0,0,1] neg_hi:[0,0,1]
	v_dual_mov_b32 v52, v23 :: v_dual_mov_b32 v53, v31
	v_pk_fma_f32 v[54:55], v[26:27], v[50:51], v[54:55] op_sel_hi:[0,1,1] neg_lo:[0,0,1] neg_hi:[0,0,1]
	v_dual_mov_b32 v23, v30 :: v_dual_mov_b32 v30, v27
	s_wait_dscnt 0x0
	v_mov_b32_e32 v50, v19
	v_pk_mul_f32 v[58:59], v[28:29], v[58:59]
	v_pk_mul_f32 v[60:61], v[28:29], v[62:63] op_sel_hi:[0,1]
	v_mov_b32_e32 v28, v27
	v_cvt_f32_i32_e32 v112, v176
	v_mov_b32_e32 v18, v11
	v_pk_fma_f32 v[34:35], v[26:27], v[34:35], v[36:37] op_sel_hi:[0,1,1] neg_lo:[0,0,1] neg_hi:[0,0,1]
	v_dual_mov_b32 v36, v11 :: v_dual_mov_b32 v37, v10
	v_pk_mul_f32 v[40:41], v[42:43], v[40:41]
	v_mov_b32_e32 v42, v10
	v_pk_mul_f32 v[48:49], v[52:53], v[48:49]
	v_cvt_f32_i32_e32 v111, v179
	v_cvt_f32_i32_e32 v110, v178
	v_pk_fma_f32 v[0:1], v[30:31], v[106:107], v[0:1] op_sel_hi:[0,1,1] neg_lo:[0,0,1] neg_hi:[0,0,1]
	v_pk_fma_f32 v[2:3], v[30:31], v[108:109], v[2:3] op_sel_hi:[0,1,1] neg_lo:[0,0,1] neg_hi:[0,0,1]
	v_pk_mul_f32 v[28:29], v[28:29], v[112:113]
	v_pk_fma_f32 v[98:99], v[10:11], v[38:39], v[98:99]
	v_pk_fma_f32 v[94:95], v[10:11], v[32:33], v[94:95]
	v_pk_mul_f32 v[10:11], v[22:23], v[84:85]
	v_dual_mov_b32 v43, v13 :: v_dual_mov_b32 v53, v13
	v_cvt_f32_i32_e32 v63, v180
	v_cvt_f32_i32_e32 v62, v181
	;; [unrolled: 1-line block ×6, first 2 shown]
	v_pk_fma_f32 v[4:5], v[30:31], v[110:111], v[4:5] op_sel_hi:[0,1,1] neg_lo:[0,0,1] neg_hi:[0,0,1]
	v_sub_f32_e32 v30, v40, v41
	v_sub_f32_e32 v31, v48, v49
	v_pk_fma_f32 v[78:79], v[12:13], v[24:25], v[78:79]
	v_mov_b32_e32 v13, v14
	v_pk_fma_f32 v[212:213], v[36:37], v[0:1], v[212:213]
	v_pk_fma_f32 v[90:91], v[16:17], v[2:3], v[90:91]
	v_dual_sub_f32 v0, v28, v29 :: v_dual_mul_f32 v1, v17, v30
	v_dual_sub_f32 v2, v10, v11 :: v_dual_mov_b32 v52, v17
	v_dual_mov_b32 v15, v12 :: v_dual_mov_b32 v21, v19
	v_mov_b32_e32 v51, v20
	v_pk_fma_f32 v[8:9], v[46:47], v[62:63], v[8:9] op_sel_hi:[0,1,1] neg_lo:[0,0,1] neg_hi:[0,0,1]
	v_pk_fma_f32 v[60:61], v[26:27], v[96:97], v[60:61] op_sel_hi:[0,1,1] neg_lo:[0,0,1] neg_hi:[0,0,1]
	;; [unrolled: 1-line block ×3, first 2 shown]
	v_pk_fma_f32 v[26:27], v[26:27], v[104:105], v[58:59] neg_lo:[0,0,1] neg_hi:[0,0,1]
	v_pk_fma_f32 v[22:23], v[22:23], v[100:101], v[56:57] op_sel_hi:[0,1,1] neg_lo:[0,0,1] neg_hi:[0,0,1]
	v_dual_mul_f32 v3, v17, v31 :: v_dual_mul_f32 v0, v20, v0
	v_mul_f32_e32 v2, v14, v2
	v_pk_fma_f32 v[92:93], v[42:43], v[34:35], v[92:93]
	v_pk_fma_f32 v[88:89], v[52:53], v[44:45], v[88:89]
	v_pk_fma_f32 v[80:81], v[14:15], v[54:55], v[80:81]
	v_pk_fma_f32 v[68:69], v[20:21], v[60:61], v[68:69]
	v_pk_fma_f32 v[64:65], v[50:51], v[6:7], v[64:65]
	v_pk_fma_f32 v[82:83], v[14:15], v[4:5], v[82:83]
	v_pk_fma_f32 v[70:71], v[18:19], v[26:27], v[70:71]
	v_pk_fma_f32 v[74:75], v[12:13], v[8:9], v[74:75]
	v_pk_fma_f32 v[66:67], v[50:51], v[22:23], v[66:67]
	v_pk_add_f32 v[76:77], v[76:77], v[0:1]
	v_pk_add_f32 v[86:87], v[86:87], v[2:3]
	s_cbranch_scc1 .LBB168_11
; %bb.12:                               ;   in Loop: Header=BB168_9 Depth=2
	v_lshl_add_u32 v0, s16, 5, v72
	s_set_vgpr_msb 16                       ;  msbs: dst=0 src0=0 src1=0 src2=1
	v_lshl_add_u32 v1, s16, 2, v216 /*v472*/
	s_barrier_signal -1
	s_barrier_wait -1
	v_lshrrev_b32_e32 v0, 3, v0
	s_add_co_i32 s10, s10, 2
	s_delay_alu instid0(SALU_CYCLE_1) | instskip(NEXT) | instid1(VALU_DEP_1)
	s_lshl_b32 s16, s10, 3
	v_add_nc_u32_e32 v2, s7, v0
	v_mad_nc_u64_u32 v[0:1], v1, 36, s[2:3]
	s_set_vgpr_msb 4                        ;  msbs: dst=0 src0=0 src1=1 src2=0
	s_delay_alu instid0(VALU_DEP_2)
	v_add_nc_u32_e32 v3, v2, v188 /*v444*/
	s_set_vgpr_msb 16                       ;  msbs: dst=0 src0=0 src1=0 src2=1
	v_dual_add_nc_u32 v4, v2, v221 :: v_dual_add_nc_u32 v6, v2, v222
	v_dual_add_nc_u32 v8, v2, v223 :: v_dual_add_nc_u32 v10, v2, v224
	;; [unrolled: 1-line block ×3, first 2 shown]
	v_add_nc_u32_e32 v16, v2, v227
	v_mad_nc_i64_i32 v[2:3], v3, 36, v[202:203] /*v[458:459]*/
	v_mad_nc_i64_i32 v[4:5], v4, 36, v[202:203] /*v[458:459]*/
	;; [unrolled: 1-line block ×8, first 2 shown]
	s_clause 0x8
	global_load_b32 v18, v[0:1], off
	global_load_b32 v19, v[2:3], off offset:4
	global_load_b32 v20, v[4:5], off offset:4
	;; [unrolled: 1-line block ×8, first 2 shown]
	s_wait_loadcnt 0x8
	s_wait_xcnt 0x8
	v_cvt_f32_f16_e32 v0, v18
	s_wait_loadcnt 0x7
	ds_store_b32 v219, v19
	s_wait_loadcnt 0x6
	ds_store_b32 v73, v20
	;; [unrolled: 2-line block ×8, first 2 shown]
	ds_store_b32 v220, v0
	s_wait_dscnt 0x0
	s_barrier_signal -1
	s_barrier_wait -1
.LBB168_13:                             ;   Parent Loop BB168_7 Depth=1
                                        ;     Parent Loop BB168_9 Depth=2
                                        ; =>    This Inner Loop Header: Depth=3
	s_and_b32 s18, s11, 0x3ffffff8
	s_lshl_b32 s20, s11, 2
	s_set_vgpr_msb 16                       ;  msbs: dst=0 src0=0 src1=0 src2=1
	v_lshl_add_u32 v0, s18, 2, v212 /*v468*/
	s_and_b32 s19, s11, 0x7ffffffe
	s_and_b32 s20, s20, 24
	s_clause 0x1
	scratch_store_b64 off, v[212:213], off offset:8
	scratch_store_b64 off, v[92:93], off
	s_lshr_b32 s21, s11, 2
	s_addk_co_i32 s19, 0x6200
	s_set_vgpr_msb 20                       ;  msbs: dst=0 src0=0 src1=1 src2=1
	v_or_b32_e32 v1, s20, v211 /*v467*/
	v_or_b32_e32 v6, s20, v189 /*v445*/
	v_or_b32_e32 v7, s20, v190 /*v446*/
	v_or_b32_e32 v8, s20, v191 /*v447*/
	v_or_b32_e32 v9, s20, v192 /*v448*/
	v_or_b32_e32 v12, s20, v195 /*v451*/
	ds_load_2addr_b32 v[84:85], v0 offset0:6 offset1:7
	s_and_b32 s18, s21, 0x3ffffffc
	v_add3_u32 v2, s19, v204 /*v460*/, v213 /*v469*/
	v_or_b32_e32 v10, s20, v193 /*v449*/
	v_or_b32_e32 v11, s20, v194 /*v450*/
	v_add3_u32 v3, s19, v205 /*v461*/, v196 /*v452*/
	ds_load_2addr_b32 v[96:97], v0 offset1:1
	ds_load_2addr_b32 v[164:165], v0 offset0:2 offset1:3
	ds_load_2addr_b32 v[162:163], v0 offset0:4 offset1:5
	s_addk_co_i32 s18, 0x7280
	v_add3_u32 v4, s19, v207 /*v463*/, v198 /*v454*/
	v_add3_u32 v5, s19, v209 /*v465*/, v200 /*v456*/
	;; [unrolled: 1-line block ×6, first 2 shown]
	s_set_vgpr_msb 0                        ;  msbs: dst=0 src0=0 src1=0 src2=0
	v_add_nc_u32_e32 v17, 0x1080, v0
	v_add_nc_u32_e32 v18, 0x1088, v0
	;; [unrolled: 1-line block ×12, first 2 shown]
	v_dual_lshlrev_b32 v0, 2, v1 :: v_dual_lshrrev_b32 v1, 1, v1
	v_dual_lshlrev_b32 v29, 2, v6 :: v_dual_lshrrev_b32 v6, 1, v6
	;; [unrolled: 1-line block ×8, first 2 shown]
	ds_load_u16 v105, v2
	ds_load_u16 v106, v3
	;; [unrolled: 1-line block ×4, first 2 shown]
	ds_load_b32 v110, v13
	ds_load_b32 v112, v15
	ds_load_b32 v116, v16
	ds_load_b32 v117, v14
	ds_load_2addr_b32 v[182:183], v21 offset1:1
	ds_load_2addr_b32 v[174:175], v22 offset1:1
	;; [unrolled: 1-line block ×12, first 2 shown]
	ds_load_b128 v[56:59], v0 offset:16896
	ds_load_b128 v[52:55], v0 offset:16912
	ds_load_b32 v159, v1 offset:30368
	ds_load_b128 v[60:63], v29 offset:16896
	ds_load_b32 v158, v6 offset:30368
	ds_load_b128 v[40:43], v29 offset:16912
	ds_load_b128 v[32:35], v30 offset:16896
	;; [unrolled: 1-line block ×3, first 2 shown]
	ds_load_b32 v151, v7 offset:30368
	ds_load_b128 v[8:11], v31 offset:16896
	ds_load_b32 v153, v36 offset:30368
	ds_load_b128 v[12:15], v31 offset:16912
	ds_load_b128 v[44:47], v39 offset:16896
	;; [unrolled: 1-line block ×3, first 2 shown]
	ds_load_b32 v73, v104 offset:30368
	ds_load_b128 v[16:19], v37 offset:16896
	ds_load_b128 v[20:23], v37 offset:16912
	ds_load_b32 v156, v38 offset:30368
	ds_load_b128 v[36:39], v100 offset:16896
	ds_load_b32 v150, v101 offset:30368
	ds_load_b128 v[28:31], v100 offset:16912
	ds_load_b128 v[4:7], v102 offset:16896
	ds_load_i8 v235, v102 offset:16911
	s_wait_xcnt 0x0
	ds_load_b32 v92, v103 offset:30368
	ds_load_b128 v[0:3], v102 offset:16912
	ds_load_i8 v234, v102 offset:16927
	s_and_b32 s17, s11, 6
	s_wait_dscnt 0x2a
	v_bfe_u32 v103, v109, 4, 4
	v_dual_ashrrev_i32 v111, s17, v84 :: v_dual_ashrrev_i32 v107, s17, v85
	v_dual_ashrrev_i32 v85, s17, v96 :: v_dual_ashrrev_i32 v96, s17, v97
	;; [unrolled: 1-line block ×3, first 2 shown]
	v_lshrrev_b16 v196, 8, v105
	v_lshrrev_b16 v197, 8, v106
	v_bfe_u32 v114, v105, 4, 4
	s_wait_dscnt 0x27
	s_set_vgpr_msb 64                       ;  msbs: dst=1 src0=0 src1=0 src2=0
	v_dual_lshrrev_b32 v200 /*v456*/, 16, v116 :: v_dual_bitop2_b32 v145 /*v401*/, 15, v105 bitop3:0x40
	v_dual_lshrrev_b32 v201 /*v457*/, 16, v112 :: v_dual_bitop2_b32 v147 /*v403*/, 15, v106 bitop3:0x40
	s_set_vgpr_msb 0                        ;  msbs: dst=0 src0=0 src1=0 src2=0
	v_bfe_u32 v105, v106, 4, 4
	s_wait_dscnt 0x20
	v_dual_ashrrev_i32 v133, s17, v189 :: v_dual_ashrrev_i32 v135, s17, v186
	s_wait_dscnt 0x13
	v_dual_ashrrev_i32 v244, 24, v34 :: v_dual_bitop2_b32 v106, 3, v96 bitop3:0x40
	v_bfe_i32 v134, v57, 0, 8
	s_wait_dscnt 0xa
	v_bfe_i32 v203, v16, 16, 8
	s_set_vgpr_msb 64                       ;  msbs: dst=1 src0=0 src1=0 src2=0
	v_bfe_i32 v126 /*v382*/, v17, 16, 8
	s_wait_dscnt 0x4
	s_set_vgpr_msb 0                        ;  msbs: dst=0 src0=0 src1=0 src2=0
	v_lshrrev_b16 v195, 8, v5
	s_set_vgpr_msb 64                       ;  msbs: dst=1 src0=0 src1=0 src2=0
	v_dual_ashrrev_i32 v116 /*v372*/, 24, v5 :: v_dual_bitop2_b32 v190 /*v446*/, 3, v135 bitop3:0x40
	v_bfe_i32 v165 /*v421*/, v5, 0, 8
	v_bfe_i32 v119 /*v375*/, v5, 16, 8
	s_wait_dscnt 0x1
	s_set_vgpr_msb 0                        ;  msbs: dst=0 src0=0 src1=0 src2=0
	v_lshrrev_b16 v5, 8, v0
	v_dual_ashrrev_i32 v84, s17, v165 :: v_dual_ashrrev_i32 v115, s17, v163
	v_bfe_u32 v102, v108, 4, 4
	v_dual_lshrrev_b32 v157, 16, v110 :: v_dual_bitop2_b32 v149, 15, v109 bitop3:0x40
	v_cvt_f32_f16_e64 v165, v110
	v_cvt_f32_f16_e64 v163, v116
	;; [unrolled: 1-line block ×3, first 2 shown]
	v_dual_ashrrev_i32 v139, s17, v182 :: v_dual_ashrrev_i32 v141, s17, v183
	v_dual_ashrrev_i32 v143, s17, v180 :: v_dual_ashrrev_i32 v147, s17, v185
	v_dual_ashrrev_i32 v145, s17, v184 :: v_dual_bitop2_b32 v97, 3, v85 bitop3:0x40
	s_set_vgpr_msb 64                       ;  msbs: dst=1 src0=0 src1=0 src2=0
	v_bfe_u32 v50 /*v306*/, v85, 24, 2
	s_set_vgpr_msb 0                        ;  msbs: dst=0 src0=0 src1=0 src2=0
	v_bfe_u32 v123, v85, 8, 2
	v_bfe_u32 v129, v85, 16, 2
	;; [unrolled: 1-line block ×5, first 2 shown]
	v_and_b32_e32 v192, 3, v100
	v_bfe_u32 v199, v100, 8, 2
	v_bfe_u32 v193, v100, 16, 2
	;; [unrolled: 1-line block ×3, first 2 shown]
	v_bfe_i32 v110, v57, 8, 8
	v_bfe_i32 v112, v57, 16, 8
	s_set_vgpr_msb 64                       ;  msbs: dst=1 src0=0 src1=0 src2=0
	v_dual_ashrrev_i32 v197 /*v453*/, 24, v57 :: v_dual_ashrrev_i32 v5 /*v261*/, 24, v58
	v_bfe_i32 v115 /*v371*/, v52, 0, 8
	s_set_vgpr_msb 0                        ;  msbs: dst=0 src0=0 src1=0 src2=0
	v_bfe_i32 v96, v32, 0, 8
	v_bfe_i32 v100, v32, 8, 8
	s_set_vgpr_msb 64                       ;  msbs: dst=1 src0=0 src1=0 src2=0
	v_bfe_i32 v202 /*v458*/, v32, 16, 8
	s_set_vgpr_msb 0                        ;  msbs: dst=0 src0=0 src1=0 src2=0
	v_dual_ashrrev_i32 v116, 24, v32 :: v_dual_ashrrev_i32 v186, 24, v54
	s_set_vgpr_msb 64                       ;  msbs: dst=1 src0=0 src1=0 src2=0
	v_dual_ashrrev_i32 v132 /*v388*/, 24, v33 :: v_dual_ashrrev_i32 v92 /*v348*/, 24, v12
	v_bfe_i32 v101 /*v357*/, v12, 0, 8
	v_bfe_i32 v93 /*v349*/, v12, 8, 8
	;; [unrolled: 1-line block ×3, first 2 shown]
	v_dual_ashrrev_i32 v94 /*v350*/, 24, v13 :: v_dual_ashrrev_i32 v155 /*v411*/, 24, v44
	v_bfe_i32 v24 /*v280*/, v14, 0, 8
	v_bfe_i32 v25 /*v281*/, v14, 8, 8
	s_set_vgpr_msb 0                        ;  msbs: dst=0 src0=0 src1=0 src2=0
	v_bfe_i32 v184, v14, 16, 8
	v_dual_ashrrev_i32 v32, 24, v51 :: v_dual_ashrrev_i32 v185, 24, v14
	s_set_vgpr_msb 64                       ;  msbs: dst=1 src0=0 src1=0 src2=0
	v_dual_ashrrev_i32 v75 /*v331*/, 24, v49 :: v_dual_ashrrev_i32 v67 /*v323*/, 24, v20
	v_bfe_i32 v156 /*v412*/, v44, 0, 8
	v_bfe_i32 v157 /*v413*/, v44, 8, 8
	;; [unrolled: 1-line block ×3, first 2 shown]
	s_set_vgpr_msb 0                        ;  msbs: dst=0 src0=0 src1=0 src2=0
	v_bfe_i32 v202, v16, 8, 8
	v_bfe_i32 v12, v17, 8, 8
	;; [unrolled: 1-line block ×4, first 2 shown]
	s_set_vgpr_msb 64                       ;  msbs: dst=1 src0=0 src1=0 src2=0
	v_bfe_i32 v69 /*v325*/, v20, 0, 8
	v_bfe_i32 v53 /*v309*/, v20, 8, 8
	;; [unrolled: 1-line block ×3, first 2 shown]
	s_set_vgpr_msb 1                        ;  msbs: dst=0 src0=1 src1=0 src2=0
	v_mul_lo_u32 v20, 0x1010101, v103
	v_add_nc_u32_e32 v14, v126 /*v382*/, v203
	v_lshrrev_b16 v103, 8, v4
	s_set_vgpr_msb 64                       ;  msbs: dst=1 src0=0 src1=0 src2=0
	v_bfe_i32 v49 /*v305*/, v5, 0, 8
	s_set_vgpr_msb 0                        ;  msbs: dst=0 src0=0 src1=0 src2=0
	v_mul_i32_i24_e32 v5, v106, v134
	v_lshrrev_b16 v131, 8, v109
	v_dual_lshrrev_b32 v161, 16, v117 :: v_dual_ashrrev_i32 v127, s17, v188
	v_dual_ashrrev_i32 v191, s17, v168 :: v_dual_bitop2_b32 v125, 3, v115 bitop3:0x40
	s_set_vgpr_msb 64                       ;  msbs: dst=1 src0=0 src1=0 src2=0
	v_bfe_i32 v110 /*v366*/, v52, 8, 8
	v_bfe_i32 v104 /*v360*/, v52, 16, 8
	v_dual_ashrrev_i32 v58 /*v314*/, 24, v52 :: v_dual_ashrrev_i32 v60 /*v316*/, 24, v53
	s_set_vgpr_msb 0                        ;  msbs: dst=0 src0=0 src1=0 src2=0
	v_bfe_i32 v247, v27, 0, 8
	v_bfe_i32 v200, v8, 16, 8
	s_set_vgpr_msb 64                       ;  msbs: dst=1 src0=0 src1=0 src2=0
	v_bfe_i32 v135 /*v391*/, v9, 16, 8
	s_set_vgpr_msb 0                        ;  msbs: dst=0 src0=0 src1=0 src2=0
	v_ashrrev_i32_e32 v188, 24, v10
	s_set_vgpr_msb 64                       ;  msbs: dst=1 src0=0 src1=0 src2=0
	v_bfe_i32 v73 /*v329*/, v49, 16, 8
	v_bfe_i32 v90 /*v346*/, v49, 8, 8
	;; [unrolled: 1-line block ×3, first 2 shown]
	v_dual_ashrrev_i32 v127 /*v383*/, 24, v17 :: v_dual_ashrrev_i32 v63 /*v319*/, 24, v28
	v_bfe_i32 v29 /*v285*/, v18, 8, 8
	s_set_vgpr_msb 0                        ;  msbs: dst=0 src0=0 src1=0 src2=0
	v_bfe_i32 v248, v19, 8, 8
	s_set_vgpr_msb 64                       ;  msbs: dst=1 src0=0 src1=0 src2=0
	v_bfe_i32 v62 /*v318*/, v28, 0, 8
	v_bfe_i32 v77 /*v333*/, v28, 8, 8
	;; [unrolled: 1-line block ×3, first 2 shown]
	v_mul_lo_u32 v188 /*v444*/, 0x1010101, v102
	s_set_vgpr_msb 0                        ;  msbs: dst=0 src0=0 src1=0 src2=0
	v_and_b32_e32 v102, 3, v139
	v_bfe_i32 v253, v27, 8, 8
	v_bfe_i32 v28, v27, 16, 8
	v_ashrrev_i32_e32 v27, 24, v27
	s_set_vgpr_msb 64                       ;  msbs: dst=1 src0=0 src1=0 src2=0
	v_bfe_u32 v45 /*v301*/, v139, 24, 2
	v_bfe_u32 v140 /*v396*/, v139, 16, 2
	s_set_vgpr_msb 0                        ;  msbs: dst=0 src0=0 src1=0 src2=0
	v_ashrrev_i32_e32 v49, 24, v6
	s_set_vgpr_msb 64                       ;  msbs: dst=1 src0=0 src1=0 src2=0
	v_add3_u32 v170 /*v426*/, v14, v180, v44
	s_set_vgpr_msb 0                        ;  msbs: dst=0 src0=0 src1=0 src2=0
	v_add_nc_u32_e32 v14, v12, v202
	v_bfe_u32 v109, v135, 16, 2
	s_set_vgpr_msb 64                       ;  msbs: dst=1 src0=0 src1=0 src2=0
	v_bfe_u32 v167 /*v423*/, v135, 24, 2
	s_set_vgpr_msb 0                        ;  msbs: dst=0 src0=0 src1=0 src2=0
	v_bfe_u32 v190, v135, 8, 2
	s_set_vgpr_msb 64                       ;  msbs: dst=1 src0=0 src1=0 src2=0
	v_bfe_u32 v143 /*v399*/, v139, 8, 2
	s_set_vgpr_msb 0                        ;  msbs: dst=0 src0=0 src1=0 src2=0
	v_mul_i32_i24_e32 v135, v119, v112
	s_set_vgpr_msb 4                        ;  msbs: dst=0 src0=0 src1=1 src2=0
	v_mul_i32_i24_e32 v139, v121, v197 /*v453*/
	s_set_vgpr_msb 64                       ;  msbs: dst=1 src0=0 src1=0 src2=0
	v_bfe_i32 v166 /*v422*/, v103, 0, 8
	s_set_vgpr_msb 4                        ;  msbs: dst=0 src0=0 src1=1 src2=0
	v_mul_i32_i24_e32 v103, v192, v115 /*v371*/
	s_set_vgpr_msb 0                        ;  msbs: dst=0 src0=0 src1=0 src2=0
	v_mad_i32_i24 v5, v85, v110, v5
	s_set_vgpr_msb 64                       ;  msbs: dst=1 src0=0 src1=0 src2=0
	v_dual_ashrrev_i32 v148 /*v404*/, s17, v178 :: v_dual_bitop2_b32 v149 /*v405*/, 15, v108 bitop3:0x40
	s_set_vgpr_msb 0                        ;  msbs: dst=0 src0=0 src1=0 src2=0
	v_cvt_f32_f16_e64 v164, v117
	s_set_vgpr_msb 64                       ;  msbs: dst=1 src0=0 src1=0 src2=0
	v_dual_ashrrev_i32 v146 /*v402*/, s17, v187 :: v_dual_ashrrev_i32 v138 /*v394*/, s17, v174
	s_set_vgpr_msb 0                        ;  msbs: dst=0 src0=0 src1=0 src2=0
	v_bfe_i32 v128, v56, 0, 8
	s_set_vgpr_msb 64                       ;  msbs: dst=1 src0=0 src1=0 src2=0
	v_bfe_i32 v118 /*v374*/, v53, 0, 8
	v_bfe_i32 v112 /*v368*/, v53, 8, 8
	;; [unrolled: 1-line block ×3, first 2 shown]
	v_dual_ashrrev_i32 v2 /*v258*/, 24, v62 :: v_dual_ashrrev_i32 v105 /*v361*/, 24, v40
	v_bfe_i32 v3 /*v259*/, v63, 0, 8
	s_set_vgpr_msb 0                        ;  msbs: dst=0 src0=0 src1=0 src2=0
	v_bfe_i32 v238, v63, 8, 8
	s_set_vgpr_msb 64                       ;  msbs: dst=1 src0=0 src1=0 src2=0
	v_bfe_i32 v113 /*v369*/, v40, 0, 8
	v_bfe_i32 v107 /*v363*/, v40, 8, 8
	;; [unrolled: 1-line block ×3, first 2 shown]
	s_set_vgpr_msb 0                        ;  msbs: dst=0 src0=0 src1=0 src2=0
	v_bfe_i32 v101, v33, 0, 8
	v_bfe_i32 v124, v33, 8, 8
	s_set_vgpr_msb 64                       ;  msbs: dst=1 src0=0 src1=0 src2=0
	v_bfe_i32 v131 /*v387*/, v33, 16, 8
	v_bfe_i32 v102 /*v358*/, v25, 0, 8
	;; [unrolled: 1-line block ×6, first 2 shown]
	s_set_vgpr_msb 0                        ;  msbs: dst=0 src0=0 src1=0 src2=0
	v_bfe_i32 v117, v8, 0, 8
	v_bfe_i32 v201, v8, 8, 8
	v_dual_ashrrev_i32 v118, 24, v8 :: v_dual_ashrrev_i32 v52, 24, v63
	v_bfe_i32 v144, v9, 8, 8
	v_bfe_i32 v236, v10, 16, 8
	;; [unrolled: 1-line block ×5, first 2 shown]
	s_set_vgpr_msb 64                       ;  msbs: dst=1 src0=0 src1=0 src2=0
	v_bfe_i32 v40 /*v296*/, v51, 8, 8
	v_bfe_i32 v42 /*v298*/, v51, 0, 8
	v_dual_ashrrev_i32 v68 /*v324*/, 24, v21 :: v_dual_ashrrev_i32 v162 /*v418*/, 24, v4
	v_dual_ashrrev_i32 v65 /*v321*/, 24, v25 :: v_dual_ashrrev_i32 v48 /*v304*/, 24, v3
	s_set_vgpr_msb 0                        ;  msbs: dst=0 src0=0 src1=0 src2=0
	v_bfe_i32 v174, v26, 16, 8
	v_ashrrev_i32_e32 v178, 24, v26
	v_bfe_i32 v254, v31, 8, 8
	v_bfe_i32 v26, v31, 16, 8
	v_ashrrev_i32_e32 v25, 24, v31
	v_bfe_i32 v255, v31, 0, 8
	v_dual_ashrrev_i32 v31, 24, v15 :: v_dual_ashrrev_i32 v168, 24, v2
	s_set_vgpr_msb 0x44                     ;  msbs: dst=1 src0=0 src1=1 src2=0
	v_add3_u32 v171 /*v427*/, v14, v29 /*v285*/, v248
	s_set_vgpr_msb 1                        ;  msbs: dst=0 src0=1 src1=0 src2=0
	v_add_nc_u32_e32 v14, v135 /*v391*/, v200
	s_set_vgpr_msb 64                       ;  msbs: dst=1 src0=0 src1=0 src2=0
	v_lshrrev_b16 v159 /*v415*/, 8, v6
	v_bfe_i32 v164 /*v420*/, v4, 0, 8
	v_bfe_i32 v163 /*v419*/, v4, 16, 8
	v_bfe_u32 v141 /*v397*/, v127, 16, 2
	v_bfe_u32 v46 /*v302*/, v127, 24, 2
	s_set_vgpr_msb 0                        ;  msbs: dst=0 src0=0 src1=0 src2=0
	v_bfe_i32 v51, v6, 16, 8
	s_set_vgpr_msb 64                       ;  msbs: dst=1 src0=0 src1=0 src2=0
	v_bfe_i32 v41 /*v297*/, v6, 0, 8
	s_set_vgpr_msb 0                        ;  msbs: dst=0 src0=0 src1=0 src2=0
	v_bfe_u32 v152, v191, 16, 2
	v_lshrrev_b16 v4, 8, v1
	s_set_vgpr_msb 64                       ;  msbs: dst=1 src0=0 src1=0 src2=0
	v_lshrrev_b16 v71 /*v327*/, 8, v2
	v_bfe_i32 v79 /*v335*/, v1, 16, 8
	v_bfe_i32 v85 /*v341*/, v1, 0, 8
	v_dual_ashrrev_i32 v86 /*v342*/, 24, v1 :: v_dual_bitop2_b32 v191 /*v447*/, 3, v143 bitop3:0x40
	s_set_vgpr_msb 0                        ;  msbs: dst=0 src0=0 src1=0 src2=0
	v_bfe_i32 v63, v2, 16, 8
	s_set_vgpr_msb 64                       ;  msbs: dst=1 src0=0 src1=0 src2=0
	v_bfe_i32 v19 /*v275*/, v2, 0, 8
	s_set_vgpr_msb 0                        ;  msbs: dst=0 src0=0 src1=0 src2=0
	v_bfe_u32 v1, v191, 24, 2
	v_and_b32_e32 v2, 3, v127
	s_set_vgpr_msb 64                       ;  msbs: dst=1 src0=0 src1=0 src2=0
	v_bfe_u32 v144 /*v400*/, v127, 8, 2
	s_set_vgpr_msb 4                        ;  msbs: dst=0 src0=0 src1=1 src2=0
	v_mul_i32_i24_e32 v6, v194, v58 /*v314*/
	v_mul_i32_i24_e32 v127, v193, v104 /*v360*/
	s_set_vgpr_msb 64                       ;  msbs: dst=1 src0=0 src1=0 src2=0
	v_dual_add_nc_u32 v195 /*v451*/, v144, v201 :: v_dual_bitop2_b32 v193 /*v449*/, 3, v191 bitop3:0x40
	v_bfe_u32 v194 /*v450*/, v191, 8, 2
	s_set_vgpr_msb 0                        ;  msbs: dst=0 src0=0 src1=0 src2=0
	v_mul_i32_i24_e32 v191, v97, v96
	s_set_vgpr_msb 64                       ;  msbs: dst=1 src0=0 src1=0 src2=0
	v_add3_u32 v236 /*v492*/, v5, v135, v139
	s_set_vgpr_msb 4                        ;  msbs: dst=0 src0=0 src1=1 src2=0
	v_mad_i32_i24 v5, v199, v110 /*v366*/, v103
	s_set_vgpr_msb 64                       ;  msbs: dst=1 src0=0 src1=0 src2=0
	v_add3_u32 v172 /*v428*/, v14, v236, v40
	v_bfe_u32 v117 /*v373*/, v141, 16, 2
	v_bfe_u32 v121 /*v377*/, v141, 24, 2
	;; [unrolled: 1-line block ×5, first 2 shown]
	s_set_vgpr_msb 0                        ;  msbs: dst=0 src0=0 src1=0 src2=0
	v_bfe_u32 v14, v133, 8, 2
	s_set_vgpr_msb 64                       ;  msbs: dst=1 src0=0 src1=0 src2=0
	v_and_b32_e32 v206 /*v462*/, 3, v141
	s_set_vgpr_msb 1                        ;  msbs: dst=0 src0=1 src1=0 src2=0
	v_mul_i32_i24_e32 v141, v50 /*v306*/, v116
	s_set_vgpr_msb 64                       ;  msbs: dst=1 src0=0 src1=0 src2=0
	v_and_b32_e32 v208 /*v464*/, 3, v133
	s_set_vgpr_msb 4                        ;  msbs: dst=0 src0=0 src1=1 src2=0
	v_mul_i32_i24_e32 v133, v129, v202 /*v458*/
	s_set_vgpr_msb 64                       ;  msbs: dst=1 src0=0 src1=0 src2=0
	v_mul_i32_i24_e32 v214 /*v470*/, v97, v117
	v_add3_u32 v237 /*v493*/, v5, v127, v6
	s_set_vgpr_msb 0                        ;  msbs: dst=0 src0=0 src1=0 src2=0
	v_mad_i32_i24 v127, v123, v100, v191
	s_set_vgpr_msb 64                       ;  msbs: dst=1 src0=0 src1=0 src2=0
	v_bfe_i32 v51 /*v307*/, v24, 16, 8
	v_bfe_i32 v72 /*v328*/, v48, 16, 8
	;; [unrolled: 1-line block ×3, first 2 shown]
	s_set_vgpr_msb 0x41                     ;  msbs: dst=1 src0=1 src1=0 src2=0
	v_mul_i32_i24_e32 v181 /*v437*/, v50 /*v306*/, v118
	s_set_vgpr_msb 64                       ;  msbs: dst=1 src0=0 src1=0 src2=0
	v_mul_i32_i24_e32 v215 /*v471*/, v129, v200
	s_set_vgpr_msb 0x44                     ;  msbs: dst=1 src0=0 src1=1 src2=0
	v_mul_i32_i24_e32 v216 /*v472*/, v192, v101 /*v357*/
	s_set_vgpr_msb 64                       ;  msbs: dst=1 src0=0 src1=0 src2=0
	v_add3_u32 v243 /*v499*/, v127, v133, v141
	s_set_vgpr_msb 16                       ;  msbs: dst=0 src0=0 src1=0 src2=1
	v_mad_i32_i24 v127, v123, v201, v214 /*v470*/
	s_set_vgpr_msb 64                       ;  msbs: dst=1 src0=0 src1=0 src2=0
	v_bfe_i32 v81 /*v337*/, v48, 0, 8
	v_dual_ashrrev_i32 v123 /*v379*/, 24, v37 :: v_dual_ashrrev_i32 v83 /*v339*/, 24, v0
	v_dual_ashrrev_i32 v66 /*v322*/, 24, v29 :: v_dual_bitop2_b32 v205 /*v461*/, 3, v147 bitop3:0x40
	v_bfe_u32 v120 /*v376*/, v147, 16, 2
	v_bfe_i32 v84 /*v340*/, v0, 0, 8
	s_set_vgpr_msb 0x44                     ;  msbs: dst=1 src0=0 src1=1 src2=0
	v_mul_i32_i24_e32 v175 /*v431*/, v193, v76 /*v332*/
	v_mul_i32_i24_e32 v177 /*v433*/, v193, v54 /*v310*/
	s_set_vgpr_msb 4                        ;  msbs: dst=0 src0=0 src1=1 src2=0
	v_mul_i32_i24_e32 v0, v193, v51 /*v307*/
	s_set_vgpr_msb 0x44                     ;  msbs: dst=1 src0=0 src1=1 src2=0
	v_bfe_u32 v124 /*v380*/, v147, 24, 2
	v_mul_i32_i24_e32 v180 /*v436*/, v194, v92 /*v348*/
	v_bfe_u32 v209 /*v465*/, v147, 8, 2
	s_set_vgpr_msb 4                        ;  msbs: dst=0 src0=0 src1=1 src2=0
	v_mul_i32_i24_e32 v147, v193, v96 /*v352*/
	s_set_vgpr_msb 0x44                     ;  msbs: dst=1 src0=0 src1=1 src2=0
	v_mul_i32_i24_e32 v217 /*v473*/, v193, v88 /*v344*/
	v_mul_i32_i24_e32 v218 /*v474*/, v97, v156 /*v412*/
	;; [unrolled: 1-line block ×4, first 2 shown]
	s_set_vgpr_msb 20                       ;  msbs: dst=0 src0=0 src1=1 src2=1
	v_add3_u32 v193, v127, v215 /*v471*/, v181 /*v437*/
	v_mad_i32_i24 v127, v199, v93 /*v349*/, v216 /*v472*/
	s_set_vgpr_msb 64                       ;  msbs: dst=1 src0=0 src1=0 src2=0
	v_bfe_i32 v100 /*v356*/, v24, 0, 8
	s_set_vgpr_msb 0                        ;  msbs: dst=0 src0=0 src1=0 src2=0
	v_bfe_i32 v8, v9, 0, 8
	s_set_vgpr_msb 64                       ;  msbs: dst=1 src0=0 src1=0 src2=0
	v_dual_ashrrev_i32 v136 /*v392*/, 24, v9 :: v_dual_ashrrev_i32 v74 /*v330*/, 24, v48
	v_bfe_i32 v89 /*v345*/, v48, 8, 8
	s_set_vgpr_msb 0                        ;  msbs: dst=0 src0=0 src1=0 src2=0
	v_bfe_i32 v9, v16, 0, 8
	s_set_vgpr_msb 5                        ;  msbs: dst=0 src0=1 src1=1 src2=0
	v_mul_i32_i24_e32 v210, v50 /*v306*/, v155 /*v411*/
	s_set_vgpr_msb 0x44                     ;  msbs: dst=1 src0=0 src1=1 src2=0
	v_mul_i32_i24_e32 v219 /*v475*/, v129, v154 /*v410*/
	v_mul_i32_i24_e32 v220 /*v476*/, v192, v81 /*v337*/
	s_set_vgpr_msb 20                       ;  msbs: dst=0 src0=0 src1=1 src2=1
	v_add3_u32 v191, v127, v217 /*v473*/, v180 /*v436*/
	v_mad_i32_i24 v127, v123, v157 /*v413*/, v218 /*v474*/
	s_set_vgpr_msb 64                       ;  msbs: dst=1 src0=0 src1=0 src2=0
	v_bfe_i32 v17 /*v273*/, v34, 0, 8
	v_bfe_i32 v18 /*v274*/, v34, 8, 8
	s_set_vgpr_msb 0                        ;  msbs: dst=0 src0=0 src1=0 src2=0
	v_bfe_i32 v245, v34, 16, 8
	v_dual_ashrrev_i32 v34, 24, v47 :: v_dual_ashrrev_i32 v104, 24, v16
	v_dual_ashrrev_i32 v183, 24, v22 :: v_dual_ashrrev_i32 v140, 24, v36
	v_bfe_i32 v132, v36, 0, 8
	v_bfe_i32 v16, v36, 8, 8
	;; [unrolled: 1-line block ×5, first 2 shown]
	s_set_vgpr_msb 64                       ;  msbs: dst=1 src0=0 src1=0 src2=0
	v_bfe_i32 v122 /*v378*/, v37, 16, 8
	s_set_vgpr_msb 0                        ;  msbs: dst=0 src0=0 src1=0 src2=0
	v_bfe_i32 v249, v39, 8, 8
	v_dual_ashrrev_i32 v48, 24, v38 :: v_dual_ashrrev_i32 v36, 24, v39
	v_bfe_i32 v252, v39, 0, 8
	s_set_vgpr_msb 64                       ;  msbs: dst=1 src0=0 src1=0 src2=0
	v_bfe_i32 v64 /*v320*/, v29, 0, 8
	v_bfe_i32 v78 /*v334*/, v29, 8, 8
	;; [unrolled: 1-line block ×3, first 2 shown]
	s_set_vgpr_msb 0                        ;  msbs: dst=0 src0=0 src1=0 src2=0
	v_bfe_i32 v37, v39, 16, 8
	v_ashrrev_i32_e32 v29, 24, v11
	s_set_vgpr_msb 64                       ;  msbs: dst=1 src0=0 src1=0 src2=0
	v_bfe_u32 v139 /*v395*/, v145, 16, 2
	v_lshrrev_b16 v111 /*v367*/, 8, v3
	s_set_vgpr_msb 0                        ;  msbs: dst=0 src0=0 src1=0 src2=0
	v_bfe_i32 v39, v3, 16, 8
	s_set_vgpr_msb 64                       ;  msbs: dst=1 src0=0 src1=0 src2=0
	v_bfe_i32 v44 /*v300*/, v3, 0, 8
	s_set_vgpr_msb 4                        ;  msbs: dst=0 src0=0 src1=1 src2=0
	v_mul_i32_i24_e32 v209, v194, v74 /*v330*/
	s_set_vgpr_msb 64                       ;  msbs: dst=1 src0=0 src1=0 src2=0
	v_bfe_u32 v47 /*v303*/, v145, 24, 2
	s_set_vgpr_msb 0                        ;  msbs: dst=0 src0=0 src1=0 src2=0
	v_and_b32_e32 v3, 3, v145
	s_set_vgpr_msb 64                       ;  msbs: dst=1 src0=0 src1=0 src2=0
	v_bfe_u32 v142 /*v398*/, v145, 8, 2
	s_set_vgpr_msb 4                        ;  msbs: dst=0 src0=0 src1=1 src2=0
	v_mul_i32_i24_e32 v145, v192, v113 /*v369*/
	s_set_vgpr_msb 0x44                     ;  msbs: dst=1 src0=0 src1=1 src2=0
	v_mul_i32_i24_e32 v213 /*v469*/, v192, v100 /*v356*/
	s_set_vgpr_msb 64                       ;  msbs: dst=1 src0=0 src1=0 src2=0
	v_mul_i32_i24_e32 v222 /*v478*/, v97, v9
	s_set_vgpr_msb 0x44                     ;  msbs: dst=1 src0=0 src1=1 src2=0
	v_mul_i32_i24_e32 v225 /*v481*/, v192, v69 /*v325*/
	s_set_vgpr_msb 4                        ;  msbs: dst=0 src0=0 src1=1 src2=0
	v_mul_i32_i24_e32 v135, v192, v62 /*v318*/
	s_set_vgpr_msb 0x44                     ;  msbs: dst=1 src0=0 src1=1 src2=0
	v_mul_i32_i24_e32 v233 /*v489*/, v192, v84 /*v340*/
	s_set_vgpr_msb 4                        ;  msbs: dst=0 src0=0 src1=1 src2=0
	v_add3_u32 v192, v127, v219 /*v475*/, v210
	s_set_vgpr_msb 20                       ;  msbs: dst=0 src0=0 src1=1 src2=1
	v_mad_i32_i24 v127, v199, v89 /*v345*/, v220 /*v476*/
	s_set_vgpr_msb 64                       ;  msbs: dst=1 src0=0 src1=0 src2=0
	v_mul_i32_i24_e32 v223 /*v479*/, v129, v203
	s_set_vgpr_msb 0x41                     ;  msbs: dst=1 src0=1 src1=0 src2=0
	v_mul_i32_i24_e32 v224 /*v480*/, v50 /*v306*/, v104
	s_set_vgpr_msb 0                        ;  msbs: dst=0 src0=0 src1=0 src2=0
	v_bfe_i32 v120, v60, 0, 8
	s_set_vgpr_msb 64                       ;  msbs: dst=1 src0=0 src1=0 src2=0
	v_dual_ashrrev_i32 v87 /*v343*/, 24, v45 :: v_dual_ashrrev_i32 v61 /*v317*/, 24, v24
	s_set_vgpr_msb 4                        ;  msbs: dst=0 src0=0 src1=1 src2=0
	v_add3_u32 v209, v127, v221 /*v477*/, v209
	s_set_vgpr_msb 16                       ;  msbs: dst=0 src0=0 src1=0 src2=1
	v_mad_i32_i24 v127, v123, v202, v222 /*v478*/
	s_set_vgpr_msb 0x44                     ;  msbs: dst=1 src0=0 src1=1 src2=0
	v_mul_i32_i24_e32 v179 /*v435*/, v194, v67 /*v323*/
	s_set_vgpr_msb 64                       ;  msbs: dst=1 src0=0 src1=0 src2=0
	v_mul_i32_i24_e32 v228 /*v484*/, v97, v132
	s_set_vgpr_msb 0                        ;  msbs: dst=0 src0=0 src1=0 src2=0
	v_bfe_i32 v126, v60, 8, 8
	s_set_vgpr_msb 64                       ;  msbs: dst=1 src0=0 src1=0 src2=0
	v_bfe_i32 v199 /*v455*/, v60, 16, 8
	s_set_vgpr_msb 20                       ;  msbs: dst=0 src0=0 src1=1 src2=1
	v_add3_u32 v210, v127, v223 /*v479*/, v224 /*v480*/
	v_mad_i32_i24 v127, v199, v53 /*v309*/, v225 /*v481*/
	s_set_vgpr_msb 64                       ;  msbs: dst=1 src0=0 src1=0 src2=0
	v_dual_ashrrev_i32 v198 /*v454*/, 24, v60 :: v_dual_ashrrev_i32 v130 /*v386*/, 24, v61
	v_bfe_i32 v98 /*v354*/, v24, 8, 8
	s_set_vgpr_msb 0                        ;  msbs: dst=0 src0=0 src1=0 src2=0
	v_bfe_u32 v137, v143, 24, 2
	v_bfe_u32 v154, v143, 16, 2
	s_set_vgpr_msb 64                       ;  msbs: dst=1 src0=0 src1=0 src2=0
	v_mul_i32_i24_e32 v178 /*v434*/, v129, v138
	s_set_vgpr_msb 0x44                     ;  msbs: dst=1 src0=0 src1=1 src2=0
	v_mul_i32_i24_e32 v182 /*v438*/, v194, v105 /*v361*/
	v_bfe_u32 v192 /*v448*/, v143, 8, 2
	s_set_vgpr_msb 0                        ;  msbs: dst=0 src0=0 src1=0 src2=0
	v_mul_i32_i24_e32 v143, v97, v120
	s_set_vgpr_msb 0x41                     ;  msbs: dst=1 src0=1 src1=0 src2=0
	v_mul_i32_i24_e32 v229 /*v485*/, v50 /*v306*/, v140
	s_set_vgpr_msb 0x44                     ;  msbs: dst=1 src0=0 src1=1 src2=0
	v_mul_i32_i24_e32 v230 /*v486*/, v194, v61 /*v317*/
	v_mul_i32_i24_e32 v231 /*v487*/, v194, v63 /*v319*/
	;; [unrolled: 1-line block ×3, first 2 shown]
	s_set_vgpr_msb 20                       ;  msbs: dst=0 src0=0 src1=1 src2=1
	v_add3_u32 v194, v127, v226 /*v482*/, v179 /*v435*/
	s_set_vgpr_msb 16                       ;  msbs: dst=0 src0=0 src1=0 src2=1
	v_mad_i32_i24 v127, v123, v16, v228 /*v484*/
	s_set_vgpr_msb 0x44                     ;  msbs: dst=1 src0=0 src1=1 src2=0
	v_mul_i32_i24_e32 v187 /*v443*/, v129, v199 /*v455*/
	s_set_vgpr_msb 0x45                     ;  msbs: dst=1 src0=1 src1=1 src2=0
	v_mul_i32_i24_e32 v189 /*v445*/, v50 /*v306*/, v198 /*v454*/
	s_set_vgpr_msb 1                        ;  msbs: dst=0 src0=1 src1=0 src2=0
	v_mul_i32_i24_e32 v139, v164 /*v420*/, v97
	s_set_vgpr_msb 64                       ;  msbs: dst=1 src0=0 src1=0 src2=0
	v_bfe_i32 v169 /*v425*/, v195, 0, 8
	s_set_vgpr_msb 0                        ;  msbs: dst=0 src0=0 src1=0 src2=0
	v_mad_i32_i24 v103, v123, v126, v143
	s_set_vgpr_msb 20                       ;  msbs: dst=0 src0=0 src1=1 src2=1
	v_add3_u32 v195, v127, v178 /*v434*/, v229 /*v485*/
	v_mad_i32_i24 v127, v199, v98 /*v354*/, v213 /*v469*/
	s_set_vgpr_msb 5                        ;  msbs: dst=0 src0=1 src1=1 src2=0
	v_mul_i32_i24_e32 v141, v190 /*v446*/, v115 /*v371*/
	s_set_vgpr_msb 4                        ;  msbs: dst=0 src0=0 src1=1 src2=0
	v_mul_i32_i24_e32 v233, v109, v104 /*v360*/
	s_set_vgpr_msb 0x45                     ;  msbs: dst=1 src0=1 src1=1 src2=0
	v_mul_i32_i24_e32 v168 /*v424*/, v167 /*v423*/, v58 /*v314*/
	s_set_vgpr_msb 0x54                     ;  msbs: dst=1 src0=0 src1=1 src2=1
	v_add3_u32 v189 /*v445*/, v103, v187 /*v443*/, v189 /*v445*/
	s_set_vgpr_msb 4                        ;  msbs: dst=0 src0=0 src1=1 src2=0
	v_mad_i32_i24 v103, v199, v107 /*v363*/, v145
	s_set_vgpr_msb 16                       ;  msbs: dst=0 src0=0 src1=0 src2=1
	v_add3_u32 v0, v127, v0, v230 /*v486*/
	s_set_vgpr_msb 4                        ;  msbs: dst=0 src0=0 src1=1 src2=0
	v_mad_i32_i24 v127, v199, v77 /*v333*/, v135
	s_set_vgpr_msb 1                        ;  msbs: dst=0 src0=1 src1=0 src2=0
	v_mad_i32_i24 v133, v166 /*v422*/, v123, v139
	v_mul_i32_i24_e32 v139, v208 /*v464*/, v134
	s_set_vgpr_msb 20                       ;  msbs: dst=0 src0=0 src1=1 src2=1
	v_mad_i32_i24 v135, v199, v49 /*v305*/, v233 /*v489*/
	s_set_vgpr_msb 5                        ;  msbs: dst=0 src0=1 src1=1 src2=0
	v_mul_i32_i24_e32 v199, v191 /*v447*/, v115 /*v371*/
	s_set_vgpr_msb 4                        ;  msbs: dst=0 src0=0 src1=1 src2=0
	v_mad_i32_i24 v141, v190, v110 /*v366*/, v141
	s_set_vgpr_msb 0                        ;  msbs: dst=0 src0=0 src1=0 src2=0
	v_lshrrev_b16 v198, 8, v108
	s_set_vgpr_msb 64                       ;  msbs: dst=1 src0=0 src1=0 src2=0
	v_dual_ashrrev_i32 v137 /*v393*/, s17, v181 :: v_dual_ashrrev_i32 v31 /*v287*/, 24, v56
	v_bfe_i32 v133 /*v389*/, v56, 8, 8
	v_bfe_i32 v134 /*v390*/, v56, 16, 8
	s_set_vgpr_msb 0                        ;  msbs: dst=0 src0=0 src1=0 src2=0
	v_bfe_i32 v108, v58, 0, 8
	s_set_vgpr_msb 64                       ;  msbs: dst=1 src0=0 src1=0 src2=0
	v_bfe_i32 v35 /*v291*/, v58, 8, 8
	v_bfe_i32 v4 /*v260*/, v58, 16, 8
	;; [unrolled: 1-line block ×6, first 2 shown]
	s_set_vgpr_msb 0                        ;  msbs: dst=0 src0=0 src1=0 src2=0
	v_bfe_i32 v240, v54, 16, 8
	s_set_vgpr_msb 64                       ;  msbs: dst=1 src0=0 src1=0 src2=0
	v_bfe_i32 v10 /*v266*/, v55, 0, 8
	v_bfe_i32 v11 /*v267*/, v55, 8, 8
	s_set_vgpr_msb 0                        ;  msbs: dst=0 src0=0 src1=0 src2=0
	v_bfe_i32 v122, v61, 0, 8
	v_bfe_i32 v130, v61, 8, 8
	s_set_vgpr_msb 64                       ;  msbs: dst=1 src0=0 src1=0 src2=0
	v_bfe_i32 v128 /*v384*/, v61, 16, 8
	v_bfe_i32 v22 /*v278*/, v62, 0, 8
	;; [unrolled: 1-line block ×7, first 2 shown]
	v_dual_ashrrev_i32 v108 /*v364*/, 24, v41 :: v_dual_ashrrev_i32 v0 /*v256*/, 24, v42
	v_bfe_i32 v20 /*v276*/, v10, 0, 8
	v_bfe_i32 v21 /*v277*/, v10, 8, 8
	s_set_vgpr_msb 0                        ;  msbs: dst=0 src0=0 src1=0 src2=0
	v_bfe_i32 v189, v11, 0, 8
	v_bfe_i32 v187, v11, 8, 8
	s_set_vgpr_msb 64                       ;  msbs: dst=1 src0=0 src1=0 src2=0
	v_bfe_i32 v103 /*v359*/, v13, 0, 8
	s_set_vgpr_msb 0                        ;  msbs: dst=0 src0=0 src1=0 src2=0
	v_bfe_i32 v56, v59, 16, 8
	v_dual_ashrrev_i32 v57, 24, v59 :: v_dual_ashrrev_i32 v59, 24, v50
	s_set_vgpr_msb 64                       ;  msbs: dst=1 src0=0 src1=0 src2=0
	v_bfe_i32 v95 /*v351*/, v13, 8, 8
	v_bfe_i32 v91 /*v347*/, v13, 16, 8
	s_set_vgpr_msb 0                        ;  msbs: dst=0 src0=0 src1=0 src2=0
	v_bfe_i32 v54, v55, 16, 8
	v_dual_ashrrev_i32 v55, 24, v55 :: v_dual_ashrrev_i32 v58, 24, v46
	v_bfe_i32 v60, v50, 16, 8
	s_set_vgpr_msb 64                       ;  msbs: dst=1 src0=0 src1=0 src2=0
	v_bfe_i32 v12 /*v268*/, v50, 8, 8
	v_bfe_i32 v13 /*v269*/, v46, 0, 8
	s_set_vgpr_msb 0                        ;  msbs: dst=0 src0=0 src1=0 src2=0
	v_bfe_i32 v13, v46, 8, 8
	v_bfe_i32 v61, v46, 16, 8
	s_set_vgpr_msb 64                       ;  msbs: dst=1 src0=0 src1=0 src2=0
	v_bfe_i32 v37 /*v293*/, v47, 0, 8
	v_bfe_i32 v36 /*v292*/, v47, 8, 8
	s_set_vgpr_msb 0                        ;  msbs: dst=0 src0=0 src1=0 src2=0
	v_bfe_i32 v41, v47, 16, 8
	s_set_vgpr_msb 64                       ;  msbs: dst=1 src0=0 src1=0 src2=0
	v_bfe_i32 v14 /*v270*/, v50, 0, 8
	s_set_vgpr_msb 0                        ;  msbs: dst=0 src0=0 src1=0 src2=0
	v_bfe_i32 v10, v17, 0, 8
	s_set_vgpr_msb 64                       ;  msbs: dst=1 src0=0 src1=0 src2=0
	v_bfe_i32 v70 /*v326*/, v21, 0, 8
	v_bfe_i32 v55 /*v311*/, v21, 8, 8
	;; [unrolled: 1-line block ×5, first 2 shown]
	s_set_vgpr_msb 0                        ;  msbs: dst=0 src0=0 src1=0 src2=0
	v_bfe_i32 v182, v22, 16, 8
	v_bfe_i32 v246, v23, 0, 8
	;; [unrolled: 1-line block ×7, first 2 shown]
	v_dual_ashrrev_i32 v38, 24, v35 :: v_dual_ashrrev_i32 v62, 24, v30
	v_bfe_i32 v50, v30, 16, 8
	s_set_vgpr_msb 64                       ;  msbs: dst=1 src0=0 src1=0 src2=0
	v_bfe_i32 v38 /*v294*/, v30, 0, 8
	v_bfe_i32 v39 /*v295*/, v30, 8, 8
	s_set_vgpr_msb 0                        ;  msbs: dst=0 src0=0 src1=0 src2=0
	v_ashrrev_i32_e32 v11, 24, v23
	s_set_vgpr_msb 64                       ;  msbs: dst=1 src0=0 src1=0 src2=0
	v_lshrrev_b16 v161 /*v417*/, 8, v7
	s_set_vgpr_msb 0                        ;  msbs: dst=0 src0=0 src1=0 src2=0
	v_ashrrev_i32_e32 v23, 24, v7
	v_bfe_i32 v30, v7, 16, 8
	s_set_vgpr_msb 4                        ;  msbs: dst=0 src0=0 src1=1 src2=0
	v_mul_i32_i24_e32 v230, v154, v104 /*v360*/
	s_set_vgpr_msb 64                       ;  msbs: dst=1 src0=0 src1=0 src2=0
	v_bfe_i32 v43 /*v299*/, v7, 0, 8
	s_set_vgpr_msb 4                        ;  msbs: dst=0 src0=0 src1=1 src2=0
	v_mul_i32_i24_e32 v7, v137, v58 /*v314*/
	s_set_vgpr_msb 0x41                     ;  msbs: dst=1 src0=1 src1=0 src2=0
	v_mul_i32_i24_e32 v173 /*v429*/, v125 /*v381*/, v112
	s_set_vgpr_msb 0x45                     ;  msbs: dst=1 src0=1 src1=1 src2=0
	v_mul_i32_i24_e32 v174 /*v430*/, v129 /*v385*/, v197 /*v453*/
	s_set_vgpr_msb 0                        ;  msbs: dst=0 src0=0 src1=0 src2=0
	v_mad_i32_i24 v139, v14, v110, v139
	s_set_vgpr_msb 0x50                     ;  msbs: dst=1 src0=0 src1=0 src2=1
	v_add3_u32 v215 /*v471*/, v141, v233, v168 /*v424*/
	s_set_vgpr_msb 1                        ;  msbs: dst=0 src0=1 src1=0 src2=0
	v_mul_i32_i24_e32 v233, v205 /*v461*/, v134
	s_set_vgpr_msb 5                        ;  msbs: dst=0 src0=1 src1=1 src2=0
	v_mad_i32_i24 v141, v192 /*v448*/, v110 /*v366*/, v199
	s_set_vgpr_msb 1                        ;  msbs: dst=0 src0=1 src1=0 src2=0
	v_mul_i32_i24_e32 v229, v120 /*v376*/, v112
	s_set_vgpr_msb 0x50                     ;  msbs: dst=1 src0=0 src1=0 src2=1
	v_add3_u32 v240 /*v496*/, v103, v147, v182 /*v438*/
	s_set_vgpr_msb 5                        ;  msbs: dst=0 src0=1 src1=1 src2=0
	v_mul_i32_i24_e32 v145, v124 /*v380*/, v197 /*v453*/
	s_set_vgpr_msb 20                       ;  msbs: dst=0 src0=0 src1=1 src2=1
	v_add3_u32 v147, v139, v173 /*v429*/, v174 /*v430*/
	s_set_vgpr_msb 1                        ;  msbs: dst=0 src0=1 src1=0 src2=0
	v_mul_i32_i24_e32 v139, v206 /*v462*/, v134
	s_set_vgpr_msb 0x45                     ;  msbs: dst=1 src0=1 src1=1 src2=0
	v_mul_i32_i24_e32 v168 /*v424*/, v193 /*v449*/, v115 /*v371*/
	s_set_vgpr_msb 0                        ;  msbs: dst=0 src0=0 src1=0 src2=0
	v_add3_u32 v141, v141, v230, v7
	s_set_vgpr_msb 1                        ;  msbs: dst=0 src0=1 src1=0 src2=0
	v_mad_i32_i24 v7, v209 /*v465*/, v110, v233
	s_set_vgpr_msb 4                        ;  msbs: dst=0 src0=0 src1=1 src2=0
	v_mul_i32_i24_e32 v228, v152, v104 /*v360*/
	s_set_vgpr_msb 1                        ;  msbs: dst=0 src0=1 src1=0 src2=0
	v_mul_i32_i24_e32 v231, v117 /*v373*/, v112
	s_set_vgpr_msb 5                        ;  msbs: dst=0 src0=1 src1=1 src2=0
	v_mul_i32_i24_e32 v232, v121 /*v377*/, v197 /*v453*/
	s_set_vgpr_msb 4                        ;  msbs: dst=0 src0=0 src1=1 src2=0
	v_mul_i32_i24_e32 v143, v1, v58 /*v314*/
	s_set_vgpr_msb 1                        ;  msbs: dst=0 src0=1 src1=0 src2=0
	v_mad_i32_i24 v139, v204 /*v460*/, v110, v139
	s_set_vgpr_msb 0                        ;  msbs: dst=0 src0=0 src1=0 src2=0
	v_add3_u32 v7, v7, v229, v145
	s_set_vgpr_msb 21                       ;  msbs: dst=0 src0=1 src1=1 src2=1
	v_mad_i32_i24 v145, v194 /*v450*/, v110 /*v366*/, v168 /*v424*/
	v_mul_i32_i24_e32 v205, v139 /*v395*/, v199 /*v455*/
	v_mul_i32_i24_e32 v207, v141 /*v397*/, v199 /*v455*/
	s_set_vgpr_msb 0                        ;  msbs: dst=0 src0=0 src1=0 src2=0
	v_add3_u32 v139, v139, v231, v232
	v_mul_i32_i24_e32 v231, v2, v120
	v_add3_u32 v143, v145, v228, v143
	v_mul_i32_i24_e32 v228, v3, v120
	s_set_vgpr_msb 5                        ;  msbs: dst=0 src0=1 src1=1 src2=0
	v_mul_i32_i24_e32 v208, v46 /*v302*/, v198 /*v454*/
	s_set_vgpr_msb 0x45                     ;  msbs: dst=1 src0=1 src1=1 src2=0
	v_mul_i32_i24_e32 v221 /*v477*/, v47 /*v303*/, v198 /*v454*/
	v_mul_i32_i24_e32 v168 /*v424*/, v193 /*v449*/, v113 /*v369*/
	s_set_vgpr_msb 1                        ;  msbs: dst=0 src0=1 src1=0 src2=0
	v_mad_i32_i24 v145, v144 /*v400*/, v126, v231
	v_mad_i32_i24 v228, v142 /*v398*/, v126, v228
	s_set_vgpr_msb 0x41                     ;  msbs: dst=1 src0=1 src1=0 src2=0
	v_mul_i32_i24_e32 v176 /*v432*/, v163 /*v419*/, v129
	s_set_vgpr_msb 0x45                     ;  msbs: dst=1 src0=1 src1=1 src2=0
	v_mul_i32_i24_e32 v227 /*v483*/, v162 /*v418*/, v50 /*v306*/
	s_set_vgpr_msb 5                        ;  msbs: dst=0 src0=1 src1=1 src2=0
	v_mul_i32_i24_e32 v232, v190 /*v446*/, v113 /*v369*/
	s_set_vgpr_msb 0                        ;  msbs: dst=0 src0=0 src1=0 src2=0
	v_mul_i32_i24_e32 v230, v102, v120
	v_add3_u32 v145, v145, v207, v208
	s_set_vgpr_msb 4                        ;  msbs: dst=0 src0=0 src1=1 src2=0
	v_mul_i32_i24_e32 v207, v152, v96 /*v352*/
	v_mul_i32_i24_e32 v208, v1, v105 /*v361*/
	s_set_vgpr_msb 0x50                     ;  msbs: dst=1 src0=0 src1=0 src2=1
	v_add3_u32 v221 /*v477*/, v228, v205, v221 /*v477*/
	s_set_vgpr_msb 0                        ;  msbs: dst=0 src0=0 src1=0 src2=0
	v_mul_i32_i24_e32 v205, v3, v96
	s_set_vgpr_msb 0x55                     ;  msbs: dst=1 src0=1 src1=1 src2=1
	v_mad_i32_i24 v168 /*v424*/, v194 /*v450*/, v107 /*v363*/, v168 /*v424*/
	s_set_vgpr_msb 5                        ;  msbs: dst=0 src0=1 src1=1 src2=0
	v_mul_i32_i24_e32 v206, v140 /*v396*/, v199 /*v455*/
	s_set_vgpr_msb 20                       ;  msbs: dst=0 src0=0 src1=1 src2=1
	v_add3_u32 v127, v127, v177 /*v433*/, v231 /*v487*/
	s_set_vgpr_msb 0x45                     ;  msbs: dst=1 src0=1 src1=1 src2=0
	v_mul_i32_i24_e32 v177 /*v433*/, v45 /*v301*/, v198 /*v454*/
	v_mul_i32_i24_e32 v217 /*v473*/, v167 /*v423*/, v105 /*v361*/
	s_set_vgpr_msb 20                       ;  msbs: dst=0 src0=0 src1=1 src2=1
	v_add3_u32 v133, v133, v176 /*v432*/, v227 /*v483*/
	s_set_vgpr_msb 0x44                     ;  msbs: dst=1 src0=0 src1=1 src2=0
	v_mul_i32_i24_e32 v176 /*v432*/, v109, v96 /*v352*/
	s_set_vgpr_msb 0x45                     ;  msbs: dst=1 src0=1 src1=1 src2=0
	v_mul_i32_i24_e32 v173 /*v429*/, v191 /*v447*/, v113 /*v369*/
	s_set_vgpr_msb 4                        ;  msbs: dst=0 src0=0 src1=1 src2=0
	v_mad_i32_i24 v199, v190, v107 /*v363*/, v232
	s_set_vgpr_msb 0                        ;  msbs: dst=0 src0=0 src1=0 src2=0
	v_mul_i32_i24_e32 v231, v2, v96
	s_set_vgpr_msb 1                        ;  msbs: dst=0 src0=1 src1=0 src2=0
	v_mad_i32_i24 v230, v143 /*v399*/, v126, v230
	s_set_vgpr_msb 5                        ;  msbs: dst=0 src0=1 src1=1 src2=0
	v_mul_i32_i24_e32 v228, v139 /*v395*/, v202 /*v458*/
	s_set_vgpr_msb 0x41                     ;  msbs: dst=1 src0=1 src1=0 src2=0
	v_add3_u32 v224 /*v480*/, v168 /*v424*/, v207, v208
	s_set_vgpr_msb 1                        ;  msbs: dst=0 src0=1 src1=0 src2=0
	v_mul_i32_i24_e32 v207, v47 /*v303*/, v116
	v_mad_i32_i24 v205, v142 /*v398*/, v100, v205
	s_set_vgpr_msb 0x41                     ;  msbs: dst=1 src0=1 src1=0 src2=0
	v_mul_i32_i24_e32 v222 /*v478*/, v46 /*v302*/, v116
	s_set_vgpr_msb 0x45                     ;  msbs: dst=1 src0=1 src1=1 src2=0
	v_mul_i32_i24_e32 v213 /*v469*/, v141 /*v397*/, v202 /*v458*/
	s_set_vgpr_msb 20                       ;  msbs: dst=0 src0=0 src1=1 src2=1
	v_mul_i32_i24_e32 v229, v154, v96 /*v352*/
	v_mul_i32_i24_e32 v233, v137, v105 /*v361*/
	v_add3_u32 v199, v199, v176 /*v432*/, v217 /*v473*/
	s_set_vgpr_msb 0x50                     ;  msbs: dst=1 src0=0 src1=0 src2=1
	v_add3_u32 v217 /*v473*/, v230, v206, v177 /*v433*/
	s_set_vgpr_msb 0                        ;  msbs: dst=0 src0=0 src1=0 src2=0
	v_mul_i32_i24_e32 v230, v102, v96
	s_set_vgpr_msb 0x55                     ;  msbs: dst=1 src0=1 src1=1 src2=1
	v_mad_i32_i24 v173 /*v429*/, v192 /*v448*/, v107 /*v363*/, v173 /*v429*/
	s_set_vgpr_msb 0                        ;  msbs: dst=0 src0=0 src1=0 src2=0
	v_mul_i32_i24_e32 v208, v2, v117
	s_set_vgpr_msb 1                        ;  msbs: dst=0 src0=1 src1=0 src2=0
	v_mad_i32_i24 v231, v144 /*v400*/, v100, v231
	s_set_vgpr_msb 64                       ;  msbs: dst=1 src0=0 src1=0 src2=0
	v_add3_u32 v225 /*v481*/, v205, v228, v207
	s_set_vgpr_msb 0                        ;  msbs: dst=0 src0=0 src1=0 src2=0
	v_mul_i32_i24_e32 v205, v102, v117
	s_set_vgpr_msb 0x41                     ;  msbs: dst=1 src0=1 src1=0 src2=0
	v_mul_i32_i24_e32 v179 /*v435*/, v139 /*v395*/, v200
	v_mul_i32_i24_e32 v182 /*v438*/, v45 /*v301*/, v118
	v_add3_u32 v218 /*v474*/, v173 /*v429*/, v229, v233
	s_set_vgpr_msb 5                        ;  msbs: dst=0 src0=1 src1=1 src2=0
	v_mul_i32_i24_e32 v229, v140 /*v396*/, v202 /*v458*/
	s_set_vgpr_msb 1                        ;  msbs: dst=0 src0=1 src1=0 src2=0
	v_mul_i32_i24_e32 v233, v45 /*v301*/, v116
	s_set_vgpr_msb 0x54                     ;  msbs: dst=1 src0=0 src1=1 src2=1
	v_add3_u32 v228 /*v484*/, v231, v213 /*v469*/, v222 /*v478*/
	s_set_vgpr_msb 1                        ;  msbs: dst=0 src0=1 src1=0 src2=0
	v_mul_i32_i24_e32 v231, v141 /*v397*/, v200
	s_set_vgpr_msb 0x41                     ;  msbs: dst=1 src0=1 src1=0 src2=0
	v_mul_i32_i24_e32 v168 /*v424*/, v46 /*v302*/, v118
	s_set_vgpr_msb 1                        ;  msbs: dst=0 src0=1 src1=0 src2=0
	v_mad_i32_i24 v230, v143 /*v399*/, v100, v230
	v_mul_i32_i24_e32 v207, v140 /*v396*/, v200
	s_set_vgpr_msb 5                        ;  msbs: dst=0 src0=1 src1=1 src2=0
	v_mul_i32_i24_e32 v228, v191 /*v447*/, v101 /*v357*/
	s_set_vgpr_msb 1                        ;  msbs: dst=0 src0=1 src1=0 src2=0
	v_mad_i32_i24 v200, v144 /*v400*/, v201, v208
	v_mad_i32_i24 v205, v143 /*v399*/, v201, v205
	s_set_vgpr_msb 20                       ;  msbs: dst=0 src0=0 src1=1 src2=1
	v_mul_i32_i24_e32 v204, v137, v92 /*v348*/
	v_add3_u32 v135, v135, v175 /*v431*/, v232 /*v488*/
	s_set_vgpr_msb 64                       ;  msbs: dst=1 src0=0 src1=0 src2=0
	v_add3_u32 v230 /*v486*/, v230, v229, v233
	s_set_vgpr_msb 5                        ;  msbs: dst=0 src0=1 src1=1 src2=0
	v_mul_i32_i24_e32 v229, v190 /*v446*/, v101 /*v357*/
	s_set_vgpr_msb 0x50                     ;  msbs: dst=1 src0=0 src1=0 src2=1
	v_add3_u32 v232 /*v488*/, v200, v231, v168 /*v424*/
	s_set_vgpr_msb 4                        ;  msbs: dst=0 src0=0 src1=1 src2=0
	v_mul_i32_i24_e32 v208, v154, v88 /*v344*/
	s_set_vgpr_msb 0                        ;  msbs: dst=0 src0=0 src1=0 src2=0
	v_mul_i32_i24_e32 v231, v3, v117
	s_set_vgpr_msb 0x50                     ;  msbs: dst=1 src0=0 src1=0 src2=1
	v_add3_u32 v234 /*v490*/, v205, v207, v182 /*v438*/
	s_set_vgpr_msb 0                        ;  msbs: dst=0 src0=0 src1=0 src2=0
	v_mul_i32_i24_e32 v207, v2, v9
	s_set_vgpr_msb 5                        ;  msbs: dst=0 src0=1 src1=1 src2=0
	v_mad_i32_i24 v228, v192 /*v448*/, v93 /*v349*/, v228
	s_set_vgpr_msb 0x41                     ;  msbs: dst=1 src0=1 src1=0 src2=0
	v_mul_i32_i24_e32 v214 /*v470*/, v47 /*v303*/, v118
	s_set_vgpr_msb 0x45                     ;  msbs: dst=1 src0=1 src1=1 src2=0
	v_mul_i32_i24_e32 v178 /*v434*/, v167 /*v423*/, v92 /*v348*/
	s_set_vgpr_msb 4                        ;  msbs: dst=0 src0=0 src1=1 src2=0
	v_mul_i32_i24_e32 v230, v109, v88 /*v344*/
	v_mad_i32_i24 v200, v190, v93 /*v349*/, v229
	s_set_vgpr_msb 5                        ;  msbs: dst=0 src0=1 src1=1 src2=0
	v_mul_i32_i24_e32 v229, v193 /*v449*/, v101 /*v357*/
	s_set_vgpr_msb 64                       ;  msbs: dst=1 src0=0 src1=0 src2=0
	v_add3_u32 v222 /*v478*/, v228, v208, v204
	s_set_vgpr_msb 1                        ;  msbs: dst=0 src0=1 src1=0 src2=0
	v_mul_i32_i24_e32 v204, v141 /*v397*/, v203
	v_mul_i32_i24_e32 v208, v46 /*v302*/, v104
	v_mad_i32_i24 v201, v142 /*v398*/, v201, v231
	s_set_vgpr_msb 5                        ;  msbs: dst=0 src0=1 src1=1 src2=0
	v_mul_i32_i24_e32 v228, v190 /*v446*/, v69 /*v325*/
	s_set_vgpr_msb 1                        ;  msbs: dst=0 src0=1 src1=0 src2=0
	v_mad_i32_i24 v207, v144 /*v400*/, v202, v207
	s_set_vgpr_msb 0x45                     ;  msbs: dst=1 src0=1 src1=1 src2=0
	v_mul_i32_i24_e32 v187 /*v443*/, v167 /*v423*/, v67 /*v323*/
	s_set_vgpr_msb 16                       ;  msbs: dst=0 src0=0 src1=0 src2=1
	v_add3_u32 v200, v200, v230, v178 /*v434*/
	s_set_vgpr_msb 4                        ;  msbs: dst=0 src0=0 src1=1 src2=0
	v_mul_i32_i24_e32 v230, v152, v88 /*v344*/
	v_mul_i32_i24_e32 v205, v1, v92 /*v348*/
	s_set_vgpr_msb 0x54                     ;  msbs: dst=1 src0=0 src1=1 src2=1
	v_add3_u32 v235 /*v491*/, v201, v179 /*v435*/, v214 /*v470*/
	s_set_vgpr_msb 4                        ;  msbs: dst=0 src0=0 src1=1 src2=0
	v_mul_i32_i24_e32 v201, v109, v56 /*v312*/
	s_set_vgpr_msb 0                        ;  msbs: dst=0 src0=0 src1=0 src2=0
	v_mul_i32_i24_e32 v231, v102, v9
	s_set_vgpr_msb 5                        ;  msbs: dst=0 src0=1 src1=1 src2=0
	v_mad_i32_i24 v229, v194 /*v450*/, v93 /*v349*/, v229
	s_set_vgpr_msb 64                       ;  msbs: dst=1 src0=0 src1=0 src2=0
	v_add3_u32 v231 /*v487*/, v207, v204, v208
	s_set_vgpr_msb 4                        ;  msbs: dst=0 src0=0 src1=1 src2=0
	v_mad_i32_i24 v207, v190, v53 /*v309*/, v228
	s_set_vgpr_msb 64                       ;  msbs: dst=1 src0=0 src1=0 src2=0
	v_mul_lo_u32 v207 /*v463*/, 0x1010101, v105
	s_set_vgpr_msb 1                        ;  msbs: dst=0 src0=1 src1=0 src2=0
	v_mul_i32_i24_e32 v105, v45 /*v301*/, v104
	s_set_vgpr_msb 64                       ;  msbs: dst=1 src0=0 src1=0 src2=0
	v_add3_u32 v233 /*v489*/, v229, v230, v205
	s_set_vgpr_msb 1                        ;  msbs: dst=0 src0=1 src1=0 src2=0
	v_mul_i32_i24_e32 v205, v140 /*v396*/, v203
	s_set_vgpr_msb 0x50                     ;  msbs: dst=1 src0=0 src1=0 src2=1
	v_add3_u32 v223 /*v479*/, v207, v201, v187 /*v443*/
	s_set_vgpr_msb 1                        ;  msbs: dst=0 src0=1 src1=0 src2=0
	v_mad_i32_i24 v207, v143 /*v399*/, v202, v231
	s_set_vgpr_msb 5                        ;  msbs: dst=0 src0=1 src1=1 src2=0
	v_mul_i32_i24_e32 v229, v191 /*v447*/, v69 /*v325*/
	s_set_vgpr_msb 0x41                     ;  msbs: dst=1 src0=1 src1=0 src2=0
	v_mul_i32_i24_e32 v220 /*v476*/, v47 /*v303*/, v104
	s_set_vgpr_msb 4                        ;  msbs: dst=0 src0=0 src1=1 src2=0
	v_mul_i32_i24_e32 v204, v154, v56 /*v312*/
	v_mul_i32_i24_e32 v201, v137, v67 /*v323*/
	s_set_vgpr_msb 64                       ;  msbs: dst=1 src0=0 src1=0 src2=0
	v_add3_u32 v213 /*v469*/, v207, v205, v105
	s_set_vgpr_msb 0                        ;  msbs: dst=0 src0=0 src1=0 src2=0
	v_mul_i32_i24_e32 v105, v3, v9
	s_set_vgpr_msb 1                        ;  msbs: dst=0 src0=1 src1=0 src2=0
	v_mul_i32_i24_e32 v203, v139 /*v395*/, v203
	s_set_vgpr_msb 5                        ;  msbs: dst=0 src0=1 src1=1 src2=0
	v_mul_i32_i24_e32 v205, v193 /*v449*/, v69 /*v325*/
	v_mad_i32_i24 v207, v192 /*v448*/, v53 /*v309*/, v229
	s_set_vgpr_msb 0x41                     ;  msbs: dst=1 src0=1 src1=0 src2=0
	v_mul_i32_i24_e32 v247 /*v503*/, v46 /*v302*/, v140
	s_set_vgpr_msb 1                        ;  msbs: dst=0 src0=1 src1=0 src2=0
	v_mad_i32_i24 v105, v142 /*v398*/, v202, v105
	s_set_vgpr_msb 0                        ;  msbs: dst=0 src0=0 src1=0 src2=0
	v_mul_i32_i24_e32 v202, v2, v132
	s_set_vgpr_msb 5                        ;  msbs: dst=0 src0=1 src1=1 src2=0
	v_mad_i32_i24 v205, v194 /*v450*/, v53 /*v309*/, v205
	s_set_vgpr_msb 64                       ;  msbs: dst=1 src0=0 src1=0 src2=0
	v_add3_u32 v214 /*v470*/, v207, v204, v201
	s_set_vgpr_msb 4                        ;  msbs: dst=0 src0=0 src1=1 src2=0
	v_mul_i32_i24_e32 v201, v1, v67 /*v323*/
	v_mul_i32_i24_e32 v204, v152, v56 /*v312*/
	s_set_vgpr_msb 0x50                     ;  msbs: dst=1 src0=0 src1=0 src2=1
	v_add3_u32 v220 /*v476*/, v105, v203, v220 /*v476*/
	s_set_vgpr_msb 0                        ;  msbs: dst=0 src0=0 src1=0 src2=0
	v_mul_i32_i24_e32 v203, v102, v132
	s_set_vgpr_msb 5                        ;  msbs: dst=0 src0=1 src1=1 src2=0
	v_mul_i32_i24_e32 v232, v190 /*v446*/, v100 /*v356*/
	s_set_vgpr_msb 1                        ;  msbs: dst=0 src0=1 src1=0 src2=0
	v_mul_i32_i24_e32 v105, v141 /*v397*/, v138
	s_set_vgpr_msb 64                       ;  msbs: dst=1 src0=0 src1=0 src2=0
	v_add3_u32 v226 /*v482*/, v205, v204, v201
	s_set_vgpr_msb 1                        ;  msbs: dst=0 src0=1 src1=0 src2=0
	v_mul_i32_i24_e32 v201, v140 /*v396*/, v138
	v_mul_i32_i24_e32 v204, v45 /*v301*/, v140
	v_mad_i32_i24 v202, v144 /*v400*/, v16, v202
	v_mad_i32_i24 v203, v143 /*v399*/, v16, v203
	s_set_vgpr_msb 0x45                     ;  msbs: dst=1 src0=1 src1=1 src2=0
	v_mul_i32_i24_e32 v246 /*v502*/, v167 /*v423*/, v61 /*v317*/
	s_set_vgpr_msb 4                        ;  msbs: dst=0 src0=0 src1=1 src2=0
	v_mul_i32_i24_e32 v206, v109, v51 /*v307*/
	s_set_vgpr_msb 0x44                     ;  msbs: dst=1 src0=0 src1=1 src2=0
	v_mul_i32_i24_e32 v219 /*v475*/, v137, v61 /*v317*/
	s_set_vgpr_msb 0x50                     ;  msbs: dst=1 src0=0 src1=0 src2=1
	v_add3_u32 v227 /*v483*/, v202, v105, v247 /*v503*/
	s_set_vgpr_msb 5                        ;  msbs: dst=0 src0=1 src1=1 src2=0
	v_mul_i32_i24_e32 v105, v191 /*v447*/, v100 /*v356*/
	s_set_vgpr_msb 64                       ;  msbs: dst=1 src0=0 src1=0 src2=0
	v_add3_u32 v229 /*v485*/, v203, v201, v204
	s_set_vgpr_msb 5                        ;  msbs: dst=0 src0=1 src1=1 src2=0
	v_mul_i32_i24_e32 v203, v193 /*v449*/, v100 /*v356*/
	s_set_vgpr_msb 4                        ;  msbs: dst=0 src0=0 src1=1 src2=0
	v_mad_i32_i24 v201, v190, v98 /*v354*/, v232
	v_mul_i32_i24_e32 v202, v154, v51 /*v307*/
	v_mul_i32_i24_e32 v204, v1, v61 /*v317*/
	;; [unrolled: 1-line block ×3, first 2 shown]
	s_set_vgpr_msb 5                        ;  msbs: dst=0 src0=1 src1=1 src2=0
	v_mad_i32_i24 v105, v192 /*v448*/, v98 /*v354*/, v105
	s_set_vgpr_msb 16                       ;  msbs: dst=0 src0=0 src1=0 src2=1
	v_add3_u32 v201, v201, v206, v246 /*v502*/
	s_set_vgpr_msb 5                        ;  msbs: dst=0 src0=1 src1=1 src2=0
	v_mul_i32_i24_e32 v206, v190 /*v446*/, v62 /*v318*/
	v_mad_i32_i24 v203, v194 /*v450*/, v98 /*v354*/, v203
	s_set_vgpr_msb 0x45                     ;  msbs: dst=1 src0=1 src1=1 src2=0
	v_mul_i32_i24_e32 v245 /*v501*/, v167 /*v423*/, v63 /*v319*/
	s_set_vgpr_msb 16                       ;  msbs: dst=0 src0=0 src1=0 src2=1
	v_add3_u32 v202, v105, v202, v219 /*v475*/
	s_set_vgpr_msb 4                        ;  msbs: dst=0 src0=0 src1=1 src2=0
	v_mul_i32_i24_e32 v105, v109, v54 /*v310*/
	v_mad_i32_i24 v206, v190, v77 /*v333*/, v206
	s_set_vgpr_msb 0                        ;  msbs: dst=0 src0=0 src1=0 src2=0
	v_add3_u32 v203, v203, v205, v204
	v_mul_i32_i24_e32 v204, v3, v132
	s_set_vgpr_msb 0x41                     ;  msbs: dst=1 src0=1 src1=0 src2=0
	v_mul_i32_i24_e32 v244 /*v500*/, v47 /*v303*/, v140
	v_mul_i32_i24_e32 v181 /*v437*/, v139 /*v395*/, v138
	s_set_vgpr_msb 5                        ;  msbs: dst=0 src0=1 src1=1 src2=0
	v_mul_i32_i24_e32 v207, v191 /*v447*/, v62 /*v318*/
	v_mul_i32_i24_e32 v228, v193 /*v449*/, v62 /*v318*/
	s_set_vgpr_msb 4                        ;  msbs: dst=0 src0=0 src1=1 src2=0
	v_mul_i32_i24_e32 v229, v2, v156 /*v412*/
	s_set_vgpr_msb 16                       ;  msbs: dst=0 src0=0 src1=0 src2=1
	v_add3_u32 v206, v206, v105, v245 /*v501*/
	s_set_vgpr_msb 5                        ;  msbs: dst=0 src0=1 src1=1 src2=0
	v_mul_i32_i24_e32 v105, v190 /*v446*/, v81 /*v337*/
	s_set_vgpr_msb 1                        ;  msbs: dst=0 src0=1 src1=0 src2=0
	v_mad_i32_i24 v204, v142 /*v398*/, v16, v204
	s_set_vgpr_msb 0x45                     ;  msbs: dst=1 src0=1 src1=1 src2=0
	v_mul_i32_i24_e32 v239 /*v495*/, v167 /*v423*/, v74 /*v330*/
	s_set_vgpr_msb 5                        ;  msbs: dst=0 src0=1 src1=1 src2=0
	v_mul_i32_i24_e32 v103, v46 /*v302*/, v155 /*v411*/
	s_set_vgpr_msb 0x44                     ;  msbs: dst=1 src0=0 src1=1 src2=0
	v_mul_i32_i24_e32 v241 /*v497*/, v1, v63 /*v319*/
	v_mul_i32_i24_e32 v242 /*v498*/, v152, v54 /*v310*/
	s_set_vgpr_msb 5                        ;  msbs: dst=0 src0=1 src1=1 src2=0
	v_mul_i32_i24_e32 v208, v141 /*v397*/, v154 /*v410*/
	v_mad_i32_i24 v205, v192 /*v448*/, v77 /*v333*/, v207
	s_set_vgpr_msb 20                       ;  msbs: dst=0 src0=0 src1=1 src2=1
	v_mul_i32_i24_e32 v230, v109, v72 /*v328*/
	v_add3_u32 v207, v204, v181 /*v437*/, v244 /*v500*/
	s_set_vgpr_msb 1                        ;  msbs: dst=0 src0=1 src1=0 src2=0
	v_mul_i32_i24_e32 v204, v164 /*v420*/, v2
	s_set_vgpr_msb 5                        ;  msbs: dst=0 src0=1 src1=1 src2=0
	v_mad_i32_i24 v228, v194 /*v450*/, v77 /*v333*/, v228
	v_mad_i32_i24 v229, v144 /*v400*/, v157 /*v413*/, v229
	s_set_vgpr_msb 4                        ;  msbs: dst=0 src0=0 src1=1 src2=0
	v_mad_i32_i24 v105, v190, v89 /*v345*/, v105
	s_set_vgpr_msb 64                       ;  msbs: dst=1 src0=0 src1=0 src2=0
	v_mul_i32_i24_e32 v212 /*v468*/, v128, v102
	s_set_vgpr_msb 0x45                     ;  msbs: dst=1 src0=1 src1=1 src2=0
	v_mul_i32_i24_e32 v238 /*v494*/, v162 /*v418*/, v46 /*v302*/
	s_set_vgpr_msb 5                        ;  msbs: dst=0 src0=1 src1=1 src2=0
	v_mul_i32_i24_e32 v231, v163 /*v419*/, v141 /*v397*/
	s_set_vgpr_msb 20                       ;  msbs: dst=0 src0=0 src1=1 src2=1
	v_add3_u32 v233, v228, v242 /*v498*/, v241 /*v497*/
	s_set_vgpr_msb 1                        ;  msbs: dst=0 src0=1 src1=0 src2=0
	v_mul_i32_i24_e32 v228, v164 /*v420*/, v102
	s_set_vgpr_msb 0                        ;  msbs: dst=0 src0=0 src1=0 src2=0
	v_add3_u32 v103, v229, v208, v103
	s_set_vgpr_msb 1                        ;  msbs: dst=0 src0=1 src1=0 src2=0
	v_mul_i32_i24_e32 v229, v164 /*v420*/, v3
	s_set_vgpr_msb 16                       ;  msbs: dst=0 src0=0 src1=0 src2=1
	v_add3_u32 v230, v105, v230, v239 /*v495*/
	s_set_vgpr_msb 4                        ;  msbs: dst=0 src0=0 src1=1 src2=0
	v_mul_i32_i24_e32 v102, v102, v156 /*v412*/
	s_set_vgpr_msb 5                        ;  msbs: dst=0 src0=1 src1=1 src2=0
	v_mad_i32_i24 v105, v166 /*v422*/, v144 /*v400*/, v204
	v_mul_i32_i24_e32 v232, v163 /*v419*/, v140 /*v396*/
	v_mul_i32_i24_e32 v208, v162 /*v418*/, v45 /*v301*/
	s_set_vgpr_msb 0x45                     ;  msbs: dst=1 src0=1 src1=1 src2=0
	v_mul_i32_i24_e32 v168 /*v424*/, v163 /*v419*/, v139 /*v395*/
	v_mul_i32_i24_e32 v173 /*v429*/, v162 /*v418*/, v47 /*v303*/
	s_set_vgpr_msb 16                       ;  msbs: dst=0 src0=0 src1=0 src2=1
	v_add3_u32 v105, v105, v231, v238 /*v494*/
	s_set_vgpr_msb 5                        ;  msbs: dst=0 src0=1 src1=1 src2=0
	v_mul_i32_i24_e32 v204, v140 /*v396*/, v154 /*v410*/
	v_mul_i32_i24_e32 v231, v45 /*v301*/, v155 /*v411*/
	v_mad_i32_i24 v228, v166 /*v422*/, v143 /*v399*/, v228
	v_mad_i32_i24 v229, v166 /*v422*/, v142 /*v398*/, v229
	;; [unrolled: 1-line block ×3, first 2 shown]
	s_set_vgpr_msb 0x44                     ;  msbs: dst=1 src0=0 src1=1 src2=0
	v_mul_i32_i24_e32 v174 /*v430*/, v137, v74 /*v330*/
	s_set_vgpr_msb 0x45                     ;  msbs: dst=1 src0=1 src1=1 src2=0
	v_mul_i32_i24_e32 v167 /*v423*/, v167 /*v423*/, v83 /*v339*/
	s_set_vgpr_msb 0                        ;  msbs: dst=0 src0=0 src1=0 src2=0
	v_add3_u32 v228, v228, v232, v208
	s_set_vgpr_msb 5                        ;  msbs: dst=0 src0=1 src1=1 src2=0
	v_mul_i32_i24_e32 v208, v191 /*v447*/, v81 /*v337*/
	s_set_vgpr_msb 20                       ;  msbs: dst=0 src0=0 src1=1 src2=1
	v_add3_u32 v232, v229, v168 /*v424*/, v173 /*v429*/
	s_set_vgpr_msb 0                        ;  msbs: dst=0 src0=0 src1=0 src2=0
	v_add3_u32 v229, v102, v204, v231
	s_set_vgpr_msb 4                        ;  msbs: dst=0 src0=0 src1=1 src2=0
	v_mul_i32_i24_e32 v231, v3, v156 /*v412*/
	s_set_vgpr_msb 0x45                     ;  msbs: dst=1 src0=1 src1=1 src2=0
	v_mul_i32_i24_e32 v173 /*v429*/, v47 /*v303*/, v155 /*v411*/
	s_set_vgpr_msb 5                        ;  msbs: dst=0 src0=1 src1=1 src2=0
	v_mul_i32_i24_e32 v204, v139 /*v395*/, v154 /*v410*/
	v_mad_i32_i24 v102, v192 /*v448*/, v89 /*v345*/, v208
	s_set_vgpr_msb 0x44                     ;  msbs: dst=1 src0=0 src1=1 src2=0
	v_mul_i32_i24_e32 v168 /*v424*/, v154, v72 /*v328*/
	s_set_vgpr_msb 5                        ;  msbs: dst=0 src0=1 src1=1 src2=0
	v_mad_i32_i24 v208, v142 /*v398*/, v157 /*v413*/, v231
	s_set_vgpr_msb 0x44                     ;  msbs: dst=1 src0=0 src1=1 src2=0
	v_mul_i32_i24_e32 v180 /*v436*/, v137, v63 /*v319*/
	v_mul_i32_i24_e32 v216 /*v472*/, v154, v54 /*v310*/
	s_set_vgpr_msb 20                       ;  msbs: dst=0 src0=0 src1=1 src2=1
	v_mul_i32_i24_e32 v154, v154, v76 /*v332*/
	v_add3_u32 v102, v102, v168 /*v424*/, v174 /*v430*/
	s_set_vgpr_msb 16                       ;  msbs: dst=0 src0=0 src1=0 src2=1
	v_add3_u32 v231, v208, v204, v173 /*v429*/
	s_set_vgpr_msb 5                        ;  msbs: dst=0 src0=1 src1=1 src2=0
	v_mul_i32_i24_e32 v204, v193 /*v449*/, v81 /*v337*/
	s_set_vgpr_msb 0x44                     ;  msbs: dst=1 src0=0 src1=1 src2=0
	v_mul_i32_i24_e32 v168 /*v424*/, v152, v72 /*v328*/
	v_mul_i32_i24_e32 v174 /*v430*/, v1, v74 /*v330*/
	s_set_vgpr_msb 4                        ;  msbs: dst=0 src0=0 src1=1 src2=0
	v_mul_i32_i24_e32 v137, v137, v83 /*v339*/
	s_set_vgpr_msb 64                       ;  msbs: dst=1 src0=0 src1=0 src2=0
	v_bfe_u32 v238 /*v494*/, v115, 8, 2
	s_set_vgpr_msb 5                        ;  msbs: dst=0 src0=1 src1=1 src2=0
	v_mad_i32_i24 v204, v194 /*v450*/, v89 /*v345*/, v204
	s_set_vgpr_msb 4                        ;  msbs: dst=0 src0=0 src1=1 src2=0
	v_mul_i32_i24_e32 v1, v1, v83 /*v339*/
	s_set_vgpr_msb 64                       ;  msbs: dst=1 src0=0 src1=0 src2=0
	v_bfe_i32 v26 /*v282*/, v42, 0, 8
	v_bfe_i32 v27 /*v283*/, v42, 8, 8
	;; [unrolled: 1-line block ×3, first 2 shown]
	s_set_vgpr_msb 20                       ;  msbs: dst=0 src0=0 src1=1 src2=1
	v_add3_u32 v204, v204, v168 /*v424*/, v174 /*v430*/
	s_set_vgpr_msb 0x45                     ;  msbs: dst=1 src0=1 src1=1 src2=0
	v_mul_i32_i24_e32 v174 /*v430*/, v190 /*v446*/, v84 /*v340*/
	s_set_vgpr_msb 0x44                     ;  msbs: dst=1 src0=0 src1=1 src2=0
	v_mul_i32_i24_e32 v168 /*v424*/, v109, v76 /*v332*/
	v_bfe_i32 v8 /*v264*/, v43, 0, 8
	s_set_vgpr_msb 20                       ;  msbs: dst=0 src0=0 src1=1 src2=1
	v_bfe_i32 v239, v43, 8, 8
	v_bfe_i32 v42, v43, 16, 8
	v_mad_i32_i24 v190, v190, v49 /*v305*/, v174 /*v430*/
	s_set_vgpr_msb 64                       ;  msbs: dst=1 src0=0 src1=0 src2=0
	v_and_b32_e32 v174 /*v430*/, 3, v113
	v_bfe_i32 v158 /*v414*/, v45, 0, 8
	v_bfe_i32 v160 /*v416*/, v45, 8, 8
	;; [unrolled: 1-line block ×3, first 2 shown]
	s_set_vgpr_msb 20                       ;  msbs: dst=0 src0=0 src1=1 src2=1
	v_add3_u32 v211, v190, v168 /*v424*/, v167 /*v423*/
	s_set_vgpr_msb 5                        ;  msbs: dst=0 src0=1 src1=1 src2=0
	v_mul_i32_i24_e32 v190, v191 /*v447*/, v84 /*v340*/
	s_set_vgpr_msb 0                        ;  msbs: dst=0 src0=0 src1=0 src2=0
	v_dual_ashrrev_i32 v45, 24, v43 :: v_dual_ashrrev_i32 v181, 24, v18
	v_bfe_i32 v241, v15, 0, 8
	v_bfe_i32 v242, v15, 8, 8
	s_set_vgpr_msb 5                        ;  msbs: dst=0 src0=1 src1=1 src2=0
	v_mad_i32_i24 v190, v192 /*v448*/, v49 /*v305*/, v190
	s_set_vgpr_msb 0                        ;  msbs: dst=0 src0=0 src1=0 src2=0
	v_bfe_i32 v43, v15, 16, 8
	v_ashrrev_i32_e32 v15, 24, v19
	s_set_vgpr_msb 64                       ;  msbs: dst=1 src0=0 src1=0 src2=0
	v_dual_ashrrev_i32 v242 /*v498*/, s17, v177 :: v_dual_bitop2_b32 v173 /*v429*/, 3, v111 bitop3:0x40
	s_set_vgpr_msb 0                        ;  msbs: dst=0 src0=0 src1=0 src2=0
	v_add3_u32 v212, v190, v154, v137
	v_mul_i32_i24_e32 v190, v128, v97
	s_set_vgpr_msb 4                        ;  msbs: dst=0 src0=0 src1=1 src2=0
	v_mul_i32_i24_e32 v97, v152, v76 /*v332*/
	s_set_vgpr_msb 5                        ;  msbs: dst=0 src0=1 src1=1 src2=0
	v_mul_i32_i24_e32 v152, v193 /*v449*/, v84 /*v340*/
	s_set_vgpr_msb 64                       ;  msbs: dst=1 src0=0 src1=0 src2=0
	v_bfe_u32 v176 /*v432*/, v111, 8, 2
	v_bfe_u32 v177 /*v433*/, v111, 16, 2
	;; [unrolled: 1-line block ×3, first 2 shown]
	s_set_vgpr_msb 4                        ;  msbs: dst=0 src0=0 src1=1 src2=0
	v_mul_i32_i24_e32 v111, v125, v114 /*v370*/
	s_set_vgpr_msb 5                        ;  msbs: dst=0 src0=1 src1=1 src2=0
	v_mad_i32_i24 v152, v194 /*v450*/, v49 /*v305*/, v152
	s_set_vgpr_msb 64                       ;  msbs: dst=1 src0=0 src1=0 src2=0
	v_ashrrev_i32_e32 v194 /*v450*/, s17, v170
	s_set_vgpr_msb 1                        ;  msbs: dst=0 src0=1 src1=0 src2=0
	v_mul_i32_i24_e32 v137, v174 /*v430*/, v108
	s_set_vgpr_msb 4                        ;  msbs: dst=0 src0=0 src1=1 src2=0
	v_mul_i32_i24_e32 v154, v106, v158 /*v414*/
	s_set_vgpr_msb 64                       ;  msbs: dst=1 src0=0 src1=0 src2=0
	v_ashrrev_i32_e32 v219 /*v475*/, s17, v175
	s_set_vgpr_msb 0                        ;  msbs: dst=0 src0=0 src1=0 src2=0
	v_add3_u32 v213, v152, v97, v1
	v_ashrrev_i32_e32 v97, s17, v176
	s_set_vgpr_msb 1                        ;  msbs: dst=0 src0=1 src1=0 src2=0
	v_add3_u32 v214, v236 /*v492*/, v137, v190
	s_set_vgpr_msb 4                        ;  msbs: dst=0 src0=0 src1=1 src2=0
	v_mul_i32_i24_e32 v137, v125, v118 /*v374*/
	s_set_vgpr_msb 5                        ;  msbs: dst=0 src0=1 src1=1 src2=0
	v_mul_i32_i24_e32 v176, v238 /*v494*/, v112 /*v368*/
	s_set_vgpr_msb 0                        ;  msbs: dst=0 src0=0 src1=0 src2=0
	v_mul_i32_i24_e32 v1, v106, v8
	v_mul_i32_i24_e32 v152, v106, v122
	;; [unrolled: 1-line block ×3, first 2 shown]
	s_set_vgpr_msb 4                        ;  msbs: dst=0 src0=0 src1=1 src2=0
	v_mul_i32_i24_e32 v6, v106, v165 /*v421*/
	s_set_vgpr_msb 1                        ;  msbs: dst=0 src0=1 src1=0 src2=0
	v_add3_u32 v215, v237 /*v493*/, v137, v176
	s_set_vgpr_msb 5                        ;  msbs: dst=0 src0=1 src1=1 src2=0
	v_mul_i32_i24_e32 v137, v238 /*v494*/, v109 /*v365*/
	s_set_vgpr_msb 0x45                     ;  msbs: dst=1 src0=1 src1=1 src2=0
	v_add3_u32 v182 /*v438*/, v195 /*v451*/, v21 /*v277*/, v187
	s_set_vgpr_msb 4                        ;  msbs: dst=0 src0=0 src1=1 src2=0
	v_mul_i32_i24_e32 v208, v85, v169 /*v425*/
	s_set_vgpr_msb 0x44                     ;  msbs: dst=1 src0=0 src1=1 src2=0
	v_mul_i32_i24_e32 v167 /*v423*/, v125, v82 /*v338*/
	s_set_vgpr_msb 64                       ;  msbs: dst=1 src0=0 src1=0 src2=0
	v_dual_ashrrev_i32 v195 /*v451*/, s17, v173 :: v_dual_bitop2_b32 v181 /*v437*/, 3, v107 bitop3:0x40
	s_set_vgpr_msb 1                        ;  msbs: dst=0 src0=1 src1=0 src2=0
	v_add3_u32 v217, v240 /*v496*/, v111, v137
	s_set_vgpr_msb 0                        ;  msbs: dst=0 src0=0 src1=0 src2=0
	v_mul_i32_i24_e32 v111, v85, v144
	s_set_vgpr_msb 4                        ;  msbs: dst=0 src0=0 src1=1 src2=0
	v_mul_i32_i24_e32 v137, v125, v103 /*v359*/
	s_set_vgpr_msb 1                        ;  msbs: dst=0 src0=1 src1=0 src2=0
	v_add3_u32 v216, v189 /*v445*/, v152, v175
	s_set_vgpr_msb 64                       ;  msbs: dst=1 src0=0 src1=0 src2=0
	v_dual_ashrrev_i32 v193 /*v449*/, s17, v171 :: v_dual_ashrrev_i32 v237 /*v493*/, s17, v169
	s_set_vgpr_msb 0                        ;  msbs: dst=0 src0=0 src1=0 src2=0
	v_add3_u32 v219, v193, v1, v111
	s_set_vgpr_msb 5                        ;  msbs: dst=0 src0=1 src1=1 src2=0
	v_mul_i32_i24_e32 v1, v238 /*v494*/, v95 /*v351*/
	s_set_vgpr_msb 4                        ;  msbs: dst=0 src0=0 src1=1 src2=0
	v_mul_i32_i24_e32 v111, v85, v160 /*v416*/
	s_set_vgpr_msb 0                        ;  msbs: dst=0 src0=0 src1=0 src2=0
	v_mul_i32_i24_e32 v152, v106, v101
	v_mul_i32_i24_e32 v169, v85, v124
	v_bfe_u32 v171, v107, 8, 2
	s_set_vgpr_msb 64                       ;  msbs: dst=1 src0=0 src1=0 src2=0
	v_bfe_u32 v179 /*v435*/, v107, 16, 2
	v_dual_lshrrev_b32 v190 /*v446*/, 24, v107 :: v_dual_bitop2_b32 v168 /*v424*/, 3, v84 bitop3:0x40
	s_set_vgpr_msb 0                        ;  msbs: dst=0 src0=0 src1=0 src2=0
	v_add3_u32 v193, v191, v137, v1
	s_set_vgpr_msb 5                        ;  msbs: dst=0 src0=1 src1=1 src2=0
	v_mul_i32_i24_e32 v1, v238 /*v494*/, v90 /*v346*/
	s_set_vgpr_msb 0                        ;  msbs: dst=0 src0=0 src1=0 src2=0
	v_add3_u32 v190, v192, v154, v111
	v_mul_i32_i24_e32 v107, v106, v10
	v_mul_i32_i24_e32 v111, v85, v12
	;; [unrolled: 1-line block ×4, first 2 shown]
	v_dual_ashrrev_i32 v109, s17, v179 :: v_dual_add_nc_u32 v126, v130, v126
	s_set_vgpr_msb 5                        ;  msbs: dst=0 src0=1 src1=1 src2=0
	v_mul_i32_i24_e32 v179, v238 /*v494*/, v78 /*v334*/
	s_set_vgpr_msb 4                        ;  msbs: dst=0 src0=0 src1=1 src2=0
	v_add3_u32 v191, v209, v167 /*v423*/, v1
	s_set_vgpr_msb 0                        ;  msbs: dst=0 src0=0 src1=0 src2=0
	v_add3_u32 v195, v195, v106, v85
	s_set_vgpr_msb 4                        ;  msbs: dst=0 src0=0 src1=1 src2=0
	v_mul_i32_i24_e32 v85, v125, v64 /*v320*/
	s_set_vgpr_msb 64                       ;  msbs: dst=1 src0=0 src1=0 src2=0
	v_bfe_i32 v167 /*v423*/, v4, 0, 8
	s_set_vgpr_msb 0                        ;  msbs: dst=0 src0=0 src1=0 src2=0
	v_add_nc_u32_e32 v4, v8, v117
	s_set_vgpr_msb 64                       ;  msbs: dst=1 src0=0 src1=0 src2=0
	v_bfe_i32 v150 /*v406*/, v20, 16, 8
	v_bfe_i32 v175 /*v431*/, v20, 8, 8
	s_set_vgpr_msb 0                        ;  msbs: dst=0 src0=0 src1=0 src2=0
	v_add3_u32 v192, v210, v107, v111
	v_add3_u32 v85, v127, v85, v179
	s_set_vgpr_msb 4                        ;  msbs: dst=0 src0=0 src1=1 src2=0
	v_add3_u32 v127, v4, v20 /*v276*/, v189
	v_bfe_i32 v111, v20, 0, 8
	v_and_b32_e32 v24, 3, v148 /*v404*/
	s_set_vgpr_msb 0x45                     ;  msbs: dst=1 src0=1 src1=1 src2=0
	v_bfe_i32 v153 /*v409*/, v207 /*v463*/, 16, 8
	v_mul_i32_i24_e32 v183 /*v439*/, v172 /*v428*/, v150 /*v406*/
	v_mul_i32_i24_e32 v187 /*v443*/, v182 /*v438*/, v175 /*v431*/
	s_set_vgpr_msb 0                        ;  msbs: dst=0 src0=0 src1=0 src2=0
	v_bfe_u32 v106, v115, 16, 2
	v_bfe_u32 v137, v115, 24, 2
	s_set_vgpr_msb 1                        ;  msbs: dst=0 src0=1 src1=0 src2=0
	v_bfe_i32 v115, v207 /*v463*/, 8, 8
	s_set_vgpr_msb 0                        ;  msbs: dst=0 src0=0 src1=0 src2=0
	v_mul_i32_i24_e32 v4, v127, v111
	s_set_vgpr_msb 1                        ;  msbs: dst=0 src0=1 src1=0 src2=0
	v_bfe_i32 v117, v207 /*v463*/, 0, 8
	s_set_vgpr_msb 4                        ;  msbs: dst=0 src0=0 src1=1 src2=0
	v_and_b32_e32 v142, 3, v137 /*v393*/
	v_and_b32_e32 v17, 3, v138 /*v394*/
	s_set_vgpr_msb 64                       ;  msbs: dst=1 src0=0 src1=0 src2=0
	v_mul_i32_i24_e32 v186 /*v442*/, v24, v108
	s_set_vgpr_msb 0x45                     ;  msbs: dst=1 src0=1 src1=1 src2=0
	v_mul_i32_i24_e32 v185 /*v441*/, v172 /*v428*/, v153 /*v409*/
	s_set_vgpr_msb 64                       ;  msbs: dst=1 src0=0 src1=0 src2=0
	v_dual_ashrrev_i32 v192 /*v448*/, s17, v166 :: v_dual_ashrrev_i32 v189 /*v445*/, s17, v167
	s_set_vgpr_msb 1                        ;  msbs: dst=0 src0=1 src1=0 src2=0
	v_bfe_u32 v209, v137 /*v393*/, 8, 2
	s_set_vgpr_msb 0                        ;  msbs: dst=0 src0=0 src1=0 src2=0
	v_add3_u32 v133, v133, v6, v208
	s_set_vgpr_msb 0x51                     ;  msbs: dst=1 src0=1 src1=0 src2=1
	v_add3_u32 v183 /*v439*/, v187 /*v443*/, v4, v183 /*v439*/
	s_set_vgpr_msb 0                        ;  msbs: dst=0 src0=0 src1=0 src2=0
	v_mul_i32_i24_e32 v4, v127, v117
	v_add_nc_u32_e32 v208, v134, v128
	v_mul_i32_i24_e32 v166, v128, v2
	s_set_vgpr_msb 1                        ;  msbs: dst=0 src0=1 src1=0 src2=0
	v_mul_i32_i24_e32 v2, v182 /*v438*/, v115
	s_set_vgpr_msb 0x44                     ;  msbs: dst=1 src0=0 src1=1 src2=0
	v_mul_i32_i24_e32 v210 /*v466*/, v142, v118 /*v374*/
	s_set_vgpr_msb 4                        ;  msbs: dst=0 src0=0 src1=1 src2=0
	v_mul_i32_i24_e32 v167, v209, v112 /*v368*/
	s_set_vgpr_msb 0x44                     ;  msbs: dst=1 src0=0 src1=1 src2=0
	v_bfe_i32 v28 /*v284*/, v18, 0, 8
	v_add3_u32 v255 /*v511*/, v147, v186 /*v442*/, v166
	s_set_vgpr_msb 0x50                     ;  msbs: dst=1 src0=0 src1=0 src2=1
	v_add3_u32 v185 /*v441*/, v2, v4, v185 /*v441*/
	s_set_vgpr_msb 1                        ;  msbs: dst=0 src0=1 src1=0 src2=0
	v_cvt_f32_f16_e64 v4, v201 /*v457*/
	s_set_vgpr_msb 64                       ;  msbs: dst=1 src0=0 src1=0 src2=0
	v_and_b32_e32 v201 /*v457*/, 0xffff, v131
	s_set_vgpr_msb 4                        ;  msbs: dst=0 src0=0 src1=1 src2=0
	v_and_b32_e32 v166, 0xffff, v149 /*v405*/
	s_set_vgpr_msb 64                       ;  msbs: dst=1 src0=0 src1=0 src2=0
	v_and_b32_e32 v149 /*v405*/, 15, v131
	s_set_vgpr_msb 5                        ;  msbs: dst=0 src0=1 src1=1 src2=0
	v_add_nc_u32_e32 v131, v197 /*v453*/, v31 /*v287*/
	s_set_vgpr_msb 64                       ;  msbs: dst=1 src0=0 src1=0 src2=0
	v_mul_i32_i24_e32 v211 /*v467*/, v17, v108
	s_set_vgpr_msb 0                        ;  msbs: dst=0 src0=0 src1=0 src2=0
	v_bfe_i32 v250, v19, 0, 8
	v_add_nc_u32_e32 v9, v10, v9
	s_set_vgpr_msb 4                        ;  msbs: dst=0 src0=0 src1=1 src2=0
	v_and_b32_e32 v177, 3, v194 /*v450*/
	s_set_vgpr_msb 0x44                     ;  msbs: dst=1 src0=0 src1=1 src2=0
	v_add3_u32 v254 /*v510*/, v141, v210 /*v466*/, v167
	s_set_vgpr_msb 0x54                     ;  msbs: dst=1 src0=0 src1=1 src2=1
	v_add3_u32 v253 /*v509*/, v139, v211 /*v467*/, v212 /*v468*/
	s_set_vgpr_msb 4                        ;  msbs: dst=0 src0=0 src1=1 src2=0
	v_and_b32_e32 v139, 3, v237 /*v493*/
	s_set_vgpr_msb 1                        ;  msbs: dst=0 src0=1 src1=0 src2=0
	v_bfe_u32 v141, v237 /*v493*/, 8, 2
	s_set_vgpr_msb 4                        ;  msbs: dst=0 src0=0 src1=1 src2=0
	v_and_b32_e32 v148, 3, v146 /*v402*/
	s_set_vgpr_msb 0x41                     ;  msbs: dst=1 src0=1 src1=0 src2=0
	v_bfe_u32 v203 /*v459*/, v146 /*v402*/, 8, 2
	s_set_vgpr_msb 20                       ;  msbs: dst=0 src0=0 src1=1 src2=1
	v_mul_i32_i24_e32 v5, v125, v85 /*v341*/
	v_add3_u32 v205, v205, v216 /*v472*/, v180 /*v436*/
	s_set_vgpr_msb 0x44                     ;  msbs: dst=1 src0=0 src1=1 src2=0
	v_mul_i32_i24_e32 v239 /*v495*/, v125, v70 /*v326*/
	s_set_vgpr_msb 64                       ;  msbs: dst=1 src0=0 src1=0 src2=0
	v_ashrrev_i32_e32 v216 /*v472*/, s17, v172
	s_set_vgpr_msb 0                        ;  msbs: dst=0 src0=0 src1=0 src2=0
	v_bfe_u32 v172, v84, 8, 2
	v_bfe_u32 v173, v84, 16, 2
	s_set_vgpr_msb 64                       ;  msbs: dst=1 src0=0 src1=0 src2=0
	v_lshrrev_b32_e32 v191 /*v447*/, 24, v84
	s_set_vgpr_msb 4                        ;  msbs: dst=0 src0=0 src1=1 src2=0
	v_mul_i32_i24_e32 v84, v125, v102 /*v358*/
	v_add3_u32 v125, v9, v28 /*v284*/, v250
	s_set_vgpr_msb 0                        ;  msbs: dst=0 src0=0 src1=0 src2=0
	v_mul_i32_i24_e32 v6, v177, v108
	v_mul_i32_i24_e32 v3, v128, v3
	s_set_vgpr_msb 4                        ;  msbs: dst=0 src0=0 src1=1 src2=0
	v_mul_i32_i24_e32 v9, v139, v118 /*v374*/
	v_mul_i32_i24_e32 v128, v141, v112 /*v368*/
	s_set_vgpr_msb 5                        ;  msbs: dst=0 src0=1 src1=1 src2=0
	v_mul_i32_i24_e32 v1, v238 /*v494*/, v55 /*v311*/
	s_set_vgpr_msb 0                        ;  msbs: dst=0 src0=0 src1=0 src2=0
	v_mul_i32_i24_e32 v134, v14, v144
	s_set_vgpr_msb 64                       ;  msbs: dst=1 src0=0 src1=0 src2=0
	v_add3_u32 v247 /*v503*/, v7, v6, v3
	s_set_vgpr_msb 1                        ;  msbs: dst=0 src0=1 src1=0 src2=0
	v_mul_i32_i24_e32 v3, v208 /*v464*/, v122
	s_set_vgpr_msb 0                        ;  msbs: dst=0 src0=0 src1=0 src2=0
	v_mul_i32_i24_e32 v6, v14, v130
	s_set_vgpr_msb 64                       ;  msbs: dst=1 src0=0 src1=0 src2=0
	v_add3_u32 v248 /*v504*/, v143, v9, v128
	s_set_vgpr_msb 4                        ;  msbs: dst=0 src0=0 src1=1 src2=0
	v_mul_i32_i24_e32 v7, v148, v114 /*v370*/
	s_set_vgpr_msb 5                        ;  msbs: dst=0 src0=1 src1=1 src2=0
	v_mul_i32_i24_e32 v9, v203 /*v459*/, v109 /*v365*/
	s_set_vgpr_msb 1                        ;  msbs: dst=0 src0=1 src1=0 src2=0
	v_mul_i32_i24_e32 v128, v208 /*v464*/, v8
	s_set_vgpr_msb 4                        ;  msbs: dst=0 src0=0 src1=1 src2=0
	v_add3_u32 v194, v194, v239 /*v495*/, v1
	s_set_vgpr_msb 5                        ;  msbs: dst=0 src0=1 src1=1 src2=0
	v_mul_i32_i24_e32 v1, v238 /*v494*/, v99 /*v355*/
	v_mul_i32_i24_e32 v107, v238 /*v494*/, v167 /*v423*/
	s_set_vgpr_msb 64                       ;  msbs: dst=1 src0=0 src1=0 src2=0
	v_add3_u32 v249 /*v505*/, v145, v3, v6
	s_set_vgpr_msb 1                        ;  msbs: dst=0 src0=1 src1=0 src2=0
	v_mul_i32_i24_e32 v3, v206 /*v462*/, v122
	v_mul_i32_i24_e32 v6, v204 /*v460*/, v130
	s_set_vgpr_msb 64                       ;  msbs: dst=1 src0=0 src1=0 src2=0
	v_add3_u32 v250 /*v506*/, v199, v7, v9
	s_set_vgpr_msb 4                        ;  msbs: dst=0 src0=0 src1=1 src2=0
	v_mul_i32_i24_e32 v9, v209, v109 /*v365*/
	s_set_vgpr_msb 0x41                     ;  msbs: dst=1 src0=1 src1=0 src2=0
	v_add3_u32 v238 /*v494*/, v232 /*v488*/, v128, v134
	s_set_vgpr_msb 5                        ;  msbs: dst=0 src0=1 src1=1 src2=0
	v_add_nc_u32_e32 v134, v128 /*v384*/, v199 /*v455*/
	s_set_vgpr_msb 4                        ;  msbs: dst=0 src0=0 src1=1 src2=0
	v_mul_i32_i24_e32 v7, v142, v114 /*v370*/
	s_set_vgpr_msb 0x41                     ;  msbs: dst=1 src0=1 src1=0 src2=0
	v_add3_u32 v251 /*v507*/, v217 /*v473*/, v3, v6
	s_set_vgpr_msb 1                        ;  msbs: dst=0 src0=1 src1=0 src2=0
	v_mul_i32_i24_e32 v3, v205 /*v461*/, v122
	v_mul_i32_i24_e32 v6, v209 /*v465*/, v130
	v_add3_u32 v218, v243 /*v499*/, v152, v169
	s_set_vgpr_msb 0x41                     ;  msbs: dst=1 src0=1 src1=0 src2=0
	v_add3_u32 v252 /*v508*/, v218 /*v474*/, v7, v9
	s_set_vgpr_msb 4                        ;  msbs: dst=0 src0=0 src1=1 src2=0
	v_mul_i32_i24_e32 v7, v139, v114 /*v370*/
	v_mul_i32_i24_e32 v9, v141, v109 /*v365*/
	s_set_vgpr_msb 0x41                     ;  msbs: dst=1 src0=1 src1=0 src2=0
	v_add3_u32 v243 /*v499*/, v221 /*v477*/, v3, v6
	s_set_vgpr_msb 1                        ;  msbs: dst=0 src0=1 src1=0 src2=0
	v_mul_i32_i24_e32 v3, v208 /*v464*/, v101
	s_set_vgpr_msb 0                        ;  msbs: dst=0 src0=0 src1=0 src2=0
	v_mul_i32_i24_e32 v6, v14, v124
	s_set_vgpr_msb 1                        ;  msbs: dst=0 src0=1 src1=0 src2=0
	v_mul_i32_i24_e32 v128, v209 /*v465*/, v144
	s_set_vgpr_msb 0x41                     ;  msbs: dst=1 src0=1 src1=0 src2=0
	v_add3_u32 v244 /*v500*/, v224 /*v480*/, v7, v9
	s_set_vgpr_msb 1                        ;  msbs: dst=0 src0=1 src1=0 src2=0
	v_mul_i32_i24_e32 v7, v206 /*v462*/, v101
	v_mul_i32_i24_e32 v9, v204 /*v460*/, v124
	s_set_vgpr_msb 0x41                     ;  msbs: dst=1 src0=1 src1=0 src2=0
	v_add3_u32 v245 /*v501*/, v228 /*v484*/, v3, v6
	s_set_vgpr_msb 1                        ;  msbs: dst=0 src0=1 src1=0 src2=0
	v_mul_i32_i24_e32 v6, v205 /*v461*/, v101
	s_set_vgpr_msb 4                        ;  msbs: dst=0 src0=0 src1=1 src2=0
	v_mul_i32_i24_e32 v130, v141, v95 /*v351*/
	s_set_vgpr_msb 0                        ;  msbs: dst=0 src0=0 src1=0 src2=0
	v_dual_add_nc_u32 v120, v122, v120 :: v_dual_bitop2_b32 v179, 15, v197 bitop3:0x40
	s_set_vgpr_msb 0x41                     ;  msbs: dst=1 src0=1 src1=0 src2=0
	v_add3_u32 v246 /*v502*/, v230 /*v486*/, v7, v9
	s_set_vgpr_msb 1                        ;  msbs: dst=0 src0=1 src1=0 src2=0
	v_mul_i32_i24_e32 v7, v209 /*v465*/, v124
	v_mul_i32_i24_e32 v9, v204 /*v460*/, v144
	;; [unrolled: 1-line block ×3, first 2 shown]
	s_set_vgpr_msb 0                        ;  msbs: dst=0 src0=0 src1=0 src2=0
	v_add_nc_u32_e32 v96, v101, v96
	s_set_vgpr_msb 4                        ;  msbs: dst=0 src0=0 src1=1 src2=0
	v_mul_i32_i24_e32 v101, v142, v70 /*v326*/
	s_set_vgpr_msb 0x41                     ;  msbs: dst=1 src0=1 src1=0 src2=0
	v_add3_u32 v241 /*v497*/, v225 /*v481*/, v6, v7
	s_set_vgpr_msb 1                        ;  msbs: dst=0 src0=1 src1=0 src2=0
	v_mul_i32_i24_e32 v7, v206 /*v462*/, v8
	v_mul_i32_i24_e32 v8, v205 /*v461*/, v8
	v_mul_lo_u32 v114, 0x1010101, v114
	s_set_vgpr_msb 0                        ;  msbs: dst=0 src0=0 src1=0 src2=0
	v_add_nc_u32_e32 v100, v124, v100
	s_set_vgpr_msb 5                        ;  msbs: dst=0 src0=1 src1=1 src2=0
	v_mul_i32_i24_e32 v124, v206 /*v462*/, v158 /*v414*/
	s_set_vgpr_msb 0x41                     ;  msbs: dst=1 src0=1 src1=0 src2=0
	v_add3_u32 v239 /*v495*/, v234 /*v490*/, v7, v9
	v_add3_u32 v240 /*v496*/, v235 /*v491*/, v8, v128
	s_set_vgpr_msb 4                        ;  msbs: dst=0 src0=0 src1=1 src2=0
	v_mul_i32_i24_e32 v128, v139, v103 /*v359*/
	s_set_vgpr_msb 5                        ;  msbs: dst=0 src0=1 src1=1 src2=0
	v_mul_i32_i24_e32 v9, v203 /*v459*/, v95 /*v351*/
	s_set_vgpr_msb 4                        ;  msbs: dst=0 src0=0 src1=1 src2=0
	v_mul_i32_i24_e32 v8, v142, v103 /*v359*/
	s_set_vgpr_msb 0x45                     ;  msbs: dst=1 src0=1 src1=1 src2=0
	v_mul_i32_i24_e32 v196 /*v452*/, v203 /*v459*/, v112 /*v368*/
	v_bfe_i32 v151 /*v407*/, v188 /*v444*/, 16, 8
	s_set_vgpr_msb 0x41                     ;  msbs: dst=1 src0=1 src1=0 src2=0
	v_add3_u32 v233 /*v489*/, v233 /*v489*/, v128, v130
	s_set_vgpr_msb 1                        ;  msbs: dst=0 src0=1 src1=0 src2=0
	v_mul_i32_i24_e32 v128, v208 /*v464*/, v10
	s_set_vgpr_msb 0                        ;  msbs: dst=0 src0=0 src1=0 src2=0
	v_mul_i32_i24_e32 v130, v14, v12
	s_set_vgpr_msb 1                        ;  msbs: dst=0 src0=1 src1=0 src2=0
	v_mul_i32_i24_e32 v10, v205 /*v461*/, v10
	s_set_vgpr_msb 0x41                     ;  msbs: dst=1 src0=1 src1=0 src2=0
	v_bfe_i32 v152 /*v408*/, v188 /*v444*/, 8, 8
	s_set_vgpr_msb 64                       ;  msbs: dst=1 src0=0 src1=0 src2=0
	v_bfe_u32 v180 /*v436*/, v113, 8, 2
	s_set_vgpr_msb 0                        ;  msbs: dst=0 src0=0 src1=0 src2=0
	v_bfe_u32 v176, v113, 16, 2
	s_set_vgpr_msb 0x41                     ;  msbs: dst=1 src0=1 src1=0 src2=0
	v_add3_u32 v232 /*v488*/, v231 /*v487*/, v128, v130
	s_set_vgpr_msb 4                        ;  msbs: dst=0 src0=0 src1=1 src2=0
	v_mul_i32_i24_e32 v128, v148, v70 /*v326*/
	s_set_vgpr_msb 5                        ;  msbs: dst=0 src0=1 src1=1 src2=0
	v_mul_i32_i24_e32 v130, v203 /*v459*/, v55 /*v311*/
	s_set_vgpr_msb 0                        ;  msbs: dst=0 src0=0 src1=0 src2=0
	v_bfe_u32 v175, v113, 24, 2
	s_set_vgpr_msb 1                        ;  msbs: dst=0 src0=1 src1=0 src2=0
	v_bfe_i32 v113, v188 /*v444*/, 0, 8
	s_set_vgpr_msb 64                       ;  msbs: dst=1 src0=0 src1=0 src2=0
	v_and_b32_e32 v186 /*v442*/, 0xffff, v196
	s_set_vgpr_msb 0x45                     ;  msbs: dst=1 src0=1 src1=1 src2=0
	v_mul_i32_i24_e32 v184 /*v440*/, v170 /*v426*/, v151 /*v407*/
	s_set_vgpr_msb 0x41                     ;  msbs: dst=1 src0=1 src1=0 src2=0
	v_add3_u32 v234 /*v490*/, v223 /*v479*/, v128, v130
	s_set_vgpr_msb 1                        ;  msbs: dst=0 src0=1 src1=0 src2=0
	v_mul_i32_i24_e32 v128, v204 /*v460*/, v12
	v_mul_i32_i24_e32 v12, v209 /*v465*/, v12
	s_set_vgpr_msb 5                        ;  msbs: dst=0 src0=1 src1=1 src2=0
	v_mul_i32_i24_e32 v19, v171 /*v427*/, v152 /*v408*/
	s_set_vgpr_msb 0                        ;  msbs: dst=0 src0=0 src1=0 src2=0
	v_add3_u32 v135, v135, v5, v107
	v_mul_i32_i24_e32 v2, v125, v113
	s_set_vgpr_msb 0x41                     ;  msbs: dst=1 src0=1 src1=0 src2=0
	v_add3_u32 v223 /*v479*/, v213 /*v469*/, v122, v128
	s_set_vgpr_msb 4                        ;  msbs: dst=0 src0=0 src1=1 src2=0
	v_mul_i32_i24_e32 v122, v209, v55 /*v311*/
	s_set_vgpr_msb 5                        ;  msbs: dst=0 src0=1 src1=1 src2=0
	v_add_nc_u32_e32 v128, v130 /*v386*/, v198 /*v454*/
	s_set_vgpr_msb 0x41                     ;  msbs: dst=1 src0=1 src1=0 src2=0
	v_add3_u32 v225 /*v481*/, v220 /*v476*/, v10, v12
	s_set_vgpr_msb 1                        ;  msbs: dst=0 src0=1 src1=0 src2=0
	v_mul_i32_i24_e32 v10, v208 /*v464*/, v136
	s_set_vgpr_msb 0                        ;  msbs: dst=0 src0=0 src1=0 src2=0
	v_mul_i32_i24_e32 v12, v14, v146
	s_set_vgpr_msb 0x41                     ;  msbs: dst=1 src0=1 src1=0 src2=0
	v_add3_u32 v224 /*v480*/, v214 /*v470*/, v101, v122
	s_set_vgpr_msb 4                        ;  msbs: dst=0 src0=0 src1=1 src2=0
	v_mul_i32_i24_e32 v101, v139, v70 /*v326*/
	v_mul_i32_i24_e32 v122, v141, v55 /*v311*/
	s_set_vgpr_msb 1                        ;  msbs: dst=0 src0=1 src1=0 src2=0
	v_dual_add_nc_u32 v144, v132 /*v388*/, v116 :: v_dual_add_nc_u32 v138, v122 /*v378*/, v138
	s_set_vgpr_msb 0x41                     ;  msbs: dst=1 src0=1 src1=0 src2=0
	v_add3_u32 v227 /*v483*/, v227 /*v483*/, v10, v12
	s_set_vgpr_msb 5                        ;  msbs: dst=0 src0=1 src1=1 src2=0
	v_mul_i32_i24_e32 v10, v203 /*v459*/, v99 /*v355*/
	s_set_vgpr_msb 0x41                     ;  msbs: dst=1 src0=1 src1=0 src2=0
	v_add3_u32 v226 /*v482*/, v226 /*v482*/, v101, v122
	s_set_vgpr_msb 1                        ;  msbs: dst=0 src0=1 src1=0 src2=0
	v_mul_i32_i24_e32 v101, v204 /*v460*/, v146
	v_mul_i32_i24_e32 v122, v206 /*v462*/, v136
	s_set_vgpr_msb 4                        ;  msbs: dst=0 src0=0 src1=1 src2=0
	v_mul_i32_i24_e32 v116, v137, v60 /*v316*/
	s_set_vgpr_msb 0                        ;  msbs: dst=0 src0=0 src1=0 src2=0
	v_add3_u32 v84, v0, v84, v1
	s_set_vgpr_msb 0x50                     ;  msbs: dst=1 src0=0 src1=0 src2=1
	v_add3_u32 v184 /*v440*/, v19, v2, v184 /*v440*/
	v_and_b32_e32 v187 /*v443*/, 0xffff, v197
	s_set_vgpr_msb 0x41                     ;  msbs: dst=1 src0=1 src1=0 src2=0
	v_add3_u32 v228 /*v484*/, v229 /*v485*/, v122, v101
	s_set_vgpr_msb 4                        ;  msbs: dst=0 src0=0 src1=1 src2=0
	v_mul_i32_i24_e32 v101, v142, v102 /*v358*/
	v_mul_i32_i24_e32 v122, v209, v99 /*v355*/
	v_cvt_f32_f16_e64 v19, v157
	v_and_b32_e32 v167, 0xffff, v147 /*v403*/
	v_and_b32_e32 v170, 0xffff, v145 /*v401*/
	s_set_vgpr_msb 64                       ;  msbs: dst=1 src0=0 src1=0 src2=0
	v_and_b32_e32 v147 /*v403*/, 15, v198
	v_add3_u32 v230 /*v486*/, v202, v101, v122
	s_set_vgpr_msb 4                        ;  msbs: dst=0 src0=0 src1=1 src2=0
	v_mul_i32_i24_e32 v101, v209, v78 /*v334*/
	v_mul_i32_i24_e32 v122, v142, v64 /*v320*/
	v_mul_i32_i24_e32 v145, v121, v136 /*v392*/
	v_mul_i32_i24_e32 v147, v121, v132 /*v388*/
	v_mul_i32_i24_e32 v197, v119, v131 /*v387*/
	s_set_vgpr_msb 1                        ;  msbs: dst=0 src0=1 src1=0 src2=0
	v_dual_add_nc_u32 v140, v123 /*v379*/, v140 :: v_dual_add_nc_u32 v118, v136 /*v392*/, v118
	s_set_vgpr_msb 64                       ;  msbs: dst=1 src0=0 src1=0 src2=0
	v_add3_u32 v221 /*v477*/, v205, v122, v101
	s_set_vgpr_msb 1                        ;  msbs: dst=0 src0=1 src1=0 src2=0
	v_mul_i32_i24_e32 v101, v205 /*v461*/, v136
	v_mul_i32_i24_e32 v122, v209 /*v465*/, v146
	s_set_vgpr_msb 0                        ;  msbs: dst=0 src0=0 src1=0 src2=0
	v_bfe_i32 v243, v35, 0, 8
	s_set_vgpr_msb 1                        ;  msbs: dst=0 src0=1 src1=0 src2=0
	v_cvt_f32_f16_e64 v5, v200 /*v456*/
	v_and_b32_e32 v169, 0xffff, v149
	v_add_nc_u32_e32 v104, v127 /*v383*/, v104
	s_set_vgpr_msb 64                       ;  msbs: dst=1 src0=0 src1=0 src2=0
	v_add3_u32 v220 /*v476*/, v207, v101, v122
	s_set_vgpr_msb 4                        ;  msbs: dst=0 src0=0 src1=1 src2=0
	v_mul_i32_i24_e32 v101, v14, v160 /*v416*/
	s_set_vgpr_msb 5                        ;  msbs: dst=0 src0=1 src1=1 src2=0
	v_mul_i32_i24_e32 v122, v208 /*v464*/, v158 /*v414*/
	s_set_vgpr_msb 4                        ;  msbs: dst=0 src0=0 src1=1 src2=0
	v_mul_i32_i24_e32 v14, v14, v169 /*v425*/
	v_mul_i32_i24_e32 v149, v137, v94 /*v350*/
	;; [unrolled: 1-line block ×3, first 2 shown]
	s_set_vgpr_msb 64                       ;  msbs: dst=1 src0=0 src1=0 src2=0
	v_add3_u32 v198 /*v454*/, v218, v197, v147
	v_add3_u32 v217 /*v473*/, v103, v122, v101
	s_set_vgpr_msb 5                        ;  msbs: dst=0 src0=1 src1=1 src2=0
	v_mul_i32_i24_e32 v101, v209 /*v465*/, v169 /*v425*/
	v_mul_i32_i24_e32 v103, v205 /*v461*/, v165 /*v421*/
	;; [unrolled: 1-line block ×3, first 2 shown]
	s_set_vgpr_msb 4                        ;  msbs: dst=0 src0=0 src1=1 src2=0
	v_mul_i32_i24_e32 v147, v137, v68 /*v324*/
	v_add3_u32 v199, v134, v1 /*v257*/, v53
	v_add3_u32 v207, v128, v2 /*v258*/, v52
	s_set_vgpr_msb 64                       ;  msbs: dst=1 src0=0 src1=0 src2=0
	v_add3_u32 v212 /*v468*/, v232, v103, v101
	s_set_vgpr_msb 0                        ;  msbs: dst=0 src0=0 src1=0 src2=0
	v_add_nc_u32_e32 v101, v146, v16
	s_set_vgpr_msb 4                        ;  msbs: dst=0 src0=0 src1=1 src2=0
	v_add_nc_u32_e32 v146, v110, v133 /*v389*/
	v_mul_i32_i24_e32 v12, v148, v102 /*v358*/
	v_mul_i32_i24_e32 v7, v148, v103 /*v359*/
	s_set_vgpr_msb 5                        ;  msbs: dst=0 src0=1 src1=1 src2=0
	v_mul_i32_i24_e32 v103, v204 /*v460*/, v160 /*v416*/
	s_set_vgpr_msb 64                       ;  msbs: dst=1 src0=0 src1=0 src2=0
	v_add3_u32 v214 /*v470*/, v105, v122, v14
	s_set_vgpr_msb 5                        ;  msbs: dst=0 src0=1 src1=1 src2=0
	v_mul_i32_i24_e32 v122, v205 /*v461*/, v158 /*v414*/
	s_set_vgpr_msb 64                       ;  msbs: dst=1 src0=0 src1=0 src2=0
	v_add3_u32 v229 /*v485*/, v201, v12, v10
	s_set_vgpr_msb 4                        ;  msbs: dst=0 src0=0 src1=1 src2=0
	v_mul_i32_i24_e32 v10, v139, v102 /*v358*/
	v_mul_i32_i24_e32 v12, v141, v99 /*v355*/
	s_set_vgpr_msb 64                       ;  msbs: dst=1 src0=0 src1=0 src2=0
	v_add3_u32 v236 /*v492*/, v200, v7, v9
	s_set_vgpr_msb 4                        ;  msbs: dst=0 src0=0 src1=1 src2=0
	v_mul_i32_i24_e32 v9, v209, v95 /*v351*/
	s_set_vgpr_msb 64                       ;  msbs: dst=1 src0=0 src1=0 src2=0
	v_add3_u32 v211 /*v467*/, v229, v124, v103
	s_set_vgpr_msb 5                        ;  msbs: dst=0 src0=1 src1=1 src2=0
	v_mul_i32_i24_e32 v124, v209 /*v465*/, v160 /*v416*/
	s_set_vgpr_msb 64                       ;  msbs: dst=1 src0=0 src1=0 src2=0
	v_add3_u32 v231 /*v487*/, v203, v10, v12
	s_set_vgpr_msb 5                        ;  msbs: dst=0 src0=1 src1=1 src2=0
	v_mul_i32_i24_e32 v10, v203 /*v459*/, v78 /*v334*/
	s_set_vgpr_msb 4                        ;  msbs: dst=0 src0=0 src1=1 src2=0
	v_mul_i32_i24_e32 v12, v148, v64 /*v320*/
	s_set_vgpr_msb 0x41                     ;  msbs: dst=1 src0=1 src1=0 src2=0
	v_add3_u32 v235 /*v491*/, v222 /*v478*/, v8, v9
	s_set_vgpr_msb 4                        ;  msbs: dst=0 src0=0 src1=1 src2=0
	v_mul_i32_i24_e32 v18, v148, v118 /*v374*/
	v_mul_i32_i24_e32 v16, v142, v82 /*v338*/
	;; [unrolled: 1-line block ×3, first 2 shown]
	s_set_vgpr_msb 64                       ;  msbs: dst=1 src0=0 src1=0 src2=0
	v_add3_u32 v222 /*v478*/, v206, v12, v10
	s_set_vgpr_msb 4                        ;  msbs: dst=0 src0=0 src1=1 src2=0
	v_mul_i32_i24_e32 v10, v141, v78 /*v334*/
	v_mul_i32_i24_e32 v12, v139, v64 /*v320*/
	;; [unrolled: 1-line block ×3, first 2 shown]
	s_set_vgpr_msb 64                       ;  msbs: dst=1 src0=0 src1=0 src2=0
	v_add3_u32 v208 /*v464*/, v231, v122, v124
	s_set_vgpr_msb 5                        ;  msbs: dst=0 src0=1 src1=1 src2=0
	v_mul_i32_i24_e32 v122, v203 /*v459*/, v167 /*v423*/
	s_set_vgpr_msb 4                        ;  msbs: dst=0 src0=0 src1=1 src2=0
	v_add_nc_u32_e32 v124, v112, v134 /*v390*/
	s_set_vgpr_msb 64                       ;  msbs: dst=1 src0=0 src1=0 src2=0
	v_add3_u32 v218 /*v474*/, v233, v12, v10
	s_set_vgpr_msb 4                        ;  msbs: dst=0 src0=0 src1=1 src2=0
	v_mul_i32_i24_e32 v10, v148, v82 /*v338*/
	s_set_vgpr_msb 5                        ;  msbs: dst=0 src0=1 src1=1 src2=0
	v_mul_i32_i24_e32 v12, v203 /*v459*/, v90 /*v346*/
	s_set_vgpr_msb 4                        ;  msbs: dst=0 src0=0 src1=1 src2=0
	v_mul_i32_i24_e32 v110, v142, v85 /*v341*/
	v_mul_i32_i24_e32 v112, v209, v167 /*v423*/
	s_set_vgpr_msb 17                       ;  msbs: dst=0 src0=1 src1=0 src2=1
	v_add3_u32 v107, v215 /*v471*/, v18, v196 /*v452*/
	s_set_vgpr_msb 0                        ;  msbs: dst=0 src0=0 src1=0 src2=0
	v_cvt_f32_f16_e64 v18, v161
	s_set_vgpr_msb 64                       ;  msbs: dst=1 src0=0 src1=0 src2=0
	v_add3_u32 v215 /*v471*/, v230, v10, v12
	s_set_vgpr_msb 5                        ;  msbs: dst=0 src0=1 src1=1 src2=0
	v_mul_i32_i24_e32 v12, v206 /*v462*/, v165 /*v421*/
	s_set_vgpr_msb 64                       ;  msbs: dst=1 src0=0 src1=0 src2=0
	v_add3_u32 v209 /*v465*/, v102, v16, v103
	s_set_vgpr_msb 4                        ;  msbs: dst=0 src0=0 src1=1 src2=0
	v_mul_i32_i24_e32 v102, v139, v82 /*v338*/
	v_mul_i32_i24_e32 v103, v141, v90 /*v346*/
	s_set_vgpr_msb 64                       ;  msbs: dst=1 src0=0 src1=0 src2=0
	v_add3_u32 v205 /*v461*/, v211, v130, v122
	v_add3_u32 v206 /*v462*/, v212, v110, v112
	s_set_vgpr_msb 4                        ;  msbs: dst=0 src0=0 src1=1 src2=0
	v_mul_i32_i24_e32 v112, v106, v106 /*v362*/
	s_set_vgpr_msb 1                        ;  msbs: dst=0 src0=1 src1=0 src2=0
	v_mul_i32_i24_e32 v110, v133 /*v389*/, v123
	v_mul_i32_i24_e32 v123, v134 /*v390*/, v129
	s_set_vgpr_msb 4                        ;  msbs: dst=0 src0=0 src1=1 src2=0
	v_mul_i32_i24_e32 v129, v139, v85 /*v341*/
	v_mul_i32_i24_e32 v130, v141, v167 /*v423*/
	v_mov_b64_e32 v[160:161], v[78:79]
	v_mov_b64_e32 v[78:79], v[98:99]
	;; [unrolled: 1-line block ×4, first 2 shown]
	v_lshrrev_b32_e32 v69, 4, v186 /*v442*/
	s_set_vgpr_msb 64                       ;  msbs: dst=1 src0=0 src1=0 src2=0
	v_and_b32_e32 v196 /*v452*/, 0xffff, v198
	s_set_vgpr_msb 5                        ;  msbs: dst=0 src0=1 src1=1 src2=0
	v_mul_i32_i24_e32 v10, v204 /*v460*/, v169 /*v425*/
	s_set_vgpr_msb 4                        ;  msbs: dst=0 src0=0 src1=1 src2=0
	v_mul_i32_i24_e32 v105, v137, v108 /*v364*/
	s_set_vgpr_msb 64                       ;  msbs: dst=1 src0=0 src1=0 src2=0
	v_add3_u32 v210 /*v466*/, v204, v102, v103
	s_set_vgpr_msb 4                        ;  msbs: dst=0 src0=0 src1=1 src2=0
	v_mul_i32_i24_e32 v102, v106, v97 /*v353*/
	v_mul_i32_i24_e32 v103, v121, v130 /*v386*/
	;; [unrolled: 1-line block ×3, first 2 shown]
	s_set_vgpr_msb 5                        ;  msbs: dst=0 src0=1 src1=1 src2=0
	v_add_nc_u32_e32 v142, v131 /*v387*/, v202 /*v458*/
	s_set_vgpr_msb 4                        ;  msbs: dst=0 src0=0 src1=1 src2=0
	v_mul_i32_i24_e32 v198, v119, v135 /*v391*/
	s_set_vgpr_msb 64                       ;  msbs: dst=1 src0=0 src1=0 src2=0
	v_add3_u32 v204 /*v460*/, v213, v129, v130
	v_add3_u32 v203 /*v459*/, v214, v110, v123
	s_set_vgpr_msb 4                        ;  msbs: dst=0 src0=0 src1=1 src2=0
	v_mul_i32_i24_e32 v110, v137, v86 /*v342*/
	s_set_vgpr_msb 64                       ;  msbs: dst=1 src0=0 src1=0 src2=0
	v_add3_u32 v202 /*v458*/, v215, v112, v116
	s_set_vgpr_msb 4                        ;  msbs: dst=0 src0=0 src1=1 src2=0
	v_mul_i32_i24_e32 v112, v106, v79 /*v335*/
	s_set_vgpr_msb 16                       ;  msbs: dst=0 src0=0 src1=0 src2=1
	v_add3_u32 v129, v208, v108, v6 /*v262*/
	s_set_vgpr_msb 20                       ;  msbs: dst=0 src0=0 src1=1 src2=1
	v_add3_u32 v201, v120, v22 /*v278*/, v3 /*v259*/
	s_set_vgpr_msb 0                        ;  msbs: dst=0 src0=0 src1=0 src2=0
	v_mul_lo_u32 v69, 0x1010101, v69
	s_set_vgpr_msb 64                       ;  msbs: dst=1 src0=0 src1=0 src2=0
	v_and_b32_e32 v145 /*v401*/, 15, v196
	s_set_vgpr_msb 0                        ;  msbs: dst=0 src0=0 src1=0 src2=0
	v_add_nc_u32_e32 v196, v136, v132
	s_set_vgpr_msb 4                        ;  msbs: dst=0 src0=0 src1=1 src2=0
	v_mul_i32_i24_e32 v132, v137, v65 /*v321*/
	v_mul_i32_i24_e32 v136, v106, v52 /*v308*/
	;; [unrolled: 1-line block ×5, first 2 shown]
	s_set_vgpr_msb 64                       ;  msbs: dst=1 src0=0 src1=0 src2=0
	v_add3_u32 v200 /*v456*/, v216, v122, v103
	s_set_vgpr_msb 4                        ;  msbs: dst=0 src0=0 src1=1 src2=0
	v_mul_i32_i24_e32 v122, v119, v119 /*v375*/
	v_mul_i32_i24_e32 v123, v137, v66 /*v322*/
	s_set_vgpr_msb 64                       ;  msbs: dst=1 src0=0 src1=0 src2=0
	v_add3_u32 v199 /*v455*/, v217, v102, v105
	s_set_vgpr_msb 4                        ;  msbs: dst=0 src0=0 src1=1 src2=0
	v_mul_i32_i24_e32 v130, v106, v57 /*v313*/
	v_mul_i32_i24_e32 v141, v121, v123 /*v379*/
	;; [unrolled: 5-line block ×3, first 2 shown]
	v_mul_i32_i24_e32 v121, v121, v127 /*v383*/
	v_mul_i32_i24_e32 v119, v119, v126 /*v382*/
	;; [unrolled: 1-line block ×4, first 2 shown]
	s_set_vgpr_msb 0                        ;  msbs: dst=0 src0=0 src1=0 src2=0
	v_add3_u32 v137, v140, v48, v36
	s_set_vgpr_msb 4                        ;  msbs: dst=0 src0=0 src1=1 src2=0
	v_add3_u32 v203, v131, v5 /*v261*/, v57
	s_set_vgpr_msb 20                       ;  msbs: dst=0 src0=0 src1=1 src2=1
	v_add3_u32 v204, v146, v35 /*v291*/, v7 /*v263*/
	s_set_vgpr_msb 4                        ;  msbs: dst=0 src0=0 src1=1 src2=0
	v_add3_u32 v200, v126, v23 /*v279*/, v238
	v_add3_u32 v206, v124, v4 /*v260*/, v56
	s_set_vgpr_msb 0                        ;  msbs: dst=0 src0=0 src1=0 src2=0
	v_lshrrev_b32_e32 v106, 24, v20
	s_set_vgpr_msb 4                        ;  msbs: dst=0 src0=0 src1=1 src2=0
	v_lshrrev_b32_e32 v198, 24, v188 /*v444*/
	s_set_vgpr_msb 0                        ;  msbs: dst=0 src0=0 src1=0 src2=0
	v_mul_i32_i24_e32 v124, v129, v113
	v_add3_u32 v140, v84, v136, v132
	v_add3_u32 v132, v135, v112, v110
	v_mul_i32_i24_e32 v112, v201, v111
	v_bfe_i32 v237, v35, 8, 8
	v_bfe_i32 v35, v35, 16, 8
	s_set_vgpr_msb 4                        ;  msbs: dst=0 src0=0 src1=1 src2=0
	v_add3_u32 v205, v96, v17 /*v273*/, v243
	s_set_vgpr_msb 0                        ;  msbs: dst=0 src0=0 src1=0 src2=0
	v_add3_u32 v208, v196, v22, v252
	v_add3_u32 v196, v104, v181, v15
	;; [unrolled: 1-line block ×3, first 2 shown]
	v_lshrrev_b32_e32 v131, 24, v114
	v_lshrrev_b16 v20, 8, v114
	v_add3_u32 v146, v190, v139, v148
	v_bfe_i32 v149, v114, 0, 8
	v_bfe_i32 v190, v114, 16, 8
	v_add3_u32 v96, v192, v119, v121
	s_set_vgpr_msb 4                        ;  msbs: dst=0 src0=0 src1=1 src2=0
	v_mul_i32_i24_e32 v114, v199, v150 /*v406*/
	s_set_vgpr_msb 0                        ;  msbs: dst=0 src0=0 src1=0 src2=0
	v_mul_i32_i24_e32 v119, v203, v198
	s_set_vgpr_msb 4                        ;  msbs: dst=0 src0=0 src1=1 src2=0
	v_mul_i32_i24_e32 v121, v206, v151 /*v407*/
	s_set_vgpr_msb 0                        ;  msbs: dst=0 src0=0 src1=0 src2=0
	v_mul_i32_i24_e32 v84, v201, v113
	v_add3_u32 v134, v85, v130, v123
	v_add3_u32 v130, v133, v122, v116
	v_mul_i32_i24_e32 v110, v207, v106
	s_set_vgpr_msb 4                        ;  msbs: dst=0 src0=0 src1=1 src2=0
	v_mad_i32_i24 v122, v204, v152 /*v408*/, v124
	v_mad_i32_i24 v112, v200, v175 /*v431*/, v112
	s_set_vgpr_msb 0                        ;  msbs: dst=0 src0=0 src1=0 src2=0
	v_add3_u32 v101, v101, v21, v249
	v_add3_u32 v210, v138, v47, v37
	;; [unrolled: 1-line block ×3, first 2 shown]
	s_set_vgpr_msb 4                        ;  msbs: dst=0 src0=0 src1=1 src2=0
	v_lshrrev_b32_e32 v118, 24, v207 /*v463*/
	s_set_vgpr_msb 0                        ;  msbs: dst=0 src0=0 src1=0 src2=0
	v_add3_u32 v209, v142, v245, v35
	v_add3_u32 v142, v194, v108, v147
	s_set_vgpr_msb 4                        ;  msbs: dst=0 src0=0 src1=1 src2=0
	v_mul_i32_i24_e32 v108, v199, v151 /*v407*/
	s_set_vgpr_msb 0                        ;  msbs: dst=0 src0=0 src1=0 src2=0
	v_mul_i32_i24_e32 v120, v207, v198
	s_set_vgpr_msb 4                        ;  msbs: dst=0 src0=0 src1=1 src2=0
	v_mad_i32_i24 v84, v200, v152 /*v408*/, v84
	s_set_vgpr_msb 0                        ;  msbs: dst=0 src0=0 src1=0 src2=0
	v_add3_u32 v124, v122, v121, v119
	v_add3_u32 v122, v112, v114, v110
	v_mul_i32_i24_e32 v112, v208, v113
	v_add3_u32 v105, v144, v244, v38
	s_set_vgpr_msb 4                        ;  msbs: dst=0 src0=0 src1=1 src2=0
	v_add3_u32 v202, v100, v18 /*v274*/, v237
	s_set_vgpr_msb 0                        ;  msbs: dst=0 src0=0 src1=0 src2=0
	v_add3_u32 v148, v191, v103, v102
	v_mul_i32_i24_e32 v102, v137, v198
	v_add3_u32 v120, v84, v108, v120
	v_mul_i32_i24_e32 v84, v205, v111
	s_set_vgpr_msb 4                        ;  msbs: dst=0 src0=0 src1=1 src2=0
	v_mul_i32_i24_e32 v121, v210, v151 /*v407*/
	v_mad_i32_i24 v112, v101, v152 /*v408*/, v112
	s_set_vgpr_msb 0                        ;  msbs: dst=0 src0=0 src1=0 src2=0
	v_mul_i32_i24_e32 v100, v105, v106
	v_mul_i32_i24_e32 v119, v201, v117
	s_set_vgpr_msb 4                        ;  msbs: dst=0 src0=0 src1=1 src2=0
	v_mad_i32_i24 v84, v202, v175 /*v431*/, v84
	v_mul_i32_i24_e32 v108, v199, v153 /*v409*/
	s_set_vgpr_msb 0                        ;  msbs: dst=0 src0=0 src1=0 src2=0
	v_add3_u32 v138, v112, v121, v102
	s_set_vgpr_msb 4                        ;  msbs: dst=0 src0=0 src1=1 src2=0
	v_mul_i32_i24_e32 v102, v209, v150 /*v406*/
	s_set_vgpr_msb 0                        ;  msbs: dst=0 src0=0 src1=0 src2=0
	v_mul_i32_i24_e32 v110, v205, v117
	v_mad_i32_i24 v112, v200, v115, v119
	v_mul_i32_i24_e32 v123, v127, v113
	v_mul_i32_i24_e32 v139, v205, v113
	v_add3_u32 v100, v84, v102, v100
	v_mul_i32_i24_e32 v102, v207, v118
	v_mad_i32_i24 v110, v202, v115, v110
	s_set_vgpr_msb 5                        ;  msbs: dst=0 src0=1 src1=1 src2=0
	v_mul_i32_i24_e32 v85, v172 /*v428*/, v151 /*v407*/
	s_set_vgpr_msb 0                        ;  msbs: dst=0 src0=0 src1=0 src2=0
	v_mul_i32_i24_e32 v126, v129, v111
	v_mul_i32_i24_e32 v103, v203, v106
	v_add3_u32 v128, v112, v108, v102
	v_mul_i32_i24_e32 v102, v105, v118
	s_set_vgpr_msb 4                        ;  msbs: dst=0 src0=0 src1=1 src2=0
	v_mul_i32_i24_e32 v108, v209, v153 /*v409*/
	v_mul_i32_i24_e32 v116, v206, v150 /*v406*/
	v_mad_i32_i24 v114, v204, v175 /*v431*/, v126
	s_set_vgpr_msb 0                        ;  msbs: dst=0 src0=0 src1=0 src2=0
	v_mul_i32_i24_e32 v84, v125, v111
	s_set_vgpr_msb 5                        ;  msbs: dst=0 src0=1 src1=1 src2=0
	v_mul_i32_i24_e32 v121, v170 /*v426*/, v150 /*v406*/
	s_set_vgpr_msb 0                        ;  msbs: dst=0 src0=0 src1=0 src2=0
	v_add3_u32 v136, v110, v108, v102
	v_mul_i32_i24_e32 v108, v197, v198
	s_set_vgpr_msb 5                        ;  msbs: dst=0 src0=1 src1=1 src2=0
	v_mad_i32_i24 v110, v182 /*v438*/, v152 /*v408*/, v123
	s_set_vgpr_msb 4                        ;  msbs: dst=0 src0=0 src1=1 src2=0
	v_mul_i32_i24_e32 v102, v209, v151 /*v407*/
	s_set_vgpr_msb 0                        ;  msbs: dst=0 src0=0 src1=0 src2=0
	v_add3_u32 v126, v114, v116, v103
	v_mul_i32_i24_e32 v116, v125, v117
	s_set_vgpr_msb 5                        ;  msbs: dst=0 src0=1 src1=1 src2=0
	v_mad_i32_i24 v84, v171 /*v427*/, v175 /*v431*/, v84
	s_set_vgpr_msb 0                        ;  msbs: dst=0 src0=0 src1=0 src2=0
	v_add3_u32 v112, v110, v85, v108
	v_mul_i32_i24_e32 v85, v105, v198
	v_mul_i32_i24_e32 v108, v208, v111
	s_set_vgpr_msb 4                        ;  msbs: dst=0 src0=0 src1=1 src2=0
	v_mad_i32_i24 v110, v202, v152 /*v408*/, v139
	s_set_vgpr_msb 0                        ;  msbs: dst=0 src0=0 src1=0 src2=0
	v_add3_u32 v144, v195, v145, v141
	s_set_vgpr_msb 5                        ;  msbs: dst=0 src0=1 src1=1 src2=0
	v_mul_i32_i24_e32 v103, v170 /*v426*/, v153 /*v409*/
	s_set_vgpr_msb 64                       ;  msbs: dst=1 src0=0 src1=0 src2=0
	v_bfe_i32 v188 /*v444*/, v20, 0, 8
	s_set_vgpr_msb 4                        ;  msbs: dst=0 src0=0 src1=1 src2=0
	v_mad_i32_i24 v108, v101, v175 /*v431*/, v108
	s_set_vgpr_msb 0                        ;  msbs: dst=0 src0=0 src1=0 src2=0
	v_add3_u32 v114, v110, v102, v85
	s_set_vgpr_msb 4                        ;  msbs: dst=0 src0=0 src1=1 src2=0
	v_mul_i32_i24_e32 v85, v210, v150 /*v406*/
	s_set_vgpr_msb 0                        ;  msbs: dst=0 src0=0 src1=0 src2=0
	v_mul_i32_i24_e32 v102, v137, v106
	v_mul_i32_i24_e32 v20, v129, v149
	s_set_vgpr_msb 1                        ;  msbs: dst=0 src0=1 src1=0 src2=0
	v_bfe_u32 v133, v237 /*v493*/, 24, 2
	v_bfe_u32 v139, v237 /*v493*/, 16, 2
	s_set_vgpr_msb 0x41                     ;  msbs: dst=1 src0=1 src1=0 src2=0
	v_bfe_u32 v207 /*v463*/, v148 /*v404*/, 16, 2
	s_set_vgpr_msb 0                        ;  msbs: dst=0 src0=0 src1=0 src2=0
	v_add3_u32 v192, v108, v85, v102
	v_mul_i32_i24_e32 v102, v196, v106
	v_mul_i32_i24_e32 v85, v208, v117
	s_set_vgpr_msb 1                        ;  msbs: dst=0 src0=1 src1=0 src2=0
	v_mad_i32_i24 v108, v171 /*v427*/, v115, v116
	s_set_vgpr_msb 4                        ;  msbs: dst=0 src0=0 src1=1 src2=0
	v_mad_i32_i24 v20, v204, v188 /*v444*/, v20
	s_set_vgpr_msb 1                        ;  msbs: dst=0 src0=1 src1=0 src2=0
	v_bfe_u32 v116, v148 /*v404*/, 8, 2
	s_set_vgpr_msb 0                        ;  msbs: dst=0 src0=0 src1=0 src2=0
	v_add3_u32 v195, v84, v121, v102
	v_mul_i32_i24_e32 v102, v196, v118
	s_set_vgpr_msb 4                        ;  msbs: dst=0 src0=0 src1=1 src2=0
	v_mul_i32_i24_e32 v84, v210, v153 /*v409*/
	s_set_vgpr_msb 0                        ;  msbs: dst=0 src0=0 src1=0 src2=0
	v_mad_i32_i24 v85, v101, v115, v85
	s_set_vgpr_msb 0x41                     ;  msbs: dst=1 src0=1 src1=0 src2=0
	v_bfe_u32 v237 /*v493*/, v148 /*v404*/, 24, 2
	s_set_vgpr_msb 0                        ;  msbs: dst=0 src0=0 src1=0 src2=0
	v_and_b32_e32 v121, 3, v109
	v_add3_u32 v193, v108, v103, v102
	v_mul_i32_i24_e32 v102, v137, v118
	v_mul_i32_i24_e32 v103, v209, v190
	v_bfe_u32 v123, v109, 8, 2
	s_set_vgpr_msb 64                       ;  msbs: dst=1 src0=0 src1=0 src2=0
	v_bfe_u32 v148 /*v404*/, v109, 16, 2
	s_set_vgpr_msb 0                        ;  msbs: dst=0 src0=0 src1=0 src2=0
	v_lshrrev_b32_e32 v119, 24, v109
	v_add3_u32 v110, v85, v84, v102
	v_mul_i32_i24_e32 v84, v206, v190
	v_mul_i32_i24_e32 v85, v203, v131
	;; [unrolled: 1-line block ×3, first 2 shown]
	s_set_vgpr_msb 1                        ;  msbs: dst=0 src0=1 src1=0 src2=0
	v_bfe_u32 v145, v146 /*v402*/, 24, 2
	s_set_vgpr_msb 0                        ;  msbs: dst=0 src0=0 src1=0 src2=0
	v_bfe_u32 v109, v97, 16, 2
	v_mul_i32_i24_e32 v135, v137, v131
	v_add3_u32 v194, v20, v84, v85
	v_mul_i32_i24_e32 v84, v201, v149
	v_mul_i32_i24_e32 v85, v207, v131
	s_set_vgpr_msb 5                        ;  msbs: dst=0 src0=1 src1=1 src2=0
	v_add_nc_u32_e32 v141, v119 /*v375*/, v163 /*v419*/
	v_bfe_i32 v137, v159 /*v415*/, 0, 8
	v_and_b32_e32 v191, 3, v189 /*v445*/
	s_set_vgpr_msb 4                        ;  msbs: dst=0 src0=0 src1=1 src2=0
	v_mad_i32_i24 v84, v200, v188 /*v444*/, v84
	s_set_vgpr_msb 0x44                     ;  msbs: dst=1 src0=0 src1=1 src2=0
	v_lshrrev_b32_e32 v159 /*v415*/, 24, v219 /*v475*/
	s_set_vgpr_msb 0                        ;  msbs: dst=0 src0=0 src1=0 src2=0
	v_add3_u32 v233, v141, v51, v30
	s_set_vgpr_msb 1                        ;  msbs: dst=0 src0=1 src1=0 src2=0
	v_bfe_u32 v147, v137 /*v393*/, 16, 2
	s_set_vgpr_msb 64                       ;  msbs: dst=1 src0=0 src1=0 src2=0
	v_add3_u32 v213 /*v469*/, v228, v12, v10
	s_set_vgpr_msb 0                        ;  msbs: dst=0 src0=0 src1=0 src2=0
	v_add3_u32 v102, v84, v102, v85
	v_mul_i32_i24_e32 v84, v205, v149
	v_mul_i32_i24_e32 v85, v105, v131
	s_set_vgpr_msb 5                        ;  msbs: dst=0 src0=1 src1=1 src2=0
	v_mul_i32_i24_e32 v207, v125 /*v381*/, v126 /*v382*/
	v_mul_i32_i24_e32 v218, v124 /*v380*/, v127 /*v383*/
	s_set_vgpr_msb 4                        ;  msbs: dst=0 src0=0 src1=1 src2=0
	v_mul_i32_i24_e32 v215, v145, v75 /*v331*/
	v_mad_i32_i24 v84, v202, v188 /*v444*/, v84
	s_set_vgpr_msb 5                        ;  msbs: dst=0 src0=1 src1=1 src2=0
	v_mul_i32_i24_e32 v232, v120 /*v376*/, v122 /*v378*/
	v_dual_add_nc_u32 v205, v118 /*v374*/, v115 /*v371*/ :: v_dual_add_nc_u32 v211, v112 /*v368*/, v110 /*v366*/
	s_set_vgpr_msb 0x44                     ;  msbs: dst=1 src0=0 src1=1 src2=0
	v_and_b32_e32 v118 /*v374*/, 3, v190 /*v446*/
	s_set_vgpr_msb 0                        ;  msbs: dst=0 src0=0 src1=0 src2=0
	v_add3_u32 v143, v84, v103, v85
	v_mul_i32_i24_e32 v84, v127, v149
	v_mul_i32_i24_e32 v85, v197, v131
	s_set_vgpr_msb 1                        ;  msbs: dst=0 src0=1 src1=0 src2=0
	v_mul_i32_i24_e32 v103, v172 /*v428*/, v190
	v_bfe_u32 v127, v146 /*v402*/, 16, 2
	s_set_vgpr_msb 64                       ;  msbs: dst=1 src0=0 src1=0 src2=0
	v_and_b32_e32 v172 /*v428*/, 3, v97
	s_set_vgpr_msb 5                        ;  msbs: dst=0 src0=1 src1=1 src2=0
	v_mad_i32_i24 v84, v182 /*v438*/, v188 /*v444*/, v84
	s_set_vgpr_msb 64                       ;  msbs: dst=1 src0=0 src1=0 src2=0
	v_bfe_u32 v146 /*v402*/, v97, 24, 2
	s_set_vgpr_msb 5                        ;  msbs: dst=0 src0=1 src1=1 src2=0
	v_add_nc_u32_e32 v214, v114 /*v370*/, v113 /*v369*/
	s_set_vgpr_msb 4                        ;  msbs: dst=0 src0=0 src1=1 src2=0
	v_mul_i32_i24_e32 v217, v127, v73 /*v329*/
	s_set_vgpr_msb 5                        ;  msbs: dst=0 src0=1 src1=1 src2=0
	v_add_nc_u32_e32 v216, v109 /*v365*/, v107 /*v363*/
	s_set_vgpr_msb 0                        ;  msbs: dst=0 src0=0 src1=0 src2=0
	v_add3_u32 v200, v84, v103, v85
	v_mul_i32_i24_e32 v84, v125, v149
	v_mul_i32_i24_e32 v85, v196, v131
	s_set_vgpr_msb 1                        ;  msbs: dst=0 src0=1 src1=0 src2=0
	v_mul_i32_i24_e32 v103, v170 /*v426*/, v190
	s_set_vgpr_msb 64                       ;  msbs: dst=1 src0=0 src1=0 src2=0
	v_bfe_u32 v170 /*v426*/, v97, 8, 2
	s_set_vgpr_msb 5                        ;  msbs: dst=0 src0=1 src1=1 src2=0
	v_and_b32_e32 v125, 3, v242 /*v498*/
	v_mad_i32_i24 v84, v171 /*v427*/, v188 /*v444*/, v84
	v_add_nc_u32_e32 v97, v80 /*v336*/, v154 /*v410*/
	s_set_vgpr_msb 0x45                     ;  msbs: dst=1 src0=1 src1=1 src2=0
	v_bfe_u32 v154 /*v410*/, v242 /*v498*/, 16, 2
	v_dual_add_nc_u32 v114 /*v370*/, v108 /*v364*/, v105 /*v361*/ :: v_dual_add_nc_u32 v100 /*v356*/, v102 /*v358*/, v100 /*v356*/
	v_add_nc_u32_e32 v102 /*v358*/, v99 /*v355*/, v98 /*v354*/
	s_set_vgpr_msb 0                        ;  msbs: dst=0 src0=0 src1=0 src2=0
	v_add3_u32 v199, v84, v103, v85
	s_set_vgpr_msb 5                        ;  msbs: dst=0 src0=1 src1=1 src2=0
	v_dual_add_nc_u32 v84, v160 /*v416*/, v157 /*v413*/ :: v_dual_add_nc_u32 v85, v158 /*v414*/, v156 /*v412*/
	v_add_nc_u32_e32 v103, v87 /*v343*/, v155 /*v411*/
	s_set_vgpr_msb 0                        ;  msbs: dst=0 src0=0 src1=0 src2=0
	v_add3_u32 v97, v97, v61, v41
	s_set_vgpr_msb 0x41                     ;  msbs: dst=1 src0=1 src1=0 src2=0
	v_bfe_i32 v156 /*v412*/, v161 /*v417*/, 0, 8
	s_set_vgpr_msb 16                       ;  msbs: dst=0 src0=0 src1=0 src2=1
	v_add3_u32 v105, v84, v13, v36 /*v292*/
	s_set_vgpr_msb 20                       ;  msbs: dst=0 src0=0 src1=1 src2=1
	v_add3_u32 v108, v85, v13 /*v269*/, v37 /*v293*/
	s_set_vgpr_msb 0                        ;  msbs: dst=0 src0=0 src1=0 src2=0
	v_mul_i32_i24_e32 v84, v208, v149
	v_add3_u32 v103, v103, v58, v34
	v_mul_i32_i24_e32 v85, v210, v190
	s_set_vgpr_msb 0x41                     ;  msbs: dst=1 src0=1 src1=0 src2=0
	v_bfe_u32 v160 /*v416*/, v242 /*v498*/, 8, 2
	s_set_vgpr_msb 0x44                     ;  msbs: dst=1 src0=0 src1=1 src2=0
	v_lshrrev_b32_e32 v158 /*v414*/, 24, v242 /*v498*/
	s_set_vgpr_msb 4                        ;  msbs: dst=0 src0=0 src1=1 src2=0
	v_mad_i32_i24 v84, v101, v188 /*v444*/, v84
	s_set_vgpr_msb 0                        ;  msbs: dst=0 src0=0 src1=0 src2=0
	v_mul_i32_i24_e32 v101, v108, v149
	s_set_vgpr_msb 0x45                     ;  msbs: dst=1 src0=1 src1=1 src2=0
	v_bfe_u32 v161 /*v417*/, v219 /*v475*/, 8, 2
	v_add_nc_u32_e32 v99 /*v355*/, v60 /*v316*/, v58 /*v314*/
	v_mul_i32_i24_e32 v109 /*v365*/, v124 /*v380*/, v87 /*v343*/
	s_set_vgpr_msb 0                        ;  msbs: dst=0 src0=0 src1=0 src2=0
	v_add3_u32 v202, v84, v85, v135
	v_mul_i32_i24_e32 v84, v97, v190
	v_mul_i32_i24_e32 v85, v103, v131
	s_set_vgpr_msb 4                        ;  msbs: dst=0 src0=0 src1=1 src2=0
	v_mad_i32_i24 v101, v105, v188 /*v444*/, v101
	s_set_vgpr_msb 0x44                     ;  msbs: dst=1 src0=0 src1=1 src2=0
	v_and_b32_e32 v115 /*v371*/, 3, v191 /*v447*/
	s_set_vgpr_msb 5                        ;  msbs: dst=0 src0=1 src1=1 src2=0
	v_add_nc_u32_e32 v221, v52 /*v308*/, v51 /*v307*/
	s_set_vgpr_msb 0x45                     ;  msbs: dst=1 src0=1 src1=1 src2=0
	v_mul_i32_i24_e32 v105 /*v361*/, v176 /*v432*/, v25 /*v281*/
	s_set_vgpr_msb 0                        ;  msbs: dst=0 src0=0 src1=0 src2=0
	v_mov_b32_e32 v0, v159
	v_add3_u32 v201, v101, v84, v85
	s_set_vgpr_msb 5                        ;  msbs: dst=0 src0=1 src1=1 src2=0
	v_add_nc_u32_e32 v84, v165 /*v421*/, v164 /*v420*/
	v_add_nc_u32_e32 v101, v169 /*v425*/, v166 /*v422*/
	v_add_nc_u32_e32 v85, v116 /*v372*/, v162 /*v418*/
	s_set_vgpr_msb 0x54                     ;  msbs: dst=1 src0=0 src1=1 src2=1
	v_and_b32_e32 v164 /*v420*/, 3, v219 /*v475*/
	v_and_b32_e32 v165 /*v421*/, 3, v216 /*v472*/
	v_add3_u32 v182 /*v438*/, v84, v41 /*v297*/, v43 /*v299*/
	s_set_vgpr_msb 0                        ;  msbs: dst=0 src0=0 src1=0 src2=0
	v_mul_i32_i24_e32 v84, v129, v117
	v_add3_u32 v85, v85, v49, v23
	s_set_vgpr_msb 0x50                     ;  msbs: dst=1 src0=0 src1=0 src2=1
	v_add3_u32 v157 /*v413*/, v101, v137, v156 /*v412*/
	s_set_vgpr_msb 0                        ;  msbs: dst=0 src0=0 src1=0 src2=0
	v_mul_i32_i24_e32 v101, v203, v118
	s_set_vgpr_msb 4                        ;  msbs: dst=0 src0=0 src1=1 src2=0
	v_mul_i32_i24_e32 v129, v206, v153 /*v409*/
	s_set_vgpr_msb 0                        ;  msbs: dst=0 src0=0 src1=0 src2=0
	v_mad_i32_i24 v84, v204, v115, v84
	s_set_vgpr_msb 1                        ;  msbs: dst=0 src0=1 src1=0 src2=0
	v_mul_i32_i24_e32 v141, v182 /*v438*/, v117
	s_set_vgpr_msb 0x41                     ;  msbs: dst=1 src0=1 src1=0 src2=0
	v_bfe_u32 v166 /*v422*/, v216 /*v472*/, 8, 2
	s_set_vgpr_msb 0                        ;  msbs: dst=0 src0=0 src1=0 src2=0
	v_mov_b32_e32 v1, v158
	s_set_vgpr_msb 5                        ;  msbs: dst=0 src0=1 src1=1 src2=0
	v_mul_i32_i24_e32 v212, v173 /*v429*/, v32 /*v288*/
	s_set_vgpr_msb 0                        ;  msbs: dst=0 src0=0 src1=0 src2=0
	v_add3_u32 v208, v84, v129, v101
	s_set_vgpr_msb 4                        ;  msbs: dst=0 src0=0 src1=1 src2=0
	v_mul_i32_i24_e32 v84, v233, v153 /*v409*/
	s_set_vgpr_msb 0                        ;  msbs: dst=0 src0=0 src1=0 src2=0
	v_mul_i32_i24_e32 v101, v85, v118
	s_set_vgpr_msb 1                        ;  msbs: dst=0 src0=1 src1=0 src2=0
	v_mad_i32_i24 v129, v157 /*v413*/, v115, v141
	s_set_vgpr_msb 5                        ;  msbs: dst=0 src0=1 src1=1 src2=0
	v_mul_i32_i24_e32 v213, v176 /*v432*/, v30 /*v286*/
	s_set_vgpr_msb 0                        ;  msbs: dst=0 src0=0 src1=0 src2=0
	v_mov_b32_e32 v72, v159
	scratch_store_b64 off, v[0:1], off offset:16 ; 8-byte Folded Spill
	s_wait_xcnt 0x0
	v_mov_b32_e32 v0, v158
	v_add3_u32 v84, v129, v84, v101
	v_mul_i32_i24_e32 v101, v108, v117
	v_mul_i32_i24_e32 v117, v103, v118
	s_set_vgpr_msb 4                        ;  msbs: dst=0 src0=0 src1=1 src2=0
	v_mul_i32_i24_e32 v129, v97, v153 /*v409*/
	s_set_vgpr_msb 0x44                     ;  msbs: dst=1 src0=0 src1=1 src2=0
	v_lshrrev_b32_e32 v153 /*v409*/, 16, v219 /*v475*/
	s_set_vgpr_msb 0                        ;  msbs: dst=0 src0=0 src1=0 src2=0
	v_mov_b32_e32 v1, v151
	v_mad_i32_i24 v101, v105, v115, v101
	s_set_vgpr_msb 1                        ;  msbs: dst=0 src0=1 src1=0 src2=0
	v_mul_i32_i24_e32 v115, v182 /*v438*/, v113
	s_set_vgpr_msb 0x41                     ;  msbs: dst=1 src0=1 src1=0 src2=0
	v_add3_u32 v202 /*v458*/, v202 /*v458*/, v212, v213
	s_set_vgpr_msb 5                        ;  msbs: dst=0 src0=1 src1=1 src2=0
	v_mul_i32_i24_e32 v213, v173 /*v429*/, v33 /*v289*/
	s_set_vgpr_msb 0                        ;  msbs: dst=0 src0=0 src1=0 src2=0
	v_mov_b32_e32 v93, v73
	s_set_vgpr_msb 64                       ;  msbs: dst=1 src0=0 src1=0 src2=0
	v_add3_u32 v242 /*v498*/, v101, v129, v117
	s_set_vgpr_msb 0                        ;  msbs: dst=0 src0=0 src1=0 src2=0
	v_mul_i32_i24_e32 v101, v85, v198
	s_set_vgpr_msb 4                        ;  msbs: dst=0 src0=0 src1=1 src2=0
	v_mul_i32_i24_e32 v117, v233, v151 /*v407*/
	s_set_vgpr_msb 5                        ;  msbs: dst=0 src0=1 src1=1 src2=0
	v_mad_i32_i24 v115, v157 /*v413*/, v152 /*v408*/, v115
	v_bfe_u32 v129, v137 /*v393*/, 24, 2
	s_set_vgpr_msb 0                        ;  msbs: dst=0 src0=0 src1=0 src2=0
	s_clause 0x1
	scratch_store_b64 off, v[0:1], off offset:24
	scratch_store_b64 off, v[92:93], off offset:40
	s_wait_xcnt 0x1
	v_mov_b32_e32 v0, v153
	s_set_vgpr_msb 64                       ;  msbs: dst=1 src0=0 src1=0 src2=0
	v_add3_u32 v171 /*v427*/, v115, v117, v101
	s_set_vgpr_msb 0                        ;  msbs: dst=0 src0=0 src1=0 src2=0
	v_mul_i32_i24_e32 v101, v108, v113
	v_mul_i32_i24_e32 v113, v103, v198
	s_set_vgpr_msb 4                        ;  msbs: dst=0 src0=0 src1=1 src2=0
	v_mul_i32_i24_e32 v115, v97, v151 /*v407*/
	v_mul_i32_i24_e32 v97, v97, v150 /*v406*/
	s_set_vgpr_msb 0                        ;  msbs: dst=0 src0=0 src1=0 src2=0
	v_mul_i32_i24_e32 v103, v103, v106
	s_set_vgpr_msb 4                        ;  msbs: dst=0 src0=0 src1=1 src2=0
	v_mad_i32_i24 v101, v105, v152 /*v408*/, v101
	v_mul_i32_i24_e32 v117, v139, v91 /*v347*/
	v_mov_b64_e32 v[6:7], v[86:87]
	v_mov_b64_e32 v[86:87], v[70:71]
	s_set_vgpr_msb 5                        ;  msbs: dst=0 src0=1 src1=1 src2=0
	v_add3_u32 v71, v100 /*v356*/, v15 /*v271*/, v247
	s_set_vgpr_msb 64                       ;  msbs: dst=1 src0=0 src1=0 src2=0
	v_add3_u32 v219 /*v475*/, v101, v115, v113
	s_set_vgpr_msb 0                        ;  msbs: dst=0 src0=0 src1=0 src2=0
	v_mul_i32_i24_e32 v101, v108, v111
	s_set_vgpr_msb 1                        ;  msbs: dst=0 src0=1 src1=0 src2=0
	v_mul_i32_i24_e32 v108, v182 /*v438*/, v111
	s_set_vgpr_msb 4                        ;  msbs: dst=0 src0=0 src1=1 src2=0
	v_mul_i32_i24_e32 v111, v233, v150 /*v406*/
	s_set_vgpr_msb 1                        ;  msbs: dst=0 src0=1 src1=0 src2=0
	v_bfe_u32 v113, v216 /*v472*/, 24, 2
	s_set_vgpr_msb 4                        ;  msbs: dst=0 src0=0 src1=1 src2=0
	v_mul_i32_i24_e32 v115, v145, v68 /*v324*/
	v_mad_i32_i24 v101, v105, v175 /*v431*/, v101
	s_set_vgpr_msb 0                        ;  msbs: dst=0 src0=0 src1=0 src2=0
	v_mul_i32_i24_e32 v105, v85, v106
	s_set_vgpr_msb 5                        ;  msbs: dst=0 src0=1 src1=1 src2=0
	v_mad_i32_i24 v108, v157 /*v413*/, v175 /*v431*/, v108
	s_set_vgpr_msb 0                        ;  msbs: dst=0 src0=0 src1=0 src2=0
	s_clause 0x1
	scratch_store_b64 off, v[0:1], off offset:48
	scratch_store_b64 off, v[72:73], off offset:32
	v_add3_u32 v103, v101, v97, v103
	s_set_vgpr_msb 5                        ;  msbs: dst=0 src0=1 src1=1 src2=0
	v_mul_i32_i24_e32 v97, v134 /*v390*/, v141 /*v397*/
	v_mul_i32_i24_e32 v101, v133 /*v389*/, v144 /*v400*/
	s_set_vgpr_msb 64                       ;  msbs: dst=1 src0=0 src1=0 src2=0
	v_add3_u32 v175 /*v431*/, v108, v111, v105
	s_set_vgpr_msb 5                        ;  msbs: dst=0 src0=1 src1=1 src2=0
	v_bfe_u32 v111, v216 /*v472*/, 16, 2
	v_mul_i32_i24_e32 v105, v129 /*v385*/, v136 /*v392*/
	v_bfe_u32 v108, v189 /*v445*/, 8, 2
	s_set_vgpr_msb 1                        ;  msbs: dst=0 src0=1 src1=0 src2=0
	v_add3_u32 v209, v255 /*v511*/, v101, v97
	s_set_vgpr_msb 4                        ;  msbs: dst=0 src0=0 src1=1 src2=0
	v_mul_i32_i24_e32 v97, v145, v60 /*v316*/
	v_mul_i32_i24_e32 v101, v127, v106 /*v362*/
	v_mov_b32_e32 v8, v73
	v_mul_i32_i24_e32 v230, v139, v57 /*v313*/
	v_mov_b64_e32 v[2:3], v[88:89]
	v_mov_b64_e32 v[88:89], v[74:75]
	s_set_vgpr_msb 64                       ;  msbs: dst=1 src0=0 src1=0 src2=0
	v_add3_u32 v255 /*v511*/, v107, v101, v97
	s_set_vgpr_msb 5                        ;  msbs: dst=0 src0=1 src1=1 src2=0
	v_mul_i32_i24_e32 v97, v134 /*v390*/, v140 /*v396*/
	v_mul_i32_i24_e32 v101, v133 /*v389*/, v143 /*v399*/
	;; [unrolled: 1-line block ×3, first 2 shown]
	s_set_vgpr_msb 20                       ;  msbs: dst=0 src0=0 src1=1 src2=1
	v_add3_u32 v75, v211, v30 /*v286*/, v11 /*v267*/
	s_set_vgpr_msb 5                        ;  msbs: dst=0 src0=1 src1=1 src2=0
	v_mul_i32_i24_e32 v219, v173 /*v429*/, v26 /*v282*/
	s_set_vgpr_msb 0                        ;  msbs: dst=0 src0=0 src1=0 src2=0
	v_mul_i32_i24_e32 v118, v197, v118
	s_set_vgpr_msb 1                        ;  msbs: dst=0 src0=1 src1=0 src2=0
	v_add3_u32 v210, v253 /*v509*/, v101, v97
	s_set_vgpr_msb 4                        ;  msbs: dst=0 src0=0 src1=1 src2=0
	v_mul_i32_i24_e32 v97, v129, v60 /*v316*/
	v_mul_i32_i24_e32 v101, v147, v106 /*v362*/
	s_set_vgpr_msb 0                        ;  msbs: dst=0 src0=0 src1=0 src2=0
	v_mul_i32_i24_e32 v106, v197, v106
	s_set_vgpr_msb 5                        ;  msbs: dst=0 src0=1 src1=1 src2=0
	v_dual_add_nc_u32 v212, v55 /*v311*/, v53 /*v309*/ :: v_dual_add_nc_u32 v222, v57 /*v313*/, v54 /*v310*/
	s_set_vgpr_msb 64                       ;  msbs: dst=1 src0=0 src1=0 src2=0
	v_bfe_i32 v100 /*v356*/, v69, 8, 8
	s_set_vgpr_msb 0x41                     ;  msbs: dst=1 src0=1 src1=0 src2=0
	v_add3_u32 v253 /*v509*/, v254 /*v510*/, v101, v97
	s_set_vgpr_msb 5                        ;  msbs: dst=0 src0=1 src1=1 src2=0
	v_mul_i32_i24_e32 v97, v134 /*v390*/, v139 /*v395*/
	v_mul_i32_i24_e32 v101, v133 /*v389*/, v142 /*v398*/
	s_set_vgpr_msb 0                        ;  msbs: dst=0 src0=0 src1=0 src2=0
	v_mov_b64_e32 v[154:155], v[64:65]
	s_set_vgpr_msb 1                        ;  msbs: dst=0 src0=1 src1=0 src2=0
	v_bfe_i32 v64, v71 /*v327*/, 0, 8
	s_set_vgpr_msb 0x41                     ;  msbs: dst=1 src0=1 src1=0 src2=0
	v_bfe_u32 v169 /*v425*/, v194 /*v450*/, 8, 2
	v_bfe_u32 v141 /*v397*/, v194 /*v450*/, 16, 2
	v_add3_u32 v247 /*v503*/, v247 /*v503*/, v101, v97
	s_set_vgpr_msb 4                        ;  msbs: dst=0 src0=0 src1=1 src2=0
	v_mul_i32_i24_e32 v97, v133, v60 /*v316*/
	v_mul_i32_i24_e32 v101, v139, v106 /*v362*/
	s_set_vgpr_msb 0x41                     ;  msbs: dst=1 src0=1 src1=0 src2=0
	v_bfe_u32 v137 /*v393*/, v194 /*v450*/, 24, 2
	s_set_vgpr_msb 0x44                     ;  msbs: dst=1 src0=0 src1=1 src2=0
	v_dual_lshrrev_b32 v143 /*v399*/, 24, v193 /*v449*/ :: v_dual_bitop2_b32 v139 /*v395*/, 3, v192 /*v448*/ bitop3:0x40
	s_set_vgpr_msb 1                        ;  msbs: dst=0 src0=1 src1=0 src2=0
	v_bfe_u32 v141, v192 /*v448*/, 8, 2
	s_set_vgpr_msb 0x41                     ;  msbs: dst=1 src0=1 src1=0 src2=0
	v_add3_u32 v248 /*v504*/, v248 /*v504*/, v101, v97
	s_set_vgpr_msb 5                        ;  msbs: dst=0 src0=1 src1=1 src2=0
	v_mul_i32_i24_e32 v97, v129 /*v385*/, v130 /*v386*/
	v_mul_i32_i24_e32 v101, v125 /*v381*/, v128 /*v384*/
	s_set_vgpr_msb 0x41                     ;  msbs: dst=1 src0=1 src1=0 src2=0
	v_bfe_u32 v133 /*v389*/, v192 /*v448*/, 16, 2
	v_bfe_u32 v134 /*v390*/, v192 /*v448*/, 24, 2
	s_set_vgpr_msb 0x44                     ;  msbs: dst=1 src0=0 src1=1 src2=0
	v_dual_lshrrev_b32 v162 /*v418*/, 24, v195 /*v451*/ :: v_dual_bitop2_b32 v151 /*v407*/, 3, v195 /*v451*/ bitop3:0x40
	s_set_vgpr_msb 0x41                     ;  msbs: dst=1 src0=1 src1=0 src2=0
	v_add3_u32 v249 /*v505*/, v249 /*v505*/, v101, v97
	s_set_vgpr_msb 4                        ;  msbs: dst=0 src0=0 src1=1 src2=0
	v_mul_i32_i24_e32 v97, v145, v108 /*v364*/
	v_mul_i32_i24_e32 v101, v127, v97 /*v353*/
	s_set_vgpr_msb 0x41                     ;  msbs: dst=1 src0=1 src1=0 src2=0
	v_bfe_u32 v152 /*v408*/, v195 /*v451*/, 8, 2
	s_set_vgpr_msb 0x44                     ;  msbs: dst=1 src0=0 src1=1 src2=0
	v_lshrrev_b32_e32 v150 /*v406*/, 16, v195 /*v451*/
	s_set_vgpr_msb 0                        ;  msbs: dst=0 src0=0 src1=0 src2=0
	v_mov_b32_e32 v9, v92
	s_set_vgpr_msb 1                        ;  msbs: dst=0 src0=1 src1=0 src2=0
	v_mul_i32_i24_e32 v225, v178 /*v434*/, v62
	s_set_vgpr_msb 0x41                     ;  msbs: dst=1 src0=1 src1=0 src2=0
	v_add3_u32 v142 /*v398*/, v250 /*v506*/, v101, v97
	s_set_vgpr_msb 5                        ;  msbs: dst=0 src0=1 src1=1 src2=0
	v_mul_i32_i24_e32 v97, v121 /*v377*/, v130 /*v386*/
	v_mul_i32_i24_e32 v101, v117 /*v373*/, v128 /*v384*/
	s_wait_xcnt 0x2
	s_set_vgpr_msb 0                        ;  msbs: dst=0 src0=0 src1=0 src2=0
	v_mov_b64_e32 v[92:93], v[94:95]
	v_mov_b64_e32 v[94:95], v[80:81]
	;; [unrolled: 1-line block ×3, first 2 shown]
	s_set_vgpr_msb 1                        ;  msbs: dst=0 src0=1 src1=0 src2=0
	v_mul_i32_i24_e32 v67, v178 /*v434*/, v168
	s_set_vgpr_msb 0x41                     ;  msbs: dst=1 src0=1 src1=0 src2=0
	v_add3_u32 v216 /*v472*/, v251 /*v507*/, v101, v97
	s_set_vgpr_msb 4                        ;  msbs: dst=0 src0=0 src1=1 src2=0
	v_mul_i32_i24_e32 v97, v129, v108 /*v364*/
	v_mul_i32_i24_e32 v101, v147, v97 /*v353*/
	s_set_vgpr_msb 1                        ;  msbs: dst=0 src0=1 src1=0 src2=0
	v_bfe_u32 v135, v138 /*v394*/, 8, 2
	s_set_vgpr_msb 0x41                     ;  msbs: dst=1 src0=1 src1=0 src2=0
	v_mul_i32_i24_e32 v53 /*v309*/, v181 /*v437*/, v246
	v_mul_i32_i24_e32 v58 /*v314*/, v179 /*v435*/, v54
	;; [unrolled: 1-line block ×3, first 2 shown]
	s_set_vgpr_msb 1                        ;  msbs: dst=0 src0=1 src1=0 src2=0
	v_add3_u32 v228, v252 /*v508*/, v101, v97
	s_set_vgpr_msb 5                        ;  msbs: dst=0 src0=1 src1=1 src2=0
	v_mul_i32_i24_e32 v97, v124 /*v380*/, v130 /*v386*/
	v_mul_i32_i24_e32 v101, v120 /*v376*/, v128 /*v384*/
	s_set_vgpr_msb 0x44                     ;  msbs: dst=1 src0=0 src1=1 src2=0
	v_dual_lshrrev_b32 v128 /*v384*/, 16, v189 /*v445*/ :: v_dual_lshrrev_b32 v130 /*v386*/, 24, v189 /*v445*/
	s_set_vgpr_msb 0x41                     ;  msbs: dst=1 src0=1 src1=0 src2=0
	v_mul_i32_i24_e32 v51 /*v307*/, v179 /*v435*/, v26
	s_set_vgpr_msb 0x44                     ;  msbs: dst=1 src0=0 src1=1 src2=0
	v_dual_lshrrev_b32 v140 /*v396*/, 16, v193 /*v449*/ :: v_dual_bitop2_b32 v163 /*v419*/, 3, v193 /*v449*/ bitop3:0x40
	s_set_vgpr_msb 0x41                     ;  msbs: dst=1 src0=1 src1=0 src2=0
	v_add3_u32 v243 /*v499*/, v243 /*v499*/, v101, v97
	s_set_vgpr_msb 4                        ;  msbs: dst=0 src0=0 src1=1 src2=0
	v_mul_i32_i24_e32 v97, v133, v108 /*v364*/
	v_mul_i32_i24_e32 v101, v139, v97 /*v353*/
	s_set_vgpr_msb 0x45                     ;  msbs: dst=1 src0=1 src1=1 src2=0
	v_mul_i32_i24_e32 v108 /*v364*/, v120 /*v376*/, v80 /*v336*/
	v_bfe_u32 v144 /*v400*/, v193 /*v449*/, 8, 2
	s_set_vgpr_msb 5                        ;  msbs: dst=0 src0=1 src1=1 src2=0
	v_mul_i32_i24_e32 v65, v173 /*v429*/, v19 /*v275*/
	s_set_vgpr_msb 0x45                     ;  msbs: dst=1 src0=1 src1=1 src2=0
	v_add_nc_u32_e32 v254 /*v510*/, v65 /*v321*/, v61 /*v317*/
	s_set_vgpr_msb 0x41                     ;  msbs: dst=1 src0=1 src1=0 src2=0
	v_add3_u32 v244 /*v500*/, v244 /*v500*/, v101, v97
	s_set_vgpr_msb 5                        ;  msbs: dst=0 src0=1 src1=1 src2=0
	v_mul_i32_i24_e32 v97, v129 /*v385*/, v132 /*v388*/
	v_mul_i32_i24_e32 v101, v125 /*v381*/, v131 /*v387*/
	s_set_vgpr_msb 0x45                     ;  msbs: dst=1 src0=1 src1=1 src2=0
	v_mul_i32_i24_e32 v71 /*v327*/, v168 /*v424*/, v37 /*v293*/
	s_wait_xcnt 0x1
	s_set_vgpr_msb 4                        ;  msbs: dst=0 src0=0 src1=1 src2=0
	v_mov_b64_e32 v[0:1], v[90:91]
	v_mov_b64_e32 v[90:91], v[76:77]
	v_mul_i32_i24_e32 v76, v175, v2 /*v258*/
	s_set_vgpr_msb 0x41                     ;  msbs: dst=1 src0=1 src1=0 src2=0
	v_add3_u32 v245 /*v501*/, v245 /*v501*/, v101, v97
	s_set_vgpr_msb 5                        ;  msbs: dst=0 src0=1 src1=1 src2=0
	v_mul_i32_i24_e32 v97, v121 /*v377*/, v132 /*v388*/
	v_mul_i32_i24_e32 v101, v117 /*v373*/, v131 /*v387*/
	s_set_vgpr_msb 0x41                     ;  msbs: dst=1 src0=1 src1=0 src2=0
	v_mul_i32_i24_e32 v250 /*v506*/, v177 /*v433*/, v50
	s_set_vgpr_msb 1                        ;  msbs: dst=0 src0=1 src1=0 src2=0
	v_mul_i32_i24_e32 v66, v177 /*v433*/, v63
	s_set_vgpr_msb 0                        ;  msbs: dst=0 src0=0 src1=0 src2=0
	v_add3_u32 v221, v221, v174, v28
	v_add3_u32 v222, v222, v50, v26
	s_set_vgpr_msb 1                        ;  msbs: dst=0 src0=1 src1=0 src2=0
	v_add3_u32 v203, v246 /*v502*/, v101, v97
	s_set_vgpr_msb 5                        ;  msbs: dst=0 src0=1 src1=1 src2=0
	v_mul_i32_i24_e32 v97, v120 /*v376*/, v131 /*v387*/
	v_mul_i32_i24_e32 v101, v124 /*v380*/, v132 /*v388*/
	s_set_vgpr_msb 0x41                     ;  msbs: dst=1 src0=1 src1=0 src2=0
	v_mul_i32_i24_e32 v131 /*v387*/, v177 /*v433*/, v240
	s_set_vgpr_msb 0x44                     ;  msbs: dst=1 src0=0 src1=1 src2=0
	v_and_b32_e32 v159 /*v415*/, 3, v159 /*v415*/
	v_and_b32_e32 v162 /*v418*/, 3, v162 /*v418*/
	s_set_vgpr_msb 0x41                     ;  msbs: dst=1 src0=1 src1=0 src2=0
	v_bfe_u32 v155 /*v411*/, v138 /*v394*/, 16, 2
	s_set_vgpr_msb 1                        ;  msbs: dst=0 src0=1 src1=0 src2=0
	v_add3_u32 v229, v241 /*v497*/, v97, v101
	s_set_vgpr_msb 5                        ;  msbs: dst=0 src0=1 src1=1 src2=0
	v_mul_i32_i24_e32 v97, v125 /*v381*/, v135 /*v391*/
	v_mul_i32_i24_e32 v101, v124 /*v380*/, v136 /*v392*/
	s_set_vgpr_msb 0x41                     ;  msbs: dst=1 src0=1 src1=0 src2=0
	v_bfe_u32 v138 /*v394*/, v138 /*v394*/, 24, 2
	s_set_vgpr_msb 64                       ;  msbs: dst=1 src0=0 src1=0 src2=0
	v_mul_i32_i24_e32 v98 /*v354*/, v171, v239
	s_set_vgpr_msb 0                        ;  msbs: dst=0 src0=0 src1=0 src2=0
	v_mul_i32_i24_e32 v197, v191, v255
	s_set_vgpr_msb 1                        ;  msbs: dst=0 src0=1 src1=0 src2=0
	v_add3_u32 v231, v238 /*v494*/, v97, v105
	s_set_vgpr_msb 5                        ;  msbs: dst=0 src0=1 src1=1 src2=0
	v_mul_i32_i24_e32 v105, v120 /*v376*/, v135 /*v391*/
	v_mul_i32_i24_e32 v97, v117 /*v373*/, v135 /*v391*/
	s_set_vgpr_msb 0x45                     ;  msbs: dst=1 src0=1 src1=1 src2=0
	v_mul_i32_i24_e32 v157 /*v413*/, v157 /*v413*/, v188 /*v444*/
	s_set_vgpr_msb 64                       ;  msbs: dst=1 src0=0 src1=0 src2=0
	v_mul_i32_i24_e32 v55 /*v311*/, v171, v251
	v_mul_i32_i24_e32 v54 /*v310*/, v172, v248
	s_set_vgpr_msb 1                        ;  msbs: dst=0 src0=1 src1=0 src2=0
	v_add3_u32 v206, v240 /*v496*/, v105, v101
	s_set_vgpr_msb 4                        ;  msbs: dst=0 src0=0 src1=1 src2=0
	v_mul_i32_i24_e32 v101, v145, v94 /*v350*/
	v_mul_i32_i24_e32 v105, v127, v91 /*v347*/
	s_set_vgpr_msb 1                        ;  msbs: dst=0 src0=1 src1=0 src2=0
	v_add3_u32 v204, v239 /*v495*/, v97, v107
	s_set_vgpr_msb 4                        ;  msbs: dst=0 src0=0 src1=1 src2=0
	v_mul_i32_i24_e32 v107, v129, v94 /*v350*/
	s_set_vgpr_msb 0x41                     ;  msbs: dst=1 src0=1 src1=0 src2=0
	v_add3_u32 v240 /*v496*/, v215 /*v471*/, v217, v215
	s_set_vgpr_msb 5                        ;  msbs: dst=0 src0=1 src1=1 src2=0
	v_mul_i32_i24_e32 v215, v121 /*v377*/, v116 /*v372*/
	s_set_vgpr_msb 0x41                     ;  msbs: dst=1 src0=1 src1=0 src2=0
	v_add3_u32 v236 /*v492*/, v236 /*v492*/, v105, v101
	s_set_vgpr_msb 4                        ;  msbs: dst=0 src0=0 src1=1 src2=0
	v_mul_i32_i24_e32 v101, v147, v91 /*v347*/
	s_set_vgpr_msb 5                        ;  msbs: dst=0 src0=1 src1=1 src2=0
	v_mul_i32_i24_e32 v105, v129 /*v385*/, v127 /*v383*/
	s_set_vgpr_msb 0x55                     ;  msbs: dst=1 src0=1 src1=1 src2=1
	v_add_nc_u32_e32 v91 /*v347*/, v91 /*v347*/, v88 /*v344*/
	v_add3_u32 v215 /*v471*/, v208 /*v464*/, v108 /*v364*/, v109 /*v365*/
	s_set_vgpr_msb 5                        ;  msbs: dst=0 src0=1 src1=1 src2=0
	v_mul_i32_i24_e32 v217, v129 /*v385*/, v116 /*v372*/
	s_set_vgpr_msb 0x41                     ;  msbs: dst=1 src0=1 src1=0 src2=0
	v_add3_u32 v235 /*v491*/, v235 /*v491*/, v101, v107
	s_set_vgpr_msb 4                        ;  msbs: dst=0 src0=0 src1=1 src2=0
	v_mul_i32_i24_e32 v107, v133, v94 /*v350*/
	s_set_vgpr_msb 0x41                     ;  msbs: dst=1 src0=1 src1=0 src2=0
	v_add3_u32 v232 /*v488*/, v232 /*v488*/, v207, v105
	s_set_vgpr_msb 5                        ;  msbs: dst=0 src0=1 src1=1 src2=0
	v_mul_i32_i24_e32 v105, v121 /*v377*/, v127 /*v383*/
	v_mul_i32_i24_e32 v207, v120 /*v376*/, v126 /*v382*/
	v_add_nc_u32_e32 v101, v106 /*v362*/, v104 /*v360*/
	s_set_vgpr_msb 0x41                     ;  msbs: dst=1 src0=1 src1=0 src2=0
	v_add3_u32 v233 /*v489*/, v233 /*v489*/, v117, v107
	s_set_vgpr_msb 4                        ;  msbs: dst=0 src0=0 src1=1 src2=0
	v_mul_i32_i24_e32 v117, v127, v59 /*v315*/
	s_set_vgpr_msb 0x45                     ;  msbs: dst=1 src0=1 src1=1 src2=0
	v_add_nc_u32_e32 v127 /*v383*/, v97 /*v353*/, v96 /*v352*/
	s_set_vgpr_msb 0x41                     ;  msbs: dst=1 src0=1 src1=0 src2=0
	v_add3_u32 v225 /*v481*/, v225 /*v481*/, v207, v218
	s_set_vgpr_msb 5                        ;  msbs: dst=0 src0=1 src1=1 src2=0
	v_mul_i32_i24_e32 v207, v125 /*v381*/, v122 /*v378*/
	v_mul_i32_i24_e32 v218, v129 /*v385*/, v123 /*v379*/
	s_set_vgpr_msb 0x41                     ;  msbs: dst=1 src0=1 src1=0 src2=0
	v_add3_u32 v234 /*v490*/, v234 /*v490*/, v117, v115
	s_set_vgpr_msb 5                        ;  msbs: dst=0 src0=1 src1=1 src2=0
	v_mul_i32_i24_e32 v117, v117 /*v373*/, v126 /*v382*/
	s_set_vgpr_msb 0x44                     ;  msbs: dst=1 src0=0 src1=1 src2=0
	v_mul_i32_i24_e32 v97 /*v353*/, v133, v66 /*v322*/
	s_set_vgpr_msb 0x45                     ;  msbs: dst=1 src0=1 src1=1 src2=0
	v_mul_i32_i24_e32 v104 /*v360*/, v176 /*v432*/, v27 /*v283*/
	s_set_vgpr_msb 0x41                     ;  msbs: dst=1 src0=1 src1=0 src2=0
	v_add3_u32 v227 /*v483*/, v227 /*v483*/, v207, v218
	s_set_vgpr_msb 4                        ;  msbs: dst=0 src0=0 src1=1 src2=0
	v_mul_i32_i24_e32 v207, v145, v65 /*v321*/
	s_set_vgpr_msb 0x41                     ;  msbs: dst=1 src0=1 src1=0 src2=0
	v_add3_u32 v238 /*v494*/, v223 /*v479*/, v117, v105
	s_set_vgpr_msb 4                        ;  msbs: dst=0 src0=0 src1=1 src2=0
	v_mul_i32_i24_e32 v105, v129, v68 /*v324*/
	v_mul_i32_i24_e32 v117, v147, v59 /*v315*/
	;; [unrolled: 1-line block ×3, first 2 shown]
	s_set_vgpr_msb 17                       ;  msbs: dst=0 src0=1 src1=0 src2=1
	v_add3_u32 v219, v199 /*v455*/, v219, v104 /*v360*/
	s_set_vgpr_msb 0x51                     ;  msbs: dst=1 src0=1 src1=0 src2=1
	v_add3_u32 v218 /*v474*/, v218 /*v474*/, v230, v97 /*v353*/
	s_set_vgpr_msb 1                        ;  msbs: dst=0 src0=1 src1=0 src2=0
	v_mul_i32_i24_e32 v230, v178 /*v434*/, v186
	s_set_vgpr_msb 0x41                     ;  msbs: dst=1 src0=1 src1=0 src2=0
	v_add3_u32 v239 /*v495*/, v224 /*v480*/, v117, v105
	s_set_vgpr_msb 4                        ;  msbs: dst=0 src0=0 src1=1 src2=0
	v_mul_i32_i24_e32 v105, v133, v68 /*v324*/
	v_mul_i32_i24_e32 v117, v139, v59 /*v315*/
	s_set_vgpr_msb 0x41                     ;  msbs: dst=1 src0=1 src1=0 src2=0
	v_add3_u32 v229 /*v485*/, v229 /*v485*/, v218, v207
	s_set_vgpr_msb 4                        ;  msbs: dst=0 src0=0 src1=1 src2=0
	v_mul_i32_i24_e32 v207, v133, v65 /*v321*/
	v_mul_i32_i24_e32 v218, v139, v52 /*v308*/
	s_set_vgpr_msb 5                        ;  msbs: dst=0 src0=1 src1=1 src2=0
	v_mul_i32_i24_e32 v115, v181 /*v437*/, v10 /*v266*/
	s_set_vgpr_msb 0x41                     ;  msbs: dst=1 src0=1 src1=0 src2=0
	v_add3_u32 v226 /*v482*/, v226 /*v482*/, v117, v105
	s_set_vgpr_msb 5                        ;  msbs: dst=0 src0=1 src1=1 src2=0
	v_mul_i32_i24_e32 v105, v117 /*v373*/, v122 /*v378*/
	v_mul_i32_i24_e32 v117, v121 /*v377*/, v123 /*v379*/
	s_set_vgpr_msb 0x41                     ;  msbs: dst=1 src0=1 src1=0 src2=0
	v_add3_u32 v224 /*v480*/, v231 /*v487*/, v218, v207
	s_set_vgpr_msb 4                        ;  msbs: dst=0 src0=0 src1=1 src2=0
	v_mul_i32_i24_e32 v207, v147, v57 /*v313*/
	v_mul_i32_i24_e32 v218, v127, v57 /*v313*/
	s_set_vgpr_msb 0x45                     ;  msbs: dst=1 src0=1 src1=1 src2=0
	v_add_nc_u32_e32 v122 /*v378*/, v90 /*v346*/, v89 /*v345*/
	s_set_vgpr_msb 0x41                     ;  msbs: dst=1 src0=1 src1=0 src2=0
	v_add3_u32 v228 /*v484*/, v228 /*v484*/, v105, v117
	s_set_vgpr_msb 4                        ;  msbs: dst=0 src0=0 src1=1 src2=0
	v_mul_i32_i24_e32 v105, v129, v65 /*v321*/
	v_mul_i32_i24_e32 v117, v147, v52 /*v308*/
	s_set_vgpr_msb 0x45                     ;  msbs: dst=1 src0=1 src1=1 src2=0
	v_lshrrev_b32_e32 v89 /*v345*/, 4, v201 /*v457*/
	v_mul_i32_i24_e32 v90 /*v346*/, v124 /*v380*/, v116 /*v372*/
	s_set_vgpr_msb 4                        ;  msbs: dst=0 src0=0 src1=1 src2=0
	v_mul_i32_i24_e32 v127, v127, v79 /*v335*/
	s_set_vgpr_msb 0x41                     ;  msbs: dst=1 src0=1 src1=0 src2=0
	v_mul_i32_i24_e32 v231 /*v487*/, v178 /*v434*/, v183
	v_add3_u32 v223 /*v479*/, v230 /*v486*/, v117, v105
	s_set_vgpr_msb 4                        ;  msbs: dst=0 src0=0 src1=1 src2=0
	v_mul_i32_i24_e32 v105, v145, v66 /*v322*/
	v_mul_i32_i24_e32 v117, v129, v66 /*v322*/
	;; [unrolled: 1-line block ×3, first 2 shown]
	s_set_vgpr_msb 0x41                     ;  msbs: dst=1 src0=1 src1=0 src2=0
	v_mul_i32_i24_e32 v230 /*v486*/, v178 /*v434*/, v178
	s_set_vgpr_msb 0x45                     ;  msbs: dst=1 src0=1 src1=1 src2=0
	v_mul_i32_i24_e32 v96 /*v352*/, v181 /*v437*/, v8 /*v264*/
	s_set_vgpr_msb 0x41                     ;  msbs: dst=1 src0=1 src1=0 src2=0
	v_add3_u32 v222 /*v478*/, v222 /*v478*/, v218, v105
	v_add3_u32 v221 /*v477*/, v221 /*v477*/, v207, v117
	s_set_vgpr_msb 5                        ;  msbs: dst=0 src0=1 src1=1 src2=0
	v_mul_i32_i24_e32 v117, v125 /*v381*/, v80 /*v336*/
	v_mul_i32_i24_e32 v218, v129 /*v385*/, v87 /*v343*/
	;; [unrolled: 1-line block ×3, first 2 shown]
	s_set_vgpr_msb 0x41                     ;  msbs: dst=1 src0=1 src1=0 src2=0
	v_mul_i32_i24_e32 v97 /*v353*/, v181 /*v437*/, v247
	v_mul_i32_i24_e32 v52 /*v308*/, v179 /*v435*/, v39
	;; [unrolled: 1-line block ×3, first 2 shown]
	v_add3_u32 v217 /*v473*/, v217 /*v473*/, v117, v218
	s_set_vgpr_msb 5                        ;  msbs: dst=0 src0=1 src1=1 src2=0
	v_add_nc_u32_e32 v218, v95 /*v351*/, v93 /*v349*/
	s_set_vgpr_msb 0x45                     ;  msbs: dst=1 src0=1 src1=1 src2=0
	v_add_nc_u32_e32 v93 /*v349*/, v94 /*v350*/, v92 /*v348*/
	v_mul_i32_i24_e32 v94 /*v350*/, v117 /*v373*/, v119 /*v375*/
	v_lshrrev_b32_e32 v95 /*v351*/, 4, v196 /*v452*/
	s_set_vgpr_msb 0x41                     ;  msbs: dst=1 src0=1 src1=0 src2=0
	v_add3_u32 v220 /*v476*/, v220 /*v476*/, v232, v207
	s_set_vgpr_msb 5                        ;  msbs: dst=0 src0=1 src1=1 src2=0
	v_add_nc_u32_e32 v232, v103 /*v359*/, v101 /*v357*/
	s_set_vgpr_msb 0x45                     ;  msbs: dst=1 src0=1 src1=1 src2=0
	v_mul_i32_i24_e32 v101 /*v357*/, v173 /*v429*/, v15 /*v271*/
	v_add3_u32 v246 /*v502*/, v213 /*v469*/, v94 /*v350*/, v215
	v_mul_i32_i24_e32 v94 /*v350*/, v120 /*v376*/, v119 /*v375*/
	v_mul_lo_u32 v189 /*v445*/, 0x1010101, v95 /*v351*/
	s_set_vgpr_msb 0x44                     ;  msbs: dst=1 src0=0 src1=1 src2=0
	v_mul_i32_i24_e32 v95 /*v351*/, v133, v75 /*v331*/
	v_mul_lo_u32 v213 /*v469*/, 0x1010101, v89 /*v345*/
	s_set_vgpr_msb 0x55                     ;  msbs: dst=1 src0=1 src1=1 src2=1
	v_add_nc_u32_e32 v89 /*v345*/, v75 /*v331*/, v74 /*v330*/
	v_add3_u32 v212 /*v468*/, v212 /*v468*/, v94 /*v350*/, v90 /*v346*/
	v_mul_i32_i24_e32 v94 /*v350*/, v121 /*v377*/, v87 /*v343*/
	s_set_vgpr_msb 0x44                     ;  msbs: dst=1 src0=0 src1=1 src2=0
	v_mul_i32_i24_e32 v87 /*v343*/, v147, v73 /*v329*/
	v_mul_i32_i24_e32 v74 /*v330*/, v129, v75 /*v331*/
	s_set_vgpr_msb 0x45                     ;  msbs: dst=1 src0=1 src1=1 src2=0
	v_add_nc_u32_e32 v90 /*v346*/, v73 /*v329*/, v72 /*v328*/
	s_set_vgpr_msb 0x44                     ;  msbs: dst=1 src0=0 src1=1 src2=0
	v_mul_i32_i24_e32 v72 /*v328*/, v139, v73 /*v329*/
	s_set_vgpr_msb 4                        ;  msbs: dst=0 src0=0 src1=1 src2=0
	v_mul_i32_i24_e32 v147, v147, v79 /*v335*/
	v_mul_i32_i24_e32 v129, v129, v86 /*v342*/
	v_mul_i32_i24_e32 v133, v133, v86 /*v342*/
	s_set_vgpr_msb 0x44                     ;  msbs: dst=1 src0=0 src1=1 src2=0
	v_add3_u32 v113 /*v369*/, v232, v24 /*v280*/, v241
	s_set_vgpr_msb 0x55                     ;  msbs: dst=1 src0=1 src1=1 src2=1
	v_add3_u32 v208 /*v464*/, v210 /*v466*/, v72 /*v328*/, v95 /*v351*/
	s_set_vgpr_msb 0x41                     ;  msbs: dst=1 src0=1 src1=0 src2=0
	v_add3_u32 v210 /*v466*/, v205 /*v461*/, v127, v145
	v_add3_u32 v206 /*v462*/, v206 /*v462*/, v147, v129
	s_set_vgpr_msb 4                        ;  msbs: dst=0 src0=0 src1=1 src2=0
	v_mul_i32_i24_e32 v127, v139, v79 /*v335*/
	s_set_vgpr_msb 5                        ;  msbs: dst=0 src0=1 src1=1 src2=0
	v_add_nc_u32_e32 v129, v78 /*v334*/, v77 /*v333*/
	v_mul_i32_i24_e32 v147, v174 /*v430*/, v22 /*v278*/
	v_mul_i32_i24_e32 v232, v125 /*v381*/, v119 /*v375*/
	s_set_vgpr_msb 0x41                     ;  msbs: dst=1 src0=1 src1=0 src2=0
	v_bfe_i32 v132 /*v388*/, v213 /*v469*/, 0, 8
	v_add3_u32 v204 /*v460*/, v204 /*v460*/, v127, v133
	s_set_vgpr_msb 0x44                     ;  msbs: dst=1 src0=0 src1=1 src2=0
	v_add3_u32 v116 /*v372*/, v129, v39 /*v295*/, v254
	s_set_vgpr_msb 5                        ;  msbs: dst=0 src0=1 src1=1 src2=0
	v_mul_i32_i24_e32 v129, v31 /*v287*/, v50 /*v306*/
	v_mul_i32_i24_e32 v127, v180 /*v436*/, v35 /*v291*/
	s_set_vgpr_msb 0x41                     ;  msbs: dst=1 src0=1 src1=0 src2=0
	v_add3_u32 v241 /*v497*/, v214 /*v470*/, v232, v217
	s_set_vgpr_msb 5                        ;  msbs: dst=0 src0=1 src1=1 src2=0
	v_mul_i32_i24_e32 v217, v173 /*v429*/, v24 /*v280*/
	s_set_vgpr_msb 0x41                     ;  msbs: dst=1 src0=1 src1=0 src2=0
	v_mul_i32_i24_e32 v50 /*v306*/, v180 /*v436*/, v21
	s_set_vgpr_msb 0x45                     ;  msbs: dst=1 src0=1 src1=1 src2=0
	v_add_nc_u32_e32 v78 /*v334*/, v64 /*v320*/, v62 /*v318*/
	s_set_vgpr_msb 0x41                     ;  msbs: dst=1 src0=1 src1=0 src2=0
	v_add3_u32 v203 /*v459*/, v203 /*v459*/, v129, v127
	s_set_vgpr_msb 5                        ;  msbs: dst=0 src0=1 src1=1 src2=0
	v_mul_i32_i24_e32 v129, v180 /*v436*/, v23 /*v279*/
	v_mul_i32_i24_e32 v127, v180 /*v436*/, v18 /*v274*/
	s_set_vgpr_msb 0x45                     ;  msbs: dst=1 src0=1 src1=1 src2=0
	v_mul_i32_i24_e32 v103 /*v359*/, v176 /*v432*/, v16 /*v272*/
	s_set_vgpr_msb 1                        ;  msbs: dst=0 src0=1 src1=0 src2=0
	v_bfe_i32 v215, v189 /*v445*/, 0, 8
	s_set_vgpr_msb 0x41                     ;  msbs: dst=1 src0=1 src1=0 src2=0
	v_bfe_i32 v95 /*v351*/, v189 /*v445*/, 8, 8
	v_add3_u32 v251 /*v507*/, v200 /*v456*/, v147, v129
	s_set_vgpr_msb 5                        ;  msbs: dst=0 src0=1 src1=1 src2=0
	v_mul_i32_i24_e32 v129, v174 /*v430*/, v17 /*v273*/
	v_mul_i32_i24_e32 v147, v176 /*v432*/, v34 /*v290*/
	s_set_vgpr_msb 20                       ;  msbs: dst=0 src0=0 src1=1 src2=1
	v_add3_u32 v227, v140, v101 /*v357*/, v103 /*v359*/
	v_lshrrev_b32_e32 v140, 4, v187 /*v443*/
	s_set_vgpr_msb 0x54                     ;  msbs: dst=1 src0=0 src1=1 src2=1
	v_add3_u32 v121 /*v377*/, v205, v32 /*v288*/, v10 /*v266*/
	s_set_vgpr_msb 0x41                     ;  msbs: dst=1 src0=1 src1=0 src2=0
	v_add3_u32 v252 /*v508*/, v198 /*v454*/, v129, v127
	s_set_vgpr_msb 5                        ;  msbs: dst=0 src0=1 src1=1 src2=0
	v_mul_i32_i24_e32 v127, v180 /*v436*/, v21 /*v277*/
	v_mul_i32_i24_e32 v129, v174 /*v430*/, v20 /*v276*/
	s_set_vgpr_msb 0                        ;  msbs: dst=0 src0=0 src1=0 src2=0
	v_add3_u32 v213, v142, v213, v147
	s_set_vgpr_msb 1                        ;  msbs: dst=0 src0=1 src1=0 src2=0
	v_mul_i32_i24_e32 v147, v180 /*v436*/, v137
	s_set_vgpr_msb 0x45                     ;  msbs: dst=1 src0=1 src1=1 src2=0
	v_add_nc_u32_e32 v198 /*v454*/, v66 /*v322*/, v63 /*v319*/
	s_wait_xcnt 0x0
	s_set_vgpr_msb 5                        ;  msbs: dst=0 src0=1 src1=1 src2=0
	v_add3_u32 v73, v78 /*v334*/, v38 /*v294*/, v255
	s_set_vgpr_msb 1                        ;  msbs: dst=0 src0=1 src1=0 src2=0
	v_add3_u32 v220, v197 /*v453*/, v129, v127
	s_set_vgpr_msb 0x50                     ;  msbs: dst=1 src0=0 src1=0 src2=1
	v_add3_u32 v197 /*v453*/, v104, v217, v105 /*v361*/
	s_set_vgpr_msb 1                        ;  msbs: dst=0 src0=1 src1=0 src2=0
	v_mul_i32_i24_e32 v104, v180 /*v436*/, v13
	s_set_vgpr_msb 5                        ;  msbs: dst=0 src0=1 src1=1 src2=0
	v_mul_i32_i24_e32 v217, v174 /*v430*/, v13 /*v269*/
	v_mul_i32_i24_e32 v127, v180 /*v436*/, v29 /*v285*/
	v_mul_i32_i24_e32 v129, v174 /*v430*/, v28 /*v284*/
	v_mul_i32_i24_e32 v139, v116 /*v372*/, v95 /*v351*/
	s_set_vgpr_msb 0                        ;  msbs: dst=0 src0=0 src1=0 src2=0
	v_mul_lo_u32 v74, 0x1010101, v140
	v_add3_u32 v217, v146, v217, v104
	s_set_vgpr_msb 1                        ;  msbs: dst=0 src0=1 src1=0 src2=0
	v_mul_i32_i24_e32 v104, v174 /*v430*/, v22
	s_set_vgpr_msb 0                        ;  msbs: dst=0 src0=0 src1=0 src2=0
	v_add3_u32 v224, v96, v129, v127
	s_set_vgpr_msb 5                        ;  msbs: dst=0 src0=1 src1=1 src2=0
	v_add_nc_u32_e32 v96, v85 /*v341*/, v84 /*v340*/
	s_set_vgpr_msb 0x45                     ;  msbs: dst=1 src0=1 src1=1 src2=0
	v_add3_u32 v85 /*v341*/, v102 /*v358*/, v16 /*v272*/, v253
	v_bfe_i32 v102 /*v358*/, v213 /*v469*/, 8, 8
	s_set_vgpr_msb 16                       ;  msbs: dst=0 src0=0 src1=0 src2=1
	v_add3_u32 v226, v144, v104, v50 /*v306*/
	s_set_vgpr_msb 5                        ;  msbs: dst=0 src0=1 src1=1 src2=0
	v_mul_i32_i24_e32 v144, v174 /*v430*/, v41 /*v297*/
	s_set_vgpr_msb 0x41                     ;  msbs: dst=1 src0=1 src1=0 src2=0
	v_mul_i32_i24_e32 v108 /*v364*/, v121 /*v377*/, v215
	s_set_vgpr_msb 5                        ;  msbs: dst=0 src0=1 src1=1 src2=0
	v_add_nc_u32_e32 v133, v68 /*v324*/, v67 /*v323*/
	v_mul_i32_i24_e32 v104, v85 /*v341*/, v102 /*v358*/
	s_set_vgpr_msb 20                       ;  msbs: dst=0 src0=0 src1=1 src2=1
	v_add3_u32 v214, v214, v26 /*v282*/, v8 /*v264*/
	s_set_vgpr_msb 0                        ;  msbs: dst=0 src0=0 src1=0 src2=0
	v_add3_u32 v70, v130, v144, v147
	s_set_vgpr_msb 4                        ;  msbs: dst=0 src0=0 src1=1 src2=0
	v_mul_i32_i24_e32 v130, v71, v132 /*v388*/
	s_set_vgpr_msb 0x45                     ;  msbs: dst=1 src0=1 src1=1 src2=0
	v_add_nc_u32_e32 v119 /*v375*/, v82 /*v338*/, v81 /*v337*/
	s_set_vgpr_msb 5                        ;  msbs: dst=0 src0=1 src1=1 src2=0
	v_mul_i32_i24_e32 v205, v121 /*v377*/, v132 /*v388*/
	s_set_vgpr_msb 64                       ;  msbs: dst=1 src0=0 src1=0 src2=0
	v_mul_i32_i24_e32 v82 /*v338*/, v214, v215
	v_bfe_i32 v104 /*v360*/, v74, 8, 8
	s_set_vgpr_msb 0                        ;  msbs: dst=0 src0=0 src1=0 src2=0
	v_add3_u32 v72, v100, v130, v104
	v_mul_i32_i24_e32 v104, v73, v215
	s_set_vgpr_msb 4                        ;  msbs: dst=0 src0=0 src1=1 src2=0
	v_add3_u32 v100, v216, v27 /*v283*/, v239
	s_set_vgpr_msb 0x44                     ;  msbs: dst=1 src0=0 src1=1 src2=0
	v_mul_i32_i24_e32 v106 /*v362*/, v214, v132 /*v388*/
	s_set_vgpr_msb 5                        ;  msbs: dst=0 src0=1 src1=1 src2=0
	v_dual_add_nc_u32 v145, v70 /*v326*/, v69 /*v325*/ :: v_dual_add_nc_u32 v142, v79 /*v335*/, v76 /*v332*/
	s_set_vgpr_msb 0                        ;  msbs: dst=0 src0=0 src1=0 src2=0
	v_add3_u32 v211, v138, v104, v139
	s_set_vgpr_msb 4                        ;  msbs: dst=0 src0=0 src1=1 src2=0
	v_mul_i32_i24_e32 v104, v75, v95 /*v351*/
	s_set_vgpr_msb 0x45                     ;  msbs: dst=1 src0=1 src1=1 src2=0
	v_mul_i32_i24_e32 v75 /*v331*/, v117 /*v373*/, v80 /*v336*/
	v_mul_i32_i24_e32 v80 /*v336*/, v173 /*v429*/, v14 /*v270*/
	v_mul_i32_i24_e32 v81 /*v337*/, v176 /*v432*/, v12 /*v268*/
	s_set_vgpr_msb 0x44                     ;  msbs: dst=1 src0=0 src1=1 src2=0
	v_add3_u32 v123 /*v379*/, v218, v25 /*v281*/, v242
	v_add3_u32 v125 /*v381*/, v124, v108 /*v364*/, v104
	s_set_vgpr_msb 20                       ;  msbs: dst=0 src0=0 src1=1 src2=1
	v_mul_i32_i24_e32 v124, v100, v95 /*v351*/
	v_bfe_i32 v104, v74, 0, 8
	v_add3_u32 v223, v148, v80 /*v336*/, v81 /*v337*/
	s_set_vgpr_msb 5                        ;  msbs: dst=0 src0=1 src1=1 src2=0
	v_add_nc_u32_e32 v148, v86 /*v342*/, v83 /*v339*/
	s_set_vgpr_msb 0x44                     ;  msbs: dst=1 src0=0 src1=1 src2=0
	v_add3_u32 v124 /*v380*/, v212, v34 /*v290*/, v251
	v_add3_u32 v126 /*v382*/, v120, v82 /*v338*/, v124
	s_set_vgpr_msb 4                        ;  msbs: dst=0 src0=0 src1=1 src2=0
	v_mul_i32_i24_e32 v120, v75, v102 /*v358*/
	s_set_vgpr_msb 5                        ;  msbs: dst=0 src0=1 src1=1 src2=0
	v_mul_i32_i24_e32 v124, v85 /*v341*/, v104 /*v360*/
	s_set_vgpr_msb 0x41                     ;  msbs: dst=1 src0=1 src1=0 src2=0
	v_mul_i32_i24_e32 v107 /*v363*/, v113 /*v369*/, v215
	s_set_vgpr_msb 0x55                     ;  msbs: dst=1 src0=1 src1=1 src2=1
	v_add3_u32 v214 /*v470*/, v209 /*v465*/, v87 /*v343*/, v74 /*v330*/
	v_bfe_i32 v87 /*v343*/, v111 /*v367*/, 0, 8
	s_set_vgpr_msb 64                       ;  msbs: dst=1 src0=0 src1=0 src2=0
	v_add3_u32 v101 /*v357*/, v126, v205, v120
	s_set_vgpr_msb 4                        ;  msbs: dst=0 src0=0 src1=1 src2=0
	v_mul_i32_i24_e32 v120, v100, v102 /*v358*/
	s_set_vgpr_msb 0                        ;  msbs: dst=0 src0=0 src1=0 src2=0
	v_mul_i32_i24_e32 v126, v71, v104
	s_set_vgpr_msb 0x55                     ;  msbs: dst=1 src0=1 src1=1 src2=1
	v_add3_u32 v211 /*v467*/, v211 /*v467*/, v75 /*v331*/, v94 /*v350*/
	v_add_nc_u32_e32 v94 /*v350*/, v59 /*v315*/, v56 /*v312*/
	s_set_vgpr_msb 20                       ;  msbs: dst=0 src0=0 src1=1 src2=1
	v_add3_u32 v96, v96, v19 /*v275*/, v44 /*v300*/
	s_set_vgpr_msb 4                        ;  msbs: dst=0 src0=0 src1=1 src2=0
	v_add3_u32 v139, v122, v106 /*v362*/, v120
	v_mul_i32_i24_e32 v122, v100, v104 /*v360*/
	s_set_vgpr_msb 0                        ;  msbs: dst=0 src0=0 src1=0 src2=0
	v_add3_u32 v205, v136, v126, v124
	v_mul_i32_i24_e32 v124, v214, v104
	v_mul_i32_i24_e32 v120, v71, v215
	s_set_vgpr_msb 4                        ;  msbs: dst=0 src0=0 src1=1 src2=0
	v_mul_i32_i24_e32 v100, v100, v100 /*v356*/
	s_set_vgpr_msb 0x50                     ;  msbs: dst=1 src0=0 src1=0 src2=1
	v_add3_u32 v129 /*v385*/, v148, v168, v48 /*v304*/
	v_lshrrev_b32_e32 v196 /*v452*/, 24, v69
	s_set_vgpr_msb 0                        ;  msbs: dst=0 src0=0 src1=0 src2=0
	v_add3_u32 v216, v128, v124, v122
	s_set_vgpr_msb 1                        ;  msbs: dst=0 src0=1 src1=0 src2=0
	v_mul_i32_i24_e32 v122, v113 /*v369*/, v104
	s_set_vgpr_msb 5                        ;  msbs: dst=0 src0=1 src1=1 src2=0
	v_mul_i32_i24_e32 v146, v173 /*v429*/, v38 /*v294*/
	s_set_vgpr_msb 0x45                     ;  msbs: dst=1 src0=1 src1=1 src2=0
	v_mul_i32_i24_e32 v63 /*v319*/, v176 /*v432*/, v39 /*v295*/
	s_set_vgpr_msb 5                        ;  msbs: dst=0 src0=1 src1=1 src2=0
	v_mul_i32_i24_e32 v207, v178 /*v434*/, v0 /*v256*/
	s_set_vgpr_msb 0x41                     ;  msbs: dst=1 src0=1 src1=0 src2=0
	v_mul_i32_i24_e32 v209 /*v465*/, v178 /*v434*/, v59
	v_add3_u32 v103 /*v359*/, v185 /*v441*/, v118, v122
	s_set_vgpr_msb 5                        ;  msbs: dst=0 src0=1 src1=1 src2=0
	v_mul_i32_i24_e32 v122, v113 /*v369*/, v132 /*v388*/
	v_mul_i32_i24_e32 v118, v85 /*v341*/, v95 /*v351*/
	s_set_vgpr_msb 16                       ;  msbs: dst=0 src0=0 src1=0 src2=1
	v_add3_u32 v68, v134, v146, v63 /*v319*/
	s_set_vgpr_msb 1                        ;  msbs: dst=0 src0=1 src1=0 src2=0
	v_mul_i32_i24_e32 v134, v176 /*v432*/, v64
	s_set_vgpr_msb 0x41                     ;  msbs: dst=1 src0=1 src1=0 src2=0
	v_mul_i32_i24_e32 v205 /*v461*/, v178 /*v434*/, v185
	v_add3_u32 v108 /*v364*/, v183 /*v439*/, v106, v122
	s_set_vgpr_msb 4                        ;  msbs: dst=0 src0=0 src1=1 src2=0
	v_add3_u32 v122, v145, v33 /*v289*/, v246
	s_set_vgpr_msb 64                       ;  msbs: dst=1 src0=0 src1=0 src2=0
	v_add3_u32 v106 /*v362*/, v114, v120, v118
	s_set_vgpr_msb 0                        ;  msbs: dst=0 src0=0 src1=0 src2=0
	v_mul_i32_i24_e32 v120, v196, v198
	s_set_vgpr_msb 5                        ;  msbs: dst=0 src0=1 src1=1 src2=0
	v_mul_i32_i24_e32 v114, v123 /*v379*/, v95 /*v351*/
	v_mul_i32_i24_e32 v106, v124 /*v380*/, v102 /*v358*/
	s_set_vgpr_msb 0                        ;  msbs: dst=0 src0=0 src1=0 src2=0
	v_mul_i32_i24_e32 v124, v122, v215
	s_set_vgpr_msb 5                        ;  msbs: dst=0 src0=1 src1=1 src2=0
	v_mul_i32_i24_e32 v118, v124 /*v380*/, v104 /*v360*/
	s_set_vgpr_msb 0x45                     ;  msbs: dst=1 src0=1 src1=1 src2=0
	v_mul_i32_i24_e32 v74 /*v330*/, v181 /*v437*/, v42 /*v298*/
	s_set_vgpr_msb 0x44                     ;  msbs: dst=1 src0=0 src1=1 src2=0
	v_add3_u32 v112 /*v368*/, v112, v107 /*v363*/, v114
	s_set_vgpr_msb 5                        ;  msbs: dst=0 src0=1 src1=1 src2=0
	v_mul_i32_i24_e32 v114, v116 /*v372*/, v102 /*v358*/
	s_set_vgpr_msb 0x41                     ;  msbs: dst=1 src0=1 src1=0 src2=0
	v_add3_u32 v109 /*v365*/, v184 /*v440*/, v120, v124
	s_set_vgpr_msb 4                        ;  msbs: dst=0 src0=0 src1=1 src2=0
	v_mul_i32_i24_e32 v120, v122, v132 /*v388*/
	s_set_vgpr_msb 5                        ;  msbs: dst=0 src0=1 src1=1 src2=0
	v_mul_i32_i24_e32 v112, v116 /*v372*/, v104 /*v360*/
	s_set_vgpr_msb 0x45                     ;  msbs: dst=1 src0=1 src1=1 src2=0
	v_mul_i32_i24_e32 v73 /*v329*/, v181 /*v437*/, v44 /*v300*/
	s_set_vgpr_msb 0x41                     ;  msbs: dst=1 src0=1 src1=0 src2=0
	v_mul_i32_i24_e32 v77 /*v333*/, v181 /*v437*/, v241
	v_mul_i32_i24_e32 v56 /*v312*/, v181 /*v437*/, v255
	s_set_vgpr_msb 0                        ;  msbs: dst=0 src0=0 src1=0 src2=0
	v_add3_u32 v145, v195, v120, v106
	s_set_vgpr_msb 4                        ;  msbs: dst=0 src0=0 src1=1 src2=0
	v_mul_i32_i24_e32 v106, v73, v132 /*v388*/
	s_set_vgpr_msb 0x41                     ;  msbs: dst=1 src0=1 src1=0 src2=0
	v_mul_i32_i24_e32 v72 /*v328*/, v179 /*v435*/, v33
	s_set_vgpr_msb 1                        ;  msbs: dst=0 src0=1 src1=0 src2=0
	v_mul_i32_i24_e32 v127, v179 /*v435*/, v28
	v_mul_i32_i24_e32 v129, v179 /*v435*/, v43
	s_set_vgpr_msb 0x41                     ;  msbs: dst=1 src0=1 src1=0 src2=0
	v_mul_i32_i24_e32 v50 /*v306*/, v179 /*v435*/, v46
	s_set_vgpr_msb 64                       ;  msbs: dst=1 src0=0 src1=0 src2=0
	v_add3_u32 v107 /*v363*/, v192, v106, v114
	s_set_vgpr_msb 0                        ;  msbs: dst=0 src0=0 src1=0 src2=0
	v_mul_i32_i24_e32 v106, v73, v104
	s_set_vgpr_msb 4                        ;  msbs: dst=0 src0=0 src1=1 src2=0
	v_mul_i32_i24_e32 v128, v141, v27 /*v283*/
	s_set_vgpr_msb 0x45                     ;  msbs: dst=1 src0=1 src1=1 src2=0
	v_mul_i32_i24_e32 v69 /*v325*/, v168 /*v424*/, v43 /*v299*/
	s_set_vgpr_msb 0x41                     ;  msbs: dst=1 src0=1 src1=0 src2=0
	v_mul_i32_i24_e32 v63 /*v319*/, v168 /*v424*/, v252
	v_mul_i32_i24_e32 v65 /*v321*/, v168 /*v424*/, v243
	s_set_vgpr_msb 64                       ;  msbs: dst=1 src0=0 src1=0 src2=0
	v_add3_u32 v110 /*v366*/, v110, v106, v112
	s_set_vgpr_msb 0                        ;  msbs: dst=0 src0=0 src1=0 src2=0
	v_bfe_i32 v110, v69, 0, 8
	v_mul_i32_i24_e32 v106, v122, v104
	s_set_vgpr_msb 0x41                     ;  msbs: dst=1 src0=1 src1=0 src2=0
	v_mul_i32_i24_e32 v67 /*v323*/, v168 /*v424*/, v189
	s_set_vgpr_msb 0x45                     ;  msbs: dst=1 src0=1 src1=1 src2=0
	v_mul_i32_i24_e32 v76 /*v332*/, v168 /*v424*/, v6 /*v262*/
	v_mul_i32_i24_e32 v81 /*v337*/, v168 /*v424*/, v3 /*v259*/
	s_set_vgpr_msb 0                        ;  msbs: dst=0 src0=0 src1=0 src2=0
	v_mul_i32_i24_e32 v112, v214, v110
	s_set_vgpr_msb 64                       ;  msbs: dst=1 src0=0 src1=0 src2=0
	v_add3_u32 v111 /*v367*/, v193, v106, v118
	s_set_vgpr_msb 4                        ;  msbs: dst=0 src0=0 src1=1 src2=0
	v_mul_i32_i24_e32 v106, v75, v100 /*v356*/
	s_set_vgpr_msb 0                        ;  msbs: dst=0 src0=0 src1=0 src2=0
	v_mul_i32_i24_e32 v73, v73, v110
	v_mul_i32_i24_e32 v71, v71, v110
	v_add3_u32 v147, v102, v112, v100
	s_set_vgpr_msb 1                        ;  msbs: dst=0 src0=1 src1=0 src2=0
	v_mul_i32_i24_e32 v102, v121 /*v377*/, v110
	s_set_vgpr_msb 5                        ;  msbs: dst=0 src0=1 src1=1 src2=0
	v_mul_i32_i24_e32 v100, v123 /*v379*/, v100 /*v356*/
	s_set_vgpr_msb 4                        ;  msbs: dst=0 src0=0 src1=1 src2=0
	v_mul_i32_i24_e32 v75, v75, v104 /*v360*/
	s_set_vgpr_msb 0                        ;  msbs: dst=0 src0=0 src1=0 src2=0
	v_mul_i32_i24_e32 v77, v122, v110
	s_set_vgpr_msb 4                        ;  msbs: dst=0 src0=0 src1=1 src2=0
	v_mul_i32_i24_e32 v218, v175, v5 /*v261*/
	s_set_vgpr_msb 64                       ;  msbs: dst=1 src0=0 src1=0 src2=0
	v_add3_u32 v105 /*v361*/, v194, v102, v106
	s_set_vgpr_msb 1                        ;  msbs: dst=0 src0=1 src1=0 src2=0
	v_mul_i32_i24_e32 v102, v113 /*v369*/, v110
	s_set_vgpr_msb 0                        ;  msbs: dst=0 src0=0 src1=0 src2=0
	v_add3_u32 v65, v132, v65, v134
	s_set_vgpr_msb 0x45                     ;  msbs: dst=1 src0=1 src1=1 src2=0
	v_mul_i32_i24_e32 v78 /*v334*/, v163 /*v419*/, v43 /*v299*/
	s_set_vgpr_msb 5                        ;  msbs: dst=0 src0=1 src1=1 src2=0
	v_mul_i32_i24_e32 v134, v164 /*v420*/, v43 /*v299*/
	s_set_vgpr_msb 4                        ;  msbs: dst=0 src0=0 src1=1 src2=0
	v_mul_i32_i24_e32 v138, v121, v43 /*v299*/
	s_set_vgpr_msb 64                       ;  msbs: dst=1 src0=0 src1=0 src2=0
	v_add3_u32 v117 /*v373*/, v200, v102, v100
	s_set_vgpr_msb 5                        ;  msbs: dst=0 src0=1 src1=1 src2=0
	v_mul_i32_i24_e32 v102, v116 /*v372*/, v100 /*v356*/
	v_mul_i32_i24_e32 v100, v85 /*v341*/, v100 /*v356*/
	s_set_vgpr_msb 4                        ;  msbs: dst=0 src0=0 src1=1 src2=0
	v_mul_i32_i24_e32 v117, v108, v40 /*v296*/
	s_set_vgpr_msb 0x44                     ;  msbs: dst=1 src0=0 src1=1 src2=0
	v_mul_i32_i24_e32 v75 /*v331*/, v171, v40 /*v296*/
	s_set_vgpr_msb 5                        ;  msbs: dst=0 src0=1 src1=1 src2=0
	v_mul_i32_i24_e32 v132, v152 /*v408*/, v40 /*v296*/
	s_set_vgpr_msb 64                       ;  msbs: dst=1 src0=0 src1=0 src2=0
	v_add3_u32 v116 /*v372*/, v202, v73, v102
	s_set_vgpr_msb 1                        ;  msbs: dst=0 src0=1 src1=0 src2=0
	v_mul_i32_i24_e32 v102, v121 /*v377*/, v104
	s_set_vgpr_msb 64                       ;  msbs: dst=1 src0=0 src1=0 src2=0
	v_add3_u32 v120 /*v376*/, v143, v71, v100
	s_set_vgpr_msb 21                       ;  msbs: dst=0 src0=1 src1=1 src2=1
	v_add3_u32 v71, v122 /*v378*/, v12 /*v268*/, v40 /*v296*/
	s_set_vgpr_msb 0                        ;  msbs: dst=0 src0=0 src1=0 src2=0
	v_add3_u32 v143, v142, v63, v39
	s_set_vgpr_msb 64                       ;  msbs: dst=1 src0=0 src1=0 src2=0
	v_bfe_i32 v121 /*v377*/, v69, 16, 8
	v_add3_u32 v113 /*v369*/, v208, v102, v75
	s_set_vgpr_msb 21                       ;  msbs: dst=0 src0=1 src1=1 src2=1
	v_add3_u32 v75, v119 /*v375*/, v14 /*v270*/, v42 /*v298*/
	s_set_vgpr_msb 4                        ;  msbs: dst=0 src0=0 src1=1 src2=0
	v_mul_i32_i24_e32 v100, v71, v100 /*v356*/
	s_set_vgpr_msb 5                        ;  msbs: dst=0 src0=1 src1=1 src2=0
	v_mul_i32_i24_e32 v69, v129 /*v385*/, v196 /*v452*/
	v_mul_i32_i24_e32 v73, v124 /*v380*/, v100 /*v356*/
	s_set_vgpr_msb 4                        ;  msbs: dst=0 src0=0 src1=1 src2=0
	v_mul_i32_i24_e32 v194, v141, v34 /*v290*/
	s_set_vgpr_msb 0                        ;  msbs: dst=0 src0=0 src1=0 src2=0
	v_mul_i32_i24_e32 v102, v75, v110
	s_set_vgpr_msb 0x45                     ;  msbs: dst=1 src0=1 src1=1 src2=0
	v_mul_i32_i24_e32 v84 /*v340*/, v163 /*v419*/, v37 /*v293*/
	s_set_vgpr_msb 64                       ;  msbs: dst=1 src0=0 src1=0 src2=0
	v_mad_i32_i24 v192 /*v448*/, v85, v131, v69
	s_set_vgpr_msb 0                        ;  msbs: dst=0 src0=0 src1=0 src2=0
	v_mul_i32_i24_e32 v69, v75, v104
	s_set_vgpr_msb 5                        ;  msbs: dst=0 src0=1 src1=1 src2=0
	v_mul_i32_i24_e32 v131, v169 /*v425*/, v21 /*v277*/
	s_set_vgpr_msb 64                       ;  msbs: dst=1 src0=0 src1=0 src2=0
	v_add3_u32 v119 /*v375*/, v201, v102, v100
	s_set_vgpr_msb 4                        ;  msbs: dst=0 src0=0 src1=1 src2=0
	v_mul_i32_i24_e32 v100, v143, v121 /*v377*/
	s_set_vgpr_msb 5                        ;  msbs: dst=0 src0=1 src1=1 src2=0
	v_add_nc_u32_e32 v102, v167 /*v423*/, v49 /*v305*/
	s_set_vgpr_msb 64                       ;  msbs: dst=1 src0=0 src1=0 src2=0
	v_add3_u32 v122 /*v378*/, v199, v77, v73
	s_set_vgpr_msb 0                        ;  msbs: dst=0 src0=0 src1=0 src2=0
	v_mul_i32_i24_e32 v77, v175, v244
	s_set_vgpr_msb 5                        ;  msbs: dst=0 src0=1 src1=1 src2=0
	v_mul_i32_i24_e32 v114, v164 /*v420*/, v37 /*v293*/
	s_set_vgpr_msb 0                        ;  msbs: dst=0 src0=0 src1=0 src2=0
	v_mad_i32_i24 v190, v233, v190, v100
	v_mul_i32_i24_e32 v100, v96, v110
	s_set_vgpr_msb 0x50                     ;  msbs: dst=1 src0=0 src1=0 src2=1
	v_add3_u32 v194 /*v450*/, v102, v64, v87 /*v343*/
	s_set_vgpr_msb 5                        ;  msbs: dst=0 src0=1 src1=1 src2=0
	v_mul_i32_i24_e32 v102, v169 /*v425*/, v35 /*v291*/
	s_set_vgpr_msb 0                        ;  msbs: dst=0 src0=0 src1=0 src2=0
	v_mul_i32_i24_e32 v233, v175, v188
	s_set_vgpr_msb 4                        ;  msbs: dst=0 src0=0 src1=1 src2=0
	v_mul_i32_i24_e32 v142, v121, v37 /*v293*/
	s_set_vgpr_msb 1                        ;  msbs: dst=0 src0=1 src1=0 src2=0
	v_mad_i32_i24 v124, v182 /*v438*/, v149, v100
	s_set_vgpr_msb 4                        ;  msbs: dst=0 src0=0 src1=1 src2=0
	v_mul_i32_i24_e32 v100, v71, v104 /*v360*/
	s_set_vgpr_msb 5                        ;  msbs: dst=0 src0=1 src1=1 src2=0
	v_mul_i32_i24_e32 v85, v194 /*v450*/, v104 /*v360*/
	s_set_vgpr_msb 4                        ;  msbs: dst=0 src0=0 src1=1 src2=0
	v_mul_i32_i24_e32 v107, v191, v42 /*v298*/
	s_set_vgpr_msb 5                        ;  msbs: dst=0 src0=1 src1=1 src2=0
	v_mul_i32_i24_e32 v130, v151 /*v407*/, v42 /*v298*/
	s_set_vgpr_msb 4                        ;  msbs: dst=0 src0=0 src1=1 src2=0
	v_mul_i32_i24_e32 v196, v141, v16 /*v272*/
	s_set_vgpr_msb 0x41                     ;  msbs: dst=1 src0=1 src1=0 src2=0
	v_add3_u32 v191 /*v447*/, v242 /*v498*/, v69, v100
	s_set_vgpr_msb 0                        ;  msbs: dst=0 src0=0 src1=0 src2=0
	v_mul_i32_i24_e32 v100, v96, v104
	s_set_vgpr_msb 4                        ;  msbs: dst=0 src0=0 src1=1 src2=0
	v_mul_i32_i24_e32 v69, v71, v95 /*v351*/
	v_mul_i32_i24_e32 v71, v71, v102 /*v358*/
	s_set_vgpr_msb 64                       ;  msbs: dst=1 src0=0 src1=0 src2=0
	v_mul_i32_i24_e32 v242 /*v498*/, v175, v49
	s_set_vgpr_msb 5                        ;  msbs: dst=0 src0=1 src1=1 src2=0
	v_mul_i32_i24_e32 v198, v170 /*v426*/, v39 /*v295*/
	s_set_vgpr_msb 64                       ;  msbs: dst=1 src0=0 src1=0 src2=0
	v_add3_u32 v195 /*v451*/, v84, v100, v85
	s_set_vgpr_msb 0                        ;  msbs: dst=0 src0=0 src1=0 src2=0
	v_mul_i32_i24_e32 v85, v75, v215
	s_set_vgpr_msb 5                        ;  msbs: dst=0 src0=1 src1=1 src2=0
	v_mul_i32_i24_e32 v84, v194 /*v450*/, v95 /*v351*/
	s_set_vgpr_msb 4                        ;  msbs: dst=0 src0=0 src1=1 src2=0
	v_mul_i32_i24_e32 v75, v75, v132 /*v388*/
	v_mul_i32_i24_e32 v100, v17, v22 /*v278*/
	s_set_vgpr_msb 5                        ;  msbs: dst=0 src0=1 src1=1 src2=0
	v_mul_i32_i24_e32 v105, v177 /*v433*/, v9 /*v265*/
	s_set_vgpr_msb 0x41                     ;  msbs: dst=1 src0=1 src1=0 src2=0
	v_add3_u32 v176 /*v432*/, v219 /*v475*/, v85, v69
	s_set_vgpr_msb 0                        ;  msbs: dst=0 src0=0 src1=0 src2=0
	v_mul_i32_i24_e32 v69, v96, v215
	s_set_vgpr_msb 4                        ;  msbs: dst=0 src0=0 src1=1 src2=0
	v_mul_i32_i24_e32 v85, v96, v132 /*v388*/
	s_set_vgpr_msb 5                        ;  msbs: dst=0 src0=1 src1=1 src2=0
	v_mul_i32_i24_e32 v96, v194 /*v450*/, v102 /*v358*/
	s_set_vgpr_msb 64                       ;  msbs: dst=1 src0=0 src1=0 src2=0
	v_mul_i32_i24_e32 v219 /*v475*/, v175, v48
	s_set_vgpr_msb 0                        ;  msbs: dst=0 src0=0 src1=0 src2=0
	v_mul_i32_i24_e32 v199, v176, v236
	s_set_vgpr_msb 0x41                     ;  msbs: dst=1 src0=1 src1=0 src2=0
	v_add3_u32 v193 /*v449*/, v171 /*v427*/, v69, v84
	s_set_vgpr_msb 64                       ;  msbs: dst=1 src0=0 src1=0 src2=0
	v_add3_u32 v171 /*v427*/, v103, v75, v71
	s_set_vgpr_msb 0x41                     ;  msbs: dst=1 src0=1 src1=0 src2=0
	v_add3_u32 v178 /*v434*/, v175 /*v431*/, v85, v96
	s_set_vgpr_msb 5                        ;  msbs: dst=0 src0=1 src1=1 src2=0
	v_mul_i32_i24_e32 v96, v31 /*v287*/, v47 /*v303*/
	v_mul_i32_i24_e32 v103, v165 /*v421*/, v26 /*v282*/
	s_set_vgpr_msb 4                        ;  msbs: dst=0 src0=0 src1=1 src2=0
	v_mul_i32_i24_e32 v84, v116, v35 /*v291*/
	s_set_vgpr_msb 5                        ;  msbs: dst=0 src0=1 src1=1 src2=0
	v_mul_i32_i24_e32 v75, v31 /*v287*/, v46 /*v302*/
	s_set_vgpr_msb 4                        ;  msbs: dst=0 src0=0 src1=1 src2=0
	v_mul_i32_i24_e32 v69, v135, v35 /*v291*/
	s_set_vgpr_msb 0x41                     ;  msbs: dst=1 src0=1 src1=0 src2=0
	v_add3_u32 v181 /*v437*/, v247 /*v503*/, v96, v102
	s_set_vgpr_msb 4                        ;  msbs: dst=0 src0=0 src1=1 src2=0
	v_mul_i32_i24_e32 v96, v24, v22 /*v278*/
	v_mul_i32_i24_e32 v102, v116, v23 /*v279*/
	s_set_vgpr_msb 5                        ;  msbs: dst=0 src0=1 src1=1 src2=0
	v_mul_i32_i24_e32 v85, v170 /*v426*/, v30 /*v286*/
	s_set_vgpr_msb 64                       ;  msbs: dst=1 src0=0 src1=0 src2=0
	v_add3_u32 v173 /*v429*/, v209, v75, v84
	s_set_vgpr_msb 5                        ;  msbs: dst=0 src0=1 src1=1 src2=0
	v_mul_i32_i24_e32 v75, v172 /*v428*/, v32 /*v288*/
	v_mul_i32_i24_e32 v84, v31 /*v287*/, v45 /*v301*/
	s_set_vgpr_msb 0x41                     ;  msbs: dst=1 src0=1 src1=0 src2=0
	v_add3_u32 v179 /*v435*/, v249 /*v505*/, v96, v102
	s_set_vgpr_msb 4                        ;  msbs: dst=0 src0=0 src1=1 src2=0
	v_mul_i32_i24_e32 v102, v135, v23 /*v279*/
	s_set_vgpr_msb 0                        ;  msbs: dst=0 src0=0 src1=0 src2=0
	v_mul_i32_i24_e32 v71, v175, v58
	s_set_vgpr_msb 0x41                     ;  msbs: dst=1 src0=1 src1=0 src2=0
	v_add3_u32 v45 /*v301*/, v255 /*v511*/, v75, v85
	s_set_vgpr_msb 5                        ;  msbs: dst=0 src0=1 src1=1 src2=0
	v_mul_i32_i24_e32 v85, v166 /*v422*/, v30 /*v286*/
	s_set_vgpr_msb 64                       ;  msbs: dst=1 src0=0 src1=0 src2=0
	v_add3_u32 v136 /*v392*/, v210, v84, v69
	s_set_vgpr_msb 0x41                     ;  msbs: dst=1 src0=1 src1=0 src2=0
	v_add3_u32 v183 /*v439*/, v216 /*v472*/, v100, v102
	s_set_vgpr_msb 5                        ;  msbs: dst=0 src0=1 src1=1 src2=0
	v_mul_i32_i24_e32 v100, v166 /*v422*/, v27 /*v283*/
	v_mul_i32_i24_e32 v102, v169 /*v425*/, v23 /*v279*/
	;; [unrolled: 1-line block ×3, first 2 shown]
	s_set_vgpr_msb 0                        ;  msbs: dst=0 src0=0 src1=0 src2=0
	v_mul_i32_i24_e32 v75, v175, v181
	s_set_vgpr_msb 4                        ;  msbs: dst=0 src0=0 src1=1 src2=0
	v_mul_i32_i24_e32 v175, v135, v29 /*v285*/
	s_set_vgpr_msb 64                       ;  msbs: dst=1 src0=0 src1=0 src2=0
	v_add3_u32 v187 /*v443*/, v228, v103, v100
	s_set_vgpr_msb 4                        ;  msbs: dst=0 src0=0 src1=1 src2=0
	v_mul_i32_i24_e32 v100, v177, v22 /*v278*/
	s_set_vgpr_msb 5                        ;  msbs: dst=0 src0=1 src1=1 src2=0
	v_mul_i32_i24_e32 v103, v139 /*v395*/, v26 /*v282*/
	s_set_vgpr_msb 0x41                     ;  msbs: dst=1 src0=1 src1=0 src2=0
	v_add3_u32 v31 /*v287*/, v253 /*v509*/, v84, v85
	s_set_vgpr_msb 5                        ;  msbs: dst=0 src0=1 src1=1 src2=0
	v_mul_i32_i24_e32 v84, v139 /*v395*/, v32 /*v288*/
	s_set_vgpr_msb 4                        ;  msbs: dst=0 src0=0 src1=1 src2=0
	v_mul_i32_i24_e32 v85, v141, v30 /*v286*/
	s_set_vgpr_msb 0x41                     ;  msbs: dst=1 src0=1 src1=0 src2=0
	v_add3_u32 v190 /*v446*/, v243 /*v499*/, v100, v102
	s_set_vgpr_msb 4                        ;  msbs: dst=0 src0=0 src1=1 src2=0
	v_mul_i32_i24_e32 v100, v24, v17 /*v273*/
	v_mul_i32_i24_e32 v102, v116, v18 /*v274*/
	s_set_vgpr_msb 0x41                     ;  msbs: dst=1 src0=1 src1=0 src2=0
	v_add3_u32 v135 /*v391*/, v244 /*v500*/, v103, v128
	s_set_vgpr_msb 4                        ;  msbs: dst=0 src0=0 src1=1 src2=0
	v_mul_i32_i24_e32 v103, v17, v17 /*v273*/
	v_mul_i32_i24_e32 v128, v24, v20 /*v276*/
	s_set_vgpr_msb 0x41                     ;  msbs: dst=1 src0=1 src1=0 src2=0
	v_add3_u32 v30 /*v286*/, v248 /*v504*/, v84, v85
	v_add3_u32 v132 /*v388*/, v245 /*v501*/, v100, v102
	s_set_vgpr_msb 4                        ;  msbs: dst=0 src0=0 src1=1 src2=0
	v_mul_i32_i24_e32 v102, v135, v18 /*v274*/
	s_set_vgpr_msb 5                        ;  msbs: dst=0 src0=1 src1=1 src2=0
	v_mul_i32_i24_e32 v84, v172 /*v428*/, v26 /*v282*/
	v_mul_i32_i24_e32 v85, v170 /*v426*/, v27 /*v283*/
	s_set_vgpr_msb 4                        ;  msbs: dst=0 src0=0 src1=1 src2=0
	v_mul_i32_i24_e32 v209, v141, v12 /*v268*/
	s_set_vgpr_msb 5                        ;  msbs: dst=0 src0=1 src1=1 src2=0
	v_mul_i32_i24_e32 v210, v139 /*v395*/, v14 /*v270*/
	s_set_vgpr_msb 64                       ;  msbs: dst=1 src0=0 src1=0 src2=0
	v_add3_u32 v175 /*v431*/, v203, v103, v102
	s_set_vgpr_msb 4                        ;  msbs: dst=0 src0=0 src1=1 src2=0
	v_mul_i32_i24_e32 v102, v177, v17 /*v273*/
	s_set_vgpr_msb 5                        ;  msbs: dst=0 src0=1 src1=1 src2=0
	v_mul_i32_i24_e32 v103, v169 /*v425*/, v18 /*v274*/
	s_set_vgpr_msb 0x41                     ;  msbs: dst=1 src0=1 src1=0 src2=0
	v_add3_u32 v185 /*v441*/, v142 /*v398*/, v84, v85
	s_set_vgpr_msb 5                        ;  msbs: dst=0 src0=1 src1=1 src2=0
	v_mul_i32_i24_e32 v85, v160 /*v416*/, v40 /*v296*/
	s_set_vgpr_msb 4                        ;  msbs: dst=0 src0=0 src1=1 src2=0
	v_mul_i32_i24_e32 v84, v125, v42 /*v298*/
	s_set_vgpr_msb 5                        ;  msbs: dst=0 src0=1 src1=1 src2=0
	v_mul_i32_i24_e32 v203, v172 /*v428*/, v19 /*v275*/
	s_set_vgpr_msb 64                       ;  msbs: dst=1 src0=0 src1=0 src2=0
	v_add3_u32 v174 /*v430*/, v229, v102, v103
	s_set_vgpr_msb 4                        ;  msbs: dst=0 src0=0 src1=1 src2=0
	v_mul_i32_i24_e32 v102, v116, v21 /*v277*/
	v_mul_i32_i24_e32 v103, v135, v21 /*v277*/
	s_set_vgpr_msb 64                       ;  msbs: dst=1 src0=0 src1=0 src2=0
	v_mul_i32_i24_e32 v48 /*v304*/, v176, v180
	s_set_vgpr_msb 1                        ;  msbs: dst=0 src0=1 src1=0 src2=0
	v_mul_i32_i24_e32 v208, v169 /*v425*/, v13
	s_set_vgpr_msb 0x41                     ;  msbs: dst=1 src0=1 src1=0 src2=0
	v_add3_u32 v180 /*v436*/, v208 /*v464*/, v210, v209
	s_set_vgpr_msb 64                       ;  msbs: dst=1 src0=0 src1=0 src2=0
	v_add3_u32 v167 /*v423*/, v231, v128, v102
	s_set_vgpr_msb 4                        ;  msbs: dst=0 src0=0 src1=1 src2=0
	v_mul_i32_i24_e32 v102, v17, v20 /*v276*/
	v_mul_i32_i24_e32 v128, v177, v20 /*v276*/
	s_set_vgpr_msb 5                        ;  msbs: dst=0 src0=1 src1=1 src2=0
	v_mul_i32_i24_e32 v209, v139 /*v395*/, v19 /*v275*/
	s_set_vgpr_msb 1                        ;  msbs: dst=0 src0=1 src1=0 src2=0
	v_mul_i32_i24_e32 v232, v177 /*v433*/, v184
	s_set_vgpr_msb 0x41                     ;  msbs: dst=1 src0=1 src1=0 src2=0
	v_mul_i32_i24_e32 v201 /*v457*/, v177 /*v433*/, v60
	s_set_vgpr_msb 64                       ;  msbs: dst=1 src0=0 src1=0 src2=0
	v_add3_u32 v168 /*v424*/, v204, v102, v103
	s_set_vgpr_msb 5                        ;  msbs: dst=0 src0=1 src1=1 src2=0
	v_mul_i32_i24_e32 v102, v172 /*v428*/, v24 /*v280*/
	v_mul_i32_i24_e32 v103, v170 /*v426*/, v25 /*v281*/
	s_set_vgpr_msb 64                       ;  msbs: dst=1 src0=0 src1=0 src2=0
	v_add3_u32 v142 /*v398*/, v206, v128, v131
	s_set_vgpr_msb 5                        ;  msbs: dst=0 src0=1 src1=1 src2=0
	v_mul_i32_i24_e32 v128, v139 /*v395*/, v24 /*v280*/
	s_set_vgpr_msb 4                        ;  msbs: dst=0 src0=0 src1=1 src2=0
	v_mul_i32_i24_e32 v131, v141, v25 /*v281*/
	s_set_vgpr_msb 0x41                     ;  msbs: dst=1 src0=1 src1=0 src2=0
	v_mul_i32_i24_e32 v200 /*v456*/, v177 /*v433*/, v182
	s_set_vgpr_msb 1                        ;  msbs: dst=0 src0=1 src1=0 src2=0
	v_add3_u32 v229, v236 /*v492*/, v102, v103
	s_set_vgpr_msb 5                        ;  msbs: dst=0 src0=1 src1=1 src2=0
	v_mul_i32_i24_e32 v102, v165 /*v421*/, v24 /*v280*/
	v_mul_i32_i24_e32 v103, v166 /*v422*/, v25 /*v281*/
	s_set_vgpr_msb 1                        ;  msbs: dst=0 src0=1 src1=0 src2=0
	v_add3_u32 v206, v233 /*v489*/, v128, v131
	s_set_vgpr_msb 5                        ;  msbs: dst=0 src0=1 src1=1 src2=0
	v_mul_i32_i24_e32 v128, v172 /*v428*/, v33 /*v289*/
	v_mul_i32_i24_e32 v131, v170 /*v426*/, v34 /*v290*/
	s_set_vgpr_msb 0x41                     ;  msbs: dst=1 src0=1 src1=0 src2=0
	v_mul_i32_i24_e32 v199 /*v455*/, v177 /*v433*/, v174
	s_set_vgpr_msb 1                        ;  msbs: dst=0 src0=1 src1=0 src2=0
	v_add3_u32 v228, v235 /*v491*/, v102, v103
	s_set_vgpr_msb 4                        ;  msbs: dst=0 src0=0 src1=1 src2=0
	v_mul_i32_i24_e32 v102, v24, v28 /*v284*/
	v_mul_i32_i24_e32 v103, v116, v29 /*v285*/
	;; [unrolled: 1-line block ×3, first 2 shown]
	s_set_vgpr_msb 0                        ;  msbs: dst=0 src0=0 src1=0 src2=0
	v_mul_i32_i24_e32 v215, v176, v61
	v_mul_i32_i24_e32 v69, v176, v47
	s_set_vgpr_msb 0x44                     ;  msbs: dst=1 src0=0 src1=1 src2=0
	v_lshrrev_b32_e32 v35 /*v291*/, 24, v213 /*v469*/
	s_set_vgpr_msb 1                        ;  msbs: dst=0 src0=1 src1=0 src2=0
	v_add3_u32 v204, v232 /*v488*/, v102, v103
	s_set_vgpr_msb 4                        ;  msbs: dst=0 src0=0 src1=1 src2=0
	v_mul_i32_i24_e32 v103, v17, v28 /*v284*/
	s_set_vgpr_msb 1                        ;  msbs: dst=0 src0=1 src1=0 src2=0
	v_add3_u32 v102, v234 /*v490*/, v128, v131
	s_set_vgpr_msb 5                        ;  msbs: dst=0 src0=1 src1=1 src2=0
	v_mul_i32_i24_e32 v128, v165 /*v421*/, v33 /*v289*/
	v_mul_i32_i24_e32 v131, v166 /*v422*/, v34 /*v290*/
	s_set_vgpr_msb 0x44                     ;  msbs: dst=1 src0=0 src1=1 src2=0
	v_add3_u32 v48 /*v304*/, v224, v48 /*v304*/, v75
	s_set_vgpr_msb 1                        ;  msbs: dst=0 src0=1 src1=0 src2=0
	v_add3_u32 v202, v238 /*v494*/, v103, v175
	s_set_vgpr_msb 4                        ;  msbs: dst=0 src0=0 src1=1 src2=0
	v_mul_i32_i24_e32 v103, v177, v28 /*v284*/
	s_set_vgpr_msb 5                        ;  msbs: dst=0 src0=1 src1=1 src2=0
	v_add3_u32 v75, v127 /*v383*/, v9 /*v265*/, v42
	s_set_vgpr_msb 0x41                     ;  msbs: dst=1 src0=1 src1=0 src2=0
	v_add3_u32 v46 /*v302*/, v239 /*v495*/, v128, v131
	s_set_vgpr_msb 5                        ;  msbs: dst=0 src0=1 src1=1 src2=0
	v_mul_i32_i24_e32 v128, v169 /*v425*/, v29 /*v285*/
	v_mul_i32_i24_e32 v131, v139 /*v395*/, v33 /*v289*/
	s_set_vgpr_msb 0x44                     ;  msbs: dst=1 src0=0 src1=1 src2=0
	v_lshrrev_b32_e32 v127 /*v383*/, 24, v189 /*v445*/
	s_set_vgpr_msb 0x41                     ;  msbs: dst=1 src0=1 src1=0 src2=0
	v_add3_u32 v47 /*v303*/, v203 /*v459*/, v212, v218
	s_set_vgpr_msb 5                        ;  msbs: dst=0 src0=1 src1=1 src2=0
	v_mul_i32_i24_e32 v218, v146 /*v402*/, v0 /*v256*/
	s_set_vgpr_msb 1                        ;  msbs: dst=0 src0=1 src1=0 src2=0
	v_add3_u32 v201, v225 /*v481*/, v103, v128
	s_set_vgpr_msb 0                        ;  msbs: dst=0 src0=0 src1=0 src2=0
	v_mul_i32_i24_e32 v103, v24, v22
	v_mul_i32_i24_e32 v128, v116, v21
	s_set_vgpr_msb 1                        ;  msbs: dst=0 src0=1 src1=0 src2=0
	v_add3_u32 v200, v226 /*v482*/, v131, v194
	s_set_vgpr_msb 0                        ;  msbs: dst=0 src0=0 src1=0 src2=0
	v_mul_i32_i24_e32 v131, v17, v22
	v_mul_i32_i24_e32 v194, v135, v21
	;; [unrolled: 1-line block ×3, first 2 shown]
	s_set_vgpr_msb 0x41                     ;  msbs: dst=1 src0=1 src1=0 src2=0
	v_add3_u32 v43 /*v299*/, v227 /*v483*/, v103, v128
	s_set_vgpr_msb 5                        ;  msbs: dst=0 src0=1 src1=1 src2=0
	v_mul_i32_i24_e32 v103, v172 /*v428*/, v15 /*v271*/
	v_mul_i32_i24_e32 v128, v170 /*v426*/, v16 /*v272*/
	s_set_vgpr_msb 1                        ;  msbs: dst=0 src0=1 src1=0 src2=0
	v_mul_i32_i24_e32 v21, v169 /*v425*/, v21
	s_set_vgpr_msb 0x41                     ;  msbs: dst=1 src0=1 src1=0 src2=0
	v_add3_u32 v42 /*v298*/, v228 /*v484*/, v131, v194
	s_set_vgpr_msb 5                        ;  msbs: dst=0 src0=1 src1=1 src2=0
	v_mul_i32_i24_e32 v131, v139 /*v395*/, v15 /*v271*/
	v_add3_u32 v230, v202 /*v458*/, v131 /*v387*/, v230
	s_set_vgpr_msb 0x41                     ;  msbs: dst=1 src0=1 src1=0 src2=0
	v_add3_u32 v40 /*v296*/, v229 /*v485*/, v103, v128
	s_set_vgpr_msb 5                        ;  msbs: dst=0 src0=1 src1=1 src2=0
	v_mul_i32_i24_e32 v103, v165 /*v421*/, v15 /*v271*/
	v_mul_i32_i24_e32 v128, v166 /*v422*/, v16 /*v272*/
	s_set_vgpr_msb 0x41                     ;  msbs: dst=1 src0=1 src1=0 src2=0
	v_add3_u32 v26 /*v282*/, v220 /*v476*/, v22, v21
	s_set_vgpr_msb 4                        ;  msbs: dst=0 src0=0 src1=1 src2=0
	v_mul_i32_i24_e32 v21, v24, v13 /*v269*/
	s_set_vgpr_msb 0                        ;  msbs: dst=0 src0=0 src1=0 src2=0
	v_mul_i32_i24_e32 v22, v116, v13
	s_set_vgpr_msb 4                        ;  msbs: dst=0 src0=0 src1=1 src2=0
	v_mul_i32_i24_e32 v24, v24, v41 /*v297*/
	s_set_vgpr_msb 0x41                     ;  msbs: dst=1 src0=1 src1=0 src2=0
	v_add3_u32 v37 /*v293*/, v223 /*v479*/, v103, v128
	s_set_vgpr_msb 5                        ;  msbs: dst=0 src0=1 src1=1 src2=0
	v_mul_i32_i24_e32 v103, v165 /*v421*/, v38 /*v294*/
	v_mul_i32_i24_e32 v128, v166 /*v422*/, v39 /*v295*/
	s_set_vgpr_msb 0x41                     ;  msbs: dst=1 src0=1 src1=0 src2=0
	v_add3_u32 v28 /*v284*/, v217 /*v473*/, v21, v22
	s_set_vgpr_msb 5                        ;  msbs: dst=0 src0=1 src1=1 src2=0
	v_mul_i32_i24_e32 v21, v170 /*v426*/, v12 /*v268*/
	v_mul_i32_i24_e32 v22, v172 /*v428*/, v14 /*v270*/
	s_set_vgpr_msb 0x41                     ;  msbs: dst=1 src0=1 src1=0 src2=0
	v_add3_u32 v23 /*v279*/, v224 /*v480*/, v131, v196
	v_add3_u32 v24 /*v280*/, v221 /*v477*/, v103, v128
	s_set_vgpr_msb 5                        ;  msbs: dst=0 src0=1 src1=1 src2=0
	v_mul_i32_i24_e32 v103, v139 /*v395*/, v38 /*v294*/
	s_set_vgpr_msb 4                        ;  msbs: dst=0 src0=0 src1=1 src2=0
	v_mul_i32_i24_e32 v128, v141, v39 /*v295*/
	s_set_vgpr_msb 5                        ;  msbs: dst=0 src0=1 src1=1 src2=0
	v_mul_i32_i24_e32 v131, v172 /*v428*/, v38 /*v294*/
	s_set_vgpr_msb 0x41                     ;  msbs: dst=1 src0=1 src1=0 src2=0
	v_add3_u32 v29 /*v285*/, v240 /*v496*/, v22, v21
	s_set_vgpr_msb 0                        ;  msbs: dst=0 src0=0 src1=0 src2=0
	v_mul_i32_i24_e32 v21, v135, v137
	s_set_vgpr_msb 4                        ;  msbs: dst=0 src0=0 src1=1 src2=0
	v_mul_i32_i24_e32 v22, v17, v41 /*v297*/
	s_set_vgpr_msb 0x41                     ;  msbs: dst=1 src0=1 src1=0 src2=0
	v_add3_u32 v27 /*v283*/, v218 /*v474*/, v103, v128
	s_set_vgpr_msb 0                        ;  msbs: dst=0 src0=0 src1=0 src2=0
	v_mul_i32_i24_e32 v103, v116, v137
	s_set_vgpr_msb 0x41                     ;  msbs: dst=1 src0=1 src1=0 src2=0
	v_add3_u32 v25 /*v281*/, v222 /*v478*/, v131, v198
	s_set_vgpr_msb 0                        ;  msbs: dst=0 src0=0 src1=0 src2=0
	v_and_b32_e32 v131, 0xffff, v179
	s_set_vgpr_msb 0x41                     ;  msbs: dst=1 src0=1 src1=0 src2=0
	v_add3_u32 v33 /*v289*/, v246 /*v502*/, v22, v21
	s_set_vgpr_msb 4                        ;  msbs: dst=0 src0=0 src1=1 src2=0
	v_mul_i32_i24_e32 v21, v177, v41 /*v297*/
	s_set_vgpr_msb 0x41                     ;  msbs: dst=1 src0=1 src1=0 src2=0
	v_add3_u32 v32 /*v288*/, v241 /*v497*/, v24, v103
	s_set_vgpr_msb 1                        ;  msbs: dst=0 src0=1 src1=0 src2=0
	v_mul_i32_i24_e32 v103, v170 /*v426*/, v64
	s_set_vgpr_msb 0                        ;  msbs: dst=0 src0=0 src1=0 src2=0
	v_mul_i32_i24_e32 v22, v135, v13
	s_set_vgpr_msb 1                        ;  msbs: dst=0 src0=1 src1=0 src2=0
	v_mul_i32_i24_e32 v13, v169 /*v425*/, v137
	s_set_vgpr_msb 4                        ;  msbs: dst=0 src0=0 src1=1 src2=0
	v_mul_i32_i24_e32 v177, v177, v13 /*v269*/
	s_set_vgpr_msb 5                        ;  msbs: dst=0 src0=1 src1=1 src2=0
	v_mul_i32_i24_e32 v137, v166 /*v422*/, v12 /*v268*/
	v_mul_i32_i24_e32 v179, v165 /*v421*/, v14 /*v270*/
	s_set_vgpr_msb 0x41                     ;  msbs: dst=1 src0=1 src1=0 src2=0
	v_add3_u32 v182 /*v438*/, v210 /*v466*/, v203, v103
	s_set_vgpr_msb 0                        ;  msbs: dst=0 src0=0 src1=0 src2=0
	v_mul_i32_i24_e32 v103, v141, v64
	s_set_vgpr_msb 0x41                     ;  msbs: dst=1 src0=1 src1=0 src2=0
	v_add3_u32 v177 /*v433*/, v215 /*v471*/, v177, v208
	v_bfe_i32 v215 /*v471*/, v213 /*v469*/, 16, 8
	v_add3_u32 v172 /*v428*/, v214 /*v470*/, v179, v137
	v_add3_u32 v214 /*v470*/, v254 /*v510*/, v178, v27
	;; [unrolled: 1-line block ×3, first 2 shown]
	s_set_vgpr_msb 0                        ;  msbs: dst=0 src0=0 src1=0 src2=0
	v_add3_u32 v103, v219, v105, v207
	v_add3_u32 v207, v220, v199, v233
	s_set_vgpr_msb 1                        ;  msbs: dst=0 src0=1 src1=0 src2=0
	v_bfe_i32 v220, v189 /*v445*/, 16, 8
	s_set_vgpr_msb 0x44                     ;  msbs: dst=1 src0=0 src1=1 src2=0
	v_add3_u32 v139 /*v395*/, v68, v250 /*v506*/, v225
	s_set_vgpr_msb 1                        ;  msbs: dst=0 src0=1 src1=0 src2=0
	v_add3_u32 v68, v198 /*v454*/, v62, v25
	s_set_vgpr_msb 4                        ;  msbs: dst=0 src0=0 src1=1 src2=0
	v_and_b32_e32 v116, 0xffff, v149 /*v405*/
	s_set_vgpr_msb 0x44                     ;  msbs: dst=1 src0=0 src1=1 src2=0
	v_mul_i32_i24_e32 v208 /*v464*/, v221, v215 /*v471*/
	s_set_vgpr_msb 0x45                     ;  msbs: dst=1 src0=1 src1=1 src2=0
	v_mul_i32_i24_e32 v213 /*v469*/, v214 /*v470*/, v35 /*v291*/
	s_set_vgpr_msb 0                        ;  msbs: dst=0 src0=0 src1=0 src2=0
	v_add3_u32 v231, v217, v215, v71
	s_set_vgpr_msb 4                        ;  msbs: dst=0 src0=0 src1=1 src2=0
	v_mul_i32_i24_e32 v217, v113, v0 /*v256*/
	s_set_vgpr_msb 0x54                     ;  msbs: dst=1 src0=0 src1=1 src2=1
	v_add3_u32 v49 /*v305*/, v213, v200 /*v456*/, v231 /*v487*/
	s_set_vgpr_msb 0                        ;  msbs: dst=0 src0=0 src1=0 src2=0
	v_mul_i32_i24_e32 v213, v222, v220
	s_set_vgpr_msb 0x50                     ;  msbs: dst=1 src0=0 src1=0 src2=1
	v_add3_u32 v131 /*v387*/, v226, v69, v219 /*v475*/
	s_set_vgpr_msb 5                        ;  msbs: dst=0 src0=1 src1=1 src2=0
	v_mul_i32_i24_e32 v69, v134 /*v390*/, v0 /*v256*/
	s_set_vgpr_msb 64                       ;  msbs: dst=1 src0=0 src1=0 src2=0
	v_add3_u32 v149 /*v405*/, v65, v66, v67
	s_set_vgpr_msb 4                        ;  msbs: dst=0 src0=0 src1=1 src2=0
	v_mul_i32_i24_e32 v65, v68, v127 /*v383*/
	s_set_vgpr_msb 5                        ;  msbs: dst=0 src0=1 src1=1 src2=0
	v_add3_u32 v66, v114 /*v370*/, v0 /*v256*/, v45
	s_set_vgpr_msb 0                        ;  msbs: dst=0 src0=0 src1=0 src2=0
	v_bfe_i32 v67, v74, 16, 8
	s_set_vgpr_msb 64                       ;  msbs: dst=1 src0=0 src1=0 src2=0
	v_lshrrev_b32_e32 v0 /*v256*/, 24, v74
	s_set_vgpr_msb 5                        ;  msbs: dst=0 src0=1 src1=1 src2=0
	v_mul_i32_i24_e32 v203, v165 /*v421*/, v19 /*v275*/
	s_set_vgpr_msb 64                       ;  msbs: dst=1 src0=0 src1=0 src2=0
	v_add3_u32 v114 /*v370*/, v211, v213, v65
	s_set_vgpr_msb 0x54                     ;  msbs: dst=1 src0=0 src1=1 src2=1
	v_add3_u32 v165 /*v421*/, v72, v208 /*v464*/, v213 /*v469*/
	s_set_vgpr_msb 0                        ;  msbs: dst=0 src0=0 src1=0 src2=0
	v_mul_i32_i24_e32 v65, v75, v67
	s_set_vgpr_msb 4                        ;  msbs: dst=0 src0=0 src1=1 src2=0
	v_mul_i32_i24_e32 v74, v66, v0 /*v256*/
	s_set_vgpr_msb 0                        ;  msbs: dst=0 src0=0 src1=0 src2=0
	v_mul_i32_i24_e32 v72, v221, v67
	s_set_vgpr_msb 5                        ;  msbs: dst=0 src0=1 src1=1 src2=0
	v_mul_i32_i24_e32 v211, v214 /*v470*/, v0 /*v256*/
	v_and_b32_e32 v135, 0xffff, v145 /*v401*/
	s_set_vgpr_msb 1                        ;  msbs: dst=0 src0=1 src1=0 src2=0
	v_mul_i32_i24_e32 v64, v166 /*v422*/, v64
	s_set_vgpr_msb 0                        ;  msbs: dst=0 src0=0 src1=0 src2=0
	v_mul_i32_i24_e32 v208, v109, v240
	v_mul_i32_i24_e32 v209, v111, v240
	s_set_vgpr_msb 1                        ;  msbs: dst=0 src0=1 src1=0 src2=0
	v_mul_i32_i24_e32 v210, v133 /*v389*/, v240
	s_set_vgpr_msb 0x54                     ;  msbs: dst=1 src0=0 src1=1 src2=1
	v_add3_u32 v145 /*v401*/, v227, v199 /*v455*/, v230 /*v486*/
	s_set_vgpr_msb 1                        ;  msbs: dst=0 src0=1 src1=0 src2=0
	v_mul_i32_i24_e32 v227, v237 /*v493*/, v244
	v_mul_i32_i24_e32 v225, v138 /*v394*/, v244
	s_set_vgpr_msb 64                       ;  msbs: dst=1 src0=0 src1=0 src2=0
	v_add3_u32 v166 /*v422*/, v216, v65, v74
	s_set_vgpr_msb 0                        ;  msbs: dst=0 src0=0 src1=0 src2=0
	v_add3_u32 v72, v205, v72, v211
	s_set_vgpr_msb 4                        ;  msbs: dst=0 src0=0 src1=1 src2=0
	v_mul_i32_i24_e32 v205, v66, v127 /*v383*/
	s_set_vgpr_msb 0                        ;  msbs: dst=0 src0=0 src1=0 src2=0
	v_mul_i32_i24_e32 v213, v75, v220
	s_set_vgpr_msb 1                        ;  msbs: dst=0 src0=1 src1=0 src2=0
	v_mul_i32_i24_e32 v216, v137 /*v393*/, v244
	v_add3_u32 v244, v99 /*v355*/, v186, v55
	s_set_vgpr_msb 0                        ;  msbs: dst=0 src0=0 src1=0 src2=0
	v_add3_u32 v240, v101, v240, v54
	s_set_vgpr_msb 0x45                     ;  msbs: dst=1 src0=1 src1=1 src2=0
	v_mul_i32_i24_e32 v95 /*v351*/, v124 /*v380*/, v95 /*v351*/
	s_set_vgpr_msb 0x44                     ;  msbs: dst=1 src0=0 src1=1 src2=0
	v_mul_i32_i24_e32 v124 /*v380*/, v66, v196 /*v452*/
	s_set_vgpr_msb 4                        ;  msbs: dst=0 src0=0 src1=1 src2=0
	v_mul_i32_i24_e32 v66, v66, v35 /*v291*/
	s_set_vgpr_msb 0x45                     ;  msbs: dst=1 src0=1 src1=1 src2=0
	v_mul_i32_i24_e32 v102 /*v358*/, v123 /*v379*/, v102 /*v358*/
	v_mul_i32_i24_e32 v104 /*v360*/, v123 /*v379*/, v104 /*v360*/
	s_set_vgpr_msb 0x44                     ;  msbs: dst=1 src0=0 src1=1 src2=0
	v_mul_i32_i24_e32 v123 /*v379*/, v75, v215 /*v471*/
	s_set_vgpr_msb 4                        ;  msbs: dst=0 src0=0 src1=1 src2=0
	v_mul_i32_i24_e32 v214, v176, v1 /*v257*/
	v_mul_i32_i24_e32 v17, v17, v13 /*v269*/
	;; [unrolled: 1-line block ×3, first 2 shown]
	s_set_vgpr_msb 1                        ;  msbs: dst=0 src0=1 src1=0 src2=0
	v_add3_u32 v205, v126 /*v382*/, v213, v205
	s_set_vgpr_msb 0                        ;  msbs: dst=0 src0=0 src1=0 src2=0
	v_mul_i32_i24_e32 v213, v240, v220
	s_set_vgpr_msb 0x41                     ;  msbs: dst=1 src0=1 src1=0 src2=0
	v_add3_u32 v91 /*v347*/, v91 /*v347*/, v184, v43
	s_set_vgpr_msb 4                        ;  msbs: dst=0 src0=0 src1=1 src2=0
	v_add3_u32 v66, v139, v123 /*v379*/, v66
	v_mul_i32_i24_e32 v139, v244, v35 /*v291*/
	s_set_vgpr_msb 0x44                     ;  msbs: dst=1 src0=0 src1=1 src2=0
	v_mul_i32_i24_e32 v123 /*v379*/, v240, v215 /*v471*/
	s_set_vgpr_msb 0x41                     ;  msbs: dst=1 src0=1 src1=0 src2=0
	v_add3_u32 v93 /*v349*/, v93 /*v349*/, v185, v31
	s_set_vgpr_msb 0x45                     ;  msbs: dst=1 src0=1 src1=1 src2=0
	v_mul_i32_i24_e32 v88 /*v344*/, v144 /*v400*/, v156 /*v412*/
	s_set_vgpr_msb 64                       ;  msbs: dst=1 src0=0 src1=0 src2=0
	v_mul_i32_i24_e32 v64 /*v320*/, v172, v237
	v_mul_i32_i24_e32 v66 /*v322*/, v172, v187
	s_set_vgpr_msb 0x44                     ;  msbs: dst=1 src0=0 src1=1 src2=0
	v_mul_i32_i24_e32 v68 /*v324*/, v172, v36 /*v292*/
	v_mul_i32_i24_e32 v80 /*v336*/, v172, v7 /*v263*/
	s_set_vgpr_msb 64                       ;  msbs: dst=1 src0=0 src1=0 src2=0
	v_mul_i32_i24_e32 v82 /*v338*/, v172, v238
	s_set_vgpr_msb 0x44                     ;  msbs: dst=1 src0=0 src1=1 src2=0
	v_mul_i32_i24_e32 v79 /*v335*/, v191, v44 /*v300*/
	s_set_vgpr_msb 0x45                     ;  msbs: dst=1 src0=1 src1=1 src2=0
	v_mul_i32_i24_e32 v85 /*v341*/, v144 /*v400*/, v36 /*v292*/
	s_set_vgpr_msb 0                        ;  msbs: dst=0 src0=0 src1=0 src2=0
	v_mul_i32_i24_e32 v73, v176, v245
	s_set_vgpr_msb 0x45                     ;  msbs: dst=1 src0=1 src1=1 src2=0
	v_mul_i32_i24_e32 v86 /*v342*/, v151 /*v407*/, v44 /*v300*/
	s_set_vgpr_msb 5                        ;  msbs: dst=0 src0=1 src1=1 src2=0
	v_mul_i32_i24_e32 v120, v161 /*v417*/, v36 /*v292*/
	s_set_vgpr_msb 64                       ;  msbs: dst=1 src0=0 src1=0 src2=0
	v_mul_i32_i24_e32 v216 /*v472*/, v176, v51
	s_set_vgpr_msb 4                        ;  msbs: dst=0 src0=0 src1=1 src2=0
	v_mul_i32_i24_e32 v104, v125, v44 /*v300*/
	s_set_vgpr_msb 5                        ;  msbs: dst=0 src0=1 src1=1 src2=0
	v_mul_i32_i24_e32 v126, v160 /*v416*/, v87 /*v343*/
	s_set_vgpr_msb 4                        ;  msbs: dst=0 src0=0 src1=1 src2=0
	v_mul_i32_i24_e32 v140, v123, v156 /*v412*/
	v_mul_i32_i24_e32 v144, v123, v36 /*v292*/
	s_set_vgpr_msb 0                        ;  msbs: dst=0 src0=0 src1=0 src2=0
	v_mul_i32_i24_e32 v146, v125, v255
	s_set_vgpr_msb 1                        ;  msbs: dst=0 src0=1 src1=0 src2=0
	v_mul_i32_i24_e32 v148, v160 /*v416*/, v254
	v_mul_i32_i24_e32 v149, v160 /*v416*/, v251
	s_set_vgpr_msb 0                        ;  msbs: dst=0 src0=0 src1=0 src2=0
	v_mul_i32_i24_e32 v175, v125, v246
	v_mul_i32_i24_e32 v176, v123, v248
	;; [unrolled: 1-line block ×3, first 2 shown]
	s_set_vgpr_msb 1                        ;  msbs: dst=0 src0=1 src1=0 src2=0
	v_mul_i32_i24_e32 v196, v144 /*v400*/, v248
	s_set_vgpr_msb 0x41                     ;  msbs: dst=1 src0=1 src1=0 src2=0
	v_mul_i32_i24_e32 v16 /*v272*/, v144 /*v400*/, v249
	s_set_vgpr_msb 64                       ;  msbs: dst=1 src0=0 src1=0 src2=0
	v_mul_i32_i24_e32 v17 /*v273*/, v191, v246
	s_set_vgpr_msb 0x41                     ;  msbs: dst=1 src0=1 src1=0 src2=0
	v_mul_i32_i24_e32 v20 /*v276*/, v161 /*v417*/, v187
	v_add3_u32 v170 /*v426*/, v211 /*v467*/, v17, v22
	s_set_vgpr_msb 0x45                     ;  msbs: dst=1 src0=1 src1=1 src2=0
	v_mul_i32_i24_e32 v211 /*v467*/, v207 /*v463*/, v4 /*v260*/
	s_set_vgpr_msb 4                        ;  msbs: dst=0 src0=0 src1=1 src2=0
	v_mul_i32_i24_e32 v179, v123, v7 /*v263*/
	s_set_vgpr_msb 0x41                     ;  msbs: dst=1 src0=1 src1=0 src2=0
	v_add3_u32 v184 /*v440*/, v206 /*v462*/, v203, v64
	s_set_vgpr_msb 0x45                     ;  msbs: dst=1 src0=1 src1=1 src2=0
	v_mul_i32_i24_e32 v12 /*v268*/, v160 /*v416*/, v11 /*v267*/
	s_set_vgpr_msb 5                        ;  msbs: dst=0 src0=1 src1=1 src2=0
	v_mul_i32_i24_e32 v64, v155 /*v411*/, v4 /*v260*/
	s_set_vgpr_msb 0x45                     ;  msbs: dst=1 src0=1 src1=1 src2=0
	v_mul_i32_i24_e32 v14 /*v270*/, v161 /*v417*/, v7 /*v263*/
	s_set_vgpr_msb 1                        ;  msbs: dst=0 src0=1 src1=0 src2=0
	v_add3_u32 v203, v251 /*v507*/, v214, v76
	s_set_vgpr_msb 0x45                     ;  msbs: dst=1 src0=1 src1=1 src2=0
	v_mul_i32_i24_e32 v19 /*v275*/, v151 /*v407*/, v10 /*v266*/
	s_set_vgpr_msb 5                        ;  msbs: dst=0 src0=1 src1=1 src2=0
	v_mul_i32_i24_e32 v76, v141 /*v397*/, v4 /*v260*/
	s_set_vgpr_msb 0x45                     ;  msbs: dst=1 src0=1 src1=1 src2=0
	v_mul_i32_i24_e32 v7 /*v263*/, v144 /*v400*/, v7 /*v263*/
	s_set_vgpr_msb 5                        ;  msbs: dst=0 src0=1 src1=1 src2=0
	v_mul_i32_i24_e32 v214, v207 /*v463*/, v1 /*v257*/
	s_set_vgpr_msb 0x44                     ;  msbs: dst=1 src0=0 src1=1 src2=0
	v_mul_i32_i24_e32 v4 /*v260*/, v121, v3 /*v259*/
	s_set_vgpr_msb 5                        ;  msbs: dst=0 src0=1 src1=1 src2=0
	v_mul_i32_i24_e32 v219, v155 /*v411*/, v1 /*v257*/
	s_set_vgpr_msb 0x45                     ;  msbs: dst=1 src0=1 src1=1 src2=0
	v_mul_i32_i24_e32 v36 /*v292*/, v164 /*v420*/, v3 /*v259*/
	s_set_vgpr_msb 20                       ;  msbs: dst=0 src0=0 src1=1 src2=1
	v_add3_u32 v233, v223, v201 /*v457*/, v209 /*v465*/
	s_set_vgpr_msb 0x41                     ;  msbs: dst=1 src0=1 src1=0 src2=0
	v_mul_i32_i24_e32 v38 /*v294*/, v161 /*v417*/, v238
	s_set_vgpr_msb 0x45                     ;  msbs: dst=1 src0=1 src1=1 src2=0
	v_mul_i32_i24_e32 v39 /*v295*/, v151 /*v407*/, v8 /*v264*/
	s_set_vgpr_msb 0x41                     ;  msbs: dst=1 src0=1 src1=0 src2=0
	v_mul_i32_i24_e32 v41 /*v297*/, v152 /*v408*/, v239
	s_set_vgpr_msb 5                        ;  msbs: dst=0 src0=1 src1=1 src2=0
	v_mul_i32_i24_e32 v223, v141 /*v397*/, v1 /*v257*/
	s_set_vgpr_msb 0x45                     ;  msbs: dst=1 src0=1 src1=1 src2=0
	v_mul_i32_i24_e32 v1 /*v257*/, v163 /*v419*/, v3 /*v259*/
	s_set_vgpr_msb 0x41                     ;  msbs: dst=1 src0=1 src1=0 src2=0
	v_mul_i32_i24_e32 v3 /*v259*/, v144 /*v400*/, v238
	s_set_vgpr_msb 64                       ;  msbs: dst=1 src0=0 src1=0 src2=0
	v_mul_i32_i24_e32 v44 /*v300*/, v108, v239
	s_set_vgpr_msb 1                        ;  msbs: dst=0 src0=1 src1=0 src2=0
	v_mul_i32_i24_e32 v65, v151 /*v407*/, v247
	v_mul_i32_i24_e32 v74, v161 /*v417*/, v237
	v_add3_u32 v213, v125 /*v381*/, v213, v101
	s_set_vgpr_msb 0x41                     ;  msbs: dst=1 src0=1 src1=0 src2=0
	v_mul_i32_i24_e32 v99 /*v355*/, v151 /*v407*/, v241
	v_mul_i32_i24_e32 v125 /*v381*/, v160 /*v416*/, v253
	s_set_vgpr_msb 1                        ;  msbs: dst=0 src0=1 src1=0 src2=0
	v_mul_i32_i24_e32 v239, v160 /*v416*/, v239
	s_set_vgpr_msb 0                        ;  msbs: dst=0 src0=0 src1=0 src2=0
	v_mul_i32_i24_e32 v238, v123, v238
	s_set_vgpr_msb 64                       ;  msbs: dst=1 src0=0 src1=0 src2=0
	v_mul_i32_i24_e32 v126 /*v382*/, v123, v237
	s_set_vgpr_msb 1                        ;  msbs: dst=0 src0=1 src1=0 src2=0
	v_mul_i32_i24_e32 v255, v151 /*v407*/, v255
	v_mul_i32_i24_e32 v237, v144 /*v400*/, v237
	s_set_vgpr_msb 0                        ;  msbs: dst=0 src0=0 src1=0 src2=0
	v_mul_i32_i24_e32 v123, v123, v187
	s_set_vgpr_msb 1                        ;  msbs: dst=0 src0=1 src1=0 src2=0
	v_mul_i32_i24_e32 v246, v151 /*v407*/, v246
	s_set_vgpr_msb 0x41                     ;  msbs: dst=1 src0=1 src1=0 src2=0
	v_mul_i32_i24_e32 v151 /*v407*/, v160 /*v416*/, v242
	v_mul_i32_i24_e32 v160 /*v416*/, v91 /*v347*/, v67
	s_set_vgpr_msb 1                        ;  msbs: dst=0 src0=1 src1=0 src2=0
	v_mul_i32_i24_e32 v187, v144 /*v400*/, v187
	s_set_vgpr_msb 0x44                     ;  msbs: dst=1 src0=0 src1=1 src2=0
	v_and_b32_e32 v144 /*v400*/, 3, v158 /*v414*/
	s_set_vgpr_msb 0x41                     ;  msbs: dst=1 src0=1 src1=0 src2=0
	v_mul_i32_i24_e32 v158 /*v414*/, v91 /*v347*/, v220
	s_set_vgpr_msb 5                        ;  msbs: dst=0 src0=1 src1=1 src2=0
	v_add3_u32 v139, v101 /*v357*/, v123 /*v379*/, v139
	s_set_vgpr_msb 0x55                     ;  msbs: dst=1 src0=1 src1=1 src2=1
	v_mul_i32_i24_e32 v123 /*v379*/, v93 /*v349*/, v127 /*v383*/
	v_add3_u32 v103 /*v359*/, v103 /*v359*/, v104 /*v360*/, v160 /*v416*/
	s_set_vgpr_msb 64                       ;  msbs: dst=1 src0=0 src1=0 src2=0
	v_mul_i32_i24_e32 v160 /*v416*/, v221, v220
	s_set_vgpr_msb 0x41                     ;  msbs: dst=1 src0=1 src1=0 src2=0
	v_add3_u32 v94 /*v350*/, v94 /*v350*/, v182, v46
	s_set_vgpr_msb 0x55                     ;  msbs: dst=1 src0=1 src1=1 src2=1
	v_mul_i32_i24_e32 v104 /*v360*/, v91 /*v347*/, v215 /*v471*/
	v_add3_u32 v112 /*v368*/, v112 /*v368*/, v158 /*v414*/, v123 /*v379*/
	v_mul_i32_i24_e32 v123 /*v379*/, v214 /*v470*/, v127 /*v383*/
	s_set_vgpr_msb 0                        ;  msbs: dst=0 src0=0 src1=0 src2=0
	v_add3_u32 v133, v133, v183, v11
	s_set_vgpr_msb 4                        ;  msbs: dst=0 src0=0 src1=1 src2=0
	v_mul_i32_i24_e32 v75, v75, v121 /*v377*/
	s_set_vgpr_msb 0x55                     ;  msbs: dst=1 src0=1 src1=1 src2=1
	v_add3_u32 v102 /*v358*/, v108 /*v364*/, v102 /*v358*/, v104 /*v360*/
	s_set_vgpr_msb 0x41                     ;  msbs: dst=1 src0=1 src1=0 src2=0
	v_mul_i32_i24_e32 v108 /*v364*/, v94 /*v350*/, v67
	s_set_vgpr_msb 0x55                     ;  msbs: dst=1 src0=1 src1=1 src2=1
	v_add3_u32 v106 /*v362*/, v106 /*v362*/, v160 /*v416*/, v123 /*v379*/
	s_set_vgpr_msb 0x41                     ;  msbs: dst=1 src0=1 src1=0 src2=0
	v_mul_i32_i24_e32 v123 /*v379*/, v94 /*v350*/, v220
	s_set_vgpr_msb 0x44                     ;  msbs: dst=1 src0=0 src1=1 src2=0
	v_mul_i32_i24_e32 v104 /*v360*/, v133, v0 /*v256*/
	s_set_vgpr_msb 16                       ;  msbs: dst=0 src0=0 src1=0 src2=1
	v_add3_u32 v75, v147, v75, v124 /*v380*/
	s_set_vgpr_msb 4                        ;  msbs: dst=0 src0=0 src1=1 src2=0
	v_mul_i32_i24_e32 v221, v221, v121 /*v377*/
	s_set_vgpr_msb 0x55                     ;  msbs: dst=1 src0=1 src1=1 src2=1
	v_mul_i32_i24_e32 v124 /*v380*/, v214 /*v470*/, v196 /*v452*/
	v_add3_u32 v95 /*v351*/, v109 /*v365*/, v95 /*v351*/, v123 /*v379*/
	s_set_vgpr_msb 0x44                     ;  msbs: dst=1 src0=0 src1=1 src2=0
	v_mul_i32_i24_e32 v109 /*v365*/, v68, v0 /*v256*/
	s_set_vgpr_msb 64                       ;  msbs: dst=1 src0=0 src1=0 src2=0
	v_mul_i32_i24_e32 v123 /*v379*/, v222, v67
	s_set_vgpr_msb 0x55                     ;  msbs: dst=1 src0=1 src1=1 src2=1
	v_add3_u32 v104 /*v360*/, v111 /*v367*/, v108 /*v364*/, v104 /*v360*/
	s_set_vgpr_msb 0x44                     ;  msbs: dst=1 src0=0 src1=1 src2=0
	v_mul_i32_i24_e32 v108 /*v364*/, v68, v35 /*v291*/
	v_mul_i32_i24_e32 v111 /*v367*/, v222, v215 /*v471*/
	s_set_vgpr_msb 0x55                     ;  msbs: dst=1 src0=1 src1=1 src2=1
	v_mul_i32_i24_e32 v91 /*v347*/, v91 /*v347*/, v121 /*v377*/
	v_add3_u32 v109 /*v365*/, v110 /*v366*/, v123 /*v379*/, v109 /*v365*/
	s_set_vgpr_msb 0x44                     ;  msbs: dst=1 src0=0 src1=1 src2=0
	v_mul_i32_i24_e32 v110 /*v366*/, v133, v35 /*v291*/
	s_set_vgpr_msb 0x55                     ;  msbs: dst=1 src0=1 src1=1 src2=1
	v_mul_i32_i24_e32 v123 /*v379*/, v94 /*v350*/, v215 /*v471*/
	v_add3_u32 v107 /*v363*/, v107 /*v363*/, v111 /*v367*/, v108 /*v364*/
	s_set_vgpr_msb 0x44                     ;  msbs: dst=1 src0=0 src1=1 src2=0
	v_mul_i32_i24_e32 v111 /*v367*/, v244, v196 /*v452*/
	s_set_vgpr_msb 17                       ;  msbs: dst=0 src0=1 src1=0 src2=1
	v_add3_u32 v221, v120 /*v376*/, v221, v124 /*v380*/
	s_set_vgpr_msb 0x45                     ;  msbs: dst=1 src0=1 src1=1 src2=0
	v_mul_i32_i24_e32 v120 /*v376*/, v93 /*v349*/, v196 /*v452*/
	s_set_vgpr_msb 20                       ;  msbs: dst=0 src0=0 src1=1 src2=1
	v_add3_u32 v145, v145, v123 /*v379*/, v110 /*v366*/
	s_set_vgpr_msb 0x44                     ;  msbs: dst=1 src0=0 src1=1 src2=0
	v_mul_i32_i24_e32 v110 /*v366*/, v240, v121 /*v377*/
	s_set_vgpr_msb 4                        ;  msbs: dst=0 src0=0 src1=1 src2=0
	v_mul_i32_i24_e32 v244, v244, v0 /*v256*/
	s_set_vgpr_msb 0                        ;  msbs: dst=0 src0=0 src1=0 src2=0
	v_mul_i32_i24_e32 v240, v240, v67
	s_set_vgpr_msb 0x55                     ;  msbs: dst=1 src0=1 src1=1 src2=1
	v_mul_i32_i24_e32 v100 /*v356*/, v194 /*v450*/, v100 /*v356*/
	v_add3_u32 v91 /*v347*/, v117 /*v373*/, v91 /*v347*/, v120 /*v376*/
	s_set_vgpr_msb 0x44                     ;  msbs: dst=1 src0=0 src1=1 src2=0
	v_mul_i32_i24_e32 v120 /*v376*/, v133, v196 /*v452*/
	s_set_vgpr_msb 0x45                     ;  msbs: dst=1 src0=1 src1=1 src2=0
	v_mul_i32_i24_e32 v94 /*v350*/, v94 /*v350*/, v121 /*v377*/
	s_set_vgpr_msb 0x41                     ;  msbs: dst=1 src0=1 src1=0 src2=0
	v_add3_u32 v89 /*v345*/, v89 /*v345*/, v59, v32
	v_add3_u32 v90 /*v346*/, v90 /*v346*/, v60, v33
	s_set_vgpr_msb 1                        ;  msbs: dst=0 src0=1 src1=0 src2=0
	v_add3_u32 v240, v113 /*v369*/, v240, v244
	s_set_vgpr_msb 64                       ;  msbs: dst=1 src0=0 src1=0 src2=0
	v_mul_i32_i24_e32 v113 /*v369*/, v143, v67
	s_set_vgpr_msb 0x55                     ;  msbs: dst=1 src0=1 src1=1 src2=1
	v_add3_u32 v100 /*v356*/, v157 /*v413*/, v100 /*v356*/, v192 /*v448*/
	v_mul_i32_i24_e32 v157 /*v413*/, v129 /*v385*/, v0 /*v256*/
	s_set_vgpr_msb 5                        ;  msbs: dst=0 src0=1 src1=1 src2=0
	v_mul_i32_i24_e32 v71, v138 /*v394*/, v2 /*v258*/
	s_set_vgpr_msb 4                        ;  msbs: dst=0 src0=0 src1=1 src2=0
	v_mul_i32_i24_e32 v215, v111, v9 /*v265*/
	s_set_vgpr_msb 5                        ;  msbs: dst=0 src0=1 src1=1 src2=0
	v_mul_i32_i24_e32 v224, v137 /*v393*/, v2 /*v258*/
	s_set_vgpr_msb 4                        ;  msbs: dst=0 src0=0 src1=1 src2=0
	v_mul_i32_i24_e32 v68, v68, v196 /*v452*/
	v_mul_i32_i24_e32 v222, v222, v121 /*v377*/
	s_set_vgpr_msb 0x55                     ;  msbs: dst=1 src0=1 src1=1 src2=1
	v_add3_u32 v94 /*v350*/, v122 /*v378*/, v94 /*v350*/, v120 /*v376*/
	v_mul_i32_i24_e32 v122 /*v378*/, v89 /*v345*/, v196 /*v452*/
	v_mul_i32_i24_e32 v121 /*v377*/, v90 /*v346*/, v121 /*v377*/
	s_set_vgpr_msb 1                        ;  msbs: dst=0 src0=1 src1=0 src2=0
	v_mul_i32_i24_e32 v67, v90 /*v346*/, v67
	s_set_vgpr_msb 0x55                     ;  msbs: dst=1 src0=1 src1=1 src2=1
	v_mul_i32_i24_e32 v192 /*v448*/, v89 /*v345*/, v0 /*v256*/
	v_add3_u32 v113 /*v369*/, v195 /*v451*/, v113 /*v369*/, v157 /*v413*/
	s_set_vgpr_msb 64                       ;  msbs: dst=1 src0=0 src1=0 src2=0
	v_mul_i32_i24_e32 v157 /*v413*/, v143, v220
	s_set_vgpr_msb 0x45                     ;  msbs: dst=1 src0=1 src1=1 src2=0
	v_mul_i32_i24_e32 v194 /*v450*/, v129 /*v385*/, v127 /*v383*/
	s_set_vgpr_msb 0x44                     ;  msbs: dst=1 src0=0 src1=1 src2=0
	v_mul_i32_i24_e32 v92 /*v348*/, v171, v11 /*v267*/
	s_set_vgpr_msb 64                       ;  msbs: dst=1 src0=0 src1=0 src2=0
	v_mul_i32_i24_e32 v70 /*v326*/, v171, v254
	v_mul_i32_i24_e32 v59 /*v315*/, v171, v242
	;; [unrolled: 1-line block ×4, first 2 shown]
	s_set_vgpr_msb 0x44                     ;  msbs: dst=1 src0=0 src1=1 src2=0
	v_mul_i32_i24_e32 v83 /*v339*/, v108, v87 /*v343*/
	s_set_vgpr_msb 5                        ;  msbs: dst=0 src0=1 src1=1 src2=0
	v_mul_i32_i24_e32 v106, v152 /*v408*/, v87 /*v343*/
	v_mul_i32_i24_e32 v136, v161 /*v417*/, v156 /*v412*/
	s_set_vgpr_msb 0                        ;  msbs: dst=0 src0=0 src1=0 src2=0
	v_mul_i32_i24_e32 v192, v121, v250
	v_mul_i32_i24_e32 v194, v121, v252
	s_set_vgpr_msb 1                        ;  msbs: dst=0 src0=1 src1=0 src2=0
	v_mul_i32_i24_e32 v195, v163 /*v419*/, v250
	s_set_vgpr_msb 0                        ;  msbs: dst=0 src0=0 src1=0 src2=0
	v_mul_i32_i24_e32 v198, v108, v254
	s_set_vgpr_msb 0x41                     ;  msbs: dst=1 src0=1 src1=0 src2=0
	v_mul_i32_i24_e32 v15 /*v271*/, v163 /*v419*/, v252
	s_set_vgpr_msb 64                       ;  msbs: dst=1 src0=0 src1=0 src2=0
	v_mul_i32_i24_e32 v18 /*v274*/, v108, v251
	s_set_vgpr_msb 0x41                     ;  msbs: dst=1 src0=1 src1=0 src2=0
	v_mul_i32_i24_e32 v21 /*v277*/, v164 /*v420*/, v189
	v_mul_i32_i24_e32 v22 /*v278*/, v152 /*v408*/, v253
	s_set_vgpr_msb 4                        ;  msbs: dst=0 src0=0 src1=1 src2=0
	v_and_b32_e32 v128, 0xffff, v147 /*v403*/
	s_set_vgpr_msb 0x41                     ;  msbs: dst=1 src0=1 src1=0 src2=0
	v_add3_u32 v169 /*v425*/, v212 /*v468*/, v21, v13
	s_set_vgpr_msb 0x45                     ;  msbs: dst=1 src0=1 src1=1 src2=0
	v_mul_i32_i24_e32 v212 /*v468*/, v237 /*v493*/, v5 /*v261*/
	s_set_vgpr_msb 4                        ;  msbs: dst=0 src0=0 src1=1 src2=0
	v_mul_i32_i24_e32 v177, v121, v6 /*v262*/
	v_mul_i32_i24_e32 v141, v125, v10 /*v266*/
	s_set_vgpr_msb 0x45                     ;  msbs: dst=1 src0=1 src1=1 src2=0
	v_mul_i32_i24_e32 v204 /*v460*/, v138 /*v394*/, v5 /*v261*/
	v_mul_i32_i24_e32 v13 /*v269*/, v164 /*v420*/, v6 /*v262*/
	v_mul_i32_i24_e32 v34 /*v290*/, v152 /*v408*/, v11 /*v267*/
	s_set_vgpr_msb 5                        ;  msbs: dst=0 src0=1 src1=1 src2=0
	v_mul_i32_i24_e32 v212, v137 /*v393*/, v5 /*v261*/
	s_set_vgpr_msb 0x45                     ;  msbs: dst=1 src0=1 src1=1 src2=0
	v_mul_i32_i24_e32 v6 /*v262*/, v163 /*v419*/, v6 /*v262*/
	s_set_vgpr_msb 0x44                     ;  msbs: dst=1 src0=0 src1=1 src2=0
	v_mul_i32_i24_e32 v10 /*v266*/, v191, v10 /*v266*/
	v_mul_i32_i24_e32 v11 /*v267*/, v108, v11 /*v267*/
	s_set_vgpr_msb 1                        ;  msbs: dst=0 src0=1 src1=0 src2=0
	v_add3_u32 v105, v252 /*v508*/, v73, v77
	s_set_vgpr_msb 5                        ;  msbs: dst=0 src0=1 src1=1 src2=0
	v_mul_i32_i24_e32 v73, v237 /*v493*/, v2 /*v258*/
	s_set_vgpr_msb 4                        ;  msbs: dst=0 src0=0 src1=1 src2=0
	v_mul_i32_i24_e32 v77, v109, v9 /*v265*/
	s_set_vgpr_msb 0x44                     ;  msbs: dst=1 src0=0 src1=1 src2=0
	v_mul_i32_i24_e32 v5 /*v261*/, v125, v8 /*v264*/
	s_set_vgpr_msb 17                       ;  msbs: dst=0 src0=1 src1=0 src2=1
	v_add3_u32 v232, v197 /*v453*/, v232, v205 /*v461*/
	s_set_vgpr_msb 0x45                     ;  msbs: dst=1 src0=1 src1=1 src2=0
	v_mul_i32_i24_e32 v197 /*v453*/, v133 /*v389*/, v9 /*v265*/
	s_set_vgpr_msb 0x44                     ;  msbs: dst=1 src0=0 src1=1 src2=0
	v_mul_i32_i24_e32 v9 /*v265*/, v191, v8 /*v264*/
	s_set_vgpr_msb 1                        ;  msbs: dst=0 src0=1 src1=0 src2=0
	v_mul_i32_i24_e32 v226, v207 /*v463*/, v245
	s_set_vgpr_msb 64                       ;  msbs: dst=1 src0=0 src1=0 src2=0
	v_mul_i32_i24_e32 v2 /*v258*/, v121, v243
	s_set_vgpr_msb 0                        ;  msbs: dst=0 src0=0 src1=0 src2=0
	v_mul_i32_i24_e32 v199, v125, v247
	s_set_vgpr_msb 0x54                     ;  msbs: dst=1 src0=0 src1=1 src2=1
	v_add3_u32 v147 /*v403*/, v70, v216 /*v472*/, v242 /*v498*/
	s_set_vgpr_msb 1                        ;  msbs: dst=0 src0=1 src1=0 src2=0
	v_mul_i32_i24_e32 v70, v155 /*v411*/, v245
	s_set_vgpr_msb 0x41                     ;  msbs: dst=1 src0=1 src1=0 src2=0
	v_mul_i32_i24_e32 v8 /*v264*/, v164 /*v420*/, v243
	s_set_vgpr_msb 1                        ;  msbs: dst=0 src0=1 src1=0 src2=0
	v_mul_i32_i24_e32 v211, v141 /*v397*/, v245
	v_mul_i32_i24_e32 v243, v163 /*v419*/, v243
	s_set_vgpr_msb 0                        ;  msbs: dst=0 src0=0 src1=0 src2=0
	v_mul_i32_i24_e32 v245, v191, v247
	s_set_vgpr_msb 1                        ;  msbs: dst=0 src0=1 src1=0 src2=0
	v_mul_i32_i24_e32 v247, v152 /*v408*/, v242
	v_mul_i32_i24_e32 v250, v164 /*v420*/, v250
	;; [unrolled: 1-line block ×5, first 2 shown]
	s_set_vgpr_msb 0                        ;  msbs: dst=0 src0=0 src1=0 src2=0
	v_mul_i32_i24_e32 v253, v108, v253
	s_set_vgpr_msb 0x41                     ;  msbs: dst=1 src0=1 src1=0 src2=0
	v_mul_i32_i24_e32 v152 /*v408*/, v207 /*v463*/, v236
	s_set_vgpr_msb 1                        ;  msbs: dst=0 src0=1 src1=0 src2=0
	v_mul_i32_i24_e32 v248, v161 /*v417*/, v248
	v_mul_i32_i24_e32 v249, v161 /*v417*/, v249
	s_set_vgpr_msb 0x41                     ;  msbs: dst=1 src0=1 src1=0 src2=0
	v_mul_i32_i24_e32 v161 /*v417*/, v237 /*v493*/, v188
	s_set_vgpr_msb 0                        ;  msbs: dst=0 src0=0 src1=0 src2=0
	v_mul_i32_i24_e32 v121, v121, v189
	v_mul_i32_i24_e32 v108, v108, v242
	v_mul_i32_i24_e32 v191, v191, v241
	s_set_vgpr_msb 1                        ;  msbs: dst=0 src0=1 src1=0 src2=0
	v_mul_i32_i24_e32 v242, v155 /*v411*/, v236
	s_set_vgpr_msb 0                        ;  msbs: dst=0 src0=0 src1=0 src2=0
	v_mul_i32_i24_e32 v125, v125, v241
	s_set_vgpr_msb 1                        ;  msbs: dst=0 src0=1 src1=0 src2=0
	v_mul_i32_i24_e32 v241, v138 /*v394*/, v188
	v_mul_i32_i24_e32 v236, v141 /*v397*/, v236
	;; [unrolled: 1-line block ×4, first 2 shown]
	s_set_vgpr_msb 0x41                     ;  msbs: dst=1 src0=1 src1=0 src2=0
	v_mul_i32_i24_e32 v101 /*v357*/, v146 /*v402*/, v186
	s_set_vgpr_msb 64                       ;  msbs: dst=1 src0=0 src1=0 src2=0
	v_mul_i32_i24_e32 v158 /*v414*/, v113, v186
	s_set_vgpr_msb 1                        ;  msbs: dst=0 src0=1 src1=0 src2=0
	v_mul_i32_i24_e32 v186, v134 /*v390*/, v186
	s_set_vgpr_msb 0x44                     ;  msbs: dst=1 src0=0 src1=1 src2=0
	v_and_b32_e32 v143 /*v399*/, 3, v143 /*v399*/
	v_and_b32_e32 v130 /*v386*/, 3, v130 /*v386*/
	s_set_vgpr_msb 64                       ;  msbs: dst=1 src0=0 src1=0 src2=0
	v_mul_i32_i24_e32 v160 /*v416*/, v109, v184
	v_mul_i32_i24_e32 v108 /*v364*/, v111, v184
	s_set_vgpr_msb 1                        ;  msbs: dst=0 src0=1 src1=0 src2=0
	v_mul_i32_i24_e32 v184, v133 /*v389*/, v184
	s_set_vgpr_msb 0x55                     ;  msbs: dst=1 src0=1 src1=1 src2=1
	v_add3_u32 v105 /*v361*/, v105 /*v361*/, v110 /*v366*/, v111 /*v367*/
	s_set_vgpr_msb 0x41                     ;  msbs: dst=1 src0=1 src1=0 src2=0
	v_mul_i32_i24_e32 v111 /*v367*/, v146 /*v402*/, v185
	s_set_vgpr_msb 64                       ;  msbs: dst=1 src0=0 src1=0 src2=0
	v_mul_i32_i24_e32 v163 /*v419*/, v113, v185
	s_set_vgpr_msb 1                        ;  msbs: dst=0 src0=1 src1=0 src2=0
	v_mul_i32_i24_e32 v185, v134 /*v390*/, v185
	s_set_vgpr_msb 0x41                     ;  msbs: dst=1 src0=1 src1=0 src2=0
	v_mul_i32_i24_e32 v124 /*v380*/, v207 /*v463*/, v180
	v_mul_i32_i24_e32 v117 /*v373*/, v237 /*v493*/, v181
	s_set_vgpr_msb 64                       ;  msbs: dst=1 src0=0 src1=0 src2=0
	v_mul_i32_i24_e32 v120 /*v376*/, v109, v182
	s_set_vgpr_msb 0x41                     ;  msbs: dst=1 src0=1 src1=0 src2=0
	v_mul_i32_i24_e32 v164 /*v420*/, v146 /*v402*/, v183
	s_set_vgpr_msb 1                        ;  msbs: dst=0 src0=1 src1=0 src2=0
	v_add3_u32 v68, v116 /*v372*/, v222, v68
	v_mul_i32_i24_e32 v222, v155 /*v411*/, v180
	s_set_vgpr_msb 0x41                     ;  msbs: dst=1 src0=1 src1=0 src2=0
	v_mul_i32_i24_e32 v116 /*v372*/, v138 /*v394*/, v181
	s_set_vgpr_msb 0x55                     ;  msbs: dst=1 src0=1 src1=1 src2=1
	v_add3_u32 v119 /*v375*/, v119 /*v375*/, v121 /*v377*/, v122 /*v378*/
	s_set_vgpr_msb 64                       ;  msbs: dst=1 src0=0 src1=0 src2=0
	v_mul_i32_i24_e32 v121 /*v377*/, v111, v182
	v_mul_i32_i24_e32 v122 /*v378*/, v113, v183
	s_set_vgpr_msb 0x41                     ;  msbs: dst=1 src0=1 src1=0 src2=0
	v_mul_i32_i24_e32 v188 /*v444*/, v207 /*v463*/, v47
	v_mul_i32_i24_e32 v189 /*v445*/, v237 /*v493*/, v48
	s_set_vgpr_msb 17                       ;  msbs: dst=0 src0=1 src1=0 src2=1
	v_mul_i32_i24_e32 v244, v155 /*v411*/, v47
	v_add3_u32 v67, v191 /*v447*/, v67, v192 /*v448*/
	s_set_vgpr_msb 0x41                     ;  msbs: dst=1 src0=1 src1=0 src2=0
	v_mul_i32_i24_e32 v191 /*v447*/, v138 /*v394*/, v48
	s_set_vgpr_msb 0x44                     ;  msbs: dst=1 src0=0 src1=1 src2=0
	v_and_b32_e32 v128 /*v384*/, 3, v128 /*v384*/
	v_and_b32_e32 v150 /*v406*/, 3, v150 /*v406*/
	s_set_vgpr_msb 64                       ;  msbs: dst=1 src0=0 src1=0 src2=0
	v_mul_i32_i24_e32 v192 /*v448*/, v109, v174
	s_set_vgpr_msb 0x55                     ;  msbs: dst=1 src0=1 src1=1 src2=1
	v_add3_u32 v157 /*v413*/, v193 /*v449*/, v157 /*v413*/, v194 /*v450*/
	s_set_vgpr_msb 0x41                     ;  msbs: dst=1 src0=1 src1=0 src2=0
	v_mul_i32_i24_e32 v193 /*v449*/, v146 /*v402*/, v178
	s_set_vgpr_msb 64                       ;  msbs: dst=1 src0=0 src1=0 src2=0
	v_mul_i32_i24_e32 v194 /*v450*/, v111, v174
	s_set_vgpr_msb 4                        ;  msbs: dst=0 src0=0 src1=1 src2=0
	v_mul_i32_i24_e32 v171, v171, v87 /*v343*/
	s_set_vgpr_msb 64                       ;  msbs: dst=1 src0=0 src1=0 src2=0
	v_mul_i32_i24_e32 v87 /*v343*/, v113, v178
	s_set_vgpr_msb 4                        ;  msbs: dst=0 src0=0 src1=1 src2=0
	v_mul_i32_i24_e32 v172, v172, v156 /*v412*/
	s_set_vgpr_msb 0x45                     ;  msbs: dst=1 src0=1 src1=1 src2=0
	v_mul_i32_i24_e32 v156 /*v412*/, v89 /*v345*/, v127 /*v383*/
	s_set_vgpr_msb 1                        ;  msbs: dst=0 src0=1 src1=0 src2=0
	v_mul_i32_i24_e32 v220, v90 /*v346*/, v220
	v_mul_i32_i24_e32 v174, v133 /*v389*/, v174
	;; [unrolled: 1-line block ×3, first 2 shown]
	s_set_vgpr_msb 4                        ;  msbs: dst=0 src0=0 src1=1 src2=0
	v_mul_i32_i24_e32 v143, v143, v215 /*v471*/
	s_set_vgpr_msb 0x45                     ;  msbs: dst=1 src0=1 src1=1 src2=0
	v_mul_i32_i24_e32 v129 /*v385*/, v129 /*v385*/, v35 /*v291*/
	v_mul_i32_i24_e32 v90 /*v346*/, v90 /*v346*/, v215 /*v471*/
	;; [unrolled: 1-line block ×3, first 2 shown]
	s_set_vgpr_msb 1                        ;  msbs: dst=0 src0=1 src1=0 src2=0
	v_add3_u32 v71, v183 /*v439*/, v219, v71
	s_set_vgpr_msb 0x41                     ;  msbs: dst=1 src0=1 src1=0 src2=0
	v_mul_i32_i24_e32 v183 /*v439*/, v207 /*v463*/, v61
	s_set_vgpr_msb 1                        ;  msbs: dst=0 src0=1 src1=0 src2=0
	v_add3_u32 v215, v187 /*v443*/, v215, v217
	v_mul_i32_i24_e32 v217, v237 /*v493*/, v58
	v_add3_u32 v223, v190 /*v446*/, v223, v224
	s_set_vgpr_msb 0x41                     ;  msbs: dst=1 src0=1 src1=0 src2=0
	v_mul_i32_i24_e32 v190 /*v446*/, v207 /*v463*/, v51
	v_mul_i32_i24_e32 v200 /*v456*/, v237 /*v493*/, v49
	s_set_vgpr_msb 0                        ;  msbs: dst=0 src0=0 src1=0 src2=0
	v_dual_mov_b32 v22, v5 :: v_dual_bitop2_b32 v119, 3, v119 bitop3:0x40
	s_set_vgpr_msb 0x41                     ;  msbs: dst=1 src0=1 src1=0 src2=0
	v_mul_i32_i24_e32 v123 /*v379*/, v154 /*v410*/, v54
	v_mul_i32_i24_e32 v110 /*v366*/, v118 /*v374*/, v32
	s_set_vgpr_msb 1                        ;  msbs: dst=0 src0=1 src1=0 src2=0
	v_mul_i32_i24_e32 v147, v154 /*v410*/, v43
	v_mul_i32_i24_e32 v180, v141 /*v397*/, v180
	;; [unrolled: 1-line block ×5, first 2 shown]
	s_set_vgpr_msb 0x44                     ;  msbs: dst=1 src0=0 src1=1 src2=0
	v_and_b32_e32 v140 /*v396*/, 3, v140 /*v396*/
	v_and_b32_e32 v153 /*v409*/, 3, v153 /*v409*/
	s_set_vgpr_msb 17                       ;  msbs: dst=0 src0=1 src1=0 src2=1
	v_add3_u32 v220, v176 /*v432*/, v220, v156 /*v412*/
	s_set_vgpr_msb 64                       ;  msbs: dst=1 src0=0 src1=0 src2=0
	v_mul_i32_i24_e32 v156 /*v412*/, v111, v50
	v_mul_i32_i24_e32 v176 /*v432*/, v113, v62
	s_set_vgpr_msb 0x41                     ;  msbs: dst=1 src0=1 src1=0 src2=0
	v_mul_i32_i24_e32 v195 /*v451*/, v118 /*v374*/, v27
	s_set_vgpr_msb 17                       ;  msbs: dst=0 src0=1 src1=0 src2=1
	v_add3_u32 v143, v178 /*v434*/, v143, v129 /*v385*/
	s_set_vgpr_msb 0x41                     ;  msbs: dst=1 src0=1 src1=0 src2=0
	v_mul_i32_i24_e32 v129 /*v385*/, v118 /*v374*/, v31
	v_mul_i32_i24_e32 v178 /*v434*/, v118 /*v374*/, v55
	s_set_vgpr_msb 0x55                     ;  msbs: dst=1 src0=1 src1=1 src2=1
	v_add3_u32 v89 /*v345*/, v171 /*v427*/, v90 /*v346*/, v89 /*v345*/
	s_set_vgpr_msb 0x41                     ;  msbs: dst=1 src0=1 src1=0 src2=0
	v_mul_i32_i24_e32 v90 /*v346*/, v118 /*v374*/, v45
	s_set_vgpr_msb 0x55                     ;  msbs: dst=1 src0=1 src1=1 src2=1
	v_add3_u32 v173 /*v429*/, v173 /*v429*/, v211 /*v467*/, v212 /*v468*/
	s_set_vgpr_msb 0x41                     ;  msbs: dst=1 src0=1 src1=0 src2=0
	v_mul_i32_i24_e32 v198 /*v454*/, v154 /*v410*/, v42
	s_set_vgpr_msb 17                       ;  msbs: dst=0 src0=1 src1=0 src2=1
	v_add3_u32 v64, v136 /*v392*/, v64, v204 /*v460*/
	s_set_vgpr_msb 0x41                     ;  msbs: dst=1 src0=1 src1=0 src2=0
	v_mul_i32_i24_e32 v136 /*v392*/, v154 /*v410*/, v28
	s_set_vgpr_msb 64                       ;  msbs: dst=1 src0=0 src1=0 src2=0
	v_mul_i32_i24_e32 v199 /*v455*/, v109, v50
	s_set_vgpr_msb 1                        ;  msbs: dst=0 src0=1 src1=0 src2=0
	v_add3_u32 v76, v181 /*v437*/, v76, v212
	v_mul_i32_i24_e32 v212, v146 /*v402*/, v62
	v_mul_i32_i24_e32 v47, v141 /*v397*/, v47
	;; [unrolled: 1-line block ×5, first 2 shown]
	s_set_vgpr_msb 0x41                     ;  msbs: dst=1 src0=1 src1=0 src2=0
	v_mul_i32_i24_e32 v181 /*v437*/, v118 /*v374*/, v11
	s_set_vgpr_msb 1                        ;  msbs: dst=0 src0=1 src1=0 src2=0
	v_add3_u32 v73, v179 /*v435*/, v214, v73
	v_mul_i32_i24_e32 v214, v118 /*v374*/, v25
	v_add3_u32 v77, v185 /*v441*/, v77, v218
	s_set_vgpr_msb 0x41                     ;  msbs: dst=1 src0=1 src1=0 src2=0
	v_mul_i32_i24_e32 v185 /*v441*/, v154 /*v410*/, v46
	s_set_vgpr_msb 1                        ;  msbs: dst=0 src0=1 src1=0 src2=0
	v_mul_i32_i24_e32 v219, v154 /*v410*/, v26
	s_set_vgpr_msb 64                       ;  msbs: dst=1 src0=0 src1=0 src2=0
	v_mul_i32_i24_e32 v187 /*v443*/, v109, v60
	s_set_vgpr_msb 1                        ;  msbs: dst=0 src0=1 src1=0 src2=0
	v_mul_i32_i24_e32 v224, v146 /*v402*/, v59
	s_set_vgpr_msb 64                       ;  msbs: dst=1 src0=0 src1=0 src2=0
	v_mul_i32_i24_e32 v201 /*v457*/, v113, v59
	s_set_vgpr_msb 0x41                     ;  msbs: dst=1 src0=1 src1=0 src2=0
	v_mul_i32_i24_e32 v146 /*v402*/, v146 /*v402*/, v168
	s_set_vgpr_msb 0                        ;  msbs: dst=0 src0=0 src1=0 src2=0
	v_mul_i32_i24_e32 v113, v113, v168
	s_set_vgpr_msb 1                        ;  msbs: dst=0 src0=1 src1=0 src2=0
	v_mul_i32_i24_e32 v168, v134 /*v390*/, v168
	v_mul_i32_i24_e32 v59, v134 /*v390*/, v59
	s_set_vgpr_msb 64                       ;  msbs: dst=1 src0=0 src1=0 src2=0
	v_mul_i32_i24_e32 v134 /*v390*/, v111, v60
	s_set_vgpr_msb 0                        ;  msbs: dst=0 src0=0 src1=0 src2=0
	v_mul_i32_i24_e32 v109, v109, v63
	v_mul_i32_i24_e32 v111, v111, v63
	s_set_vgpr_msb 1                        ;  msbs: dst=0 src0=1 src1=0 src2=0
	v_mul_i32_i24_e32 v63, v133 /*v389*/, v63
	v_mul_i32_i24_e32 v60, v133 /*v389*/, v60
	s_set_vgpr_msb 0x41                     ;  msbs: dst=1 src0=1 src1=0 src2=0
	v_mul_i32_i24_e32 v133 /*v389*/, v155 /*v411*/, v51
	s_set_vgpr_msb 1                        ;  msbs: dst=0 src0=1 src1=0 src2=0
	v_mul_i32_i24_e32 v51, v141 /*v397*/, v51
	s_set_vgpr_msb 0x41                     ;  msbs: dst=1 src0=1 src1=0 src2=0
	v_mul_i32_i24_e32 v155 /*v411*/, v155 /*v411*/, v61
	s_set_vgpr_msb 1                        ;  msbs: dst=0 src0=1 src1=0 src2=0
	;; [unrolled: 4-line block ×4, first 2 shown]
	v_mul_i32_i24_e32 v58, v137 /*v393*/, v58
	s_set_vgpr_msb 5                        ;  msbs: dst=0 src0=1 src1=1 src2=0
	v_add3_u32 v69, v135 /*v391*/, v197 /*v453*/, v69
	s_set_vgpr_msb 0x41                     ;  msbs: dst=1 src0=1 src1=0 src2=0
	v_mul_i32_i24_e32 v135 /*v391*/, v154 /*v410*/, v39
	v_mul_i32_i24_e32 v154 /*v410*/, v154 /*v410*/, v33
	s_wait_dscnt 0x0
	v_mul_i32_i24_e32 v118 /*v374*/, v118 /*v374*/, v234
	s_set_vgpr_msb 1                        ;  msbs: dst=0 src0=1 src1=0 src2=0
	v_add3_u32 v211, v174 /*v430*/, v211, v216
	s_set_vgpr_msb 0x55                     ;  msbs: dst=1 src0=1 src1=1 src2=1
	v_add3_u32 v152 /*v408*/, v167 /*v423*/, v152 /*v408*/, v161 /*v417*/
	s_set_vgpr_msb 0x41                     ;  msbs: dst=1 src0=1 src1=0 src2=0
	v_mul_i32_i24_e32 v167 /*v423*/, v144 /*v400*/, v55
	s_set_vgpr_msb 1                        ;  msbs: dst=0 src0=1 src1=0 src2=0
	v_add3_u32 v241, v168 /*v424*/, v242, v241
	v_mul_i32_i24_e32 v242, v162 /*v418*/, v45
	v_add3_u32 v188, v142 /*v398*/, v236, v188
	v_mul_i32_i24_e32 v236, v162 /*v418*/, v55
	s_set_vgpr_msb 17                       ;  msbs: dst=0 src0=1 src1=0 src2=1
	v_add3_u32 v208, v45 /*v301*/, v208, v101 /*v357*/
	s_set_vgpr_msb 0x41                     ;  msbs: dst=1 src0=1 src1=0 src2=0
	v_mul_i32_i24_e32 v45 /*v301*/, v130 /*v386*/, v45
	v_mul_i32_i24_e32 v101 /*v357*/, v130 /*v386*/, v55
	s_set_vgpr_msb 17                       ;  msbs: dst=0 src0=1 src1=0 src2=1
	v_add3_u32 v55, v31 /*v287*/, v209, v158 /*v414*/
	s_set_vgpr_msb 1                        ;  msbs: dst=0 src0=1 src1=0 src2=0
	v_add3_u32 v186, v30 /*v286*/, v210, v186
	s_set_vgpr_msb 20                       ;  msbs: dst=0 src0=0 src1=1 src2=1
	v_add3_u32 v229, v229, v160 /*v416*/, v111 /*v367*/
	s_set_vgpr_msb 0x41                     ;  msbs: dst=1 src0=1 src1=0 src2=0
	v_mul_i32_i24_e32 v111 /*v367*/, v150 /*v406*/, v54
	v_mul_i32_i24_e32 v158 /*v414*/, v128 /*v384*/, v42
	s_set_vgpr_msb 0                        ;  msbs: dst=0 src0=0 src1=0 src2=0
	v_add3_u32 v184, v206, v184, v185
	s_set_vgpr_msb 20                       ;  msbs: dst=0 src0=0 src1=1 src2=1
	v_add3_u32 v204, v204, v124 /*v380*/, v117 /*v373*/
	s_set_vgpr_msb 0x41                     ;  msbs: dst=1 src0=1 src1=0 src2=0
	v_mul_i32_i24_e32 v117 /*v373*/, v128 /*v384*/, v28
	v_mul_i32_i24_e32 v124 /*v380*/, v162 /*v418*/, v25
	s_set_vgpr_msb 20                       ;  msbs: dst=0 src0=0 src1=1 src2=1
	v_add3_u32 v102, v102, v120 /*v376*/, v164 /*v420*/
	s_set_vgpr_msb 0x41                     ;  msbs: dst=1 src0=1 src1=0 src2=0
	v_mul_i32_i24_e32 v120 /*v376*/, v130 /*v386*/, v27
	s_set_vgpr_msb 1                        ;  msbs: dst=0 src0=1 src1=0 src2=0
	v_mul_i32_i24_e32 v54, v128 /*v384*/, v54
	s_set_vgpr_msb 0x41                     ;  msbs: dst=1 src0=1 src1=0 src2=0
	v_mul_i32_i24_e32 v203 /*v459*/, v144 /*v400*/, v31
	s_set_vgpr_msb 16                       ;  msbs: dst=0 src0=0 src1=0 src2=1
	v_add3_u32 v202, v202, v222, v116 /*v372*/
	s_set_vgpr_msb 1                        ;  msbs: dst=0 src0=1 src1=0 src2=0
	v_mul_i32_i24_e32 v222, v130 /*v386*/, v31
	s_set_vgpr_msb 0x41                     ;  msbs: dst=1 src0=1 src1=0 src2=0
	v_mul_i32_i24_e32 v205 /*v461*/, v144 /*v400*/, v45
	s_set_vgpr_msb 0x55                     ;  msbs: dst=1 src0=1 src1=1 src2=1
	v_add3_u32 v46 /*v302*/, v46 /*v302*/, v121 /*v377*/, v122 /*v378*/
	s_set_vgpr_msb 0x41                     ;  msbs: dst=1 src0=1 src1=0 src2=0
	v_mul_i32_i24_e32 v121 /*v377*/, v144 /*v400*/, v27
	v_mul_i32_i24_e32 v207 /*v463*/, v162 /*v418*/, v31
	;; [unrolled: 1-line block ×4, first 2 shown]
	s_set_vgpr_msb 0x55                     ;  msbs: dst=1 src0=1 src1=1 src2=1
	v_add3_u32 v43 /*v299*/, v43 /*v299*/, v188 /*v444*/, v189 /*v445*/
	s_set_vgpr_msb 0x41                     ;  msbs: dst=1 src0=1 src1=0 src2=0
	v_mul_i32_i24_e32 v189 /*v445*/, v128 /*v384*/, v46
	v_mul_i32_i24_e32 v215 /*v471*/, v128 /*v384*/, v26
	;; [unrolled: 1-line block ×3, first 2 shown]
	s_set_vgpr_msb 17                       ;  msbs: dst=0 src0=1 src1=0 src2=1
	v_add3_u32 v244, v42 /*v298*/, v244, v191 /*v447*/
	s_set_vgpr_msb 0x55                     ;  msbs: dst=1 src0=1 src1=1 src2=1
	v_add3_u32 v40 /*v296*/, v40 /*v296*/, v192 /*v448*/, v193 /*v449*/
	s_set_vgpr_msb 0x41                     ;  msbs: dst=1 src0=1 src1=0 src2=0
	v_mul_i32_i24_e32 v192 /*v448*/, v130 /*v386*/, v11
	v_mul_i32_i24_e32 v218 /*v474*/, v162 /*v418*/, v11
	s_set_vgpr_msb 1                        ;  msbs: dst=0 src0=1 src1=0 src2=0
	v_mul_i32_i24_e32 v11, v144 /*v400*/, v11
	s_set_vgpr_msb 0x41                     ;  msbs: dst=1 src0=1 src1=0 src2=0
	v_mul_i32_i24_e32 v219 /*v475*/, v144 /*v400*/, v25
	s_set_vgpr_msb 21                       ;  msbs: dst=0 src0=1 src1=1 src2=1
	v_add3_u32 v25, v37 /*v293*/, v194 /*v450*/, v87 /*v343*/
	s_set_vgpr_msb 0x41                     ;  msbs: dst=1 src0=1 src1=0 src2=0
	v_mul_i32_i24_e32 v87 /*v343*/, v150 /*v406*/, v33
	v_mul_i32_i24_e32 v220 /*v476*/, v162 /*v418*/, v32
	v_mul_i32_i24_e32 v221 /*v477*/, v128 /*v384*/, v39
	v_mul_i32_i24_e32 v128 /*v384*/, v128 /*v384*/, v33
	v_mul_i32_i24_e32 v222 /*v478*/, v144 /*v400*/, v234
	v_mul_i32_i24_e32 v144 /*v400*/, v144 /*v400*/, v32
	v_mul_i32_i24_e32 v162 /*v418*/, v162 /*v418*/, v234
	s_set_vgpr_msb 1                        ;  msbs: dst=0 src0=1 src1=0 src2=0
	v_mul_i32_i24_e32 v234, v130 /*v386*/, v234
	s_set_vgpr_msb 0x41                     ;  msbs: dst=1 src0=1 src1=0 src2=0
	v_mul_i32_i24_e32 v130 /*v386*/, v130 /*v386*/, v32
	v_mul_i32_i24_e32 v223 /*v479*/, v159 /*v415*/, v23
	;; [unrolled: 1-line block ×3, first 2 shown]
	s_set_vgpr_msb 1                        ;  msbs: dst=0 src0=1 src1=0 src2=0
	v_add3_u32 v23, v23 /*v279*/, v174, v178
	s_set_vgpr_msb 5                        ;  msbs: dst=0 src0=1 src1=1 src2=0
	v_add3_u32 v217, v28 /*v284*/, v183 /*v439*/, v217
	s_set_vgpr_msb 0x55                     ;  msbs: dst=1 src0=1 src1=1 src2=1
	v_add3_u32 v23 /*v279*/, v32 /*v288*/, v190 /*v446*/, v200 /*v456*/
	s_set_vgpr_msb 0                        ;  msbs: dst=0 src0=0 src1=0 src2=0
	v_cvt_f32_i32_e32 v33, v139
	v_cvt_f32_i32_e32 v32, v66
	s_set_vgpr_msb 21                       ;  msbs: dst=0 src0=1 src1=1 src2=1
	v_mad_i32_i24 v66, v93 /*v349*/, v0 /*v256*/, v103 /*v359*/
	s_set_vgpr_msb 0                        ;  msbs: dst=0 src0=0 src1=0 src2=0
	v_mul_i32_i24_e32 v97, v173, v41
	v_mul_i32_i24_e32 v110, v173, v56
	;; [unrolled: 1-line block ×4, first 2 shown]
	s_set_vgpr_msb 1                        ;  msbs: dst=0 src0=1 src1=0 src2=0
	v_mul_i32_i24_e32 v137, v148 /*v404*/, v56
	v_mul_i32_i24_e32 v101, v148 /*v404*/, v40
	s_set_vgpr_msb 0x41                     ;  msbs: dst=1 src0=1 src1=0 src2=0
	v_mul_i32_i24_e32 v171 /*v427*/, v148 /*v404*/, v53
	v_mul_i32_i24_e32 v196 /*v452*/, v148 /*v404*/, v35
	;; [unrolled: 1-line block ×3, first 2 shown]
	s_set_vgpr_msb 1                        ;  msbs: dst=0 src0=1 src1=0 src2=0
	v_mul_i32_i24_e32 v218, v148 /*v404*/, v44
	s_set_vgpr_msb 0x41                     ;  msbs: dst=1 src0=1 src1=0 src2=0
	v_mul_i32_i24_e32 v137 /*v393*/, v148 /*v404*/, v41
	v_mul_i32_i24_e32 v148 /*v404*/, v148 /*v404*/, v30
	;; [unrolled: 1-line block ×3, first 2 shown]
	s_set_vgpr_msb 1                        ;  msbs: dst=0 src0=1 src1=0 src2=0
	v_add3_u32 v226, v132 /*v388*/, v226, v227
	v_mul_i32_i24_e32 v227, v115 /*v371*/, v57
	s_set_vgpr_msb 0x41                     ;  msbs: dst=1 src0=1 src1=0 src2=0
	v_mul_i32_i24_e32 v132 /*v388*/, v115 /*v371*/, v52
	s_set_vgpr_msb 1                        ;  msbs: dst=0 src0=1 src1=0 src2=0
	v_add3_u32 v70, v175 /*v431*/, v70, v225
	v_mul_i32_i24_e32 v225, v115 /*v371*/, v38
	s_set_vgpr_msb 0x41                     ;  msbs: dst=1 src0=1 src1=0 src2=0
	v_mul_i32_i24_e32 v175 /*v431*/, v115 /*v371*/, v29
	s_set_vgpr_msb 1                        ;  msbs: dst=0 src0=1 src1=0 src2=0
	v_mul_i32_i24_e32 v216, v115 /*v371*/, v36
	s_set_vgpr_msb 0x41                     ;  msbs: dst=1 src0=1 src1=0 src2=0
	v_mul_i32_i24_e32 v174 /*v430*/, v115 /*v371*/, v15
	v_mul_i32_i24_e32 v115 /*v371*/, v115 /*v371*/, v235
	s_set_vgpr_msb 64                       ;  msbs: dst=1 src0=0 src1=0 src2=0
	v_mul_i32_i24_e32 v161 /*v417*/, v119, v57
	s_set_vgpr_msb 0x41                     ;  msbs: dst=1 src0=1 src1=0 src2=0
	v_mul_i32_i24_e32 v168 /*v424*/, v159 /*v415*/, v57
	v_mul_i32_i24_e32 v142 /*v398*/, v159 /*v415*/, v52
	s_set_vgpr_msb 1                        ;  msbs: dst=0 src0=1 src1=0 src2=0
	v_mul_i32_i24_e32 v57, v143 /*v399*/, v57
	s_set_vgpr_msb 0x41                     ;  msbs: dst=1 src0=1 src1=0 src2=0
	v_mul_i32_i24_e32 v202 /*v458*/, v143 /*v399*/, v52
	v_mul_i32_i24_e32 v31 /*v287*/, v150 /*v406*/, v42
	s_set_vgpr_msb 1                        ;  msbs: dst=0 src0=1 src1=0 src2=0
	v_mul_i32_i24_e32 v210, v153 /*v409*/, v56
	s_set_vgpr_msb 0x41                     ;  msbs: dst=1 src0=1 src1=0 src2=0
	v_mul_i32_i24_e32 v30 /*v286*/, v153 /*v409*/, v53
	s_set_vgpr_msb 1                        ;  msbs: dst=0 src0=1 src1=0 src2=0
	v_mul_i32_i24_e32 v56, v140 /*v396*/, v56
	s_set_vgpr_msb 0x41                     ;  msbs: dst=1 src0=1 src1=0 src2=0
	v_mul_i32_i24_e32 v160 /*v416*/, v153 /*v409*/, v37
	s_set_vgpr_msb 20                       ;  msbs: dst=0 src0=0 src1=1 src2=1
	v_add3_u32 v228, v228, v108 /*v364*/, v163 /*v419*/
	s_set_vgpr_msb 0x41                     ;  msbs: dst=1 src0=1 src1=0 src2=0
	v_mul_i32_i24_e32 v108 /*v364*/, v140 /*v396*/, v35
	v_mul_i32_i24_e32 v163 /*v419*/, v159 /*v415*/, v36
	s_set_vgpr_msb 1                        ;  msbs: dst=0 src0=1 src1=0 src2=0
	v_mul_i32_i24_e32 v185, v143 /*v399*/, v38
	v_mul_i32_i24_e32 v206, v150 /*v406*/, v26
	s_set_vgpr_msb 0x41                     ;  msbs: dst=1 src0=1 src1=0 src2=0
	v_mul_i32_i24_e32 v164 /*v420*/, v140 /*v396*/, v53
	s_set_vgpr_msb 64                       ;  msbs: dst=1 src0=0 src1=0 src2=0
	v_mul_i32_i24_e32 v116 /*v372*/, v119, v52
	v_mul_i32_i24_e32 v204 /*v460*/, v119, v38
	s_set_vgpr_msb 0x41                     ;  msbs: dst=1 src0=1 src1=0 src2=0
	v_mul_i32_i24_e32 v122 /*v378*/, v143 /*v399*/, v29
	s_set_vgpr_msb 0                        ;  msbs: dst=0 src0=0 src1=0 src2=0
	v_add3_u32 v180, v201, v180, v181
	v_mul_i32_i24_e32 v181, v119, v29
	s_set_vgpr_msb 1                        ;  msbs: dst=0 src0=1 src1=0 src2=0
	v_mul_i32_i24_e32 v201, v150 /*v406*/, v28
	s_set_vgpr_msb 0x41                     ;  msbs: dst=1 src0=1 src1=0 src2=0
	v_mul_i32_i24_e32 v208 /*v464*/, v159 /*v415*/, v38
	v_mul_i32_i24_e32 v209 /*v465*/, v159 /*v415*/, v29
	;; [unrolled: 1-line block ×3, first 2 shown]
	s_set_vgpr_msb 0                        ;  msbs: dst=0 src0=0 src1=0 src2=0
	v_add3_u32 v182, v200, v182, v183
	s_set_vgpr_msb 1                        ;  msbs: dst=0 src0=1 src1=0 src2=0
	v_mul_i32_i24_e32 v200, v150 /*v406*/, v46
	s_set_vgpr_msb 0x41                     ;  msbs: dst=1 src0=1 src1=0 src2=0
	v_mul_i32_i24_e32 v188 /*v444*/, v159 /*v415*/, v15
	v_mul_i32_i24_e32 v214 /*v470*/, v140 /*v396*/, v37
	;; [unrolled: 1-line block ×4, first 2 shown]
	s_set_vgpr_msb 64                       ;  msbs: dst=1 src0=0 src1=0 src2=0
	v_mul_i32_i24_e32 v193 /*v449*/, v119, v36
	s_set_vgpr_msb 0                        ;  msbs: dst=0 src0=0 src1=0 src2=0
	v_mul_i32_i24_e32 v15, v119, v15
	v_mul_i32_i24_e32 v235, v119, v235
	;; [unrolled: 1-line block ×3, first 2 shown]
	s_set_vgpr_msb 0x41                     ;  msbs: dst=1 src0=1 src1=0 src2=0
	v_mul_i32_i24_e32 v150 /*v406*/, v150 /*v406*/, v39
	s_set_vgpr_msb 5                        ;  msbs: dst=0 src0=1 src1=1 src2=0
	v_add3_u32 v178, v25 /*v281*/, v199 /*v455*/, v212
	s_set_vgpr_msb 1                        ;  msbs: dst=0 src0=1 src1=0 src2=0
	v_add3_u32 v212, v26 /*v282*/, v47, v48
	s_set_vgpr_msb 0x41                     ;  msbs: dst=1 src0=1 src1=0 src2=0
	v_add3_u32 v25 /*v281*/, v169 /*v425*/, v51, v49
	s_set_vgpr_msb 1                        ;  msbs: dst=0 src0=1 src1=0 src2=0
	v_add3_u32 v58, v177 /*v433*/, v61, v58
	v_add3_u32 v61, v184 /*v440*/, v111, v113
	s_set_vgpr_msb 16                       ;  msbs: dst=0 src0=0 src1=0 src2=1
	v_add3_u32 v113, v230, v115, v92 /*v348*/
	s_set_vgpr_msb 20                       ;  msbs: dst=0 src0=0 src1=1 src2=1
	v_add3_u32 v115, v231, v71 /*v327*/, v68 /*v324*/
	v_cvt_f32_i32_e32 v29, v72
	s_set_vgpr_msb 1                        ;  msbs: dst=0 src0=1 src1=0 src2=0
	v_cvt_f32_i32_e32 v28, v166 /*v422*/
	v_cvt_f32_i32_e32 v37, v109 /*v365*/
	;; [unrolled: 1-line block ×3, first 2 shown]
	s_set_vgpr_msb 0                        ;  msbs: dst=0 src0=0 src1=0 src2=0
	v_cvt_f32_i32_e32 v39, v145
	s_set_vgpr_msb 1                        ;  msbs: dst=0 src0=1 src1=0 src2=0
	v_cvt_f32_i32_e32 v38, v107 /*v363*/
	s_set_vgpr_msb 0                        ;  msbs: dst=0 src0=0 src1=0 src2=0
	v_cvt_f32_i32_e32 v45, v68
	v_cvt_f32_i32_e32 v46, v240
	s_set_vgpr_msb 1                        ;  msbs: dst=0 src0=1 src1=0 src2=0
	v_cvt_f32_i32_e32 v47, v119 /*v375*/
	s_set_vgpr_msb 16                       ;  msbs: dst=0 src0=0 src1=0 src2=1
	v_add3_u32 v68, v124, v190, v100 /*v356*/
	v_cvt_f32_i32_e32 v49, v67
	s_set_vgpr_msb 1                        ;  msbs: dst=0 src0=1 src1=0 src2=0
	v_cvt_f32_i32_e32 v52, v89 /*v345*/
	s_set_vgpr_msb 0                        ;  msbs: dst=0 src0=0 src1=0 src2=0
	v_cvt_f32_i32_e32 v53, v143
	s_set_vgpr_msb 1                        ;  msbs: dst=0 src0=1 src1=0 src2=0
	v_add3_u32 v67, v152 /*v408*/, v121, v123
	s_set_vgpr_msb 20                       ;  msbs: dst=0 src0=0 src1=1 src2=1
	v_add3_u32 v64, v64, v13 /*v269*/, v14 /*v270*/
	v_add3_u32 v123, v55, v19 /*v275*/, v34 /*v290*/
	;; [unrolled: 1-line block ×7, first 2 shown]
	s_set_vgpr_msb 1                        ;  msbs: dst=0 src0=1 src1=0 src2=0
	v_add3_u32 v143, v173 /*v429*/, v177, v179
	s_set_vgpr_msb 0                        ;  msbs: dst=0 src0=0 src1=0 src2=0
	v_add3_u32 v108, v184, v191, v108
	v_add3_u32 v179, v211, v243, v237
	v_add3_u32 v184, v244, v252, v249
	v_add3_u32 v186, v23, v245, v253
	s_set_vgpr_msb 4                        ;  msbs: dst=0 src0=0 src1=1 src2=0
	v_add3_u32 v73, v73, v4 /*v260*/, v238
	s_set_vgpr_msb 0                        ;  msbs: dst=0 src0=0 src1=0 src2=0
	v_add3_u32 v102, v102, v175, v149
	v_add3_u32 v142, v217, v142, v144
	s_set_vgpr_msb 1                        ;  msbs: dst=0 src0=1 src1=0 src2=0
	v_add3_u32 v138, v23 /*v279*/, v138, v140
	s_set_vgpr_msb 16                       ;  msbs: dst=0 src0=0 src1=0 src2=1
	v_pk_mul_f32 v[32:33], v[22:23], v[32:33] op_sel_hi:[0,1]
	v_cvt_f32_i32_e32 v23, v66
	v_dual_mov_b32 v24, v19 :: v_dual_mov_b32 v21, v19
	v_add3_u32 v97, v115, v97, v197 /*v453*/
	v_pk_mul_f32 v[28:29], v[18:19], v[28:29] op_sel_hi:[0,1]
	v_pk_mul_f32 v[36:37], v[18:19], v[36:37] op_sel_hi:[0,1]
	v_pk_mul_f32 v[38:39], v[22:23], v[38:39] op_sel_hi:[0,1]
	v_pk_mul_f32 v[46:47], v[18:19], v[46:47]
	v_cvt_f32_i32_e32 v19, v68
	v_pk_mul_f32 v[52:53], v[22:23], v[52:53] op_sel_hi:[0,1]
	v_add3_u32 v22, v64, v210, v168 /*v424*/
	s_set_vgpr_msb 20                       ;  msbs: dst=0 src0=0 src1=1 src2=1
	v_add3_u32 v64, v71, v30 /*v286*/, v142 /*v398*/
	s_set_vgpr_msb 4                        ;  msbs: dst=0 src0=0 src1=1 src2=0
	v_add3_u32 v66, v123, v111 /*v367*/, v236
	s_set_vgpr_msb 20                       ;  msbs: dst=0 src0=0 src1=1 src2=1
	v_add3_u32 v68, v184, v160 /*v416*/, v163 /*v419*/
	s_set_vgpr_msb 4                        ;  msbs: dst=0 src0=0 src1=1 src2=0
	v_add3_u32 v71, v179, v108 /*v364*/, v185
	s_set_vgpr_msb 0                        ;  msbs: dst=0 src0=0 src1=0 src2=0
	v_add3_u32 v56, v76, v56, v57
	s_set_vgpr_msb 20                       ;  msbs: dst=0 src0=0 src1=1 src2=1
	v_add3_u32 v57, v69, v158 /*v414*/, v45 /*v301*/
	v_add3_u32 v69, v139, v164 /*v420*/, v202 /*v458*/
	;; [unrolled: 1-line block ×3, first 2 shown]
	s_set_vgpr_msb 0                        ;  msbs: dst=0 src0=0 src1=0 src2=0
	v_add3_u32 v67, v67, v101, v181
	s_set_vgpr_msb 4                        ;  msbs: dst=0 src0=0 src1=1 src2=0
	v_add3_u32 v11, v102, v185 /*v441*/, v11
	v_add3_u32 v102, v138, v148 /*v404*/, v235
	;; [unrolled: 1-line block ×3, first 2 shown]
	s_set_vgpr_msb 21                       ;  msbs: dst=0 src0=1 src1=1 src2=1
	v_add3_u32 v174, v24 /*v280*/, v156 /*v412*/, v176 /*v432*/
	s_set_vgpr_msb 5                        ;  msbs: dst=0 src0=1 src1=1 src2=0
	v_add3_u32 v224, v29 /*v285*/, v187 /*v443*/, v224
	s_set_vgpr_msb 0x55                     ;  msbs: dst=1 src0=1 src1=1 src2=1
	v_add3_u32 v26 /*v282*/, v170 /*v426*/, v155 /*v411*/, v138 /*v394*/
	s_set_vgpr_msb 1                        ;  msbs: dst=0 src0=1 src1=0 src2=0
	v_add3_u32 v59, v180 /*v436*/, v60, v59
	s_set_vgpr_msb 17                       ;  msbs: dst=0 src0=1 src1=0 src2=1
	v_add3_u32 v60, v182 /*v438*/, v109, v146 /*v402*/
	s_set_vgpr_msb 21                       ;  msbs: dst=0 src0=1 src1=1 src2=1
	v_mad_i32_i24 v72, v93 /*v349*/, v35 /*v291*/, v102 /*v358*/
	s_set_vgpr_msb 0                        ;  msbs: dst=0 src0=0 src1=0 src2=0
	v_mul_lo_u32 v97, v97, v170
	v_mul_lo_u32 v66, v66, v128
	;; [unrolled: 1-line block ×10, first 2 shown]
	v_mul_i32_i24_e32 v118, v173, v40
	v_mul_i32_i24_e32 v122, v173, v35
	;; [unrolled: 1-line block ×3, first 2 shown]
	s_set_vgpr_msb 1                        ;  msbs: dst=0 src0=1 src1=0 src2=0
	v_mul_i32_i24_e32 v209, v140 /*v396*/, v40
	s_set_vgpr_msb 0x41                     ;  msbs: dst=1 src0=1 src1=0 src2=0
	v_mul_i32_i24_e32 v206 /*v462*/, v153 /*v409*/, v40
	v_mul_i32_i24_e32 v212 /*v468*/, v153 /*v409*/, v35
	s_set_vgpr_msb 1                        ;  msbs: dst=0 src0=1 src1=0 src2=0
	v_mul_i32_i24_e32 v183, v153 /*v409*/, v44
	s_set_vgpr_msb 0x41                     ;  msbs: dst=1 src0=1 src1=0 src2=0
	v_mul_i32_i24_e32 v216 /*v472*/, v140 /*v396*/, v44
	v_mul_i32_i24_e32 v37 /*v293*/, v153 /*v409*/, v30
	v_mul_i32_i24_e32 v153 /*v409*/, v153 /*v409*/, v41
	v_mul_i32_i24_e32 v194 /*v450*/, v140 /*v396*/, v41
	v_mul_i32_i24_e32 v159 /*v415*/, v159 /*v415*/, v34
	s_set_vgpr_msb 1                        ;  msbs: dst=0 src0=1 src1=0 src2=0
	v_add3_u32 v63, v186 /*v442*/, v63, v168
	s_set_vgpr_msb 20                       ;  msbs: dst=0 src0=0 src1=1 src2=1
	v_add3_u32 v109, v203, v81 /*v337*/, v82 /*v338*/
	s_set_vgpr_msb 21                       ;  msbs: dst=0 src0=1 src1=1 src2=1
	v_add3_u32 v111, v47 /*v303*/, v76 /*v332*/, v80 /*v336*/
	s_set_vgpr_msb 20                       ;  msbs: dst=0 src0=0 src1=1 src2=1
	v_add3_u32 v168, v233, v74 /*v330*/, v75 /*v331*/
	v_add3_u32 v203, v207, v67 /*v323*/, v66 /*v322*/
	;; [unrolled: 1-line block ×3, first 2 shown]
	v_cvt_f32_i32_e32 v41, v75
	s_set_vgpr_msb 1                        ;  msbs: dst=0 src0=1 src1=0 src2=0
	v_cvt_f32_i32_e32 v40, v105 /*v361*/
	v_cvt_f32_i32_e32 v43, v91 /*v347*/
	s_set_vgpr_msb 0                        ;  msbs: dst=0 src0=0 src1=0 src2=0
	v_cvt_f32_i32_e32 v42, v221
	s_set_vgpr_msb 1                        ;  msbs: dst=0 src0=1 src1=0 src2=0
	v_cvt_f32_i32_e32 v44, v94 /*v350*/
	s_set_vgpr_msb 20                       ;  msbs: dst=0 src0=0 src1=1 src2=1
	v_add3_u32 v121, v215, v39 /*v295*/, v41 /*v297*/
	s_set_vgpr_msb 16                       ;  msbs: dst=0 src0=0 src1=0 src2=1
	v_add3_u32 v125, v229, v125, v151 /*v407*/
	s_set_vgpr_msb 0                        ;  msbs: dst=0 src0=0 src1=0 src2=0
	v_add3_u32 v174, v174, v255, v254
	s_set_vgpr_msb 4                        ;  msbs: dst=0 src0=0 src1=1 src2=0
	v_add3_u32 v77, v77, v5 /*v261*/, v239
	s_set_vgpr_msb 16                       ;  msbs: dst=0 src0=0 src1=0 src2=1
	v_add3_u32 v65, v25, v65, v22 /*v278*/
	s_set_vgpr_msb 0                        ;  msbs: dst=0 src0=0 src1=0 src2=0
	v_add3_u32 v60, v60, v104, v126
	v_add3_u32 v84, v224, v84, v85
	s_set_vgpr_msb 1                        ;  msbs: dst=0 src0=1 src1=0 src2=0
	v_add3_u32 v85, v26 /*v282*/, v114, v120
	s_set_vgpr_msb 4                        ;  msbs: dst=0 src0=0 src1=1 src2=0
	v_cvt_f32_i32_e32 v25, v72
	v_add3_u32 v61, v61, v86 /*v342*/, v106
	s_set_vgpr_msb 0                        ;  msbs: dst=0 src0=0 src1=0 src2=0
	v_add3_u32 v59, v59, v107, v117
	s_set_vgpr_msb 20                       ;  msbs: dst=0 src0=0 src1=1 src2=1
	v_add3_u32 v106, v168, v72 /*v328*/, v110 /*v366*/
	s_set_vgpr_msb 0                        ;  msbs: dst=0 src0=0 src1=0 src2=0
	v_add3_u32 v107, v111, v110, v227
	s_set_vgpr_msb 16                       ;  msbs: dst=0 src0=0 src1=0 src2=1
	v_add3_u32 v109, v109, v112, v132 /*v388*/
	s_set_vgpr_msb 20                       ;  msbs: dst=0 src0=0 src1=1 src2=1
	v_add3_u32 v112, v113, v58 /*v314*/, v178 /*v434*/
	s_set_vgpr_msb 0                        ;  msbs: dst=0 src0=0 src1=0 src2=0
	v_add3_u32 v105, v105, v122, v225
	s_set_vgpr_msb 16                       ;  msbs: dst=0 src0=0 src1=0 src2=1
	v_add3_u32 v113, v203, v118, v175 /*v431*/
	v_pk_mul_f32 v[40:41], v[24:25], v[40:41] op_sel_hi:[0,1]
	v_pk_mul_f32 v[42:43], v[24:25], v[42:43] op_sel_hi:[0,1]
	;; [unrolled: 1-line block ×3, first 2 shown]
	s_set_vgpr_msb 4                        ;  msbs: dst=0 src0=0 src1=1 src2=0
	v_add3_u32 v24, v121, v31 /*v287*/, v242
	s_set_vgpr_msb 20                       ;  msbs: dst=0 src0=0 src1=1 src2=1
	v_add3_u32 v72, v186, v117 /*v373*/, v120 /*v376*/
	s_set_vgpr_msb 16                       ;  msbs: dst=0 src0=0 src1=0 src2=1
	v_add3_u32 v120, v174, v206, v124 /*v380*/
	v_add3_u32 v76, v125, v147, v203 /*v459*/
	s_set_vgpr_msb 20                       ;  msbs: dst=0 src0=0 src1=1 src2=1
	v_add3_u32 v77, v77, v198 /*v454*/, v205 /*v461*/
	v_add3_u32 v84, v84, v154 /*v410*/, v144 /*v400*/
	;; [unrolled: 1-line block ×4, first 2 shown]
	s_set_vgpr_msb 1                        ;  msbs: dst=0 src0=1 src1=0 src2=0
	v_add3_u32 v62, v27 /*v283*/, v50, v62
	s_set_vgpr_msb 0x55                     ;  msbs: dst=1 src0=1 src1=1 src2=1
	v_add3_u32 v27 /*v283*/, v172 /*v428*/, v134 /*v390*/, v201 /*v457*/
	s_set_vgpr_msb 0                        ;  msbs: dst=0 src0=0 src1=0 src2=0
	v_mul_lo_u32 v107, v107, v170
	v_mul_lo_u32 v113, v113, v170
	;; [unrolled: 1-line block ×4, first 2 shown]
	v_mad_u32 v97, v106, v135, v97
	v_mad_u32 v24, v24, v128, v64
	;; [unrolled: 1-line block ×10, first 2 shown]
	s_set_vgpr_msb 21                       ;  msbs: dst=0 src0=1 src1=1 src2=1
	v_add3_u32 v207, v145 /*v401*/, v97 /*v353*/, v61 /*v317*/
	s_set_vgpr_msb 20                       ;  msbs: dst=0 src0=0 src1=1 src2=1
	v_add3_u32 v230, v232, v77 /*v333*/, v59 /*v315*/
	s_set_vgpr_msb 1                        ;  msbs: dst=0 src0=1 src1=0 src2=0
	v_add3_u32 v130, v27 /*v283*/, v130, v132
	s_set_vgpr_msb 0                        ;  msbs: dst=0 src0=0 src1=0 src2=0
	v_add3_u32 v75, v188, v189, v187
	s_set_vgpr_msb 20                       ;  msbs: dst=0 src0=0 src1=1 src2=1
	v_add3_u32 v187, v226, v2 /*v258*/, v126 /*v382*/
	s_set_vgpr_msb 4                        ;  msbs: dst=0 src0=0 src1=1 src2=0
	v_add3_u32 v189, v228, v99 /*v355*/, v247
	v_add3_u32 v70, v70, v8 /*v264*/, v74
	s_set_vgpr_msb 20                       ;  msbs: dst=0 src0=0 src1=1 src2=1
	v_add3_u32 v74, v241, v21 /*v277*/, v20 /*v276*/
	v_add3_u32 v182, v182, v17 /*v273*/, v18 /*v274*/
	;; [unrolled: 1-line block ×3, first 2 shown]
	s_set_vgpr_msb 0                        ;  msbs: dst=0 src0=0 src1=0 src2=0
	v_add3_u32 v62, v62, v197, v198
	s_set_vgpr_msb 16                       ;  msbs: dst=0 src0=0 src1=0 src2=1
	v_add3_u32 v110, v230, v129, v129 /*v385*/
	v_add3_u32 v111, v207, v127, v195 /*v451*/
	s_set_vgpr_msb 20                       ;  msbs: dst=0 src0=0 src1=1 src2=1
	v_add3_u32 v130, v130, v87 /*v343*/, v220 /*v476*/
	s_set_vgpr_msb 64                       ;  msbs: dst=1 src0=0 src1=0 src2=0
	s_clause 0x5
	scratch_load_b32 v199 /*v455*/, off, off offset:96
	scratch_load_b32 v200 /*v456*/, off, off offset:100
	;; [unrolled: 1-line block ×6, first 2 shown]
	s_set_vgpr_msb 20                       ;  msbs: dst=0 src0=0 src1=1 src2=1
	v_cvt_f32_i32_e32 v31, v213
	scratch_load_b64 v[212:213], off, off offset:8 th:TH_LOAD_LU ; 8-byte Folded Reload
	v_add3_u32 v121, v187, v196 /*v452*/, v204 /*v460*/
	s_set_vgpr_msb 64                       ;  msbs: dst=1 src0=0 src1=0 src2=0
	s_clause 0x3
	scratch_load_b32 v204 /*v460*/, off, off offset:108
	scratch_load_b32 v196 /*v452*/, off, off offset:84
	;; [unrolled: 1-line block ×4, first 2 shown]
	s_set_vgpr_msb 20                       ;  msbs: dst=0 src0=0 src1=1 src2=1
	v_add3_u32 v74, v74, v206 /*v462*/, v209 /*v465*/
	s_set_vgpr_msb 64                       ;  msbs: dst=1 src0=0 src1=0 src2=0
	s_clause 0x1
	scratch_load_b32 v209 /*v465*/, off, off offset:128
	scratch_load_b32 v206 /*v462*/, off, off offset:116
	s_set_vgpr_msb 16                       ;  msbs: dst=0 src0=0 src1=0 src2=1
	v_add3_u32 v65, v65, v201, v210 /*v466*/
	s_set_vgpr_msb 64                       ;  msbs: dst=1 src0=0 src1=0 src2=0
	scratch_load_b32 v210 /*v466*/, off, off offset:132 ; 4-byte Folded Reload
	s_set_vgpr_msb 20                       ;  msbs: dst=0 src0=0 src1=1 src2=1
	v_add3_u32 v70, v70, v212 /*v468*/, v208 /*v464*/
	s_set_vgpr_msb 64                       ;  msbs: dst=1 src0=0 src1=0 src2=0
	s_clause 0x1
	scratch_load_b32 v212 /*v468*/, off, off offset:140
	scratch_load_b32 v208 /*v464*/, off, off offset:124
	s_set_vgpr_msb 20                       ;  msbs: dst=0 src0=0 src1=1 src2=1
	v_add3_u32 v101, v189, v211 /*v467*/, v207 /*v463*/
	s_set_vgpr_msb 64                       ;  msbs: dst=1 src0=0 src1=0 src2=0
	s_clause 0x1
	scratch_load_b32 v211 /*v467*/, off, off offset:136
	scratch_load_b32 v207 /*v463*/, off, off offset:120
	s_set_vgpr_msb 4                        ;  msbs: dst=0 src0=0 src1=1 src2=0
	v_add3_u32 v108, v108, v213 /*v469*/, v222
	s_set_vgpr_msb 64                       ;  msbs: dst=1 src0=0 src1=0 src2=0
	scratch_load_b32 v213 /*v469*/, off, off offset:144 ; 4-byte Folded Reload
	s_set_vgpr_msb 20                       ;  msbs: dst=0 src0=0 src1=1 src2=1
	v_add3_u32 v62, v62, v215 /*v471*/, v217 /*v473*/
	s_set_vgpr_msb 64                       ;  msbs: dst=1 src0=0 src1=0 src2=0
	scratch_load_b32 v215 /*v471*/, off, off offset:152 ; 4-byte Folded Reload
	s_set_vgpr_msb 20                       ;  msbs: dst=0 src0=0 src1=1 src2=1
	v_add3_u32 v125, v190, v214 /*v470*/, v191 /*v447*/
	s_set_vgpr_msb 64                       ;  msbs: dst=1 src0=0 src1=0 src2=0
	s_clause 0x1
	scratch_load_b32 v214 /*v470*/, off, off offset:148
	scratch_load_b32 v191 /*v447*/, off, off offset:64
	s_set_vgpr_msb 20                       ;  msbs: dst=0 src0=0 src1=1 src2=1
	v_add3_u32 v126, v182, v189 /*v445*/, v192 /*v448*/
	s_set_vgpr_msb 64                       ;  msbs: dst=1 src0=0 src1=0 src2=0
	s_clause 0x1
	scratch_load_b32 v192 /*v448*/, off, off offset:68
	scratch_load_b32 v189 /*v445*/, off, off offset:56
	s_set_vgpr_msb 0                        ;  msbs: dst=0 src0=0 src1=0 src2=0
	v_mad_u32 v106, v112, v135, v107
	v_mad_u32 v105, v111, v135, v105
	;; [unrolled: 1-line block ×4, first 2 shown]
	v_cvt_f32_i32_e32 v57, v97
	v_cvt_f32_i32_e32 v85, v22
	;; [unrolled: 1-line block ×4, first 2 shown]
	v_mov_b64_e32 v[66:67], v[80:81]
	v_mov_b64_e32 v[80:81], v[94:95]
	;; [unrolled: 1-line block ×3, first 2 shown]
	scratch_load_b64 v[92:93], off, off th:TH_LOAD_LU ; 8-byte Folded Reload
	v_cvt_f32_i32_e32 v111, v77
	v_cvt_f32_i32_e32 v110, v76
	v_mov_b64_e32 v[76:77], v[90:91]
	v_mov_b64_e32 v[90:91], v[0:1]
	scratch_load_b64 v[0:1], off, off offset:16 th:TH_LOAD_LU ; 8-byte Folded Reload
	v_mul_i32_i24_e32 v173, v173, v30
	s_set_vgpr_msb 0x41                     ;  msbs: dst=1 src0=1 src1=0 src2=0
	v_mul_i32_i24_e32 v143 /*v399*/, v143 /*v399*/, v34
	s_set_vgpr_msb 21                       ;  msbs: dst=0 src0=1 src1=1 src2=1
	v_add3_u32 v231, v131 /*v387*/, v63 /*v319*/, v62 /*v318*/
	v_add3_u32 v232, v48 /*v304*/, v57 /*v313*/, v54 /*v310*/
	s_set_vgpr_msb 5                        ;  msbs: dst=0 src0=1 src1=1 src2=0
	v_add3_u32 v172, v147 /*v403*/, v69 /*v325*/, v172
	s_set_vgpr_msb 20                       ;  msbs: dst=0 src0=0 src1=1 src2=1
	v_add3_u32 v58, v58, v84 /*v340*/, v85 /*v341*/
	v_add3_u32 v63, v63, v79 /*v335*/, v83 /*v339*/
	s_set_vgpr_msb 0x41                     ;  msbs: dst=1 src0=1 src1=0 src2=0
	v_mul_i32_i24_e32 v140 /*v396*/, v140 /*v396*/, v30
	s_set_vgpr_msb 1                        ;  msbs: dst=0 src0=1 src1=0 src2=0
	v_cvt_f32_i32_e32 v27, v165 /*v421*/
	v_cvt_f32_i32_e32 v26, v114 /*v370*/
	s_set_vgpr_msb 0                        ;  msbs: dst=0 src0=0 src1=0 src2=0
	v_cvt_f32_i32_e32 v30, v205
	s_set_vgpr_msb 1                        ;  msbs: dst=0 src0=1 src1=0 src2=0
	v_cvt_f32_i32_e32 v35, v106 /*v362*/
	v_cvt_f32_i32_e32 v34, v112 /*v368*/
	s_set_vgpr_msb 0                        ;  msbs: dst=0 src0=0 src1=0 src2=0
	v_cvt_f32_i32_e32 v50, v220
	s_set_vgpr_msb 1                        ;  msbs: dst=0 src0=1 src1=0 src2=0
	v_cvt_f32_i32_e32 v51, v157 /*v413*/
	v_add3_u32 v191, v43 /*v299*/, v194, v193
	s_set_vgpr_msb 0                        ;  msbs: dst=0 src0=0 src1=0 src2=0
	v_add3_u32 v176, v204, v192, v176
	s_set_vgpr_msb 16                       ;  msbs: dst=0 src0=0 src1=0 src2=1
	v_add3_u32 v100, v232, v100, v174 /*v430*/
	s_set_vgpr_msb 0                        ;  msbs: dst=0 src0=0 src1=0 src2=0
	v_add3_u32 v96, v231, v96, v216
	s_set_vgpr_msb 16                       ;  msbs: dst=0 src0=0 src1=0 src2=1
	v_add3_u32 v117, v172, v173, v115 /*v371*/
	v_add3_u32 v54, v124, v54, v101 /*v357*/
	s_set_vgpr_msb 4                        ;  msbs: dst=0 src0=0 src1=1 src2=0
	v_add3_u32 v63, v63, v221 /*v477*/, v234
	s_set_vgpr_msb 20                       ;  msbs: dst=0 src0=0 src1=1 src2=1
	v_add3_u32 v58, v58, v194 /*v450*/, v143 /*v399*/
	v_mov_b32_e32 v17, v5
	s_set_vgpr_msb 16                       ;  msbs: dst=0 src0=0 src1=0 src2=1
	v_pk_mul_f32 v[26:27], v[4:5], v[26:27]
	v_pk_mul_f32 v[30:31], v[4:5], v[30:31] op_sel_hi:[0,1]
	v_pk_mul_f32 v[34:35], v[4:5], v[34:35] op_sel_hi:[0,1]
	v_pk_mul_f32 v[50:51], v[4:5], v[50:51] op_sel_hi:[0,1]
	v_add3_u32 v5, v143, v137, v161 /*v417*/
	s_set_vgpr_msb 0                        ;  msbs: dst=0 src0=0 src1=0 src2=0
	v_add3_u32 v15, v176, v218, v15
	s_set_vgpr_msb 20                       ;  msbs: dst=0 src0=0 src1=1 src2=1
	v_add3_u32 v127, v191, v179 /*v435*/, v193 /*v449*/
	s_set_vgpr_msb 0                        ;  msbs: dst=0 src0=0 src1=0 src2=0
	v_mul_lo_u32 v109, v109, v170
	v_mul_lo_u32 v96, v96, v170
	;; [unrolled: 1-line block ×12, first 2 shown]
	s_set_vgpr_msb 20                       ;  msbs: dst=0 src0=0 src1=1 src2=1
	v_add3_u32 v103, v103, v96 /*v352*/, v98 /*v354*/
	s_set_vgpr_msb 21                       ;  msbs: dst=0 src0=1 src1=1 src2=1
	v_add3_u32 v233, v49 /*v305*/, v53 /*v309*/, v55 /*v311*/
	s_set_vgpr_msb 0x55                     ;  msbs: dst=1 src0=1 src1=1 src2=1
	v_add3_u32 v28 /*v284*/, v139 /*v395*/, v56 /*v312*/, v70 /*v326*/
	s_set_vgpr_msb 5                        ;  msbs: dst=0 src0=1 src1=1 src2=0
	v_add3_u32 v171, v149 /*v405*/, v73 /*v329*/, v171
	s_set_vgpr_msb 17                       ;  msbs: dst=0 src0=1 src1=0 src2=1
	v_add3_u32 v188, v40 /*v296*/, v199, v125 /*v381*/
	s_set_vgpr_msb 0                        ;  msbs: dst=0 src0=0 src1=0 src2=0
	v_add3_u32 v180, v180, v195, v196
	s_set_vgpr_msb 21                       ;  msbs: dst=0 src0=1 src1=1 src2=1
	v_add3_u32 v104, v25 /*v281*/, v78 /*v334*/, v88 /*v344*/
	s_set_vgpr_msb 0                        ;  msbs: dst=0 src0=0 src1=0 src2=0
	v_mul_lo_u32 v5, v5, v167
	v_mul_lo_u32 v127, v127, v167
	;; [unrolled: 1-line block ×3, first 2 shown]
	s_set_vgpr_msb 1                        ;  msbs: dst=0 src0=1 src1=0 src2=0
	v_cvt_f32_i32_e32 v48, v113 /*v369*/
	s_set_vgpr_msb 16                       ;  msbs: dst=0 src0=0 src1=0 src2=1
	v_add3_u32 v141, v208, v141, v12 /*v268*/
	s_set_vgpr_msb 0                        ;  msbs: dst=0 src0=0 src1=0 src2=0
	v_add3_u32 v146, v178, v146, v148
	s_set_vgpr_msb 20                       ;  msbs: dst=0 src0=0 src1=1 src2=1
	v_add3_u32 v103, v103, v60 /*v316*/, v90 /*v346*/
	s_set_vgpr_msb 5                        ;  msbs: dst=0 src0=1 src1=1 src2=0
	v_add3_u32 v114, v28 /*v284*/, v51 /*v307*/, v214
	s_set_vgpr_msb 20                       ;  msbs: dst=0 src0=0 src1=1 src2=1
	v_add3_u32 v115, v233, v50 /*v306*/, v181 /*v437*/
	v_add3_u32 v118, v171, v52 /*v308*/, v118 /*v374*/
	;; [unrolled: 1-line block ×7, first 2 shown]
	s_set_vgpr_msb 0x55                     ;  msbs: dst=1 src0=1 src1=1 src2=1
	v_add3_u32 v24 /*v280*/, v33 /*v289*/, v133 /*v389*/, v141 /*v397*/
	s_set_vgpr_msb 0                        ;  msbs: dst=0 src0=0 src1=0 src2=0
	v_mov_b32_e32 v13, v18
	v_pk_mul_f32 v[48:49], v[18:19], v[48:49] op_sel_hi:[0,1]
	s_set_vgpr_msb 20                       ;  msbs: dst=0 src0=0 src1=1 src2=1
	v_add3_u32 v18, v141, v123 /*v379*/, v167 /*v423*/
	s_set_vgpr_msb 16                       ;  msbs: dst=0 src0=0 src1=0 src2=1
	v_add3_u32 v75, v75, v209, v122 /*v378*/
	v_add3_u32 v132, v146, v219, v219 /*v475*/
	v_mul_lo_u32 v61, v61, v128
	s_set_vgpr_msb 0                        ;  msbs: dst=0 src0=0 src1=0 src2=0
	v_mad_u32 v103, v103, v135, v109
	v_mad_u32 v100, v115, v135, v100
	;; [unrolled: 1-line block ×12, first 2 shown]
	s_set_vgpr_msb 20                       ;  msbs: dst=0 src0=0 src1=1 src2=1
	v_mad_i32_i24 v133, v133, v127 /*v383*/, v95 /*v351*/
	s_set_vgpr_msb 1                        ;  msbs: dst=0 src0=1 src1=0 src2=0
	v_add3_u32 v134, v24 /*v280*/, v134, v136
	s_set_vgpr_msb 0                        ;  msbs: dst=0 src0=0 src1=0 src2=0
	v_mul_lo_u32 v75, v75, v169
	v_mad_u32 v5, v18, v131, v5
	v_mad_u32 v11, v11, v131, v15
	;; [unrolled: 1-line block ×3, first 2 shown]
	v_cvt_f32_i32_e32 v55, v133
	s_set_vgpr_msb 20                       ;  msbs: dst=0 src0=0 src1=1 src2=1
	v_add3_u32 v133, v134, v37 /*v293*/, v223 /*v479*/
	v_dual_mov_b32 v14, v165 :: v_dual_mov_b32 v10, v163
	v_dual_mov_b32 v12, v164 :: v_dual_mov_b32 v20, v165
	s_set_vgpr_msb 0                        ;  msbs: dst=0 src0=0 src1=0 src2=0
	s_delay_alu instid0(VALU_DEP_3)
	v_mad_u32 v113, v133, v166, v61
	v_cvt_f32_i32_e32 v59, v103
	v_cvt_f32_i32_e32 v58, v106
	;; [unrolled: 1-line block ×19, first 2 shown]
	v_mov_b64_e32 v[64:65], v[154:155]
	v_mov_b32_e32 v16, v163
	v_mad_u32 v70, v108, v116, v75
	v_cvt_f32_i32_e32 v56, v5
	v_cvt_f32_i32_e32 v108, v11
	v_pk_fma_f32 v[40:41], v[14:15], v[58:59], v[40:41] op_sel_hi:[0,1,1] neg_lo:[0,0,1] neg_hi:[0,0,1]
	v_pk_mul_f32 v[18:19], v[20:21], v[18:19]
	v_pk_fma_f32 v[20:21], v[162:163], v[96:97], v[26:27] neg_lo:[0,0,1] neg_hi:[0,0,1]
	v_pk_fma_f32 v[26:27], v[164:165], v[102:103], v[28:29] op_sel_hi:[0,1,1] neg_lo:[0,0,1] neg_hi:[0,0,1]
	v_pk_fma_f32 v[28:29], v[162:163], v[84:85], v[30:31] op_sel_hi:[0,1,1] neg_lo:[0,0,1] neg_hi:[0,0,1]
	;; [unrolled: 1-line block ×3, first 2 shown]
	v_pk_mul_f32 v[12:13], v[12:13], v[22:23]
	v_pk_fma_f32 v[22:23], v[162:163], v[104:105], v[34:35] op_sel_hi:[0,1,1] neg_lo:[0,0,1] neg_hi:[0,0,1]
	v_mov_b32_e32 v163, v4
	v_pk_fma_f32 v[4:5], v[10:11], v[106:107], v[38:39] op_sel_hi:[0,1,1] neg_lo:[0,0,1] neg_hi:[0,0,1]
	v_pk_fma_f32 v[10:11], v[10:11], v[114:115], v[52:53] op_sel_hi:[0,1,1] neg_lo:[0,0,1] neg_hi:[0,0,1]
	s_set_vgpr_msb 64                       ;  msbs: dst=1 src0=0 src1=0 src2=0
	scratch_load_b32 v193 /*v449*/, off, off offset:72 ; 4-byte Folded Reload
	s_set_vgpr_msb 0                        ;  msbs: dst=0 src0=0 src1=0 src2=0
	v_mov_b64_e32 v[68:69], v[82:83]
	v_mov_b64_e32 v[82:83], v[98:99]
	v_mov_b32_e32 v157, v150
	v_pk_fma_f32 v[64:65], v[8:9], v[10:11], v[64:65]
	scratch_load_b64 v[10:11], off, off offset:32 th:TH_LOAD_LU ; 8-byte Folded Reload
	v_cvt_f32_i32_e32 v109, v15
	v_pk_fma_f32 v[42:43], v[14:15], v[60:61], v[42:43] op_sel_hi:[0,1,1] neg_lo:[0,0,1] neg_hi:[0,0,1]
	v_pk_fma_f32 v[14:15], v[14:15], v[62:63], v[44:45] op_sel_hi:[0,1,1] neg_lo:[0,0,1] neg_hi:[0,0,1]
	s_set_vgpr_msb 64                       ;  msbs: dst=1 src0=0 src1=0 src2=0
	scratch_load_b32 v194 /*v450*/, off, off offset:76 ; 4-byte Folded Reload
	s_set_vgpr_msb 0                        ;  msbs: dst=0 src0=0 src1=0 src2=0
	v_add3_u32 v145, v202, v250, v248
	s_set_vgpr_msb 1                        ;  msbs: dst=0 src0=1 src1=0 src2=0
	v_add3_u32 v177, v46 /*v302*/, v246, v251
	s_set_vgpr_msb 0                        ;  msbs: dst=0 src0=0 src1=0 src2=0
	v_cvt_f32_i32_e32 v24, v70
	v_pk_fma_f32 v[82:83], v[156:157], v[14:15], v[82:83]
	scratch_load_b64 v[14:15], off, off offset:40 th:TH_LOAD_LU ; 8-byte Folded Reload
	s_set_vgpr_msb 16                       ;  msbs: dst=0 src0=0 src1=0 src2=1
	v_add3_u32 v123, v145, v183, v188 /*v444*/
	v_add3_u32 v129, v177, v200, v218 /*v474*/
	v_pk_mul_f32 v[16:17], v[16:17], v[24:25]
	v_mov_b64_e32 v[98:99], v[78:79]
	v_mov_b64_e32 v[78:79], v[160:161]
	v_mul_lo_u32 v123, v123, v166
	v_mov_b64_e32 v[70:71], v[86:87]
	v_mov_b64_e32 v[86:87], v[6:7]
	v_cvt_f32_i32_e32 v112, v112
	v_cvt_f32_i32_e32 v113, v113
	v_dual_sub_f32 v18, v18, v19 :: v_dual_sub_f32 v12, v12, v13
	v_dual_sub_f32 v6, v16, v17 :: v_dual_mov_b32 v152, v151
	s_set_vgpr_msb 0                        ;  msbs: dst=0 src0=0 src1=0 src2=0
	v_pk_fma_f32 v[24:25], v[164:165], v[108:109], v[36:37] op_sel_hi:[0,1,1] neg_lo:[0,0,1] neg_hi:[0,0,1]
	v_pk_fma_f32 v[32:33], v[164:165], v[110:111], v[48:49] op_sel_hi:[0,1,1] neg_lo:[0,0,1] neg_hi:[0,0,1]
	v_mad_u32 v75, v129, v128, v123
	v_pk_fma_f32 v[34:35], v[164:165], v[56:57], v[46:47] neg_lo:[0,0,1] neg_hi:[0,0,1]
	v_pk_fma_f32 v[78:79], v[150:151], v[20:21], v[78:79]
	v_mov_b32_e32 v151, v156
	v_pk_fma_f32 v[90:91], v[152:153], v[42:43], v[90:91]
	v_pk_fma_f32 v[98:99], v[158:159], v[28:29], v[98:99]
	;; [unrolled: 1-line block ×4, first 2 shown]
	s_add_co_i32 s11, s11, 2
	s_delay_alu instid0(SALU_CYCLE_1) | instskip(SKIP_4) | instid1(VALU_DEP_3)
	s_cmp_lt_u32 s11, s16
	v_cvt_f32_i32_e32 v54, v75
	v_mov_b64_e32 v[74:75], v[88:89]
	v_mov_b64_e32 v[88:89], v[2:3]
	v_pk_fma_f32 v[2:3], v[162:163], v[112:113], v[50:51] op_sel_hi:[0,1,1] neg_lo:[0,0,1] neg_hi:[0,0,1]
	v_pk_fma_f32 v[74:75], v[150:151], v[4:5], v[74:75]
	s_delay_alu instid0(VALU_DEP_2)
	v_pk_fma_f32 v[66:67], v[8:9], v[2:3], v[66:67]
	s_wait_loadcnt 0x4
	v_pk_fma_f32 v[212:213], v[0:1], v[40:41], v[212:213]
	scratch_load_b64 v[0:1], off, off offset:24 th:TH_LOAD_LU ; 8-byte Folded Reload
	s_wait_loadcnt 0x3
	v_pk_fma_f32 v[70:71], v[10:11], v[34:35], v[70:71]
	s_wait_loadcnt 0x1
	v_pk_fma_f32 v[68:69], v[14:15], v[32:33], v[68:69]
	;; [unrolled: 2-line block ×3, first 2 shown]
	scratch_load_b64 v[0:1], off, off offset:48 th:TH_LOAD_LU ; 8-byte Folded Reload
	s_wait_loadcnt 0x0
	v_pk_fma_f32 v[88:89], v[0:1], v[22:23], v[88:89]
	v_pk_mul_f32 v[0:1], v[162:163], v[54:55]
	s_delay_alu instid0(VALU_DEP_1) | instskip(SKIP_1) | instid1(VALU_DEP_2)
	v_dual_sub_f32 v13, v0, v1 :: v_dual_mul_f32 v1, v153, v12
	v_mul_f32_e32 v0, v14, v18
	v_dual_mul_f32 v7, v153, v6 :: v_dual_mul_f32 v6, v156, v13
	s_delay_alu instid0(VALU_DEP_2) | instskip(NEXT) | instid1(VALU_DEP_2)
	v_pk_add_f32 v[76:77], v[76:77], v[0:1]
	v_pk_add_f32 v[86:87], v[86:87], v[6:7]
	s_cbranch_scc1 .LBB168_13
; %bb.14:                               ;   in Loop: Header=BB168_9 Depth=2
	s_wait_storecnt 0x0
	s_barrier_signal -1
	s_barrier_wait -1
	s_clause 0x14
	scratch_load_b32 v72, off, off offset:160
	scratch_load_b32 v73, off, off offset:164
	;; [unrolled: 1-line block ×17, first 2 shown]
	s_set_vgpr_msb 64                       ;  msbs: dst=1 src0=0 src1=0 src2=0
	scratch_load_b32 v188 /*v444*/, off, off offset:228
	scratch_load_b64 v[202:203] /*v[458:459]*/, off, off offset:232
	scratch_load_b32 v216 /*v472*/, off, off offset:156
	s_cmp_eq_u32 s10, 4
	s_cselect_b32 s11, -1, 0
	s_delay_alu instid0(SALU_CYCLE_1)
	s_and_b32 vcc_lo, exec_lo, s11
	s_set_vgpr_msb 0                        ;  msbs: dst=0 src0=0 src1=0 src2=0
	s_cbranch_vccz .LBB168_9
	s_branch .LBB168_6
.LBB168_15:
	scratch_load_b32 v1, off, off offset:540 th:TH_LOAD_LU ; 4-byte Folded Reload
	s_wait_loadcnt 0x14
	v_mov_b32_e32 v2, v72
	scratch_load_b32 v0, off, off offset:536 ; 4-byte Folded Reload
	s_mov_b32 s0, exec_lo
	s_wait_loadcnt 0x0
	v_cmpx_gt_u32_e64 s6, v0
	s_cbranch_execz .LBB168_3
.LBB168_16:
	v_mul_lo_u32 v5, v0, s12
	v_add_nc_u32_e32 v0, s14, v2
	s_delay_alu instid0(VALU_DEP_1)
	v_cmp_gt_u32_e32 vcc_lo, s12, v0
	s_and_saveexec_b32 s1, vcc_lo
	s_cbranch_execz .LBB168_18
; %bb.17:
	v_bfe_u32 v2, v212, 16, 1
	v_cmp_o_f32_e64 s0, v212, v212
	v_add_nc_u32_e32 v3, v0, v5
	s_delay_alu instid0(VALU_DEP_3) | instskip(NEXT) | instid1(VALU_DEP_1)
	v_add3_u32 v2, v212, v2, 0x7fff
	v_lshrrev_b32_e32 v2, 16, v2
	s_delay_alu instid0(VALU_DEP_1)
	v_cndmask_b32_e64 v2, 0x7fc0, v2, s0
	s_wait_kmcnt 0x0
	global_store_b16 v3, v2, s[8:9] scale_offset
.LBB168_18:
	s_wait_xcnt 0x0
	s_or_b32 exec_lo, exec_lo, s1
	v_add_nc_u32_e32 v2, 32, v0
	s_delay_alu instid0(VALU_DEP_1)
	v_cmp_gt_u32_e64 s0, s12, v2
	s_and_saveexec_b32 s2, s0
	s_cbranch_execz .LBB168_20
; %bb.19:
	v_bfe_u32 v3, v70, 16, 1
	v_cmp_o_f32_e64 s1, v70, v70
	v_add_nc_u32_e32 v4, v2, v5
	s_delay_alu instid0(VALU_DEP_3) | instskip(NEXT) | instid1(VALU_DEP_1)
	v_add3_u32 v3, v70, v3, 0x7fff
	v_lshrrev_b32_e32 v3, 16, v3
	s_delay_alu instid0(VALU_DEP_1)
	v_cndmask_b32_e64 v3, 0x7fc0, v3, s1
	s_wait_kmcnt 0x0
	global_store_b16 v4, v3, s[8:9] scale_offset
.LBB168_20:
	s_wait_xcnt 0x0
	s_or_b32 exec_lo, exec_lo, s2
	v_add_nc_u32_e32 v3, 64, v0
	s_delay_alu instid0(VALU_DEP_1)
	v_cmp_gt_u32_e64 s1, s12, v3
	s_and_saveexec_b32 s3, s1
	;; [unrolled: 19-line block ×3, first 2 shown]
	s_cbranch_execz .LBB168_24
; %bb.23:
	v_bfe_u32 v6, v95, 16, 1
	v_cmp_o_f32_e64 s3, v95, v95
	v_add_nc_u32_e32 v5, v4, v5
	s_delay_alu instid0(VALU_DEP_3) | instskip(NEXT) | instid1(VALU_DEP_1)
	v_add3_u32 v6, v95, v6, 0x7fff
	v_lshrrev_b32_e32 v6, 16, v6
	s_delay_alu instid0(VALU_DEP_1)
	v_cndmask_b32_e64 v6, 0x7fc0, v6, s3
	s_wait_kmcnt 0x0
	global_store_b16 v5, v6, s[8:9] scale_offset
.LBB168_24:
	s_wait_xcnt 0x0
	s_or_b32 exec_lo, exec_lo, s4
	v_add3_u32 v5, v1, s13, 8
	s_delay_alu instid0(VALU_DEP_1)
	v_cmp_gt_u32_e64 s3, s6, v5
	s_and_b32 exec_lo, exec_lo, s3
	s_cbranch_execz .LBB168_3
; %bb.25:
	v_mul_lo_u32 v5, v5, s12
	s_and_saveexec_b32 s4, vcc_lo
	s_cbranch_execnz .LBB168_65
; %bb.26:
	s_or_b32 exec_lo, exec_lo, s4
	s_and_saveexec_b32 s4, s0
	s_cbranch_execnz .LBB168_66
.LBB168_27:
	s_or_b32 exec_lo, exec_lo, s4
	s_and_saveexec_b32 s4, s1
	s_cbranch_execnz .LBB168_67
.LBB168_28:
	s_or_b32 exec_lo, exec_lo, s4
	s_and_saveexec_b32 s4, s2
	s_cbranch_execz .LBB168_30
.LBB168_29:
	v_bfe_u32 v6, v94, 16, 1
	v_cmp_o_f32_e64 s3, v94, v94
	v_add_nc_u32_e32 v5, v5, v4
	s_delay_alu instid0(VALU_DEP_3) | instskip(NEXT) | instid1(VALU_DEP_1)
	v_add3_u32 v6, v94, v6, 0x7fff
	v_lshrrev_b32_e32 v6, 16, v6
	s_delay_alu instid0(VALU_DEP_1)
	v_cndmask_b32_e64 v6, 0x7fc0, v6, s3
	s_wait_kmcnt 0x0
	global_store_b16 v5, v6, s[8:9] scale_offset
.LBB168_30:
	s_wait_xcnt 0x0
	s_or_b32 exec_lo, exec_lo, s4
	v_add3_u32 v5, v1, s13, 16
	s_delay_alu instid0(VALU_DEP_1)
	v_cmp_gt_u32_e64 s3, s6, v5
	s_and_b32 exec_lo, exec_lo, s3
	s_cbranch_execz .LBB168_3
; %bb.31:
	v_mul_lo_u32 v5, v5, s12
	s_and_saveexec_b32 s4, vcc_lo
	s_cbranch_execnz .LBB168_68
; %bb.32:
	s_or_b32 exec_lo, exec_lo, s4
	s_and_saveexec_b32 s4, s0
	s_cbranch_execnz .LBB168_69
.LBB168_33:
	s_or_b32 exec_lo, exec_lo, s4
	s_and_saveexec_b32 s4, s1
	s_cbranch_execnz .LBB168_70
.LBB168_34:
	s_or_b32 exec_lo, exec_lo, s4
	s_and_saveexec_b32 s4, s2
	s_cbranch_execz .LBB168_36
.LBB168_35:
	v_bfe_u32 v6, v79, 16, 1
	v_cmp_o_f32_e64 s3, v79, v79
	v_add_nc_u32_e32 v5, v5, v4
	s_delay_alu instid0(VALU_DEP_3) | instskip(NEXT) | instid1(VALU_DEP_1)
	v_add3_u32 v6, v79, v6, 0x7fff
	v_lshrrev_b32_e32 v6, 16, v6
	s_delay_alu instid0(VALU_DEP_1)
	v_cndmask_b32_e64 v6, 0x7fc0, v6, s3
	s_wait_kmcnt 0x0
	global_store_b16 v5, v6, s[8:9] scale_offset
.LBB168_36:
	s_wait_xcnt 0x0
	s_or_b32 exec_lo, exec_lo, s4
	v_add3_u32 v5, v1, s13, 24
	s_delay_alu instid0(VALU_DEP_1)
	v_cmp_gt_u32_e64 s3, s6, v5
	s_and_b32 exec_lo, exec_lo, s3
	s_cbranch_execz .LBB168_3
; %bb.37:
	v_mul_lo_u32 v5, v5, s12
	s_and_saveexec_b32 s4, vcc_lo
	s_cbranch_execnz .LBB168_71
; %bb.38:
	s_or_b32 exec_lo, exec_lo, s4
	s_and_saveexec_b32 s4, s0
	s_cbranch_execnz .LBB168_72
.LBB168_39:
	s_or_b32 exec_lo, exec_lo, s4
	s_and_saveexec_b32 s4, s1
	s_cbranch_execnz .LBB168_73
.LBB168_40:
	s_or_b32 exec_lo, exec_lo, s4
	s_and_saveexec_b32 s4, s2
	s_cbranch_execz .LBB168_42
.LBB168_41:
	v_bfe_u32 v6, v87, 16, 1
	v_cmp_o_f32_e64 s3, v87, v87
	v_add_nc_u32_e32 v5, v5, v4
	s_delay_alu instid0(VALU_DEP_3) | instskip(NEXT) | instid1(VALU_DEP_1)
	v_add3_u32 v6, v87, v6, 0x7fff
	v_lshrrev_b32_e32 v6, 16, v6
	s_delay_alu instid0(VALU_DEP_1)
	v_cndmask_b32_e64 v6, 0x7fc0, v6, s3
	s_wait_kmcnt 0x0
	global_store_b16 v5, v6, s[8:9] scale_offset
.LBB168_42:
	s_wait_xcnt 0x0
	s_or_b32 exec_lo, exec_lo, s4
	v_add3_u32 v5, v1, s13, 32
	s_delay_alu instid0(VALU_DEP_1)
	v_cmp_gt_u32_e64 s3, s6, v5
	s_and_b32 exec_lo, exec_lo, s3
	s_cbranch_execz .LBB168_3
; %bb.43:
	v_mul_lo_u32 v5, v5, s12
	s_and_saveexec_b32 s4, vcc_lo
	s_cbranch_execnz .LBB168_74
; %bb.44:
	s_or_b32 exec_lo, exec_lo, s4
	s_and_saveexec_b32 s4, s0
	s_cbranch_execnz .LBB168_75
.LBB168_45:
	s_or_b32 exec_lo, exec_lo, s4
	s_and_saveexec_b32 s4, s1
	s_cbranch_execnz .LBB168_76
.LBB168_46:
	s_or_b32 exec_lo, exec_lo, s4
	s_and_saveexec_b32 s4, s2
	s_cbranch_execz .LBB168_48
.LBB168_47:
	v_bfe_u32 v6, v75, 16, 1
	v_cmp_o_f32_e64 s3, v75, v75
	v_add_nc_u32_e32 v5, v5, v4
	s_delay_alu instid0(VALU_DEP_3) | instskip(NEXT) | instid1(VALU_DEP_1)
	v_add3_u32 v6, v75, v6, 0x7fff
	v_lshrrev_b32_e32 v6, 16, v6
	s_delay_alu instid0(VALU_DEP_1)
	v_cndmask_b32_e64 v6, 0x7fc0, v6, s3
	s_wait_kmcnt 0x0
	global_store_b16 v5, v6, s[8:9] scale_offset
.LBB168_48:
	s_wait_xcnt 0x0
	s_or_b32 exec_lo, exec_lo, s4
	v_add3_u32 v5, v1, s13, 40
	s_delay_alu instid0(VALU_DEP_1)
	v_cmp_gt_u32_e64 s3, s6, v5
	s_and_b32 exec_lo, exec_lo, s3
	s_cbranch_execz .LBB168_3
; %bb.49:
	v_mul_lo_u32 v5, v5, s12
	s_and_saveexec_b32 s4, vcc_lo
	s_cbranch_execnz .LBB168_77
; %bb.50:
	s_or_b32 exec_lo, exec_lo, s4
	s_and_saveexec_b32 s4, s0
	s_cbranch_execnz .LBB168_78
.LBB168_51:
	s_or_b32 exec_lo, exec_lo, s4
	s_and_saveexec_b32 s4, s1
	s_cbranch_execnz .LBB168_79
.LBB168_52:
	s_or_b32 exec_lo, exec_lo, s4
	s_and_saveexec_b32 s4, s2
	s_cbranch_execz .LBB168_54
.LBB168_53:
	v_bfe_u32 v6, v74, 16, 1
	v_cmp_o_f32_e64 s3, v74, v74
	v_add_nc_u32_e32 v5, v5, v4
	s_delay_alu instid0(VALU_DEP_3) | instskip(NEXT) | instid1(VALU_DEP_1)
	v_add3_u32 v6, v74, v6, 0x7fff
	v_lshrrev_b32_e32 v6, 16, v6
	s_delay_alu instid0(VALU_DEP_1)
	v_cndmask_b32_e64 v6, 0x7fc0, v6, s3
	s_wait_kmcnt 0x0
	global_store_b16 v5, v6, s[8:9] scale_offset
.LBB168_54:
	s_wait_xcnt 0x0
	s_or_b32 exec_lo, exec_lo, s4
	v_add3_u32 v5, v1, s13, 48
	s_delay_alu instid0(VALU_DEP_1)
	v_cmp_gt_u32_e64 s3, s6, v5
	s_and_b32 exec_lo, exec_lo, s3
	s_cbranch_execz .LBB168_3
; %bb.55:
	v_mul_lo_u32 v5, v5, s12
	s_and_saveexec_b32 s4, vcc_lo
	s_cbranch_execnz .LBB168_80
; %bb.56:
	s_or_b32 exec_lo, exec_lo, s4
	s_and_saveexec_b32 s4, s0
	s_cbranch_execnz .LBB168_81
.LBB168_57:
	s_or_b32 exec_lo, exec_lo, s4
	s_and_saveexec_b32 s4, s1
	s_cbranch_execnz .LBB168_82
.LBB168_58:
	s_or_b32 exec_lo, exec_lo, s4
	s_and_saveexec_b32 s4, s2
	s_cbranch_execz .LBB168_60
.LBB168_59:
	v_bfe_u32 v6, v65, 16, 1
	v_cmp_o_f32_e64 s3, v65, v65
	v_add_nc_u32_e32 v5, v5, v4
	s_delay_alu instid0(VALU_DEP_3) | instskip(NEXT) | instid1(VALU_DEP_1)
	v_add3_u32 v6, v65, v6, 0x7fff
	v_lshrrev_b32_e32 v6, 16, v6
	s_delay_alu instid0(VALU_DEP_1)
	v_cndmask_b32_e64 v6, 0x7fc0, v6, s3
	s_wait_kmcnt 0x0
	global_store_b16 v5, v6, s[8:9] scale_offset
.LBB168_60:
	s_wait_xcnt 0x0
	s_or_b32 exec_lo, exec_lo, s4
	v_add3_u32 v1, v1, s13, 56
	s_delay_alu instid0(VALU_DEP_1)
	v_cmp_gt_u32_e64 s3, s6, v1
	s_and_b32 exec_lo, exec_lo, s3
	s_cbranch_execz .LBB168_3
; %bb.61:
	v_mul_lo_u32 v1, v1, s12
	s_and_saveexec_b32 s3, vcc_lo
	s_cbranch_execnz .LBB168_83
; %bb.62:
	s_or_b32 exec_lo, exec_lo, s3
	s_and_saveexec_b32 s3, s0
	s_cbranch_execnz .LBB168_84
.LBB168_63:
	s_or_b32 exec_lo, exec_lo, s3
	s_and_saveexec_b32 s0, s1
	s_cbranch_execnz .LBB168_85
.LBB168_64:
	s_or_b32 exec_lo, exec_lo, s0
	s_delay_alu instid0(SALU_CYCLE_1)
	s_and_b32 exec_lo, exec_lo, s2
	s_cbranch_execz .LBB168_3
	s_branch .LBB168_86
.LBB168_65:
	v_bfe_u32 v6, v213, 16, 1
	v_cmp_o_f32_e64 s3, v213, v213
	s_delay_alu instid0(VALU_DEP_3) | instskip(NEXT) | instid1(VALU_DEP_3)
	v_add_nc_u32_e32 v7, v5, v0
	v_add3_u32 v6, v213, v6, 0x7fff
	s_delay_alu instid0(VALU_DEP_1) | instskip(NEXT) | instid1(VALU_DEP_1)
	v_lshrrev_b32_e32 v6, 16, v6
	v_cndmask_b32_e64 v6, 0x7fc0, v6, s3
	s_wait_kmcnt 0x0
	global_store_b16 v7, v6, s[8:9] scale_offset
	s_wait_xcnt 0x0
	s_or_b32 exec_lo, exec_lo, s4
	s_and_saveexec_b32 s4, s0
	s_cbranch_execz .LBB168_27
.LBB168_66:
	v_bfe_u32 v6, v92, 16, 1
	v_cmp_o_f32_e64 s3, v92, v92
	s_delay_alu instid0(VALU_DEP_3) | instskip(NEXT) | instid1(VALU_DEP_3)
	v_add_nc_u32_e32 v7, v5, v2
	v_add3_u32 v6, v92, v6, 0x7fff
	s_delay_alu instid0(VALU_DEP_1) | instskip(NEXT) | instid1(VALU_DEP_1)
	v_lshrrev_b32_e32 v6, 16, v6
	v_cndmask_b32_e64 v6, 0x7fc0, v6, s3
	s_wait_kmcnt 0x0
	global_store_b16 v7, v6, s[8:9] scale_offset
	s_wait_xcnt 0x0
	s_or_b32 exec_lo, exec_lo, s4
	s_and_saveexec_b32 s4, s1
	s_cbranch_execz .LBB168_28
.LBB168_67:
	v_bfe_u32 v6, v98, 16, 1
	v_cmp_o_f32_e64 s3, v98, v98
	v_add_nc_u32_e32 v7, v5, v3
	s_delay_alu instid0(VALU_DEP_3) | instskip(NEXT) | instid1(VALU_DEP_1)
	v_add3_u32 v6, v98, v6, 0x7fff
	v_lshrrev_b32_e32 v6, 16, v6
	s_delay_alu instid0(VALU_DEP_1)
	v_cndmask_b32_e64 v6, 0x7fc0, v6, s3
	s_wait_kmcnt 0x0
	global_store_b16 v7, v6, s[8:9] scale_offset
	s_wait_xcnt 0x0
	s_or_b32 exec_lo, exec_lo, s4
	s_and_saveexec_b32 s4, s2
	s_cbranch_execnz .LBB168_29
	s_branch .LBB168_30
.LBB168_68:
	v_bfe_u32 v6, v90, 16, 1
	v_cmp_o_f32_e64 s3, v90, v90
	s_delay_alu instid0(VALU_DEP_3) | instskip(NEXT) | instid1(VALU_DEP_3)
	v_add_nc_u32_e32 v7, v5, v0
	v_add3_u32 v6, v90, v6, 0x7fff
	s_delay_alu instid0(VALU_DEP_1) | instskip(NEXT) | instid1(VALU_DEP_1)
	v_lshrrev_b32_e32 v6, 16, v6
	v_cndmask_b32_e64 v6, 0x7fc0, v6, s3
	s_wait_kmcnt 0x0
	global_store_b16 v7, v6, s[8:9] scale_offset
	s_wait_xcnt 0x0
	s_or_b32 exec_lo, exec_lo, s4
	s_and_saveexec_b32 s4, s0
	s_cbranch_execz .LBB168_33
.LBB168_69:
	v_bfe_u32 v6, v93, 16, 1
	v_cmp_o_f32_e64 s3, v93, v93
	s_delay_alu instid0(VALU_DEP_3) | instskip(NEXT) | instid1(VALU_DEP_3)
	v_add_nc_u32_e32 v7, v5, v2
	v_add3_u32 v6, v93, v6, 0x7fff
	s_delay_alu instid0(VALU_DEP_1) | instskip(NEXT) | instid1(VALU_DEP_1)
	v_lshrrev_b32_e32 v6, 16, v6
	v_cndmask_b32_e64 v6, 0x7fc0, v6, s3
	s_wait_kmcnt 0x0
	global_store_b16 v7, v6, s[8:9] scale_offset
	s_wait_xcnt 0x0
	s_or_b32 exec_lo, exec_lo, s4
	s_and_saveexec_b32 s4, s1
	s_cbranch_execz .LBB168_34
.LBB168_70:
	v_bfe_u32 v6, v89, 16, 1
	v_cmp_o_f32_e64 s3, v89, v89
	v_add_nc_u32_e32 v7, v5, v3
	s_delay_alu instid0(VALU_DEP_3) | instskip(NEXT) | instid1(VALU_DEP_1)
	v_add3_u32 v6, v89, v6, 0x7fff
	v_lshrrev_b32_e32 v6, 16, v6
	s_delay_alu instid0(VALU_DEP_1)
	v_cndmask_b32_e64 v6, 0x7fc0, v6, s3
	s_wait_kmcnt 0x0
	global_store_b16 v7, v6, s[8:9] scale_offset
	s_wait_xcnt 0x0
	s_or_b32 exec_lo, exec_lo, s4
	s_and_saveexec_b32 s4, s2
	s_cbranch_execnz .LBB168_35
	s_branch .LBB168_36
.LBB168_71:
	v_bfe_u32 v6, v91, 16, 1
	v_cmp_o_f32_e64 s3, v91, v91
	s_delay_alu instid0(VALU_DEP_3) | instskip(NEXT) | instid1(VALU_DEP_3)
	v_add_nc_u32_e32 v7, v5, v0
	v_add3_u32 v6, v91, v6, 0x7fff
	s_delay_alu instid0(VALU_DEP_1) | instskip(NEXT) | instid1(VALU_DEP_1)
	v_lshrrev_b32_e32 v6, 16, v6
	v_cndmask_b32_e64 v6, 0x7fc0, v6, s3
	s_wait_kmcnt 0x0
	global_store_b16 v7, v6, s[8:9] scale_offset
	s_wait_xcnt 0x0
	s_or_b32 exec_lo, exec_lo, s4
	s_and_saveexec_b32 s4, s0
	s_cbranch_execz .LBB168_39
.LBB168_72:
	v_bfe_u32 v6, v77, 16, 1
	v_cmp_o_f32_e64 s3, v77, v77
	s_delay_alu instid0(VALU_DEP_3) | instskip(NEXT) | instid1(VALU_DEP_3)
	v_add_nc_u32_e32 v7, v5, v2
	v_add3_u32 v6, v77, v6, 0x7fff
	s_delay_alu instid0(VALU_DEP_1) | instskip(NEXT) | instid1(VALU_DEP_1)
	v_lshrrev_b32_e32 v6, 16, v6
	v_cndmask_b32_e64 v6, 0x7fc0, v6, s3
	s_wait_kmcnt 0x0
	global_store_b16 v7, v6, s[8:9] scale_offset
	s_wait_xcnt 0x0
	s_or_b32 exec_lo, exec_lo, s4
	s_and_saveexec_b32 s4, s1
	s_cbranch_execz .LBB168_40
.LBB168_73:
	v_bfe_u32 v6, v88, 16, 1
	v_cmp_o_f32_e64 s3, v88, v88
	v_add_nc_u32_e32 v7, v5, v3
	s_delay_alu instid0(VALU_DEP_3) | instskip(NEXT) | instid1(VALU_DEP_1)
	v_add3_u32 v6, v88, v6, 0x7fff
	v_lshrrev_b32_e32 v6, 16, v6
	s_delay_alu instid0(VALU_DEP_1)
	v_cndmask_b32_e64 v6, 0x7fc0, v6, s3
	s_wait_kmcnt 0x0
	global_store_b16 v7, v6, s[8:9] scale_offset
	s_wait_xcnt 0x0
	s_or_b32 exec_lo, exec_lo, s4
	s_and_saveexec_b32 s4, s2
	s_cbranch_execnz .LBB168_41
	s_branch .LBB168_42
.LBB168_74:
	v_bfe_u32 v6, v82, 16, 1
	v_cmp_o_f32_e64 s3, v82, v82
	s_delay_alu instid0(VALU_DEP_3) | instskip(NEXT) | instid1(VALU_DEP_3)
	v_add_nc_u32_e32 v7, v5, v0
	v_add3_u32 v6, v82, v6, 0x7fff
	s_delay_alu instid0(VALU_DEP_1) | instskip(NEXT) | instid1(VALU_DEP_1)
	v_lshrrev_b32_e32 v6, 16, v6
	v_cndmask_b32_e64 v6, 0x7fc0, v6, s3
	s_wait_kmcnt 0x0
	global_store_b16 v7, v6, s[8:9] scale_offset
	s_wait_xcnt 0x0
	s_or_b32 exec_lo, exec_lo, s4
	s_and_saveexec_b32 s4, s0
	s_cbranch_execz .LBB168_45
.LBB168_75:
	v_bfe_u32 v6, v80, 16, 1
	v_cmp_o_f32_e64 s3, v80, v80
	s_delay_alu instid0(VALU_DEP_3) | instskip(NEXT) | instid1(VALU_DEP_3)
	v_add_nc_u32_e32 v7, v5, v2
	v_add3_u32 v6, v80, v6, 0x7fff
	s_delay_alu instid0(VALU_DEP_1) | instskip(NEXT) | instid1(VALU_DEP_1)
	v_lshrrev_b32_e32 v6, 16, v6
	v_cndmask_b32_e64 v6, 0x7fc0, v6, s3
	s_wait_kmcnt 0x0
	global_store_b16 v7, v6, s[8:9] scale_offset
	s_wait_xcnt 0x0
	s_or_b32 exec_lo, exec_lo, s4
	s_and_saveexec_b32 s4, s1
	s_cbranch_execz .LBB168_46
.LBB168_76:
	v_bfe_u32 v6, v86, 16, 1
	v_cmp_o_f32_e64 s3, v86, v86
	v_add_nc_u32_e32 v7, v5, v3
	s_delay_alu instid0(VALU_DEP_3) | instskip(NEXT) | instid1(VALU_DEP_1)
	v_add3_u32 v6, v86, v6, 0x7fff
	v_lshrrev_b32_e32 v6, 16, v6
	s_delay_alu instid0(VALU_DEP_1)
	v_cndmask_b32_e64 v6, 0x7fc0, v6, s3
	s_wait_kmcnt 0x0
	global_store_b16 v7, v6, s[8:9] scale_offset
	s_wait_xcnt 0x0
	s_or_b32 exec_lo, exec_lo, s4
	s_and_saveexec_b32 s4, s2
	s_cbranch_execnz .LBB168_47
	s_branch .LBB168_48
.LBB168_77:
	v_bfe_u32 v6, v83, 16, 1
	v_cmp_o_f32_e64 s3, v83, v83
	s_delay_alu instid0(VALU_DEP_3) | instskip(NEXT) | instid1(VALU_DEP_3)
	v_add_nc_u32_e32 v7, v5, v0
	v_add3_u32 v6, v83, v6, 0x7fff
	s_delay_alu instid0(VALU_DEP_1) | instskip(NEXT) | instid1(VALU_DEP_1)
	v_lshrrev_b32_e32 v6, 16, v6
	v_cndmask_b32_e64 v6, 0x7fc0, v6, s3
	s_wait_kmcnt 0x0
	global_store_b16 v7, v6, s[8:9] scale_offset
	s_wait_xcnt 0x0
	s_or_b32 exec_lo, exec_lo, s4
	s_and_saveexec_b32 s4, s0
	s_cbranch_execz .LBB168_51
.LBB168_78:
	v_bfe_u32 v6, v81, 16, 1
	v_cmp_o_f32_e64 s3, v81, v81
	s_delay_alu instid0(VALU_DEP_3) | instskip(NEXT) | instid1(VALU_DEP_3)
	v_add_nc_u32_e32 v7, v5, v2
	v_add3_u32 v6, v81, v6, 0x7fff
	s_delay_alu instid0(VALU_DEP_1) | instskip(NEXT) | instid1(VALU_DEP_1)
	v_lshrrev_b32_e32 v6, 16, v6
	v_cndmask_b32_e64 v6, 0x7fc0, v6, s3
	s_wait_kmcnt 0x0
	global_store_b16 v7, v6, s[8:9] scale_offset
	s_wait_xcnt 0x0
	s_or_b32 exec_lo, exec_lo, s4
	s_and_saveexec_b32 s4, s1
	s_cbranch_execz .LBB168_52
.LBB168_79:
	v_bfe_u32 v6, v78, 16, 1
	v_cmp_o_f32_e64 s3, v78, v78
	v_add_nc_u32_e32 v7, v5, v3
	s_delay_alu instid0(VALU_DEP_3) | instskip(NEXT) | instid1(VALU_DEP_1)
	v_add3_u32 v6, v78, v6, 0x7fff
	v_lshrrev_b32_e32 v6, 16, v6
	s_delay_alu instid0(VALU_DEP_1)
	v_cndmask_b32_e64 v6, 0x7fc0, v6, s3
	s_wait_kmcnt 0x0
	global_store_b16 v7, v6, s[8:9] scale_offset
	s_wait_xcnt 0x0
	s_or_b32 exec_lo, exec_lo, s4
	s_and_saveexec_b32 s4, s2
	s_cbranch_execnz .LBB168_53
	s_branch .LBB168_54
.LBB168_80:
	v_bfe_u32 v6, v76, 16, 1
	v_cmp_o_f32_e64 s3, v76, v76
	s_delay_alu instid0(VALU_DEP_3) | instskip(NEXT) | instid1(VALU_DEP_3)
	v_add_nc_u32_e32 v7, v5, v0
	v_add3_u32 v6, v76, v6, 0x7fff
	s_delay_alu instid0(VALU_DEP_1) | instskip(NEXT) | instid1(VALU_DEP_1)
	v_lshrrev_b32_e32 v6, 16, v6
	v_cndmask_b32_e64 v6, 0x7fc0, v6, s3
	s_wait_kmcnt 0x0
	global_store_b16 v7, v6, s[8:9] scale_offset
	s_wait_xcnt 0x0
	s_or_b32 exec_lo, exec_lo, s4
	s_and_saveexec_b32 s4, s0
	s_cbranch_execz .LBB168_57
.LBB168_81:
	v_bfe_u32 v6, v68, 16, 1
	v_cmp_o_f32_e64 s3, v68, v68
	s_delay_alu instid0(VALU_DEP_3) | instskip(NEXT) | instid1(VALU_DEP_3)
	v_add_nc_u32_e32 v7, v5, v2
	v_add3_u32 v6, v68, v6, 0x7fff
	s_delay_alu instid0(VALU_DEP_1) | instskip(NEXT) | instid1(VALU_DEP_1)
	v_lshrrev_b32_e32 v6, 16, v6
	v_cndmask_b32_e64 v6, 0x7fc0, v6, s3
	s_wait_kmcnt 0x0
	global_store_b16 v7, v6, s[8:9] scale_offset
	s_wait_xcnt 0x0
	s_or_b32 exec_lo, exec_lo, s4
	s_and_saveexec_b32 s4, s1
	s_cbranch_execz .LBB168_58
.LBB168_82:
	v_bfe_u32 v6, v67, 16, 1
	v_cmp_o_f32_e64 s3, v67, v67
	v_add_nc_u32_e32 v7, v5, v3
	s_delay_alu instid0(VALU_DEP_3) | instskip(NEXT) | instid1(VALU_DEP_1)
	v_add3_u32 v6, v67, v6, 0x7fff
	v_lshrrev_b32_e32 v6, 16, v6
	s_delay_alu instid0(VALU_DEP_1)
	v_cndmask_b32_e64 v6, 0x7fc0, v6, s3
	s_wait_kmcnt 0x0
	global_store_b16 v7, v6, s[8:9] scale_offset
	s_wait_xcnt 0x0
	s_or_b32 exec_lo, exec_lo, s4
	s_and_saveexec_b32 s4, s2
	s_cbranch_execnz .LBB168_59
	s_branch .LBB168_60
.LBB168_83:
	v_bfe_u32 v5, v71, 16, 1
	v_cmp_o_f32_e32 vcc_lo, v71, v71
	s_delay_alu instid0(VALU_DEP_3) | instskip(NEXT) | instid1(VALU_DEP_3)
	v_add_nc_u32_e32 v0, v1, v0
	v_add3_u32 v5, v71, v5, 0x7fff
	s_delay_alu instid0(VALU_DEP_1) | instskip(NEXT) | instid1(VALU_DEP_1)
	v_lshrrev_b32_e32 v5, 16, v5
	v_cndmask_b32_e32 v5, 0x7fc0, v5, vcc_lo
	s_wait_kmcnt 0x0
	global_store_b16 v0, v5, s[8:9] scale_offset
	s_wait_xcnt 0x0
	s_or_b32 exec_lo, exec_lo, s3
	s_and_saveexec_b32 s3, s0
	s_cbranch_execz .LBB168_63
.LBB168_84:
	v_bfe_u32 v0, v69, 16, 1
	v_cmp_o_f32_e32 vcc_lo, v69, v69
	s_delay_alu instid0(VALU_DEP_3) | instskip(NEXT) | instid1(VALU_DEP_3)
	v_add_nc_u32_e32 v2, v1, v2
	v_add3_u32 v0, v69, v0, 0x7fff
	s_delay_alu instid0(VALU_DEP_1) | instskip(NEXT) | instid1(VALU_DEP_1)
	v_lshrrev_b32_e32 v0, 16, v0
	v_cndmask_b32_e32 v0, 0x7fc0, v0, vcc_lo
	s_wait_kmcnt 0x0
	global_store_b16 v2, v0, s[8:9] scale_offset
	s_wait_xcnt 0x0
	s_or_b32 exec_lo, exec_lo, s3
	s_and_saveexec_b32 s0, s1
	s_cbranch_execz .LBB168_64
.LBB168_85:
	v_bfe_u32 v0, v66, 16, 1
	v_cmp_o_f32_e32 vcc_lo, v66, v66
	v_add_nc_u32_e32 v2, v1, v3
	s_delay_alu instid0(VALU_DEP_3) | instskip(NEXT) | instid1(VALU_DEP_1)
	v_add3_u32 v0, v66, v0, 0x7fff
	v_lshrrev_b32_e32 v0, 16, v0
	s_delay_alu instid0(VALU_DEP_1) | instskip(SKIP_4) | instid1(SALU_CYCLE_1)
	v_cndmask_b32_e32 v0, 0x7fc0, v0, vcc_lo
	s_wait_kmcnt 0x0
	global_store_b16 v2, v0, s[8:9] scale_offset
	s_wait_xcnt 0x0
	s_or_b32 exec_lo, exec_lo, s0
	s_and_b32 exec_lo, exec_lo, s2
	s_cbranch_execz .LBB168_3
.LBB168_86:
	v_bfe_u32 v0, v64, 16, 1
	v_cmp_o_f32_e32 vcc_lo, v64, v64
	v_add_nc_u32_e32 v1, v1, v4
	s_delay_alu instid0(VALU_DEP_3) | instskip(NEXT) | instid1(VALU_DEP_1)
	v_add3_u32 v0, v64, v0, 0x7fff
	v_lshrrev_b32_e32 v0, 16, v0
	s_delay_alu instid0(VALU_DEP_1)
	v_cndmask_b32_e32 v0, 0x7fc0, v0, vcc_lo
	s_wait_kmcnt 0x0
	global_store_b16 v1, v0, s[8:9] scale_offset
	s_sendmsg sendmsg(MSG_DEALLOC_VGPRS)
	s_endpgm
	.section	.rodata,"a",@progbits
	.p2align	6, 0x0
	.amdhsa_kernel _ZL12mul_mat_q2_KIN3c108BFloat16ELb1EEvPKvS3_PT_iiiii
		.amdhsa_group_segment_fixed_size 31392
		.amdhsa_private_segment_fixed_size 548
		.amdhsa_kernarg_size 44
		.amdhsa_user_sgpr_count 2
		.amdhsa_user_sgpr_dispatch_ptr 0
		.amdhsa_user_sgpr_queue_ptr 0
		.amdhsa_user_sgpr_kernarg_segment_ptr 1
		.amdhsa_user_sgpr_dispatch_id 0
		.amdhsa_user_sgpr_kernarg_preload_length 0
		.amdhsa_user_sgpr_kernarg_preload_offset 0
		.amdhsa_user_sgpr_private_segment_size 0
		.amdhsa_wavefront_size32 1
		.amdhsa_uses_dynamic_stack 0
		.amdhsa_enable_private_segment 1
		.amdhsa_system_sgpr_workgroup_id_x 1
		.amdhsa_system_sgpr_workgroup_id_y 1
		.amdhsa_system_sgpr_workgroup_id_z 0
		.amdhsa_system_sgpr_workgroup_info 0
		.amdhsa_system_vgpr_workitem_id 1
		.amdhsa_next_free_vgpr 512
		.amdhsa_next_free_sgpr 22
		.amdhsa_named_barrier_count 0
		.amdhsa_reserve_vcc 1
		.amdhsa_float_round_mode_32 0
		.amdhsa_float_round_mode_16_64 0
		.amdhsa_float_denorm_mode_32 3
		.amdhsa_float_denorm_mode_16_64 3
		.amdhsa_fp16_overflow 0
		.amdhsa_memory_ordered 1
		.amdhsa_forward_progress 1
		.amdhsa_inst_pref_size 255
		.amdhsa_round_robin_scheduling 0
		.amdhsa_exception_fp_ieee_invalid_op 0
		.amdhsa_exception_fp_denorm_src 0
		.amdhsa_exception_fp_ieee_div_zero 0
		.amdhsa_exception_fp_ieee_overflow 0
		.amdhsa_exception_fp_ieee_underflow 0
		.amdhsa_exception_fp_ieee_inexact 0
		.amdhsa_exception_int_div_zero 0
	.end_amdhsa_kernel
	.section	.text._ZL12mul_mat_q2_KIN3c108BFloat16ELb1EEvPKvS3_PT_iiiii,"axG",@progbits,_ZL12mul_mat_q2_KIN3c108BFloat16ELb1EEvPKvS3_PT_iiiii,comdat
.Lfunc_end168:
	.size	_ZL12mul_mat_q2_KIN3c108BFloat16ELb1EEvPKvS3_PT_iiiii, .Lfunc_end168-_ZL12mul_mat_q2_KIN3c108BFloat16ELb1EEvPKvS3_PT_iiiii
                                        ; -- End function
	.set _ZL12mul_mat_q2_KIN3c108BFloat16ELb1EEvPKvS3_PT_iiiii.num_vgpr, 512
	.set _ZL12mul_mat_q2_KIN3c108BFloat16ELb1EEvPKvS3_PT_iiiii.num_agpr, 0
	.set _ZL12mul_mat_q2_KIN3c108BFloat16ELb1EEvPKvS3_PT_iiiii.numbered_sgpr, 22
	.set _ZL12mul_mat_q2_KIN3c108BFloat16ELb1EEvPKvS3_PT_iiiii.num_named_barrier, 0
	.set _ZL12mul_mat_q2_KIN3c108BFloat16ELb1EEvPKvS3_PT_iiiii.private_seg_size, 548
	.set _ZL12mul_mat_q2_KIN3c108BFloat16ELb1EEvPKvS3_PT_iiiii.uses_vcc, 1
	.set _ZL12mul_mat_q2_KIN3c108BFloat16ELb1EEvPKvS3_PT_iiiii.uses_flat_scratch, 1
	.set _ZL12mul_mat_q2_KIN3c108BFloat16ELb1EEvPKvS3_PT_iiiii.has_dyn_sized_stack, 0
	.set _ZL12mul_mat_q2_KIN3c108BFloat16ELb1EEvPKvS3_PT_iiiii.has_recursion, 0
	.set _ZL12mul_mat_q2_KIN3c108BFloat16ELb1EEvPKvS3_PT_iiiii.has_indirect_call, 0
	.section	.AMDGPU.csdata,"",@progbits
; Kernel info:
; codeLenInByte = 56844
; TotalNumSgprs: 24
; NumVgprs: 512
; ScratchSize: 548
; MemoryBound: 0
; FloatMode: 240
; IeeeMode: 1
; LDSByteSize: 31392 bytes/workgroup (compile time only)
; SGPRBlocks: 0
; VGPRBlocks: 31
; NumSGPRsForWavesPerEU: 24
; NumVGPRsForWavesPerEU: 512
; NamedBarCnt: 0
; Occupancy: 2
; WaveLimiterHint : 0
; COMPUTE_PGM_RSRC2:SCRATCH_EN: 1
; COMPUTE_PGM_RSRC2:USER_SGPR: 2
; COMPUTE_PGM_RSRC2:TRAP_HANDLER: 0
; COMPUTE_PGM_RSRC2:TGID_X_EN: 1
; COMPUTE_PGM_RSRC2:TGID_Y_EN: 1
; COMPUTE_PGM_RSRC2:TGID_Z_EN: 0
; COMPUTE_PGM_RSRC2:TIDIG_COMP_CNT: 1
	.section	.text._ZL12mul_mat_q3_KIN3c108BFloat16ELb0EEvPKvS3_PT_iiiii,"axG",@progbits,_ZL12mul_mat_q3_KIN3c108BFloat16ELb0EEvPKvS3_PT_iiiii,comdat
	.globl	_ZL12mul_mat_q3_KIN3c108BFloat16ELb0EEvPKvS3_PT_iiiii ; -- Begin function _ZL12mul_mat_q3_KIN3c108BFloat16ELb0EEvPKvS3_PT_iiiii
	.p2align	8
	.type	_ZL12mul_mat_q3_KIN3c108BFloat16ELb0EEvPKvS3_PT_iiiii,@function
_ZL12mul_mat_q3_KIN3c108BFloat16ELb0EEvPKvS3_PT_iiiii: ; @_ZL12mul_mat_q3_KIN3c108BFloat16ELb0EEvPKvS3_PT_iiiii
; %bb.0:
	s_clause 0x1
	s_load_b32 s10, s[0:1], 0x18
	s_load_b96 s[4:6], s[0:1], 0x20
	s_bfe_u32 s2, ttmp6, 0x4000c
	s_bfe_u32 s7, ttmp6, 0x40010
	s_add_co_i32 s2, s2, 1
	s_and_b32 s3, ttmp6, 15
	s_mul_i32 s2, ttmp9, s2
	s_add_co_i32 s7, s7, 1
	s_add_co_i32 s3, s3, s2
	s_mul_i32 s2, ttmp7, s7
	s_bfe_u32 s7, ttmp6, 0x40004
	s_getreg_b32 s8, hwreg(HW_REG_IB_STS2, 6, 4)
	s_add_co_i32 s7, s7, s2
	s_cmp_eq_u32 s8, 0
	v_bfe_u32 v19, v0, 10, 10
	s_cselect_b32 s7, ttmp7, s7
	v_and_b32_e32 v23, 0x3ff, v0
	s_cselect_b32 s2, ttmp9, s3
	s_lshl_b32 s7, s7, 6
	s_mov_b32 s3, 0
	s_wait_kmcnt 0x0
	s_cmp_gt_i32 s10, 0xff
	s_cbranch_scc1 .LBB169_2
; %bb.1:
	v_bfe_u32 v1, v0, 10, 10
	v_and_b32_e32 v2, 0x3ff, v0
	s_delay_alu instid0(VALU_DEP_2)
	v_add_nc_u32_e32 v51, s7, v1
	s_branch .LBB169_3
.LBB169_2:
	s_mov_b32 s3, -1
                                        ; implicit-def: $vgpr1
                                        ; implicit-def: $vgpr2
                                        ; implicit-def: $vgpr51
.LBB169_3:
	s_load_b64 s[8:9], s[0:1], 0x10
	v_dual_mov_b32 v9, 0 :: v_dual_mov_b32 v8, 0
	v_dual_mov_b32 v17, 0 :: v_dual_mov_b32 v16, 0
	v_dual_mov_b32 v31, 0 :: v_dual_mov_b32 v30, 0
	v_dual_mov_b32 v40, 0 :: v_dual_mov_b32 v41, 0
	v_dual_mov_b32 v11, 0 :: v_dual_mov_b32 v10, 0
	v_dual_mov_b32 v25, 0 :: v_dual_mov_b32 v24, 0
	v_dual_mov_b32 v33, 0 :: v_dual_mov_b32 v32, 0
	v_dual_mov_b32 v43, 0 :: v_dual_mov_b32 v42, 0
	v_dual_mov_b32 v13, 0 :: v_dual_mov_b32 v12, 0
	v_dual_mov_b32 v27, 0 :: v_dual_mov_b32 v26, 0
	v_dual_mov_b32 v35, 0 :: v_dual_mov_b32 v34, 0
	v_dual_mov_b32 v45, 0 :: v_dual_mov_b32 v44, 0
	v_dual_mov_b32 v15, 0 :: v_dual_mov_b32 v14, 0
	v_dual_mov_b32 v29, 0 :: v_dual_mov_b32 v28, 0
	v_dual_mov_b32 v37, 0 :: v_dual_mov_b32 v36, 0
	v_dual_mov_b32 v47, 0 :: v_dual_mov_b32 v46, 0
	s_and_not1_b32 vcc_lo, exec_lo, s3
	s_lshl_b32 s14, s2, 7
	s_cbranch_vccnz .LBB169_15
; %bb.4:
	v_dual_add_nc_u32 v28, 8, v19 :: v_dual_bitop2_b32 v26, 15, v0 bitop3:0x40
	v_bfe_u32 v27, v0, 1, 9
	v_bfe_u32 v18, v0, 4, 6
	v_dual_add_nc_u32 v33, 40, v19 :: v_dual_add_nc_u32 v51, s7, v19
	s_delay_alu instid0(VALU_DEP_4) | instskip(NEXT) | instid1(VALU_DEP_4)
	v_dual_lshlrev_b32 v20, 2, v26 :: v_dual_bitop2_b32 v22, 1, v0 bitop3:0x40
	v_lshl_add_u32 v1, v19, 4, v27
	s_add_co_i32 s16, s4, -1
	v_dual_lshlrev_b32 v3, 1, v19 :: v_dual_add_nc_u32 v32, 32, v19
	s_delay_alu instid0(VALU_DEP_3) | instskip(NEXT) | instid1(VALU_DEP_3)
	v_lshlrev_b32_e32 v2, 2, v22
	v_and_b32_e32 v31, 0x7f, v1
	v_dual_lshrrev_b32 v1, 2, v1 :: v_dual_add_nc_u32 v34, 48, v19
	v_dual_add_nc_u32 v6, 8, v51 :: v_dual_add_nc_u32 v8, 16, v51
	s_delay_alu instid0(VALU_DEP_3) | instskip(SKIP_1) | instid1(VALU_DEP_4)
	v_lshl_or_b32 v21, v31, 3, v2
	v_add_nc_u16 v2, v18, v3
	v_dual_add_nc_u32 v10, 24, v51 :: v_dual_bitop2_b32 v1, 28, v1 bitop3:0x40
	v_dual_add_nc_u32 v12, 32, v51 :: v_dual_add_nc_u32 v14, 40, v51
	v_add_nc_u32_e32 v16, 48, v51
	s_delay_alu instid0(VALU_DEP_4) | instskip(NEXT) | instid1(VALU_DEP_4)
	v_lshrrev_b16 v36, 1, v2
	v_add3_u32 v53, v21, v1, 0x9380
	v_dual_add_nc_u32 v35, v18, v3 :: v_dual_bitop2_b32 v110, 7, v0 bitop3:0x40
	v_cvt_f64_i32_e32 v[2:3], s16
	s_delay_alu instid0(VALU_DEP_4)
	v_and_b32_e32 v1, 0xffff, v36
	v_add_nc_u32_e32 v24, 56, v51
	v_cvt_f64_u32_e32 v[4:5], v51
	v_cvt_f64_u32_e32 v[6:7], v6
	;; [unrolled: 1-line block ×7, first 2 shown]
	v_lshlrev_b32_e32 v1, 2, v1
	v_cvt_f64_u32_e32 v[24:25], v24
	v_dual_add_nc_u32 v40, 48, v35 :: v_dual_lshlrev_b32 v43, 6, v35
	v_add_nc_u32_e32 v44, 64, v35
	v_bfe_u32 v49, v0, 3, 7
	v_dual_add_nc_u32 v39, 16, v35 :: v_dual_add_nc_u32 v21, 32, v35
	s_delay_alu instid0(VALU_DEP_4) | instskip(NEXT) | instid1(VALU_DEP_4)
	v_lshlrev_b32_e32 v42, 1, v40
	v_lshlrev_b32_e32 v45, 1, v44
	s_delay_alu instid0(VALU_DEP_4) | instskip(NEXT) | instid1(VALU_DEP_4)
	v_lshl_add_u32 v92, v19, 2, v49
	v_dual_lshlrev_b32 v36, 1, v39 :: v_dual_lshlrev_b32 v41, 1, v21
	v_add3_u32 v1, v1, v20, 0x4200
	v_and_b32_e32 v42, 0xffc, v42
	v_add_nc_u32_e32 v47, 0x70, v35
	v_dual_lshlrev_b32 v39, 6, v39 :: v_dual_lshlrev_b32 v21, 6, v21
	v_and_b32_e32 v41, 0xffc, v41
	s_delay_alu instid0(VALU_DEP_4) | instskip(NEXT) | instid1(VALU_DEP_4)
	v_add3_u32 v42, v42, v20, 0x4200
	v_dual_lshlrev_b32 v40, 6, v40 :: v_dual_lshlrev_b32 v50, 1, v47
	v_lshlrev_b32_e32 v47, 6, v47
	s_delay_alu instid0(VALU_DEP_4) | instskip(NEXT) | instid1(VALU_DEP_3)
	v_add3_u32 v41, v41, v20, 0x4200
	v_dual_add_nc_u32 v65, v1, v43 :: v_dual_add_nc_u32 v71, v42, v40
	v_min_num_f64_e32 v[4:5], v[4:5], v[2:3]
	v_min_num_f64_e32 v[6:7], v[6:7], v[2:3]
	;; [unrolled: 1-line block ×3, first 2 shown]
	v_dual_min_num_f64 v[10:11], v[10:11], v[2:3] :: v_dual_lshlrev_b32 v44, 6, v44
	v_min_num_f64_e32 v[12:13], v[12:13], v[2:3]
	v_min_num_f64_e32 v[14:15], v[14:15], v[2:3]
	;; [unrolled: 1-line block ×4, first 2 shown]
	v_add_nc_u32_e32 v25, 0x60, v35
	v_add_nc_u32_e32 v1, 0x60, v92
	v_dual_add_nc_u32 v37, 56, v19 :: v_dual_lshlrev_b32 v38, 2, v110
	v_and_b32_e32 v49, 0xffc, v50
	s_delay_alu instid0(VALU_DEP_4)
	v_dual_lshlrev_b32 v48, 1, v25 :: v_dual_add_nc_u32 v50, 32, v92
	v_add_nc_u32_e32 v69, v41, v21
	v_and_b32_e32 v21, 0xffc, v1
	v_lshlrev_b32_e32 v25, 6, v25
	v_lshlrev_b32_e32 v1, 5, v1
	v_and_b32_e32 v36, 0xffc, v36
	v_and_b32_e32 v48, 0xffc, v48
	v_add3_u32 v21, v21, v38, 0x8300
	v_and_b32_e32 v52, 0x7fc, v92
	v_and_b32_e32 v54, 0xffc, v50
	v_add3_u32 v36, v36, v20, 0x4200
	v_dual_add_nc_u32 v29, 16, v19 :: v_dual_add_nc_u32 v30, 24, v19
	v_add_nc_u32_e32 v87, v21, v1
	v_and_b32_e32 v24, 0xffc, v45
	v_add3_u32 v48, v48, v20, 0x4200
	s_ashr_i32 s11, s10, 31
	v_cvt_i32_f64_e32 v4, v[4:5]
	v_cvt_i32_f64_e32 v5, v[6:7]
	;; [unrolled: 1-line block ×4, first 2 shown]
	v_add_nc_u32_e32 v11, 32, v23
	v_cvt_i32_f64_e32 v8, v[12:13]
	v_and_b32_e32 v12, 0xfc, v0
	v_add_nc_u32_e32 v13, 64, v23
	v_cvt_i32_f64_e32 v2, v[2:3]
	v_lshlrev_b32_e32 v3, 5, v23
	v_cvt_i32_f64_e32 v9, v[14:15]
	v_lshlrev_b32_e32 v14, 5, v11
	v_and_b32_e32 v15, 0x1fc, v11
	v_mov_b32_e32 v21, 0
	v_add3_u32 v55, v3, v12, 0x8300
	v_lshlrev_b32_e32 v3, 5, v13
	v_cvt_i32_f64_e32 v10, v[16:17]
	v_add_nc_u32_e32 v16, 0x60, v23
	v_add3_u32 v57, v14, v15, 0x8300
	v_and_b32_e32 v12, 0x1fc, v13
	v_add3_u32 v17, v52, v38, 0x8300
	s_delay_alu instid0(VALU_DEP_4) | instskip(SKIP_1) | instid1(VALU_DEP_4)
	v_dual_add_nc_u32 v67, v36, v39 :: v_dual_lshlrev_b32 v14, 5, v16
	v_and_b32_e32 v15, 0x1fc, v16
	v_add3_u32 v59, v3, v12, 0x8300
	v_lshlrev_b32_e32 v3, 5, v92
	v_add3_u32 v12, v54, v38, 0x8300
	v_and_b32_e32 v39, 31, v0
	v_add3_u32 v63, v14, v15, 0x8300
	v_dual_add_nc_u32 v14, 64, v92 :: v_dual_lshlrev_b32 v15, 5, v50
	s_lshr_b32 s11, s11, 24
	v_add3_u32 v24, v24, v20, 0x4200
	s_add_co_i32 s10, s10, s11
	s_delay_alu instid0(VALU_DEP_2) | instskip(SKIP_1) | instid1(VALU_DEP_3)
	v_and_b32_e32 v36, 0xffc, v14
	v_add3_u32 v49, v49, v20, 0x4200
	v_dual_lshlrev_b32 v14, 5, v14 :: v_dual_add_nc_u32 v73, v24, v44
	v_lshl_or_b32 v39, v39, 2, 0x6300
	s_delay_alu instid0(VALU_DEP_4) | instskip(NEXT) | instid1(VALU_DEP_4)
	v_add3_u32 v36, v36, v38, 0x8300
	v_dual_add_nc_u32 v77, v48, v25 :: v_dual_add_nc_u32 v79, v49, v47
	v_dual_lshlrev_b32 v25, 7, v29 :: v_dual_lshlrev_b32 v41, 7, v30
	v_dual_add_nc_u32 v81, v17, v3 :: v_dual_lshlrev_b32 v3, 7, v32
	v_dual_add_nc_u32 v83, v12, v15 :: v_dual_lshlrev_b32 v12, 7, v33
	v_bfe_u32 v15, v0, 2, 8
	s_ashr_i32 s12, s5, 31
	s_ashr_i32 s15, s10, 8
	s_lshr_b32 s11, s12, 27
	s_mul_i32 s10, s15, s14
	v_dual_lshlrev_b32 v24, 7, v19 :: v_dual_add_nc_u32 v85, v36, v14
	v_lshlrev_b32_e32 v1, 7, v37
	v_dual_add_nc_u32 v93, v39, v25 :: v_dual_add_nc_u32 v97, v39, v3
	v_dual_add_nc_u32 v95, v39, v41 :: v_dual_bitop2_b32 v0, 3, v0 bitop3:0x40
	v_lshl_add_u32 v3, v19, 3, v15
	s_add_co_i32 s5, s5, s11
	s_ashr_i32 s11, s10, 31
	v_dual_lshlrev_b32 v14, 7, v34 :: v_dual_add_nc_u32 v89, v39, v24
	s_mul_u64 s[12:13], s[10:11], 0x6e
	s_lshl_b32 s10, s15, 3
	s_delay_alu instid0(VALU_DEP_1) | instskip(SKIP_4) | instid1(VALU_DEP_3)
	v_dual_add_nc_u32 v99, v39, v12 :: v_dual_add_nc_u32 v101, v39, v14
	v_dual_add_nc_u32 v103, v39, v1 :: v_dual_bitop2_b32 v3, 63, v3 bitop3:0x40
	v_lshlrev_b32_e32 v12, 2, v0
	v_mad_i32_i24 v50, s15, v19, s10
	s_ashr_i32 s5, s5, 5
	v_dual_lshlrev_b32 v129, 5, v37 :: v_dual_bitop2_b32 v14, s7, v3 bitop3:0x54
	s_delay_alu instid0(VALU_DEP_3) | instskip(NEXT) | instid1(VALU_DEP_3)
	v_lshl_or_b32 v3, v3, 4, v12
	v_add_nc_u32_e32 v52, s10, v50
	v_mul_lo_u32 v113, s5, v4
	v_mul_lo_u32 v118, s5, v7
	;; [unrolled: 1-line block ×3, first 2 shown]
	v_add_nc_u32_e32 v111, 0x97a0, v3
	v_dual_lshrrev_b32 v3, 4, v11 :: v_dual_lshrrev_b32 v4, 1, v13
	v_dual_add_nc_u32 v54, s10, v52 :: v_dual_lshrrev_b32 v2, 1, v11
	v_lshrrev_b32_e32 v7, 4, v16
	v_mul_lo_u32 v117, s5, v6
	v_dual_lshlrev_b32 v133, 3, v13 :: v_dual_lshrrev_b32 v6, 1, v16
	s_delay_alu instid0(VALU_DEP_4) | instskip(SKIP_3) | instid1(VALU_DEP_4)
	v_add_nc_u32_e32 v56, s10, v54
	v_dual_lshlrev_b32 v139, 2, v2 :: v_dual_lshlrev_b32 v140, 2, v3
	v_lshlrev_b32_e32 v144, 2, v7
	v_add_nc_u16 v1, v0, -2
	v_add_nc_u32_e32 v58, s10, v56
	v_cmp_gt_u32_e32 vcc_lo, 2, v0
	v_add_nc_u32_e32 v46, 0x50, v35
	s_lshl_b32 s11, s15, 4
	s_wait_xcnt 0x0
	s_load_b128 s[0:3], s[0:1], 0x0
	v_add_nc_u32_e32 v62, s10, v58
	v_mad_i32_i24 v70, s15, v35, s11
	v_dual_cndmask_b32 v1, v1, v0, vcc_lo :: v_dual_lshlrev_b32 v45, 1, v46
	v_lshlrev_b32_e32 v46, 6, v46
	s_delay_alu instid0(VALU_DEP_4)
	v_add_nc_u32_e32 v64, s10, v62
	v_lshlrev_b32_e32 v143, 2, v6
	v_add_nc_u32_e32 v74, s11, v70
	v_and_b32_e32 v45, 0xffc, v45
	v_and_b32_e32 v1, 0xff, v1
	v_add_nc_u32_e32 v66, s10, v64
	v_dual_lshlrev_b32 v40, 7, v28 :: v_dual_min_i32 v12, s16, v14
	s_delay_alu instid0(VALU_DEP_4) | instskip(NEXT) | instid1(VALU_DEP_4)
	v_add3_u32 v45, v45, v20, 0x4200
	v_dual_lshlrev_b32 v48, 2, v1 :: v_dual_lshlrev_b32 v1, 2, v23
	s_delay_alu instid0(VALU_DEP_4) | instskip(SKIP_1) | instid1(VALU_DEP_3)
	v_add_nc_u32_e32 v68, s10, v66
	s_lshl_b32 s16, s15, 5
	v_add_nc_u32_e32 v75, v45, v46
	v_mul_i32_i24_e32 v88, s15, v92
	v_mad_i32_i24 v92, s15, v92, s16
	v_add_nc_u32_e32 v72, s10, v68
	v_cmp_lt_u32_e32 vcc_lo, 7, v26
	v_dual_add_nc_u32 v91, v39, v40 :: v_dual_mov_b32 v39, v21
	v_dual_mov_b32 v49, v21 :: v_dual_lshlrev_b32 v107, 1, v0
	s_delay_alu instid0(VALU_DEP_4) | instskip(SKIP_3) | instid1(VALU_DEP_4)
	v_dual_add_nc_u32 v76, s10, v72 :: v_dual_add_nc_u32 v78, s11, v74
	v_mad_u32 v105, v12, s5, v0
	v_mad_u32_u24 v109, 0x84, v19, v1
	v_dual_mov_b32 v1, v21 :: v_dual_bitop2_b32 v0, 28, v1 bitop3:0x40
	v_dual_add_nc_u32 v80, s10, v76 :: v_dual_add_nc_u32 v86, s11, v78
	v_mul_lo_u32 v119, s5, v8
	v_dual_lshlrev_b32 v134, 6, v16 :: v_dual_lshlrev_b32 v8, 1, v23
	s_delay_alu instid0(VALU_DEP_3) | instskip(NEXT) | instid1(VALU_DEP_4)
	v_dual_add_nc_u32 v90, s10, v80 :: v_dual_lshlrev_b32 v160, 5, v19
	v_add_nc_u32_e32 v94, s11, v86
	v_mul_lo_u32 v116, s5, v5
	v_mul_lo_u32 v120, s5, v9
	;; [unrolled: 1-line block ×3, first 2 shown]
	v_dual_lshrrev_b32 v5, 4, v13 :: v_dual_lshlrev_b32 v132, 6, v13
	v_dual_add_nc_u32 v96, s10, v90 :: v_dual_lshlrev_b32 v162, 6, v23
	v_dual_add_nc_u32 v98, s11, v94 :: v_dual_add_nc_u32 v108, s16, v92
	v_cndmask_b32_e64 v104, 0, 1, vcc_lo
	v_cmp_lt_u32_e32 vcc_lo, 3, v110
	v_dual_lshlrev_b32 v123, 5, v28 :: v_dual_lshlrev_b32 v124, 5, v29
	v_dual_lshlrev_b32 v125, 5, v30 :: v_dual_lshlrev_b32 v126, 5, v32
	;; [unrolled: 1-line block ×5, first 2 shown]
	s_wait_kmcnt 0x0
	v_add_nc_u64_e32 v[60:61], s[2:3], v[0:1]
	v_dual_lshlrev_b32 v138, 2, v8 :: v_dual_bitop2_b32 v137, 4, v8 bitop3:0x40
	v_mul_i32_i24_e32 v82, s15, v31
	v_mul_i32_i24_e32 v84, s15, v35
	v_mov_b64_e32 v[40:41], 0
	v_mov_b64_e32 v[30:31], 0
	;; [unrolled: 1-line block ×16, first 2 shown]
	v_dual_lshlrev_b32 v141, 2, v4 :: v_dual_lshlrev_b32 v142, 2, v5
	v_add_nc_u32_e32 v145, 0x420, v109
	v_add_nc_u32_e32 v146, 0x840, v109
	;; [unrolled: 1-line block ×15, first 2 shown]
	v_mul_u32_u24_e32 v161, 0x84, v23
	v_dual_lshlrev_b32 v163, 2, v18 :: v_dual_add_nc_u32 v102, s10, v96
	v_mul_i32_i24_e32 v100, s15, v19
	v_dual_add_nc_u32 v106, s11, v98 :: v_dual_add_nc_u32 v112, s16, v108
	v_cndmask_b32_e64 v110, 0, 1, vcc_lo
	s_mov_b32 s11, 0
	s_add_nc_u64 s[0:1], s[0:1], s[12:13]
	s_mov_b32 s10, s11
	s_branch .LBB169_6
.LBB169_5:                              ;   in Loop: Header=BB169_6 Depth=1
	s_add_co_i32 s10, s10, 2
	s_delay_alu instid0(SALU_CYCLE_1)
	s_cmp_ge_i32 s10, s15
	s_cbranch_scc1 .LBB169_14
.LBB169_6:                              ; =>This Loop Header: Depth=1
                                        ;     Child Loop BB169_8 Depth 2
                                        ;       Child Loop BB169_10 Depth 3
                                        ;       Child Loop BB169_12 Depth 3
	s_mul_u64 s[12:13], s[10:11], 0x6e
	s_lshl_b32 s5, s10, 3
	s_add_nc_u64 s[12:13], s[0:1], s[12:13]
	v_add_nc_u32_e32 v164, s5, v105
	v_mad_nc_u64_u32 v[0:1], 0x6e, v18, s[12:13]
	s_delay_alu instid0(VALU_DEP_1) | instskip(NEXT) | instid1(VALU_DEP_1)
	v_mad_nc_u64_u32 v[2:3], 0x6e, v100, v[0:1]
	v_add_nc_u64_e32 v[2:3], v[2:3], v[20:21]
	global_load_b32 v2, v[2:3], off offset:32
	s_wait_loadcnt 0x0
	ds_store_b32 v109, v2
	s_wait_xcnt 0x0
	v_mad_nc_u64_u32 v[2:3], 0x6e, v50, v[0:1]
	s_delay_alu instid0(VALU_DEP_1)
	v_add_nc_u64_e32 v[2:3], v[2:3], v[20:21]
	global_load_b32 v2, v[2:3], off offset:32
	s_wait_loadcnt 0x0
	ds_store_b32 v145, v2
	s_wait_xcnt 0x0
	v_mad_nc_u64_u32 v[2:3], 0x6e, v52, v[0:1]
	s_delay_alu instid0(VALU_DEP_1)
	;; [unrolled: 7-line block ×13, first 2 shown]
	v_add_nc_u64_e32 v[2:3], v[2:3], v[20:21]
	global_load_b32 v2, v[2:3], off offset:32
	s_wait_loadcnt 0x0
	ds_store_b32 v157, v2
	s_wait_xcnt 0x0
	v_mad_nc_u64_u32 v[2:3], 0x6e, v96, v[0:1]
	v_mad_nc_u64_u32 v[0:1], 0x6e, v102, v[0:1]
	s_delay_alu instid0(VALU_DEP_2) | instskip(NEXT) | instid1(VALU_DEP_2)
	v_add_nc_u64_e32 v[2:3], v[2:3], v[20:21]
	v_add_nc_u64_e32 v[0:1], v[0:1], v[20:21]
	s_clause 0x1
	global_load_b32 v2, v[2:3], off offset:32
	global_load_b32 v0, v[0:1], off offset:32
	s_wait_loadcnt 0x1
	ds_store_b32 v158, v2
	s_wait_loadcnt 0x0
	ds_store_b32 v159, v0
	s_wait_xcnt 0x0
	v_mad_nc_u64_u32 v[0:1], 0x6e, v82, s[12:13]
	s_delay_alu instid0(VALU_DEP_1)
	v_mad_nc_u64_u32 v[0:1], 0x6e, v22, v[0:1]
	global_load_u16 v0, v[0:1], off offset:108
	s_wait_loadcnt 0x0
	s_wait_xcnt 0x0
	v_cvt_f32_f16_e32 v0, v0
	ds_store_b32 v53, v0
	v_mad_nc_u64_u32 v[0:1], 0x6e, v104, s[12:13]
	s_delay_alu instid0(VALU_DEP_1) | instskip(NEXT) | instid1(VALU_DEP_1)
	v_add_nc_u64_e32 v[0:1], v[0:1], v[38:39]
	v_mad_nc_u64_u32 v[2:3], 0x6e, v84, v[0:1]
	global_load_b32 v2, v[2:3], off
	s_wait_loadcnt 0x0
	s_wait_xcnt 0x0
	v_not_b32_e32 v2, v2
	ds_store_b32 v65, v2
	v_mad_nc_u64_u32 v[2:3], 0x6e, v70, v[0:1]
	global_load_b32 v2, v[2:3], off
	s_wait_loadcnt 0x0
	s_wait_xcnt 0x0
	v_not_b32_e32 v2, v2
	ds_store_b32 v67, v2
	;; [unrolled: 6-line block ×6, first 2 shown]
	v_mad_nc_u64_u32 v[2:3], 0x6e, v98, v[0:1]
	v_mad_nc_u64_u32 v[0:1], 0x6e, v106, v[0:1]
	s_clause 0x1
	global_load_b32 v2, v[2:3], off
	global_load_b32 v0, v[0:1], off
	s_wait_loadcnt 0x1
	s_wait_xcnt 0x1
	v_not_b32_e32 v2, v2
	s_wait_loadcnt 0x0
	s_wait_xcnt 0x0
	v_not_b32_e32 v0, v0
	ds_store_b32 v77, v2
	ds_store_b32 v79, v0
	v_mad_nc_u64_u32 v[0:1], 0x6e, v110, s[12:13]
	s_mov_b32 s12, 0
	s_delay_alu instid0(VALU_DEP_1) | instskip(NEXT) | instid1(VALU_DEP_1)
	v_mad_nc_u64_u32 v[2:3], 0x6e, v88, v[0:1]
	v_add_nc_u64_e32 v[4:5], v[2:3], v[48:49]
	s_clause 0x1
	global_load_b32 v2, v[2:3], off offset:104
	global_load_b32 v4, v[4:5], off offset:96
	s_wait_loadcnt 0x1
	s_wait_xcnt 0x1
	v_ashrrev_i32_e32 v2, v107, v2
	s_wait_loadcnt 0x0
	s_wait_xcnt 0x0
	s_delay_alu instid0(VALU_DEP_1) | instskip(NEXT) | instid1(VALU_DEP_1)
	v_dual_lshlrev_b32 v2, 4, v2 :: v_dual_ashrrev_i32 v4, v137, v4
	v_and_b32_e32 v4, 0xf0f0f0f, v4
	s_delay_alu instid0(VALU_DEP_1) | instskip(NEXT) | instid1(VALU_DEP_1)
	v_and_or_b32 v2, 0x30303030, v2, v4
	v_lshlrev_b16 v4, 8, v2
	v_lshrrev_b32_e32 v3, 16, v2
	s_delay_alu instid0(VALU_DEP_2) | instskip(NEXT) | instid1(VALU_DEP_1)
	v_add_nc_u16 v4, 0xe000, v4
	v_lshrrev_b16 v4, 8, v4
	s_delay_alu instid0(VALU_DEP_1) | instskip(NEXT) | instid1(VALU_DEP_4)
	v_bitop3_b16 v2, v2, v4, 0x3f00 bitop3:0xec
	v_lshlrev_b16 v4, 8, v3
	s_delay_alu instid0(VALU_DEP_2) | instskip(NEXT) | instid1(VALU_DEP_2)
	v_add_nc_u16 v2, 0xe000, v2
	v_add_nc_u16 v4, 0xe000, v4
	s_delay_alu instid0(VALU_DEP_2) | instskip(NEXT) | instid1(VALU_DEP_2)
	v_and_b32_e32 v2, 0xffff, v2
	v_lshrrev_b16 v4, 8, v4
	s_delay_alu instid0(VALU_DEP_1) | instskip(NEXT) | instid1(VALU_DEP_1)
	v_bitop3_b16 v3, v3, v4, 0x3f00 bitop3:0xec
	v_add_nc_u16 v3, 0xe000, v3
	s_delay_alu instid0(VALU_DEP_1) | instskip(NEXT) | instid1(VALU_DEP_1)
	v_lshlrev_b32_e32 v3, 16, v3
	v_or_b32_e32 v2, v2, v3
	ds_store_b32 v81, v2
	v_mad_nc_u64_u32 v[2:3], 0x6e, v92, v[0:1]
	s_delay_alu instid0(VALU_DEP_1)
	v_add_nc_u64_e32 v[4:5], v[2:3], v[48:49]
	s_clause 0x1
	global_load_b32 v2, v[2:3], off offset:104
	global_load_b32 v4, v[4:5], off offset:96
	s_wait_loadcnt 0x1
	s_wait_xcnt 0x1
	v_ashrrev_i32_e32 v2, v107, v2
	s_wait_loadcnt 0x0
	s_wait_xcnt 0x0
	s_delay_alu instid0(VALU_DEP_1) | instskip(NEXT) | instid1(VALU_DEP_1)
	v_dual_lshlrev_b32 v2, 4, v2 :: v_dual_ashrrev_i32 v4, v137, v4
	v_and_b32_e32 v4, 0xf0f0f0f, v4
	s_delay_alu instid0(VALU_DEP_1) | instskip(NEXT) | instid1(VALU_DEP_1)
	v_and_or_b32 v2, 0x30303030, v2, v4
	v_lshlrev_b16 v4, 8, v2
	v_lshrrev_b32_e32 v3, 16, v2
	s_delay_alu instid0(VALU_DEP_2) | instskip(NEXT) | instid1(VALU_DEP_1)
	v_add_nc_u16 v4, 0xe000, v4
	v_lshrrev_b16 v4, 8, v4
	s_delay_alu instid0(VALU_DEP_1) | instskip(NEXT) | instid1(VALU_DEP_4)
	v_bitop3_b16 v2, v2, v4, 0x3f00 bitop3:0xec
	v_lshlrev_b16 v4, 8, v3
	s_delay_alu instid0(VALU_DEP_2) | instskip(NEXT) | instid1(VALU_DEP_2)
	v_add_nc_u16 v2, 0xe000, v2
	v_add_nc_u16 v4, 0xe000, v4
	s_delay_alu instid0(VALU_DEP_2) | instskip(NEXT) | instid1(VALU_DEP_2)
	v_and_b32_e32 v2, 0xffff, v2
	v_lshrrev_b16 v4, 8, v4
	s_delay_alu instid0(VALU_DEP_1) | instskip(NEXT) | instid1(VALU_DEP_1)
	v_bitop3_b16 v3, v3, v4, 0x3f00 bitop3:0xec
	v_add_nc_u16 v3, 0xe000, v3
	s_delay_alu instid0(VALU_DEP_1) | instskip(NEXT) | instid1(VALU_DEP_1)
	v_lshlrev_b32_e32 v3, 16, v3
	v_or_b32_e32 v2, v2, v3
	ds_store_b32 v83, v2
	v_mad_nc_u64_u32 v[2:3], 0x6e, v108, v[0:1]
	v_mad_nc_u64_u32 v[0:1], 0x6e, v112, v[0:1]
	s_delay_alu instid0(VALU_DEP_2)
	v_add_nc_u64_e32 v[4:5], v[2:3], v[48:49]
	s_clause 0x1
	global_load_b32 v2, v[2:3], off offset:104
	global_load_b32 v4, v[4:5], off offset:96
	s_wait_loadcnt 0x1
	s_wait_xcnt 0x1
	v_ashrrev_i32_e32 v2, v107, v2
	s_wait_loadcnt 0x0
	s_wait_xcnt 0x0
	s_delay_alu instid0(VALU_DEP_1) | instskip(NEXT) | instid1(VALU_DEP_1)
	v_dual_lshlrev_b32 v2, 4, v2 :: v_dual_ashrrev_i32 v4, v137, v4
	v_and_b32_e32 v4, 0xf0f0f0f, v4
	s_delay_alu instid0(VALU_DEP_1) | instskip(NEXT) | instid1(VALU_DEP_1)
	v_and_or_b32 v2, 0x30303030, v2, v4
	v_lshlrev_b16 v4, 8, v2
	v_lshrrev_b32_e32 v3, 16, v2
	s_delay_alu instid0(VALU_DEP_2) | instskip(NEXT) | instid1(VALU_DEP_1)
	v_add_nc_u16 v4, 0xe000, v4
	v_lshrrev_b16 v4, 8, v4
	s_delay_alu instid0(VALU_DEP_1) | instskip(NEXT) | instid1(VALU_DEP_4)
	v_bitop3_b16 v2, v2, v4, 0x3f00 bitop3:0xec
	v_lshlrev_b16 v4, 8, v3
	s_delay_alu instid0(VALU_DEP_2) | instskip(NEXT) | instid1(VALU_DEP_2)
	v_add_nc_u16 v2, 0xe000, v2
	v_add_nc_u16 v4, 0xe000, v4
	s_delay_alu instid0(VALU_DEP_2) | instskip(NEXT) | instid1(VALU_DEP_2)
	v_and_b32_e32 v2, 0xffff, v2
	v_lshrrev_b16 v4, 8, v4
	s_delay_alu instid0(VALU_DEP_1) | instskip(NEXT) | instid1(VALU_DEP_1)
	v_bitop3_b16 v3, v3, v4, 0x3f00 bitop3:0xec
	v_add_nc_u16 v3, 0xe000, v3
	s_delay_alu instid0(VALU_DEP_1) | instskip(NEXT) | instid1(VALU_DEP_1)
	v_lshlrev_b32_e32 v3, 16, v3
	v_or_b32_e32 v2, v2, v3
	ds_store_b32 v85, v2
	v_add_nc_u64_e32 v[2:3], v[0:1], v[48:49]
	s_clause 0x1
	global_load_b32 v0, v[0:1], off offset:104
	global_load_b32 v2, v[2:3], off offset:96
	s_wait_loadcnt 0x1
	s_wait_xcnt 0x1
	v_ashrrev_i32_e32 v0, v107, v0
	s_wait_loadcnt 0x0
	s_wait_xcnt 0x0
	s_delay_alu instid0(VALU_DEP_1) | instskip(NEXT) | instid1(VALU_DEP_1)
	v_dual_lshlrev_b32 v0, 4, v0 :: v_dual_ashrrev_i32 v2, v137, v2
	v_and_b32_e32 v2, 0xf0f0f0f, v2
	s_delay_alu instid0(VALU_DEP_1) | instskip(NEXT) | instid1(VALU_DEP_1)
	v_and_or_b32 v0, 0x30303030, v0, v2
	v_lshlrev_b16 v2, 8, v0
	v_lshrrev_b32_e32 v1, 16, v0
	s_delay_alu instid0(VALU_DEP_2) | instskip(NEXT) | instid1(VALU_DEP_1)
	v_add_nc_u16 v2, 0xe000, v2
	v_lshrrev_b16 v2, 8, v2
	s_delay_alu instid0(VALU_DEP_1) | instskip(NEXT) | instid1(VALU_DEP_4)
	v_bitop3_b16 v0, v0, v2, 0x3f00 bitop3:0xec
	v_lshlrev_b16 v2, 8, v1
	s_delay_alu instid0(VALU_DEP_2) | instskip(NEXT) | instid1(VALU_DEP_2)
	v_add_nc_u16 v0, 0xe000, v0
	v_add_nc_u16 v2, 0xe000, v2
	s_delay_alu instid0(VALU_DEP_2) | instskip(NEXT) | instid1(VALU_DEP_2)
	v_and_b32_e32 v0, 0xffff, v0
	v_lshrrev_b16 v2, 8, v2
	s_delay_alu instid0(VALU_DEP_1) | instskip(NEXT) | instid1(VALU_DEP_1)
	v_bitop3_b16 v1, v1, v2, 0x3f00 bitop3:0xec
	v_add_nc_u16 v1, 0xe000, v1
	s_delay_alu instid0(VALU_DEP_1) | instskip(NEXT) | instid1(VALU_DEP_1)
	v_lshlrev_b32_e32 v1, 16, v1
	v_or_b32_e32 v0, v0, v1
	ds_store_b32 v87, v0
	s_branch .LBB169_8
.LBB169_7:                              ;   in Loop: Header=BB169_8 Depth=2
                                        ; implicit-def: $sgpr12
	s_and_b32 vcc_lo, exec_lo, s13
	s_cbranch_vccnz .LBB169_5
.LBB169_8:                              ;   Parent Loop BB169_6 Depth=1
                                        ; =>  This Loop Header: Depth=2
                                        ;       Child Loop BB169_10 Depth 3
                                        ;       Child Loop BB169_12 Depth 3
	s_lshr_b32 s13, s12, 1
	s_delay_alu instid0(SALU_CYCLE_1) | instskip(NEXT) | instid1(SALU_CYCLE_1)
	s_or_b32 s13, s13, s10
	s_cmp_lt_i32 s13, s15
	s_mov_b32 s13, -1
	s_cbranch_scc0 .LBB169_7
; %bb.9:                                ;   in Loop: Header=BB169_8 Depth=2
	v_lshl_add_u32 v0, s12, 5, v23
	v_lshl_add_u32 v1, s12, 2, v164
	s_or_b32 s16, s12, 1
	s_lshl_b32 s17, s12, 3
	s_lshl_b32 s13, s16, 3
	v_lshrrev_b32_e32 v0, 3, v0
	s_delay_alu instid0(VALU_DEP_1) | instskip(SKIP_1) | instid1(VALU_DEP_2)
	v_add_nc_u32_e32 v2, s5, v0
	v_mad_nc_u64_u32 v[0:1], v1, 36, s[2:3]
	v_dual_add_nc_u32 v3, v2, v122 :: v_dual_add_nc_u32 v168, v2, v119
	v_dual_add_nc_u32 v4, v2, v113 :: v_dual_add_nc_u32 v6, v2, v116
	;; [unrolled: 1-line block ×4, first 2 shown]
	s_delay_alu instid0(VALU_DEP_4) | instskip(NEXT) | instid1(VALU_DEP_4)
	v_mad_nc_i64_i32 v[2:3], v3, 36, v[60:61]
	v_mad_nc_i64_i32 v[4:5], v4, 36, v[60:61]
	;; [unrolled: 1-line block ×8, first 2 shown]
	s_clause 0x8
	global_load_b32 v165, v[0:1], off
	global_load_b32 v174, v[2:3], off offset:4
	global_load_b32 v175, v[4:5], off offset:4
	global_load_b32 v176, v[6:7], off offset:4
	global_load_b32 v177, v[114:115], off offset:4
	global_load_b32 v178, v[166:167], off offset:4
	global_load_b32 v179, v[168:169], off offset:4
	global_load_b32 v180, v[170:171], off offset:4
	global_load_b32 v181, v[172:173], off offset:4
	s_wait_loadcnt 0x8
	s_wait_xcnt 0x8
	v_cvt_f32_f16_e64 v0, v165
	s_wait_loadcnt 0x7
	ds_store_b32 v103, v174
	s_wait_loadcnt 0x6
	ds_store_b32 v89, v175
	;; [unrolled: 2-line block ×8, first 2 shown]
	ds_store_b32 v111, v0
	s_wait_dscnt 0x0
	s_barrier_signal -1
	s_barrier_wait -1
.LBB169_10:                             ;   Parent Loop BB169_6 Depth=1
                                        ;     Parent Loop BB169_8 Depth=2
                                        ; =>    This Inner Loop Header: Depth=3
	s_lshl_b32 s18, s17, 2
	s_and_b32 s20, s17, 6
	s_and_b32 s18, s18, 24
	;; [unrolled: 1-line block ×3, first 2 shown]
	v_or_b32_e32 v0, s18, v160
	v_lshl_add_u32 v237, s22, 2, v161
	s_lshr_b32 s21, s17, 4
	s_bfe_u32 s19, s17, 0x30001
	s_lshl_b32 s23, s21, 2
	v_dual_lshlrev_b32 v4, 2, v0 :: v_dual_lshrrev_b32 v0, 1, v0
	s_lshl_b32 s21, s21, 5
	s_and_b32 s22, s17, -2
	s_addk_co_i32 s21, 0x4200
	ds_load_b32 v115, v0 offset:38816
	ds_load_b128 v[0:3], v4 offset:25344
	ds_load_b128 v[4:7], v4 offset:25360
	ds_load_2addr_b32 v[166:167], v237 offset1:1
	v_add3_u32 v172, s21, v136, v162
	s_add_co_i32 s23, s23, 0x9380
	s_set_vgpr_msb 64                       ;  msbs: dst=1 src0=0 src1=0 src2=0
	v_add_nc_u32_e32 v46 /*v302*/, s22, v63
	s_add_co_i32 s17, s17, 2
	s_set_vgpr_msb 0                        ;  msbs: dst=0 src0=0 src1=0 src2=0
	ds_load_2addr_b32 v[168:169], v172 offset1:1
	s_cmp_lt_u32 s17, s13
	s_wait_dscnt 0x3
	v_bfe_i32 v224, v0, 0, 8
	v_bfe_i32 v225, v0, 8, 8
	s_wait_dscnt 0x1
	v_ashrrev_i32_e32 v165, s20, v166
	v_bfe_i32 v208, v3, 8, 8
	v_perm_b32 v245, v0, v0, 0xc0c0302
	v_bfe_i32 v222, v1, 0, 8
	v_bfe_i32 v218, v2, 0, 8
	v_and_b32_e32 v166, 0x3030303, v165
	v_bfe_u32 v165, v165, 24, 2
	v_bfe_i32 v206, v2, 8, 8
	s_wait_dscnt 0x0
	v_ashrrev_i32_e32 v168, s19, v168
	v_perm_b32 v209, v1, v1, 0xc030201
	v_lshrrev_b32_e32 v171, 16, v166
	v_lshrrev_b16 v170, 8, v166
	v_bfe_i32 v207, v3, 0, 8
	v_lshlrev_b32_e32 v168, 2, v168
	v_perm_b32 v210, v2, v2, 0xc0c0302
	v_bfe_i32 v219, v4, 0, 8
	v_bfe_i32 v220, v4, 8, 8
	v_perm_b32 v211, v3, v3, 0xc0c0302
	v_and_b32_e32 v168, 0x4040404, v168
	v_bfe_i32 v217, v7, 8, 8
	v_perm_b32 v246, v4, v4, 0xc0c0302
	v_bfe_i32 v215, v5, 0, 8
	v_bfe_i32 v114, v6, 0, 8
	v_dual_lshrrev_b32 v174, 24, v168 :: v_dual_lshrrev_b32 v175, 16, v168
	v_lshrrev_b16 v173, 8, v168
	v_bfe_i32 v214, v6, 8, 8
	v_perm_b32 v221, v5, v5, 0xc030201
	s_delay_alu instid0(VALU_DEP_4)
	v_sub_nc_u16 v165, v165, v174
	v_sub_nc_u16 v171, v171, v175
	v_bfe_i32 v199, v7, 0, 8
	v_perm_b32 v232, v6, v6, 0xc0c0302
	v_perm_b32 v233, v7, v7, 0xc0c0302
	v_lshlrev_b16 v165, 8, v165
	v_bfe_i32 v223, v1, 8, 8
	v_perm_b32 v1, v1, v1, 0xc0c0302
	v_bfe_i32 v216, v5, 8, 8
	v_perm_b32 v5, v5, v5, 0xc0c0302
	v_bitop3_b16 v174, v171, v165, 0xff bitop3:0xec
	v_sub_nc_u16 v165, v170, v173
	v_sub_nc_u16 v173, v166, v168
	v_perm_b32 v6, v6, v6, 0xc030201
	v_perm_b32 v7, v7, v7, 0xc030201
	v_perm_b32 v2, v2, v2, 0xc030201
	v_lshlrev_b16 v170, 8, v165
	v_dual_ashrrev_i32 v165, s20, v167 :: v_dual_ashrrev_i32 v169, s19, v169
	s_delay_alu instid0(VALU_DEP_1) | instskip(SKIP_1) | instid1(VALU_DEP_2)
	v_and_b32_e32 v166, 0x3030303, v165
	v_bfe_u32 v165, v165, 24, 2
	v_dual_lshlrev_b32 v169, 2, v169 :: v_dual_lshrrev_b32 v168, 16, v166
	v_lshrrev_b16 v167, 8, v166
	s_delay_alu instid0(VALU_DEP_2) | instskip(NEXT) | instid1(VALU_DEP_1)
	v_and_b32_e32 v169, 0x4040404, v169
	v_dual_lshrrev_b32 v176, 24, v169 :: v_dual_lshrrev_b32 v177, 16, v169
	v_lshrrev_b16 v175, 8, v169
	v_sub_nc_u16 v178, v166, v169
	s_delay_alu instid0(VALU_DEP_3) | instskip(NEXT) | instid1(VALU_DEP_4)
	v_sub_nc_u16 v165, v165, v176
	v_sub_nc_u16 v177, v168, v177
	ds_load_2addr_b32 v[168:169], v172 offset0:2 offset1:3
	v_lshlrev_b16 v165, 8, v165
	s_delay_alu instid0(VALU_DEP_1) | instskip(SKIP_3) | instid1(VALU_DEP_1)
	v_bitop3_b16 v176, v177, v165, 0xff bitop3:0xec
	v_sub_nc_u16 v165, v167, v175
	ds_load_2addr_b32 v[166:167], v237 offset0:2 offset1:3
	v_lshlrev_b16 v175, 8, v165
	v_perm_b32 v175, v175, v175, 0xc0c0c01
	s_wait_dscnt 0x1
	v_dual_ashrrev_i32 v168, s19, v168 :: v_dual_ashrrev_i32 v169, s19, v169
	s_delay_alu instid0(VALU_DEP_1) | instskip(SKIP_2) | instid1(VALU_DEP_2)
	v_dual_lshlrev_b32 v168, 2, v168 :: v_dual_lshlrev_b32 v169, 2, v169
	s_wait_dscnt 0x0
	v_ashrrev_i32_e32 v165, s20, v166
	v_and_b32_e32 v168, 0x4040404, v168
	s_delay_alu instid0(VALU_DEP_3) | instskip(NEXT) | instid1(VALU_DEP_3)
	v_and_b32_e32 v169, 0x4040404, v169
	v_and_b32_e32 v166, 0x3030303, v165
	v_bfe_u32 v165, v165, 24, 2
	s_delay_alu instid0(VALU_DEP_4) | instskip(SKIP_1) | instid1(VALU_DEP_4)
	v_dual_lshrrev_b32 v182, 24, v168 :: v_dual_lshrrev_b32 v183, 16, v168
	v_lshrrev_b16 v181, 8, v168
	v_lshrrev_b32_e32 v180, 16, v166
	v_lshrrev_b16 v179, 8, v166
	s_delay_alu instid0(VALU_DEP_4) | instskip(SKIP_1) | instid1(VALU_DEP_4)
	v_sub_nc_u16 v165, v165, v182
	v_lshrrev_b32_e32 v182, 16, v169
	v_sub_nc_u16 v226, v180, v183
	v_sub_nc_u16 v180, v166, v168
	s_delay_alu instid0(VALU_DEP_4) | instskip(NEXT) | instid1(VALU_DEP_1)
	v_lshlrev_b16 v165, 8, v165
	v_bitop3_b16 v227, v226, v165, 0xff bitop3:0xec
	v_sub_nc_u16 v165, v179, v181
	v_lshrrev_b32_e32 v181, 24, v169
	v_lshrrev_b16 v179, 8, v169
	s_delay_alu instid0(VALU_DEP_3) | instskip(SKIP_1) | instid1(VALU_DEP_1)
	v_lshlrev_b16 v228, 8, v165
	v_ashrrev_i32_e32 v165, s20, v167
	v_and_b32_e32 v166, 0x3030303, v165
	v_bfe_u32 v165, v165, 24, 2
	s_delay_alu instid0(VALU_DEP_2) | instskip(SKIP_1) | instid1(VALU_DEP_3)
	v_lshrrev_b32_e32 v168, 16, v166
	v_lshrrev_b16 v167, 8, v166
	v_sub_nc_u16 v165, v165, v181
	v_sub_nc_u16 v181, v166, v169
	s_delay_alu instid0(VALU_DEP_4) | instskip(SKIP_2) | instid1(VALU_DEP_1)
	v_sub_nc_u16 v229, v168, v182
	ds_load_2addr_b32 v[168:169], v172 offset0:4 offset1:5
	v_lshlrev_b16 v165, 8, v165
	v_bitop3_b16 v230, v229, v165, 0xff bitop3:0xec
	v_sub_nc_u16 v165, v167, v179
	ds_load_2addr_b32 v[166:167], v237 offset0:4 offset1:5
	v_lshlrev_b16 v231, 8, v165
	s_wait_dscnt 0x1
	v_dual_ashrrev_i32 v168, s19, v168 :: v_dual_ashrrev_i32 v169, s19, v169
	s_delay_alu instid0(VALU_DEP_1) | instskip(SKIP_2) | instid1(VALU_DEP_2)
	v_dual_lshlrev_b32 v168, 2, v168 :: v_dual_lshlrev_b32 v169, 2, v169
	s_wait_dscnt 0x0
	v_ashrrev_i32_e32 v165, s20, v166
	v_and_b32_e32 v168, 0x4040404, v168
	s_delay_alu instid0(VALU_DEP_3) | instskip(NEXT) | instid1(VALU_DEP_3)
	v_and_b32_e32 v169, 0x4040404, v169
	v_and_b32_e32 v166, 0x3030303, v165
	v_bfe_u32 v165, v165, 24, 2
	s_delay_alu instid0(VALU_DEP_4) | instskip(SKIP_1) | instid1(VALU_DEP_4)
	v_dual_lshrrev_b32 v184, 24, v168 :: v_dual_lshrrev_b32 v185, 16, v168
	v_lshrrev_b16 v183, 8, v168
	v_lshrrev_b32_e32 v182, 16, v166
	v_lshrrev_b16 v179, 8, v166
	s_delay_alu instid0(VALU_DEP_4) | instskip(SKIP_1) | instid1(VALU_DEP_4)
	v_sub_nc_u16 v165, v165, v184
	v_dual_lshrrev_b32 v186, 24, v169 :: v_dual_lshrrev_b32 v187, 16, v169
	v_sub_nc_u16 v182, v182, v185
	v_lshrrev_b16 v185, 8, v169
	s_delay_alu instid0(VALU_DEP_4) | instskip(NEXT) | instid1(VALU_DEP_1)
	v_lshlrev_b16 v165, 8, v165
	v_bitop3_b16 v184, v182, v165, 0xff bitop3:0xec
	v_sub_nc_u16 v165, v179, v183
	v_sub_nc_u16 v183, v166, v168
	s_delay_alu instid0(VALU_DEP_2) | instskip(SKIP_1) | instid1(VALU_DEP_1)
	v_lshlrev_b16 v179, 8, v165
	v_ashrrev_i32_e32 v165, s20, v167
	v_and_b32_e32 v166, 0x3030303, v165
	v_bfe_u32 v165, v165, 24, 2
	s_delay_alu instid0(VALU_DEP_2) | instskip(SKIP_2) | instid1(VALU_DEP_4)
	v_lshrrev_b32_e32 v168, 16, v166
	v_lshrrev_b16 v167, 8, v166
	v_sub_nc_u16 v188, v166, v169
	v_sub_nc_u16 v165, v165, v186
	s_delay_alu instid0(VALU_DEP_4) | instskip(SKIP_2) | instid1(VALU_DEP_1)
	v_sub_nc_u16 v187, v168, v187
	ds_load_2addr_b32 v[168:169], v172 offset0:6 offset1:7
	v_lshlrev_b16 v165, 8, v165
	v_bitop3_b16 v186, v187, v165, 0xff bitop3:0xec
	v_sub_nc_u16 v165, v167, v185
	ds_load_2addr_b32 v[166:167], v237 offset0:6 offset1:7
	v_lshlrev_b16 v185, 8, v165
	s_delay_alu instid0(VALU_DEP_1) | instskip(SKIP_2) | instid1(VALU_DEP_1)
	v_perm_b32 v185, v185, v185, 0xc0c0c01
	s_wait_dscnt 0x1
	v_dual_ashrrev_i32 v168, s19, v168 :: v_dual_ashrrev_i32 v169, s19, v169
	v_dual_lshlrev_b32 v168, 2, v168 :: v_dual_lshlrev_b32 v169, 2, v169
	s_wait_dscnt 0x0
	v_ashrrev_i32_e32 v165, s20, v166
	s_delay_alu instid0(VALU_DEP_2) | instskip(NEXT) | instid1(VALU_DEP_3)
	v_and_b32_e32 v168, 0x4040404, v168
	v_and_b32_e32 v169, 0x4040404, v169
	s_delay_alu instid0(VALU_DEP_3) | instskip(SKIP_1) | instid1(VALU_DEP_4)
	v_and_b32_e32 v166, 0x3030303, v165
	v_bfe_u32 v165, v165, 24, 2
	v_dual_lshrrev_b32 v191, 24, v168 :: v_dual_lshrrev_b32 v192, 16, v168
	v_lshrrev_b16 v172, 8, v168
	s_delay_alu instid0(VALU_DEP_4) | instskip(SKIP_1) | instid1(VALU_DEP_4)
	v_lshrrev_b32_e32 v190, 16, v166
	v_lshrrev_b16 v189, 8, v166
	v_sub_nc_u16 v165, v165, v191
	v_lshrrev_b32_e32 v191, 16, v169
	s_delay_alu instid0(VALU_DEP_4) | instskip(SKIP_1) | instid1(VALU_DEP_4)
	v_sub_nc_u16 v239, v190, v192
	v_sub_nc_u16 v190, v166, v168
	v_lshlrev_b16 v165, 8, v165
	s_delay_alu instid0(VALU_DEP_1) | instskip(SKIP_3) | instid1(VALU_DEP_3)
	v_bitop3_b16 v240, v239, v165, 0xff bitop3:0xec
	v_sub_nc_u16 v165, v189, v172
	v_lshrrev_b32_e32 v189, 24, v169
	v_lshrrev_b16 v172, 8, v169
	v_lshlrev_b16 v241, 8, v165
	v_ashrrev_i32_e32 v165, s20, v167
	s_delay_alu instid0(VALU_DEP_1) | instskip(SKIP_1) | instid1(VALU_DEP_2)
	v_and_b32_e32 v166, 0x3030303, v165
	v_bfe_u32 v165, v165, 24, 2
	v_lshrrev_b32_e32 v168, 16, v166
	v_lshrrev_b16 v167, 8, v166
	s_delay_alu instid0(VALU_DEP_3)
	v_sub_nc_u16 v165, v165, v189
	v_sub_nc_u16 v189, v166, v169
	v_bfe_i32 v166, v173, 0, 8
	v_sub_nc_u16 v242, v168, v191
	v_add_nc_u32_e32 v191, s22, v55
	v_lshlrev_b16 v165, 8, v165
	s_delay_alu instid0(VALU_DEP_4) | instskip(NEXT) | instid1(VALU_DEP_2)
	v_mul_i32_i24_e32 v168, v166, v224
	v_bitop3_b16 v243, v242, v165, 0xff bitop3:0xec
	v_sub_nc_u16 v165, v167, v172
	v_bfe_i32 v167, v170, 8, 8
	v_bfe_i32 v172, v231, 8, 8
	;; [unrolled: 1-line block ×3, first 2 shown]
	s_delay_alu instid0(VALU_DEP_4) | instskip(NEXT) | instid1(VALU_DEP_4)
	v_lshlrev_b16 v244, 8, v165
	v_mad_i32_i24 v169, v167, v225, v168
	v_perm_b32 v168, v174, v171, 0xc0c0500
	v_add3_u32 v165, s23, v163, v138
	v_bfe_i32 v171, v228, 8, 8
	s_delay_alu instid0(VALU_DEP_3)
	v_dot4_i32_iu8 v0, v168, v245, v169 neg_lo:[1,1,0]
	v_bfe_i32 v169, v180, 0, 8
	v_mul_i32_i24_e32 v180, v208, v172
	v_perm_b32 v172, v176, v177, 0xc05000c
	ds_load_b32 v165, v165
	v_mul_i32_i24_e32 v174, v206, v171
	v_bfe_i32 v171, v181, 0, 8
	v_mad_i32_i24 v0, v170, v222, v0
	v_or_b32_e32 v172, v172, v175
	v_mul_i32_i24_e32 v173, v218, v169
	v_bfe_i32 v175, v179, 8, 8
	v_mul_i32_i24_e32 v178, v207, v171
	v_bfe_i32 v179, v241, 8, 8
	v_dot4_i32_iu8 v0, v172, v209, v0 neg_lo:[1,1,0]
	s_delay_alu instid0(VALU_DEP_1)
	v_add3_u32 v0, v0, v173, v174
	v_perm_b32 v173, v227, v226, 0xc0c0500
	v_bfe_i32 v174, v183, 0, 8
	v_mul_i32_i24_e32 v183, v214, v179
	v_bfe_i32 v179, v189, 0, 8
	v_perm_b32 v226, v227, v226, 0xc05000c
	v_perm_b32 v227, v228, v228, 0xc0c0c01
	v_dot4_i32_iu8 v0, v210, v173, v0 neg_lo:[1,1,0]
	v_mul_i32_i24_e32 v176, v174, v219
	v_perm_b32 v173, v230, v229, 0xc0c0500
	s_delay_alu instid0(VALU_DEP_4)
	v_or_b32_e32 v228, v226, v227
	v_perm_b32 v227, v230, v229, 0xc05000c
	v_perm_b32 v229, v231, v231, 0xc0c0c01
	v_add3_u32 v0, v0, v178, v180
	v_mad_i32_i24 v177, v175, v220, v176
	v_perm_b32 v176, v184, v182, 0xc0c0500
	v_bfe_i32 v180, v244, 8, 8
	v_bfe_i32 v178, v188, 0, 8
	v_mul_i32_i24_e32 v184, v199, v179
	v_or_b32_e32 v229, v227, v229
	v_dot4_i32_iu8 v0, v211, v173, v0 neg_lo:[1,1,0]
	ds_load_u16 v173, v191
	v_dot4_i32_iu8 v4, v176, v246, v177 neg_lo:[1,1,0]
	v_mul_i32_i24_e32 v188, v217, v180
	v_perm_b32 v180, v186, v187, 0xc05000c
	v_bfe_i32 v177, v190, 0, 8
	s_delay_alu instid0(VALU_DEP_4) | instskip(NEXT) | instid1(VALU_DEP_3)
	v_mad_i32_i24 v4, v178, v215, v4
	v_or_b32_e32 v180, v180, v185
	s_delay_alu instid0(VALU_DEP_3) | instskip(NEXT) | instid1(VALU_DEP_2)
	v_mul_i32_i24_e32 v182, v114, v177
	v_dot4_i32_iu8 v4, v180, v221, v4 neg_lo:[1,1,0]
	s_delay_alu instid0(VALU_DEP_1) | instskip(SKIP_4) | instid1(VALU_DEP_3)
	v_add3_u32 v4, v4, v182, v183
	v_perm_b32 v182, v240, v239, 0xc0c0500
	s_wait_dscnt 0x0
	v_lshrrev_b16 v181, 8, v173
	v_bfe_i32 v173, v173, 0, 8
	v_dot4_i32_iu8 v4, v232, v182, v4 neg_lo:[1,1,0]
	v_perm_b32 v182, v243, v242, 0xc0c0500
	s_delay_alu instid0(VALU_DEP_3) | instskip(SKIP_1) | instid1(VALU_DEP_4)
	v_mul_lo_u32 v0, v0, v173
	v_bfe_i32 v181, v181, 0, 8
	v_add3_u32 v4, v4, v184, v188
	v_add3_u32 v188, s21, v139, v130
	s_delay_alu instid0(VALU_DEP_2) | instskip(SKIP_3) | instid1(VALU_DEP_2)
	v_dot4_i32_iu8 v4, v233, v182, v4 neg_lo:[1,1,0]
	ds_load_2addr_b32 v[184:185], v188 offset1:1
	v_mad_u32 v0, v4, v181, v0
	v_mul_f32_e32 v4, v115, v165
	v_cvt_f32_i32_e32 v0, v0
	s_delay_alu instid0(VALU_DEP_1)
	v_mul_f32_e32 v4, v4, v0
	v_add_nc_u32_e32 v0, 0x1080, v237
	s_wait_dscnt 0x0
	v_ashrrev_i32_e32 v185, s19, v185
	ds_load_2addr_b32 v[182:183], v0 offset1:1
	v_dual_ashrrev_i32 v184, s19, v184 :: v_dual_lshlrev_b32 v185, 2, v185
	s_delay_alu instid0(VALU_DEP_1) | instskip(NEXT) | instid1(VALU_DEP_2)
	v_lshlrev_b32_e32 v184, 2, v184
	v_and_b32_e32 v185, 0x4040404, v185
	s_delay_alu instid0(VALU_DEP_2) | instskip(NEXT) | instid1(VALU_DEP_2)
	v_and_b32_e32 v184, 0x4040404, v184
	v_dual_lshrrev_b32 v192, 24, v185 :: v_dual_lshrrev_b32 v193, 16, v185
	s_delay_alu instid0(VALU_DEP_2) | instskip(SKIP_3) | instid1(VALU_DEP_1)
	v_lshrrev_b16 v189, 8, v184
	v_dual_lshrrev_b32 v190, 24, v184 :: v_dual_lshrrev_b32 v191, 16, v184
	s_wait_dscnt 0x0
	v_ashrrev_i32_e32 v0, s20, v182
	v_and_b32_e32 v182, 0x3030303, v0
	v_bfe_u32 v0, v0, 24, 2
	s_delay_alu instid0(VALU_DEP_2) | instskip(SKIP_1) | instid1(VALU_DEP_3)
	v_lshrrev_b16 v186, 8, v182
	v_lshrrev_b32_e32 v187, 16, v182
	v_sub_nc_u16 v0, v0, v190
	s_delay_alu instid0(VALU_DEP_3)
	v_sub_nc_u16 v186, v186, v189
	v_sub_nc_u16 v189, v182, v184
	v_ashrrev_i32_e32 v182, s20, v183
	v_sub_nc_u16 v187, v187, v191
	v_lshrrev_b16 v191, 8, v185
	v_lshlrev_b16 v0, 8, v0
	v_lshlrev_b16 v186, 8, v186
	v_and_b32_e32 v183, 0x3030303, v182
	v_bfe_u32 v182, v182, 24, 2
	s_delay_alu instid0(VALU_DEP_4) | instskip(NEXT) | instid1(VALU_DEP_3)
	v_bitop3_b16 v0, v187, v0, 0xff bitop3:0xec
	v_lshrrev_b32_e32 v190, 16, v183
	s_delay_alu instid0(VALU_DEP_3) | instskip(SKIP_1) | instid1(VALU_DEP_3)
	v_sub_nc_u16 v182, v182, v192
	v_lshrrev_b16 v184, 8, v183
	v_sub_nc_u16 v190, v190, v193
	s_delay_alu instid0(VALU_DEP_3) | instskip(SKIP_1) | instid1(VALU_DEP_2)
	v_lshlrev_b16 v182, 8, v182
	v_sub_nc_u16 v193, v183, v185
	v_bitop3_b16 v192, v190, v182, 0xff bitop3:0xec
	v_sub_nc_u16 v182, v184, v191
	ds_load_2addr_b32 v[184:185], v188 offset0:2 offset1:3
	v_lshlrev_b16 v191, 8, v182
	v_add_nc_u32_e32 v182, 0x1088, v237
	ds_load_2addr_b32 v[182:183], v182 offset1:1
	s_wait_dscnt 0x1
	v_dual_ashrrev_i32 v184, s19, v184 :: v_dual_ashrrev_i32 v185, s19, v185
	s_delay_alu instid0(VALU_DEP_1) | instskip(SKIP_2) | instid1(VALU_DEP_2)
	v_dual_lshlrev_b32 v184, 2, v184 :: v_dual_lshlrev_b32 v185, 2, v185
	s_wait_dscnt 0x0
	v_ashrrev_i32_e32 v182, s20, v182
	v_and_b32_e32 v184, 0x4040404, v184
	s_delay_alu instid0(VALU_DEP_3) | instskip(NEXT) | instid1(VALU_DEP_3)
	v_and_b32_e32 v185, 0x4040404, v185
	v_and_b32_e32 v194, 0x3030303, v182
	v_bfe_u32 v182, v182, 24, 2
	s_delay_alu instid0(VALU_DEP_4) | instskip(SKIP_1) | instid1(VALU_DEP_4)
	v_dual_lshrrev_b32 v198, 24, v184 :: v_dual_lshrrev_b32 v200, 16, v184
	v_lshrrev_b16 v197, 8, v184
	v_lshrrev_b32_e32 v196, 16, v194
	v_lshrrev_b16 v195, 8, v194
	v_sub_nc_u16 v194, v194, v184
	v_sub_nc_u16 v182, v182, v198
	v_lshrrev_b32_e32 v198, 16, v185
	v_sub_nc_u16 v247, v196, v200
	v_lshrrev_b16 v196, 8, v185
	s_delay_alu instid0(VALU_DEP_4) | instskip(NEXT) | instid1(VALU_DEP_1)
	v_lshlrev_b16 v182, 8, v182
	v_bitop3_b16 v248, v247, v182, 0xff bitop3:0xec
	v_sub_nc_u16 v182, v195, v197
	v_lshrrev_b32_e32 v197, 24, v185
	s_delay_alu instid0(VALU_DEP_2) | instskip(SKIP_1) | instid1(VALU_DEP_1)
	v_lshlrev_b16 v249, 8, v182
	v_ashrrev_i32_e32 v182, s20, v183
	v_and_b32_e32 v183, 0x3030303, v182
	v_bfe_u32 v182, v182, 24, 2
	s_delay_alu instid0(VALU_DEP_2) | instskip(NEXT) | instid1(VALU_DEP_2)
	v_lshrrev_b32_e32 v195, 16, v183
	v_sub_nc_u16 v182, v182, v197
	v_lshrrev_b16 v184, 8, v183
	s_delay_alu instid0(VALU_DEP_3) | instskip(NEXT) | instid1(VALU_DEP_3)
	v_sub_nc_u16 v250, v195, v198
	v_lshlrev_b16 v182, 8, v182
	v_sub_nc_u16 v195, v183, v185
	s_delay_alu instid0(VALU_DEP_2)
	v_bitop3_b16 v251, v250, v182, 0xff bitop3:0xec
	v_sub_nc_u16 v182, v184, v196
	ds_load_2addr_b32 v[184:185], v188 offset0:4 offset1:5
	v_lshlrev_b16 v252, 8, v182
	v_add_nc_u32_e32 v182, 0x1090, v237
	ds_load_2addr_b32 v[182:183], v182 offset1:1
	s_wait_dscnt 0x1
	v_dual_ashrrev_i32 v184, s19, v184 :: v_dual_ashrrev_i32 v185, s19, v185
	s_delay_alu instid0(VALU_DEP_1) | instskip(SKIP_2) | instid1(VALU_DEP_2)
	v_dual_lshlrev_b32 v184, 2, v184 :: v_dual_lshlrev_b32 v185, 2, v185
	s_wait_dscnt 0x0
	v_ashrrev_i32_e32 v182, s20, v182
	v_and_b32_e32 v184, 0x4040404, v184
	s_delay_alu instid0(VALU_DEP_3) | instskip(NEXT) | instid1(VALU_DEP_3)
	v_and_b32_e32 v185, 0x4040404, v185
	v_and_b32_e32 v196, 0x3030303, v182
	v_bfe_u32 v182, v182, 24, 2
	s_delay_alu instid0(VALU_DEP_4) | instskip(SKIP_1) | instid1(VALU_DEP_4)
	v_dual_lshrrev_b32 v201, 24, v184 :: v_dual_lshrrev_b32 v202, 16, v184
	v_lshrrev_b16 v200, 8, v184
	v_lshrrev_b32_e32 v198, 16, v196
	v_lshrrev_b16 v197, 8, v196
	v_dual_lshrrev_b32 v203, 24, v185 :: v_dual_lshrrev_b32 v204, 16, v185
	v_sub_nc_u16 v196, v196, v184
	v_sub_nc_u16 v182, v182, v201
	;; [unrolled: 1-line block ×3, first 2 shown]
	v_lshrrev_b16 v202, 8, v185
	s_delay_alu instid0(VALU_DEP_3) | instskip(NEXT) | instid1(VALU_DEP_1)
	v_lshlrev_b16 v182, 8, v182
	v_bitop3_b16 v201, v198, v182, 0xff bitop3:0xec
	v_sub_nc_u16 v182, v197, v200
	s_delay_alu instid0(VALU_DEP_1) | instskip(SKIP_1) | instid1(VALU_DEP_1)
	v_lshlrev_b16 v197, 8, v182
	v_ashrrev_i32_e32 v182, s20, v183
	v_and_b32_e32 v183, 0x3030303, v182
	v_bfe_u32 v182, v182, 24, 2
	s_delay_alu instid0(VALU_DEP_2) | instskip(NEXT) | instid1(VALU_DEP_2)
	v_lshrrev_b32_e32 v200, 16, v183
	v_sub_nc_u16 v182, v182, v203
	v_lshrrev_b16 v184, 8, v183
	s_delay_alu instid0(VALU_DEP_3) | instskip(NEXT) | instid1(VALU_DEP_3)
	v_sub_nc_u16 v200, v200, v204
	v_lshlrev_b16 v182, 8, v182
	v_sub_nc_u16 v204, v183, v185
	s_delay_alu instid0(VALU_DEP_2)
	v_bitop3_b16 v203, v200, v182, 0xff bitop3:0xec
	v_sub_nc_u16 v182, v184, v202
	ds_load_2addr_b32 v[184:185], v188 offset0:6 offset1:7
	v_lshlrev_b16 v202, 8, v182
	v_add_nc_u32_e32 v182, 0x1098, v237
	ds_load_2addr_b32 v[182:183], v182 offset1:1
	s_wait_dscnt 0x1
	v_dual_ashrrev_i32 v184, s19, v184 :: v_dual_ashrrev_i32 v185, s19, v185
	s_delay_alu instid0(VALU_DEP_1) | instskip(SKIP_2) | instid1(VALU_DEP_2)
	v_dual_lshlrev_b32 v184, 2, v184 :: v_dual_lshlrev_b32 v185, 2, v185
	s_wait_dscnt 0x0
	v_ashrrev_i32_e32 v182, s20, v182
	v_and_b32_e32 v185, 0x4040404, v185
	s_delay_alu instid0(VALU_DEP_3) | instskip(NEXT) | instid1(VALU_DEP_3)
	v_and_b32_e32 v184, 0x4040404, v184
	v_and_b32_e32 v205, 0x3030303, v182
	v_bfe_u32 v182, v182, 24, 2
	s_delay_alu instid0(VALU_DEP_3) | instskip(SKIP_1) | instid1(VALU_DEP_4)
	v_dual_lshrrev_b32 v234, 24, v184 :: v_dual_lshrrev_b32 v235, 16, v184
	v_lshrrev_b16 v188, 8, v184
	v_lshrrev_b32_e32 v213, 16, v205
	v_lshrrev_b16 v212, 8, v205
	v_sub_nc_u16 v205, v205, v184
	v_sub_nc_u16 v182, v182, v234
	v_lshrrev_b32_e32 v234, 16, v185
	v_sub_nc_u16 v253, v213, v235
	v_lshrrev_b32_e32 v213, 24, v185
	s_delay_alu instid0(VALU_DEP_4) | instskip(NEXT) | instid1(VALU_DEP_1)
	v_lshlrev_b16 v182, 8, v182
	v_bitop3_b16 v254, v253, v182, 0xff bitop3:0xec
	v_sub_nc_u16 v182, v212, v188
	v_lshrrev_b16 v212, 8, v185
	s_delay_alu instid0(VALU_DEP_2) | instskip(SKIP_1) | instid1(VALU_DEP_1)
	v_lshlrev_b16 v255, 8, v182
	v_ashrrev_i32_e32 v182, s20, v183
	v_and_b32_e32 v183, 0x3030303, v182
	s_delay_alu instid0(VALU_DEP_1) | instskip(SKIP_3) | instid1(VALU_DEP_3)
	v_lshrrev_b32_e32 v188, 16, v183
	v_bfe_u32 v182, v182, 24, 2
	v_lshrrev_b16 v184, 8, v183
	s_set_vgpr_msb 64                       ;  msbs: dst=1 src0=0 src1=0 src2=0
	v_sub_nc_u16 v0 /*v256*/, v188, v234
	s_set_vgpr_msb 0                        ;  msbs: dst=0 src0=0 src1=0 src2=0
	v_sub_nc_u16 v182, v182, v213
	v_sub_nc_u16 v213, v183, v185
	v_bfe_i32 v183, v189, 0, 8
	v_bfe_i32 v189, v252, 8, 8
	;; [unrolled: 1-line block ×3, first 2 shown]
	v_lshlrev_b16 v182, 8, v182
	s_delay_alu instid0(VALU_DEP_4) | instskip(NEXT) | instid1(VALU_DEP_4)
	v_mul_i32_i24_e32 v185, v183, v224
	v_mul_i32_i24_e32 v234, v208, v189
	v_perm_b32 v189, v192, v190, 0xc05000c
	v_perm_b32 v190, v191, v191, 0xc0c0c01
	v_bfe_i32 v191, v196, 0, 8
	v_bfe_i32 v192, v197, 8, 8
	;; [unrolled: 1-line block ×3, first 2 shown]
	s_set_vgpr_msb 0x41                     ;  msbs: dst=1 src0=1 src1=0 src2=0
	v_bitop3_b16 v1 /*v257*/, v0 /*v256*/, v182, 0xff bitop3:0xec
	s_set_vgpr_msb 0                        ;  msbs: dst=0 src0=0 src1=0 src2=0
	v_sub_nc_u16 v182, v184, v212
	v_bfe_i32 v184, v186, 8, 8
	v_or_b32_e32 v189, v189, v190
	v_perm_b32 v190, v248, v247, 0xc0c0500
	s_set_vgpr_msb 64                       ;  msbs: dst=1 src0=0 src1=0 src2=0
	v_lshlrev_b16 v2 /*v258*/, 8, v182
	s_set_vgpr_msb 0                        ;  msbs: dst=0 src0=0 src1=0 src2=0
	v_mad_i32_i24 v186, v184, v225, v185
	v_perm_b32 v185, v0, v187, 0xc0c0500
	v_bfe_i32 v187, v194, 0, 8
	v_mul_i32_i24_e32 v194, v206, v188
	v_bfe_i32 v188, v195, 0, 8
	v_add3_u32 v182, s23, v140, v131
	v_dot4_i32_iu8 v0, v185, v245, v186 neg_lo:[1,1,0]
	v_bfe_i32 v186, v193, 0, 8
	v_mul_i32_i24_e32 v193, v218, v187
	v_mul_i32_i24_e32 v195, v207, v188
	ds_load_b32 v182, v182
	v_add_nc_u32_e32 v212, s22, v57
	v_mad_i32_i24 v0, v186, v222, v0
	s_delay_alu instid0(VALU_DEP_1) | instskip(NEXT) | instid1(VALU_DEP_1)
	v_dot4_i32_iu8 v0, v189, v209, v0 neg_lo:[1,1,0]
	v_add3_u32 v0, v0, v193, v194
	v_mul_i32_i24_e32 v193, v191, v219
	s_delay_alu instid0(VALU_DEP_2) | instskip(NEXT) | instid1(VALU_DEP_2)
	v_dot4_i32_iu8 v0, v210, v190, v0 neg_lo:[1,1,0]
	v_mad_i32_i24 v194, v192, v220, v193
	v_perm_b32 v193, v201, v198, 0xc0c0500
	v_perm_b32 v190, v251, v250, 0xc0c0500
	v_mul_i32_i24_e32 v201, v214, v196
	v_bfe_i32 v196, v213, 0, 8
	v_add3_u32 v0, v0, v195, v234
	v_dot4_i32_iu8 v197, v193, v246, v194 neg_lo:[1,1,0]
	v_bfe_i32 v194, v204, 0, 8
	v_bfe_i32 v195, v205, 0, 8
	s_set_vgpr_msb 1                        ;  msbs: dst=0 src0=1 src1=0 src2=0
	v_bfe_i32 v204, v2 /*v258*/, 8, 8
	s_set_vgpr_msb 0                        ;  msbs: dst=0 src0=0 src1=0 src2=0
	v_mul_i32_i24_e32 v205, v199, v196
	v_dot4_i32_iu8 v0, v211, v190, v0 neg_lo:[1,1,0]
	ds_load_u16 v190, v212
	v_mad_i32_i24 v213, v194, v215, v197
	v_perm_b32 v197, v203, v200, 0xc05000c
	v_perm_b32 v200, v202, v202, 0xc0c0c01
	v_mul_i32_i24_e32 v198, v114, v195
	v_mul_i32_i24_e32 v204, v217, v204
	s_delay_alu instid0(VALU_DEP_3) | instskip(NEXT) | instid1(VALU_DEP_1)
	v_or_b32_e32 v197, v197, v200
	v_dot4_i32_iu8 v200, v197, v221, v213 neg_lo:[1,1,0]
	s_delay_alu instid0(VALU_DEP_1) | instskip(SKIP_4) | instid1(VALU_DEP_3)
	v_add3_u32 v198, v200, v198, v201
	v_perm_b32 v200, v254, v253, 0xc0c0500
	s_wait_dscnt 0x0
	v_lshrrev_b16 v212, 8, v190
	v_bfe_i32 v190, v190, 0, 8
	v_dot4_i32_iu8 v198, v232, v200, v198 neg_lo:[1,1,0]
	s_set_vgpr_msb 5                        ;  msbs: dst=0 src0=1 src1=1 src2=0
	v_perm_b32 v200, v1 /*v257*/, v0 /*v256*/, 0xc0c0500
	s_set_vgpr_msb 0                        ;  msbs: dst=0 src0=0 src1=0 src2=0
	v_mul_lo_u32 v0, v0, v190
	v_add3_u32 v198, v198, v205, v204
	s_delay_alu instid0(VALU_DEP_1) | instskip(SKIP_2) | instid1(VALU_DEP_2)
	v_dot4_i32_iu8 v200, v233, v200, v198 neg_lo:[1,1,0]
	v_bfe_i32 v198, v212, 0, 8
	v_add3_u32 v212, s21, v141, v132
	v_mad_u32 v0, v200, v198, v0
	v_mul_f32_e32 v200, v115, v182
	ds_load_2addr_b32 v[202:203], v212 offset1:1
	v_cvt_f32_i32_e32 v0, v0
	s_delay_alu instid0(VALU_DEP_1) | instskip(SKIP_4) | instid1(VALU_DEP_1)
	v_mul_f32_e32 v236, v200, v0
	v_add_nc_u32_e32 v0, 0x2100, v237
	ds_load_2addr_b32 v[200:201], v0 offset1:1
	s_wait_dscnt 0x1
	v_dual_ashrrev_i32 v202, s19, v202 :: v_dual_ashrrev_i32 v203, s19, v203
	v_dual_lshlrev_b32 v202, 2, v202 :: v_dual_lshlrev_b32 v203, 2, v203
	s_delay_alu instid0(VALU_DEP_1) | instskip(NEXT) | instid1(VALU_DEP_2)
	v_and_b32_e32 v202, 0x4040404, v202
	v_and_b32_e32 v203, 0x4040404, v203
	s_delay_alu instid0(VALU_DEP_2) | instskip(SKIP_2) | instid1(VALU_DEP_3)
	v_lshrrev_b16 v213, 8, v202
	v_dual_lshrrev_b32 v234, 24, v202 :: v_dual_lshrrev_b32 v235, 16, v202
	s_wait_dscnt 0x0
	v_dual_lshrrev_b32 v238, 24, v203 :: v_dual_ashrrev_i32 v0, s20, v200
	s_set_vgpr_msb 64                       ;  msbs: dst=1 src0=0 src1=0 src2=0
	v_lshrrev_b32_e32 v3 /*v259*/, 16, v203
	s_set_vgpr_msb 0                        ;  msbs: dst=0 src0=0 src1=0 src2=0
	s_delay_alu instid0(VALU_DEP_2) | instskip(NEXT) | instid1(VALU_DEP_1)
	v_and_b32_e32 v200, 0x3030303, v0
	v_lshrrev_b16 v204, 8, v200
	v_lshrrev_b32_e32 v205, 16, v200
	v_bfe_u32 v0, v0, 24, 2
	s_delay_alu instid0(VALU_DEP_3) | instskip(SKIP_2) | instid1(VALU_DEP_4)
	v_sub_nc_u16 v204, v204, v213
	v_sub_nc_u16 v213, v200, v202
	v_ashrrev_i32_e32 v200, s20, v201
	v_sub_nc_u16 v0, v0, v234
	v_sub_nc_u16 v205, v205, v235
	v_lshrrev_b16 v235, 8, v203
	v_lshlrev_b16 v204, 8, v204
	v_and_b32_e32 v201, 0x3030303, v200
	v_bfe_u32 v200, v200, 24, 2
	v_lshlrev_b16 v0, 8, v0
	s_delay_alu instid0(VALU_DEP_3) | instskip(SKIP_1) | instid1(VALU_DEP_3)
	v_lshrrev_b32_e32 v234, 16, v201
	v_lshrrev_b16 v202, 8, v201
	v_bitop3_b16 v0, v205, v0, 0xff bitop3:0xec
	v_sub_nc_u16 v200, v200, v238
	s_set_vgpr_msb 4                        ;  msbs: dst=0 src0=0 src1=1 src2=0
	v_sub_nc_u16 v234, v234, v3 /*v259*/
	s_set_vgpr_msb 64                       ;  msbs: dst=1 src0=0 src1=0 src2=0
	v_sub_nc_u16 v3 /*v259*/, v201, v203
	s_set_vgpr_msb 0                        ;  msbs: dst=0 src0=0 src1=0 src2=0
	v_lshlrev_b16 v200, 8, v200
	s_delay_alu instid0(VALU_DEP_1)
	v_bitop3_b16 v238, v234, v200, 0xff bitop3:0xec
	v_sub_nc_u16 v200, v202, v235
	ds_load_2addr_b32 v[202:203], v212 offset0:2 offset1:3
	v_lshlrev_b16 v235, 8, v200
	v_add_nc_u32_e32 v200, 0x2108, v237
	ds_load_2addr_b32 v[200:201], v200 offset1:1
	s_wait_dscnt 0x1
	v_dual_ashrrev_i32 v202, s19, v202 :: v_dual_ashrrev_i32 v203, s19, v203
	s_delay_alu instid0(VALU_DEP_1) | instskip(SKIP_2) | instid1(VALU_DEP_2)
	v_dual_lshlrev_b32 v202, 2, v202 :: v_dual_lshlrev_b32 v203, 2, v203
	s_wait_dscnt 0x0
	v_ashrrev_i32_e32 v200, s20, v200
	v_and_b32_e32 v202, 0x4040404, v202
	s_delay_alu instid0(VALU_DEP_3) | instskip(SKIP_1) | instid1(VALU_DEP_3)
	v_and_b32_e32 v203, 0x4040404, v203
	s_set_vgpr_msb 64                       ;  msbs: dst=1 src0=0 src1=0 src2=0
	v_and_b32_e32 v4 /*v260*/, 0x3030303, v200
	s_set_vgpr_msb 0                        ;  msbs: dst=0 src0=0 src1=0 src2=0
	v_bfe_u32 v200, v200, 24, 2
	s_set_vgpr_msb 64                       ;  msbs: dst=1 src0=0 src1=0 src2=0
	v_dual_lshrrev_b32 v8 /*v264*/, 24, v202 :: v_dual_lshrrev_b32 v9 /*v265*/, 16, v202
	v_lshrrev_b16 v7 /*v263*/, 8, v202
	s_set_vgpr_msb 0x44                     ;  msbs: dst=1 src0=0 src1=1 src2=0
	v_lshrrev_b32_e32 v6 /*v262*/, 16, v4 /*v260*/
	v_lshrrev_b16 v5 /*v261*/, 8, v4 /*v260*/
	s_set_vgpr_msb 0x41                     ;  msbs: dst=1 src0=1 src1=0 src2=0
	v_dual_lshrrev_b32 v10 /*v266*/, 24, v203 :: v_dual_lshrrev_b32 v11 /*v267*/, 16, v203
	v_sub_nc_u16 v4 /*v260*/, v4 /*v260*/, v202
	s_set_vgpr_msb 4                        ;  msbs: dst=0 src0=0 src1=1 src2=0
	v_sub_nc_u16 v200, v200, v8 /*v264*/
	s_set_vgpr_msb 0x45                     ;  msbs: dst=1 src0=1 src1=1 src2=0
	v_sub_nc_u16 v6 /*v262*/, v6 /*v262*/, v9 /*v265*/
	s_set_vgpr_msb 64                       ;  msbs: dst=1 src0=0 src1=0 src2=0
	v_lshrrev_b16 v9 /*v265*/, 8, v203
	s_set_vgpr_msb 0                        ;  msbs: dst=0 src0=0 src1=0 src2=0
	v_lshlrev_b16 v200, 8, v200
	s_set_vgpr_msb 0x41                     ;  msbs: dst=1 src0=1 src1=0 src2=0
	s_delay_alu instid0(VALU_DEP_1) | instskip(SKIP_3) | instid1(VALU_DEP_1)
	v_bitop3_b16 v8 /*v264*/, v6 /*v262*/, v200, 0xff bitop3:0xec
	s_set_vgpr_msb 5                        ;  msbs: dst=0 src0=1 src1=1 src2=0
	v_sub_nc_u16 v200, v5 /*v261*/, v7 /*v263*/
	s_set_vgpr_msb 64                       ;  msbs: dst=1 src0=0 src1=0 src2=0
	v_lshlrev_b16 v5 /*v261*/, 8, v200
	s_set_vgpr_msb 0                        ;  msbs: dst=0 src0=0 src1=0 src2=0
	v_ashrrev_i32_e32 v200, s20, v201
	s_delay_alu instid0(VALU_DEP_1) | instskip(SKIP_2) | instid1(VALU_DEP_2)
	v_and_b32_e32 v201, 0x3030303, v200
	v_bfe_u32 v200, v200, 24, 2
	s_set_vgpr_msb 64                       ;  msbs: dst=1 src0=0 src1=0 src2=0
	v_lshrrev_b32_e32 v7 /*v263*/, 16, v201
	s_set_vgpr_msb 4                        ;  msbs: dst=0 src0=0 src1=1 src2=0
	s_delay_alu instid0(VALU_DEP_2)
	v_sub_nc_u16 v200, v200, v10 /*v266*/
	s_set_vgpr_msb 0                        ;  msbs: dst=0 src0=0 src1=0 src2=0
	v_lshrrev_b16 v202, 8, v201
	s_set_vgpr_msb 0x45                     ;  msbs: dst=1 src0=1 src1=1 src2=0
	v_sub_nc_u16 v7 /*v263*/, v7 /*v263*/, v11 /*v267*/
	s_set_vgpr_msb 0                        ;  msbs: dst=0 src0=0 src1=0 src2=0
	v_lshlrev_b16 v200, 8, v200
	s_set_vgpr_msb 64                       ;  msbs: dst=1 src0=0 src1=0 src2=0
	v_sub_nc_u16 v11 /*v267*/, v201, v203
	s_set_vgpr_msb 0x41                     ;  msbs: dst=1 src0=1 src1=0 src2=0
	s_delay_alu instid0(VALU_DEP_2)
	v_bitop3_b16 v10 /*v266*/, v7 /*v263*/, v200, 0xff bitop3:0xec
	s_set_vgpr_msb 4                        ;  msbs: dst=0 src0=0 src1=1 src2=0
	v_sub_nc_u16 v200, v202, v9 /*v265*/
	ds_load_2addr_b32 v[202:203], v212 offset0:4 offset1:5
	s_set_vgpr_msb 64                       ;  msbs: dst=1 src0=0 src1=0 src2=0
	v_lshlrev_b16 v9 /*v265*/, 8, v200
	s_set_vgpr_msb 0                        ;  msbs: dst=0 src0=0 src1=0 src2=0
	v_add_nc_u32_e32 v200, 0x2110, v237
	ds_load_2addr_b32 v[200:201], v200 offset1:1
	s_wait_dscnt 0x1
	v_dual_ashrrev_i32 v202, s19, v202 :: v_dual_ashrrev_i32 v203, s19, v203
	s_delay_alu instid0(VALU_DEP_1) | instskip(SKIP_2) | instid1(VALU_DEP_2)
	v_dual_lshlrev_b32 v202, 2, v202 :: v_dual_lshlrev_b32 v203, 2, v203
	s_wait_dscnt 0x0
	v_ashrrev_i32_e32 v200, s20, v200
	v_and_b32_e32 v202, 0x4040404, v202
	s_delay_alu instid0(VALU_DEP_3) | instskip(SKIP_1) | instid1(VALU_DEP_3)
	v_and_b32_e32 v203, 0x4040404, v203
	s_set_vgpr_msb 64                       ;  msbs: dst=1 src0=0 src1=0 src2=0
	v_and_b32_e32 v12 /*v268*/, 0x3030303, v200
	s_set_vgpr_msb 0                        ;  msbs: dst=0 src0=0 src1=0 src2=0
	v_bfe_u32 v200, v200, 24, 2
	s_set_vgpr_msb 64                       ;  msbs: dst=1 src0=0 src1=0 src2=0
	v_dual_lshrrev_b32 v16 /*v272*/, 24, v202 :: v_dual_lshrrev_b32 v17 /*v273*/, 16, v202
	v_lshrrev_b16 v15 /*v271*/, 8, v202
	s_set_vgpr_msb 0x44                     ;  msbs: dst=1 src0=0 src1=1 src2=0
	v_lshrrev_b32_e32 v14 /*v270*/, 16, v12 /*v268*/
	v_lshrrev_b16 v13 /*v269*/, 8, v12 /*v268*/
	s_set_vgpr_msb 0x41                     ;  msbs: dst=1 src0=1 src1=0 src2=0
	v_lshrrev_b32_e32 v19 /*v275*/, 16, v203
	v_sub_nc_u16 v12 /*v268*/, v12 /*v268*/, v202
	s_set_vgpr_msb 4                        ;  msbs: dst=0 src0=0 src1=1 src2=0
	v_sub_nc_u16 v200, v200, v16 /*v272*/
	s_set_vgpr_msb 0x45                     ;  msbs: dst=1 src0=1 src1=1 src2=0
	v_sub_nc_u16 v14 /*v270*/, v14 /*v270*/, v17 /*v273*/
	s_set_vgpr_msb 64                       ;  msbs: dst=1 src0=0 src1=0 src2=0
	v_lshrrev_b16 v17 /*v273*/, 8, v203
	v_lshrrev_b32_e32 v18 /*v274*/, 24, v203
	s_set_vgpr_msb 0                        ;  msbs: dst=0 src0=0 src1=0 src2=0
	v_lshlrev_b16 v200, 8, v200
	s_set_vgpr_msb 0x41                     ;  msbs: dst=1 src0=1 src1=0 src2=0
	s_delay_alu instid0(VALU_DEP_1) | instskip(SKIP_3) | instid1(VALU_DEP_1)
	v_bitop3_b16 v16 /*v272*/, v14 /*v270*/, v200, 0xff bitop3:0xec
	s_set_vgpr_msb 5                        ;  msbs: dst=0 src0=1 src1=1 src2=0
	v_sub_nc_u16 v200, v13 /*v269*/, v15 /*v271*/
	s_set_vgpr_msb 64                       ;  msbs: dst=1 src0=0 src1=0 src2=0
	v_lshlrev_b16 v13 /*v269*/, 8, v200
	s_set_vgpr_msb 0                        ;  msbs: dst=0 src0=0 src1=0 src2=0
	v_ashrrev_i32_e32 v200, s20, v201
	s_delay_alu instid0(VALU_DEP_1) | instskip(SKIP_2) | instid1(VALU_DEP_2)
	v_and_b32_e32 v201, 0x3030303, v200
	v_bfe_u32 v200, v200, 24, 2
	s_set_vgpr_msb 64                       ;  msbs: dst=1 src0=0 src1=0 src2=0
	v_lshrrev_b32_e32 v15 /*v271*/, 16, v201
	s_set_vgpr_msb 0                        ;  msbs: dst=0 src0=0 src1=0 src2=0
	v_lshrrev_b16 v202, 8, v201
	s_set_vgpr_msb 4                        ;  msbs: dst=0 src0=0 src1=1 src2=0
	v_sub_nc_u16 v200, v200, v18 /*v274*/
	s_set_vgpr_msb 0x45                     ;  msbs: dst=1 src0=1 src1=1 src2=0
	v_sub_nc_u16 v15 /*v271*/, v15 /*v271*/, v19 /*v275*/
	s_set_vgpr_msb 64                       ;  msbs: dst=1 src0=0 src1=0 src2=0
	v_sub_nc_u16 v19 /*v275*/, v201, v203
	s_set_vgpr_msb 0                        ;  msbs: dst=0 src0=0 src1=0 src2=0
	v_lshlrev_b16 v200, 8, v200
	s_set_vgpr_msb 0x41                     ;  msbs: dst=1 src0=1 src1=0 src2=0
	s_delay_alu instid0(VALU_DEP_1)
	v_bitop3_b16 v18 /*v274*/, v15 /*v271*/, v200, 0xff bitop3:0xec
	s_set_vgpr_msb 4                        ;  msbs: dst=0 src0=0 src1=1 src2=0
	v_sub_nc_u16 v200, v202, v17 /*v273*/
	ds_load_2addr_b32 v[202:203], v212 offset0:6 offset1:7
	s_set_vgpr_msb 64                       ;  msbs: dst=1 src0=0 src1=0 src2=0
	v_lshlrev_b16 v17 /*v273*/, 8, v200
	s_set_vgpr_msb 0                        ;  msbs: dst=0 src0=0 src1=0 src2=0
	v_add_nc_u32_e32 v200, 0x2118, v237
	ds_load_2addr_b32 v[200:201], v200 offset1:1
	s_wait_dscnt 0x1
	v_dual_ashrrev_i32 v202, s19, v202 :: v_dual_ashrrev_i32 v203, s19, v203
	s_delay_alu instid0(VALU_DEP_1) | instskip(SKIP_2) | instid1(VALU_DEP_2)
	v_dual_lshlrev_b32 v202, 2, v202 :: v_dual_lshlrev_b32 v203, 2, v203
	s_wait_dscnt 0x0
	v_ashrrev_i32_e32 v200, s20, v200
	v_and_b32_e32 v202, 0x4040404, v202
	s_delay_alu instid0(VALU_DEP_3) | instskip(SKIP_1) | instid1(VALU_DEP_3)
	v_and_b32_e32 v203, 0x4040404, v203
	s_set_vgpr_msb 64                       ;  msbs: dst=1 src0=0 src1=0 src2=0
	v_and_b32_e32 v20 /*v276*/, 0x3030303, v200
	s_set_vgpr_msb 0                        ;  msbs: dst=0 src0=0 src1=0 src2=0
	v_bfe_u32 v200, v200, 24, 2
	s_set_vgpr_msb 64                       ;  msbs: dst=1 src0=0 src1=0 src2=0
	v_dual_lshrrev_b32 v23 /*v279*/, 24, v202 :: v_dual_lshrrev_b32 v24 /*v280*/, 16, v202
	v_lshrrev_b32_e32 v25 /*v281*/, 24, v203
	s_set_vgpr_msb 0x44                     ;  msbs: dst=1 src0=0 src1=1 src2=0
	v_lshrrev_b32_e32 v22 /*v278*/, 16, v20 /*v276*/
	v_lshrrev_b16 v21 /*v277*/, 8, v20 /*v276*/
	s_set_vgpr_msb 0                        ;  msbs: dst=0 src0=0 src1=0 src2=0
	v_lshrrev_b16 v212, 8, v202
	s_set_vgpr_msb 0x41                     ;  msbs: dst=1 src0=1 src1=0 src2=0
	v_sub_nc_u16 v20 /*v276*/, v20 /*v276*/, v202
	v_lshrrev_b32_e32 v26 /*v282*/, 16, v203
	s_set_vgpr_msb 4                        ;  msbs: dst=0 src0=0 src1=1 src2=0
	v_sub_nc_u16 v200, v200, v23 /*v279*/
	s_set_vgpr_msb 0x45                     ;  msbs: dst=1 src0=1 src1=1 src2=0
	v_sub_nc_u16 v22 /*v278*/, v22 /*v278*/, v24 /*v280*/
	s_set_vgpr_msb 64                       ;  msbs: dst=1 src0=0 src1=0 src2=0
	v_lshrrev_b16 v24 /*v280*/, 8, v203
	s_set_vgpr_msb 0                        ;  msbs: dst=0 src0=0 src1=0 src2=0
	v_lshlrev_b16 v200, 8, v200
	s_set_vgpr_msb 0x41                     ;  msbs: dst=1 src0=1 src1=0 src2=0
	s_delay_alu instid0(VALU_DEP_1) | instskip(SKIP_3) | instid1(VALU_DEP_1)
	v_bitop3_b16 v23 /*v279*/, v22 /*v278*/, v200, 0xff bitop3:0xec
	s_set_vgpr_msb 1                        ;  msbs: dst=0 src0=1 src1=0 src2=0
	v_sub_nc_u16 v200, v21 /*v277*/, v212
	s_set_vgpr_msb 64                       ;  msbs: dst=1 src0=0 src1=0 src2=0
	v_lshlrev_b16 v21 /*v277*/, 8, v200
	s_set_vgpr_msb 0                        ;  msbs: dst=0 src0=0 src1=0 src2=0
	v_ashrrev_i32_e32 v200, s20, v201
	s_delay_alu instid0(VALU_DEP_1) | instskip(SKIP_1) | instid1(VALU_DEP_2)
	v_and_b32_e32 v201, 0x3030303, v200
	v_bfe_u32 v200, v200, 24, 2
	v_lshrrev_b16 v202, 8, v201
	v_lshrrev_b32_e32 v212, 16, v201
	s_set_vgpr_msb 64                       ;  msbs: dst=1 src0=0 src1=0 src2=0
	v_sub_nc_u16 v27 /*v283*/, v201, v203
	s_set_vgpr_msb 0                        ;  msbs: dst=0 src0=0 src1=0 src2=0
	v_bfe_i32 v201, v213, 0, 8
	s_set_vgpr_msb 1                        ;  msbs: dst=0 src0=1 src1=0 src2=0
	v_bfe_i32 v213, v5 /*v261*/, 8, 8
	s_set_vgpr_msb 4                        ;  msbs: dst=0 src0=0 src1=1 src2=0
	v_sub_nc_u16 v200, v200, v25 /*v281*/
	s_set_vgpr_msb 0                        ;  msbs: dst=0 src0=0 src1=0 src2=0
	v_mul_i32_i24_e32 v203, v201, v224
	v_mul_i32_i24_e32 v213, v206, v213
	s_set_vgpr_msb 1                        ;  msbs: dst=0 src0=1 src1=0 src2=0
	v_bfe_i32 v206, v11 /*v267*/, 0, 8
	v_lshlrev_b16 v200, 8, v200
	s_set_vgpr_msb 64                       ;  msbs: dst=1 src0=0 src1=0 src2=0
	s_delay_alu instid0(VALU_DEP_2)
	v_mul_i32_i24_e32 v11 /*v267*/, v207, v206
	s_set_vgpr_msb 0                        ;  msbs: dst=0 src0=0 src1=0 src2=0
	v_perm_b32 v207, v238, v234, 0xc05000c
	v_perm_b32 v234, v235, v235, 0xc0c0c01
	s_set_vgpr_msb 1                        ;  msbs: dst=0 src0=1 src1=0 src2=0
	v_bfe_i32 v238, v21 /*v277*/, 8, 8
	s_set_vgpr_msb 0                        ;  msbs: dst=0 src0=0 src1=0 src2=0
	s_delay_alu instid0(VALU_DEP_2)
	v_or_b32_e32 v207, v207, v234
	s_set_vgpr_msb 0x44                     ;  msbs: dst=1 src0=0 src1=1 src2=0
	v_sub_nc_u16 v26 /*v282*/, v212, v26 /*v282*/
	s_set_vgpr_msb 0                        ;  msbs: dst=0 src0=0 src1=0 src2=0
	v_add_nc_u32_e32 v212, s22, v59
	v_mul_i32_i24_e32 v238, v214, v238
	s_set_vgpr_msb 1                        ;  msbs: dst=0 src0=1 src1=0 src2=0
	v_bfe_i32 v214, v27 /*v283*/, 0, 8
	s_set_vgpr_msb 0x41                     ;  msbs: dst=1 src0=1 src1=0 src2=0
	v_bitop3_b16 v25 /*v281*/, v26 /*v282*/, v200, 0xff bitop3:0xec
	s_set_vgpr_msb 4                        ;  msbs: dst=0 src0=0 src1=1 src2=0
	v_sub_nc_u16 v200, v202, v24 /*v280*/
	v_bfe_i32 v202, v204, 8, 8
	s_set_vgpr_msb 64                       ;  msbs: dst=1 src0=0 src1=0 src2=0
	s_delay_alu instid0(VALU_DEP_2) | instskip(SKIP_1) | instid1(VALU_DEP_2)
	v_lshlrev_b16 v24 /*v280*/, 8, v200
	s_set_vgpr_msb 0                        ;  msbs: dst=0 src0=0 src1=0 src2=0
	v_mad_i32_i24 v204, v202, v225, v203
	v_perm_b32 v203, v0, v205, 0xc0c0500
	s_set_vgpr_msb 1                        ;  msbs: dst=0 src0=1 src1=0 src2=0
	v_bfe_i32 v205, v4 /*v260*/, 0, 8
	s_set_vgpr_msb 0x41                     ;  msbs: dst=1 src0=1 src1=0 src2=0
	v_bfe_i32 v4 /*v260*/, v9 /*v265*/, 8, 8
	s_set_vgpr_msb 0                        ;  msbs: dst=0 src0=0 src1=0 src2=0
	v_add3_u32 v200, s23, v142, v133
	v_dot4_i32_iu8 v0, v203, v245, v204 neg_lo:[1,1,0]
	s_set_vgpr_msb 1                        ;  msbs: dst=0 src0=1 src1=0 src2=0
	v_bfe_i32 v204, v3 /*v259*/, 0, 8
	s_set_vgpr_msb 64                       ;  msbs: dst=1 src0=0 src1=0 src2=0
	v_mul_i32_i24_e32 v3 /*v259*/, v218, v205
	s_set_vgpr_msb 4                        ;  msbs: dst=0 src0=0 src1=1 src2=0
	v_mul_i32_i24_e32 v208, v208, v4 /*v260*/
	ds_load_b32 v200, v200
	s_set_vgpr_msb 0x41                     ;  msbs: dst=1 src0=1 src1=0 src2=0
	v_bfe_i32 v4 /*v260*/, v24 /*v280*/, 8, 8
	s_set_vgpr_msb 0                        ;  msbs: dst=0 src0=0 src1=0 src2=0
	v_mad_i32_i24 v0, v204, v222, v0
	s_set_vgpr_msb 0x44                     ;  msbs: dst=1 src0=0 src1=1 src2=0
	s_delay_alu instid0(VALU_DEP_2)
	v_mul_i32_i24_e32 v4 /*v260*/, v217, v4 /*v260*/
	s_set_vgpr_msb 5                        ;  msbs: dst=0 src0=1 src1=1 src2=0
	v_perm_b32 v217, v18 /*v274*/, v15 /*v271*/, 0xc05000c
	s_set_vgpr_msb 0                        ;  msbs: dst=0 src0=0 src1=0 src2=0
	v_dot4_i32_iu8 v0, v207, v209, v0 neg_lo:[1,1,0]
	s_set_vgpr_msb 5                        ;  msbs: dst=0 src0=1 src1=1 src2=0
	v_perm_b32 v209, v8 /*v264*/, v6 /*v262*/, 0xc0c0500
	s_set_vgpr_msb 4                        ;  msbs: dst=0 src0=0 src1=1 src2=0
	s_delay_alu instid0(VALU_DEP_2) | instskip(SKIP_3) | instid1(VALU_DEP_2)
	v_add3_u32 v0, v0, v3 /*v259*/, v213
	s_set_vgpr_msb 1                        ;  msbs: dst=0 src0=1 src1=0 src2=0
	v_bfe_i32 v213, v20 /*v276*/, 0, 8
	s_set_vgpr_msb 0                        ;  msbs: dst=0 src0=0 src1=0 src2=0
	v_dot4_i32_iu8 v0, v210, v209, v0 neg_lo:[1,1,0]
	s_set_vgpr_msb 1                        ;  msbs: dst=0 src0=1 src1=0 src2=0
	v_bfe_i32 v209, v12 /*v268*/, 0, 8
	v_bfe_i32 v210, v13 /*v269*/, 8, 8
	s_set_vgpr_msb 0x45                     ;  msbs: dst=1 src0=1 src1=1 src2=0
	v_perm_b32 v12 /*v268*/, v17 /*v273*/, v17 /*v273*/, 0xc0c0c01
	s_set_vgpr_msb 64                       ;  msbs: dst=1 src0=0 src1=0 src2=0
	v_mul_i32_i24_e32 v3 /*v259*/, v114, v213
	s_set_vgpr_msb 4                        ;  msbs: dst=0 src0=0 src1=1 src2=0
	v_add3_u32 v0, v0, v11 /*v267*/, v208
	s_set_vgpr_msb 5                        ;  msbs: dst=0 src0=1 src1=1 src2=0
	v_perm_b32 v208, v10 /*v266*/, v7 /*v263*/, 0xc0c0500
	s_set_vgpr_msb 64                       ;  msbs: dst=1 src0=0 src1=0 src2=0
	v_mul_i32_i24_e32 v11 /*v267*/, v199, v214
	s_set_vgpr_msb 4                        ;  msbs: dst=0 src0=0 src1=1 src2=0
	v_or_b32_e32 v217, v217, v12 /*v268*/
	s_set_vgpr_msb 0                        ;  msbs: dst=0 src0=0 src1=0 src2=0
	v_dot4_i32_iu8 v0, v211, v208, v0 neg_lo:[1,1,0]
	v_mul_i32_i24_e32 v211, v209, v219
	ds_load_u16 v208, v212
	v_mad_i32_i24 v212, v210, v220, v211
	s_set_vgpr_msb 5                        ;  msbs: dst=0 src0=1 src1=1 src2=0
	v_perm_b32 v211, v16 /*v272*/, v14 /*v270*/, 0xc0c0500
	s_set_vgpr_msb 0                        ;  msbs: dst=0 src0=0 src1=0 src2=0
	s_delay_alu instid0(VALU_DEP_1) | instskip(SKIP_3) | instid1(VALU_DEP_1)
	v_dot4_i32_iu8 v235, v211, v246, v212 neg_lo:[1,1,0]
	s_set_vgpr_msb 1                        ;  msbs: dst=0 src0=1 src1=0 src2=0
	v_bfe_i32 v212, v19 /*v275*/, 0, 8
	s_set_vgpr_msb 0                        ;  msbs: dst=0 src0=0 src1=0 src2=0
	v_mad_i32_i24 v235, v212, v215, v235
	s_wait_dscnt 0x0
	v_lshrrev_b16 v234, 8, v208
	s_delay_alu instid0(VALU_DEP_2)
	v_dot4_i32_iu8 v221, v217, v221, v235 neg_lo:[1,1,0]
	s_set_vgpr_msb 5                        ;  msbs: dst=0 src0=1 src1=1 src2=0
	v_perm_b32 v235, v23 /*v279*/, v22 /*v278*/, 0xc0c0500
	s_set_vgpr_msb 4                        ;  msbs: dst=0 src0=0 src1=1 src2=0
	v_bfe_i32 v208, v208, 0, 8
	v_add3_u32 v221, v221, v3 /*v259*/, v238
	s_set_vgpr_msb 0                        ;  msbs: dst=0 src0=0 src1=0 src2=0
	s_delay_alu instid0(VALU_DEP_2) | instskip(NEXT) | instid1(VALU_DEP_2)
	v_mul_lo_u32 v0, v0, v208
	v_dot4_i32_iu8 v221, v232, v235, v221 neg_lo:[1,1,0]
	s_set_vgpr_msb 5                        ;  msbs: dst=0 src0=1 src1=1 src2=0
	v_perm_b32 v232, v25 /*v281*/, v26 /*v282*/, 0xc0c0500
	s_set_vgpr_msb 20                       ;  msbs: dst=0 src0=0 src1=1 src2=1
	s_delay_alu instid0(VALU_DEP_2) | instskip(SKIP_3) | instid1(VALU_DEP_2)
	v_add3_u32 v221, v221, v11 /*v267*/, v4 /*v260*/
	s_set_vgpr_msb 64                       ;  msbs: dst=1 src0=0 src1=0 src2=0
	v_add3_u32 v11 /*v267*/, s21, v143, v134
	s_set_vgpr_msb 0                        ;  msbs: dst=0 src0=0 src1=0 src2=0
	v_dot4_i32_iu8 v232, v233, v232, v221 neg_lo:[1,1,0]
	v_bfe_i32 v221, v234, 0, 8
	s_set_vgpr_msb 1                        ;  msbs: dst=0 src0=1 src1=0 src2=0
	ds_load_2addr_b32 v[234:235], v11 /*v267*/ offset1:1
	s_set_vgpr_msb 0                        ;  msbs: dst=0 src0=0 src1=0 src2=0
	v_mad_u32 v0, v232, v221, v0
	v_mul_f32_e32 v232, v115, v200
	s_delay_alu instid0(VALU_DEP_2) | instskip(NEXT) | instid1(VALU_DEP_1)
	v_cvt_f32_i32_e32 v0, v0
	v_mul_f32_e32 v238, v232, v0
	v_add_nc_u32_e32 v0, 0x3180, v237
	s_wait_dscnt 0x0
	v_ashrrev_i32_e32 v235, s19, v235
	ds_load_2addr_b32 v[232:233], v0 offset1:1
	v_dual_ashrrev_i32 v234, s19, v234 :: v_dual_lshlrev_b32 v235, 2, v235
	s_delay_alu instid0(VALU_DEP_1) | instskip(NEXT) | instid1(VALU_DEP_2)
	v_lshlrev_b32_e32 v234, 2, v234
	v_and_b32_e32 v235, 0x4040404, v235
	s_delay_alu instid0(VALU_DEP_2) | instskip(SKIP_1) | instid1(VALU_DEP_2)
	v_and_b32_e32 v234, 0x4040404, v234
	s_set_vgpr_msb 64                       ;  msbs: dst=1 src0=0 src1=0 src2=0
	v_dual_lshrrev_b32 v15 /*v271*/, 24, v235 :: v_dual_lshrrev_b32 v16 /*v272*/, 16, v235
	s_delay_alu instid0(VALU_DEP_2) | instskip(SKIP_4) | instid1(VALU_DEP_1)
	v_dual_lshrrev_b32 v13 /*v269*/, 24, v234 :: v_dual_lshrrev_b32 v14 /*v270*/, 16, v234
	v_lshrrev_b16 v12 /*v268*/, 8, v234
	s_wait_dscnt 0x0
	s_set_vgpr_msb 0                        ;  msbs: dst=0 src0=0 src1=0 src2=0
	v_ashrrev_i32_e32 v0, s20, v232
	v_and_b32_e32 v232, 0x3030303, v0
	v_bfe_u32 v0, v0, 24, 2
	s_set_vgpr_msb 64                       ;  msbs: dst=1 src0=0 src1=0 src2=0
	s_delay_alu instid0(VALU_DEP_2) | instskip(SKIP_1) | instid1(VALU_DEP_2)
	v_lshrrev_b32_e32 v4 /*v260*/, 16, v232
	s_set_vgpr_msb 4                        ;  msbs: dst=0 src0=0 src1=1 src2=0
	v_sub_nc_u16 v0, v0, v13 /*v269*/
	s_set_vgpr_msb 64                       ;  msbs: dst=1 src0=0 src1=0 src2=0
	v_lshrrev_b16 v3 /*v259*/, 8, v232
	s_set_vgpr_msb 0x45                     ;  msbs: dst=1 src0=1 src1=1 src2=0
	v_sub_nc_u16 v4 /*v260*/, v4 /*v260*/, v14 /*v270*/
	s_set_vgpr_msb 0                        ;  msbs: dst=0 src0=0 src1=0 src2=0
	v_lshlrev_b16 v0, 8, v0
	s_set_vgpr_msb 64                       ;  msbs: dst=1 src0=0 src1=0 src2=0
	v_sub_nc_u16 v14 /*v270*/, v232, v234
	s_set_vgpr_msb 0x41                     ;  msbs: dst=1 src0=1 src1=0 src2=0
	s_delay_alu instid0(VALU_DEP_2)
	v_bitop3_b16 v13 /*v269*/, v4 /*v260*/, v0, 0xff bitop3:0xec
	s_set_vgpr_msb 5                        ;  msbs: dst=0 src0=1 src1=1 src2=0
	v_sub_nc_u16 v0, v3 /*v259*/, v12 /*v268*/
	s_set_vgpr_msb 0x41                     ;  msbs: dst=1 src0=1 src1=0 src2=0
	v_lshrrev_b16 v12 /*v268*/, 8, v235
	v_bfe_i32 v14 /*v270*/, v14 /*v270*/, 0, 8
	s_set_vgpr_msb 0x45                     ;  msbs: dst=1 src0=1 src1=1 src2=0
	v_perm_b32 v4 /*v260*/, v13 /*v269*/, v4 /*v260*/, 0xc0c0500
	s_set_vgpr_msb 64                       ;  msbs: dst=1 src0=0 src1=0 src2=0
	v_lshlrev_b16 v3 /*v259*/, 8, v0
	s_set_vgpr_msb 0                        ;  msbs: dst=0 src0=0 src1=0 src2=0
	v_ashrrev_i32_e32 v0, s20, v233
	s_set_vgpr_msb 4                        ;  msbs: dst=0 src0=0 src1=1 src2=0
	v_mul_i32_i24_e32 v224, v224, v14 /*v270*/
	s_set_vgpr_msb 0x41                     ;  msbs: dst=1 src0=1 src1=0 src2=0
	v_bfe_i32 v3 /*v259*/, v3 /*v259*/, 8, 8
	s_set_vgpr_msb 0                        ;  msbs: dst=0 src0=0 src1=0 src2=0
	v_and_b32_e32 v232, 0x3030303, v0
	v_bfe_u32 v0, v0, 24, 2
	s_set_vgpr_msb 4                        ;  msbs: dst=0 src0=0 src1=1 src2=0
	v_mad_i32_i24 v224, v225, v3 /*v259*/, v224
	s_set_vgpr_msb 0                        ;  msbs: dst=0 src0=0 src1=0 src2=0
	v_lshrrev_b32_e32 v234, 16, v232
	v_lshrrev_b16 v233, 8, v232
	s_set_vgpr_msb 64                       ;  msbs: dst=1 src0=0 src1=0 src2=0
	v_sub_nc_u16 v17 /*v273*/, v232, v235
	s_set_vgpr_msb 4                        ;  msbs: dst=0 src0=0 src1=1 src2=0
	v_sub_nc_u16 v0, v0, v15 /*v271*/
	v_dot4_i32_iu8 v224, v245, v4 /*v260*/, v224 neg_lo:[1,1,0]
	s_set_vgpr_msb 0x44                     ;  msbs: dst=1 src0=0 src1=1 src2=0
	v_sub_nc_u16 v16 /*v272*/, v234, v16 /*v272*/
	s_set_vgpr_msb 1                        ;  msbs: dst=0 src0=1 src1=0 src2=0
	ds_load_2addr_b32 v[234:235], v11 /*v267*/ offset0:2 offset1:3
	v_bfe_i32 v245, v17 /*v273*/, 0, 8
	v_lshlrev_b16 v0, 8, v0
	s_set_vgpr_msb 0                        ;  msbs: dst=0 src0=0 src1=0 src2=0
	s_delay_alu instid0(VALU_DEP_2) | instskip(SKIP_1) | instid1(VALU_DEP_2)
	v_mul_i32_i24_e32 v222, v222, v245
	s_set_vgpr_msb 0x41                     ;  msbs: dst=1 src0=1 src1=0 src2=0
	v_bitop3_b16 v15 /*v271*/, v16 /*v272*/, v0, 0xff bitop3:0xec
	s_set_vgpr_msb 4                        ;  msbs: dst=0 src0=0 src1=1 src2=0
	v_sub_nc_u16 v0, v233, v12 /*v268*/
	s_set_vgpr_msb 64                       ;  msbs: dst=1 src0=0 src1=0 src2=0
	s_delay_alu instid0(VALU_DEP_1) | instskip(SKIP_2) | instid1(VALU_DEP_2)
	v_lshlrev_b16 v12 /*v268*/, 8, v0
	s_set_vgpr_msb 1                        ;  msbs: dst=0 src0=1 src1=0 src2=0
	v_add_nc_u32_e32 v0, 0x3188, v237
	v_bfe_i32 v225, v12 /*v268*/, 8, 8
	s_set_vgpr_msb 0                        ;  msbs: dst=0 src0=0 src1=0 src2=0
	ds_load_2addr_b32 v[232:233], v0 offset1:1
	s_wait_dscnt 0x1
	v_dual_ashrrev_i32 v234, s19, v234 :: v_dual_ashrrev_i32 v235, s19, v235
	v_mul_i32_i24_e32 v223, v223, v225
	s_delay_alu instid0(VALU_DEP_2) | instskip(NEXT) | instid1(VALU_DEP_2)
	v_dual_lshlrev_b32 v234, 2, v234 :: v_dual_lshlrev_b32 v235, 2, v235
	v_add3_u32 v222, v224, v222, v223
	s_set_vgpr_msb 5                        ;  msbs: dst=0 src0=1 src1=1 src2=0
	v_perm_b32 v223, v15 /*v271*/, v16 /*v272*/, 0xc0c0500
	s_set_vgpr_msb 0                        ;  msbs: dst=0 src0=0 src1=0 src2=0
	v_and_b32_e32 v234, 0x4040404, v234
	v_and_b32_e32 v235, 0x4040404, v235
	s_delay_alu instid0(VALU_DEP_3) | instskip(SKIP_1) | instid1(VALU_DEP_3)
	v_dot4_i32_iu8 v1, v1, v223, v222 neg_lo:[1,1,0]
	s_set_vgpr_msb 64                       ;  msbs: dst=1 src0=0 src1=0 src2=0
	v_dual_lshrrev_b32 v27 /*v283*/, 24, v234 :: v_dual_lshrrev_b32 v28 /*v284*/, 16, v234
	s_delay_alu instid0(VALU_DEP_3)
	v_lshrrev_b32_e32 v29 /*v285*/, 16, v235
	v_lshrrev_b16 v20 /*v276*/, 8, v234
	s_wait_dscnt 0x0
	s_set_vgpr_msb 0                        ;  msbs: dst=0 src0=0 src1=0 src2=0
	v_ashrrev_i32_e32 v0, s20, v232
	s_set_vgpr_msb 64                       ;  msbs: dst=1 src0=0 src1=0 src2=0
	v_lshrrev_b16 v30 /*v286*/, 8, v235
	s_set_vgpr_msb 0                        ;  msbs: dst=0 src0=0 src1=0 src2=0
	s_delay_alu instid0(VALU_DEP_2) | instskip(SKIP_2) | instid1(VALU_DEP_2)
	v_and_b32_e32 v232, 0x3030303, v0
	v_bfe_u32 v0, v0, 24, 2
	s_set_vgpr_msb 64                       ;  msbs: dst=1 src0=0 src1=0 src2=0
	v_lshrrev_b32_e32 v19 /*v275*/, 16, v232
	v_lshrrev_b16 v18 /*v274*/, 8, v232
	s_set_vgpr_msb 4                        ;  msbs: dst=0 src0=0 src1=1 src2=0
	v_sub_nc_u16 v0, v0, v27 /*v283*/
	s_set_vgpr_msb 0x45                     ;  msbs: dst=1 src0=1 src1=1 src2=0
	v_sub_nc_u16 v19 /*v275*/, v19 /*v275*/, v28 /*v284*/
	s_set_vgpr_msb 64                       ;  msbs: dst=1 src0=0 src1=0 src2=0
	v_lshrrev_b32_e32 v28 /*v284*/, 24, v235
	s_set_vgpr_msb 0                        ;  msbs: dst=0 src0=0 src1=0 src2=0
	v_lshlrev_b16 v0, 8, v0
	s_set_vgpr_msb 0x41                     ;  msbs: dst=1 src0=1 src1=0 src2=0
	s_delay_alu instid0(VALU_DEP_1) | instskip(SKIP_4) | instid1(VALU_DEP_2)
	v_bitop3_b16 v27 /*v283*/, v19 /*v275*/, v0, 0xff bitop3:0xec
	s_set_vgpr_msb 5                        ;  msbs: dst=0 src0=1 src1=1 src2=0
	v_sub_nc_u16 v0, v18 /*v274*/, v20 /*v276*/
	s_set_vgpr_msb 64                       ;  msbs: dst=1 src0=0 src1=0 src2=0
	v_sub_nc_u16 v20 /*v276*/, v232, v234
	v_lshlrev_b16 v18 /*v274*/, 8, v0
	s_set_vgpr_msb 0                        ;  msbs: dst=0 src0=0 src1=0 src2=0
	v_ashrrev_i32_e32 v0, s20, v233
	s_set_vgpr_msb 0x41                     ;  msbs: dst=1 src0=1 src1=0 src2=0
	v_bfe_i32 v13 /*v269*/, v20 /*v276*/, 0, 8
	s_set_vgpr_msb 0                        ;  msbs: dst=0 src0=0 src1=0 src2=0
	s_delay_alu instid0(VALU_DEP_2) | instskip(SKIP_3) | instid1(VALU_DEP_2)
	v_bfe_u32 v232, v0, 24, 2
	v_and_b32_e32 v0, 0x3030303, v0
	s_set_vgpr_msb 1                        ;  msbs: dst=0 src0=1 src1=0 src2=0
	v_mad_i32_i24 v1, v13 /*v269*/, v218, v1
	v_lshrrev_b16 v234, 8, v0
	v_lshrrev_b32_e32 v233, 16, v0
	s_set_vgpr_msb 64                       ;  msbs: dst=1 src0=0 src1=0 src2=0
	v_sub_nc_u16 v31 /*v287*/, v0, v235
	s_set_vgpr_msb 4                        ;  msbs: dst=0 src0=0 src1=1 src2=0
	v_sub_nc_u16 v0, v234, v30 /*v286*/
	s_set_vgpr_msb 0x44                     ;  msbs: dst=1 src0=0 src1=1 src2=0
	v_sub_nc_u16 v29 /*v285*/, v233, v29 /*v285*/
	s_set_vgpr_msb 1                        ;  msbs: dst=0 src0=1 src1=0 src2=0
	ds_load_2addr_b32 v[234:235], v11 /*v267*/ offset0:4 offset1:5
	v_lshlrev_b16 v0, 8, v0
	s_set_vgpr_msb 0x41                     ;  msbs: dst=1 src0=1 src1=0 src2=0
	s_delay_alu instid0(VALU_DEP_1) | instskip(SKIP_3) | instid1(VALU_DEP_1)
	v_bitop3_b16 v30 /*v286*/, v31 /*v287*/, v0, 0xff bitop3:0xec
	s_set_vgpr_msb 4                        ;  msbs: dst=0 src0=0 src1=1 src2=0
	v_sub_nc_u16 v0, v232, v28 /*v284*/
	s_set_vgpr_msb 0                        ;  msbs: dst=0 src0=0 src1=0 src2=0
	v_lshlrev_b16 v0, 8, v0
	s_set_vgpr_msb 0x41                     ;  msbs: dst=1 src0=1 src1=0 src2=0
	s_delay_alu instid0(VALU_DEP_1)
	v_bitop3_b16 v28 /*v284*/, v29 /*v285*/, v0, 0xff bitop3:0xec
	s_set_vgpr_msb 0                        ;  msbs: dst=0 src0=0 src1=0 src2=0
	v_add_nc_u32_e32 v0, 0x3190, v237
	s_wait_dscnt 0x0
	v_dual_ashrrev_i32 v234, s19, v234 :: v_dual_ashrrev_i32 v235, s19, v235
	ds_load_2addr_b32 v[232:233], v0 offset1:1
	v_dual_lshlrev_b32 v234, 2, v234 :: v_dual_lshlrev_b32 v235, 2, v235
	s_delay_alu instid0(VALU_DEP_1) | instskip(NEXT) | instid1(VALU_DEP_2)
	v_and_b32_e32 v234, 0x4040404, v234
	v_and_b32_e32 v235, 0x4040404, v235
	s_set_vgpr_msb 64                       ;  msbs: dst=1 src0=0 src1=0 src2=0
	s_delay_alu instid0(VALU_DEP_2) | instskip(SKIP_1) | instid1(VALU_DEP_3)
	v_dual_lshrrev_b32 v35 /*v291*/, 24, v234 :: v_dual_lshrrev_b32 v36 /*v292*/, 16, v234
	v_lshrrev_b16 v34 /*v290*/, 8, v234
	v_dual_lshrrev_b32 v37 /*v293*/, 24, v235 :: v_dual_lshrrev_b32 v38 /*v294*/, 16, v235
	s_wait_dscnt 0x0
	s_set_vgpr_msb 0                        ;  msbs: dst=0 src0=0 src1=0 src2=0
	v_ashrrev_i32_e32 v0, s20, v232
	s_delay_alu instid0(VALU_DEP_1) | instskip(SKIP_2) | instid1(VALU_DEP_2)
	v_and_b32_e32 v232, 0x3030303, v0
	v_bfe_u32 v0, v0, 24, 2
	s_set_vgpr_msb 64                       ;  msbs: dst=1 src0=0 src1=0 src2=0
	v_lshrrev_b32_e32 v33 /*v289*/, 16, v232
	v_lshrrev_b16 v32 /*v288*/, 8, v232
	s_set_vgpr_msb 4                        ;  msbs: dst=0 src0=0 src1=1 src2=0
	v_sub_nc_u16 v0, v0, v35 /*v291*/
	s_set_vgpr_msb 0x45                     ;  msbs: dst=1 src0=1 src1=1 src2=0
	v_sub_nc_u16 v33 /*v289*/, v33 /*v289*/, v36 /*v292*/
	s_set_vgpr_msb 64                       ;  msbs: dst=1 src0=0 src1=0 src2=0
	v_sub_nc_u16 v36 /*v292*/, v232, v234
	s_set_vgpr_msb 0                        ;  msbs: dst=0 src0=0 src1=0 src2=0
	v_lshlrev_b16 v0, 8, v0
	s_set_vgpr_msb 0x41                     ;  msbs: dst=1 src0=1 src1=0 src2=0
	s_delay_alu instid0(VALU_DEP_2) | instskip(NEXT) | instid1(VALU_DEP_2)
	v_bfe_i32 v20 /*v276*/, v36 /*v292*/, 0, 8
	v_bitop3_b16 v35 /*v291*/, v33 /*v289*/, v0, 0xff bitop3:0xec
	s_set_vgpr_msb 5                        ;  msbs: dst=0 src0=1 src1=1 src2=0
	v_sub_nc_u16 v0, v32 /*v288*/, v34 /*v290*/
	s_set_vgpr_msb 64                       ;  msbs: dst=1 src0=0 src1=0 src2=0
	v_lshrrev_b16 v34 /*v290*/, 8, v235
	s_set_vgpr_msb 4                        ;  msbs: dst=0 src0=0 src1=1 src2=0
	v_mul_i32_i24_e32 v218, v219, v20 /*v276*/
	s_set_vgpr_msb 64                       ;  msbs: dst=1 src0=0 src1=0 src2=0
	v_lshlrev_b16 v32 /*v288*/, 8, v0
	s_set_vgpr_msb 0                        ;  msbs: dst=0 src0=0 src1=0 src2=0
	v_ashrrev_i32_e32 v0, s20, v233
	s_set_vgpr_msb 0x41                     ;  msbs: dst=1 src0=1 src1=0 src2=0
	s_delay_alu instid0(VALU_DEP_2) | instskip(SKIP_1) | instid1(VALU_DEP_2)
	v_bfe_i32 v17 /*v273*/, v32 /*v288*/, 8, 8
	s_set_vgpr_msb 0                        ;  msbs: dst=0 src0=0 src1=0 src2=0
	v_and_b32_e32 v232, 0x3030303, v0
	s_set_vgpr_msb 4                        ;  msbs: dst=0 src0=0 src1=1 src2=0
	s_delay_alu instid0(VALU_DEP_2) | instskip(SKIP_1) | instid1(VALU_DEP_2)
	v_mad_i32_i24 v218, v220, v17 /*v273*/, v218
	s_set_vgpr_msb 0                        ;  msbs: dst=0 src0=0 src1=0 src2=0
	v_lshrrev_b32_e32 v234, 16, v232
	v_bfe_u32 v0, v0, 24, 2
	v_lshrrev_b16 v233, 8, v232
	s_set_vgpr_msb 64                       ;  msbs: dst=1 src0=0 src1=0 src2=0
	v_sub_nc_u16 v39 /*v295*/, v232, v235
	s_set_vgpr_msb 5                        ;  msbs: dst=0 src0=1 src1=1 src2=0
	v_perm_b32 v220, v35 /*v291*/, v33 /*v289*/, 0xc0c0500
	s_set_vgpr_msb 0x44                     ;  msbs: dst=1 src0=0 src1=1 src2=0
	v_sub_nc_u16 v38 /*v294*/, v234, v38 /*v294*/
	s_set_vgpr_msb 4                        ;  msbs: dst=0 src0=0 src1=1 src2=0
	v_sub_nc_u16 v0, v0, v37 /*v293*/
	s_set_vgpr_msb 1                        ;  msbs: dst=0 src0=1 src1=0 src2=0
	ds_load_2addr_b32 v[234:235], v11 /*v267*/ offset0:6 offset1:7
	s_set_vgpr_msb 0                        ;  msbs: dst=0 src0=0 src1=0 src2=0
	v_dot4_i32_iu8 v218, v246, v220, v218 neg_lo:[1,1,0]
	s_set_vgpr_msb 1                        ;  msbs: dst=0 src0=1 src1=0 src2=0
	v_bfe_i32 v246, v39 /*v295*/, 0, 8
	v_lshlrev_b16 v0, 8, v0
	s_set_vgpr_msb 0                        ;  msbs: dst=0 src0=0 src1=0 src2=0
	s_delay_alu instid0(VALU_DEP_2) | instskip(SKIP_1) | instid1(VALU_DEP_2)
	v_mul_i32_i24_e32 v215, v215, v246
	s_set_vgpr_msb 0x41                     ;  msbs: dst=1 src0=1 src1=0 src2=0
	v_bitop3_b16 v37 /*v293*/, v38 /*v294*/, v0, 0xff bitop3:0xec
	s_set_vgpr_msb 4                        ;  msbs: dst=0 src0=0 src1=1 src2=0
	v_sub_nc_u16 v0, v233, v34 /*v290*/
	s_set_vgpr_msb 64                       ;  msbs: dst=1 src0=0 src1=0 src2=0
	s_delay_alu instid0(VALU_DEP_1) | instskip(SKIP_2) | instid1(VALU_DEP_2)
	v_lshlrev_b16 v34 /*v290*/, 8, v0
	s_set_vgpr_msb 1                        ;  msbs: dst=0 src0=1 src1=0 src2=0
	v_add_nc_u32_e32 v0, 0x3198, v237
	v_bfe_i32 v219, v34 /*v290*/, 8, 8
	s_set_vgpr_msb 0                        ;  msbs: dst=0 src0=0 src1=0 src2=0
	ds_load_2addr_b32 v[232:233], v0 offset1:1
	s_wait_dscnt 0x1
	v_dual_ashrrev_i32 v234, s19, v234 :: v_dual_ashrrev_i32 v235, s19, v235
	v_mul_i32_i24_e32 v216, v216, v219
	s_delay_alu instid0(VALU_DEP_2) | instskip(NEXT) | instid1(VALU_DEP_2)
	v_dual_lshlrev_b32 v234, 2, v234 :: v_dual_lshlrev_b32 v235, 2, v235
	v_add3_u32 v215, v218, v215, v216
	s_set_vgpr_msb 5                        ;  msbs: dst=0 src0=1 src1=1 src2=0
	v_perm_b32 v216, v37 /*v293*/, v38 /*v294*/, 0xc0c0500
	s_set_vgpr_msb 0                        ;  msbs: dst=0 src0=0 src1=0 src2=0
	v_and_b32_e32 v234, 0x4040404, v234
	v_and_b32_e32 v235, 0x4040404, v235
	s_delay_alu instid0(VALU_DEP_3) | instskip(SKIP_1) | instid1(VALU_DEP_3)
	v_dot4_i32_iu8 v5, v5, v216, v215 neg_lo:[1,1,0]
	s_set_vgpr_msb 64                       ;  msbs: dst=1 src0=0 src1=0 src2=0
	v_dual_lshrrev_b32 v41 /*v297*/, 24, v234 :: v_dual_lshrrev_b32 v42 /*v298*/, 16, v234
	s_delay_alu instid0(VALU_DEP_3)
	v_lshrrev_b32_e32 v43 /*v299*/, 24, v235
	v_lshrrev_b16 v11 /*v267*/, 8, v234
	s_wait_dscnt 0x0
	s_set_vgpr_msb 0                        ;  msbs: dst=0 src0=0 src1=0 src2=0
	v_ashrrev_i32_e32 v0, s20, v232
	s_set_vgpr_msb 64                       ;  msbs: dst=1 src0=0 src1=0 src2=0
	v_lshrrev_b32_e32 v44 /*v300*/, 16, v235
	s_set_vgpr_msb 0                        ;  msbs: dst=0 src0=0 src1=0 src2=0
	s_delay_alu instid0(VALU_DEP_2) | instskip(SKIP_2) | instid1(VALU_DEP_2)
	v_and_b32_e32 v232, 0x3030303, v0
	v_bfe_u32 v0, v0, 24, 2
	s_set_vgpr_msb 64                       ;  msbs: dst=1 src0=0 src1=0 src2=0
	v_lshrrev_b32_e32 v40 /*v296*/, 16, v232
	s_set_vgpr_msb 0                        ;  msbs: dst=0 src0=0 src1=0 src2=0
	v_lshrrev_b16 v237, 8, v232
	v_sub_nc_u16 v232, v232, v234
	s_set_vgpr_msb 4                        ;  msbs: dst=0 src0=0 src1=1 src2=0
	v_sub_nc_u16 v0, v0, v41 /*v297*/
	s_set_vgpr_msb 0x45                     ;  msbs: dst=1 src0=1 src1=1 src2=0
	v_sub_nc_u16 v40 /*v296*/, v40 /*v296*/, v42 /*v298*/
	s_set_vgpr_msb 64                       ;  msbs: dst=1 src0=0 src1=0 src2=0
	v_lshrrev_b16 v42 /*v298*/, 8, v235
	v_bfe_i32 v32 /*v288*/, v232, 0, 8
	s_set_vgpr_msb 1                        ;  msbs: dst=0 src0=1 src1=0 src2=0
	v_lshlrev_b16 v0, 8, v0
	s_delay_alu instid0(VALU_DEP_2) | instskip(SKIP_1) | instid1(VALU_DEP_2)
	v_mad_i32_i24 v215, v32 /*v288*/, v114, v5
	s_set_vgpr_msb 0x41                     ;  msbs: dst=1 src0=1 src1=0 src2=0
	v_bitop3_b16 v41 /*v297*/, v40 /*v296*/, v0, 0xff bitop3:0xec
	s_set_vgpr_msb 4                        ;  msbs: dst=0 src0=0 src1=1 src2=0
	v_sub_nc_u16 v0, v237, v11 /*v267*/
	s_set_vgpr_msb 0                        ;  msbs: dst=0 src0=0 src1=0 src2=0
	v_or_b32_e32 v5, s18, v123
	s_set_vgpr_msb 64                       ;  msbs: dst=1 src0=0 src1=0 src2=0
	s_delay_alu instid0(VALU_DEP_2) | instskip(SKIP_3) | instid1(VALU_DEP_2)
	v_lshlrev_b16 v11 /*v267*/, 8, v0
	s_set_vgpr_msb 0                        ;  msbs: dst=0 src0=0 src1=0 src2=0
	v_ashrrev_i32_e32 v0, s20, v233
	v_dual_lshlrev_b32 v216, 2, v5 :: v_dual_lshrrev_b32 v5, 1, v5
	v_and_b32_e32 v233, 0x3030303, v0
	v_bfe_u32 v0, v0, 24, 2
	s_delay_alu instid0(VALU_DEP_2) | instskip(SKIP_1) | instid1(VALU_DEP_2)
	v_lshrrev_b32_e32 v237, 16, v233
	s_set_vgpr_msb 4                        ;  msbs: dst=0 src0=0 src1=1 src2=0
	v_sub_nc_u16 v0, v0, v43 /*v299*/
	s_set_vgpr_msb 0                        ;  msbs: dst=0 src0=0 src1=0 src2=0
	v_lshrrev_b16 v234, 8, v233
	s_set_vgpr_msb 64                       ;  msbs: dst=1 src0=0 src1=0 src2=0
	v_sub_nc_u16 v45 /*v301*/, v233, v235
	s_set_vgpr_msb 0x44                     ;  msbs: dst=1 src0=0 src1=1 src2=0
	v_sub_nc_u16 v44 /*v300*/, v237, v44 /*v300*/
	s_set_vgpr_msb 0                        ;  msbs: dst=0 src0=0 src1=0 src2=0
	v_lshlrev_b16 v0, 8, v0
	v_perm_b32 v237, v244, v244, 0xc0c0c01
	s_set_vgpr_msb 0x41                     ;  msbs: dst=1 src0=1 src1=0 src2=0
	s_delay_alu instid0(VALU_DEP_2) | instskip(SKIP_3) | instid1(VALU_DEP_1)
	v_bitop3_b16 v43 /*v299*/, v44 /*v300*/, v0, 0xff bitop3:0xec
	s_set_vgpr_msb 4                        ;  msbs: dst=0 src0=0 src1=1 src2=0
	v_sub_nc_u16 v0, v234, v42 /*v298*/
	s_set_vgpr_msb 64                       ;  msbs: dst=1 src0=0 src1=0 src2=0
	v_lshlrev_b16 v42 /*v298*/, 8, v0
	s_set_vgpr_msb 0                        ;  msbs: dst=0 src0=0 src1=0 src2=0
	v_add3_u32 v0, s23, v144, v135
	ds_load_b32 v0, v0
	ds_load_b32 v114, v5 offset:38816
	ds_load_b128 v[222:225], v216 offset:25344
	ds_load_b128 v[232:235], v216 offset:25360
	s_wait_dscnt 0x1
	v_bfe_i32 v216, v222, 0, 8
	v_bfe_i32 v218, v222, 8, 8
	v_perm_b32 v222, v222, v222, 0xc0c0302
	v_bfe_i32 v219, v223, 0, 8
	v_perm_b32 v223, v223, v223, 0xc030201
	s_set_vgpr_msb 64                       ;  msbs: dst=1 src0=0 src1=0 src2=0
	v_bfe_i32 v33 /*v289*/, v224, 0, 8
	v_perm_b32 v50 /*v306*/, v224, v224, 0xc030201
	v_bfe_i32 v35 /*v291*/, v225, 0, 8
	s_set_vgpr_msb 0                        ;  msbs: dst=0 src0=0 src1=0 src2=0
	v_perm_b32 v226, v225, v225, 0xc030201
	s_wait_dscnt 0x0
	s_set_vgpr_msb 64                       ;  msbs: dst=1 src0=0 src1=0 src2=0
	v_bfe_i32 v36 /*v292*/, v232, 0, 8
	v_bfe_i32 v39 /*v295*/, v232, 8, 8
	s_set_vgpr_msb 0                        ;  msbs: dst=0 src0=0 src1=0 src2=0
	v_perm_b32 v230, v232, v232, 0xc0c0302
	s_set_vgpr_msb 64                       ;  msbs: dst=1 src0=0 src1=0 src2=0
	v_bfe_i32 v47 /*v303*/, v233, 0, 8
	s_set_vgpr_msb 0                        ;  msbs: dst=0 src0=0 src1=0 src2=0
	v_perm_b32 v231, v233, v233, 0xc030201
	s_set_vgpr_msb 64                       ;  msbs: dst=1 src0=0 src1=0 src2=0
	v_bfe_i32 v48 /*v304*/, v234, 0, 8
	s_set_vgpr_msb 0                        ;  msbs: dst=0 src0=0 src1=0 src2=0
	v_perm_b32 v232, v234, v234, 0xc030201
	v_perm_b32 v233, v240, v239, 0xc05000c
	;; [unrolled: 1-line block ×3, first 2 shown]
	s_set_vgpr_msb 64                       ;  msbs: dst=1 src0=0 src1=0 src2=0
	v_bfe_i32 v49 /*v305*/, v235, 0, 8
	s_set_vgpr_msb 5                        ;  msbs: dst=0 src0=1 src1=1 src2=0
	v_perm_b32 v239, v21 /*v277*/, v21 /*v277*/, 0xc0c0c01
	s_set_vgpr_msb 0                        ;  msbs: dst=0 src0=0 src1=0 src2=0
	v_mul_i32_i24_e32 v5, v216, v166
	s_set_vgpr_msb 1                        ;  msbs: dst=0 src0=1 src1=0 src2=0
	v_mul_i32_i24_e32 v227, v36 /*v292*/, v174
	s_set_vgpr_msb 0                        ;  msbs: dst=0 src0=0 src1=0 src2=0
	v_or_b32_e32 v233, v233, v234
	v_perm_b32 v234, v235, v235, 0xc030201
	v_perm_b32 v235, v243, v242, 0xc05000c
	v_mad_i32_i24 v5, v218, v167, v5
	s_set_vgpr_msb 1                        ;  msbs: dst=0 src0=1 src1=0 src2=0
	v_mad_i32_i24 v227, v39 /*v295*/, v175, v227
	s_set_vgpr_msb 0                        ;  msbs: dst=0 src0=0 src1=0 src2=0
	v_or_b32_e32 v235, v235, v237
	v_perm_b32 v237, v255, v255, 0xc0c0c01
	v_dot4_i32_iu8 v5, v222, v168, v5 neg_lo:[1,1,0]
	v_dot4_i32_iu8 v227, v230, v176, v227 neg_lo:[1,1,0]
	s_delay_alu instid0(VALU_DEP_2) | instskip(SKIP_1) | instid1(VALU_DEP_2)
	v_mad_i32_i24 v5, v219, v170, v5
	s_set_vgpr_msb 1                        ;  msbs: dst=0 src0=1 src1=0 src2=0
	v_mad_i32_i24 v227, v47 /*v303*/, v178, v227
	s_set_vgpr_msb 0                        ;  msbs: dst=0 src0=0 src1=0 src2=0
	s_delay_alu instid0(VALU_DEP_2) | instskip(NEXT) | instid1(VALU_DEP_2)
	v_dot4_i32_iu8 v5, v223, v172, v5 neg_lo:[1,1,0]
	v_dot4_i32_iu8 v227, v231, v180, v227 neg_lo:[1,1,0]
	s_set_vgpr_msb 4                        ;  msbs: dst=0 src0=0 src1=1 src2=0
	s_delay_alu instid0(VALU_DEP_2) | instskip(NEXT) | instid1(VALU_DEP_2)
	v_mad_i32_i24 v5, v169, v33 /*v289*/, v5
	v_mad_i32_i24 v227, v177, v48 /*v304*/, v227
	s_delay_alu instid0(VALU_DEP_2) | instskip(SKIP_1) | instid1(VALU_DEP_2)
	v_dot4_i32_iu8 v5, v228, v50 /*v306*/, v5 neg_lo:[1,1,0]
	s_set_vgpr_msb 0                        ;  msbs: dst=0 src0=0 src1=0 src2=0
	v_dot4_i32_iu8 v227, v233, v232, v227 neg_lo:[1,1,0]
	s_set_vgpr_msb 4                        ;  msbs: dst=0 src0=0 src1=1 src2=0
	s_delay_alu instid0(VALU_DEP_2) | instskip(NEXT) | instid1(VALU_DEP_2)
	v_mad_i32_i24 v5, v171, v35 /*v291*/, v5
	v_mad_i32_i24 v227, v179, v49 /*v305*/, v227
	s_set_vgpr_msb 0                        ;  msbs: dst=0 src0=0 src1=0 src2=0
	s_delay_alu instid0(VALU_DEP_2) | instskip(NEXT) | instid1(VALU_DEP_2)
	v_dot4_i32_iu8 v5, v229, v226, v5 neg_lo:[1,1,0]
	v_dot4_i32_iu8 v227, v235, v234, v227 neg_lo:[1,1,0]
	s_delay_alu instid0(VALU_DEP_2) | instskip(NEXT) | instid1(VALU_DEP_1)
	v_mul_lo_u32 v5, v5, v173
	v_mad_u32 v5, v227, v181, v5
	v_mul_f32_e32 v227, v165, v114
	s_delay_alu instid0(VALU_DEP_2) | instskip(NEXT) | instid1(VALU_DEP_1)
	v_cvt_f32_i32_e32 v5, v5
	v_mul_f32_e32 v5, v227, v5
	v_perm_b32 v227, v249, v249, 0xc0c0c01
	s_delay_alu instid0(VALU_DEP_2) | instskip(SKIP_2) | instid1(VALU_DEP_2)
	v_pk_add_f32 v[46:47], v[46:47], v[4:5]
	v_mul_i32_i24_e32 v4, v216, v183
	v_perm_b32 v5, v248, v247, 0xc05000c
	v_mad_i32_i24 v4, v218, v184, v4
	s_delay_alu instid0(VALU_DEP_2) | instskip(SKIP_2) | instid1(VALU_DEP_4)
	v_or_b32_e32 v240, v5, v227
	v_perm_b32 v5, v251, v250, 0xc05000c
	v_perm_b32 v227, v252, v252, 0xc0c0c01
	v_dot4_i32_iu8 v4, v222, v185, v4 neg_lo:[1,1,0]
	s_delay_alu instid0(VALU_DEP_2)
	v_or_b32_e32 v241, v5, v227
	s_set_vgpr_msb 1                        ;  msbs: dst=0 src0=1 src1=0 src2=0
	v_mul_i32_i24_e32 v5, v36 /*v292*/, v191
	s_set_vgpr_msb 0                        ;  msbs: dst=0 src0=0 src1=0 src2=0
	v_perm_b32 v227, v254, v253, 0xc05000c
	v_mad_i32_i24 v4, v219, v186, v4
	s_set_vgpr_msb 1                        ;  msbs: dst=0 src0=1 src1=0 src2=0
	v_mad_i32_i24 v5, v39 /*v295*/, v192, v5
	s_set_vgpr_msb 0                        ;  msbs: dst=0 src0=0 src1=0 src2=0
	v_or_b32_e32 v242, v227, v237
	s_set_vgpr_msb 5                        ;  msbs: dst=0 src0=1 src1=1 src2=0
	v_perm_b32 v227, v1 /*v257*/, v0 /*v256*/, 0xc05000c
	v_perm_b32 v237, v2 /*v258*/, v2 /*v258*/, 0xc0c0c01
	s_set_vgpr_msb 0                        ;  msbs: dst=0 src0=0 src1=0 src2=0
	v_dot4_i32_iu8 v4, v223, v189, v4 neg_lo:[1,1,0]
	v_dot4_i32_iu8 v5, v230, v193, v5 neg_lo:[1,1,0]
	s_delay_alu instid0(VALU_DEP_3)
	v_or_b32_e32 v243, v227, v237
	s_set_vgpr_msb 5                        ;  msbs: dst=0 src0=1 src1=1 src2=0
	v_perm_b32 v227, v5 /*v261*/, v5 /*v261*/, 0xc0c0c01
	s_set_vgpr_msb 4                        ;  msbs: dst=0 src0=0 src1=1 src2=0
	v_mad_i32_i24 v4, v187, v33 /*v289*/, v4
	s_set_vgpr_msb 1                        ;  msbs: dst=0 src0=1 src1=0 src2=0
	v_mad_i32_i24 v5, v47 /*v303*/, v194, v5
	s_set_vgpr_msb 4                        ;  msbs: dst=0 src0=0 src1=1 src2=0
	s_delay_alu instid0(VALU_DEP_2) | instskip(SKIP_1) | instid1(VALU_DEP_2)
	v_dot4_i32_iu8 v4, v240, v50 /*v306*/, v4 neg_lo:[1,1,0]
	s_set_vgpr_msb 0                        ;  msbs: dst=0 src0=0 src1=0 src2=0
	v_dot4_i32_iu8 v5, v231, v197, v5 neg_lo:[1,1,0]
	s_set_vgpr_msb 4                        ;  msbs: dst=0 src0=0 src1=1 src2=0
	s_delay_alu instid0(VALU_DEP_2) | instskip(NEXT) | instid1(VALU_DEP_2)
	v_mad_i32_i24 v4, v188, v35 /*v291*/, v4
	v_mad_i32_i24 v5, v195, v48 /*v304*/, v5
	s_set_vgpr_msb 0                        ;  msbs: dst=0 src0=0 src1=0 src2=0
	s_delay_alu instid0(VALU_DEP_2) | instskip(NEXT) | instid1(VALU_DEP_2)
	v_dot4_i32_iu8 v4, v241, v226, v4 neg_lo:[1,1,0]
	v_dot4_i32_iu8 v5, v242, v232, v5 neg_lo:[1,1,0]
	s_delay_alu instid0(VALU_DEP_2) | instskip(SKIP_1) | instid1(VALU_DEP_2)
	v_mul_lo_u32 v4, v4, v190
	s_set_vgpr_msb 4                        ;  msbs: dst=0 src0=0 src1=1 src2=0
	v_mad_i32_i24 v5, v196, v49 /*v305*/, v5
	s_set_vgpr_msb 0                        ;  msbs: dst=0 src0=0 src1=0 src2=0
	s_delay_alu instid0(VALU_DEP_1) | instskip(NEXT) | instid1(VALU_DEP_1)
	v_dot4_i32_iu8 v5, v243, v234, v5 neg_lo:[1,1,0]
	v_mad_u32 v4, v5, v198, v4
	v_mul_f32_e32 v5, v182, v114
	s_delay_alu instid0(VALU_DEP_2) | instskip(NEXT) | instid1(VALU_DEP_1)
	v_cvt_f32_i32_e32 v4, v4
	v_mul_f32_e32 v237, v5, v4
	v_mul_i32_i24_e32 v4, v216, v201
	s_set_vgpr_msb 5                        ;  msbs: dst=0 src0=1 src1=1 src2=0
	v_perm_b32 v5, v8 /*v264*/, v6 /*v262*/, 0xc05000c
	s_set_vgpr_msb 0                        ;  msbs: dst=0 src0=0 src1=0 src2=0
	v_pk_add_f32 v[44:45], v[44:45], v[236:237]
	v_mad_i32_i24 v4, v218, v202, v4
	s_delay_alu instid0(VALU_DEP_3)
	v_or_b32_e32 v236, v5, v227
	s_set_vgpr_msb 5                        ;  msbs: dst=0 src0=1 src1=1 src2=0
	v_perm_b32 v5, v10 /*v266*/, v7 /*v263*/, 0xc05000c
	v_perm_b32 v227, v9 /*v265*/, v9 /*v265*/, 0xc0c0c01
	s_set_vgpr_msb 0                        ;  msbs: dst=0 src0=0 src1=0 src2=0
	v_dot4_i32_iu8 v4, v222, v203, v4 neg_lo:[1,1,0]
	s_delay_alu instid0(VALU_DEP_2)
	v_or_b32_e32 v237, v5, v227
	s_set_vgpr_msb 1                        ;  msbs: dst=0 src0=1 src1=0 src2=0
	v_mul_i32_i24_e32 v5, v36 /*v292*/, v209
	s_set_vgpr_msb 5                        ;  msbs: dst=0 src0=1 src1=1 src2=0
	v_perm_b32 v227, v23 /*v279*/, v22 /*v278*/, 0xc05000c
	s_set_vgpr_msb 0                        ;  msbs: dst=0 src0=0 src1=0 src2=0
	v_mad_i32_i24 v4, v219, v204, v4
	s_set_vgpr_msb 1                        ;  msbs: dst=0 src0=1 src1=0 src2=0
	v_mad_i32_i24 v5, v39 /*v295*/, v210, v5
	s_set_vgpr_msb 0                        ;  msbs: dst=0 src0=0 src1=0 src2=0
	v_or_b32_e32 v244, v227, v239
	s_set_vgpr_msb 5                        ;  msbs: dst=0 src0=1 src1=1 src2=0
	v_perm_b32 v227, v25 /*v281*/, v26 /*v282*/, 0xc05000c
	v_perm_b32 v239, v24 /*v280*/, v24 /*v280*/, 0xc0c0c01
	s_set_vgpr_msb 0                        ;  msbs: dst=0 src0=0 src1=0 src2=0
	v_dot4_i32_iu8 v4, v223, v207, v4 neg_lo:[1,1,0]
	v_dot4_i32_iu8 v5, v230, v211, v5 neg_lo:[1,1,0]
	s_delay_alu instid0(VALU_DEP_3) | instskip(SKIP_1) | instid1(VALU_DEP_3)
	v_or_b32_e32 v247, v227, v239
	s_set_vgpr_msb 4                        ;  msbs: dst=0 src0=0 src1=1 src2=0
	v_mad_i32_i24 v4, v205, v33 /*v289*/, v4
	s_set_vgpr_msb 1                        ;  msbs: dst=0 src0=1 src1=0 src2=0
	v_mad_i32_i24 v5, v47 /*v303*/, v212, v5
	s_set_vgpr_msb 4                        ;  msbs: dst=0 src0=0 src1=1 src2=0
	s_delay_alu instid0(VALU_DEP_2) | instskip(SKIP_1) | instid1(VALU_DEP_2)
	v_dot4_i32_iu8 v4, v236, v50 /*v306*/, v4 neg_lo:[1,1,0]
	s_set_vgpr_msb 0                        ;  msbs: dst=0 src0=0 src1=0 src2=0
	v_dot4_i32_iu8 v5, v231, v217, v5 neg_lo:[1,1,0]
	s_set_vgpr_msb 4                        ;  msbs: dst=0 src0=0 src1=1 src2=0
	s_delay_alu instid0(VALU_DEP_2) | instskip(NEXT) | instid1(VALU_DEP_2)
	v_mad_i32_i24 v4, v206, v35 /*v291*/, v4
	v_mad_i32_i24 v5, v213, v48 /*v304*/, v5
	s_set_vgpr_msb 0                        ;  msbs: dst=0 src0=0 src1=0 src2=0
	s_delay_alu instid0(VALU_DEP_2) | instskip(NEXT) | instid1(VALU_DEP_2)
	v_dot4_i32_iu8 v4, v237, v226, v4 neg_lo:[1,1,0]
	v_dot4_i32_iu8 v5, v244, v232, v5 neg_lo:[1,1,0]
	s_delay_alu instid0(VALU_DEP_2) | instskip(SKIP_1) | instid1(VALU_DEP_2)
	v_mul_lo_u32 v4, v4, v208
	s_set_vgpr_msb 4                        ;  msbs: dst=0 src0=0 src1=1 src2=0
	v_mad_i32_i24 v5, v214, v49 /*v305*/, v5
	s_set_vgpr_msb 0                        ;  msbs: dst=0 src0=0 src1=0 src2=0
	s_delay_alu instid0(VALU_DEP_1) | instskip(NEXT) | instid1(VALU_DEP_1)
	v_dot4_i32_iu8 v5, v247, v234, v5 neg_lo:[1,1,0]
	v_mad_u32 v4, v5, v221, v4
	v_mul_f32_e32 v5, v200, v114
	s_delay_alu instid0(VALU_DEP_2) | instskip(NEXT) | instid1(VALU_DEP_1)
	v_cvt_f32_i32_e32 v4, v4
	v_mul_f32_e32 v239, v5, v4
	s_set_vgpr_msb 1                        ;  msbs: dst=0 src0=1 src1=0 src2=0
	v_mul_i32_i24_e32 v4, v14 /*v270*/, v216
	s_set_vgpr_msb 5                        ;  msbs: dst=0 src0=1 src1=1 src2=0
	v_perm_b32 v5, v15 /*v271*/, v16 /*v272*/, 0xc05000c
	v_perm_b32 v216, v12 /*v268*/, v12 /*v268*/, 0xc0c0c01
	s_set_vgpr_msb 0                        ;  msbs: dst=0 src0=0 src1=0 src2=0
	v_pk_add_f32 v[42:43], v[42:43], v[238:239]
	s_set_vgpr_msb 1                        ;  msbs: dst=0 src0=1 src1=0 src2=0
	v_mad_i32_i24 v4, v3 /*v259*/, v218, v4
	s_set_vgpr_msb 5                        ;  msbs: dst=0 src0=1 src1=1 src2=0
	v_perm_b32 v218, v34 /*v290*/, v34 /*v290*/, 0xc0c0c01
	s_set_vgpr_msb 0                        ;  msbs: dst=0 src0=0 src1=0 src2=0
	v_or_b32_e32 v238, v5, v216
	s_set_vgpr_msb 5                        ;  msbs: dst=0 src0=1 src1=1 src2=0
	v_mul_i32_i24_e32 v5, v20 /*v276*/, v36 /*v292*/
	v_perm_b32 v216, v37 /*v293*/, v38 /*v294*/, 0xc05000c
	s_set_vgpr_msb 1                        ;  msbs: dst=0 src0=1 src1=0 src2=0
	v_dot4_i32_iu8 v4, v4 /*v260*/, v222, v4 neg_lo:[1,1,0]
	s_set_vgpr_msb 5                        ;  msbs: dst=0 src0=1 src1=1 src2=0
	v_mad_i32_i24 v5, v17 /*v273*/, v39 /*v295*/, v5
	s_set_vgpr_msb 0                        ;  msbs: dst=0 src0=0 src1=0 src2=0
	s_delay_alu instid0(VALU_DEP_2) | instskip(NEXT) | instid1(VALU_DEP_2)
	v_mad_i32_i24 v4, v245, v219, v4
	v_dot4_i32_iu8 v5, v220, v230, v5 neg_lo:[1,1,0]
	v_or_b32_e32 v230, v216, v218
	s_set_vgpr_msb 1                        ;  msbs: dst=0 src0=1 src1=0 src2=0
	ds_load_u16 v216, v46 /*v302*/
	s_set_vgpr_msb 0                        ;  msbs: dst=0 src0=0 src1=0 src2=0
	v_dot4_i32_iu8 v4, v238, v223, v4 neg_lo:[1,1,0]
	s_set_vgpr_msb 4                        ;  msbs: dst=0 src0=0 src1=1 src2=0
	v_mad_i32_i24 v5, v246, v47 /*v303*/, v5
	s_set_vgpr_msb 5                        ;  msbs: dst=0 src0=1 src1=1 src2=0
	s_delay_alu instid0(VALU_DEP_2) | instskip(SKIP_1) | instid1(VALU_DEP_2)
	v_mad_i32_i24 v4, v33 /*v289*/, v13 /*v269*/, v4
	s_set_vgpr_msb 0                        ;  msbs: dst=0 src0=0 src1=0 src2=0
	v_dot4_i32_iu8 v5, v230, v231, v5 neg_lo:[1,1,0]
	s_set_vgpr_msb 5                        ;  msbs: dst=0 src0=1 src1=1 src2=0
	v_bfe_i32 v231, v45 /*v301*/, 0, 8
	s_delay_alu instid0(VALU_DEP_2)
	v_mad_i32_i24 v5, v48 /*v304*/, v32 /*v288*/, v5
	s_wait_dscnt 0x0
	s_set_vgpr_msb 0                        ;  msbs: dst=0 src0=0 src1=0 src2=0
	v_lshrrev_b16 v218, 8, v216
	v_bfe_i32 v248, v216, 0, 8
	s_set_vgpr_msb 5                        ;  msbs: dst=0 src0=1 src1=1 src2=0
	v_perm_b32 v216, v19 /*v275*/, v18 /*v274*/, 0xc0c0401
	s_set_vgpr_msb 0                        ;  msbs: dst=0 src0=0 src1=0 src2=0
	v_bfe_i32 v239, v218, 0, 8
	v_perm_b32 v218, v224, v224, 0xc0c0201
	s_delay_alu instid0(VALU_DEP_1) | instskip(SKIP_4) | instid1(VALU_DEP_1)
	v_dot4_i32_iu8 v4, v218, v216, v4 neg_lo:[1,1,0]
	s_set_vgpr_msb 5                        ;  msbs: dst=0 src0=1 src1=1 src2=0
	v_perm_b32 v216, v41 /*v297*/, v40 /*v296*/, 0xc05000c
	v_perm_b32 v218, v11 /*v267*/, v11 /*v267*/, 0xc0c0c01
	s_set_vgpr_msb 0                        ;  msbs: dst=0 src0=0 src1=0 src2=0
	v_or_b32_e32 v249, v216, v218
	s_delay_alu instid0(VALU_DEP_1) | instskip(SKIP_1) | instid1(VALU_DEP_2)
	v_dot4_i32_iu8 v6, v6, v249, v215 neg_lo:[1,1,0]
	v_perm_b32 v215, v225, v224, 0xc0c0403
	v_mad_i32_i24 v6, v199, v231, v6
	s_set_vgpr_msb 5                        ;  msbs: dst=0 src0=1 src1=1 src2=0
	v_perm_b32 v199, v31 /*v287*/, v27 /*v283*/, 0xc0c0401
	s_set_vgpr_msb 0                        ;  msbs: dst=0 src0=0 src1=0 src2=0
	s_delay_alu instid0(VALU_DEP_1) | instskip(SKIP_4) | instid1(VALU_DEP_1)
	v_dot4_i32_iu8 v4, v215, v199, v4 neg_lo:[1,1,0]
	s_set_vgpr_msb 5                        ;  msbs: dst=0 src0=1 src1=1 src2=0
	v_perm_b32 v199, v28 /*v284*/, v29 /*v285*/, 0xc05000c
	v_perm_b32 v215, v30 /*v286*/, v30 /*v286*/, 0xc0c0c01
	s_set_vgpr_msb 0                        ;  msbs: dst=0 src0=0 src1=0 src2=0
	v_or_b32_e32 v199, v199, v215
	s_set_vgpr_msb 5                        ;  msbs: dst=0 src0=1 src1=1 src2=0
	v_perm_b32 v215, v42 /*v298*/, v42 /*v298*/, 0xc0c0c01
	s_set_vgpr_msb 0                        ;  msbs: dst=0 src0=0 src1=0 src2=0
	s_delay_alu instid0(VALU_DEP_2) | instskip(SKIP_3) | instid1(VALU_DEP_2)
	v_dot4_i32_iu8 v4, v226, v199, v4 neg_lo:[1,1,0]
	s_set_vgpr_msb 5                        ;  msbs: dst=0 src0=1 src1=1 src2=0
	v_perm_b32 v199, v43 /*v299*/, v44 /*v300*/, 0xc05000c
	s_set_vgpr_msb 0                        ;  msbs: dst=0 src0=0 src1=0 src2=0
	v_mul_lo_u32 v4, v4, v248
	s_delay_alu instid0(VALU_DEP_2) | instskip(SKIP_3) | instid1(VALU_DEP_2)
	v_or_b32_e32 v199, v199, v215
	s_set_vgpr_msb 5                        ;  msbs: dst=0 src0=1 src1=1 src2=0
	v_perm_b32 v215, v18 /*v274*/, v18 /*v274*/, 0xc0c0c01
	s_set_vgpr_msb 0                        ;  msbs: dst=0 src0=0 src1=0 src2=0
	v_dot4_i32_iu8 v6, v7, v199, v6 neg_lo:[1,1,0]
	s_set_vgpr_msb 5                        ;  msbs: dst=0 src0=1 src1=1 src2=0
	v_perm_b32 v7, v27 /*v283*/, v19 /*v275*/, 0xc05000c
	s_set_vgpr_msb 0                        ;  msbs: dst=0 src0=0 src1=0 src2=0
	s_delay_alu instid0(VALU_DEP_2) | instskip(NEXT) | instid1(VALU_DEP_2)
	v_mul_lo_u32 v6, v6, v239
	v_or_b32_e32 v215, v7, v215
	s_set_vgpr_msb 5                        ;  msbs: dst=0 src0=1 src1=1 src2=0
	v_perm_b32 v7, v28 /*v284*/, v29 /*v285*/, 0x5000c0c
	s_set_vgpr_msb 0                        ;  msbs: dst=0 src0=0 src1=0 src2=0
	s_delay_alu instid0(VALU_DEP_2) | instskip(SKIP_4) | instid1(VALU_DEP_2)
	v_dot4_i32_iu8 v1, v2, v215, v1 neg_lo:[1,1,0]
	v_dot4_i32_iu8 v2, v232, v249, v5 neg_lo:[1,1,0]
	s_set_vgpr_msb 5                        ;  msbs: dst=0 src0=1 src1=1 src2=0
	v_perm_b32 v5, v30 /*v286*/, v31 /*v287*/, 0xc0c0500
	s_set_vgpr_msb 1                        ;  msbs: dst=0 src0=1 src1=0 src2=0
	v_mad_i32_i24 v2, v49 /*v305*/, v231, v2
	s_set_vgpr_msb 0                        ;  msbs: dst=0 src0=0 src1=0 src2=0
	s_delay_alu instid0(VALU_DEP_2) | instskip(NEXT) | instid1(VALU_DEP_2)
	v_or_b32_e32 v232, v7, v5
	v_dot4_i32_iu8 v2, v234, v199, v2 neg_lo:[1,1,0]
	s_delay_alu instid0(VALU_DEP_2) | instskip(NEXT) | instid1(VALU_DEP_2)
	v_dot4_i32_iu8 v1, v3, v232, v1 neg_lo:[1,1,0]
	v_mad_u32 v4, v2, v239, v4
	s_delay_alu instid0(VALU_DEP_2) | instskip(NEXT) | instid1(VALU_DEP_2)
	v_mad_u32 v1, v1, v248, v6
	v_cvt_f32_i32_e32 v4, v4
	s_delay_alu instid0(VALU_DEP_2) | instskip(SKIP_2) | instid1(VALU_DEP_2)
	v_pk_mul_f32 v[2:3], v[0:1], v[114:115] op_sel_hi:[0,1]
	v_cvt_f32_i32_e32 v5, v1
	v_or_b32_e32 v1, s18, v124
	v_pk_fma_f32 v[40:41], v[2:3], v[4:5], v[40:41]
	s_delay_alu instid0(VALU_DEP_2)
	v_dual_lshlrev_b32 v6, 2, v1 :: v_dual_lshrrev_b32 v1, 1, v1
	ds_load_b32 v1, v1 offset:38816
	ds_load_b128 v[2:5], v6 offset:25344
	ds_load_b128 v[222:225], v6 offset:25360
	s_wait_dscnt 0x1
	v_bfe_i32 v7, v2, 0, 8
	v_bfe_i32 v115, v2, 8, 8
	v_perm_b32 v2, v2, v2, 0xc0c0302
	v_bfe_i32 v216, v3, 0, 8
	v_perm_b32 v3, v3, v3, 0xc030201
	;; [unrolled: 2-line block ×4, first 2 shown]
	s_wait_dscnt 0x0
	v_bfe_i32 v226, v222, 0, 8
	v_bfe_i32 v227, v222, 8, 8
	v_perm_b32 v222, v222, v222, 0xc0c0302
	v_bfe_i32 v234, v223, 0, 8
	v_perm_b32 v223, v223, v223, 0xc030201
	;; [unrolled: 2-line block ×4, first 2 shown]
	v_mul_i32_i24_e32 v6, v7, v166
	v_mul_i32_i24_e32 v114, v226, v174
	;; [unrolled: 1-line block ×3, first 2 shown]
	s_delay_alu instid0(VALU_DEP_3) | instskip(NEXT) | instid1(VALU_DEP_3)
	v_mad_i32_i24 v6, v115, v167, v6
	v_mad_i32_i24 v114, v227, v175, v114
	s_delay_alu instid0(VALU_DEP_3) | instskip(NEXT) | instid1(VALU_DEP_3)
	v_mad_i32_i24 v253, v227, v192, v253
	v_dot4_i32_iu8 v6, v2, v168, v6 neg_lo:[1,1,0]
	s_delay_alu instid0(VALU_DEP_3) | instskip(NEXT) | instid1(VALU_DEP_3)
	v_dot4_i32_iu8 v114, v222, v176, v114 neg_lo:[1,1,0]
	v_dot4_i32_iu8 v253, v222, v193, v253 neg_lo:[1,1,0]
	s_delay_alu instid0(VALU_DEP_3) | instskip(NEXT) | instid1(VALU_DEP_3)
	v_mad_i32_i24 v6, v216, v170, v6
	v_mad_i32_i24 v114, v234, v178, v114
	s_delay_alu instid0(VALU_DEP_3) | instskip(NEXT) | instid1(VALU_DEP_3)
	v_mad_i32_i24 v253, v234, v194, v253
	v_dot4_i32_iu8 v6, v3, v172, v6 neg_lo:[1,1,0]
	s_delay_alu instid0(VALU_DEP_3) | instskip(NEXT) | instid1(VALU_DEP_3)
	v_dot4_i32_iu8 v114, v223, v180, v114 neg_lo:[1,1,0]
	v_dot4_i32_iu8 v253, v223, v197, v253 neg_lo:[1,1,0]
	;; [unrolled: 9-line block ×4, first 2 shown]
	s_delay_alu instid0(VALU_DEP_3) | instskip(NEXT) | instid1(VALU_DEP_1)
	v_mul_lo_u32 v6, v6, v173
	v_mad_u32 v6, v114, v181, v6
	v_mul_f32_e32 v114, v165, v1
	s_delay_alu instid0(VALU_DEP_2) | instskip(NEXT) | instid1(VALU_DEP_1)
	v_cvt_f32_i32_e32 v6, v6
	v_mul_f32_e32 v6, v114, v6
	v_mul_i32_i24_e32 v114, v7, v183
	s_delay_alu instid0(VALU_DEP_1) | instskip(NEXT) | instid1(VALU_DEP_1)
	v_mad_i32_i24 v114, v115, v184, v114
	v_dot4_i32_iu8 v114, v2, v185, v114 neg_lo:[1,1,0]
	s_delay_alu instid0(VALU_DEP_1) | instskip(NEXT) | instid1(VALU_DEP_1)
	v_mad_i32_i24 v114, v216, v186, v114
	v_dot4_i32_iu8 v114, v3, v189, v114 neg_lo:[1,1,0]
	;; [unrolled: 3-line block ×4, first 2 shown]
	s_delay_alu instid0(VALU_DEP_1) | instskip(NEXT) | instid1(VALU_DEP_1)
	v_mul_lo_u32 v114, v114, v190
	v_mad_u32 v114, v253, v198, v114
	v_mul_f32_e32 v253, v182, v1
	s_delay_alu instid0(VALU_DEP_2) | instskip(NEXT) | instid1(VALU_DEP_1)
	v_cvt_f32_i32_e32 v114, v114
	v_mul_f32_e32 v114, v253, v114
	v_mul_i32_i24_e32 v253, v7, v201
	s_set_vgpr_msb 1                        ;  msbs: dst=0 src0=1 src1=0 src2=0
	v_mul_i32_i24_e32 v7, v14 /*v270*/, v7
	s_set_vgpr_msb 0                        ;  msbs: dst=0 src0=0 src1=0 src2=0
	s_delay_alu instid0(VALU_DEP_2) | instskip(SKIP_1) | instid1(VALU_DEP_2)
	v_mad_i32_i24 v253, v115, v202, v253
	s_set_vgpr_msb 1                        ;  msbs: dst=0 src0=1 src1=0 src2=0
	v_mad_i32_i24 v7, v3 /*v259*/, v115, v7
	s_set_vgpr_msb 0                        ;  msbs: dst=0 src0=0 src1=0 src2=0
	s_delay_alu instid0(VALU_DEP_2) | instskip(SKIP_1) | instid1(VALU_DEP_2)
	v_dot4_i32_iu8 v253, v2, v203, v253 neg_lo:[1,1,0]
	s_set_vgpr_msb 1                        ;  msbs: dst=0 src0=1 src1=0 src2=0
	v_dot4_i32_iu8 v2, v4 /*v260*/, v2, v7 neg_lo:[1,1,0]
	s_set_vgpr_msb 0                        ;  msbs: dst=0 src0=0 src1=0 src2=0
	s_delay_alu instid0(VALU_DEP_2) | instskip(NEXT) | instid1(VALU_DEP_2)
	v_mad_i32_i24 v253, v216, v204, v253
	v_mad_i32_i24 v2, v245, v216, v2
	s_delay_alu instid0(VALU_DEP_2) | instskip(NEXT) | instid1(VALU_DEP_2)
	v_dot4_i32_iu8 v253, v3, v207, v253 neg_lo:[1,1,0]
	v_dot4_i32_iu8 v2, v238, v3, v2 neg_lo:[1,1,0]
	s_set_vgpr_msb 1                        ;  msbs: dst=0 src0=1 src1=0 src2=0
	v_mul_i32_i24_e32 v3, v20 /*v276*/, v226
	s_set_vgpr_msb 0                        ;  msbs: dst=0 src0=0 src1=0 src2=0
	v_mad_i32_i24 v253, v205, v219, v253
	s_set_vgpr_msb 4                        ;  msbs: dst=0 src0=0 src1=1 src2=0
	v_mad_i32_i24 v2, v219, v13 /*v269*/, v2
	s_set_vgpr_msb 1                        ;  msbs: dst=0 src0=1 src1=0 src2=0
	v_mad_i32_i24 v3, v17 /*v273*/, v227, v3
	s_set_vgpr_msb 0                        ;  msbs: dst=0 src0=0 src1=0 src2=0
	v_dot4_i32_iu8 v253, v236, v4, v253 neg_lo:[1,1,0]
	v_dot4_i32_iu8 v2, v4, v215, v2 neg_lo:[1,1,0]
	s_delay_alu instid0(VALU_DEP_3) | instskip(NEXT) | instid1(VALU_DEP_3)
	v_dot4_i32_iu8 v3, v220, v222, v3 neg_lo:[1,1,0]
	v_mad_i32_i24 v218, v206, v218, v253
	s_delay_alu instid0(VALU_DEP_3) | instskip(NEXT) | instid1(VALU_DEP_3)
	v_dot4_i32_iu8 v2, v232, v5, v2 neg_lo:[1,1,0]
	v_mad_i32_i24 v3, v246, v234, v3
	s_delay_alu instid0(VALU_DEP_3) | instskip(SKIP_1) | instid1(VALU_DEP_3)
	v_dot4_i32_iu8 v218, v237, v252, v218 neg_lo:[1,1,0]
	v_mul_i32_i24_e32 v252, v226, v209
	v_dot4_i32_iu8 v3, v230, v223, v3 neg_lo:[1,1,0]
	v_mul_lo_u32 v2, v2, v248
	s_delay_alu instid0(VALU_DEP_4) | instskip(NEXT) | instid1(VALU_DEP_4)
	v_mul_lo_u32 v218, v218, v208
	v_mad_i32_i24 v252, v227, v210, v252
	s_set_vgpr_msb 4                        ;  msbs: dst=0 src0=0 src1=1 src2=0
	v_mad_i32_i24 v3, v250, v32 /*v288*/, v3
	s_set_vgpr_msb 0                        ;  msbs: dst=0 src0=0 src1=0 src2=0
	s_delay_alu instid0(VALU_DEP_2) | instskip(NEXT) | instid1(VALU_DEP_2)
	v_dot4_i32_iu8 v252, v222, v211, v252 neg_lo:[1,1,0]
	v_dot4_i32_iu8 v3, v224, v249, v3 neg_lo:[1,1,0]
	s_delay_alu instid0(VALU_DEP_2) | instskip(NEXT) | instid1(VALU_DEP_2)
	v_mad_i32_i24 v252, v234, v212, v252
	v_mad_i32_i24 v3, v231, v251, v3
	s_delay_alu instid0(VALU_DEP_2) | instskip(NEXT) | instid1(VALU_DEP_2)
	v_dot4_i32_iu8 v252, v223, v217, v252 neg_lo:[1,1,0]
	v_dot4_i32_iu8 v3, v199, v225, v3 neg_lo:[1,1,0]
	s_delay_alu instid0(VALU_DEP_2) | instskip(NEXT) | instid1(VALU_DEP_2)
	v_mad_i32_i24 v252, v213, v250, v252
	v_mad_u32 v2, v3, v239, v2
	s_delay_alu instid0(VALU_DEP_2) | instskip(NEXT) | instid1(VALU_DEP_1)
	v_dot4_i32_iu8 v252, v244, v224, v252 neg_lo:[1,1,0]
	v_mad_i32_i24 v252, v214, v251, v252
	s_delay_alu instid0(VALU_DEP_3) | instskip(NEXT) | instid1(VALU_DEP_2)
	v_cvt_f32_i32_e32 v2, v2
	v_dot4_i32_iu8 v252, v247, v225, v252 neg_lo:[1,1,0]
	s_delay_alu instid0(VALU_DEP_1) | instskip(SKIP_2) | instid1(VALU_DEP_1)
	v_mad_u32 v218, v252, v221, v218
	v_mul_f32_e32 v252, v200, v1
	v_mul_f32_e32 v1, v0, v1
	v_dual_mul_f32 v226, v1, v2 :: v_dual_bitop2_b32 v1, s18, v125 bitop3:0x54
	s_delay_alu instid0(VALU_DEP_4) | instskip(NEXT) | instid1(VALU_DEP_2)
	v_cvt_f32_i32_e32 v218, v218
	v_dual_lshlrev_b32 v7, 2, v1 :: v_dual_lshrrev_b32 v1, 1, v1
	ds_load_b32 v1, v1 offset:38816
	ds_load_b128 v[2:5], v7 offset:25344
	ds_load_b128 v[222:225], v7 offset:25360
	v_mul_f32_e32 v218, v252, v218
	s_wait_dscnt 0x1
	v_bfe_i32 v216, v2, 0, 8
	v_bfe_i32 v227, v2, 8, 8
	v_perm_b32 v2, v2, v2, 0xc0c0302
	v_bfe_i32 v234, v3, 0, 8
	v_perm_b32 v3, v3, v3, 0xc030201
	;; [unrolled: 2-line block ×3, first 2 shown]
	v_bfe_i32 v219, v5, 0, 8
	s_set_vgpr_msb 64                       ;  msbs: dst=1 src0=0 src1=0 src2=0
	v_perm_b32 v0 /*v256*/, v5, v5, 0xc030201
	s_wait_dscnt 0x0
	s_set_vgpr_msb 0                        ;  msbs: dst=0 src0=0 src1=0 src2=0
	v_bfe_i32 v251, v222, 0, 8
	v_bfe_i32 v252, v222, 8, 8
	v_perm_b32 v222, v222, v222, 0xc0c0302
	v_bfe_i32 v253, v223, 0, 8
	v_perm_b32 v223, v223, v223, 0xc030201
	;; [unrolled: 2-line block ×4, first 2 shown]
	v_mul_i32_i24_e32 v7, v216, v166
	v_mul_i32_i24_e32 v115, v251, v174
	s_delay_alu instid0(VALU_DEP_2) | instskip(NEXT) | instid1(VALU_DEP_2)
	v_mad_i32_i24 v7, v227, v167, v7
	v_mad_i32_i24 v115, v252, v175, v115
	s_delay_alu instid0(VALU_DEP_2) | instskip(NEXT) | instid1(VALU_DEP_2)
	v_dot4_i32_iu8 v7, v2, v168, v7 neg_lo:[1,1,0]
	v_dot4_i32_iu8 v115, v222, v176, v115 neg_lo:[1,1,0]
	s_delay_alu instid0(VALU_DEP_2) | instskip(NEXT) | instid1(VALU_DEP_2)
	v_mad_i32_i24 v7, v234, v170, v7
	v_mad_i32_i24 v115, v253, v178, v115
	s_delay_alu instid0(VALU_DEP_2) | instskip(NEXT) | instid1(VALU_DEP_2)
	v_dot4_i32_iu8 v7, v3, v172, v7 neg_lo:[1,1,0]
	v_dot4_i32_iu8 v115, v223, v180, v115 neg_lo:[1,1,0]
	;; [unrolled: 6-line block ×3, first 2 shown]
	s_delay_alu instid0(VALU_DEP_2) | instskip(NEXT) | instid1(VALU_DEP_2)
	v_mad_i32_i24 v7, v171, v219, v7
	v_mad_i32_i24 v115, v179, v255, v115
	s_set_vgpr_msb 4                        ;  msbs: dst=0 src0=0 src1=1 src2=0
	s_delay_alu instid0(VALU_DEP_2) | instskip(SKIP_1) | instid1(VALU_DEP_2)
	v_dot4_i32_iu8 v7, v229, v0 /*v256*/, v7 neg_lo:[1,1,0]
	s_set_vgpr_msb 0                        ;  msbs: dst=0 src0=0 src1=0 src2=0
	v_dot4_i32_iu8 v115, v235, v225, v115 neg_lo:[1,1,0]
	s_delay_alu instid0(VALU_DEP_2) | instskip(NEXT) | instid1(VALU_DEP_1)
	v_mul_lo_u32 v7, v7, v173
	v_mad_u32 v7, v115, v181, v7
	v_mul_f32_e32 v115, v165, v1
	s_delay_alu instid0(VALU_DEP_2) | instskip(NEXT) | instid1(VALU_DEP_1)
	v_cvt_f32_i32_e32 v7, v7
	v_mul_f32_e32 v7, v115, v7
	s_delay_alu instid0(VALU_DEP_1) | instskip(SKIP_2) | instid1(VALU_DEP_2)
	v_pk_add_f32 v[36:37], v[36:37], v[6:7]
	v_mul_i32_i24_e32 v6, v216, v183
	v_mul_i32_i24_e32 v7, v251, v191
	v_mad_i32_i24 v6, v227, v184, v6
	s_delay_alu instid0(VALU_DEP_2) | instskip(NEXT) | instid1(VALU_DEP_2)
	v_mad_i32_i24 v7, v252, v192, v7
	v_dot4_i32_iu8 v6, v2, v185, v6 neg_lo:[1,1,0]
	s_delay_alu instid0(VALU_DEP_2) | instskip(NEXT) | instid1(VALU_DEP_2)
	v_dot4_i32_iu8 v7, v222, v193, v7 neg_lo:[1,1,0]
	v_mad_i32_i24 v6, v234, v186, v6
	s_delay_alu instid0(VALU_DEP_2) | instskip(NEXT) | instid1(VALU_DEP_2)
	v_mad_i32_i24 v7, v253, v194, v7
	v_dot4_i32_iu8 v6, v3, v189, v6 neg_lo:[1,1,0]
	s_delay_alu instid0(VALU_DEP_2) | instskip(NEXT) | instid1(VALU_DEP_2)
	v_dot4_i32_iu8 v7, v223, v197, v7 neg_lo:[1,1,0]
	;; [unrolled: 6-line block ×3, first 2 shown]
	v_mad_i32_i24 v6, v188, v219, v6
	s_delay_alu instid0(VALU_DEP_2) | instskip(SKIP_1) | instid1(VALU_DEP_2)
	v_mad_i32_i24 v7, v196, v255, v7
	s_set_vgpr_msb 4                        ;  msbs: dst=0 src0=0 src1=1 src2=0
	v_dot4_i32_iu8 v6, v241, v0 /*v256*/, v6 neg_lo:[1,1,0]
	s_set_vgpr_msb 0                        ;  msbs: dst=0 src0=0 src1=0 src2=0
	s_delay_alu instid0(VALU_DEP_2) | instskip(NEXT) | instid1(VALU_DEP_2)
	v_dot4_i32_iu8 v7, v243, v225, v7 neg_lo:[1,1,0]
	v_mul_lo_u32 v6, v6, v190
	s_delay_alu instid0(VALU_DEP_1) | instskip(SKIP_1) | instid1(VALU_DEP_2)
	v_mad_u32 v6, v7, v198, v6
	v_mul_f32_e32 v7, v182, v1
	v_cvt_f32_i32_e32 v6, v6
	s_delay_alu instid0(VALU_DEP_1) | instskip(SKIP_2) | instid1(VALU_DEP_3)
	v_mul_f32_e32 v115, v7, v6
	v_mul_i32_i24_e32 v6, v216, v201
	v_mul_i32_i24_e32 v7, v251, v209
	v_pk_add_f32 v[34:35], v[34:35], v[114:115]
	s_delay_alu instid0(VALU_DEP_3) | instskip(NEXT) | instid1(VALU_DEP_3)
	v_mad_i32_i24 v6, v227, v202, v6
	v_mad_i32_i24 v7, v252, v210, v7
	s_delay_alu instid0(VALU_DEP_2) | instskip(NEXT) | instid1(VALU_DEP_2)
	v_dot4_i32_iu8 v6, v2, v203, v6 neg_lo:[1,1,0]
	v_dot4_i32_iu8 v7, v222, v211, v7 neg_lo:[1,1,0]
	s_delay_alu instid0(VALU_DEP_2) | instskip(NEXT) | instid1(VALU_DEP_2)
	v_mad_i32_i24 v6, v234, v204, v6
	v_mad_i32_i24 v7, v253, v212, v7
	s_delay_alu instid0(VALU_DEP_2) | instskip(NEXT) | instid1(VALU_DEP_2)
	v_dot4_i32_iu8 v6, v3, v207, v6 neg_lo:[1,1,0]
	v_dot4_i32_iu8 v7, v223, v217, v7 neg_lo:[1,1,0]
	s_delay_alu instid0(VALU_DEP_2) | instskip(NEXT) | instid1(VALU_DEP_2)
	;; [unrolled: 6-line block ×3, first 2 shown]
	v_mad_i32_i24 v6, v206, v219, v6
	v_mad_i32_i24 v7, v214, v255, v7
	s_set_vgpr_msb 4                        ;  msbs: dst=0 src0=0 src1=1 src2=0
	s_delay_alu instid0(VALU_DEP_2) | instskip(SKIP_1) | instid1(VALU_DEP_2)
	v_dot4_i32_iu8 v6, v237, v0 /*v256*/, v6 neg_lo:[1,1,0]
	s_set_vgpr_msb 0                        ;  msbs: dst=0 src0=0 src1=0 src2=0
	v_dot4_i32_iu8 v7, v247, v225, v7 neg_lo:[1,1,0]
	s_delay_alu instid0(VALU_DEP_2) | instskip(NEXT) | instid1(VALU_DEP_1)
	v_mul_lo_u32 v6, v6, v208
	v_mad_u32 v6, v7, v221, v6
	v_mul_f32_e32 v7, v200, v1
	v_mul_f32_e32 v1, v0, v1
	s_delay_alu instid0(VALU_DEP_3) | instskip(NEXT) | instid1(VALU_DEP_1)
	v_cvt_f32_i32_e32 v6, v6
	v_mul_f32_e32 v219, v7, v6
	s_set_vgpr_msb 1                        ;  msbs: dst=0 src0=1 src1=0 src2=0
	v_mul_i32_i24_e32 v6, v14 /*v270*/, v216
	s_set_vgpr_msb 0                        ;  msbs: dst=0 src0=0 src1=0 src2=0
	s_delay_alu instid0(VALU_DEP_2) | instskip(SKIP_1) | instid1(VALU_DEP_2)
	v_pk_add_f32 v[32:33], v[32:33], v[218:219]
	s_set_vgpr_msb 1                        ;  msbs: dst=0 src0=1 src1=0 src2=0
	v_mad_i32_i24 v6, v3 /*v259*/, v227, v6
	s_delay_alu instid0(VALU_DEP_1) | instskip(SKIP_1) | instid1(VALU_DEP_1)
	v_dot4_i32_iu8 v2, v4 /*v260*/, v2, v6 neg_lo:[1,1,0]
	s_set_vgpr_msb 0                        ;  msbs: dst=0 src0=0 src1=0 src2=0
	v_mad_i32_i24 v2, v245, v234, v2
	s_delay_alu instid0(VALU_DEP_1) | instskip(SKIP_3) | instid1(VALU_DEP_2)
	v_dot4_i32_iu8 v2, v238, v3, v2 neg_lo:[1,1,0]
	s_set_vgpr_msb 1                        ;  msbs: dst=0 src0=1 src1=0 src2=0
	v_mul_i32_i24_e32 v3, v20 /*v276*/, v251
	s_set_vgpr_msb 4                        ;  msbs: dst=0 src0=0 src1=1 src2=0
	v_mad_i32_i24 v2, v250, v13 /*v269*/, v2
	s_set_vgpr_msb 1                        ;  msbs: dst=0 src0=1 src1=0 src2=0
	s_delay_alu instid0(VALU_DEP_2) | instskip(SKIP_1) | instid1(VALU_DEP_2)
	v_mad_i32_i24 v3, v17 /*v273*/, v252, v3
	s_set_vgpr_msb 0                        ;  msbs: dst=0 src0=0 src1=0 src2=0
	v_dot4_i32_iu8 v2, v4, v215, v2 neg_lo:[1,1,0]
	s_delay_alu instid0(VALU_DEP_2) | instskip(NEXT) | instid1(VALU_DEP_2)
	v_dot4_i32_iu8 v3, v220, v222, v3 neg_lo:[1,1,0]
	v_dot4_i32_iu8 v2, v232, v5, v2 neg_lo:[1,1,0]
	s_delay_alu instid0(VALU_DEP_2) | instskip(NEXT) | instid1(VALU_DEP_2)
	v_mad_i32_i24 v3, v246, v253, v3
	v_mul_lo_u32 v2, v2, v248
	s_delay_alu instid0(VALU_DEP_2) | instskip(SKIP_1) | instid1(VALU_DEP_1)
	v_dot4_i32_iu8 v3, v230, v223, v3 neg_lo:[1,1,0]
	s_set_vgpr_msb 4                        ;  msbs: dst=0 src0=0 src1=1 src2=0
	v_mad_i32_i24 v3, v254, v32 /*v288*/, v3
	s_set_vgpr_msb 0                        ;  msbs: dst=0 src0=0 src1=0 src2=0
	s_delay_alu instid0(VALU_DEP_1) | instskip(NEXT) | instid1(VALU_DEP_1)
	v_dot4_i32_iu8 v3, v224, v249, v3 neg_lo:[1,1,0]
	v_mad_i32_i24 v3, v231, v255, v3
	s_delay_alu instid0(VALU_DEP_1) | instskip(NEXT) | instid1(VALU_DEP_1)
	v_dot4_i32_iu8 v3, v199, v225, v3 neg_lo:[1,1,0]
	v_mad_u32 v2, v3, v239, v2
	s_delay_alu instid0(VALU_DEP_1) | instskip(NEXT) | instid1(VALU_DEP_1)
	v_cvt_f32_i32_e32 v2, v2
	v_mul_f32_e32 v227, v1, v2
	v_or_b32_e32 v1, s18, v126
	s_delay_alu instid0(VALU_DEP_2) | instskip(NEXT) | instid1(VALU_DEP_2)
	v_pk_add_f32 v[30:31], v[30:31], v[226:227]
	v_dual_lshlrev_b32 v6, 2, v1 :: v_dual_lshrrev_b32 v1, 1, v1
	ds_load_b32 v1, v1 offset:38816
	ds_load_b128 v[2:5], v6 offset:25344
	ds_load_b128 v[222:225], v6 offset:25360
	s_wait_dscnt 0x1
	v_bfe_i32 v7, v2, 0, 8
	v_bfe_i32 v115, v2, 8, 8
	v_perm_b32 v2, v2, v2, 0xc0c0302
	v_bfe_i32 v216, v3, 0, 8
	v_perm_b32 v3, v3, v3, 0xc030201
	;; [unrolled: 2-line block ×4, first 2 shown]
	s_wait_dscnt 0x0
	v_bfe_i32 v226, v222, 0, 8
	v_bfe_i32 v227, v222, 8, 8
	v_perm_b32 v222, v222, v222, 0xc0c0302
	v_bfe_i32 v234, v223, 0, 8
	v_perm_b32 v223, v223, v223, 0xc030201
	;; [unrolled: 2-line block ×4, first 2 shown]
	v_mul_i32_i24_e32 v6, v7, v166
	v_mul_i32_i24_e32 v114, v226, v174
	;; [unrolled: 1-line block ×3, first 2 shown]
	s_delay_alu instid0(VALU_DEP_3) | instskip(NEXT) | instid1(VALU_DEP_3)
	v_mad_i32_i24 v6, v115, v167, v6
	v_mad_i32_i24 v114, v227, v175, v114
	s_delay_alu instid0(VALU_DEP_3) | instskip(NEXT) | instid1(VALU_DEP_3)
	v_mad_i32_i24 v253, v227, v192, v253
	v_dot4_i32_iu8 v6, v2, v168, v6 neg_lo:[1,1,0]
	s_delay_alu instid0(VALU_DEP_3) | instskip(NEXT) | instid1(VALU_DEP_3)
	v_dot4_i32_iu8 v114, v222, v176, v114 neg_lo:[1,1,0]
	v_dot4_i32_iu8 v253, v222, v193, v253 neg_lo:[1,1,0]
	s_delay_alu instid0(VALU_DEP_3) | instskip(NEXT) | instid1(VALU_DEP_3)
	v_mad_i32_i24 v6, v216, v170, v6
	v_mad_i32_i24 v114, v234, v178, v114
	s_delay_alu instid0(VALU_DEP_3) | instskip(NEXT) | instid1(VALU_DEP_3)
	v_mad_i32_i24 v253, v234, v194, v253
	v_dot4_i32_iu8 v6, v3, v172, v6 neg_lo:[1,1,0]
	s_delay_alu instid0(VALU_DEP_3) | instskip(NEXT) | instid1(VALU_DEP_3)
	v_dot4_i32_iu8 v114, v223, v180, v114 neg_lo:[1,1,0]
	v_dot4_i32_iu8 v253, v223, v197, v253 neg_lo:[1,1,0]
	;; [unrolled: 9-line block ×4, first 2 shown]
	s_delay_alu instid0(VALU_DEP_3) | instskip(NEXT) | instid1(VALU_DEP_1)
	v_mul_lo_u32 v6, v6, v173
	v_mad_u32 v6, v114, v181, v6
	v_mul_f32_e32 v114, v165, v1
	s_delay_alu instid0(VALU_DEP_2) | instskip(NEXT) | instid1(VALU_DEP_1)
	v_cvt_f32_i32_e32 v6, v6
	v_mul_f32_e32 v6, v114, v6
	v_mul_i32_i24_e32 v114, v7, v183
	s_delay_alu instid0(VALU_DEP_1) | instskip(NEXT) | instid1(VALU_DEP_1)
	v_mad_i32_i24 v114, v115, v184, v114
	v_dot4_i32_iu8 v114, v2, v185, v114 neg_lo:[1,1,0]
	s_delay_alu instid0(VALU_DEP_1) | instskip(NEXT) | instid1(VALU_DEP_1)
	v_mad_i32_i24 v114, v216, v186, v114
	v_dot4_i32_iu8 v114, v3, v189, v114 neg_lo:[1,1,0]
	;; [unrolled: 3-line block ×4, first 2 shown]
	s_delay_alu instid0(VALU_DEP_1) | instskip(NEXT) | instid1(VALU_DEP_1)
	v_mul_lo_u32 v114, v114, v190
	v_mad_u32 v114, v253, v198, v114
	v_mul_f32_e32 v253, v182, v1
	s_delay_alu instid0(VALU_DEP_2) | instskip(NEXT) | instid1(VALU_DEP_1)
	v_cvt_f32_i32_e32 v114, v114
	v_mul_f32_e32 v114, v253, v114
	v_mul_i32_i24_e32 v253, v7, v201
	s_set_vgpr_msb 1                        ;  msbs: dst=0 src0=1 src1=0 src2=0
	v_mul_i32_i24_e32 v7, v14 /*v270*/, v7
	s_set_vgpr_msb 0                        ;  msbs: dst=0 src0=0 src1=0 src2=0
	s_delay_alu instid0(VALU_DEP_2) | instskip(SKIP_1) | instid1(VALU_DEP_2)
	v_mad_i32_i24 v253, v115, v202, v253
	s_set_vgpr_msb 1                        ;  msbs: dst=0 src0=1 src1=0 src2=0
	v_mad_i32_i24 v7, v3 /*v259*/, v115, v7
	s_set_vgpr_msb 0                        ;  msbs: dst=0 src0=0 src1=0 src2=0
	s_delay_alu instid0(VALU_DEP_2) | instskip(SKIP_1) | instid1(VALU_DEP_2)
	v_dot4_i32_iu8 v253, v2, v203, v253 neg_lo:[1,1,0]
	s_set_vgpr_msb 1                        ;  msbs: dst=0 src0=1 src1=0 src2=0
	v_dot4_i32_iu8 v2, v4 /*v260*/, v2, v7 neg_lo:[1,1,0]
	s_set_vgpr_msb 0                        ;  msbs: dst=0 src0=0 src1=0 src2=0
	s_delay_alu instid0(VALU_DEP_2) | instskip(NEXT) | instid1(VALU_DEP_2)
	v_mad_i32_i24 v253, v216, v204, v253
	v_mad_i32_i24 v2, v245, v216, v2
	s_delay_alu instid0(VALU_DEP_2) | instskip(NEXT) | instid1(VALU_DEP_2)
	v_dot4_i32_iu8 v253, v3, v207, v253 neg_lo:[1,1,0]
	v_dot4_i32_iu8 v2, v238, v3, v2 neg_lo:[1,1,0]
	s_set_vgpr_msb 1                        ;  msbs: dst=0 src0=1 src1=0 src2=0
	v_mul_i32_i24_e32 v3, v20 /*v276*/, v226
	s_set_vgpr_msb 0                        ;  msbs: dst=0 src0=0 src1=0 src2=0
	v_mad_i32_i24 v253, v205, v219, v253
	s_set_vgpr_msb 4                        ;  msbs: dst=0 src0=0 src1=1 src2=0
	v_mad_i32_i24 v2, v219, v13 /*v269*/, v2
	s_set_vgpr_msb 1                        ;  msbs: dst=0 src0=1 src1=0 src2=0
	v_mad_i32_i24 v3, v17 /*v273*/, v227, v3
	s_set_vgpr_msb 0                        ;  msbs: dst=0 src0=0 src1=0 src2=0
	v_dot4_i32_iu8 v253, v236, v4, v253 neg_lo:[1,1,0]
	v_dot4_i32_iu8 v2, v4, v215, v2 neg_lo:[1,1,0]
	s_delay_alu instid0(VALU_DEP_3) | instskip(NEXT) | instid1(VALU_DEP_3)
	v_dot4_i32_iu8 v3, v220, v222, v3 neg_lo:[1,1,0]
	v_mad_i32_i24 v218, v206, v218, v253
	s_delay_alu instid0(VALU_DEP_3) | instskip(NEXT) | instid1(VALU_DEP_3)
	v_dot4_i32_iu8 v2, v232, v5, v2 neg_lo:[1,1,0]
	v_mad_i32_i24 v3, v246, v234, v3
	s_delay_alu instid0(VALU_DEP_3) | instskip(SKIP_1) | instid1(VALU_DEP_3)
	v_dot4_i32_iu8 v218, v237, v252, v218 neg_lo:[1,1,0]
	v_mul_i32_i24_e32 v252, v226, v209
	v_dot4_i32_iu8 v3, v230, v223, v3 neg_lo:[1,1,0]
	v_mul_lo_u32 v2, v2, v248
	s_delay_alu instid0(VALU_DEP_4) | instskip(NEXT) | instid1(VALU_DEP_4)
	v_mul_lo_u32 v218, v218, v208
	v_mad_i32_i24 v252, v227, v210, v252
	s_set_vgpr_msb 4                        ;  msbs: dst=0 src0=0 src1=1 src2=0
	v_mad_i32_i24 v3, v250, v32 /*v288*/, v3
	s_set_vgpr_msb 0                        ;  msbs: dst=0 src0=0 src1=0 src2=0
	s_delay_alu instid0(VALU_DEP_2) | instskip(NEXT) | instid1(VALU_DEP_2)
	v_dot4_i32_iu8 v252, v222, v211, v252 neg_lo:[1,1,0]
	v_dot4_i32_iu8 v3, v224, v249, v3 neg_lo:[1,1,0]
	s_delay_alu instid0(VALU_DEP_2) | instskip(NEXT) | instid1(VALU_DEP_2)
	v_mad_i32_i24 v252, v234, v212, v252
	v_mad_i32_i24 v3, v231, v251, v3
	s_delay_alu instid0(VALU_DEP_2) | instskip(NEXT) | instid1(VALU_DEP_2)
	v_dot4_i32_iu8 v252, v223, v217, v252 neg_lo:[1,1,0]
	v_dot4_i32_iu8 v3, v199, v225, v3 neg_lo:[1,1,0]
	s_delay_alu instid0(VALU_DEP_2) | instskip(NEXT) | instid1(VALU_DEP_2)
	v_mad_i32_i24 v252, v213, v250, v252
	v_mad_u32 v2, v3, v239, v2
	s_delay_alu instid0(VALU_DEP_2) | instskip(NEXT) | instid1(VALU_DEP_1)
	v_dot4_i32_iu8 v252, v244, v224, v252 neg_lo:[1,1,0]
	v_mad_i32_i24 v252, v214, v251, v252
	s_delay_alu instid0(VALU_DEP_3) | instskip(NEXT) | instid1(VALU_DEP_2)
	v_cvt_f32_i32_e32 v2, v2
	v_dot4_i32_iu8 v252, v247, v225, v252 neg_lo:[1,1,0]
	s_delay_alu instid0(VALU_DEP_1) | instskip(SKIP_2) | instid1(VALU_DEP_1)
	v_mad_u32 v218, v252, v221, v218
	v_mul_f32_e32 v252, v200, v1
	v_mul_f32_e32 v1, v0, v1
	v_dual_mul_f32 v226, v1, v2 :: v_dual_bitop2_b32 v1, s18, v127 bitop3:0x54
	s_delay_alu instid0(VALU_DEP_4) | instskip(NEXT) | instid1(VALU_DEP_2)
	v_cvt_f32_i32_e32 v218, v218
	v_dual_lshlrev_b32 v7, 2, v1 :: v_dual_lshrrev_b32 v1, 1, v1
	ds_load_b32 v1, v1 offset:38816
	ds_load_b128 v[2:5], v7 offset:25344
	ds_load_b128 v[222:225], v7 offset:25360
	v_mul_f32_e32 v218, v252, v218
	s_wait_dscnt 0x1
	v_bfe_i32 v216, v2, 0, 8
	v_bfe_i32 v227, v2, 8, 8
	v_perm_b32 v2, v2, v2, 0xc0c0302
	v_bfe_i32 v234, v3, 0, 8
	v_perm_b32 v3, v3, v3, 0xc030201
	v_bfe_i32 v250, v4, 0, 8
	v_perm_b32 v4, v4, v4, 0xc030201
	v_bfe_i32 v219, v5, 0, 8
	s_wait_dscnt 0x0
	v_bfe_i32 v251, v222, 0, 8
	v_bfe_i32 v252, v222, 8, 8
	v_perm_b32 v222, v222, v222, 0xc0c0302
	v_bfe_i32 v253, v223, 0, 8
	v_mul_i32_i24_e32 v7, v216, v166
	v_mul_i32_i24_e32 v115, v251, v174
	v_perm_b32 v223, v223, v223, 0xc030201
	v_bfe_i32 v254, v224, 0, 8
	s_set_vgpr_msb 64                       ;  msbs: dst=1 src0=0 src1=0 src2=0
	v_perm_b32 v0 /*v256*/, v5, v5, 0xc030201
	s_set_vgpr_msb 0                        ;  msbs: dst=0 src0=0 src1=0 src2=0
	v_mad_i32_i24 v7, v227, v167, v7
	v_mad_i32_i24 v115, v252, v175, v115
	v_perm_b32 v224, v224, v224, 0xc030201
	v_bfe_i32 v255, v225, 0, 8
	v_perm_b32 v225, v225, v225, 0xc030201
	v_dot4_i32_iu8 v7, v2, v168, v7 neg_lo:[1,1,0]
	v_dot4_i32_iu8 v115, v222, v176, v115 neg_lo:[1,1,0]
	s_delay_alu instid0(VALU_DEP_2) | instskip(NEXT) | instid1(VALU_DEP_2)
	v_mad_i32_i24 v7, v234, v170, v7
	v_mad_i32_i24 v115, v253, v178, v115
	s_delay_alu instid0(VALU_DEP_2) | instskip(NEXT) | instid1(VALU_DEP_2)
	v_dot4_i32_iu8 v7, v3, v172, v7 neg_lo:[1,1,0]
	v_dot4_i32_iu8 v115, v223, v180, v115 neg_lo:[1,1,0]
	s_delay_alu instid0(VALU_DEP_2) | instskip(NEXT) | instid1(VALU_DEP_2)
	v_mad_i32_i24 v7, v169, v250, v7
	v_mad_i32_i24 v115, v177, v254, v115
	s_delay_alu instid0(VALU_DEP_2) | instskip(NEXT) | instid1(VALU_DEP_2)
	v_dot4_i32_iu8 v7, v228, v4, v7 neg_lo:[1,1,0]
	v_dot4_i32_iu8 v115, v233, v224, v115 neg_lo:[1,1,0]
	s_delay_alu instid0(VALU_DEP_2) | instskip(NEXT) | instid1(VALU_DEP_2)
	v_mad_i32_i24 v7, v171, v219, v7
	v_mad_i32_i24 v115, v179, v255, v115
	s_set_vgpr_msb 4                        ;  msbs: dst=0 src0=0 src1=1 src2=0
	s_delay_alu instid0(VALU_DEP_2) | instskip(SKIP_1) | instid1(VALU_DEP_2)
	v_dot4_i32_iu8 v7, v229, v0 /*v256*/, v7 neg_lo:[1,1,0]
	s_set_vgpr_msb 0                        ;  msbs: dst=0 src0=0 src1=0 src2=0
	v_dot4_i32_iu8 v115, v235, v225, v115 neg_lo:[1,1,0]
	s_delay_alu instid0(VALU_DEP_2) | instskip(NEXT) | instid1(VALU_DEP_1)
	v_mul_lo_u32 v7, v7, v173
	v_mad_u32 v7, v115, v181, v7
	v_mul_f32_e32 v115, v165, v1
	s_delay_alu instid0(VALU_DEP_2) | instskip(NEXT) | instid1(VALU_DEP_1)
	v_cvt_f32_i32_e32 v7, v7
	v_mul_f32_e32 v7, v115, v7
	s_delay_alu instid0(VALU_DEP_1) | instskip(SKIP_2) | instid1(VALU_DEP_2)
	v_pk_add_f32 v[28:29], v[28:29], v[6:7]
	v_mul_i32_i24_e32 v6, v216, v183
	v_mul_i32_i24_e32 v7, v251, v191
	v_mad_i32_i24 v6, v227, v184, v6
	s_delay_alu instid0(VALU_DEP_2) | instskip(NEXT) | instid1(VALU_DEP_2)
	v_mad_i32_i24 v7, v252, v192, v7
	v_dot4_i32_iu8 v6, v2, v185, v6 neg_lo:[1,1,0]
	s_delay_alu instid0(VALU_DEP_2) | instskip(NEXT) | instid1(VALU_DEP_2)
	v_dot4_i32_iu8 v7, v222, v193, v7 neg_lo:[1,1,0]
	v_mad_i32_i24 v6, v234, v186, v6
	s_delay_alu instid0(VALU_DEP_2) | instskip(NEXT) | instid1(VALU_DEP_2)
	v_mad_i32_i24 v7, v253, v194, v7
	v_dot4_i32_iu8 v6, v3, v189, v6 neg_lo:[1,1,0]
	s_delay_alu instid0(VALU_DEP_2) | instskip(NEXT) | instid1(VALU_DEP_2)
	v_dot4_i32_iu8 v7, v223, v197, v7 neg_lo:[1,1,0]
	;; [unrolled: 6-line block ×3, first 2 shown]
	v_mad_i32_i24 v6, v188, v219, v6
	s_delay_alu instid0(VALU_DEP_2) | instskip(SKIP_1) | instid1(VALU_DEP_2)
	v_mad_i32_i24 v7, v196, v255, v7
	s_set_vgpr_msb 4                        ;  msbs: dst=0 src0=0 src1=1 src2=0
	v_dot4_i32_iu8 v6, v241, v0 /*v256*/, v6 neg_lo:[1,1,0]
	s_set_vgpr_msb 0                        ;  msbs: dst=0 src0=0 src1=0 src2=0
	s_delay_alu instid0(VALU_DEP_2) | instskip(NEXT) | instid1(VALU_DEP_2)
	v_dot4_i32_iu8 v7, v243, v225, v7 neg_lo:[1,1,0]
	v_mul_lo_u32 v6, v6, v190
	s_delay_alu instid0(VALU_DEP_1) | instskip(SKIP_1) | instid1(VALU_DEP_2)
	v_mad_u32 v6, v7, v198, v6
	v_mul_f32_e32 v7, v182, v1
	v_cvt_f32_i32_e32 v6, v6
	s_delay_alu instid0(VALU_DEP_1) | instskip(SKIP_2) | instid1(VALU_DEP_3)
	v_mul_f32_e32 v115, v7, v6
	v_mul_i32_i24_e32 v6, v216, v201
	v_mul_i32_i24_e32 v7, v251, v209
	v_pk_add_f32 v[26:27], v[26:27], v[114:115]
	s_delay_alu instid0(VALU_DEP_3) | instskip(NEXT) | instid1(VALU_DEP_3)
	v_mad_i32_i24 v6, v227, v202, v6
	v_mad_i32_i24 v7, v252, v210, v7
	s_delay_alu instid0(VALU_DEP_2) | instskip(NEXT) | instid1(VALU_DEP_2)
	v_dot4_i32_iu8 v6, v2, v203, v6 neg_lo:[1,1,0]
	v_dot4_i32_iu8 v7, v222, v211, v7 neg_lo:[1,1,0]
	s_delay_alu instid0(VALU_DEP_2) | instskip(NEXT) | instid1(VALU_DEP_2)
	v_mad_i32_i24 v6, v234, v204, v6
	v_mad_i32_i24 v7, v253, v212, v7
	s_delay_alu instid0(VALU_DEP_2) | instskip(NEXT) | instid1(VALU_DEP_2)
	v_dot4_i32_iu8 v6, v3, v207, v6 neg_lo:[1,1,0]
	v_dot4_i32_iu8 v7, v223, v217, v7 neg_lo:[1,1,0]
	s_delay_alu instid0(VALU_DEP_2) | instskip(NEXT) | instid1(VALU_DEP_2)
	;; [unrolled: 6-line block ×3, first 2 shown]
	v_mad_i32_i24 v6, v206, v219, v6
	v_mad_i32_i24 v7, v214, v255, v7
	s_set_vgpr_msb 4                        ;  msbs: dst=0 src0=0 src1=1 src2=0
	s_delay_alu instid0(VALU_DEP_2) | instskip(SKIP_1) | instid1(VALU_DEP_2)
	v_dot4_i32_iu8 v6, v237, v0 /*v256*/, v6 neg_lo:[1,1,0]
	s_set_vgpr_msb 0                        ;  msbs: dst=0 src0=0 src1=0 src2=0
	v_dot4_i32_iu8 v7, v247, v225, v7 neg_lo:[1,1,0]
	s_delay_alu instid0(VALU_DEP_2) | instskip(NEXT) | instid1(VALU_DEP_1)
	v_mul_lo_u32 v6, v6, v208
	v_mad_u32 v6, v7, v221, v6
	v_mul_f32_e32 v7, v200, v1
	v_mul_f32_e32 v1, v0, v1
	s_delay_alu instid0(VALU_DEP_3) | instskip(NEXT) | instid1(VALU_DEP_1)
	v_cvt_f32_i32_e32 v6, v6
	v_mul_f32_e32 v219, v7, v6
	s_set_vgpr_msb 1                        ;  msbs: dst=0 src0=1 src1=0 src2=0
	v_mul_i32_i24_e32 v6, v14 /*v270*/, v216
	s_set_vgpr_msb 0                        ;  msbs: dst=0 src0=0 src1=0 src2=0
	s_delay_alu instid0(VALU_DEP_2) | instskip(SKIP_1) | instid1(VALU_DEP_2)
	v_pk_add_f32 v[24:25], v[24:25], v[218:219]
	s_set_vgpr_msb 1                        ;  msbs: dst=0 src0=1 src1=0 src2=0
	v_mad_i32_i24 v6, v3 /*v259*/, v227, v6
	s_delay_alu instid0(VALU_DEP_1) | instskip(SKIP_1) | instid1(VALU_DEP_1)
	v_dot4_i32_iu8 v2, v4 /*v260*/, v2, v6 neg_lo:[1,1,0]
	s_set_vgpr_msb 0                        ;  msbs: dst=0 src0=0 src1=0 src2=0
	v_mad_i32_i24 v2, v245, v234, v2
	s_delay_alu instid0(VALU_DEP_1) | instskip(SKIP_3) | instid1(VALU_DEP_2)
	v_dot4_i32_iu8 v2, v238, v3, v2 neg_lo:[1,1,0]
	s_set_vgpr_msb 1                        ;  msbs: dst=0 src0=1 src1=0 src2=0
	v_mul_i32_i24_e32 v3, v20 /*v276*/, v251
	s_set_vgpr_msb 4                        ;  msbs: dst=0 src0=0 src1=1 src2=0
	v_mad_i32_i24 v2, v250, v13 /*v269*/, v2
	s_set_vgpr_msb 1                        ;  msbs: dst=0 src0=1 src1=0 src2=0
	s_delay_alu instid0(VALU_DEP_2) | instskip(SKIP_1) | instid1(VALU_DEP_2)
	v_mad_i32_i24 v3, v17 /*v273*/, v252, v3
	s_set_vgpr_msb 0                        ;  msbs: dst=0 src0=0 src1=0 src2=0
	v_dot4_i32_iu8 v2, v4, v215, v2 neg_lo:[1,1,0]
	s_delay_alu instid0(VALU_DEP_2) | instskip(NEXT) | instid1(VALU_DEP_2)
	v_dot4_i32_iu8 v3, v220, v222, v3 neg_lo:[1,1,0]
	v_dot4_i32_iu8 v2, v232, v5, v2 neg_lo:[1,1,0]
	s_delay_alu instid0(VALU_DEP_2) | instskip(NEXT) | instid1(VALU_DEP_2)
	v_mad_i32_i24 v3, v246, v253, v3
	v_mul_lo_u32 v2, v2, v248
	s_delay_alu instid0(VALU_DEP_2) | instskip(SKIP_1) | instid1(VALU_DEP_1)
	v_dot4_i32_iu8 v3, v230, v223, v3 neg_lo:[1,1,0]
	s_set_vgpr_msb 4                        ;  msbs: dst=0 src0=0 src1=1 src2=0
	v_mad_i32_i24 v3, v254, v32 /*v288*/, v3
	s_set_vgpr_msb 0                        ;  msbs: dst=0 src0=0 src1=0 src2=0
	s_delay_alu instid0(VALU_DEP_1) | instskip(NEXT) | instid1(VALU_DEP_1)
	v_dot4_i32_iu8 v3, v224, v249, v3 neg_lo:[1,1,0]
	v_mad_i32_i24 v3, v231, v255, v3
	s_delay_alu instid0(VALU_DEP_1) | instskip(NEXT) | instid1(VALU_DEP_1)
	v_dot4_i32_iu8 v3, v199, v225, v3 neg_lo:[1,1,0]
	v_mad_u32 v2, v3, v239, v2
	s_delay_alu instid0(VALU_DEP_1) | instskip(NEXT) | instid1(VALU_DEP_1)
	v_cvt_f32_i32_e32 v2, v2
	v_dual_mul_f32 v227, v1, v2 :: v_dual_bitop2_b32 v1, s18, v128 bitop3:0x54
	s_delay_alu instid0(VALU_DEP_1) | instskip(NEXT) | instid1(VALU_DEP_2)
	v_pk_add_f32 v[16:17], v[16:17], v[226:227]
	v_dual_lshlrev_b32 v6, 2, v1 :: v_dual_lshrrev_b32 v1, 1, v1
	ds_load_b32 v1, v1 offset:38816
	ds_load_b128 v[2:5], v6 offset:25344
	ds_load_b128 v[222:225], v6 offset:25360
	s_wait_dscnt 0x1
	v_bfe_i32 v7, v2, 0, 8
	v_bfe_i32 v115, v2, 8, 8
	v_perm_b32 v2, v2, v2, 0xc0c0302
	s_wait_dscnt 0x0
	v_bfe_i32 v226, v222, 0, 8
	v_bfe_i32 v218, v3, 0, 8
	v_mul_i32_i24_e32 v6, v7, v166
	v_bfe_i32 v227, v222, 8, 8
	v_perm_b32 v3, v3, v3, 0xc030201
	v_mul_i32_i24_e32 v114, v226, v174
	v_perm_b32 v222, v222, v222, 0xc0c0302
	v_mad_i32_i24 v6, v115, v167, v6
	v_bfe_i32 v219, v4, 0, 8
	v_bfe_i32 v234, v223, 0, 8
	v_mad_i32_i24 v114, v227, v175, v114
	v_perm_b32 v4, v4, v4, 0xc030201
	v_dot4_i32_iu8 v6, v2, v168, v6 neg_lo:[1,1,0]
	v_perm_b32 v223, v223, v223, 0xc030201
	v_bfe_i32 v216, v5, 0, 8
	v_dot4_i32_iu8 v114, v222, v176, v114 neg_lo:[1,1,0]
	v_bfe_i32 v250, v224, 0, 8
	v_mad_i32_i24 v6, v218, v170, v6
	v_perm_b32 v252, v5, v5, 0xc030201
	v_perm_b32 v224, v224, v224, 0xc030201
	v_mad_i32_i24 v114, v234, v178, v114
	v_bfe_i32 v251, v225, 0, 8
	v_dot4_i32_iu8 v6, v3, v172, v6 neg_lo:[1,1,0]
	v_perm_b32 v225, v225, v225, 0xc030201
	v_mul_i32_i24_e32 v253, v226, v191
	v_dot4_i32_iu8 v114, v223, v180, v114 neg_lo:[1,1,0]
	s_delay_alu instid0(VALU_DEP_4) | instskip(NEXT) | instid1(VALU_DEP_3)
	v_mad_i32_i24 v6, v169, v219, v6
	v_mad_i32_i24 v253, v227, v192, v253
	s_delay_alu instid0(VALU_DEP_3) | instskip(NEXT) | instid1(VALU_DEP_3)
	v_mad_i32_i24 v114, v177, v250, v114
	v_dot4_i32_iu8 v6, v228, v4, v6 neg_lo:[1,1,0]
	s_delay_alu instid0(VALU_DEP_3) | instskip(NEXT) | instid1(VALU_DEP_3)
	v_dot4_i32_iu8 v253, v222, v193, v253 neg_lo:[1,1,0]
	v_dot4_i32_iu8 v114, v233, v224, v114 neg_lo:[1,1,0]
	s_delay_alu instid0(VALU_DEP_3) | instskip(NEXT) | instid1(VALU_DEP_3)
	v_mad_i32_i24 v6, v171, v216, v6
	v_mad_i32_i24 v253, v234, v194, v253
	s_delay_alu instid0(VALU_DEP_3) | instskip(NEXT) | instid1(VALU_DEP_3)
	v_mad_i32_i24 v114, v179, v251, v114
	v_dot4_i32_iu8 v6, v229, v252, v6 neg_lo:[1,1,0]
	s_delay_alu instid0(VALU_DEP_3) | instskip(NEXT) | instid1(VALU_DEP_3)
	v_dot4_i32_iu8 v253, v223, v197, v253 neg_lo:[1,1,0]
	v_dot4_i32_iu8 v114, v235, v225, v114 neg_lo:[1,1,0]
	s_delay_alu instid0(VALU_DEP_3) | instskip(NEXT) | instid1(VALU_DEP_3)
	v_mul_lo_u32 v6, v6, v173
	v_mad_i32_i24 v253, v195, v250, v253
	s_delay_alu instid0(VALU_DEP_1) | instskip(NEXT) | instid1(VALU_DEP_3)
	v_dot4_i32_iu8 v253, v242, v224, v253 neg_lo:[1,1,0]
	v_mad_u32 v6, v114, v181, v6
	v_mul_f32_e32 v114, v165, v1
	s_delay_alu instid0(VALU_DEP_3) | instskip(NEXT) | instid1(VALU_DEP_1)
	v_mad_i32_i24 v253, v196, v251, v253
	v_dot4_i32_iu8 v253, v243, v225, v253 neg_lo:[1,1,0]
	s_delay_alu instid0(VALU_DEP_4) | instskip(NEXT) | instid1(VALU_DEP_1)
	v_cvt_f32_i32_e32 v6, v6
	v_mul_f32_e32 v6, v114, v6
	v_mul_i32_i24_e32 v114, v7, v183
	s_delay_alu instid0(VALU_DEP_1) | instskip(NEXT) | instid1(VALU_DEP_1)
	v_mad_i32_i24 v114, v115, v184, v114
	v_dot4_i32_iu8 v114, v2, v185, v114 neg_lo:[1,1,0]
	s_delay_alu instid0(VALU_DEP_1) | instskip(NEXT) | instid1(VALU_DEP_1)
	v_mad_i32_i24 v114, v218, v186, v114
	v_dot4_i32_iu8 v114, v3, v189, v114 neg_lo:[1,1,0]
	;; [unrolled: 3-line block ×4, first 2 shown]
	s_delay_alu instid0(VALU_DEP_1) | instskip(NEXT) | instid1(VALU_DEP_1)
	v_mul_lo_u32 v114, v114, v190
	v_mad_u32 v114, v253, v198, v114
	v_mul_f32_e32 v253, v182, v1
	s_delay_alu instid0(VALU_DEP_2) | instskip(NEXT) | instid1(VALU_DEP_1)
	v_cvt_f32_i32_e32 v114, v114
	v_mul_f32_e32 v114, v253, v114
	v_mul_i32_i24_e32 v253, v7, v201
	s_set_vgpr_msb 1                        ;  msbs: dst=0 src0=1 src1=0 src2=0
	v_mul_i32_i24_e32 v7, v14 /*v270*/, v7
	s_set_vgpr_msb 0                        ;  msbs: dst=0 src0=0 src1=0 src2=0
	s_delay_alu instid0(VALU_DEP_2) | instskip(SKIP_1) | instid1(VALU_DEP_2)
	v_mad_i32_i24 v253, v115, v202, v253
	s_set_vgpr_msb 1                        ;  msbs: dst=0 src0=1 src1=0 src2=0
	v_mad_i32_i24 v7, v3 /*v259*/, v115, v7
	s_set_vgpr_msb 0                        ;  msbs: dst=0 src0=0 src1=0 src2=0
	s_delay_alu instid0(VALU_DEP_2) | instskip(SKIP_1) | instid1(VALU_DEP_2)
	v_dot4_i32_iu8 v253, v2, v203, v253 neg_lo:[1,1,0]
	s_set_vgpr_msb 1                        ;  msbs: dst=0 src0=1 src1=0 src2=0
	v_dot4_i32_iu8 v2, v4 /*v260*/, v2, v7 neg_lo:[1,1,0]
	s_set_vgpr_msb 0                        ;  msbs: dst=0 src0=0 src1=0 src2=0
	s_delay_alu instid0(VALU_DEP_2) | instskip(NEXT) | instid1(VALU_DEP_2)
	v_mad_i32_i24 v253, v218, v204, v253
	v_mad_i32_i24 v2, v245, v218, v2
	s_delay_alu instid0(VALU_DEP_2) | instskip(NEXT) | instid1(VALU_DEP_2)
	v_dot4_i32_iu8 v253, v3, v207, v253 neg_lo:[1,1,0]
	v_dot4_i32_iu8 v2, v238, v3, v2 neg_lo:[1,1,0]
	s_set_vgpr_msb 1                        ;  msbs: dst=0 src0=1 src1=0 src2=0
	v_mul_i32_i24_e32 v3, v20 /*v276*/, v226
	s_set_vgpr_msb 0                        ;  msbs: dst=0 src0=0 src1=0 src2=0
	v_mad_i32_i24 v253, v205, v219, v253
	s_set_vgpr_msb 4                        ;  msbs: dst=0 src0=0 src1=1 src2=0
	v_mad_i32_i24 v2, v219, v13 /*v269*/, v2
	s_set_vgpr_msb 1                        ;  msbs: dst=0 src0=1 src1=0 src2=0
	v_mad_i32_i24 v3, v17 /*v273*/, v227, v3
	s_set_vgpr_msb 0                        ;  msbs: dst=0 src0=0 src1=0 src2=0
	v_dot4_i32_iu8 v253, v236, v4, v253 neg_lo:[1,1,0]
	v_dot4_i32_iu8 v2, v4, v215, v2 neg_lo:[1,1,0]
	s_delay_alu instid0(VALU_DEP_3) | instskip(NEXT) | instid1(VALU_DEP_3)
	v_dot4_i32_iu8 v3, v220, v222, v3 neg_lo:[1,1,0]
	v_mad_i32_i24 v216, v206, v216, v253
	s_delay_alu instid0(VALU_DEP_3) | instskip(NEXT) | instid1(VALU_DEP_3)
	v_dot4_i32_iu8 v2, v232, v5, v2 neg_lo:[1,1,0]
	v_mad_i32_i24 v3, v246, v234, v3
	s_delay_alu instid0(VALU_DEP_3) | instskip(SKIP_1) | instid1(VALU_DEP_3)
	v_dot4_i32_iu8 v216, v237, v252, v216 neg_lo:[1,1,0]
	v_mul_i32_i24_e32 v252, v226, v209
	v_dot4_i32_iu8 v3, v230, v223, v3 neg_lo:[1,1,0]
	v_mul_lo_u32 v2, v2, v248
	s_delay_alu instid0(VALU_DEP_4) | instskip(NEXT) | instid1(VALU_DEP_4)
	v_mul_lo_u32 v216, v216, v208
	v_mad_i32_i24 v252, v227, v210, v252
	s_set_vgpr_msb 4                        ;  msbs: dst=0 src0=0 src1=1 src2=0
	v_mad_i32_i24 v3, v250, v32 /*v288*/, v3
	s_set_vgpr_msb 0                        ;  msbs: dst=0 src0=0 src1=0 src2=0
	s_delay_alu instid0(VALU_DEP_2) | instskip(NEXT) | instid1(VALU_DEP_2)
	v_dot4_i32_iu8 v252, v222, v211, v252 neg_lo:[1,1,0]
	v_dot4_i32_iu8 v3, v224, v249, v3 neg_lo:[1,1,0]
	s_delay_alu instid0(VALU_DEP_2) | instskip(NEXT) | instid1(VALU_DEP_2)
	v_mad_i32_i24 v252, v234, v212, v252
	v_mad_i32_i24 v3, v231, v251, v3
	s_delay_alu instid0(VALU_DEP_2) | instskip(NEXT) | instid1(VALU_DEP_2)
	v_dot4_i32_iu8 v252, v223, v217, v252 neg_lo:[1,1,0]
	v_dot4_i32_iu8 v3, v199, v225, v3 neg_lo:[1,1,0]
	s_delay_alu instid0(VALU_DEP_2) | instskip(NEXT) | instid1(VALU_DEP_2)
	v_mad_i32_i24 v252, v213, v250, v252
	v_mad_u32 v2, v3, v239, v2
	s_delay_alu instid0(VALU_DEP_2) | instskip(NEXT) | instid1(VALU_DEP_1)
	v_dot4_i32_iu8 v252, v244, v224, v252 neg_lo:[1,1,0]
	v_mad_i32_i24 v252, v214, v251, v252
	s_delay_alu instid0(VALU_DEP_3) | instskip(NEXT) | instid1(VALU_DEP_2)
	v_cvt_f32_i32_e32 v2, v2
	v_dot4_i32_iu8 v252, v247, v225, v252 neg_lo:[1,1,0]
	s_delay_alu instid0(VALU_DEP_1) | instskip(SKIP_2) | instid1(VALU_DEP_1)
	v_mad_u32 v216, v252, v221, v216
	v_mul_f32_e32 v252, v200, v1
	v_mul_f32_e32 v1, v0, v1
	v_dual_mul_f32 v218, v1, v2 :: v_dual_bitop2_b32 v1, s18, v129 bitop3:0x54
	s_delay_alu instid0(VALU_DEP_4) | instskip(NEXT) | instid1(VALU_DEP_2)
	v_cvt_f32_i32_e32 v216, v216
	v_dual_lshlrev_b32 v7, 2, v1 :: v_dual_lshrrev_b32 v1, 1, v1
	ds_load_b32 v1, v1 offset:38816
	ds_load_b128 v[2:5], v7 offset:25344
	ds_load_b128 v[222:225], v7 offset:25360
	v_mul_f32_e32 v216, v252, v216
	s_wait_dscnt 0x2
	v_mul_f32_e32 v0, v0, v1
	s_wait_dscnt 0x1
	v_bfe_i32 v219, v2, 0, 8
	v_bfe_i32 v226, v2, 8, 8
	v_perm_b32 v2, v2, v2, 0xc0c0302
	s_wait_dscnt 0x0
	v_bfe_i32 v251, v222, 0, 8
	v_bfe_i32 v227, v3, 0, 8
	v_mul_i32_i24_e32 v7, v219, v166
	v_bfe_i32 v252, v222, 8, 8
	v_perm_b32 v3, v3, v3, 0xc030201
	v_mul_i32_i24_e32 v115, v251, v174
	v_bfe_i32 v234, v4, 0, 8
	v_mad_i32_i24 v7, v226, v167, v7
	v_perm_b32 v167, v222, v222, 0xc0c0302
	v_bfe_i32 v253, v223, 0, 8
	v_mad_i32_i24 v115, v252, v175, v115
	v_perm_b32 v4, v4, v4, 0xc030201
	v_dot4_i32_iu8 v7, v2, v168, v7 neg_lo:[1,1,0]
	v_perm_b32 v168, v223, v223, 0xc030201
	v_bfe_i32 v250, v5, 0, 8
	v_dot4_i32_iu8 v115, v167, v176, v115 neg_lo:[1,1,0]
	v_bfe_i32 v254, v224, 0, 8
	v_mad_i32_i24 v7, v227, v170, v7
	v_perm_b32 v166, v5, v5, 0xc030201
	v_bfe_i32 v255, v225, 0, 8
	v_mad_i32_i24 v115, v253, v178, v115
	v_perm_b32 v170, v225, v225, 0xc030201
	v_dot4_i32_iu8 v7, v3, v172, v7 neg_lo:[1,1,0]
	s_delay_alu instid0(VALU_DEP_3) | instskip(NEXT) | instid1(VALU_DEP_2)
	v_dot4_i32_iu8 v115, v168, v180, v115 neg_lo:[1,1,0]
	v_mad_i32_i24 v7, v169, v234, v7
	v_perm_b32 v169, v224, v224, 0xc030201
	s_delay_alu instid0(VALU_DEP_3) | instskip(NEXT) | instid1(VALU_DEP_3)
	v_mad_i32_i24 v115, v177, v254, v115
	v_dot4_i32_iu8 v7, v228, v4, v7 neg_lo:[1,1,0]
	s_delay_alu instid0(VALU_DEP_2) | instskip(NEXT) | instid1(VALU_DEP_2)
	v_dot4_i32_iu8 v115, v233, v169, v115 neg_lo:[1,1,0]
	v_mad_i32_i24 v7, v171, v250, v7
	s_delay_alu instid0(VALU_DEP_2) | instskip(NEXT) | instid1(VALU_DEP_2)
	v_mad_i32_i24 v115, v179, v255, v115
	v_dot4_i32_iu8 v7, v229, v166, v7 neg_lo:[1,1,0]
	s_delay_alu instid0(VALU_DEP_2) | instskip(NEXT) | instid1(VALU_DEP_2)
	v_dot4_i32_iu8 v115, v235, v170, v115 neg_lo:[1,1,0]
	v_mul_lo_u32 v7, v7, v173
	s_delay_alu instid0(VALU_DEP_1) | instskip(SKIP_1) | instid1(VALU_DEP_2)
	v_mad_u32 v7, v115, v181, v7
	v_mul_f32_e32 v115, v165, v1
	v_cvt_f32_i32_e32 v7, v7
	s_delay_alu instid0(VALU_DEP_1) | instskip(NEXT) | instid1(VALU_DEP_1)
	v_mul_f32_e32 v7, v115, v7
	v_pk_add_f32 v[14:15], v[14:15], v[6:7]
	v_mul_i32_i24_e32 v6, v219, v183
	v_mul_i32_i24_e32 v7, v251, v191
	s_delay_alu instid0(VALU_DEP_2) | instskip(NEXT) | instid1(VALU_DEP_2)
	v_mad_i32_i24 v6, v226, v184, v6
	v_mad_i32_i24 v7, v252, v192, v7
	s_delay_alu instid0(VALU_DEP_2) | instskip(NEXT) | instid1(VALU_DEP_2)
	v_dot4_i32_iu8 v6, v2, v185, v6 neg_lo:[1,1,0]
	v_dot4_i32_iu8 v7, v167, v193, v7 neg_lo:[1,1,0]
	s_delay_alu instid0(VALU_DEP_2) | instskip(NEXT) | instid1(VALU_DEP_2)
	v_mad_i32_i24 v6, v227, v186, v6
	v_mad_i32_i24 v7, v253, v194, v7
	s_delay_alu instid0(VALU_DEP_2) | instskip(NEXT) | instid1(VALU_DEP_2)
	v_dot4_i32_iu8 v6, v3, v189, v6 neg_lo:[1,1,0]
	v_dot4_i32_iu8 v7, v168, v197, v7 neg_lo:[1,1,0]
	;; [unrolled: 6-line block ×4, first 2 shown]
	s_delay_alu instid0(VALU_DEP_2) | instskip(NEXT) | instid1(VALU_DEP_1)
	v_mul_lo_u32 v6, v6, v190
	v_mad_u32 v6, v7, v198, v6
	v_mul_f32_e32 v7, v182, v1
	s_delay_alu instid0(VALU_DEP_2) | instskip(NEXT) | instid1(VALU_DEP_1)
	v_cvt_f32_i32_e32 v6, v6
	v_mul_f32_e32 v115, v7, v6
	v_mul_i32_i24_e32 v6, v219, v201
	v_mul_i32_i24_e32 v7, v251, v209
	s_delay_alu instid0(VALU_DEP_3) | instskip(NEXT) | instid1(VALU_DEP_3)
	v_pk_add_f32 v[12:13], v[12:13], v[114:115]
	v_mad_i32_i24 v6, v226, v202, v6
	s_delay_alu instid0(VALU_DEP_3) | instskip(NEXT) | instid1(VALU_DEP_2)
	v_mad_i32_i24 v7, v252, v210, v7
	v_dot4_i32_iu8 v6, v2, v203, v6 neg_lo:[1,1,0]
	s_delay_alu instid0(VALU_DEP_2) | instskip(NEXT) | instid1(VALU_DEP_2)
	v_dot4_i32_iu8 v7, v167, v211, v7 neg_lo:[1,1,0]
	v_mad_i32_i24 v6, v227, v204, v6
	s_delay_alu instid0(VALU_DEP_2) | instskip(NEXT) | instid1(VALU_DEP_2)
	v_mad_i32_i24 v7, v253, v212, v7
	v_dot4_i32_iu8 v6, v3, v207, v6 neg_lo:[1,1,0]
	s_delay_alu instid0(VALU_DEP_2) | instskip(NEXT) | instid1(VALU_DEP_2)
	v_dot4_i32_iu8 v7, v168, v217, v7 neg_lo:[1,1,0]
	v_mad_i32_i24 v6, v205, v234, v6
	s_delay_alu instid0(VALU_DEP_2) | instskip(NEXT) | instid1(VALU_DEP_2)
	;; [unrolled: 6-line block ×3, first 2 shown]
	v_mad_i32_i24 v7, v214, v255, v7
	v_dot4_i32_iu8 v6, v237, v166, v6 neg_lo:[1,1,0]
	s_delay_alu instid0(VALU_DEP_2) | instskip(NEXT) | instid1(VALU_DEP_2)
	v_dot4_i32_iu8 v7, v247, v170, v7 neg_lo:[1,1,0]
	v_mul_lo_u32 v6, v6, v208
	s_delay_alu instid0(VALU_DEP_1) | instskip(SKIP_1) | instid1(VALU_DEP_2)
	v_mad_u32 v6, v7, v221, v6
	v_mul_f32_e32 v7, v200, v1
	v_cvt_f32_i32_e32 v6, v6
	s_delay_alu instid0(VALU_DEP_1) | instskip(SKIP_3) | instid1(VALU_DEP_2)
	v_mul_f32_e32 v217, v7, v6
	s_set_vgpr_msb 1                        ;  msbs: dst=0 src0=1 src1=0 src2=0
	v_mul_i32_i24_e32 v6, v14 /*v270*/, v219
	s_set_vgpr_msb 0                        ;  msbs: dst=0 src0=0 src1=0 src2=0
	v_pk_add_f32 v[10:11], v[10:11], v[216:217]
	s_set_vgpr_msb 1                        ;  msbs: dst=0 src0=1 src1=0 src2=0
	s_delay_alu instid0(VALU_DEP_2) | instskip(NEXT) | instid1(VALU_DEP_1)
	v_mad_i32_i24 v6, v3 /*v259*/, v226, v6
	v_dot4_i32_iu8 v2, v4 /*v260*/, v2, v6 neg_lo:[1,1,0]
	s_set_vgpr_msb 0                        ;  msbs: dst=0 src0=0 src1=0 src2=0
	s_delay_alu instid0(VALU_DEP_1) | instskip(NEXT) | instid1(VALU_DEP_1)
	v_mad_i32_i24 v2, v245, v227, v2
	v_dot4_i32_iu8 v2, v238, v3, v2 neg_lo:[1,1,0]
	s_set_vgpr_msb 1                        ;  msbs: dst=0 src0=1 src1=0 src2=0
	v_mul_i32_i24_e32 v3, v20 /*v276*/, v251
	s_set_vgpr_msb 4                        ;  msbs: dst=0 src0=0 src1=1 src2=0
	s_delay_alu instid0(VALU_DEP_2) | instskip(SKIP_1) | instid1(VALU_DEP_2)
	v_mad_i32_i24 v2, v234, v13 /*v269*/, v2
	s_set_vgpr_msb 1                        ;  msbs: dst=0 src0=1 src1=0 src2=0
	v_mad_i32_i24 v3, v17 /*v273*/, v252, v3
	s_set_vgpr_msb 0                        ;  msbs: dst=0 src0=0 src1=0 src2=0
	s_delay_alu instid0(VALU_DEP_2) | instskip(NEXT) | instid1(VALU_DEP_2)
	v_dot4_i32_iu8 v2, v4, v215, v2 neg_lo:[1,1,0]
	v_dot4_i32_iu8 v3, v220, v167, v3 neg_lo:[1,1,0]
	s_delay_alu instid0(VALU_DEP_2) | instskip(NEXT) | instid1(VALU_DEP_2)
	v_dot4_i32_iu8 v2, v232, v5, v2 neg_lo:[1,1,0]
	v_mad_i32_i24 v3, v246, v253, v3
	s_delay_alu instid0(VALU_DEP_2) | instskip(NEXT) | instid1(VALU_DEP_2)
	v_mul_lo_u32 v2, v2, v248
	v_dot4_i32_iu8 v3, v230, v168, v3 neg_lo:[1,1,0]
	s_set_vgpr_msb 4                        ;  msbs: dst=0 src0=0 src1=1 src2=0
	s_delay_alu instid0(VALU_DEP_1) | instskip(SKIP_1) | instid1(VALU_DEP_1)
	v_mad_i32_i24 v3, v254, v32 /*v288*/, v3
	s_set_vgpr_msb 0                        ;  msbs: dst=0 src0=0 src1=0 src2=0
	v_dot4_i32_iu8 v3, v169, v249, v3 neg_lo:[1,1,0]
	s_delay_alu instid0(VALU_DEP_1) | instskip(NEXT) | instid1(VALU_DEP_1)
	v_mad_i32_i24 v3, v231, v255, v3
	v_dot4_i32_iu8 v3, v199, v170, v3 neg_lo:[1,1,0]
	s_delay_alu instid0(VALU_DEP_1) | instskip(NEXT) | instid1(VALU_DEP_1)
	v_mad_u32 v2, v3, v239, v2
	v_cvt_f32_i32_e32 v1, v2
	s_delay_alu instid0(VALU_DEP_1) | instskip(NEXT) | instid1(VALU_DEP_1)
	v_mul_f32_e32 v219, v0, v1
	v_pk_add_f32 v[8:9], v[8:9], v[218:219]
	s_cbranch_scc1 .LBB169_10
; %bb.11:                               ;   in Loop: Header=BB169_8 Depth=2
	v_lshl_add_u32 v0, s16, 5, v23
	v_lshl_add_u32 v1, s16, 2, v164
	s_barrier_signal -1
	s_barrier_wait -1
	s_delay_alu instid0(VALU_DEP_2) | instskip(SKIP_1) | instid1(SALU_CYCLE_1)
	v_lshrrev_b32_e32 v0, 3, v0
	s_add_co_i32 s12, s12, 2
	s_lshl_b32 s16, s12, 3
	s_delay_alu instid0(VALU_DEP_1) | instskip(SKIP_1) | instid1(VALU_DEP_2)
	v_add_nc_u32_e32 v2, s5, v0
	v_mad_nc_u64_u32 v[0:1], v1, 36, s[2:3]
	v_dual_add_nc_u32 v3, v2, v122 :: v_dual_add_nc_u32 v168, v2, v119
	v_dual_add_nc_u32 v4, v2, v113 :: v_dual_add_nc_u32 v6, v2, v116
	;; [unrolled: 1-line block ×4, first 2 shown]
	s_delay_alu instid0(VALU_DEP_4) | instskip(NEXT) | instid1(VALU_DEP_4)
	v_mad_nc_i64_i32 v[2:3], v3, 36, v[60:61]
	v_mad_nc_i64_i32 v[4:5], v4, 36, v[60:61]
	;; [unrolled: 1-line block ×8, first 2 shown]
	s_clause 0x8
	global_load_b32 v165, v[0:1], off
	global_load_b32 v174, v[2:3], off offset:4
	global_load_b32 v175, v[4:5], off offset:4
	;; [unrolled: 1-line block ×8, first 2 shown]
	s_wait_loadcnt 0x8
	s_wait_xcnt 0x8
	v_cvt_f32_f16_e64 v0, v165
	s_wait_loadcnt 0x7
	ds_store_b32 v103, v174
	s_wait_loadcnt 0x6
	ds_store_b32 v89, v175
	;; [unrolled: 2-line block ×8, first 2 shown]
	ds_store_b32 v111, v0
	s_wait_dscnt 0x0
	s_barrier_signal -1
	s_barrier_wait -1
.LBB169_12:                             ;   Parent Loop BB169_6 Depth=1
                                        ;     Parent Loop BB169_8 Depth=2
                                        ; =>    This Inner Loop Header: Depth=3
	s_lshl_b32 s17, s13, 2
	s_and_b32 s19, s13, 6
	s_and_b32 s17, s17, 24
	;; [unrolled: 1-line block ×3, first 2 shown]
	v_or_b32_e32 v0, s17, v160
	v_lshl_add_u32 v215, s21, 2, v161
	s_lshr_b32 s20, s13, 4
	s_bfe_u32 s18, s13, 0x30001
	s_lshl_b32 s22, s20, 2
	v_dual_lshlrev_b32 v4, 2, v0 :: v_dual_lshrrev_b32 v0, 1, v0
	s_lshl_b32 s20, s20, 5
	s_and_b32 s21, s13, -2
	s_addk_co_i32 s20, 0x4200
	ds_load_b32 v115, v0 offset:38816
	ds_load_b128 v[0:3], v4 offset:25344
	ds_load_b128 v[4:7], v4 offset:25360
	ds_load_2addr_b32 v[166:167], v215 offset1:1
	v_add3_u32 v172, s20, v136, v162
	s_add_co_i32 s22, s22, 0x9380
	s_add_co_i32 s13, s13, 2
	s_delay_alu instid0(SALU_CYCLE_1)
	s_cmp_lt_u32 s13, s16
	ds_load_2addr_b32 v[168:169], v172 offset1:1
	s_wait_dscnt 0x3
	v_bfe_i32 v207, v0, 0, 8
	v_bfe_i32 v208, v0, 8, 8
	s_wait_dscnt 0x1
	v_ashrrev_i32_e32 v165, s19, v166
	v_bfe_i32 v230, v3, 8, 8
	v_perm_b32 v239, v0, v0, 0xc0c0302
	v_bfe_i32 v205, v1, 0, 8
	v_bfe_i32 v202, v2, 0, 8
	v_and_b32_e32 v166, 0x3030303, v165
	v_bfe_u32 v165, v165, 24, 2
	v_bfe_i32 v228, v2, 8, 8
	s_wait_dscnt 0x0
	v_ashrrev_i32_e32 v168, s18, v168
	v_perm_b32 v231, v1, v1, 0xc030201
	v_lshrrev_b32_e32 v171, 16, v166
	v_lshrrev_b16 v170, 8, v166
	v_bfe_i32 v229, v3, 0, 8
	v_lshlrev_b32_e32 v168, 2, v168
	v_perm_b32 v232, v2, v2, 0xc0c0302
	v_bfe_i32 v203, v4, 0, 8
	v_bfe_i32 v204, v4, 8, 8
	v_perm_b32 v233, v3, v3, 0xc0c0302
	v_and_b32_e32 v168, 0x4040404, v168
	v_bfe_i32 v237, v7, 8, 8
	v_perm_b32 v241, v4, v4, 0xc0c0302
	v_bfe_i32 v200, v5, 0, 8
	v_bfe_i32 v114, v6, 0, 8
	v_dual_lshrrev_b32 v174, 24, v168 :: v_dual_lshrrev_b32 v175, 16, v168
	v_lshrrev_b16 v173, 8, v168
	v_bfe_i32 v236, v6, 8, 8
	v_perm_b32 v238, v5, v5, 0xc030201
	s_delay_alu instid0(VALU_DEP_4)
	v_sub_nc_u16 v165, v165, v174
	v_sub_nc_u16 v171, v171, v175
	v_bfe_i32 v182, v7, 0, 8
	v_perm_b32 v242, v6, v6, 0xc0c0302
	v_perm_b32 v243, v7, v7, 0xc0c0302
	v_lshlrev_b16 v165, 8, v165
	v_bfe_i32 v206, v1, 8, 8
	v_perm_b32 v1, v1, v1, 0xc0c0302
	v_bfe_i32 v201, v5, 8, 8
	v_perm_b32 v5, v5, v5, 0xc0c0302
	v_bitop3_b16 v174, v171, v165, 0xff bitop3:0xec
	v_sub_nc_u16 v165, v170, v173
	v_sub_nc_u16 v173, v166, v168
	v_perm_b32 v6, v6, v6, 0xc030201
	v_perm_b32 v7, v7, v7, 0xc030201
	;; [unrolled: 1-line block ×3, first 2 shown]
	v_lshlrev_b16 v170, 8, v165
	v_dual_ashrrev_i32 v165, s19, v167 :: v_dual_ashrrev_i32 v169, s18, v169
	s_delay_alu instid0(VALU_DEP_1) | instskip(SKIP_1) | instid1(VALU_DEP_2)
	v_and_b32_e32 v166, 0x3030303, v165
	v_bfe_u32 v165, v165, 24, 2
	v_dual_lshlrev_b32 v169, 2, v169 :: v_dual_lshrrev_b32 v168, 16, v166
	v_lshrrev_b16 v167, 8, v166
	s_delay_alu instid0(VALU_DEP_2) | instskip(NEXT) | instid1(VALU_DEP_1)
	v_and_b32_e32 v169, 0x4040404, v169
	v_dual_lshrrev_b32 v176, 24, v169 :: v_dual_lshrrev_b32 v177, 16, v169
	v_lshrrev_b16 v175, 8, v169
	v_sub_nc_u16 v178, v166, v169
	s_delay_alu instid0(VALU_DEP_3) | instskip(NEXT) | instid1(VALU_DEP_4)
	v_sub_nc_u16 v165, v165, v176
	v_sub_nc_u16 v177, v168, v177
	ds_load_2addr_b32 v[168:169], v172 offset0:2 offset1:3
	v_lshlrev_b16 v165, 8, v165
	s_delay_alu instid0(VALU_DEP_1) | instskip(SKIP_3) | instid1(VALU_DEP_1)
	v_bitop3_b16 v176, v177, v165, 0xff bitop3:0xec
	v_sub_nc_u16 v165, v167, v175
	ds_load_2addr_b32 v[166:167], v215 offset0:2 offset1:3
	v_lshlrev_b16 v175, 8, v165
	v_perm_b32 v175, v175, v175, 0xc0c0c01
	s_wait_dscnt 0x1
	v_dual_ashrrev_i32 v168, s18, v168 :: v_dual_ashrrev_i32 v169, s18, v169
	s_delay_alu instid0(VALU_DEP_1) | instskip(SKIP_2) | instid1(VALU_DEP_2)
	v_dual_lshlrev_b32 v168, 2, v168 :: v_dual_lshlrev_b32 v169, 2, v169
	s_wait_dscnt 0x0
	v_ashrrev_i32_e32 v165, s19, v166
	v_and_b32_e32 v168, 0x4040404, v168
	s_delay_alu instid0(VALU_DEP_3) | instskip(NEXT) | instid1(VALU_DEP_3)
	v_and_b32_e32 v169, 0x4040404, v169
	v_and_b32_e32 v166, 0x3030303, v165
	v_bfe_u32 v165, v165, 24, 2
	s_delay_alu instid0(VALU_DEP_4) | instskip(SKIP_1) | instid1(VALU_DEP_4)
	v_dual_lshrrev_b32 v183, 24, v168 :: v_dual_lshrrev_b32 v184, 16, v168
	v_lshrrev_b16 v181, 8, v168
	v_lshrrev_b32_e32 v180, 16, v166
	v_lshrrev_b16 v179, 8, v166
	s_delay_alu instid0(VALU_DEP_4) | instskip(SKIP_1) | instid1(VALU_DEP_4)
	v_sub_nc_u16 v165, v165, v183
	v_lshrrev_b32_e32 v183, 16, v169
	v_sub_nc_u16 v209, v180, v184
	v_sub_nc_u16 v180, v166, v168
	s_delay_alu instid0(VALU_DEP_4) | instskip(NEXT) | instid1(VALU_DEP_1)
	v_lshlrev_b16 v165, 8, v165
	v_bitop3_b16 v210, v209, v165, 0xff bitop3:0xec
	v_sub_nc_u16 v165, v179, v181
	v_lshrrev_b32_e32 v181, 24, v169
	v_lshrrev_b16 v179, 8, v169
	s_delay_alu instid0(VALU_DEP_3) | instskip(SKIP_1) | instid1(VALU_DEP_1)
	v_lshlrev_b16 v211, 8, v165
	v_ashrrev_i32_e32 v165, s19, v167
	v_and_b32_e32 v166, 0x3030303, v165
	v_bfe_u32 v165, v165, 24, 2
	s_delay_alu instid0(VALU_DEP_2) | instskip(SKIP_1) | instid1(VALU_DEP_3)
	v_lshrrev_b32_e32 v168, 16, v166
	v_lshrrev_b16 v167, 8, v166
	v_sub_nc_u16 v165, v165, v181
	v_sub_nc_u16 v181, v166, v169
	s_delay_alu instid0(VALU_DEP_4) | instskip(SKIP_2) | instid1(VALU_DEP_1)
	v_sub_nc_u16 v212, v168, v183
	ds_load_2addr_b32 v[168:169], v172 offset0:4 offset1:5
	v_lshlrev_b16 v165, 8, v165
	v_bitop3_b16 v213, v212, v165, 0xff bitop3:0xec
	v_sub_nc_u16 v165, v167, v179
	ds_load_2addr_b32 v[166:167], v215 offset0:4 offset1:5
	v_lshlrev_b16 v214, 8, v165
	s_wait_dscnt 0x1
	v_dual_ashrrev_i32 v168, s18, v168 :: v_dual_ashrrev_i32 v169, s18, v169
	s_delay_alu instid0(VALU_DEP_1) | instskip(SKIP_2) | instid1(VALU_DEP_2)
	v_dual_lshlrev_b32 v168, 2, v168 :: v_dual_lshlrev_b32 v169, 2, v169
	s_wait_dscnt 0x0
	v_ashrrev_i32_e32 v165, s19, v166
	v_and_b32_e32 v168, 0x4040404, v168
	s_delay_alu instid0(VALU_DEP_3) | instskip(NEXT) | instid1(VALU_DEP_3)
	v_and_b32_e32 v169, 0x4040404, v169
	v_and_b32_e32 v166, 0x3030303, v165
	v_bfe_u32 v165, v165, 24, 2
	s_delay_alu instid0(VALU_DEP_4) | instskip(SKIP_1) | instid1(VALU_DEP_4)
	v_dual_lshrrev_b32 v185, 24, v168 :: v_dual_lshrrev_b32 v186, 16, v168
	v_lshrrev_b16 v184, 8, v168
	v_lshrrev_b32_e32 v183, 16, v166
	v_lshrrev_b16 v179, 8, v166
	s_delay_alu instid0(VALU_DEP_4) | instskip(SKIP_1) | instid1(VALU_DEP_4)
	v_sub_nc_u16 v165, v165, v185
	v_dual_lshrrev_b32 v187, 24, v169 :: v_dual_lshrrev_b32 v188, 16, v169
	v_sub_nc_u16 v183, v183, v186
	v_lshrrev_b16 v186, 8, v169
	s_delay_alu instid0(VALU_DEP_4) | instskip(NEXT) | instid1(VALU_DEP_1)
	v_lshlrev_b16 v165, 8, v165
	v_bitop3_b16 v185, v183, v165, 0xff bitop3:0xec
	v_sub_nc_u16 v165, v179, v184
	v_sub_nc_u16 v184, v166, v168
	s_delay_alu instid0(VALU_DEP_2) | instskip(SKIP_1) | instid1(VALU_DEP_1)
	v_lshlrev_b16 v179, 8, v165
	v_ashrrev_i32_e32 v165, s19, v167
	v_and_b32_e32 v166, 0x3030303, v165
	v_bfe_u32 v165, v165, 24, 2
	s_delay_alu instid0(VALU_DEP_2) | instskip(SKIP_2) | instid1(VALU_DEP_4)
	v_lshrrev_b32_e32 v168, 16, v166
	v_lshrrev_b16 v167, 8, v166
	v_sub_nc_u16 v189, v166, v169
	v_sub_nc_u16 v165, v165, v187
	s_delay_alu instid0(VALU_DEP_4) | instskip(SKIP_2) | instid1(VALU_DEP_1)
	v_sub_nc_u16 v188, v168, v188
	ds_load_2addr_b32 v[168:169], v172 offset0:6 offset1:7
	v_lshlrev_b16 v165, 8, v165
	v_bitop3_b16 v187, v188, v165, 0xff bitop3:0xec
	v_sub_nc_u16 v165, v167, v186
	ds_load_2addr_b32 v[166:167], v215 offset0:6 offset1:7
	v_lshlrev_b16 v186, 8, v165
	s_delay_alu instid0(VALU_DEP_1) | instskip(SKIP_2) | instid1(VALU_DEP_1)
	v_perm_b32 v186, v186, v186, 0xc0c0c01
	s_wait_dscnt 0x1
	v_dual_ashrrev_i32 v168, s18, v168 :: v_dual_ashrrev_i32 v169, s18, v169
	v_dual_lshlrev_b32 v168, 2, v168 :: v_dual_lshlrev_b32 v169, 2, v169
	s_wait_dscnt 0x0
	v_ashrrev_i32_e32 v165, s19, v166
	s_delay_alu instid0(VALU_DEP_2) | instskip(NEXT) | instid1(VALU_DEP_3)
	v_and_b32_e32 v168, 0x4040404, v168
	v_and_b32_e32 v169, 0x4040404, v169
	s_delay_alu instid0(VALU_DEP_3) | instskip(SKIP_1) | instid1(VALU_DEP_4)
	v_and_b32_e32 v166, 0x3030303, v165
	v_bfe_u32 v165, v165, 24, 2
	v_dual_lshrrev_b32 v192, 24, v168 :: v_dual_lshrrev_b32 v193, 16, v168
	v_lshrrev_b16 v172, 8, v168
	s_delay_alu instid0(VALU_DEP_4) | instskip(SKIP_1) | instid1(VALU_DEP_4)
	v_lshrrev_b32_e32 v191, 16, v166
	v_lshrrev_b16 v190, 8, v166
	v_sub_nc_u16 v165, v165, v192
	v_lshrrev_b32_e32 v192, 16, v169
	s_delay_alu instid0(VALU_DEP_4) | instskip(SKIP_1) | instid1(VALU_DEP_4)
	v_sub_nc_u16 v216, v191, v193
	v_sub_nc_u16 v191, v166, v168
	v_lshlrev_b16 v165, 8, v165
	s_delay_alu instid0(VALU_DEP_1) | instskip(SKIP_3) | instid1(VALU_DEP_3)
	v_bitop3_b16 v217, v216, v165, 0xff bitop3:0xec
	v_sub_nc_u16 v165, v190, v172
	v_lshrrev_b32_e32 v190, 24, v169
	v_lshrrev_b16 v172, 8, v169
	v_lshlrev_b16 v218, 8, v165
	v_ashrrev_i32_e32 v165, s19, v167
	s_delay_alu instid0(VALU_DEP_1) | instskip(SKIP_1) | instid1(VALU_DEP_2)
	v_and_b32_e32 v166, 0x3030303, v165
	v_bfe_u32 v165, v165, 24, 2
	v_lshrrev_b32_e32 v168, 16, v166
	v_lshrrev_b16 v167, 8, v166
	s_delay_alu instid0(VALU_DEP_3)
	v_sub_nc_u16 v165, v165, v190
	v_sub_nc_u16 v190, v166, v169
	v_bfe_i32 v166, v173, 0, 8
	v_sub_nc_u16 v220, v168, v192
	v_add_nc_u32_e32 v192, s21, v55
	v_lshlrev_b16 v165, 8, v165
	s_delay_alu instid0(VALU_DEP_4) | instskip(NEXT) | instid1(VALU_DEP_2)
	v_mul_i32_i24_e32 v168, v166, v207
	v_bitop3_b16 v221, v220, v165, 0xff bitop3:0xec
	v_sub_nc_u16 v165, v167, v172
	v_bfe_i32 v167, v170, 8, 8
	v_bfe_i32 v172, v214, 8, 8
	;; [unrolled: 1-line block ×3, first 2 shown]
	s_delay_alu instid0(VALU_DEP_4) | instskip(NEXT) | instid1(VALU_DEP_4)
	v_lshlrev_b16 v222, 8, v165
	v_mad_i32_i24 v169, v167, v208, v168
	v_perm_b32 v168, v174, v171, 0xc0c0500
	v_add3_u32 v165, s22, v163, v138
	v_bfe_i32 v171, v211, 8, 8
	s_delay_alu instid0(VALU_DEP_3)
	v_dot4_i32_iu8 v0, v168, v239, v169 neg_lo:[1,1,0]
	v_bfe_i32 v169, v180, 0, 8
	v_mul_i32_i24_e32 v180, v230, v172
	v_perm_b32 v172, v176, v177, 0xc05000c
	ds_load_b32 v165, v165
	v_mul_i32_i24_e32 v174, v228, v171
	v_bfe_i32 v171, v181, 0, 8
	v_mad_i32_i24 v0, v170, v205, v0
	v_or_b32_e32 v172, v172, v175
	v_mul_i32_i24_e32 v173, v202, v169
	v_bfe_i32 v175, v179, 8, 8
	v_mul_i32_i24_e32 v178, v229, v171
	v_bfe_i32 v179, v218, 8, 8
	v_dot4_i32_iu8 v0, v172, v231, v0 neg_lo:[1,1,0]
	s_delay_alu instid0(VALU_DEP_1)
	v_add3_u32 v0, v0, v173, v174
	v_perm_b32 v173, v210, v209, 0xc0c0500
	v_bfe_i32 v174, v184, 0, 8
	v_mul_i32_i24_e32 v184, v236, v179
	v_bfe_i32 v179, v190, 0, 8
	v_perm_b32 v209, v210, v209, 0xc05000c
	v_perm_b32 v210, v211, v211, 0xc0c0c01
	v_perm_b32 v211, v213, v212, 0xc05000c
	v_dot4_i32_iu8 v0, v232, v173, v0 neg_lo:[1,1,0]
	v_mul_i32_i24_e32 v176, v174, v203
	v_perm_b32 v173, v213, v212, 0xc0c0500
	v_perm_b32 v212, v214, v214, 0xc0c0c01
	v_or_b32_e32 v209, v209, v210
	v_perm_b32 v213, v217, v216, 0xc05000c
	v_perm_b32 v214, v218, v218, 0xc0c0c01
	v_add3_u32 v0, v0, v178, v180
	v_mad_i32_i24 v177, v175, v204, v176
	v_perm_b32 v176, v185, v183, 0xc0c0500
	v_bfe_i32 v180, v222, 8, 8
	v_bfe_i32 v178, v189, 0, 8
	v_mul_i32_i24_e32 v185, v182, v179
	v_dot4_i32_iu8 v0, v233, v173, v0 neg_lo:[1,1,0]
	ds_load_u16 v173, v192
	v_dot4_i32_iu8 v4, v176, v241, v177 neg_lo:[1,1,0]
	v_mul_i32_i24_e32 v189, v237, v180
	v_perm_b32 v180, v187, v188, 0xc05000c
	v_bfe_i32 v177, v191, 0, 8
	s_delay_alu instid0(VALU_DEP_4) | instskip(NEXT) | instid1(VALU_DEP_3)
	v_mad_i32_i24 v4, v178, v200, v4
	v_or_b32_e32 v180, v180, v186
	s_delay_alu instid0(VALU_DEP_3) | instskip(NEXT) | instid1(VALU_DEP_2)
	v_mul_i32_i24_e32 v183, v114, v177
	v_dot4_i32_iu8 v4, v180, v238, v4 neg_lo:[1,1,0]
	s_delay_alu instid0(VALU_DEP_1)
	v_add3_u32 v4, v4, v183, v184
	v_perm_b32 v183, v217, v216, 0xc0c0500
	v_perm_b32 v216, v222, v222, 0xc0c0c01
	s_wait_dscnt 0x0
	v_lshrrev_b16 v181, 8, v173
	v_bfe_i32 v173, v173, 0, 8
	v_dot4_i32_iu8 v4, v242, v183, v4 neg_lo:[1,1,0]
	v_perm_b32 v183, v221, v220, 0xc0c0500
	s_delay_alu instid0(VALU_DEP_4) | instskip(NEXT) | instid1(VALU_DEP_4)
	v_bfe_i32 v181, v181, 0, 8
	v_mul_lo_u32 v0, v0, v173
	s_delay_alu instid0(VALU_DEP_4) | instskip(SKIP_1) | instid1(VALU_DEP_2)
	v_add3_u32 v4, v4, v185, v189
	v_add3_u32 v189, s20, v139, v130
	v_dot4_i32_iu8 v4, v243, v183, v4 neg_lo:[1,1,0]
	ds_load_2addr_b32 v[186:187], v189 offset1:1
	v_mad_u32 v0, v4, v181, v0
	v_mul_f32_e32 v4, v115, v165
	s_delay_alu instid0(VALU_DEP_2) | instskip(NEXT) | instid1(VALU_DEP_1)
	v_cvt_f32_i32_e32 v0, v0
	v_mul_f32_e32 v4, v4, v0
	v_add_nc_u32_e32 v0, 0x1080, v215
	s_wait_dscnt 0x0
	v_ashrrev_i32_e32 v187, s18, v187
	ds_load_2addr_b32 v[184:185], v0 offset1:1
	v_dual_ashrrev_i32 v186, s18, v186 :: v_dual_lshlrev_b32 v187, 2, v187
	s_delay_alu instid0(VALU_DEP_1) | instskip(NEXT) | instid1(VALU_DEP_2)
	v_lshlrev_b32_e32 v186, 2, v186
	v_and_b32_e32 v187, 0x4040404, v187
	s_delay_alu instid0(VALU_DEP_2) | instskip(NEXT) | instid1(VALU_DEP_2)
	v_and_b32_e32 v186, 0x4040404, v186
	v_dual_lshrrev_b32 v193, 24, v187 :: v_dual_lshrrev_b32 v194, 16, v187
	s_delay_alu instid0(VALU_DEP_2) | instskip(SKIP_3) | instid1(VALU_DEP_1)
	v_lshrrev_b16 v190, 8, v186
	v_dual_lshrrev_b32 v191, 24, v186 :: v_dual_lshrrev_b32 v192, 16, v186
	s_wait_dscnt 0x0
	v_ashrrev_i32_e32 v0, s19, v184
	v_and_b32_e32 v183, 0x3030303, v0
	v_bfe_u32 v0, v0, 24, 2
	s_delay_alu instid0(VALU_DEP_2) | instskip(SKIP_1) | instid1(VALU_DEP_3)
	v_lshrrev_b16 v184, 8, v183
	v_lshrrev_b32_e32 v188, 16, v183
	v_sub_nc_u16 v0, v0, v191
	v_sub_nc_u16 v191, v183, v186
	v_ashrrev_i32_e32 v183, s19, v185
	v_sub_nc_u16 v184, v184, v190
	v_sub_nc_u16 v188, v188, v192
	v_lshrrev_b16 v192, 8, v187
	v_lshlrev_b16 v0, 8, v0
	s_delay_alu instid0(VALU_DEP_4) | instskip(SKIP_2) | instid1(VALU_DEP_4)
	v_lshlrev_b16 v190, 8, v184
	v_and_b32_e32 v184, 0x3030303, v183
	v_bfe_u32 v183, v183, 24, 2
	v_bitop3_b16 v0, v188, v0, 0xff bitop3:0xec
	s_delay_alu instid0(VALU_DEP_3) | instskip(SKIP_3) | instid1(VALU_DEP_4)
	v_lshrrev_b32_e32 v186, 16, v184
	v_lshrrev_b16 v185, 8, v184
	v_sub_nc_u16 v195, v184, v187
	v_sub_nc_u16 v183, v183, v193
	;; [unrolled: 1-line block ×3, first 2 shown]
	ds_load_2addr_b32 v[186:187], v189 offset0:2 offset1:3
	v_lshlrev_b16 v183, 8, v183
	s_delay_alu instid0(VALU_DEP_1) | instskip(SKIP_1) | instid1(VALU_DEP_1)
	v_bitop3_b16 v193, v194, v183, 0xff bitop3:0xec
	v_sub_nc_u16 v183, v185, v192
	v_lshlrev_b16 v192, 8, v183
	v_add_nc_u32_e32 v183, 0x1088, v215
	s_delay_alu instid0(VALU_DEP_2) | instskip(SKIP_3) | instid1(VALU_DEP_1)
	v_perm_b32 v192, v192, v192, 0xc0c0c01
	ds_load_2addr_b32 v[184:185], v183 offset1:1
	s_wait_dscnt 0x1
	v_dual_ashrrev_i32 v186, s18, v186 :: v_dual_ashrrev_i32 v187, s18, v187
	v_dual_lshlrev_b32 v186, 2, v186 :: v_dual_lshlrev_b32 v187, 2, v187
	s_delay_alu instid0(VALU_DEP_1) | instskip(NEXT) | instid1(VALU_DEP_2)
	v_and_b32_e32 v186, 0x4040404, v186
	v_and_b32_e32 v187, 0x4040404, v187
	s_delay_alu instid0(VALU_DEP_2) | instskip(SKIP_3) | instid1(VALU_DEP_1)
	v_dual_lshrrev_b32 v199, 24, v186 :: v_dual_lshrrev_b32 v219, 16, v186
	v_lshrrev_b16 v198, 8, v186
	s_wait_dscnt 0x0
	v_ashrrev_i32_e32 v183, s19, v184
	v_and_b32_e32 v184, 0x3030303, v183
	s_delay_alu instid0(VALU_DEP_1) | instskip(SKIP_2) | instid1(VALU_DEP_3)
	v_lshrrev_b32_e32 v197, 16, v184
	v_bfe_u32 v183, v183, 24, 2
	v_lshrrev_b16 v196, 8, v184
	v_sub_nc_u16 v248, v197, v219
	s_delay_alu instid0(VALU_DEP_3) | instskip(SKIP_2) | instid1(VALU_DEP_3)
	v_sub_nc_u16 v183, v183, v199
	v_sub_nc_u16 v197, v184, v186
	v_lshrrev_b32_e32 v199, 16, v187
	v_lshlrev_b16 v183, 8, v183
	s_delay_alu instid0(VALU_DEP_1) | instskip(SKIP_3) | instid1(VALU_DEP_3)
	v_bitop3_b16 v249, v248, v183, 0xff bitop3:0xec
	v_sub_nc_u16 v183, v196, v198
	v_lshrrev_b32_e32 v198, 24, v187
	v_lshrrev_b16 v196, 8, v187
	v_lshlrev_b16 v250, 8, v183
	v_ashrrev_i32_e32 v183, s19, v185
	s_delay_alu instid0(VALU_DEP_1) | instskip(SKIP_1) | instid1(VALU_DEP_2)
	v_and_b32_e32 v184, 0x3030303, v183
	v_bfe_u32 v183, v183, 24, 2
	v_lshrrev_b32_e32 v186, 16, v184
	v_lshrrev_b16 v185, 8, v184
	s_delay_alu instid0(VALU_DEP_3) | instskip(SKIP_1) | instid1(VALU_DEP_4)
	v_sub_nc_u16 v183, v183, v198
	v_sub_nc_u16 v198, v184, v187
	;; [unrolled: 1-line block ×3, first 2 shown]
	ds_load_2addr_b32 v[186:187], v189 offset0:4 offset1:5
	v_lshlrev_b16 v183, 8, v183
	s_delay_alu instid0(VALU_DEP_1) | instskip(SKIP_1) | instid1(VALU_DEP_1)
	v_bitop3_b16 v252, v251, v183, 0xff bitop3:0xec
	v_sub_nc_u16 v183, v185, v196
	v_lshlrev_b16 v253, 8, v183
	v_add_nc_u32_e32 v183, 0x1090, v215
	ds_load_2addr_b32 v[184:185], v183 offset1:1
	s_wait_dscnt 0x1
	v_dual_ashrrev_i32 v186, s18, v186 :: v_dual_ashrrev_i32 v187, s18, v187
	s_delay_alu instid0(VALU_DEP_1) | instskip(NEXT) | instid1(VALU_DEP_1)
	v_dual_lshlrev_b32 v186, 2, v186 :: v_dual_lshlrev_b32 v187, 2, v187
	v_and_b32_e32 v186, 0x4040404, v186
	s_delay_alu instid0(VALU_DEP_2) | instskip(NEXT) | instid1(VALU_DEP_2)
	v_and_b32_e32 v187, 0x4040404, v187
	v_dual_lshrrev_b32 v223, 24, v186 :: v_dual_lshrrev_b32 v224, 16, v186
	v_lshrrev_b16 v219, 8, v186
	s_wait_dscnt 0x0
	s_delay_alu instid0(VALU_DEP_3) | instskip(SKIP_1) | instid1(VALU_DEP_2)
	v_dual_ashrrev_i32 v183, s19, v184 :: v_dual_lshrrev_b32 v225, 24, v187
	v_lshrrev_b32_e32 v226, 16, v187
	v_and_b32_e32 v184, 0x3030303, v183
	s_delay_alu instid0(VALU_DEP_1) | instskip(SKIP_2) | instid1(VALU_DEP_3)
	v_lshrrev_b32_e32 v199, 16, v184
	v_bfe_u32 v183, v183, 24, 2
	v_lshrrev_b16 v196, 8, v184
	v_sub_nc_u16 v199, v199, v224
	s_delay_alu instid0(VALU_DEP_3) | instskip(SKIP_1) | instid1(VALU_DEP_2)
	v_sub_nc_u16 v183, v183, v223
	v_lshrrev_b16 v224, 8, v187
	v_lshlrev_b16 v183, 8, v183
	s_delay_alu instid0(VALU_DEP_1) | instskip(SKIP_2) | instid1(VALU_DEP_2)
	v_bitop3_b16 v223, v199, v183, 0xff bitop3:0xec
	v_sub_nc_u16 v183, v196, v219
	v_sub_nc_u16 v219, v184, v186
	v_lshlrev_b16 v196, 8, v183
	v_ashrrev_i32_e32 v183, s19, v185
	s_delay_alu instid0(VALU_DEP_1) | instskip(SKIP_1) | instid1(VALU_DEP_2)
	v_and_b32_e32 v184, 0x3030303, v183
	v_bfe_u32 v183, v183, 24, 2
	v_lshrrev_b32_e32 v186, 16, v184
	v_lshrrev_b16 v185, 8, v184
	v_sub_nc_u16 v227, v184, v187
	s_delay_alu instid0(VALU_DEP_4) | instskip(NEXT) | instid1(VALU_DEP_4)
	v_sub_nc_u16 v183, v183, v225
	v_sub_nc_u16 v226, v186, v226
	ds_load_2addr_b32 v[186:187], v189 offset0:6 offset1:7
	v_lshlrev_b16 v183, 8, v183
	s_delay_alu instid0(VALU_DEP_1) | instskip(SKIP_1) | instid1(VALU_DEP_1)
	v_bitop3_b16 v225, v226, v183, 0xff bitop3:0xec
	v_sub_nc_u16 v183, v185, v224
	v_lshlrev_b16 v224, 8, v183
	v_add_nc_u32_e32 v183, 0x1098, v215
	s_delay_alu instid0(VALU_DEP_2) | instskip(SKIP_3) | instid1(VALU_DEP_1)
	v_perm_b32 v224, v224, v224, 0xc0c0c01
	ds_load_2addr_b32 v[184:185], v183 offset1:1
	s_wait_dscnt 0x1
	v_dual_ashrrev_i32 v186, s18, v186 :: v_dual_ashrrev_i32 v187, s18, v187
	v_dual_lshlrev_b32 v186, 2, v186 :: v_dual_lshlrev_b32 v187, 2, v187
	s_delay_alu instid0(VALU_DEP_1) | instskip(NEXT) | instid1(VALU_DEP_2)
	v_and_b32_e32 v186, 0x4040404, v186
	v_and_b32_e32 v187, 0x4040404, v187
	s_delay_alu instid0(VALU_DEP_2) | instskip(SKIP_3) | instid1(VALU_DEP_1)
	v_dual_lshrrev_b32 v240, 24, v186 :: v_dual_lshrrev_b32 v244, 16, v186
	v_lshrrev_b16 v189, 8, v186
	s_wait_dscnt 0x0
	v_ashrrev_i32_e32 v183, s19, v184
	v_and_b32_e32 v184, 0x3030303, v183
	s_delay_alu instid0(VALU_DEP_1) | instskip(SKIP_2) | instid1(VALU_DEP_3)
	v_lshrrev_b32_e32 v235, 16, v184
	v_bfe_u32 v183, v183, 24, 2
	v_lshrrev_b16 v234, 8, v184
	v_sub_nc_u16 v254, v235, v244
	s_delay_alu instid0(VALU_DEP_3) | instskip(SKIP_2) | instid1(VALU_DEP_3)
	v_sub_nc_u16 v183, v183, v240
	v_sub_nc_u16 v235, v184, v186
	v_lshrrev_b32_e32 v240, 16, v187
	v_lshlrev_b16 v183, 8, v183
	s_delay_alu instid0(VALU_DEP_1) | instskip(SKIP_3) | instid1(VALU_DEP_4)
	v_bitop3_b16 v255, v254, v183, 0xff bitop3:0xec
	v_sub_nc_u16 v183, v234, v189
	v_lshrrev_b32_e32 v234, 24, v187
	v_lshrrev_b16 v189, 8, v187
	v_perm_b32 v217, v255, v254, 0xc05000c
	s_set_vgpr_msb 64                       ;  msbs: dst=1 src0=0 src1=0 src2=0
	v_lshlrev_b16 v0 /*v256*/, 8, v183
	s_set_vgpr_msb 0                        ;  msbs: dst=0 src0=0 src1=0 src2=0
	v_ashrrev_i32_e32 v183, s19, v185
	s_set_vgpr_msb 5                        ;  msbs: dst=0 src0=1 src1=1 src2=0
	s_delay_alu instid0(VALU_DEP_2) | instskip(SKIP_1) | instid1(VALU_DEP_2)
	v_perm_b32 v218, v0 /*v256*/, v0 /*v256*/, 0xc0c0c01
	s_set_vgpr_msb 0                        ;  msbs: dst=0 src0=0 src1=0 src2=0
	v_and_b32_e32 v184, 0x3030303, v183
	v_bfe_u32 v183, v183, 24, 2
	s_delay_alu instid0(VALU_DEP_2) | instskip(SKIP_1) | instid1(VALU_DEP_3)
	v_dual_lshrrev_b32 v186, 16, v184 :: v_dual_bitop2_b32 v217, v217, v218 bitop3:0x54
	v_lshrrev_b16 v185, 8, v184
	v_sub_nc_u16 v183, v183, v234
	v_sub_nc_u16 v234, v184, v187
	v_bfe_i32 v184, v191, 0, 8
	s_set_vgpr_msb 64                       ;  msbs: dst=1 src0=0 src1=0 src2=0
	v_sub_nc_u16 v1 /*v257*/, v186, v240
	s_set_vgpr_msb 0                        ;  msbs: dst=0 src0=0 src1=0 src2=0
	v_lshlrev_b16 v183, 8, v183
	v_mul_i32_i24_e32 v186, v184, v207
	s_set_vgpr_msb 0x41                     ;  msbs: dst=1 src0=1 src1=0 src2=0
	s_delay_alu instid0(VALU_DEP_2)
	v_bitop3_b16 v2 /*v258*/, v1 /*v257*/, v183, 0xff bitop3:0xec
	s_set_vgpr_msb 0                        ;  msbs: dst=0 src0=0 src1=0 src2=0
	v_sub_nc_u16 v183, v185, v189
	v_bfe_i32 v185, v190, 8, 8
	v_bfe_i32 v189, v250, 8, 8
	;; [unrolled: 1-line block ×3, first 2 shown]
	s_set_vgpr_msb 5                        ;  msbs: dst=0 src0=1 src1=1 src2=0
	v_perm_b32 v218, v2 /*v258*/, v1 /*v257*/, 0xc05000c
	s_set_vgpr_msb 64                       ;  msbs: dst=1 src0=0 src1=0 src2=0
	v_lshlrev_b16 v3 /*v259*/, 8, v183
	s_set_vgpr_msb 0                        ;  msbs: dst=0 src0=0 src1=0 src2=0
	v_mad_i32_i24 v187, v185, v208, v186
	v_perm_b32 v186, v0, v188, 0xc0c0500
	v_bfe_i32 v188, v197, 0, 8
	v_add3_u32 v183, s22, v140, v131
	s_delay_alu instid0(VALU_DEP_3)
	v_dot4_i32_iu8 v0, v186, v239, v187 neg_lo:[1,1,0]
	v_bfe_i32 v187, v195, 0, 8
	v_mul_i32_i24_e32 v195, v228, v189
	v_bfe_i32 v189, v198, 0, 8
	v_mul_i32_i24_e32 v198, v230, v190
	v_perm_b32 v190, v193, v194, 0xc05000c
	v_add_nc_u32_e32 v240, s21, v57
	v_mul_i32_i24_e32 v191, v202, v188
	v_bfe_i32 v193, v196, 8, 8
	ds_load_b32 v183, v183
	v_bfe_i32 v196, v235, 0, 8
	v_mad_i32_i24 v0, v187, v205, v0
	v_or_b32_e32 v190, v190, v192
	v_bfe_i32 v192, v219, 0, 8
	v_mul_i32_i24_e32 v197, v229, v189
	s_delay_alu instid0(VALU_DEP_3) | instskip(NEXT) | instid1(VALU_DEP_3)
	v_dot4_i32_iu8 v0, v190, v231, v0 neg_lo:[1,1,0]
	v_mul_i32_i24_e32 v194, v192, v203
	s_delay_alu instid0(VALU_DEP_2) | instskip(SKIP_1) | instid1(VALU_DEP_3)
	v_add3_u32 v0, v0, v191, v195
	v_perm_b32 v191, v249, v248, 0xc0c0500
	v_mad_i32_i24 v195, v193, v204, v194
	v_perm_b32 v194, v223, v199, 0xc0c0500
	v_mul_i32_i24_e32 v199, v114, v196
	s_set_vgpr_msb 1                        ;  msbs: dst=0 src0=1 src1=0 src2=0
	v_bfe_i32 v223, v3 /*v259*/, 8, 8
	s_set_vgpr_msb 0                        ;  msbs: dst=0 src0=0 src1=0 src2=0
	v_dot4_i32_iu8 v0, v232, v191, v0 neg_lo:[1,1,0]
	v_perm_b32 v191, v252, v251, 0xc0c0500
	s_delay_alu instid0(VALU_DEP_3) | instskip(NEXT) | instid1(VALU_DEP_3)
	v_mul_i32_i24_e32 v223, v237, v223
	v_add3_u32 v0, v0, v197, v198
	v_dot4_i32_iu8 v198, v194, v241, v195 neg_lo:[1,1,0]
	v_bfe_i32 v195, v227, 0, 8
	s_set_vgpr_msb 1                        ;  msbs: dst=0 src0=1 src1=0 src2=0
	v_bfe_i32 v197, v0 /*v256*/, 8, 8
	s_set_vgpr_msb 0                        ;  msbs: dst=0 src0=0 src1=0 src2=0
	v_dot4_i32_iu8 v0, v233, v191, v0 neg_lo:[1,1,0]
	ds_load_u16 v191, v240
	v_mul_i32_i24_e32 v219, v236, v197
	v_bfe_i32 v197, v234, 0, 8
	v_mad_i32_i24 v234, v195, v200, v198
	v_perm_b32 v198, v225, v226, 0xc05000c
	s_delay_alu instid0(VALU_DEP_3) | instskip(NEXT) | instid1(VALU_DEP_2)
	v_mul_i32_i24_e32 v227, v182, v197
	v_or_b32_e32 v198, v198, v224
	s_delay_alu instid0(VALU_DEP_1) | instskip(SKIP_1) | instid1(VALU_DEP_2)
	v_dot4_i32_iu8 v224, v198, v238, v234 neg_lo:[1,1,0]
	v_add3_u32 v234, s20, v141, v132
	v_add3_u32 v199, v224, v199, v219
	v_perm_b32 v219, v255, v254, 0xc0c0500
	s_wait_dscnt 0x0
	v_lshrrev_b16 v240, 8, v191
	v_bfe_i32 v191, v191, 0, 8
	s_delay_alu instid0(VALU_DEP_3)
	v_dot4_i32_iu8 v199, v242, v219, v199 neg_lo:[1,1,0]
	s_set_vgpr_msb 5                        ;  msbs: dst=0 src0=1 src1=1 src2=0
	v_perm_b32 v219, v2 /*v258*/, v1 /*v257*/, 0xc0c0500
	s_set_vgpr_msb 0                        ;  msbs: dst=0 src0=0 src1=0 src2=0
	v_mul_lo_u32 v0, v0, v191
	v_add3_u32 v199, v199, v227, v223
	ds_load_2addr_b32 v[226:227], v234 offset1:1
	v_dot4_i32_iu8 v219, v243, v219, v199 neg_lo:[1,1,0]
	v_bfe_i32 v199, v240, 0, 8
	s_delay_alu instid0(VALU_DEP_1) | instskip(SKIP_3) | instid1(VALU_DEP_3)
	v_mad_u32 v0, v219, v199, v0
	v_mul_f32_e32 v219, v115, v183
	s_wait_dscnt 0x0
	v_ashrrev_i32_e32 v227, s18, v227
	v_cvt_f32_i32_e32 v0, v0
	s_delay_alu instid0(VALU_DEP_1) | instskip(SKIP_1) | instid1(VALU_DEP_2)
	v_dual_mul_f32 v240, v219, v0 :: v_dual_lshlrev_b32 v227, 2, v227
	v_add_nc_u32_e32 v0, 0x2100, v215
	v_and_b32_e32 v227, 0x4040404, v227
	ds_load_2addr_b32 v[224:225], v0 offset1:1
	v_dual_ashrrev_i32 v226, s18, v226 :: v_dual_lshrrev_b32 v246, 24, v227
	s_delay_alu instid0(VALU_DEP_1) | instskip(NEXT) | instid1(VALU_DEP_1)
	v_dual_lshrrev_b32 v247, 16, v227 :: v_dual_lshlrev_b32 v226, 2, v226
	v_and_b32_e32 v226, 0x4040404, v226
	s_delay_alu instid0(VALU_DEP_1) | instskip(SKIP_3) | instid1(VALU_DEP_1)
	v_lshrrev_b16 v235, 8, v226
	v_dual_lshrrev_b32 v244, 24, v226 :: v_dual_lshrrev_b32 v245, 16, v226
	s_wait_dscnt 0x0
	v_ashrrev_i32_e32 v0, s19, v224
	v_and_b32_e32 v219, 0x3030303, v0
	s_delay_alu instid0(VALU_DEP_1) | instskip(SKIP_2) | instid1(VALU_DEP_3)
	v_lshrrev_b16 v223, 8, v219
	v_lshrrev_b32_e32 v224, 16, v219
	v_bfe_u32 v0, v0, 24, 2
	v_sub_nc_u16 v223, v223, v235
	s_delay_alu instid0(VALU_DEP_3) | instskip(NEXT) | instid1(VALU_DEP_3)
	v_sub_nc_u16 v245, v224, v245
	v_sub_nc_u16 v0, v0, v244
	v_lshrrev_b16 v244, 8, v227
	s_delay_alu instid0(VALU_DEP_4) | instskip(SKIP_3) | instid1(VALU_DEP_3)
	v_lshlrev_b16 v235, 8, v223
	v_sub_nc_u16 v223, v219, v226
	v_ashrrev_i32_e32 v219, s19, v225
	v_lshlrev_b16 v0, 8, v0
	v_bfe_i32 v223, v223, 0, 8
	s_delay_alu instid0(VALU_DEP_3) | instskip(SKIP_1) | instid1(VALU_DEP_4)
	v_and_b32_e32 v224, 0x3030303, v219
	v_bfe_u32 v219, v219, 24, 2
	v_bitop3_b16 v0, v245, v0, 0xff bitop3:0xec
	s_delay_alu instid0(VALU_DEP_3)
	v_lshrrev_b32_e32 v226, 16, v224
	v_lshrrev_b16 v225, 8, v224
	s_set_vgpr_msb 64                       ;  msbs: dst=1 src0=0 src1=0 src2=0
	v_sub_nc_u16 v4 /*v260*/, v224, v227
	s_set_vgpr_msb 0                        ;  msbs: dst=0 src0=0 src1=0 src2=0
	v_sub_nc_u16 v219, v219, v246
	v_sub_nc_u16 v247, v226, v247
	ds_load_2addr_b32 v[226:227], v234 offset0:2 offset1:3
	v_lshlrev_b16 v219, 8, v219
	s_delay_alu instid0(VALU_DEP_1) | instskip(SKIP_1) | instid1(VALU_DEP_1)
	v_bitop3_b16 v246, v247, v219, 0xff bitop3:0xec
	v_sub_nc_u16 v219, v225, v244
	v_lshlrev_b16 v244, 8, v219
	v_add_nc_u32_e32 v219, 0x2108, v215
	s_delay_alu instid0(VALU_DEP_2) | instskip(SKIP_3) | instid1(VALU_DEP_1)
	v_perm_b32 v244, v244, v244, 0xc0c0c01
	ds_load_2addr_b32 v[224:225], v219 offset1:1
	s_wait_dscnt 0x1
	v_dual_ashrrev_i32 v226, s18, v226 :: v_dual_ashrrev_i32 v227, s18, v227
	v_dual_lshlrev_b32 v226, 2, v226 :: v_dual_lshlrev_b32 v227, 2, v227
	s_delay_alu instid0(VALU_DEP_1) | instskip(NEXT) | instid1(VALU_DEP_2)
	v_and_b32_e32 v226, 0x4040404, v226
	v_and_b32_e32 v227, 0x4040404, v227
	s_set_vgpr_msb 64                       ;  msbs: dst=1 src0=0 src1=0 src2=0
	s_delay_alu instid0(VALU_DEP_2) | instskip(NEXT) | instid1(VALU_DEP_2)
	v_dual_lshrrev_b32 v8 /*v264*/, 24, v226 :: v_dual_lshrrev_b32 v9 /*v265*/, 16, v226
	v_lshrrev_b32_e32 v10 /*v266*/, 24, v227
	v_lshrrev_b16 v7 /*v263*/, 8, v226
	s_wait_dscnt 0x0
	s_set_vgpr_msb 0                        ;  msbs: dst=0 src0=0 src1=0 src2=0
	v_ashrrev_i32_e32 v219, s19, v224
	s_set_vgpr_msb 64                       ;  msbs: dst=1 src0=0 src1=0 src2=0
	v_lshrrev_b32_e32 v11 /*v267*/, 16, v227
	s_set_vgpr_msb 0                        ;  msbs: dst=0 src0=0 src1=0 src2=0
	s_delay_alu instid0(VALU_DEP_2) | instskip(SKIP_2) | instid1(VALU_DEP_2)
	v_and_b32_e32 v224, 0x3030303, v219
	v_bfe_u32 v219, v219, 24, 2
	s_set_vgpr_msb 64                       ;  msbs: dst=1 src0=0 src1=0 src2=0
	v_lshrrev_b32_e32 v6 /*v262*/, 16, v224
	v_lshrrev_b16 v5 /*v261*/, 8, v224
	s_set_vgpr_msb 4                        ;  msbs: dst=0 src0=0 src1=1 src2=0
	v_sub_nc_u16 v219, v219, v8 /*v264*/
	s_set_vgpr_msb 0x45                     ;  msbs: dst=1 src0=1 src1=1 src2=0
	v_sub_nc_u16 v6 /*v262*/, v6 /*v262*/, v9 /*v265*/
	s_set_vgpr_msb 64                       ;  msbs: dst=1 src0=0 src1=0 src2=0
	v_sub_nc_u16 v9 /*v265*/, v224, v226
	s_set_vgpr_msb 0                        ;  msbs: dst=0 src0=0 src1=0 src2=0
	v_lshlrev_b16 v219, 8, v219
	s_set_vgpr_msb 0x41                     ;  msbs: dst=1 src0=1 src1=0 src2=0
	s_delay_alu instid0(VALU_DEP_1) | instskip(SKIP_4) | instid1(VALU_DEP_2)
	v_bitop3_b16 v8 /*v264*/, v6 /*v262*/, v219, 0xff bitop3:0xec
	s_set_vgpr_msb 5                        ;  msbs: dst=0 src0=1 src1=1 src2=0
	v_sub_nc_u16 v219, v5 /*v261*/, v7 /*v263*/
	s_set_vgpr_msb 64                       ;  msbs: dst=1 src0=0 src1=0 src2=0
	v_lshrrev_b16 v7 /*v263*/, 8, v227
	v_lshlrev_b16 v5 /*v261*/, 8, v219
	s_set_vgpr_msb 0                        ;  msbs: dst=0 src0=0 src1=0 src2=0
	v_ashrrev_i32_e32 v219, s19, v225
	s_delay_alu instid0(VALU_DEP_1) | instskip(SKIP_1) | instid1(VALU_DEP_2)
	v_and_b32_e32 v224, 0x3030303, v219
	v_bfe_u32 v219, v219, 24, 2
	v_lshrrev_b32_e32 v226, 16, v224
	s_set_vgpr_msb 4                        ;  msbs: dst=0 src0=0 src1=1 src2=0
	s_delay_alu instid0(VALU_DEP_2)
	v_sub_nc_u16 v219, v219, v10 /*v266*/
	s_set_vgpr_msb 0                        ;  msbs: dst=0 src0=0 src1=0 src2=0
	v_lshrrev_b16 v225, 8, v224
	s_set_vgpr_msb 64                       ;  msbs: dst=1 src0=0 src1=0 src2=0
	v_sub_nc_u16 v12 /*v268*/, v224, v227
	s_set_vgpr_msb 0x44                     ;  msbs: dst=1 src0=0 src1=1 src2=0
	v_sub_nc_u16 v11 /*v267*/, v226, v11 /*v267*/
	s_set_vgpr_msb 0                        ;  msbs: dst=0 src0=0 src1=0 src2=0
	v_lshlrev_b16 v219, 8, v219
	ds_load_2addr_b32 v[226:227], v234 offset0:4 offset1:5
	s_set_vgpr_msb 0x41                     ;  msbs: dst=1 src0=1 src1=0 src2=0
	v_bitop3_b16 v10 /*v266*/, v11 /*v267*/, v219, 0xff bitop3:0xec
	s_set_vgpr_msb 4                        ;  msbs: dst=0 src0=0 src1=1 src2=0
	v_sub_nc_u16 v219, v225, v7 /*v263*/
	s_set_vgpr_msb 64                       ;  msbs: dst=1 src0=0 src1=0 src2=0
	s_delay_alu instid0(VALU_DEP_1)
	v_lshlrev_b16 v7 /*v263*/, 8, v219
	s_set_vgpr_msb 0                        ;  msbs: dst=0 src0=0 src1=0 src2=0
	v_add_nc_u32_e32 v219, 0x2110, v215
	ds_load_2addr_b32 v[224:225], v219 offset1:1
	s_wait_dscnt 0x1
	v_dual_ashrrev_i32 v226, s18, v226 :: v_dual_ashrrev_i32 v227, s18, v227
	s_delay_alu instid0(VALU_DEP_1) | instskip(NEXT) | instid1(VALU_DEP_1)
	v_dual_lshlrev_b32 v226, 2, v226 :: v_dual_lshlrev_b32 v227, 2, v227
	v_and_b32_e32 v226, 0x4040404, v226
	s_delay_alu instid0(VALU_DEP_2) | instskip(SKIP_1) | instid1(VALU_DEP_2)
	v_and_b32_e32 v227, 0x4040404, v227
	s_set_vgpr_msb 64                       ;  msbs: dst=1 src0=0 src1=0 src2=0
	v_dual_lshrrev_b32 v16 /*v272*/, 24, v226 :: v_dual_lshrrev_b32 v17 /*v273*/, 16, v226
	s_wait_dscnt 0x0
	s_set_vgpr_msb 0                        ;  msbs: dst=0 src0=0 src1=0 src2=0
	v_ashrrev_i32_e32 v219, s19, v224
	s_set_vgpr_msb 64                       ;  msbs: dst=1 src0=0 src1=0 src2=0
	v_lshrrev_b16 v15 /*v271*/, 8, v226
	v_dual_lshrrev_b32 v18 /*v274*/, 24, v227 :: v_dual_lshrrev_b32 v19 /*v275*/, 16, v227
	s_set_vgpr_msb 0                        ;  msbs: dst=0 src0=0 src1=0 src2=0
	v_and_b32_e32 v224, 0x3030303, v219
	v_bfe_u32 v219, v219, 24, 2
	s_set_vgpr_msb 64                       ;  msbs: dst=1 src0=0 src1=0 src2=0
	s_delay_alu instid0(VALU_DEP_2)
	v_lshrrev_b32_e32 v14 /*v270*/, 16, v224
	v_lshrrev_b16 v13 /*v269*/, 8, v224
	s_set_vgpr_msb 4                        ;  msbs: dst=0 src0=0 src1=1 src2=0
	v_sub_nc_u16 v219, v219, v16 /*v272*/
	s_set_vgpr_msb 0x45                     ;  msbs: dst=1 src0=1 src1=1 src2=0
	v_sub_nc_u16 v14 /*v270*/, v14 /*v270*/, v17 /*v273*/
	s_set_vgpr_msb 64                       ;  msbs: dst=1 src0=0 src1=0 src2=0
	v_lshrrev_b16 v17 /*v273*/, 8, v227
	s_set_vgpr_msb 0                        ;  msbs: dst=0 src0=0 src1=0 src2=0
	v_lshlrev_b16 v219, 8, v219
	s_set_vgpr_msb 0x41                     ;  msbs: dst=1 src0=1 src1=0 src2=0
	s_delay_alu instid0(VALU_DEP_1) | instskip(SKIP_4) | instid1(VALU_DEP_2)
	v_bitop3_b16 v16 /*v272*/, v14 /*v270*/, v219, 0xff bitop3:0xec
	s_set_vgpr_msb 5                        ;  msbs: dst=0 src0=1 src1=1 src2=0
	v_sub_nc_u16 v219, v13 /*v269*/, v15 /*v271*/
	s_set_vgpr_msb 64                       ;  msbs: dst=1 src0=0 src1=0 src2=0
	v_sub_nc_u16 v15 /*v271*/, v224, v226
	v_lshlrev_b16 v13 /*v269*/, 8, v219
	s_set_vgpr_msb 0                        ;  msbs: dst=0 src0=0 src1=0 src2=0
	v_ashrrev_i32_e32 v219, s19, v225
	s_delay_alu instid0(VALU_DEP_1) | instskip(NEXT) | instid1(VALU_DEP_1)
	v_and_b32_e32 v224, 0x3030303, v219
	v_lshrrev_b32_e32 v226, 16, v224
	v_bfe_u32 v219, v219, 24, 2
	v_lshrrev_b16 v225, 8, v224
	s_set_vgpr_msb 64                       ;  msbs: dst=1 src0=0 src1=0 src2=0
	v_sub_nc_u16 v20 /*v276*/, v224, v227
	s_set_vgpr_msb 0x44                     ;  msbs: dst=1 src0=0 src1=1 src2=0
	v_sub_nc_u16 v19 /*v275*/, v226, v19 /*v275*/
	s_set_vgpr_msb 4                        ;  msbs: dst=0 src0=0 src1=1 src2=0
	v_sub_nc_u16 v219, v219, v18 /*v274*/
	ds_load_2addr_b32 v[226:227], v234 offset0:6 offset1:7
	s_set_vgpr_msb 0                        ;  msbs: dst=0 src0=0 src1=0 src2=0
	v_lshlrev_b16 v219, 8, v219
	s_set_vgpr_msb 0x41                     ;  msbs: dst=1 src0=1 src1=0 src2=0
	s_delay_alu instid0(VALU_DEP_1) | instskip(SKIP_3) | instid1(VALU_DEP_1)
	v_bitop3_b16 v18 /*v274*/, v19 /*v275*/, v219, 0xff bitop3:0xec
	s_set_vgpr_msb 4                        ;  msbs: dst=0 src0=0 src1=1 src2=0
	v_sub_nc_u16 v219, v225, v17 /*v273*/
	s_set_vgpr_msb 64                       ;  msbs: dst=1 src0=0 src1=0 src2=0
	v_lshlrev_b16 v17 /*v273*/, 8, v219
	s_set_vgpr_msb 0                        ;  msbs: dst=0 src0=0 src1=0 src2=0
	v_add_nc_u32_e32 v219, 0x2118, v215
	s_wait_dscnt 0x0
	v_ashrrev_i32_e32 v226, s18, v226
	ds_load_2addr_b32 v[224:225], v219 offset1:1
	v_dual_ashrrev_i32 v227, s18, v227 :: v_dual_lshlrev_b32 v226, 2, v226
	s_delay_alu instid0(VALU_DEP_1) | instskip(NEXT) | instid1(VALU_DEP_2)
	v_lshlrev_b32_e32 v227, 2, v227
	v_and_b32_e32 v226, 0x4040404, v226
	s_delay_alu instid0(VALU_DEP_2) | instskip(SKIP_1) | instid1(VALU_DEP_2)
	v_and_b32_e32 v227, 0x4040404, v227
	s_set_vgpr_msb 64                       ;  msbs: dst=1 src0=0 src1=0 src2=0
	v_dual_lshrrev_b32 v23 /*v279*/, 24, v226 :: v_dual_lshrrev_b32 v24 /*v280*/, 16, v226
	s_delay_alu instid0(VALU_DEP_2)
	v_lshrrev_b32_e32 v25 /*v281*/, 24, v227
	s_set_vgpr_msb 0                        ;  msbs: dst=0 src0=0 src1=0 src2=0
	v_lshrrev_b16 v234, 8, v226
	s_set_vgpr_msb 64                       ;  msbs: dst=1 src0=0 src1=0 src2=0
	v_lshrrev_b32_e32 v26 /*v282*/, 16, v227
	s_wait_dscnt 0x0
	s_set_vgpr_msb 0                        ;  msbs: dst=0 src0=0 src1=0 src2=0
	v_ashrrev_i32_e32 v219, s19, v224
	s_delay_alu instid0(VALU_DEP_1) | instskip(SKIP_2) | instid1(VALU_DEP_2)
	v_and_b32_e32 v224, 0x3030303, v219
	v_bfe_u32 v219, v219, 24, 2
	s_set_vgpr_msb 64                       ;  msbs: dst=1 src0=0 src1=0 src2=0
	v_lshrrev_b32_e32 v22 /*v278*/, 16, v224
	v_lshrrev_b16 v21 /*v277*/, 8, v224
	s_set_vgpr_msb 4                        ;  msbs: dst=0 src0=0 src1=1 src2=0
	v_sub_nc_u16 v219, v219, v23 /*v279*/
	s_set_vgpr_msb 0x45                     ;  msbs: dst=1 src0=1 src1=1 src2=0
	v_sub_nc_u16 v22 /*v278*/, v22 /*v278*/, v24 /*v280*/
	s_set_vgpr_msb 64                       ;  msbs: dst=1 src0=0 src1=0 src2=0
	v_sub_nc_u16 v24 /*v280*/, v224, v226
	s_set_vgpr_msb 0                        ;  msbs: dst=0 src0=0 src1=0 src2=0
	v_lshlrev_b16 v219, 8, v219
	s_set_vgpr_msb 0x41                     ;  msbs: dst=1 src0=1 src1=0 src2=0
	s_delay_alu instid0(VALU_DEP_1)
	v_bitop3_b16 v23 /*v279*/, v22 /*v278*/, v219, 0xff bitop3:0xec
	s_set_vgpr_msb 1                        ;  msbs: dst=0 src0=1 src1=0 src2=0
	v_sub_nc_u16 v219, v21 /*v277*/, v234
	v_lshrrev_b16 v234, 8, v227
	s_set_vgpr_msb 5                        ;  msbs: dst=0 src0=1 src1=1 src2=0
	v_perm_b32 v222, v23 /*v279*/, v22 /*v278*/, 0xc05000c
	s_set_vgpr_msb 64                       ;  msbs: dst=1 src0=0 src1=0 src2=0
	v_lshlrev_b16 v21 /*v277*/, 8, v219
	s_set_vgpr_msb 0                        ;  msbs: dst=0 src0=0 src1=0 src2=0
	v_ashrrev_i32_e32 v219, s19, v225
	s_delay_alu instid0(VALU_DEP_1) | instskip(SKIP_1) | instid1(VALU_DEP_2)
	v_and_b32_e32 v224, 0x3030303, v219
	v_bfe_u32 v219, v219, 24, 2
	v_lshrrev_b32_e32 v226, 16, v224
	s_set_vgpr_msb 4                        ;  msbs: dst=0 src0=0 src1=1 src2=0
	s_delay_alu instid0(VALU_DEP_2)
	v_sub_nc_u16 v219, v219, v25 /*v281*/
	s_set_vgpr_msb 0                        ;  msbs: dst=0 src0=0 src1=0 src2=0
	v_lshrrev_b16 v225, 8, v224
	s_set_vgpr_msb 64                       ;  msbs: dst=1 src0=0 src1=0 src2=0
	v_sub_nc_u16 v27 /*v283*/, v224, v227
	s_set_vgpr_msb 0                        ;  msbs: dst=0 src0=0 src1=0 src2=0
	v_bfe_i32 v224, v235, 8, 8
	s_set_vgpr_msb 1                        ;  msbs: dst=0 src0=1 src1=0 src2=0
	v_bfe_i32 v235, v5 /*v261*/, 8, 8
	v_bfe_i32 v227, v9 /*v265*/, 0, 8
	s_set_vgpr_msb 0x44                     ;  msbs: dst=1 src0=0 src1=1 src2=0
	v_sub_nc_u16 v26 /*v282*/, v226, v26 /*v282*/
	s_set_vgpr_msb 0                        ;  msbs: dst=0 src0=0 src1=0 src2=0
	v_lshlrev_b16 v219, 8, v219
	v_mul_i32_i24_e32 v235, v228, v235
	s_set_vgpr_msb 1                        ;  msbs: dst=0 src0=1 src1=0 src2=0
	v_bfe_i32 v228, v12 /*v268*/, 0, 8
	s_set_vgpr_msb 0x45                     ;  msbs: dst=1 src0=1 src1=1 src2=0
	v_perm_b32 v12 /*v268*/, v17 /*v273*/, v17 /*v273*/, 0xc0c0c01
	s_set_vgpr_msb 0x41                     ;  msbs: dst=1 src0=1 src1=0 src2=0
	v_bitop3_b16 v25 /*v281*/, v26 /*v282*/, v219, 0xff bitop3:0xec
	s_set_vgpr_msb 0                        ;  msbs: dst=0 src0=0 src1=0 src2=0
	v_sub_nc_u16 v219, v225, v234
	v_mul_i32_i24_e32 v225, v223, v207
	s_set_vgpr_msb 64                       ;  msbs: dst=1 src0=0 src1=0 src2=0
	v_mul_i32_i24_e32 v9 /*v265*/, v229, v228
	s_set_vgpr_msb 0                        ;  msbs: dst=0 src0=0 src1=0 src2=0
	v_perm_b32 v229, v246, v247, 0xc05000c
	v_add_nc_u32_e32 v234, s21, v59
	s_set_vgpr_msb 1                        ;  msbs: dst=0 src0=1 src1=0 src2=0
	v_bfe_i32 v246, v21 /*v277*/, 8, 8
	s_set_vgpr_msb 0                        ;  msbs: dst=0 src0=0 src1=0 src2=0
	v_mad_i32_i24 v226, v224, v208, v225
	v_perm_b32 v225, v0, v245, 0xc0c0500
	v_or_b32_e32 v229, v229, v244
	v_mul_i32_i24_e32 v245, v202, v227
	s_set_vgpr_msb 64                       ;  msbs: dst=1 src0=0 src1=0 src2=0
	v_lshlrev_b16 v28 /*v284*/, 8, v219
	s_set_vgpr_msb 0                        ;  msbs: dst=0 src0=0 src1=0 src2=0
	v_add3_u32 v219, s22, v142, v133
	v_mul_i32_i24_e32 v246, v236, v246
	s_set_vgpr_msb 1                        ;  msbs: dst=0 src0=1 src1=0 src2=0
	v_bfe_i32 v236, v27 /*v283*/, 0, 8
	s_set_vgpr_msb 0                        ;  msbs: dst=0 src0=0 src1=0 src2=0
	v_dot4_i32_iu8 v0, v225, v239, v226 neg_lo:[1,1,0]
	s_set_vgpr_msb 1                        ;  msbs: dst=0 src0=1 src1=0 src2=0
	v_bfe_i32 v226, v4 /*v260*/, 0, 8
	s_set_vgpr_msb 0x41                     ;  msbs: dst=1 src0=1 src1=0 src2=0
	v_bfe_i32 v4 /*v260*/, v7 /*v263*/, 8, 8
	s_set_vgpr_msb 0                        ;  msbs: dst=0 src0=0 src1=0 src2=0
	ds_load_b32 v219, v219
	v_mad_i32_i24 v0, v226, v205, v0
	s_set_vgpr_msb 4                        ;  msbs: dst=0 src0=0 src1=1 src2=0
	v_mul_i32_i24_e32 v230, v230, v4 /*v260*/
	s_set_vgpr_msb 0x41                     ;  msbs: dst=1 src0=1 src1=0 src2=0
	v_bfe_i32 v4 /*v260*/, v28 /*v284*/, 8, 8
	s_set_vgpr_msb 0                        ;  msbs: dst=0 src0=0 src1=0 src2=0
	v_dot4_i32_iu8 v0, v229, v231, v0 neg_lo:[1,1,0]
	s_set_vgpr_msb 5                        ;  msbs: dst=0 src0=1 src1=1 src2=0
	v_perm_b32 v231, v8 /*v264*/, v6 /*v262*/, 0xc0c0500
	s_set_vgpr_msb 0x44                     ;  msbs: dst=1 src0=0 src1=1 src2=0
	v_mul_i32_i24_e32 v4 /*v260*/, v237, v4 /*v260*/
	s_set_vgpr_msb 5                        ;  msbs: dst=0 src0=1 src1=1 src2=0
	v_perm_b32 v237, v18 /*v274*/, v19 /*v275*/, 0xc05000c
	s_set_vgpr_msb 0                        ;  msbs: dst=0 src0=0 src1=0 src2=0
	v_add3_u32 v0, v0, v245, v235
	s_set_vgpr_msb 1                        ;  msbs: dst=0 src0=1 src1=0 src2=0
	v_bfe_i32 v235, v24 /*v280*/, 0, 8
	s_set_vgpr_msb 4                        ;  msbs: dst=0 src0=0 src1=1 src2=0
	v_or_b32_e32 v237, v237, v12 /*v268*/
	s_set_vgpr_msb 0                        ;  msbs: dst=0 src0=0 src1=0 src2=0
	v_dot4_i32_iu8 v0, v232, v231, v0 neg_lo:[1,1,0]
	s_set_vgpr_msb 1                        ;  msbs: dst=0 src0=1 src1=0 src2=0
	v_bfe_i32 v231, v15 /*v271*/, 0, 8
	v_bfe_i32 v232, v13 /*v269*/, 8, 8
	s_set_vgpr_msb 0                        ;  msbs: dst=0 src0=0 src1=0 src2=0
	v_mul_i32_i24_e32 v247, v114, v235
	s_set_vgpr_msb 4                        ;  msbs: dst=0 src0=0 src1=1 src2=0
	v_add3_u32 v0, v0, v9 /*v265*/, v230
	s_set_vgpr_msb 5                        ;  msbs: dst=0 src0=1 src1=1 src2=0
	v_perm_b32 v230, v10 /*v266*/, v11 /*v267*/, 0xc0c0500
	s_set_vgpr_msb 64                       ;  msbs: dst=1 src0=0 src1=0 src2=0
	v_mul_i32_i24_e32 v9 /*v265*/, v182, v236
	s_set_vgpr_msb 0                        ;  msbs: dst=0 src0=0 src1=0 src2=0
	s_delay_alu instid0(VALU_DEP_2)
	v_dot4_i32_iu8 v0, v233, v230, v0 neg_lo:[1,1,0]
	v_mul_i32_i24_e32 v233, v231, v203
	ds_load_u16 v230, v234
	v_or_b32_e32 v213, v213, v214
	v_perm_b32 v214, v221, v220, 0xc05000c
	s_set_vgpr_msb 5                        ;  msbs: dst=0 src0=1 src1=1 src2=0
	v_perm_b32 v220, v3 /*v259*/, v3 /*v259*/, 0xc0c0c01
	v_perm_b32 v221, v7 /*v263*/, v7 /*v263*/, 0xc0c0c01
	s_set_vgpr_msb 0                        ;  msbs: dst=0 src0=0 src1=0 src2=0
	v_mad_i32_i24 v234, v232, v204, v233
	s_set_vgpr_msb 5                        ;  msbs: dst=0 src0=1 src1=1 src2=0
	v_perm_b32 v233, v16 /*v272*/, v14 /*v270*/, 0xc0c0500
	s_set_vgpr_msb 0                        ;  msbs: dst=0 src0=0 src1=0 src2=0
	v_or_b32_e32 v214, v214, v216
	v_perm_b32 v216, v253, v253, 0xc0c0c01
	v_or_b32_e32 v218, v218, v220
	s_set_vgpr_msb 5                        ;  msbs: dst=0 src0=1 src1=1 src2=0
	v_perm_b32 v220, v5 /*v261*/, v5 /*v261*/, 0xc0c0c01
	s_set_vgpr_msb 0                        ;  msbs: dst=0 src0=0 src1=0 src2=0
	v_dot4_i32_iu8 v245, v233, v241, v234 neg_lo:[1,1,0]
	s_set_vgpr_msb 1                        ;  msbs: dst=0 src0=1 src1=0 src2=0
	v_bfe_i32 v234, v20 /*v276*/, 0, 8
	s_set_vgpr_msb 0                        ;  msbs: dst=0 src0=0 src1=0 src2=0
	s_delay_alu instid0(VALU_DEP_1) | instskip(SKIP_3) | instid1(VALU_DEP_3)
	v_mad_i32_i24 v245, v234, v200, v245
	s_wait_dscnt 0x0
	v_lshrrev_b16 v244, 8, v230
	v_bfe_i32 v230, v230, 0, 8
	v_dot4_i32_iu8 v238, v237, v238, v245 neg_lo:[1,1,0]
	s_set_vgpr_msb 5                        ;  msbs: dst=0 src0=1 src1=1 src2=0
	v_perm_b32 v245, v23 /*v279*/, v22 /*v278*/, 0xc0c0500
	s_set_vgpr_msb 0                        ;  msbs: dst=0 src0=0 src1=0 src2=0
	v_mul_lo_u32 v0, v0, v230
	v_add3_u32 v238, v238, v247, v246
	s_delay_alu instid0(VALU_DEP_1) | instskip(SKIP_3) | instid1(VALU_DEP_2)
	v_dot4_i32_iu8 v238, v242, v245, v238 neg_lo:[1,1,0]
	s_set_vgpr_msb 5                        ;  msbs: dst=0 src0=1 src1=1 src2=0
	v_perm_b32 v242, v25 /*v281*/, v26 /*v282*/, 0xc0c0500
	s_set_vgpr_msb 20                       ;  msbs: dst=0 src0=0 src1=1 src2=1
	v_add3_u32 v238, v238, v9 /*v265*/, v4 /*v260*/
	s_set_vgpr_msb 64                       ;  msbs: dst=1 src0=0 src1=0 src2=0
	v_add3_u32 v9 /*v265*/, s20, v143, v134
	s_set_vgpr_msb 0                        ;  msbs: dst=0 src0=0 src1=0 src2=0
	s_delay_alu instid0(VALU_DEP_2)
	v_dot4_i32_iu8 v242, v243, v242, v238 neg_lo:[1,1,0]
	v_bfe_i32 v238, v244, 0, 8
	s_set_vgpr_msb 1                        ;  msbs: dst=0 src0=1 src1=0 src2=0
	ds_load_2addr_b32 v[246:247], v9 /*v265*/ offset1:1
	s_set_vgpr_msb 0                        ;  msbs: dst=0 src0=0 src1=0 src2=0
	v_mad_u32 v0, v242, v238, v0
	v_mul_f32_e32 v242, v115, v219
	s_delay_alu instid0(VALU_DEP_2) | instskip(NEXT) | instid1(VALU_DEP_1)
	v_cvt_f32_i32_e32 v0, v0
	v_mul_f32_e32 v242, v242, v0
	v_add_nc_u32_e32 v0, 0x3180, v215
	s_wait_dscnt 0x0
	v_dual_ashrrev_i32 v246, s18, v246 :: v_dual_ashrrev_i32 v247, s18, v247
	ds_load_2addr_b32 v[244:245], v0 offset1:1
	v_dual_lshlrev_b32 v246, 2, v246 :: v_dual_lshlrev_b32 v247, 2, v247
	s_delay_alu instid0(VALU_DEP_1) | instskip(NEXT) | instid1(VALU_DEP_2)
	v_and_b32_e32 v246, 0x4040404, v246
	v_and_b32_e32 v247, 0x4040404, v247
	s_set_vgpr_msb 64                       ;  msbs: dst=1 src0=0 src1=0 src2=0
	s_delay_alu instid0(VALU_DEP_2) | instskip(SKIP_1) | instid1(VALU_DEP_3)
	v_dual_lshrrev_b32 v13 /*v269*/, 24, v246 :: v_dual_lshrrev_b32 v14 /*v270*/, 16, v246
	v_lshrrev_b16 v12 /*v268*/, 8, v246
	v_dual_lshrrev_b32 v15 /*v271*/, 24, v247 :: v_dual_lshrrev_b32 v16 /*v272*/, 16, v247
	s_wait_dscnt 0x0
	s_set_vgpr_msb 0                        ;  msbs: dst=0 src0=0 src1=0 src2=0
	v_ashrrev_i32_e32 v0, s19, v244
	s_delay_alu instid0(VALU_DEP_1) | instskip(SKIP_2) | instid1(VALU_DEP_2)
	v_and_b32_e32 v243, 0x3030303, v0
	v_bfe_u32 v0, v0, 24, 2
	s_set_vgpr_msb 64                       ;  msbs: dst=1 src0=0 src1=0 src2=0
	v_lshrrev_b32_e32 v4 /*v260*/, 16, v243
	s_set_vgpr_msb 4                        ;  msbs: dst=0 src0=0 src1=1 src2=0
	s_delay_alu instid0(VALU_DEP_2)
	v_sub_nc_u16 v0, v0, v13 /*v269*/
	s_set_vgpr_msb 0                        ;  msbs: dst=0 src0=0 src1=0 src2=0
	v_lshrrev_b16 v244, 8, v243
	v_sub_nc_u16 v243, v243, v246
	s_set_vgpr_msb 0x45                     ;  msbs: dst=1 src0=1 src1=1 src2=0
	v_sub_nc_u16 v4 /*v260*/, v4 /*v260*/, v14 /*v270*/
	s_set_vgpr_msb 0                        ;  msbs: dst=0 src0=0 src1=0 src2=0
	v_lshlrev_b16 v0, 8, v0
	s_set_vgpr_msb 0x41                     ;  msbs: dst=1 src0=1 src1=0 src2=0
	v_lshrrev_b16 v14 /*v270*/, 8, v247
	s_delay_alu instid0(VALU_DEP_2) | instskip(SKIP_3) | instid1(VALU_DEP_1)
	v_bitop3_b16 v13 /*v269*/, v4 /*v260*/, v0, 0xff bitop3:0xec
	s_set_vgpr_msb 4                        ;  msbs: dst=0 src0=0 src1=1 src2=0
	v_sub_nc_u16 v0, v244, v12 /*v268*/
	s_set_vgpr_msb 64                       ;  msbs: dst=1 src0=0 src1=0 src2=0
	v_lshlrev_b16 v12 /*v268*/, 8, v0
	s_set_vgpr_msb 0                        ;  msbs: dst=0 src0=0 src1=0 src2=0
	v_ashrrev_i32_e32 v0, s19, v245
	s_set_vgpr_msb 0x41                     ;  msbs: dst=1 src0=1 src1=0 src2=0
	s_delay_alu instid0(VALU_DEP_2) | instskip(SKIP_1) | instid1(VALU_DEP_2)
	v_bfe_i32 v12 /*v268*/, v12 /*v268*/, 8, 8
	s_set_vgpr_msb 0                        ;  msbs: dst=0 src0=0 src1=0 src2=0
	v_and_b32_e32 v244, 0x3030303, v0
	v_bfe_u32 v0, v0, 24, 2
	s_delay_alu instid0(VALU_DEP_2)
	v_lshrrev_b32_e32 v246, 16, v244
	v_lshrrev_b16 v245, 8, v244
	s_set_vgpr_msb 64                       ;  msbs: dst=1 src0=0 src1=0 src2=0
	v_sub_nc_u16 v17 /*v273*/, v244, v247
	s_set_vgpr_msb 4                        ;  msbs: dst=0 src0=0 src1=1 src2=0
	v_sub_nc_u16 v0, v0, v15 /*v271*/
	s_set_vgpr_msb 0x44                     ;  msbs: dst=1 src0=0 src1=1 src2=0
	v_sub_nc_u16 v16 /*v272*/, v246, v16 /*v272*/
	s_set_vgpr_msb 1                        ;  msbs: dst=0 src0=1 src1=0 src2=0
	ds_load_2addr_b32 v[246:247], v9 /*v265*/ offset0:2 offset1:3
	v_lshlrev_b16 v0, 8, v0
	s_set_vgpr_msb 0x41                     ;  msbs: dst=1 src0=1 src1=0 src2=0
	s_delay_alu instid0(VALU_DEP_1) | instskip(SKIP_3) | instid1(VALU_DEP_1)
	v_bitop3_b16 v15 /*v271*/, v16 /*v272*/, v0, 0xff bitop3:0xec
	s_set_vgpr_msb 4                        ;  msbs: dst=0 src0=0 src1=1 src2=0
	v_sub_nc_u16 v0, v245, v14 /*v270*/
	s_set_vgpr_msb 64                       ;  msbs: dst=1 src0=0 src1=0 src2=0
	v_lshlrev_b16 v14 /*v270*/, 8, v0
	s_set_vgpr_msb 0                        ;  msbs: dst=0 src0=0 src1=0 src2=0
	v_add_nc_u32_e32 v0, 0x3188, v215
	ds_load_2addr_b32 v[244:245], v0 offset1:1
	s_wait_dscnt 0x1
	v_dual_ashrrev_i32 v246, s18, v246 :: v_dual_ashrrev_i32 v247, s18, v247
	s_delay_alu instid0(VALU_DEP_1) | instskip(NEXT) | instid1(VALU_DEP_1)
	v_dual_lshlrev_b32 v246, 2, v246 :: v_dual_lshlrev_b32 v247, 2, v247
	v_and_b32_e32 v246, 0x4040404, v246
	s_delay_alu instid0(VALU_DEP_2) | instskip(SKIP_1) | instid1(VALU_DEP_2)
	v_and_b32_e32 v247, 0x4040404, v247
	s_set_vgpr_msb 64                       ;  msbs: dst=1 src0=0 src1=0 src2=0
	v_dual_lshrrev_b32 v24 /*v280*/, 24, v246 :: v_dual_lshrrev_b32 v27 /*v283*/, 16, v246
	s_delay_alu instid0(VALU_DEP_2)
	v_lshrrev_b32_e32 v29 /*v285*/, 16, v247
	v_lshrrev_b16 v20 /*v276*/, 8, v246
	s_wait_dscnt 0x0
	s_set_vgpr_msb 0                        ;  msbs: dst=0 src0=0 src1=0 src2=0
	v_ashrrev_i32_e32 v0, s19, v244
	s_set_vgpr_msb 64                       ;  msbs: dst=1 src0=0 src1=0 src2=0
	v_lshrrev_b16 v30 /*v286*/, 8, v247
	s_set_vgpr_msb 0                        ;  msbs: dst=0 src0=0 src1=0 src2=0
	s_delay_alu instid0(VALU_DEP_2) | instskip(SKIP_2) | instid1(VALU_DEP_2)
	v_and_b32_e32 v244, 0x3030303, v0
	v_bfe_u32 v0, v0, 24, 2
	s_set_vgpr_msb 64                       ;  msbs: dst=1 src0=0 src1=0 src2=0
	v_lshrrev_b32_e32 v19 /*v275*/, 16, v244
	v_lshrrev_b16 v18 /*v274*/, 8, v244
	s_set_vgpr_msb 4                        ;  msbs: dst=0 src0=0 src1=1 src2=0
	v_sub_nc_u16 v0, v0, v24 /*v280*/
	s_set_vgpr_msb 0x45                     ;  msbs: dst=1 src0=1 src1=1 src2=0
	v_sub_nc_u16 v19 /*v275*/, v19 /*v275*/, v27 /*v283*/
	s_set_vgpr_msb 64                       ;  msbs: dst=1 src0=0 src1=0 src2=0
	v_lshrrev_b32_e32 v27 /*v283*/, 24, v247
	s_set_vgpr_msb 0                        ;  msbs: dst=0 src0=0 src1=0 src2=0
	v_lshlrev_b16 v0, 8, v0
	s_set_vgpr_msb 0x41                     ;  msbs: dst=1 src0=1 src1=0 src2=0
	s_delay_alu instid0(VALU_DEP_1) | instskip(SKIP_4) | instid1(VALU_DEP_2)
	v_bitop3_b16 v24 /*v280*/, v19 /*v275*/, v0, 0xff bitop3:0xec
	s_set_vgpr_msb 5                        ;  msbs: dst=0 src0=1 src1=1 src2=0
	v_sub_nc_u16 v0, v18 /*v274*/, v20 /*v276*/
	s_set_vgpr_msb 64                       ;  msbs: dst=1 src0=0 src1=0 src2=0
	v_sub_nc_u16 v20 /*v276*/, v244, v246
	v_lshlrev_b16 v18 /*v274*/, 8, v0
	s_set_vgpr_msb 0                        ;  msbs: dst=0 src0=0 src1=0 src2=0
	v_ashrrev_i32_e32 v0, s19, v245
	s_delay_alu instid0(VALU_DEP_1) | instskip(SKIP_1) | instid1(VALU_DEP_1)
	v_bfe_u32 v244, v0, 24, 2
	v_and_b32_e32 v0, 0x3030303, v0
	v_lshrrev_b16 v246, 8, v0
	v_lshrrev_b32_e32 v245, 16, v0
	s_set_vgpr_msb 64                       ;  msbs: dst=1 src0=0 src1=0 src2=0
	v_sub_nc_u16 v31 /*v287*/, v0, v247
	s_set_vgpr_msb 4                        ;  msbs: dst=0 src0=0 src1=1 src2=0
	v_sub_nc_u16 v0, v246, v30 /*v286*/
	s_set_vgpr_msb 0x44                     ;  msbs: dst=1 src0=0 src1=1 src2=0
	v_sub_nc_u16 v29 /*v285*/, v245, v29 /*v285*/
	s_set_vgpr_msb 1                        ;  msbs: dst=0 src0=1 src1=0 src2=0
	ds_load_2addr_b32 v[246:247], v9 /*v265*/ offset0:4 offset1:5
	v_lshlrev_b16 v0, 8, v0
	s_set_vgpr_msb 0x41                     ;  msbs: dst=1 src0=1 src1=0 src2=0
	s_delay_alu instid0(VALU_DEP_1) | instskip(SKIP_3) | instid1(VALU_DEP_1)
	v_bitop3_b16 v30 /*v286*/, v31 /*v287*/, v0, 0xff bitop3:0xec
	s_set_vgpr_msb 4                        ;  msbs: dst=0 src0=0 src1=1 src2=0
	v_sub_nc_u16 v0, v244, v27 /*v283*/
	s_set_vgpr_msb 0                        ;  msbs: dst=0 src0=0 src1=0 src2=0
	v_lshlrev_b16 v0, 8, v0
	s_set_vgpr_msb 0x41                     ;  msbs: dst=1 src0=1 src1=0 src2=0
	s_delay_alu instid0(VALU_DEP_1)
	v_bitop3_b16 v27 /*v283*/, v29 /*v285*/, v0, 0xff bitop3:0xec
	s_set_vgpr_msb 0                        ;  msbs: dst=0 src0=0 src1=0 src2=0
	v_add_nc_u32_e32 v0, 0x3190, v215
	s_wait_dscnt 0x0
	v_dual_ashrrev_i32 v246, s18, v246 :: v_dual_ashrrev_i32 v247, s18, v247
	ds_load_2addr_b32 v[244:245], v0 offset1:1
	v_dual_lshlrev_b32 v246, 2, v246 :: v_dual_lshlrev_b32 v247, 2, v247
	s_delay_alu instid0(VALU_DEP_1) | instskip(NEXT) | instid1(VALU_DEP_2)
	v_and_b32_e32 v246, 0x4040404, v246
	v_and_b32_e32 v247, 0x4040404, v247
	s_set_vgpr_msb 64                       ;  msbs: dst=1 src0=0 src1=0 src2=0
	s_delay_alu instid0(VALU_DEP_2) | instskip(SKIP_1) | instid1(VALU_DEP_3)
	v_dual_lshrrev_b32 v35 /*v291*/, 24, v246 :: v_dual_lshrrev_b32 v36 /*v292*/, 16, v246
	v_lshrrev_b16 v34 /*v290*/, 8, v246
	v_dual_lshrrev_b32 v37 /*v293*/, 24, v247 :: v_dual_lshrrev_b32 v38 /*v294*/, 16, v247
	s_wait_dscnt 0x0
	s_set_vgpr_msb 0                        ;  msbs: dst=0 src0=0 src1=0 src2=0
	v_ashrrev_i32_e32 v0, s19, v244
	s_delay_alu instid0(VALU_DEP_1) | instskip(SKIP_2) | instid1(VALU_DEP_2)
	v_and_b32_e32 v244, 0x3030303, v0
	v_bfe_u32 v0, v0, 24, 2
	s_set_vgpr_msb 64                       ;  msbs: dst=1 src0=0 src1=0 src2=0
	v_lshrrev_b32_e32 v33 /*v289*/, 16, v244
	s_set_vgpr_msb 4                        ;  msbs: dst=0 src0=0 src1=1 src2=0
	s_delay_alu instid0(VALU_DEP_2)
	v_sub_nc_u16 v0, v0, v35 /*v291*/
	s_set_vgpr_msb 64                       ;  msbs: dst=1 src0=0 src1=0 src2=0
	v_lshrrev_b16 v32 /*v288*/, 8, v244
	s_set_vgpr_msb 0x45                     ;  msbs: dst=1 src0=1 src1=1 src2=0
	v_sub_nc_u16 v33 /*v289*/, v33 /*v289*/, v36 /*v292*/
	s_set_vgpr_msb 0                        ;  msbs: dst=0 src0=0 src1=0 src2=0
	v_lshlrev_b16 v0, 8, v0
	s_set_vgpr_msb 64                       ;  msbs: dst=1 src0=0 src1=0 src2=0
	v_sub_nc_u16 v36 /*v292*/, v244, v246
	s_set_vgpr_msb 0x41                     ;  msbs: dst=1 src0=1 src1=0 src2=0
	s_delay_alu instid0(VALU_DEP_2) | instskip(SKIP_4) | instid1(VALU_DEP_2)
	v_bitop3_b16 v35 /*v291*/, v33 /*v289*/, v0, 0xff bitop3:0xec
	s_set_vgpr_msb 5                        ;  msbs: dst=0 src0=1 src1=1 src2=0
	v_sub_nc_u16 v0, v32 /*v288*/, v34 /*v290*/
	s_set_vgpr_msb 64                       ;  msbs: dst=1 src0=0 src1=0 src2=0
	v_lshrrev_b16 v34 /*v290*/, 8, v247
	v_lshlrev_b16 v32 /*v288*/, 8, v0
	s_set_vgpr_msb 0                        ;  msbs: dst=0 src0=0 src1=0 src2=0
	v_ashrrev_i32_e32 v0, s19, v245
	s_delay_alu instid0(VALU_DEP_1) | instskip(SKIP_1) | instid1(VALU_DEP_2)
	v_and_b32_e32 v244, 0x3030303, v0
	v_bfe_u32 v0, v0, 24, 2
	v_lshrrev_b32_e32 v246, 16, v244
	v_lshrrev_b16 v245, 8, v244
	s_set_vgpr_msb 64                       ;  msbs: dst=1 src0=0 src1=0 src2=0
	v_sub_nc_u16 v39 /*v295*/, v244, v247
	s_set_vgpr_msb 4                        ;  msbs: dst=0 src0=0 src1=1 src2=0
	v_sub_nc_u16 v0, v0, v37 /*v293*/
	s_set_vgpr_msb 0x44                     ;  msbs: dst=1 src0=0 src1=1 src2=0
	v_sub_nc_u16 v38 /*v294*/, v246, v38 /*v294*/
	s_set_vgpr_msb 1                        ;  msbs: dst=0 src0=1 src1=0 src2=0
	ds_load_2addr_b32 v[246:247], v9 /*v265*/ offset0:6 offset1:7
	v_lshlrev_b16 v0, 8, v0
	s_set_vgpr_msb 0x41                     ;  msbs: dst=1 src0=1 src1=0 src2=0
	s_delay_alu instid0(VALU_DEP_1) | instskip(SKIP_3) | instid1(VALU_DEP_1)
	v_bitop3_b16 v37 /*v293*/, v38 /*v294*/, v0, 0xff bitop3:0xec
	s_set_vgpr_msb 4                        ;  msbs: dst=0 src0=0 src1=1 src2=0
	v_sub_nc_u16 v0, v245, v34 /*v290*/
	s_set_vgpr_msb 64                       ;  msbs: dst=1 src0=0 src1=0 src2=0
	v_lshlrev_b16 v34 /*v290*/, 8, v0
	s_set_vgpr_msb 0                        ;  msbs: dst=0 src0=0 src1=0 src2=0
	v_add_nc_u32_e32 v0, 0x3198, v215
	ds_load_2addr_b32 v[244:245], v0 offset1:1
	s_wait_dscnt 0x1
	v_dual_ashrrev_i32 v246, s18, v246 :: v_dual_ashrrev_i32 v247, s18, v247
	s_delay_alu instid0(VALU_DEP_1) | instskip(NEXT) | instid1(VALU_DEP_1)
	v_dual_lshlrev_b32 v246, 2, v246 :: v_dual_lshlrev_b32 v247, 2, v247
	v_and_b32_e32 v246, 0x4040404, v246
	s_delay_alu instid0(VALU_DEP_2) | instskip(SKIP_1) | instid1(VALU_DEP_2)
	v_and_b32_e32 v247, 0x4040404, v247
	s_set_vgpr_msb 64                       ;  msbs: dst=1 src0=0 src1=0 src2=0
	v_dual_lshrrev_b32 v41 /*v297*/, 24, v246 :: v_dual_lshrrev_b32 v42 /*v298*/, 16, v246
	v_lshrrev_b16 v9 /*v265*/, 8, v246
	s_delay_alu instid0(VALU_DEP_3) | instskip(SKIP_3) | instid1(VALU_DEP_1)
	v_dual_lshrrev_b32 v43 /*v299*/, 24, v247 :: v_dual_lshrrev_b32 v44 /*v300*/, 16, v247
	s_wait_dscnt 0x0
	s_set_vgpr_msb 0                        ;  msbs: dst=0 src0=0 src1=0 src2=0
	v_ashrrev_i32_e32 v0, s19, v244
	v_and_b32_e32 v215, 0x3030303, v0
	v_bfe_u32 v0, v0, 24, 2
	s_set_vgpr_msb 64                       ;  msbs: dst=1 src0=0 src1=0 src2=0
	s_delay_alu instid0(VALU_DEP_2) | instskip(SKIP_1) | instid1(VALU_DEP_2)
	v_lshrrev_b32_e32 v40 /*v296*/, 16, v215
	s_set_vgpr_msb 4                        ;  msbs: dst=0 src0=0 src1=1 src2=0
	v_sub_nc_u16 v0, v0, v41 /*v297*/
	s_set_vgpr_msb 0                        ;  msbs: dst=0 src0=0 src1=0 src2=0
	v_lshrrev_b16 v244, 8, v215
	v_sub_nc_u16 v215, v215, v246
	s_set_vgpr_msb 0x45                     ;  msbs: dst=1 src0=1 src1=1 src2=0
	v_sub_nc_u16 v40 /*v296*/, v40 /*v296*/, v42 /*v298*/
	s_set_vgpr_msb 64                       ;  msbs: dst=1 src0=0 src1=0 src2=0
	v_lshrrev_b16 v42 /*v298*/, 8, v247
	s_set_vgpr_msb 0                        ;  msbs: dst=0 src0=0 src1=0 src2=0
	v_lshlrev_b16 v0, 8, v0
	v_bfe_i32 v215, v215, 0, 8
	s_set_vgpr_msb 0x41                     ;  msbs: dst=1 src0=1 src1=0 src2=0
	s_delay_alu instid0(VALU_DEP_2) | instskip(SKIP_3) | instid1(VALU_DEP_1)
	v_bitop3_b16 v41 /*v297*/, v40 /*v296*/, v0, 0xff bitop3:0xec
	s_set_vgpr_msb 4                        ;  msbs: dst=0 src0=0 src1=1 src2=0
	v_sub_nc_u16 v0, v244, v9 /*v265*/
	s_set_vgpr_msb 0                        ;  msbs: dst=0 src0=0 src1=0 src2=0
	v_lshlrev_b16 v244, 8, v0
	v_ashrrev_i32_e32 v0, s19, v245
	s_delay_alu instid0(VALU_DEP_1) | instskip(SKIP_2) | instid1(VALU_DEP_2)
	v_and_b32_e32 v245, 0x3030303, v0
	v_bfe_u32 v0, v0, 24, 2
	s_set_vgpr_msb 64                       ;  msbs: dst=1 src0=0 src1=0 src2=0
	v_lshrrev_b32_e32 v9 /*v265*/, 16, v245
	s_set_vgpr_msb 4                        ;  msbs: dst=0 src0=0 src1=1 src2=0
	s_delay_alu instid0(VALU_DEP_2)
	v_sub_nc_u16 v0, v0, v43 /*v299*/
	s_set_vgpr_msb 0                        ;  msbs: dst=0 src0=0 src1=0 src2=0
	v_lshrrev_b16 v246, 8, v245
	v_sub_nc_u16 v245, v245, v247
	s_set_vgpr_msb 0x45                     ;  msbs: dst=1 src0=1 src1=1 src2=0
	v_sub_nc_u16 v9 /*v265*/, v9 /*v265*/, v44 /*v300*/
	s_set_vgpr_msb 0                        ;  msbs: dst=0 src0=0 src1=0 src2=0
	v_lshlrev_b16 v0, 8, v0
	s_set_vgpr_msb 0x41                     ;  msbs: dst=1 src0=1 src1=0 src2=0
	s_delay_alu instid0(VALU_DEP_1)
	v_bitop3_b16 v43 /*v299*/, v9 /*v265*/, v0, 0xff bitop3:0xec
	s_set_vgpr_msb 4                        ;  msbs: dst=0 src0=0 src1=1 src2=0
	v_sub_nc_u16 v0, v246, v42 /*v298*/
	s_set_vgpr_msb 64                       ;  msbs: dst=1 src0=0 src1=0 src2=0
	v_bfe_i32 v42 /*v298*/, v243, 0, 8
	s_set_vgpr_msb 0                        ;  msbs: dst=0 src0=0 src1=0 src2=0
	s_delay_alu instid0(VALU_DEP_2) | instskip(SKIP_1) | instid1(VALU_DEP_2)
	v_lshlrev_b16 v246, 8, v0
	s_set_vgpr_msb 4                        ;  msbs: dst=0 src0=0 src1=1 src2=0
	v_mul_i32_i24_e32 v207, v207, v42 /*v298*/
	s_set_vgpr_msb 0                        ;  msbs: dst=0 src0=0 src1=0 src2=0
	v_add3_u32 v0, s22, v144, v135
	s_set_vgpr_msb 4                        ;  msbs: dst=0 src0=0 src1=1 src2=0
	s_delay_alu instid0(VALU_DEP_2)
	v_mad_i32_i24 v207, v208, v12 /*v268*/, v207
	s_set_vgpr_msb 5                        ;  msbs: dst=0 src0=1 src1=1 src2=0
	v_perm_b32 v208, v13 /*v269*/, v4 /*v260*/, 0xc0c0500
	s_set_vgpr_msb 0x41                     ;  msbs: dst=1 src0=1 src1=0 src2=0
	v_bfe_i32 v4 /*v260*/, v17 /*v273*/, 0, 8
	v_bfe_i32 v17 /*v273*/, v36 /*v292*/, 0, 8
	;; [unrolled: 1-line block ×4, first 2 shown]
	s_set_vgpr_msb 0                        ;  msbs: dst=0 src0=0 src1=0 src2=0
	ds_load_b32 v0, v0
	v_or_b32_e32 v211, v211, v212
	v_dot4_i32_iu8 v207, v239, v208, v207 neg_lo:[1,1,0]
	s_set_vgpr_msb 1                        ;  msbs: dst=0 src0=1 src1=0 src2=0
	v_bfe_i32 v239, v14 /*v270*/, 8, 8
	s_set_vgpr_msb 4                        ;  msbs: dst=0 src0=0 src1=1 src2=0
	v_mul_i32_i24_e32 v205, v205, v4 /*v260*/
	v_mul_i32_i24_e32 v200, v200, v32 /*v288*/
	s_set_vgpr_msb 0                        ;  msbs: dst=0 src0=0 src1=0 src2=0
	v_mul_i32_i24_e32 v206, v206, v239
	s_set_vgpr_msb 1                        ;  msbs: dst=0 src0=1 src1=0 src2=0
	v_bfe_i32 v239, v20 /*v276*/, 0, 8
	s_set_vgpr_msb 0x45                     ;  msbs: dst=1 src0=1 src1=1 src2=0
	v_perm_b32 v20 /*v276*/, v35 /*v291*/, v33 /*v289*/, 0xc0c0500
	s_set_vgpr_msb 0                        ;  msbs: dst=0 src0=0 src1=0 src2=0
	v_add3_u32 v205, v207, v205, v206
	s_set_vgpr_msb 5                        ;  msbs: dst=0 src0=1 src1=1 src2=0
	v_perm_b32 v206, v15 /*v271*/, v16 /*v272*/, 0xc0c0500
	s_set_vgpr_msb 0                        ;  msbs: dst=0 src0=0 src1=0 src2=0
	s_delay_alu instid0(VALU_DEP_1) | instskip(NEXT) | instid1(VALU_DEP_1)
	v_dot4_i32_iu8 v1, v1, v206, v205 neg_lo:[1,1,0]
	v_mad_i32_i24 v1, v239, v202, v1
	s_set_vgpr_msb 4                        ;  msbs: dst=0 src0=0 src1=1 src2=0
	v_mul_i32_i24_e32 v202, v203, v17 /*v273*/
	s_set_vgpr_msb 1                        ;  msbs: dst=0 src0=1 src1=0 src2=0
	v_bfe_i32 v203, v34 /*v290*/, 8, 8
	s_set_vgpr_msb 4                        ;  msbs: dst=0 src0=0 src1=1 src2=0
	s_delay_alu instid0(VALU_DEP_2) | instskip(SKIP_1) | instid1(VALU_DEP_2)
	v_mad_i32_i24 v202, v204, v13 /*v269*/, v202
	s_set_vgpr_msb 0                        ;  msbs: dst=0 src0=0 src1=0 src2=0
	v_mul_i32_i24_e32 v201, v201, v203
	s_set_vgpr_msb 4                        ;  msbs: dst=0 src0=0 src1=1 src2=0
	s_delay_alu instid0(VALU_DEP_2) | instskip(SKIP_1) | instid1(VALU_DEP_1)
	v_dot4_i32_iu8 v202, v241, v20 /*v276*/, v202 neg_lo:[1,1,0]
	s_set_vgpr_msb 0                        ;  msbs: dst=0 src0=0 src1=0 src2=0
	v_add3_u32 v200, v202, v200, v201
	s_set_vgpr_msb 5                        ;  msbs: dst=0 src0=1 src1=1 src2=0
	v_perm_b32 v201, v37 /*v293*/, v38 /*v294*/, 0xc0c0500
	s_set_vgpr_msb 0                        ;  msbs: dst=0 src0=0 src1=0 src2=0
	s_delay_alu instid0(VALU_DEP_1) | instskip(SKIP_1) | instid1(VALU_DEP_1)
	v_dot4_i32_iu8 v5, v5, v201, v200 neg_lo:[1,1,0]
	s_set_vgpr_msb 64                       ;  msbs: dst=1 src0=0 src1=0 src2=0
	v_mad_i32_i24 v33 /*v289*/, v215, v114, v5
	s_set_vgpr_msb 0                        ;  msbs: dst=0 src0=0 src1=0 src2=0
	v_or_b32_e32 v5, s17, v123
	s_delay_alu instid0(VALU_DEP_1)
	v_dual_add_nc_u32 v247, s21, v63 :: v_dual_lshlrev_b32 v204, 2, v5
	v_lshrrev_b32_e32 v5, 1, v5
	ds_load_b32 v114, v5 offset:38816
	ds_load_b128 v[200:203], v204 offset:25344
	ds_load_b128 v[204:207], v204 offset:25360
	s_wait_dscnt 0x1
	s_set_vgpr_msb 64                       ;  msbs: dst=1 src0=0 src1=0 src2=0
	v_bfe_i32 v35 /*v291*/, v200, 0, 8
	v_bfe_i32 v36 /*v292*/, v200, 8, 8
	s_set_vgpr_msb 0                        ;  msbs: dst=0 src0=0 src1=0 src2=0
	v_perm_b32 v200, v200, v200, 0xc0c0302
	s_set_vgpr_msb 64                       ;  msbs: dst=1 src0=0 src1=0 src2=0
	v_bfe_i32 v39 /*v295*/, v201, 0, 8
	s_set_vgpr_msb 0                        ;  msbs: dst=0 src0=0 src1=0 src2=0
	v_perm_b32 v201, v201, v201, 0xc030201
	s_set_vgpr_msb 64                       ;  msbs: dst=1 src0=0 src1=0 src2=0
	v_bfe_i32 v44 /*v300*/, v202, 0, 8
	v_perm_b32 v50 /*v306*/, v202, v202, 0xc030201
	s_set_vgpr_msb 0                        ;  msbs: dst=0 src0=0 src1=0 src2=0
	v_bfe_i32 v243, v203, 0, 8
	v_perm_b32 v210, v203, v203, 0xc030201
	s_wait_dscnt 0x0
	s_set_vgpr_msb 64                       ;  msbs: dst=1 src0=0 src1=0 src2=0
	v_bfe_i32 v45 /*v301*/, v204, 0, 8
	v_bfe_i32 v46 /*v302*/, v204, 8, 8
	s_set_vgpr_msb 0                        ;  msbs: dst=0 src0=0 src1=0 src2=0
	v_perm_b32 v204, v204, v204, 0xc0c0302
	s_set_vgpr_msb 64                       ;  msbs: dst=1 src0=0 src1=0 src2=0
	v_bfe_i32 v47 /*v303*/, v205, 0, 8
	s_set_vgpr_msb 0                        ;  msbs: dst=0 src0=0 src1=0 src2=0
	v_perm_b32 v205, v205, v205, 0xc030201
	s_set_vgpr_msb 64                       ;  msbs: dst=1 src0=0 src1=0 src2=0
	;; [unrolled: 4-line block ×3, first 2 shown]
	v_bfe_i32 v49 /*v305*/, v207, 0, 8
	s_set_vgpr_msb 0                        ;  msbs: dst=0 src0=0 src1=0 src2=0
	v_perm_b32 v207, v207, v207, 0xc030201
	s_set_vgpr_msb 1                        ;  msbs: dst=0 src0=1 src1=0 src2=0
	v_mul_i32_i24_e32 v5, v35 /*v291*/, v166
	v_mul_i32_i24_e32 v212, v45 /*v301*/, v174
	s_delay_alu instid0(VALU_DEP_2) | instskip(NEXT) | instid1(VALU_DEP_2)
	v_mad_i32_i24 v5, v36 /*v292*/, v167, v5
	v_mad_i32_i24 v212, v46 /*v302*/, v175, v212
	s_set_vgpr_msb 0                        ;  msbs: dst=0 src0=0 src1=0 src2=0
	s_delay_alu instid0(VALU_DEP_2) | instskip(NEXT) | instid1(VALU_DEP_2)
	v_dot4_i32_iu8 v5, v200, v168, v5 neg_lo:[1,1,0]
	v_dot4_i32_iu8 v212, v204, v176, v212 neg_lo:[1,1,0]
	s_set_vgpr_msb 1                        ;  msbs: dst=0 src0=1 src1=0 src2=0
	s_delay_alu instid0(VALU_DEP_2) | instskip(NEXT) | instid1(VALU_DEP_2)
	v_mad_i32_i24 v5, v39 /*v295*/, v170, v5
	v_mad_i32_i24 v212, v47 /*v303*/, v178, v212
	s_set_vgpr_msb 0                        ;  msbs: dst=0 src0=0 src1=0 src2=0
	s_delay_alu instid0(VALU_DEP_2) | instskip(NEXT) | instid1(VALU_DEP_2)
	v_dot4_i32_iu8 v5, v201, v172, v5 neg_lo:[1,1,0]
	v_dot4_i32_iu8 v212, v205, v180, v212 neg_lo:[1,1,0]
	s_set_vgpr_msb 4                        ;  msbs: dst=0 src0=0 src1=1 src2=0
	s_delay_alu instid0(VALU_DEP_2) | instskip(NEXT) | instid1(VALU_DEP_2)
	v_mad_i32_i24 v5, v169, v44 /*v300*/, v5
	v_mad_i32_i24 v212, v177, v48 /*v304*/, v212
	s_delay_alu instid0(VALU_DEP_2) | instskip(SKIP_1) | instid1(VALU_DEP_2)
	v_dot4_i32_iu8 v5, v209, v50 /*v306*/, v5 neg_lo:[1,1,0]
	s_set_vgpr_msb 0                        ;  msbs: dst=0 src0=0 src1=0 src2=0
	v_dot4_i32_iu8 v212, v213, v206, v212 neg_lo:[1,1,0]
	s_delay_alu instid0(VALU_DEP_2) | instskip(SKIP_1) | instid1(VALU_DEP_2)
	v_mad_i32_i24 v5, v171, v243, v5
	s_set_vgpr_msb 4                        ;  msbs: dst=0 src0=0 src1=1 src2=0
	v_mad_i32_i24 v212, v179, v49 /*v305*/, v212
	s_set_vgpr_msb 0                        ;  msbs: dst=0 src0=0 src1=0 src2=0
	s_delay_alu instid0(VALU_DEP_2) | instskip(NEXT) | instid1(VALU_DEP_2)
	v_dot4_i32_iu8 v5, v211, v210, v5 neg_lo:[1,1,0]
	v_dot4_i32_iu8 v212, v214, v207, v212 neg_lo:[1,1,0]
	s_delay_alu instid0(VALU_DEP_2) | instskip(NEXT) | instid1(VALU_DEP_1)
	v_mul_lo_u32 v5, v5, v173
	v_mad_u32 v5, v212, v181, v5
	v_mul_f32_e32 v212, v165, v114
	s_delay_alu instid0(VALU_DEP_2) | instskip(NEXT) | instid1(VALU_DEP_1)
	v_cvt_f32_i32_e32 v5, v5
	v_mul_f32_e32 v5, v212, v5
	v_perm_b32 v212, v250, v250, 0xc0c0c01
	s_delay_alu instid0(VALU_DEP_2)
	v_pk_add_f32 v[46:47], v[46:47], v[4:5]
	s_set_vgpr_msb 1                        ;  msbs: dst=0 src0=1 src1=0 src2=0
	v_mul_i32_i24_e32 v4, v35 /*v291*/, v184
	s_set_vgpr_msb 0                        ;  msbs: dst=0 src0=0 src1=0 src2=0
	v_perm_b32 v5, v249, v248, 0xc05000c
	s_set_vgpr_msb 1                        ;  msbs: dst=0 src0=1 src1=0 src2=0
	s_delay_alu instid0(VALU_DEP_2) | instskip(SKIP_1) | instid1(VALU_DEP_2)
	v_mad_i32_i24 v4, v36 /*v292*/, v185, v4
	s_set_vgpr_msb 0                        ;  msbs: dst=0 src0=0 src1=0 src2=0
	v_or_b32_e32 v212, v5, v212
	v_perm_b32 v5, v252, v251, 0xc05000c
	s_delay_alu instid0(VALU_DEP_3) | instskip(NEXT) | instid1(VALU_DEP_2)
	v_dot4_i32_iu8 v4, v200, v186, v4 neg_lo:[1,1,0]
	v_or_b32_e32 v216, v5, v216
	s_set_vgpr_msb 1                        ;  msbs: dst=0 src0=1 src1=0 src2=0
	v_mul_i32_i24_e32 v5, v45 /*v301*/, v192
	s_delay_alu instid0(VALU_DEP_3) | instskip(NEXT) | instid1(VALU_DEP_2)
	v_mad_i32_i24 v4, v39 /*v295*/, v187, v4
	v_mad_i32_i24 v5, v46 /*v302*/, v193, v5
	s_set_vgpr_msb 0                        ;  msbs: dst=0 src0=0 src1=0 src2=0
	s_delay_alu instid0(VALU_DEP_2) | instskip(NEXT) | instid1(VALU_DEP_2)
	v_dot4_i32_iu8 v4, v201, v190, v4 neg_lo:[1,1,0]
	v_dot4_i32_iu8 v5, v204, v194, v5 neg_lo:[1,1,0]
	s_set_vgpr_msb 4                        ;  msbs: dst=0 src0=0 src1=1 src2=0
	s_delay_alu instid0(VALU_DEP_2) | instskip(SKIP_1) | instid1(VALU_DEP_2)
	v_mad_i32_i24 v4, v188, v44 /*v300*/, v4
	s_set_vgpr_msb 1                        ;  msbs: dst=0 src0=1 src1=0 src2=0
	v_mad_i32_i24 v5, v47 /*v303*/, v195, v5
	s_set_vgpr_msb 4                        ;  msbs: dst=0 src0=0 src1=1 src2=0
	s_delay_alu instid0(VALU_DEP_2) | instskip(SKIP_1) | instid1(VALU_DEP_2)
	v_dot4_i32_iu8 v4, v212, v50 /*v306*/, v4 neg_lo:[1,1,0]
	s_set_vgpr_msb 0                        ;  msbs: dst=0 src0=0 src1=0 src2=0
	v_dot4_i32_iu8 v5, v205, v198, v5 neg_lo:[1,1,0]
	s_delay_alu instid0(VALU_DEP_2) | instskip(SKIP_1) | instid1(VALU_DEP_2)
	v_mad_i32_i24 v4, v189, v243, v4
	s_set_vgpr_msb 4                        ;  msbs: dst=0 src0=0 src1=1 src2=0
	v_mad_i32_i24 v5, v196, v48 /*v304*/, v5
	s_set_vgpr_msb 0                        ;  msbs: dst=0 src0=0 src1=0 src2=0
	s_delay_alu instid0(VALU_DEP_2) | instskip(NEXT) | instid1(VALU_DEP_2)
	v_dot4_i32_iu8 v4, v216, v210, v4 neg_lo:[1,1,0]
	v_dot4_i32_iu8 v5, v217, v206, v5 neg_lo:[1,1,0]
	s_delay_alu instid0(VALU_DEP_2) | instskip(SKIP_1) | instid1(VALU_DEP_2)
	v_mul_lo_u32 v4, v4, v191
	s_set_vgpr_msb 4                        ;  msbs: dst=0 src0=0 src1=1 src2=0
	v_mad_i32_i24 v5, v197, v49 /*v305*/, v5
	s_set_vgpr_msb 0                        ;  msbs: dst=0 src0=0 src1=0 src2=0
	s_delay_alu instid0(VALU_DEP_1) | instskip(NEXT) | instid1(VALU_DEP_1)
	v_dot4_i32_iu8 v5, v218, v207, v5 neg_lo:[1,1,0]
	v_mad_u32 v4, v5, v199, v4
	v_mul_f32_e32 v5, v183, v114
	s_delay_alu instid0(VALU_DEP_2) | instskip(NEXT) | instid1(VALU_DEP_1)
	v_cvt_f32_i32_e32 v4, v4
	v_mul_f32_e32 v241, v5, v4
	s_set_vgpr_msb 1                        ;  msbs: dst=0 src0=1 src1=0 src2=0
	v_mul_i32_i24_e32 v4, v35 /*v291*/, v223
	s_set_vgpr_msb 5                        ;  msbs: dst=0 src0=1 src1=1 src2=0
	v_perm_b32 v5, v8 /*v264*/, v6 /*v262*/, 0xc05000c
	s_set_vgpr_msb 0                        ;  msbs: dst=0 src0=0 src1=0 src2=0
	v_pk_add_f32 v[44:45], v[44:45], v[240:241]
	s_set_vgpr_msb 1                        ;  msbs: dst=0 src0=1 src1=0 src2=0
	v_mad_i32_i24 v4, v36 /*v292*/, v224, v4
	s_set_vgpr_msb 0                        ;  msbs: dst=0 src0=0 src1=0 src2=0
	v_or_b32_e32 v220, v5, v220
	s_set_vgpr_msb 5                        ;  msbs: dst=0 src0=1 src1=1 src2=0
	v_perm_b32 v5, v10 /*v266*/, v11 /*v267*/, 0xc05000c
	v_perm_b32 v240, v21 /*v277*/, v21 /*v277*/, 0xc0c0c01
	;; [unrolled: 1-line block ×3, first 2 shown]
	s_set_vgpr_msb 0                        ;  msbs: dst=0 src0=0 src1=0 src2=0
	v_dot4_i32_iu8 v4, v200, v225, v4 neg_lo:[1,1,0]
	v_or_b32_e32 v221, v5, v221
	s_set_vgpr_msb 1                        ;  msbs: dst=0 src0=1 src1=0 src2=0
	v_mul_i32_i24_e32 v5, v45 /*v301*/, v231
	s_set_vgpr_msb 0                        ;  msbs: dst=0 src0=0 src1=0 src2=0
	v_or_b32_e32 v222, v222, v240
	s_set_vgpr_msb 5                        ;  msbs: dst=0 src0=1 src1=1 src2=0
	v_perm_b32 v240, v25 /*v281*/, v26 /*v282*/, 0xc05000c
	s_set_vgpr_msb 1                        ;  msbs: dst=0 src0=1 src1=0 src2=0
	v_mad_i32_i24 v4, v39 /*v295*/, v226, v4
	v_mad_i32_i24 v5, v46 /*v302*/, v232, v5
	s_set_vgpr_msb 0                        ;  msbs: dst=0 src0=0 src1=0 src2=0
	v_or_b32_e32 v240, v240, v241
	s_delay_alu instid0(VALU_DEP_3) | instskip(NEXT) | instid1(VALU_DEP_3)
	v_dot4_i32_iu8 v4, v201, v229, v4 neg_lo:[1,1,0]
	v_dot4_i32_iu8 v5, v204, v233, v5 neg_lo:[1,1,0]
	s_set_vgpr_msb 4                        ;  msbs: dst=0 src0=0 src1=1 src2=0
	s_delay_alu instid0(VALU_DEP_2) | instskip(SKIP_1) | instid1(VALU_DEP_2)
	v_mad_i32_i24 v4, v227, v44 /*v300*/, v4
	s_set_vgpr_msb 1                        ;  msbs: dst=0 src0=1 src1=0 src2=0
	v_mad_i32_i24 v5, v47 /*v303*/, v234, v5
	s_set_vgpr_msb 4                        ;  msbs: dst=0 src0=0 src1=1 src2=0
	s_delay_alu instid0(VALU_DEP_2) | instskip(SKIP_1) | instid1(VALU_DEP_2)
	v_dot4_i32_iu8 v4, v220, v50 /*v306*/, v4 neg_lo:[1,1,0]
	s_set_vgpr_msb 0                        ;  msbs: dst=0 src0=0 src1=0 src2=0
	v_dot4_i32_iu8 v5, v205, v237, v5 neg_lo:[1,1,0]
	s_delay_alu instid0(VALU_DEP_2) | instskip(SKIP_1) | instid1(VALU_DEP_2)
	v_mad_i32_i24 v4, v228, v243, v4
	s_set_vgpr_msb 4                        ;  msbs: dst=0 src0=0 src1=1 src2=0
	v_mad_i32_i24 v5, v235, v48 /*v304*/, v5
	s_set_vgpr_msb 0                        ;  msbs: dst=0 src0=0 src1=0 src2=0
	s_delay_alu instid0(VALU_DEP_2) | instskip(NEXT) | instid1(VALU_DEP_2)
	v_dot4_i32_iu8 v4, v221, v210, v4 neg_lo:[1,1,0]
	v_dot4_i32_iu8 v5, v222, v206, v5 neg_lo:[1,1,0]
	s_delay_alu instid0(VALU_DEP_2) | instskip(SKIP_1) | instid1(VALU_DEP_2)
	v_mul_lo_u32 v4, v4, v230
	s_set_vgpr_msb 4                        ;  msbs: dst=0 src0=0 src1=1 src2=0
	v_mad_i32_i24 v5, v236, v49 /*v305*/, v5
	s_set_vgpr_msb 0                        ;  msbs: dst=0 src0=0 src1=0 src2=0
	s_delay_alu instid0(VALU_DEP_1) | instskip(NEXT) | instid1(VALU_DEP_1)
	v_dot4_i32_iu8 v5, v240, v207, v5 neg_lo:[1,1,0]
	v_mad_u32 v4, v5, v238, v4
	v_mul_f32_e32 v5, v219, v114
	s_delay_alu instid0(VALU_DEP_2) | instskip(NEXT) | instid1(VALU_DEP_1)
	v_cvt_f32_i32_e32 v4, v4
	v_mul_f32_e32 v243, v5, v4
	s_set_vgpr_msb 5                        ;  msbs: dst=0 src0=1 src1=1 src2=0
	v_mul_i32_i24_e32 v4, v42 /*v298*/, v35 /*v291*/
	v_perm_b32 v5, v15 /*v271*/, v16 /*v272*/, 0xc05000c
	s_set_vgpr_msb 0                        ;  msbs: dst=0 src0=0 src1=0 src2=0
	v_pk_add_f32 v[42:43], v[42:43], v[242:243]
	s_set_vgpr_msb 5                        ;  msbs: dst=0 src0=1 src1=1 src2=0
	v_mad_i32_i24 v4, v12 /*v268*/, v36 /*v292*/, v4
	s_set_vgpr_msb 0                        ;  msbs: dst=0 src0=0 src1=0 src2=0
	v_bfe_i32 v243, v245, 0, 8
	s_delay_alu instid0(VALU_DEP_2) | instskip(SKIP_2) | instid1(VALU_DEP_2)
	v_dot4_i32_iu8 v4, v208, v200, v4 neg_lo:[1,1,0]
	s_set_vgpr_msb 5                        ;  msbs: dst=0 src0=1 src1=1 src2=0
	v_perm_b32 v200, v14 /*v270*/, v14 /*v270*/, 0xc0c0c01
	v_mad_i32_i24 v4, v4 /*v260*/, v39 /*v295*/, v4
	s_set_vgpr_msb 0                        ;  msbs: dst=0 src0=0 src1=0 src2=0
	s_delay_alu instid0(VALU_DEP_2)
	v_or_b32_e32 v241, v5, v200
	s_set_vgpr_msb 5                        ;  msbs: dst=0 src0=1 src1=1 src2=0
	v_perm_b32 v200, v37 /*v293*/, v38 /*v294*/, 0xc05000c
	v_mul_i32_i24_e32 v5, v17 /*v273*/, v45 /*v301*/
	s_set_vgpr_msb 0                        ;  msbs: dst=0 src0=0 src1=0 src2=0
	v_dot4_i32_iu8 v4, v241, v201, v4 neg_lo:[1,1,0]
	s_set_vgpr_msb 5                        ;  msbs: dst=0 src0=1 src1=1 src2=0
	v_perm_b32 v201, v34 /*v290*/, v34 /*v290*/, 0xc0c0c01
	v_mad_i32_i24 v5, v13 /*v269*/, v46 /*v302*/, v5
	s_set_vgpr_msb 1                        ;  msbs: dst=0 src0=1 src1=0 src2=0
	v_mad_i32_i24 v4, v44 /*v300*/, v239, v4
	s_set_vgpr_msb 0                        ;  msbs: dst=0 src0=0 src1=0 src2=0
	v_or_b32_e32 v242, v200, v201
	ds_load_u16 v200, v247
	s_set_vgpr_msb 1                        ;  msbs: dst=0 src0=1 src1=0 src2=0
	v_dot4_i32_iu8 v5, v20 /*v276*/, v204, v5 neg_lo:[1,1,0]
	s_set_vgpr_msb 5                        ;  msbs: dst=0 src0=1 src1=1 src2=0
	s_delay_alu instid0(VALU_DEP_1) | instskip(SKIP_1) | instid1(VALU_DEP_1)
	v_mad_i32_i24 v5, v32 /*v288*/, v47 /*v303*/, v5
	s_set_vgpr_msb 0                        ;  msbs: dst=0 src0=0 src1=0 src2=0
	v_dot4_i32_iu8 v5, v242, v205, v5 neg_lo:[1,1,0]
	s_set_vgpr_msb 1                        ;  msbs: dst=0 src0=1 src1=0 src2=0
	s_delay_alu instid0(VALU_DEP_1)
	v_mad_i32_i24 v5, v48 /*v304*/, v215, v5
	s_wait_dscnt 0x0
	v_lshrrev_b16 v201, 8, v200
	s_set_vgpr_msb 0                        ;  msbs: dst=0 src0=0 src1=0 src2=0
	v_bfe_i32 v247, v200, 0, 8
	s_set_vgpr_msb 5                        ;  msbs: dst=0 src0=1 src1=1 src2=0
	v_perm_b32 v200, v19 /*v275*/, v18 /*v274*/, 0xc0c0401
	s_set_vgpr_msb 0                        ;  msbs: dst=0 src0=0 src1=0 src2=0
	v_bfe_i32 v245, v201, 0, 8
	v_perm_b32 v201, v202, v202, 0xc0c0201
	s_delay_alu instid0(VALU_DEP_1) | instskip(SKIP_4) | instid1(VALU_DEP_1)
	v_dot4_i32_iu8 v4, v201, v200, v4 neg_lo:[1,1,0]
	s_set_vgpr_msb 5                        ;  msbs: dst=0 src0=1 src1=1 src2=0
	v_perm_b32 v200, v41 /*v297*/, v40 /*v296*/, 0xc05000c
	s_set_vgpr_msb 16                       ;  msbs: dst=0 src0=0 src1=0 src2=1
	v_perm_b32 v201, v244, v244, 0xc0c0c01
	v_or_b32_e32 v244, v200, v201
	v_perm_b32 v200, v203, v202, 0xc0c0403
	s_delay_alu instid0(VALU_DEP_2) | instskip(SKIP_1) | instid1(VALU_DEP_1)
	v_dot4_i32_iu8 v6, v6, v244, v33 /*v289*/ neg_lo:[1,1,0]
	s_set_vgpr_msb 0                        ;  msbs: dst=0 src0=0 src1=0 src2=0
	v_mad_i32_i24 v6, v182, v243, v6
	s_set_vgpr_msb 5                        ;  msbs: dst=0 src0=1 src1=1 src2=0
	v_perm_b32 v182, v31 /*v287*/, v24 /*v280*/, 0xc0c0401
	s_set_vgpr_msb 0                        ;  msbs: dst=0 src0=0 src1=0 src2=0
	s_delay_alu instid0(VALU_DEP_1) | instskip(SKIP_4) | instid1(VALU_DEP_1)
	v_dot4_i32_iu8 v4, v200, v182, v4 neg_lo:[1,1,0]
	s_set_vgpr_msb 5                        ;  msbs: dst=0 src0=1 src1=1 src2=0
	v_perm_b32 v182, v27 /*v283*/, v29 /*v285*/, 0xc05000c
	v_perm_b32 v200, v30 /*v286*/, v30 /*v286*/, 0xc0c0c01
	s_set_vgpr_msb 0                        ;  msbs: dst=0 src0=0 src1=0 src2=0
	v_or_b32_e32 v182, v182, v200
	v_perm_b32 v200, v246, v246, 0xc0c0c01
	s_delay_alu instid0(VALU_DEP_2) | instskip(SKIP_3) | instid1(VALU_DEP_2)
	v_dot4_i32_iu8 v4, v210, v182, v4 neg_lo:[1,1,0]
	s_set_vgpr_msb 5                        ;  msbs: dst=0 src0=1 src1=1 src2=0
	v_perm_b32 v182, v43 /*v299*/, v9 /*v265*/, 0xc05000c
	s_set_vgpr_msb 0                        ;  msbs: dst=0 src0=0 src1=0 src2=0
	v_mul_lo_u32 v4, v4, v247
	s_delay_alu instid0(VALU_DEP_2) | instskip(SKIP_3) | instid1(VALU_DEP_2)
	v_or_b32_e32 v210, v182, v200
	s_set_vgpr_msb 5                        ;  msbs: dst=0 src0=1 src1=1 src2=0
	v_perm_b32 v182, v18 /*v274*/, v18 /*v274*/, 0xc0c0c01
	s_set_vgpr_msb 0                        ;  msbs: dst=0 src0=0 src1=0 src2=0
	v_dot4_i32_iu8 v6, v7, v210, v6 neg_lo:[1,1,0]
	s_set_vgpr_msb 5                        ;  msbs: dst=0 src0=1 src1=1 src2=0
	v_perm_b32 v7, v24 /*v280*/, v19 /*v275*/, 0xc05000c
	s_set_vgpr_msb 0                        ;  msbs: dst=0 src0=0 src1=0 src2=0
	s_delay_alu instid0(VALU_DEP_2) | instskip(NEXT) | instid1(VALU_DEP_2)
	v_mul_lo_u32 v6, v6, v245
	v_or_b32_e32 v246, v7, v182
	s_set_vgpr_msb 5                        ;  msbs: dst=0 src0=1 src1=1 src2=0
	v_perm_b32 v7, v27 /*v283*/, v29 /*v285*/, 0x5000c0c
	s_set_vgpr_msb 0                        ;  msbs: dst=0 src0=0 src1=0 src2=0
	s_delay_alu instid0(VALU_DEP_2) | instskip(SKIP_4) | instid1(VALU_DEP_2)
	v_dot4_i32_iu8 v1, v2, v246, v1 neg_lo:[1,1,0]
	v_dot4_i32_iu8 v2, v206, v244, v5 neg_lo:[1,1,0]
	s_set_vgpr_msb 5                        ;  msbs: dst=0 src0=1 src1=1 src2=0
	v_perm_b32 v5, v30 /*v286*/, v31 /*v287*/, 0xc0c0500
	s_set_vgpr_msb 1                        ;  msbs: dst=0 src0=1 src1=0 src2=0
	v_mad_i32_i24 v2, v49 /*v305*/, v243, v2
	s_set_vgpr_msb 0                        ;  msbs: dst=0 src0=0 src1=0 src2=0
	s_delay_alu instid0(VALU_DEP_2) | instskip(NEXT) | instid1(VALU_DEP_2)
	v_or_b32_e32 v248, v7, v5
	v_dot4_i32_iu8 v2, v207, v210, v2 neg_lo:[1,1,0]
	s_delay_alu instid0(VALU_DEP_2) | instskip(NEXT) | instid1(VALU_DEP_2)
	v_dot4_i32_iu8 v1, v3, v248, v1 neg_lo:[1,1,0]
	v_mad_u32 v4, v2, v245, v4
	s_delay_alu instid0(VALU_DEP_2) | instskip(NEXT) | instid1(VALU_DEP_2)
	v_mad_u32 v1, v1, v247, v6
	v_cvt_f32_i32_e32 v4, v4
	s_delay_alu instid0(VALU_DEP_2) | instskip(SKIP_2) | instid1(VALU_DEP_2)
	v_pk_mul_f32 v[2:3], v[0:1], v[114:115] op_sel_hi:[0,1]
	v_cvt_f32_i32_e32 v5, v1
	v_or_b32_e32 v1, s17, v124
	v_pk_fma_f32 v[40:41], v[2:3], v[4:5], v[40:41]
	s_delay_alu instid0(VALU_DEP_2)
	v_dual_lshlrev_b32 v6, 2, v1 :: v_dual_lshrrev_b32 v1, 1, v1
	ds_load_b32 v1, v1 offset:38816
	ds_load_b128 v[2:5], v6 offset:25344
	ds_load_b128 v[200:203], v6 offset:25360
	s_wait_dscnt 0x1
	v_bfe_i32 v7, v2, 0, 8
	v_bfe_i32 v115, v2, 8, 8
	v_perm_b32 v2, v2, v2, 0xc0c0302
	v_bfe_i32 v182, v3, 0, 8
	v_perm_b32 v3, v3, v3, 0xc030201
	;; [unrolled: 2-line block ×4, first 2 shown]
	s_wait_dscnt 0x0
	v_bfe_i32 v206, v200, 0, 8
	v_bfe_i32 v207, v200, 8, 8
	v_perm_b32 v200, v200, v200, 0xc0c0302
	v_bfe_i32 v249, v201, 0, 8
	v_perm_b32 v201, v201, v201, 0xc030201
	;; [unrolled: 2-line block ×4, first 2 shown]
	v_mul_i32_i24_e32 v6, v7, v166
	v_mul_i32_i24_e32 v114, v206, v174
	;; [unrolled: 1-line block ×3, first 2 shown]
	s_delay_alu instid0(VALU_DEP_3) | instskip(NEXT) | instid1(VALU_DEP_3)
	v_mad_i32_i24 v6, v115, v167, v6
	v_mad_i32_i24 v114, v207, v175, v114
	s_delay_alu instid0(VALU_DEP_3) | instskip(NEXT) | instid1(VALU_DEP_3)
	v_mad_i32_i24 v253, v207, v193, v253
	v_dot4_i32_iu8 v6, v2, v168, v6 neg_lo:[1,1,0]
	s_delay_alu instid0(VALU_DEP_3) | instskip(NEXT) | instid1(VALU_DEP_3)
	v_dot4_i32_iu8 v114, v200, v176, v114 neg_lo:[1,1,0]
	v_dot4_i32_iu8 v253, v200, v194, v253 neg_lo:[1,1,0]
	s_delay_alu instid0(VALU_DEP_3) | instskip(NEXT) | instid1(VALU_DEP_3)
	v_mad_i32_i24 v6, v182, v170, v6
	v_mad_i32_i24 v114, v249, v178, v114
	s_delay_alu instid0(VALU_DEP_3) | instskip(NEXT) | instid1(VALU_DEP_3)
	v_mad_i32_i24 v253, v249, v195, v253
	v_dot4_i32_iu8 v6, v3, v172, v6 neg_lo:[1,1,0]
	s_delay_alu instid0(VALU_DEP_3) | instskip(NEXT) | instid1(VALU_DEP_3)
	v_dot4_i32_iu8 v114, v201, v180, v114 neg_lo:[1,1,0]
	v_dot4_i32_iu8 v253, v201, v198, v253 neg_lo:[1,1,0]
	;; [unrolled: 9-line block ×4, first 2 shown]
	s_delay_alu instid0(VALU_DEP_3) | instskip(NEXT) | instid1(VALU_DEP_1)
	v_mul_lo_u32 v6, v6, v173
	v_mad_u32 v6, v114, v181, v6
	v_mul_f32_e32 v114, v165, v1
	s_delay_alu instid0(VALU_DEP_2) | instskip(NEXT) | instid1(VALU_DEP_1)
	v_cvt_f32_i32_e32 v6, v6
	v_mul_f32_e32 v6, v114, v6
	v_mul_i32_i24_e32 v114, v7, v184
	s_delay_alu instid0(VALU_DEP_1) | instskip(NEXT) | instid1(VALU_DEP_1)
	v_mad_i32_i24 v114, v115, v185, v114
	v_dot4_i32_iu8 v114, v2, v186, v114 neg_lo:[1,1,0]
	s_delay_alu instid0(VALU_DEP_1) | instskip(NEXT) | instid1(VALU_DEP_1)
	v_mad_i32_i24 v114, v182, v187, v114
	v_dot4_i32_iu8 v114, v3, v190, v114 neg_lo:[1,1,0]
	;; [unrolled: 3-line block ×4, first 2 shown]
	s_delay_alu instid0(VALU_DEP_1) | instskip(NEXT) | instid1(VALU_DEP_1)
	v_mul_lo_u32 v114, v114, v191
	v_mad_u32 v114, v253, v199, v114
	v_mul_f32_e32 v253, v183, v1
	s_delay_alu instid0(VALU_DEP_2) | instskip(NEXT) | instid1(VALU_DEP_1)
	v_cvt_f32_i32_e32 v114, v114
	v_mul_f32_e32 v114, v253, v114
	v_mul_i32_i24_e32 v253, v7, v223
	s_set_vgpr_msb 1                        ;  msbs: dst=0 src0=1 src1=0 src2=0
	v_mul_i32_i24_e32 v7, v42 /*v298*/, v7
	s_set_vgpr_msb 0                        ;  msbs: dst=0 src0=0 src1=0 src2=0
	s_delay_alu instid0(VALU_DEP_2) | instskip(SKIP_1) | instid1(VALU_DEP_2)
	v_mad_i32_i24 v253, v115, v224, v253
	s_set_vgpr_msb 1                        ;  msbs: dst=0 src0=1 src1=0 src2=0
	v_mad_i32_i24 v7, v12 /*v268*/, v115, v7
	s_set_vgpr_msb 0                        ;  msbs: dst=0 src0=0 src1=0 src2=0
	s_delay_alu instid0(VALU_DEP_2) | instskip(NEXT) | instid1(VALU_DEP_2)
	v_dot4_i32_iu8 v253, v2, v225, v253 neg_lo:[1,1,0]
	v_dot4_i32_iu8 v2, v208, v2, v7 neg_lo:[1,1,0]
	s_delay_alu instid0(VALU_DEP_2) | instskip(SKIP_1) | instid1(VALU_DEP_2)
	v_mad_i32_i24 v253, v182, v226, v253
	s_set_vgpr_msb 1                        ;  msbs: dst=0 src0=1 src1=0 src2=0
	v_mad_i32_i24 v2, v4 /*v260*/, v182, v2
	s_set_vgpr_msb 0                        ;  msbs: dst=0 src0=0 src1=0 src2=0
	s_delay_alu instid0(VALU_DEP_2) | instskip(NEXT) | instid1(VALU_DEP_2)
	v_dot4_i32_iu8 v253, v3, v229, v253 neg_lo:[1,1,0]
	v_dot4_i32_iu8 v2, v241, v3, v2 neg_lo:[1,1,0]
	s_set_vgpr_msb 1                        ;  msbs: dst=0 src0=1 src1=0 src2=0
	v_mul_i32_i24_e32 v3, v17 /*v273*/, v206
	s_set_vgpr_msb 0                        ;  msbs: dst=0 src0=0 src1=0 src2=0
	v_mad_i32_i24 v253, v227, v205, v253
	v_mad_i32_i24 v2, v205, v239, v2
	s_set_vgpr_msb 1                        ;  msbs: dst=0 src0=1 src1=0 src2=0
	v_mad_i32_i24 v3, v13 /*v269*/, v207, v3
	s_set_vgpr_msb 0                        ;  msbs: dst=0 src0=0 src1=0 src2=0
	v_dot4_i32_iu8 v253, v220, v4, v253 neg_lo:[1,1,0]
	v_dot4_i32_iu8 v2, v4, v246, v2 neg_lo:[1,1,0]
	s_set_vgpr_msb 1                        ;  msbs: dst=0 src0=1 src1=0 src2=0
	v_dot4_i32_iu8 v3, v20 /*v276*/, v200, v3 neg_lo:[1,1,0]
	s_set_vgpr_msb 0                        ;  msbs: dst=0 src0=0 src1=0 src2=0
	v_mad_i32_i24 v204, v228, v204, v253
	v_dot4_i32_iu8 v2, v248, v5, v2 neg_lo:[1,1,0]
	s_set_vgpr_msb 1                        ;  msbs: dst=0 src0=1 src1=0 src2=0
	v_mad_i32_i24 v3, v32 /*v288*/, v249, v3
	s_set_vgpr_msb 0                        ;  msbs: dst=0 src0=0 src1=0 src2=0
	v_dot4_i32_iu8 v204, v221, v252, v204 neg_lo:[1,1,0]
	v_mul_i32_i24_e32 v252, v206, v231
	s_delay_alu instid0(VALU_DEP_3) | instskip(SKIP_1) | instid1(VALU_DEP_4)
	v_dot4_i32_iu8 v3, v242, v201, v3 neg_lo:[1,1,0]
	v_mul_lo_u32 v2, v2, v247
	v_mul_lo_u32 v204, v204, v230
	s_delay_alu instid0(VALU_DEP_4) | instskip(NEXT) | instid1(VALU_DEP_4)
	v_mad_i32_i24 v252, v207, v232, v252
	v_mad_i32_i24 v3, v250, v215, v3
	s_delay_alu instid0(VALU_DEP_2) | instskip(NEXT) | instid1(VALU_DEP_2)
	v_dot4_i32_iu8 v252, v200, v233, v252 neg_lo:[1,1,0]
	v_dot4_i32_iu8 v3, v202, v244, v3 neg_lo:[1,1,0]
	s_delay_alu instid0(VALU_DEP_2) | instskip(NEXT) | instid1(VALU_DEP_2)
	v_mad_i32_i24 v252, v249, v234, v252
	v_mad_i32_i24 v3, v243, v251, v3
	s_delay_alu instid0(VALU_DEP_2) | instskip(NEXT) | instid1(VALU_DEP_2)
	v_dot4_i32_iu8 v252, v201, v237, v252 neg_lo:[1,1,0]
	v_dot4_i32_iu8 v3, v210, v203, v3 neg_lo:[1,1,0]
	s_delay_alu instid0(VALU_DEP_2) | instskip(NEXT) | instid1(VALU_DEP_2)
	v_mad_i32_i24 v252, v235, v250, v252
	v_mad_u32 v2, v3, v245, v2
	s_delay_alu instid0(VALU_DEP_2) | instskip(NEXT) | instid1(VALU_DEP_1)
	v_dot4_i32_iu8 v252, v222, v202, v252 neg_lo:[1,1,0]
	v_mad_i32_i24 v252, v236, v251, v252
	s_delay_alu instid0(VALU_DEP_3) | instskip(NEXT) | instid1(VALU_DEP_2)
	v_cvt_f32_i32_e32 v2, v2
	v_dot4_i32_iu8 v252, v240, v203, v252 neg_lo:[1,1,0]
	s_delay_alu instid0(VALU_DEP_1) | instskip(SKIP_1) | instid1(VALU_DEP_1)
	v_mad_u32 v204, v252, v238, v204
	v_dual_mul_f32 v252, v219, v1 :: v_dual_mul_f32 v1, v0, v1
	v_dual_mul_f32 v206, v1, v2 :: v_dual_bitop2_b32 v1, s17, v125 bitop3:0x54
	s_delay_alu instid0(VALU_DEP_3) | instskip(NEXT) | instid1(VALU_DEP_2)
	v_cvt_f32_i32_e32 v204, v204
	v_dual_lshlrev_b32 v7, 2, v1 :: v_dual_lshrrev_b32 v1, 1, v1
	ds_load_b32 v1, v1 offset:38816
	ds_load_b128 v[2:5], v7 offset:25344
	ds_load_b128 v[200:203], v7 offset:25360
	v_mul_f32_e32 v204, v252, v204
	s_wait_dscnt 0x1
	v_bfe_i32 v182, v2, 0, 8
	v_bfe_i32 v207, v2, 8, 8
	v_perm_b32 v2, v2, v2, 0xc0c0302
	v_bfe_i32 v249, v3, 0, 8
	v_perm_b32 v3, v3, v3, 0xc030201
	;; [unrolled: 2-line block ×3, first 2 shown]
	v_bfe_i32 v205, v5, 0, 8
	s_set_vgpr_msb 64                       ;  msbs: dst=1 src0=0 src1=0 src2=0
	v_perm_b32 v0 /*v256*/, v5, v5, 0xc030201
	s_wait_dscnt 0x0
	s_set_vgpr_msb 0                        ;  msbs: dst=0 src0=0 src1=0 src2=0
	v_bfe_i32 v251, v200, 0, 8
	v_bfe_i32 v252, v200, 8, 8
	v_perm_b32 v200, v200, v200, 0xc0c0302
	v_bfe_i32 v253, v201, 0, 8
	v_perm_b32 v201, v201, v201, 0xc030201
	;; [unrolled: 2-line block ×4, first 2 shown]
	v_mul_i32_i24_e32 v7, v182, v166
	v_mul_i32_i24_e32 v115, v251, v174
	s_delay_alu instid0(VALU_DEP_2) | instskip(NEXT) | instid1(VALU_DEP_2)
	v_mad_i32_i24 v7, v207, v167, v7
	v_mad_i32_i24 v115, v252, v175, v115
	s_delay_alu instid0(VALU_DEP_2) | instskip(NEXT) | instid1(VALU_DEP_2)
	v_dot4_i32_iu8 v7, v2, v168, v7 neg_lo:[1,1,0]
	v_dot4_i32_iu8 v115, v200, v176, v115 neg_lo:[1,1,0]
	s_delay_alu instid0(VALU_DEP_2) | instskip(NEXT) | instid1(VALU_DEP_2)
	v_mad_i32_i24 v7, v249, v170, v7
	v_mad_i32_i24 v115, v253, v178, v115
	s_delay_alu instid0(VALU_DEP_2) | instskip(NEXT) | instid1(VALU_DEP_2)
	v_dot4_i32_iu8 v7, v3, v172, v7 neg_lo:[1,1,0]
	v_dot4_i32_iu8 v115, v201, v180, v115 neg_lo:[1,1,0]
	;; [unrolled: 6-line block ×3, first 2 shown]
	s_delay_alu instid0(VALU_DEP_2) | instskip(NEXT) | instid1(VALU_DEP_2)
	v_mad_i32_i24 v7, v171, v205, v7
	v_mad_i32_i24 v115, v179, v255, v115
	s_set_vgpr_msb 4                        ;  msbs: dst=0 src0=0 src1=1 src2=0
	s_delay_alu instid0(VALU_DEP_2) | instskip(SKIP_1) | instid1(VALU_DEP_2)
	v_dot4_i32_iu8 v7, v211, v0 /*v256*/, v7 neg_lo:[1,1,0]
	s_set_vgpr_msb 0                        ;  msbs: dst=0 src0=0 src1=0 src2=0
	v_dot4_i32_iu8 v115, v214, v203, v115 neg_lo:[1,1,0]
	s_delay_alu instid0(VALU_DEP_2) | instskip(NEXT) | instid1(VALU_DEP_1)
	v_mul_lo_u32 v7, v7, v173
	v_mad_u32 v7, v115, v181, v7
	v_mul_f32_e32 v115, v165, v1
	s_delay_alu instid0(VALU_DEP_2) | instskip(NEXT) | instid1(VALU_DEP_1)
	v_cvt_f32_i32_e32 v7, v7
	v_mul_f32_e32 v7, v115, v7
	s_delay_alu instid0(VALU_DEP_1) | instskip(SKIP_2) | instid1(VALU_DEP_2)
	v_pk_add_f32 v[36:37], v[36:37], v[6:7]
	v_mul_i32_i24_e32 v6, v182, v184
	v_mul_i32_i24_e32 v7, v251, v192
	v_mad_i32_i24 v6, v207, v185, v6
	s_delay_alu instid0(VALU_DEP_2) | instskip(NEXT) | instid1(VALU_DEP_2)
	v_mad_i32_i24 v7, v252, v193, v7
	v_dot4_i32_iu8 v6, v2, v186, v6 neg_lo:[1,1,0]
	s_delay_alu instid0(VALU_DEP_2) | instskip(NEXT) | instid1(VALU_DEP_2)
	v_dot4_i32_iu8 v7, v200, v194, v7 neg_lo:[1,1,0]
	v_mad_i32_i24 v6, v249, v187, v6
	s_delay_alu instid0(VALU_DEP_2) | instskip(NEXT) | instid1(VALU_DEP_2)
	v_mad_i32_i24 v7, v253, v195, v7
	v_dot4_i32_iu8 v6, v3, v190, v6 neg_lo:[1,1,0]
	s_delay_alu instid0(VALU_DEP_2) | instskip(NEXT) | instid1(VALU_DEP_2)
	v_dot4_i32_iu8 v7, v201, v198, v7 neg_lo:[1,1,0]
	;; [unrolled: 6-line block ×3, first 2 shown]
	v_mad_i32_i24 v6, v189, v205, v6
	s_delay_alu instid0(VALU_DEP_2) | instskip(SKIP_1) | instid1(VALU_DEP_2)
	v_mad_i32_i24 v7, v197, v255, v7
	s_set_vgpr_msb 4                        ;  msbs: dst=0 src0=0 src1=1 src2=0
	v_dot4_i32_iu8 v6, v216, v0 /*v256*/, v6 neg_lo:[1,1,0]
	s_set_vgpr_msb 0                        ;  msbs: dst=0 src0=0 src1=0 src2=0
	s_delay_alu instid0(VALU_DEP_2) | instskip(NEXT) | instid1(VALU_DEP_2)
	v_dot4_i32_iu8 v7, v218, v203, v7 neg_lo:[1,1,0]
	v_mul_lo_u32 v6, v6, v191
	s_delay_alu instid0(VALU_DEP_1) | instskip(SKIP_1) | instid1(VALU_DEP_2)
	v_mad_u32 v6, v7, v199, v6
	v_mul_f32_e32 v7, v183, v1
	v_cvt_f32_i32_e32 v6, v6
	s_delay_alu instid0(VALU_DEP_1) | instskip(SKIP_2) | instid1(VALU_DEP_3)
	v_mul_f32_e32 v115, v7, v6
	v_mul_i32_i24_e32 v6, v182, v223
	v_mul_i32_i24_e32 v7, v251, v231
	v_pk_add_f32 v[34:35], v[34:35], v[114:115]
	s_delay_alu instid0(VALU_DEP_3) | instskip(NEXT) | instid1(VALU_DEP_3)
	v_mad_i32_i24 v6, v207, v224, v6
	v_mad_i32_i24 v7, v252, v232, v7
	s_delay_alu instid0(VALU_DEP_2) | instskip(NEXT) | instid1(VALU_DEP_2)
	v_dot4_i32_iu8 v6, v2, v225, v6 neg_lo:[1,1,0]
	v_dot4_i32_iu8 v7, v200, v233, v7 neg_lo:[1,1,0]
	s_delay_alu instid0(VALU_DEP_2) | instskip(NEXT) | instid1(VALU_DEP_2)
	v_mad_i32_i24 v6, v249, v226, v6
	v_mad_i32_i24 v7, v253, v234, v7
	s_delay_alu instid0(VALU_DEP_2) | instskip(NEXT) | instid1(VALU_DEP_2)
	v_dot4_i32_iu8 v6, v3, v229, v6 neg_lo:[1,1,0]
	v_dot4_i32_iu8 v7, v201, v237, v7 neg_lo:[1,1,0]
	s_delay_alu instid0(VALU_DEP_2) | instskip(NEXT) | instid1(VALU_DEP_2)
	;; [unrolled: 6-line block ×3, first 2 shown]
	v_mad_i32_i24 v6, v228, v205, v6
	v_mad_i32_i24 v7, v236, v255, v7
	s_set_vgpr_msb 4                        ;  msbs: dst=0 src0=0 src1=1 src2=0
	s_delay_alu instid0(VALU_DEP_2) | instskip(SKIP_1) | instid1(VALU_DEP_2)
	v_dot4_i32_iu8 v6, v221, v0 /*v256*/, v6 neg_lo:[1,1,0]
	s_set_vgpr_msb 0                        ;  msbs: dst=0 src0=0 src1=0 src2=0
	v_dot4_i32_iu8 v7, v240, v203, v7 neg_lo:[1,1,0]
	s_delay_alu instid0(VALU_DEP_2) | instskip(NEXT) | instid1(VALU_DEP_1)
	v_mul_lo_u32 v6, v6, v230
	v_mad_u32 v6, v7, v238, v6
	v_dual_mul_f32 v7, v219, v1 :: v_dual_mul_f32 v1, v0, v1
	s_delay_alu instid0(VALU_DEP_2) | instskip(NEXT) | instid1(VALU_DEP_1)
	v_cvt_f32_i32_e32 v6, v6
	v_mul_f32_e32 v205, v7, v6
	s_set_vgpr_msb 1                        ;  msbs: dst=0 src0=1 src1=0 src2=0
	v_mul_i32_i24_e32 v6, v42 /*v298*/, v182
	s_set_vgpr_msb 0                        ;  msbs: dst=0 src0=0 src1=0 src2=0
	s_delay_alu instid0(VALU_DEP_2) | instskip(SKIP_1) | instid1(VALU_DEP_2)
	v_pk_add_f32 v[32:33], v[32:33], v[204:205]
	s_set_vgpr_msb 1                        ;  msbs: dst=0 src0=1 src1=0 src2=0
	v_mad_i32_i24 v6, v12 /*v268*/, v207, v6
	s_set_vgpr_msb 0                        ;  msbs: dst=0 src0=0 src1=0 src2=0
	s_delay_alu instid0(VALU_DEP_1) | instskip(SKIP_1) | instid1(VALU_DEP_1)
	v_dot4_i32_iu8 v2, v208, v2, v6 neg_lo:[1,1,0]
	s_set_vgpr_msb 1                        ;  msbs: dst=0 src0=1 src1=0 src2=0
	v_mad_i32_i24 v2, v4 /*v260*/, v249, v2
	s_set_vgpr_msb 0                        ;  msbs: dst=0 src0=0 src1=0 src2=0
	s_delay_alu instid0(VALU_DEP_1) | instskip(SKIP_3) | instid1(VALU_DEP_2)
	v_dot4_i32_iu8 v2, v241, v3, v2 neg_lo:[1,1,0]
	s_set_vgpr_msb 1                        ;  msbs: dst=0 src0=1 src1=0 src2=0
	v_mul_i32_i24_e32 v3, v17 /*v273*/, v251
	s_set_vgpr_msb 0                        ;  msbs: dst=0 src0=0 src1=0 src2=0
	v_mad_i32_i24 v2, v250, v239, v2
	s_set_vgpr_msb 1                        ;  msbs: dst=0 src0=1 src1=0 src2=0
	s_delay_alu instid0(VALU_DEP_2) | instskip(SKIP_1) | instid1(VALU_DEP_2)
	v_mad_i32_i24 v3, v13 /*v269*/, v252, v3
	s_set_vgpr_msb 0                        ;  msbs: dst=0 src0=0 src1=0 src2=0
	v_dot4_i32_iu8 v2, v4, v246, v2 neg_lo:[1,1,0]
	s_set_vgpr_msb 1                        ;  msbs: dst=0 src0=1 src1=0 src2=0
	s_delay_alu instid0(VALU_DEP_2) | instskip(SKIP_1) | instid1(VALU_DEP_2)
	v_dot4_i32_iu8 v3, v20 /*v276*/, v200, v3 neg_lo:[1,1,0]
	s_set_vgpr_msb 0                        ;  msbs: dst=0 src0=0 src1=0 src2=0
	v_dot4_i32_iu8 v2, v248, v5, v2 neg_lo:[1,1,0]
	s_set_vgpr_msb 1                        ;  msbs: dst=0 src0=1 src1=0 src2=0
	s_delay_alu instid0(VALU_DEP_2) | instskip(SKIP_1) | instid1(VALU_DEP_2)
	v_mad_i32_i24 v3, v32 /*v288*/, v253, v3
	s_set_vgpr_msb 0                        ;  msbs: dst=0 src0=0 src1=0 src2=0
	v_mul_lo_u32 v2, v2, v247
	s_delay_alu instid0(VALU_DEP_2) | instskip(NEXT) | instid1(VALU_DEP_1)
	v_dot4_i32_iu8 v3, v242, v201, v3 neg_lo:[1,1,0]
	v_mad_i32_i24 v3, v254, v215, v3
	s_delay_alu instid0(VALU_DEP_1) | instskip(NEXT) | instid1(VALU_DEP_1)
	v_dot4_i32_iu8 v3, v202, v244, v3 neg_lo:[1,1,0]
	v_mad_i32_i24 v3, v243, v255, v3
	s_delay_alu instid0(VALU_DEP_1) | instskip(NEXT) | instid1(VALU_DEP_1)
	v_dot4_i32_iu8 v3, v210, v203, v3 neg_lo:[1,1,0]
	v_mad_u32 v2, v3, v245, v2
	s_delay_alu instid0(VALU_DEP_1) | instskip(NEXT) | instid1(VALU_DEP_1)
	v_cvt_f32_i32_e32 v2, v2
	v_mul_f32_e32 v207, v1, v2
	v_or_b32_e32 v1, s17, v126
	s_delay_alu instid0(VALU_DEP_2) | instskip(NEXT) | instid1(VALU_DEP_2)
	v_pk_add_f32 v[30:31], v[30:31], v[206:207]
	v_dual_lshlrev_b32 v6, 2, v1 :: v_dual_lshrrev_b32 v1, 1, v1
	ds_load_b32 v1, v1 offset:38816
	ds_load_b128 v[2:5], v6 offset:25344
	ds_load_b128 v[200:203], v6 offset:25360
	s_wait_dscnt 0x1
	v_bfe_i32 v7, v2, 0, 8
	v_bfe_i32 v115, v2, 8, 8
	v_perm_b32 v2, v2, v2, 0xc0c0302
	v_bfe_i32 v182, v3, 0, 8
	v_perm_b32 v3, v3, v3, 0xc030201
	;; [unrolled: 2-line block ×4, first 2 shown]
	s_wait_dscnt 0x0
	v_bfe_i32 v206, v200, 0, 8
	v_bfe_i32 v207, v200, 8, 8
	v_perm_b32 v200, v200, v200, 0xc0c0302
	v_bfe_i32 v249, v201, 0, 8
	v_perm_b32 v201, v201, v201, 0xc030201
	;; [unrolled: 2-line block ×4, first 2 shown]
	v_mul_i32_i24_e32 v6, v7, v166
	v_mul_i32_i24_e32 v114, v206, v174
	;; [unrolled: 1-line block ×3, first 2 shown]
	s_delay_alu instid0(VALU_DEP_3) | instskip(NEXT) | instid1(VALU_DEP_3)
	v_mad_i32_i24 v6, v115, v167, v6
	v_mad_i32_i24 v114, v207, v175, v114
	s_delay_alu instid0(VALU_DEP_3) | instskip(NEXT) | instid1(VALU_DEP_3)
	v_mad_i32_i24 v253, v207, v193, v253
	v_dot4_i32_iu8 v6, v2, v168, v6 neg_lo:[1,1,0]
	s_delay_alu instid0(VALU_DEP_3) | instskip(NEXT) | instid1(VALU_DEP_3)
	v_dot4_i32_iu8 v114, v200, v176, v114 neg_lo:[1,1,0]
	v_dot4_i32_iu8 v253, v200, v194, v253 neg_lo:[1,1,0]
	s_delay_alu instid0(VALU_DEP_3) | instskip(NEXT) | instid1(VALU_DEP_3)
	v_mad_i32_i24 v6, v182, v170, v6
	v_mad_i32_i24 v114, v249, v178, v114
	s_delay_alu instid0(VALU_DEP_3) | instskip(NEXT) | instid1(VALU_DEP_3)
	v_mad_i32_i24 v253, v249, v195, v253
	v_dot4_i32_iu8 v6, v3, v172, v6 neg_lo:[1,1,0]
	s_delay_alu instid0(VALU_DEP_3) | instskip(NEXT) | instid1(VALU_DEP_3)
	v_dot4_i32_iu8 v114, v201, v180, v114 neg_lo:[1,1,0]
	v_dot4_i32_iu8 v253, v201, v198, v253 neg_lo:[1,1,0]
	s_delay_alu instid0(VALU_DEP_3) | instskip(NEXT) | instid1(VALU_DEP_3)
	v_mad_i32_i24 v6, v169, v205, v6
	v_mad_i32_i24 v114, v177, v250, v114
	s_delay_alu instid0(VALU_DEP_3) | instskip(NEXT) | instid1(VALU_DEP_3)
	v_mad_i32_i24 v253, v196, v250, v253
	v_dot4_i32_iu8 v6, v209, v4, v6 neg_lo:[1,1,0]
	s_delay_alu instid0(VALU_DEP_3) | instskip(NEXT) | instid1(VALU_DEP_3)
	v_dot4_i32_iu8 v114, v213, v202, v114 neg_lo:[1,1,0]
	v_dot4_i32_iu8 v253, v217, v202, v253 neg_lo:[1,1,0]
	s_delay_alu instid0(VALU_DEP_3) | instskip(NEXT) | instid1(VALU_DEP_3)
	v_mad_i32_i24 v6, v171, v204, v6
	v_mad_i32_i24 v114, v179, v251, v114
	s_delay_alu instid0(VALU_DEP_3) | instskip(NEXT) | instid1(VALU_DEP_3)
	v_mad_i32_i24 v253, v197, v251, v253
	v_dot4_i32_iu8 v6, v211, v252, v6 neg_lo:[1,1,0]
	s_delay_alu instid0(VALU_DEP_3) | instskip(NEXT) | instid1(VALU_DEP_3)
	v_dot4_i32_iu8 v114, v214, v203, v114 neg_lo:[1,1,0]
	v_dot4_i32_iu8 v253, v218, v203, v253 neg_lo:[1,1,0]
	s_delay_alu instid0(VALU_DEP_3) | instskip(NEXT) | instid1(VALU_DEP_1)
	v_mul_lo_u32 v6, v6, v173
	v_mad_u32 v6, v114, v181, v6
	v_mul_f32_e32 v114, v165, v1
	s_delay_alu instid0(VALU_DEP_2) | instskip(NEXT) | instid1(VALU_DEP_1)
	v_cvt_f32_i32_e32 v6, v6
	v_mul_f32_e32 v6, v114, v6
	v_mul_i32_i24_e32 v114, v7, v184
	s_delay_alu instid0(VALU_DEP_1) | instskip(NEXT) | instid1(VALU_DEP_1)
	v_mad_i32_i24 v114, v115, v185, v114
	v_dot4_i32_iu8 v114, v2, v186, v114 neg_lo:[1,1,0]
	s_delay_alu instid0(VALU_DEP_1) | instskip(NEXT) | instid1(VALU_DEP_1)
	v_mad_i32_i24 v114, v182, v187, v114
	v_dot4_i32_iu8 v114, v3, v190, v114 neg_lo:[1,1,0]
	;; [unrolled: 3-line block ×4, first 2 shown]
	s_delay_alu instid0(VALU_DEP_1) | instskip(NEXT) | instid1(VALU_DEP_1)
	v_mul_lo_u32 v114, v114, v191
	v_mad_u32 v114, v253, v199, v114
	v_mul_f32_e32 v253, v183, v1
	s_delay_alu instid0(VALU_DEP_2) | instskip(NEXT) | instid1(VALU_DEP_1)
	v_cvt_f32_i32_e32 v114, v114
	v_mul_f32_e32 v114, v253, v114
	v_mul_i32_i24_e32 v253, v7, v223
	s_set_vgpr_msb 1                        ;  msbs: dst=0 src0=1 src1=0 src2=0
	v_mul_i32_i24_e32 v7, v42 /*v298*/, v7
	s_set_vgpr_msb 0                        ;  msbs: dst=0 src0=0 src1=0 src2=0
	s_delay_alu instid0(VALU_DEP_2) | instskip(SKIP_1) | instid1(VALU_DEP_2)
	v_mad_i32_i24 v253, v115, v224, v253
	s_set_vgpr_msb 1                        ;  msbs: dst=0 src0=1 src1=0 src2=0
	v_mad_i32_i24 v7, v12 /*v268*/, v115, v7
	s_set_vgpr_msb 0                        ;  msbs: dst=0 src0=0 src1=0 src2=0
	s_delay_alu instid0(VALU_DEP_2) | instskip(NEXT) | instid1(VALU_DEP_2)
	v_dot4_i32_iu8 v253, v2, v225, v253 neg_lo:[1,1,0]
	v_dot4_i32_iu8 v2, v208, v2, v7 neg_lo:[1,1,0]
	s_delay_alu instid0(VALU_DEP_2) | instskip(SKIP_1) | instid1(VALU_DEP_2)
	v_mad_i32_i24 v253, v182, v226, v253
	s_set_vgpr_msb 1                        ;  msbs: dst=0 src0=1 src1=0 src2=0
	v_mad_i32_i24 v2, v4 /*v260*/, v182, v2
	s_set_vgpr_msb 0                        ;  msbs: dst=0 src0=0 src1=0 src2=0
	s_delay_alu instid0(VALU_DEP_2) | instskip(NEXT) | instid1(VALU_DEP_2)
	v_dot4_i32_iu8 v253, v3, v229, v253 neg_lo:[1,1,0]
	v_dot4_i32_iu8 v2, v241, v3, v2 neg_lo:[1,1,0]
	s_set_vgpr_msb 1                        ;  msbs: dst=0 src0=1 src1=0 src2=0
	v_mul_i32_i24_e32 v3, v17 /*v273*/, v206
	s_set_vgpr_msb 0                        ;  msbs: dst=0 src0=0 src1=0 src2=0
	v_mad_i32_i24 v253, v227, v205, v253
	v_mad_i32_i24 v2, v205, v239, v2
	s_set_vgpr_msb 1                        ;  msbs: dst=0 src0=1 src1=0 src2=0
	v_mad_i32_i24 v3, v13 /*v269*/, v207, v3
	s_set_vgpr_msb 0                        ;  msbs: dst=0 src0=0 src1=0 src2=0
	v_dot4_i32_iu8 v253, v220, v4, v253 neg_lo:[1,1,0]
	v_dot4_i32_iu8 v2, v4, v246, v2 neg_lo:[1,1,0]
	s_set_vgpr_msb 1                        ;  msbs: dst=0 src0=1 src1=0 src2=0
	v_dot4_i32_iu8 v3, v20 /*v276*/, v200, v3 neg_lo:[1,1,0]
	s_set_vgpr_msb 0                        ;  msbs: dst=0 src0=0 src1=0 src2=0
	v_mad_i32_i24 v204, v228, v204, v253
	v_dot4_i32_iu8 v2, v248, v5, v2 neg_lo:[1,1,0]
	s_set_vgpr_msb 1                        ;  msbs: dst=0 src0=1 src1=0 src2=0
	v_mad_i32_i24 v3, v32 /*v288*/, v249, v3
	s_set_vgpr_msb 0                        ;  msbs: dst=0 src0=0 src1=0 src2=0
	v_dot4_i32_iu8 v204, v221, v252, v204 neg_lo:[1,1,0]
	v_mul_i32_i24_e32 v252, v206, v231
	s_delay_alu instid0(VALU_DEP_3) | instskip(SKIP_1) | instid1(VALU_DEP_4)
	v_dot4_i32_iu8 v3, v242, v201, v3 neg_lo:[1,1,0]
	v_mul_lo_u32 v2, v2, v247
	v_mul_lo_u32 v204, v204, v230
	s_delay_alu instid0(VALU_DEP_4) | instskip(NEXT) | instid1(VALU_DEP_4)
	v_mad_i32_i24 v252, v207, v232, v252
	v_mad_i32_i24 v3, v250, v215, v3
	s_delay_alu instid0(VALU_DEP_2) | instskip(NEXT) | instid1(VALU_DEP_2)
	v_dot4_i32_iu8 v252, v200, v233, v252 neg_lo:[1,1,0]
	v_dot4_i32_iu8 v3, v202, v244, v3 neg_lo:[1,1,0]
	s_delay_alu instid0(VALU_DEP_2) | instskip(NEXT) | instid1(VALU_DEP_2)
	v_mad_i32_i24 v252, v249, v234, v252
	v_mad_i32_i24 v3, v243, v251, v3
	s_delay_alu instid0(VALU_DEP_2) | instskip(NEXT) | instid1(VALU_DEP_2)
	v_dot4_i32_iu8 v252, v201, v237, v252 neg_lo:[1,1,0]
	v_dot4_i32_iu8 v3, v210, v203, v3 neg_lo:[1,1,0]
	s_delay_alu instid0(VALU_DEP_2) | instskip(NEXT) | instid1(VALU_DEP_2)
	v_mad_i32_i24 v252, v235, v250, v252
	v_mad_u32 v2, v3, v245, v2
	s_delay_alu instid0(VALU_DEP_2) | instskip(NEXT) | instid1(VALU_DEP_1)
	v_dot4_i32_iu8 v252, v222, v202, v252 neg_lo:[1,1,0]
	v_mad_i32_i24 v252, v236, v251, v252
	s_delay_alu instid0(VALU_DEP_3) | instskip(NEXT) | instid1(VALU_DEP_2)
	v_cvt_f32_i32_e32 v2, v2
	v_dot4_i32_iu8 v252, v240, v203, v252 neg_lo:[1,1,0]
	s_delay_alu instid0(VALU_DEP_1) | instskip(SKIP_1) | instid1(VALU_DEP_1)
	v_mad_u32 v204, v252, v238, v204
	v_dual_mul_f32 v252, v219, v1 :: v_dual_mul_f32 v1, v0, v1
	v_dual_mul_f32 v206, v1, v2 :: v_dual_bitop2_b32 v1, s17, v127 bitop3:0x54
	s_delay_alu instid0(VALU_DEP_3) | instskip(NEXT) | instid1(VALU_DEP_2)
	v_cvt_f32_i32_e32 v204, v204
	v_dual_lshlrev_b32 v7, 2, v1 :: v_dual_lshrrev_b32 v1, 1, v1
	ds_load_b32 v1, v1 offset:38816
	ds_load_b128 v[2:5], v7 offset:25344
	ds_load_b128 v[200:203], v7 offset:25360
	v_mul_f32_e32 v204, v252, v204
	s_wait_dscnt 0x1
	v_bfe_i32 v182, v2, 0, 8
	v_bfe_i32 v207, v2, 8, 8
	v_perm_b32 v2, v2, v2, 0xc0c0302
	v_bfe_i32 v249, v3, 0, 8
	v_perm_b32 v3, v3, v3, 0xc030201
	v_bfe_i32 v250, v4, 0, 8
	v_perm_b32 v4, v4, v4, 0xc030201
	v_bfe_i32 v205, v5, 0, 8
	s_set_vgpr_msb 64                       ;  msbs: dst=1 src0=0 src1=0 src2=0
	v_perm_b32 v0 /*v256*/, v5, v5, 0xc030201
	s_wait_dscnt 0x0
	s_set_vgpr_msb 0                        ;  msbs: dst=0 src0=0 src1=0 src2=0
	v_bfe_i32 v251, v200, 0, 8
	v_bfe_i32 v252, v200, 8, 8
	v_perm_b32 v200, v200, v200, 0xc0c0302
	v_bfe_i32 v253, v201, 0, 8
	v_perm_b32 v201, v201, v201, 0xc030201
	;; [unrolled: 2-line block ×4, first 2 shown]
	v_mul_i32_i24_e32 v7, v182, v166
	v_mul_i32_i24_e32 v115, v251, v174
	s_delay_alu instid0(VALU_DEP_2) | instskip(NEXT) | instid1(VALU_DEP_2)
	v_mad_i32_i24 v7, v207, v167, v7
	v_mad_i32_i24 v115, v252, v175, v115
	s_delay_alu instid0(VALU_DEP_2) | instskip(NEXT) | instid1(VALU_DEP_2)
	v_dot4_i32_iu8 v7, v2, v168, v7 neg_lo:[1,1,0]
	v_dot4_i32_iu8 v115, v200, v176, v115 neg_lo:[1,1,0]
	s_delay_alu instid0(VALU_DEP_2) | instskip(NEXT) | instid1(VALU_DEP_2)
	v_mad_i32_i24 v7, v249, v170, v7
	v_mad_i32_i24 v115, v253, v178, v115
	s_delay_alu instid0(VALU_DEP_2) | instskip(NEXT) | instid1(VALU_DEP_2)
	v_dot4_i32_iu8 v7, v3, v172, v7 neg_lo:[1,1,0]
	v_dot4_i32_iu8 v115, v201, v180, v115 neg_lo:[1,1,0]
	;; [unrolled: 6-line block ×3, first 2 shown]
	s_delay_alu instid0(VALU_DEP_2) | instskip(NEXT) | instid1(VALU_DEP_2)
	v_mad_i32_i24 v7, v171, v205, v7
	v_mad_i32_i24 v115, v179, v255, v115
	s_set_vgpr_msb 4                        ;  msbs: dst=0 src0=0 src1=1 src2=0
	s_delay_alu instid0(VALU_DEP_2) | instskip(SKIP_1) | instid1(VALU_DEP_2)
	v_dot4_i32_iu8 v7, v211, v0 /*v256*/, v7 neg_lo:[1,1,0]
	s_set_vgpr_msb 0                        ;  msbs: dst=0 src0=0 src1=0 src2=0
	v_dot4_i32_iu8 v115, v214, v203, v115 neg_lo:[1,1,0]
	s_delay_alu instid0(VALU_DEP_2) | instskip(NEXT) | instid1(VALU_DEP_1)
	v_mul_lo_u32 v7, v7, v173
	v_mad_u32 v7, v115, v181, v7
	v_mul_f32_e32 v115, v165, v1
	s_delay_alu instid0(VALU_DEP_2) | instskip(NEXT) | instid1(VALU_DEP_1)
	v_cvt_f32_i32_e32 v7, v7
	v_mul_f32_e32 v7, v115, v7
	s_delay_alu instid0(VALU_DEP_1) | instskip(SKIP_2) | instid1(VALU_DEP_2)
	v_pk_add_f32 v[28:29], v[28:29], v[6:7]
	v_mul_i32_i24_e32 v6, v182, v184
	v_mul_i32_i24_e32 v7, v251, v192
	v_mad_i32_i24 v6, v207, v185, v6
	s_delay_alu instid0(VALU_DEP_2) | instskip(NEXT) | instid1(VALU_DEP_2)
	v_mad_i32_i24 v7, v252, v193, v7
	v_dot4_i32_iu8 v6, v2, v186, v6 neg_lo:[1,1,0]
	s_delay_alu instid0(VALU_DEP_2) | instskip(NEXT) | instid1(VALU_DEP_2)
	v_dot4_i32_iu8 v7, v200, v194, v7 neg_lo:[1,1,0]
	v_mad_i32_i24 v6, v249, v187, v6
	s_delay_alu instid0(VALU_DEP_2) | instskip(NEXT) | instid1(VALU_DEP_2)
	v_mad_i32_i24 v7, v253, v195, v7
	v_dot4_i32_iu8 v6, v3, v190, v6 neg_lo:[1,1,0]
	s_delay_alu instid0(VALU_DEP_2) | instskip(NEXT) | instid1(VALU_DEP_2)
	v_dot4_i32_iu8 v7, v201, v198, v7 neg_lo:[1,1,0]
	;; [unrolled: 6-line block ×3, first 2 shown]
	v_mad_i32_i24 v6, v189, v205, v6
	s_delay_alu instid0(VALU_DEP_2) | instskip(SKIP_1) | instid1(VALU_DEP_2)
	v_mad_i32_i24 v7, v197, v255, v7
	s_set_vgpr_msb 4                        ;  msbs: dst=0 src0=0 src1=1 src2=0
	v_dot4_i32_iu8 v6, v216, v0 /*v256*/, v6 neg_lo:[1,1,0]
	s_set_vgpr_msb 0                        ;  msbs: dst=0 src0=0 src1=0 src2=0
	s_delay_alu instid0(VALU_DEP_2) | instskip(NEXT) | instid1(VALU_DEP_2)
	v_dot4_i32_iu8 v7, v218, v203, v7 neg_lo:[1,1,0]
	v_mul_lo_u32 v6, v6, v191
	s_delay_alu instid0(VALU_DEP_1) | instskip(SKIP_1) | instid1(VALU_DEP_2)
	v_mad_u32 v6, v7, v199, v6
	v_mul_f32_e32 v7, v183, v1
	v_cvt_f32_i32_e32 v6, v6
	s_delay_alu instid0(VALU_DEP_1) | instskip(SKIP_2) | instid1(VALU_DEP_2)
	v_mul_f32_e32 v115, v7, v6
	v_mul_i32_i24_e32 v6, v182, v223
	v_mul_i32_i24_e32 v7, v251, v231
	v_mad_i32_i24 v6, v207, v224, v6
	s_delay_alu instid0(VALU_DEP_2) | instskip(NEXT) | instid1(VALU_DEP_2)
	v_mad_i32_i24 v7, v252, v232, v7
	v_dot4_i32_iu8 v6, v2, v225, v6 neg_lo:[1,1,0]
	s_delay_alu instid0(VALU_DEP_2) | instskip(NEXT) | instid1(VALU_DEP_2)
	v_dot4_i32_iu8 v7, v200, v233, v7 neg_lo:[1,1,0]
	v_mad_i32_i24 v6, v249, v226, v6
	s_delay_alu instid0(VALU_DEP_2) | instskip(NEXT) | instid1(VALU_DEP_2)
	v_mad_i32_i24 v7, v253, v234, v7
	v_dot4_i32_iu8 v6, v3, v229, v6 neg_lo:[1,1,0]
	s_delay_alu instid0(VALU_DEP_2) | instskip(NEXT) | instid1(VALU_DEP_2)
	v_dot4_i32_iu8 v7, v201, v237, v7 neg_lo:[1,1,0]
	;; [unrolled: 6-line block ×3, first 2 shown]
	v_mad_i32_i24 v6, v228, v205, v6
	s_delay_alu instid0(VALU_DEP_2) | instskip(SKIP_1) | instid1(VALU_DEP_2)
	v_mad_i32_i24 v7, v236, v255, v7
	s_set_vgpr_msb 4                        ;  msbs: dst=0 src0=0 src1=1 src2=0
	v_dot4_i32_iu8 v6, v221, v0 /*v256*/, v6 neg_lo:[1,1,0]
	s_set_vgpr_msb 0                        ;  msbs: dst=0 src0=0 src1=0 src2=0
	s_delay_alu instid0(VALU_DEP_2) | instskip(NEXT) | instid1(VALU_DEP_2)
	v_dot4_i32_iu8 v7, v240, v203, v7 neg_lo:[1,1,0]
	v_mul_lo_u32 v6, v6, v230
	s_delay_alu instid0(VALU_DEP_1) | instskip(SKIP_1) | instid1(VALU_DEP_2)
	v_mad_u32 v6, v7, v238, v6
	v_dual_mul_f32 v7, v219, v1 :: v_dual_mul_f32 v1, v0, v1
	v_cvt_f32_i32_e32 v6, v6
	s_delay_alu instid0(VALU_DEP_1)
	v_mul_f32_e32 v205, v7, v6
	s_set_vgpr_msb 1                        ;  msbs: dst=0 src0=1 src1=0 src2=0
	v_mul_i32_i24_e32 v6, v42 /*v298*/, v182
	s_set_vgpr_msb 0                        ;  msbs: dst=0 src0=0 src1=0 src2=0
	v_pk_add_f32 v[26:27], v[26:27], v[114:115]
	v_pk_add_f32 v[24:25], v[24:25], v[204:205]
	s_set_vgpr_msb 1                        ;  msbs: dst=0 src0=1 src1=0 src2=0
	v_mad_i32_i24 v6, v12 /*v268*/, v207, v6
	s_set_vgpr_msb 0                        ;  msbs: dst=0 src0=0 src1=0 src2=0
	s_delay_alu instid0(VALU_DEP_1) | instskip(SKIP_1) | instid1(VALU_DEP_1)
	v_dot4_i32_iu8 v2, v208, v2, v6 neg_lo:[1,1,0]
	s_set_vgpr_msb 1                        ;  msbs: dst=0 src0=1 src1=0 src2=0
	v_mad_i32_i24 v2, v4 /*v260*/, v249, v2
	s_set_vgpr_msb 0                        ;  msbs: dst=0 src0=0 src1=0 src2=0
	s_delay_alu instid0(VALU_DEP_1) | instskip(SKIP_3) | instid1(VALU_DEP_2)
	v_dot4_i32_iu8 v2, v241, v3, v2 neg_lo:[1,1,0]
	s_set_vgpr_msb 1                        ;  msbs: dst=0 src0=1 src1=0 src2=0
	v_mul_i32_i24_e32 v3, v17 /*v273*/, v251
	s_set_vgpr_msb 0                        ;  msbs: dst=0 src0=0 src1=0 src2=0
	v_mad_i32_i24 v2, v250, v239, v2
	s_set_vgpr_msb 1                        ;  msbs: dst=0 src0=1 src1=0 src2=0
	s_delay_alu instid0(VALU_DEP_2) | instskip(SKIP_1) | instid1(VALU_DEP_2)
	v_mad_i32_i24 v3, v13 /*v269*/, v252, v3
	s_set_vgpr_msb 0                        ;  msbs: dst=0 src0=0 src1=0 src2=0
	v_dot4_i32_iu8 v2, v4, v246, v2 neg_lo:[1,1,0]
	s_set_vgpr_msb 1                        ;  msbs: dst=0 src0=1 src1=0 src2=0
	s_delay_alu instid0(VALU_DEP_2) | instskip(SKIP_1) | instid1(VALU_DEP_2)
	v_dot4_i32_iu8 v3, v20 /*v276*/, v200, v3 neg_lo:[1,1,0]
	s_set_vgpr_msb 0                        ;  msbs: dst=0 src0=0 src1=0 src2=0
	v_dot4_i32_iu8 v2, v248, v5, v2 neg_lo:[1,1,0]
	s_set_vgpr_msb 1                        ;  msbs: dst=0 src0=1 src1=0 src2=0
	s_delay_alu instid0(VALU_DEP_2) | instskip(SKIP_1) | instid1(VALU_DEP_2)
	v_mad_i32_i24 v3, v32 /*v288*/, v253, v3
	s_set_vgpr_msb 0                        ;  msbs: dst=0 src0=0 src1=0 src2=0
	v_mul_lo_u32 v2, v2, v247
	s_delay_alu instid0(VALU_DEP_2) | instskip(NEXT) | instid1(VALU_DEP_1)
	v_dot4_i32_iu8 v3, v242, v201, v3 neg_lo:[1,1,0]
	v_mad_i32_i24 v3, v254, v215, v3
	s_delay_alu instid0(VALU_DEP_1) | instskip(NEXT) | instid1(VALU_DEP_1)
	v_dot4_i32_iu8 v3, v202, v244, v3 neg_lo:[1,1,0]
	v_mad_i32_i24 v3, v243, v255, v3
	s_delay_alu instid0(VALU_DEP_1) | instskip(NEXT) | instid1(VALU_DEP_1)
	v_dot4_i32_iu8 v3, v210, v203, v3 neg_lo:[1,1,0]
	v_mad_u32 v2, v3, v245, v2
	s_delay_alu instid0(VALU_DEP_1) | instskip(NEXT) | instid1(VALU_DEP_1)
	v_cvt_f32_i32_e32 v2, v2
	v_dual_mul_f32 v207, v1, v2 :: v_dual_bitop2_b32 v1, s17, v128 bitop3:0x54
	s_delay_alu instid0(VALU_DEP_1) | instskip(NEXT) | instid1(VALU_DEP_2)
	v_pk_add_f32 v[16:17], v[16:17], v[206:207]
	v_dual_lshlrev_b32 v6, 2, v1 :: v_dual_lshrrev_b32 v1, 1, v1
	ds_load_b32 v1, v1 offset:38816
	ds_load_b128 v[2:5], v6 offset:25344
	ds_load_b128 v[200:203], v6 offset:25360
	s_wait_dscnt 0x1
	v_bfe_i32 v7, v2, 0, 8
	v_bfe_i32 v115, v2, 8, 8
	v_perm_b32 v2, v2, v2, 0xc0c0302
	v_bfe_i32 v204, v3, 0, 8
	v_perm_b32 v3, v3, v3, 0xc030201
	;; [unrolled: 2-line block ×4, first 2 shown]
	s_wait_dscnt 0x0
	v_bfe_i32 v206, v200, 0, 8
	v_bfe_i32 v207, v200, 8, 8
	v_perm_b32 v200, v200, v200, 0xc0c0302
	v_bfe_i32 v249, v201, 0, 8
	v_perm_b32 v201, v201, v201, 0xc030201
	;; [unrolled: 2-line block ×4, first 2 shown]
	v_mul_i32_i24_e32 v6, v7, v166
	v_mul_i32_i24_e32 v114, v206, v174
	v_mul_i32_i24_e32 v253, v206, v192
	s_delay_alu instid0(VALU_DEP_3) | instskip(NEXT) | instid1(VALU_DEP_3)
	v_mad_i32_i24 v6, v115, v167, v6
	v_mad_i32_i24 v114, v207, v175, v114
	s_delay_alu instid0(VALU_DEP_3) | instskip(NEXT) | instid1(VALU_DEP_3)
	v_mad_i32_i24 v253, v207, v193, v253
	v_dot4_i32_iu8 v6, v2, v168, v6 neg_lo:[1,1,0]
	s_delay_alu instid0(VALU_DEP_3) | instskip(NEXT) | instid1(VALU_DEP_3)
	v_dot4_i32_iu8 v114, v200, v176, v114 neg_lo:[1,1,0]
	v_dot4_i32_iu8 v253, v200, v194, v253 neg_lo:[1,1,0]
	s_delay_alu instid0(VALU_DEP_3) | instskip(NEXT) | instid1(VALU_DEP_3)
	v_mad_i32_i24 v6, v204, v170, v6
	v_mad_i32_i24 v114, v249, v178, v114
	s_delay_alu instid0(VALU_DEP_3) | instskip(NEXT) | instid1(VALU_DEP_3)
	v_mad_i32_i24 v253, v249, v195, v253
	v_dot4_i32_iu8 v6, v3, v172, v6 neg_lo:[1,1,0]
	s_delay_alu instid0(VALU_DEP_3) | instskip(NEXT) | instid1(VALU_DEP_3)
	v_dot4_i32_iu8 v114, v201, v180, v114 neg_lo:[1,1,0]
	v_dot4_i32_iu8 v253, v201, v198, v253 neg_lo:[1,1,0]
	;; [unrolled: 9-line block ×4, first 2 shown]
	s_delay_alu instid0(VALU_DEP_3) | instskip(NEXT) | instid1(VALU_DEP_1)
	v_mul_lo_u32 v6, v6, v173
	v_mad_u32 v6, v114, v181, v6
	v_mul_f32_e32 v114, v165, v1
	s_delay_alu instid0(VALU_DEP_2) | instskip(NEXT) | instid1(VALU_DEP_1)
	v_cvt_f32_i32_e32 v6, v6
	v_mul_f32_e32 v6, v114, v6
	v_mul_i32_i24_e32 v114, v7, v184
	s_delay_alu instid0(VALU_DEP_1) | instskip(NEXT) | instid1(VALU_DEP_1)
	v_mad_i32_i24 v114, v115, v185, v114
	v_dot4_i32_iu8 v114, v2, v186, v114 neg_lo:[1,1,0]
	s_delay_alu instid0(VALU_DEP_1) | instskip(NEXT) | instid1(VALU_DEP_1)
	v_mad_i32_i24 v114, v204, v187, v114
	v_dot4_i32_iu8 v114, v3, v190, v114 neg_lo:[1,1,0]
	;; [unrolled: 3-line block ×4, first 2 shown]
	s_delay_alu instid0(VALU_DEP_1) | instskip(NEXT) | instid1(VALU_DEP_1)
	v_mul_lo_u32 v114, v114, v191
	v_mad_u32 v114, v253, v199, v114
	v_mul_f32_e32 v253, v183, v1
	s_delay_alu instid0(VALU_DEP_2) | instskip(NEXT) | instid1(VALU_DEP_1)
	v_cvt_f32_i32_e32 v114, v114
	v_mul_f32_e32 v114, v253, v114
	v_mul_i32_i24_e32 v253, v7, v223
	s_set_vgpr_msb 1                        ;  msbs: dst=0 src0=1 src1=0 src2=0
	v_mul_i32_i24_e32 v7, v42 /*v298*/, v7
	s_set_vgpr_msb 0                        ;  msbs: dst=0 src0=0 src1=0 src2=0
	s_delay_alu instid0(VALU_DEP_2) | instskip(SKIP_1) | instid1(VALU_DEP_2)
	v_mad_i32_i24 v253, v115, v224, v253
	s_set_vgpr_msb 1                        ;  msbs: dst=0 src0=1 src1=0 src2=0
	v_mad_i32_i24 v7, v12 /*v268*/, v115, v7
	s_set_vgpr_msb 0                        ;  msbs: dst=0 src0=0 src1=0 src2=0
	s_delay_alu instid0(VALU_DEP_2) | instskip(NEXT) | instid1(VALU_DEP_2)
	v_dot4_i32_iu8 v253, v2, v225, v253 neg_lo:[1,1,0]
	v_dot4_i32_iu8 v2, v208, v2, v7 neg_lo:[1,1,0]
	s_delay_alu instid0(VALU_DEP_2) | instskip(SKIP_1) | instid1(VALU_DEP_2)
	v_mad_i32_i24 v253, v204, v226, v253
	s_set_vgpr_msb 1                        ;  msbs: dst=0 src0=1 src1=0 src2=0
	v_mad_i32_i24 v2, v4 /*v260*/, v204, v2
	s_set_vgpr_msb 0                        ;  msbs: dst=0 src0=0 src1=0 src2=0
	s_delay_alu instid0(VALU_DEP_2) | instskip(NEXT) | instid1(VALU_DEP_2)
	v_dot4_i32_iu8 v253, v3, v229, v253 neg_lo:[1,1,0]
	v_dot4_i32_iu8 v2, v241, v3, v2 neg_lo:[1,1,0]
	s_set_vgpr_msb 1                        ;  msbs: dst=0 src0=1 src1=0 src2=0
	v_mul_i32_i24_e32 v3, v17 /*v273*/, v206
	s_set_vgpr_msb 0                        ;  msbs: dst=0 src0=0 src1=0 src2=0
	v_mad_i32_i24 v253, v227, v205, v253
	v_mad_i32_i24 v2, v205, v239, v2
	s_set_vgpr_msb 1                        ;  msbs: dst=0 src0=1 src1=0 src2=0
	v_mad_i32_i24 v3, v13 /*v269*/, v207, v3
	s_set_vgpr_msb 0                        ;  msbs: dst=0 src0=0 src1=0 src2=0
	v_dot4_i32_iu8 v253, v220, v4, v253 neg_lo:[1,1,0]
	v_dot4_i32_iu8 v2, v4, v246, v2 neg_lo:[1,1,0]
	s_set_vgpr_msb 1                        ;  msbs: dst=0 src0=1 src1=0 src2=0
	v_dot4_i32_iu8 v3, v20 /*v276*/, v200, v3 neg_lo:[1,1,0]
	s_set_vgpr_msb 0                        ;  msbs: dst=0 src0=0 src1=0 src2=0
	v_mad_i32_i24 v182, v228, v182, v253
	v_dot4_i32_iu8 v2, v248, v5, v2 neg_lo:[1,1,0]
	s_set_vgpr_msb 1                        ;  msbs: dst=0 src0=1 src1=0 src2=0
	v_mad_i32_i24 v3, v32 /*v288*/, v249, v3
	s_set_vgpr_msb 0                        ;  msbs: dst=0 src0=0 src1=0 src2=0
	v_dot4_i32_iu8 v182, v221, v252, v182 neg_lo:[1,1,0]
	v_mul_i32_i24_e32 v252, v206, v231
	s_delay_alu instid0(VALU_DEP_3) | instskip(SKIP_1) | instid1(VALU_DEP_4)
	v_dot4_i32_iu8 v3, v242, v201, v3 neg_lo:[1,1,0]
	v_mul_lo_u32 v2, v2, v247
	v_mul_lo_u32 v182, v182, v230
	s_delay_alu instid0(VALU_DEP_4) | instskip(NEXT) | instid1(VALU_DEP_4)
	v_mad_i32_i24 v252, v207, v232, v252
	v_mad_i32_i24 v3, v250, v215, v3
	s_delay_alu instid0(VALU_DEP_2) | instskip(NEXT) | instid1(VALU_DEP_2)
	v_dot4_i32_iu8 v252, v200, v233, v252 neg_lo:[1,1,0]
	v_dot4_i32_iu8 v3, v202, v244, v3 neg_lo:[1,1,0]
	s_delay_alu instid0(VALU_DEP_2) | instskip(NEXT) | instid1(VALU_DEP_2)
	v_mad_i32_i24 v252, v249, v234, v252
	v_mad_i32_i24 v3, v243, v251, v3
	s_delay_alu instid0(VALU_DEP_2) | instskip(NEXT) | instid1(VALU_DEP_2)
	v_dot4_i32_iu8 v252, v201, v237, v252 neg_lo:[1,1,0]
	v_dot4_i32_iu8 v3, v210, v203, v3 neg_lo:[1,1,0]
	s_delay_alu instid0(VALU_DEP_2) | instskip(NEXT) | instid1(VALU_DEP_2)
	v_mad_i32_i24 v252, v235, v250, v252
	v_mad_u32 v2, v3, v245, v2
	s_delay_alu instid0(VALU_DEP_2) | instskip(NEXT) | instid1(VALU_DEP_1)
	v_dot4_i32_iu8 v252, v222, v202, v252 neg_lo:[1,1,0]
	v_mad_i32_i24 v252, v236, v251, v252
	s_delay_alu instid0(VALU_DEP_3) | instskip(NEXT) | instid1(VALU_DEP_2)
	v_cvt_f32_i32_e32 v2, v2
	v_dot4_i32_iu8 v252, v240, v203, v252 neg_lo:[1,1,0]
	s_delay_alu instid0(VALU_DEP_1) | instskip(SKIP_1) | instid1(VALU_DEP_1)
	v_mad_u32 v182, v252, v238, v182
	v_dual_mul_f32 v252, v219, v1 :: v_dual_mul_f32 v1, v0, v1
	v_dual_mul_f32 v204, v1, v2 :: v_dual_bitop2_b32 v1, s17, v129 bitop3:0x54
	s_delay_alu instid0(VALU_DEP_3) | instskip(NEXT) | instid1(VALU_DEP_2)
	v_cvt_f32_i32_e32 v182, v182
	v_dual_lshlrev_b32 v7, 2, v1 :: v_dual_lshrrev_b32 v1, 1, v1
	ds_load_b32 v1, v1 offset:38816
	ds_load_b128 v[2:5], v7 offset:25344
	ds_load_b128 v[200:203], v7 offset:25360
	v_mul_f32_e32 v182, v252, v182
	s_wait_dscnt 0x2
	v_mul_f32_e32 v0, v0, v1
	s_wait_dscnt 0x1
	v_bfe_i32 v205, v2, 0, 8
	v_bfe_i32 v206, v2, 8, 8
	v_perm_b32 v2, v2, v2, 0xc0c0302
	s_wait_dscnt 0x0
	v_bfe_i32 v251, v200, 0, 8
	v_bfe_i32 v207, v3, 0, 8
	v_mul_i32_i24_e32 v7, v205, v166
	v_bfe_i32 v252, v200, 8, 8
	v_perm_b32 v3, v3, v3, 0xc030201
	v_mul_i32_i24_e32 v115, v251, v174
	v_bfe_i32 v249, v4, 0, 8
	v_mad_i32_i24 v7, v206, v167, v7
	v_perm_b32 v167, v200, v200, 0xc0c0302
	v_bfe_i32 v253, v201, 0, 8
	v_mad_i32_i24 v115, v252, v175, v115
	v_perm_b32 v4, v4, v4, 0xc030201
	v_dot4_i32_iu8 v7, v2, v168, v7 neg_lo:[1,1,0]
	v_perm_b32 v168, v201, v201, 0xc030201
	v_bfe_i32 v250, v5, 0, 8
	v_dot4_i32_iu8 v115, v167, v176, v115 neg_lo:[1,1,0]
	v_bfe_i32 v254, v202, 0, 8
	v_mad_i32_i24 v7, v207, v170, v7
	v_perm_b32 v166, v5, v5, 0xc030201
	v_bfe_i32 v255, v203, 0, 8
	v_mad_i32_i24 v115, v253, v178, v115
	v_perm_b32 v170, v203, v203, 0xc030201
	v_dot4_i32_iu8 v7, v3, v172, v7 neg_lo:[1,1,0]
	s_delay_alu instid0(VALU_DEP_3) | instskip(NEXT) | instid1(VALU_DEP_2)
	v_dot4_i32_iu8 v115, v168, v180, v115 neg_lo:[1,1,0]
	v_mad_i32_i24 v7, v169, v249, v7
	v_perm_b32 v169, v202, v202, 0xc030201
	s_delay_alu instid0(VALU_DEP_3) | instskip(NEXT) | instid1(VALU_DEP_3)
	v_mad_i32_i24 v115, v177, v254, v115
	v_dot4_i32_iu8 v7, v209, v4, v7 neg_lo:[1,1,0]
	s_delay_alu instid0(VALU_DEP_2) | instskip(NEXT) | instid1(VALU_DEP_2)
	v_dot4_i32_iu8 v115, v213, v169, v115 neg_lo:[1,1,0]
	v_mad_i32_i24 v7, v171, v250, v7
	s_delay_alu instid0(VALU_DEP_2) | instskip(NEXT) | instid1(VALU_DEP_2)
	v_mad_i32_i24 v115, v179, v255, v115
	v_dot4_i32_iu8 v7, v211, v166, v7 neg_lo:[1,1,0]
	s_delay_alu instid0(VALU_DEP_2) | instskip(NEXT) | instid1(VALU_DEP_2)
	v_dot4_i32_iu8 v115, v214, v170, v115 neg_lo:[1,1,0]
	v_mul_lo_u32 v7, v7, v173
	s_delay_alu instid0(VALU_DEP_1) | instskip(SKIP_1) | instid1(VALU_DEP_2)
	v_mad_u32 v7, v115, v181, v7
	v_mul_f32_e32 v115, v165, v1
	v_cvt_f32_i32_e32 v7, v7
	s_delay_alu instid0(VALU_DEP_1) | instskip(NEXT) | instid1(VALU_DEP_1)
	v_mul_f32_e32 v7, v115, v7
	v_pk_add_f32 v[14:15], v[14:15], v[6:7]
	v_mul_i32_i24_e32 v6, v205, v184
	v_mul_i32_i24_e32 v7, v251, v192
	s_delay_alu instid0(VALU_DEP_2) | instskip(NEXT) | instid1(VALU_DEP_2)
	v_mad_i32_i24 v6, v206, v185, v6
	v_mad_i32_i24 v7, v252, v193, v7
	s_delay_alu instid0(VALU_DEP_2) | instskip(NEXT) | instid1(VALU_DEP_2)
	v_dot4_i32_iu8 v6, v2, v186, v6 neg_lo:[1,1,0]
	v_dot4_i32_iu8 v7, v167, v194, v7 neg_lo:[1,1,0]
	s_delay_alu instid0(VALU_DEP_2) | instskip(NEXT) | instid1(VALU_DEP_2)
	v_mad_i32_i24 v6, v207, v187, v6
	v_mad_i32_i24 v7, v253, v195, v7
	s_delay_alu instid0(VALU_DEP_2) | instskip(NEXT) | instid1(VALU_DEP_2)
	v_dot4_i32_iu8 v6, v3, v190, v6 neg_lo:[1,1,0]
	v_dot4_i32_iu8 v7, v168, v198, v7 neg_lo:[1,1,0]
	;; [unrolled: 6-line block ×4, first 2 shown]
	s_delay_alu instid0(VALU_DEP_2) | instskip(NEXT) | instid1(VALU_DEP_1)
	v_mul_lo_u32 v6, v6, v191
	v_mad_u32 v6, v7, v199, v6
	v_mul_f32_e32 v7, v183, v1
	s_delay_alu instid0(VALU_DEP_2) | instskip(NEXT) | instid1(VALU_DEP_1)
	v_cvt_f32_i32_e32 v6, v6
	v_mul_f32_e32 v115, v7, v6
	v_mul_i32_i24_e32 v6, v205, v223
	v_mul_i32_i24_e32 v7, v251, v231
	s_delay_alu instid0(VALU_DEP_3) | instskip(NEXT) | instid1(VALU_DEP_3)
	v_pk_add_f32 v[12:13], v[12:13], v[114:115]
	v_mad_i32_i24 v6, v206, v224, v6
	s_delay_alu instid0(VALU_DEP_3) | instskip(NEXT) | instid1(VALU_DEP_2)
	v_mad_i32_i24 v7, v252, v232, v7
	v_dot4_i32_iu8 v6, v2, v225, v6 neg_lo:[1,1,0]
	s_delay_alu instid0(VALU_DEP_2) | instskip(NEXT) | instid1(VALU_DEP_2)
	v_dot4_i32_iu8 v7, v167, v233, v7 neg_lo:[1,1,0]
	v_mad_i32_i24 v6, v207, v226, v6
	s_delay_alu instid0(VALU_DEP_2) | instskip(NEXT) | instid1(VALU_DEP_2)
	v_mad_i32_i24 v7, v253, v234, v7
	v_dot4_i32_iu8 v6, v3, v229, v6 neg_lo:[1,1,0]
	s_delay_alu instid0(VALU_DEP_2) | instskip(NEXT) | instid1(VALU_DEP_2)
	v_dot4_i32_iu8 v7, v168, v237, v7 neg_lo:[1,1,0]
	v_mad_i32_i24 v6, v227, v249, v6
	s_delay_alu instid0(VALU_DEP_2) | instskip(NEXT) | instid1(VALU_DEP_2)
	;; [unrolled: 6-line block ×3, first 2 shown]
	v_mad_i32_i24 v7, v236, v255, v7
	v_dot4_i32_iu8 v6, v221, v166, v6 neg_lo:[1,1,0]
	s_delay_alu instid0(VALU_DEP_2) | instskip(NEXT) | instid1(VALU_DEP_2)
	v_dot4_i32_iu8 v7, v240, v170, v7 neg_lo:[1,1,0]
	v_mul_lo_u32 v6, v6, v230
	s_delay_alu instid0(VALU_DEP_1) | instskip(SKIP_1) | instid1(VALU_DEP_2)
	v_mad_u32 v6, v7, v238, v6
	v_mul_f32_e32 v7, v219, v1
	v_cvt_f32_i32_e32 v6, v6
	s_delay_alu instid0(VALU_DEP_1) | instskip(SKIP_2) | instid1(VALU_DEP_1)
	v_mul_f32_e32 v183, v7, v6
	s_set_vgpr_msb 1                        ;  msbs: dst=0 src0=1 src1=0 src2=0
	v_mul_i32_i24_e32 v6, v42 /*v298*/, v205
	v_mad_i32_i24 v6, v12 /*v268*/, v206, v6
	s_set_vgpr_msb 0                        ;  msbs: dst=0 src0=0 src1=0 src2=0
	s_delay_alu instid0(VALU_DEP_1) | instskip(SKIP_1) | instid1(VALU_DEP_1)
	v_dot4_i32_iu8 v2, v208, v2, v6 neg_lo:[1,1,0]
	s_set_vgpr_msb 1                        ;  msbs: dst=0 src0=1 src1=0 src2=0
	v_mad_i32_i24 v2, v4 /*v260*/, v207, v2
	s_set_vgpr_msb 0                        ;  msbs: dst=0 src0=0 src1=0 src2=0
	s_delay_alu instid0(VALU_DEP_1) | instskip(SKIP_3) | instid1(VALU_DEP_2)
	v_dot4_i32_iu8 v2, v241, v3, v2 neg_lo:[1,1,0]
	s_set_vgpr_msb 1                        ;  msbs: dst=0 src0=1 src1=0 src2=0
	v_mul_i32_i24_e32 v3, v17 /*v273*/, v251
	s_set_vgpr_msb 0                        ;  msbs: dst=0 src0=0 src1=0 src2=0
	v_mad_i32_i24 v2, v249, v239, v2
	s_set_vgpr_msb 1                        ;  msbs: dst=0 src0=1 src1=0 src2=0
	s_delay_alu instid0(VALU_DEP_2) | instskip(SKIP_1) | instid1(VALU_DEP_2)
	v_mad_i32_i24 v3, v13 /*v269*/, v252, v3
	s_set_vgpr_msb 0                        ;  msbs: dst=0 src0=0 src1=0 src2=0
	v_dot4_i32_iu8 v2, v4, v246, v2 neg_lo:[1,1,0]
	s_set_vgpr_msb 1                        ;  msbs: dst=0 src0=1 src1=0 src2=0
	s_delay_alu instid0(VALU_DEP_2) | instskip(SKIP_1) | instid1(VALU_DEP_2)
	v_dot4_i32_iu8 v3, v20 /*v276*/, v167, v3 neg_lo:[1,1,0]
	s_set_vgpr_msb 0                        ;  msbs: dst=0 src0=0 src1=0 src2=0
	v_dot4_i32_iu8 v2, v248, v5, v2 neg_lo:[1,1,0]
	s_set_vgpr_msb 1                        ;  msbs: dst=0 src0=1 src1=0 src2=0
	s_delay_alu instid0(VALU_DEP_2) | instskip(SKIP_1) | instid1(VALU_DEP_2)
	v_mad_i32_i24 v3, v32 /*v288*/, v253, v3
	s_set_vgpr_msb 0                        ;  msbs: dst=0 src0=0 src1=0 src2=0
	v_mul_lo_u32 v2, v2, v247
	s_delay_alu instid0(VALU_DEP_2) | instskip(NEXT) | instid1(VALU_DEP_1)
	v_dot4_i32_iu8 v3, v242, v168, v3 neg_lo:[1,1,0]
	v_mad_i32_i24 v3, v254, v215, v3
	s_delay_alu instid0(VALU_DEP_1) | instskip(NEXT) | instid1(VALU_DEP_1)
	v_dot4_i32_iu8 v3, v169, v244, v3 neg_lo:[1,1,0]
	v_mad_i32_i24 v3, v243, v255, v3
	s_delay_alu instid0(VALU_DEP_1) | instskip(NEXT) | instid1(VALU_DEP_1)
	v_dot4_i32_iu8 v3, v210, v170, v3 neg_lo:[1,1,0]
	v_mad_u32 v2, v3, v245, v2
	s_delay_alu instid0(VALU_DEP_1) | instskip(NEXT) | instid1(VALU_DEP_1)
	v_cvt_f32_i32_e32 v1, v2
	v_mul_f32_e32 v205, v0, v1
	v_pk_add_f32 v[10:11], v[10:11], v[182:183]
	s_delay_alu instid0(VALU_DEP_2)
	v_pk_add_f32 v[8:9], v[8:9], v[204:205]
	s_cbranch_scc1 .LBB169_12
; %bb.13:                               ;   in Loop: Header=BB169_8 Depth=2
	s_cmp_eq_u32 s12, 4
	s_barrier_signal -1
	s_barrier_wait -1
	s_cselect_b32 s13, -1, 0
	s_delay_alu instid0(SALU_CYCLE_1)
	s_and_b32 vcc_lo, exec_lo, s13
	s_cbranch_vccz .LBB169_8
	s_branch .LBB169_5
.LBB169_14:
	v_dual_mov_b32 v1, v19 :: v_dual_mov_b32 v2, v23
.LBB169_15:
	s_wait_xcnt 0x0
	s_mov_b32 s0, exec_lo
	v_cmpx_gt_u32_e64 s4, v51
	s_cbranch_execz .LBB169_66
; %bb.16:
	v_mul_lo_u32 v5, v51, s6
	v_add_nc_u32_e32 v0, s14, v2
	s_delay_alu instid0(VALU_DEP_1)
	v_cmp_gt_u32_e32 vcc_lo, s6, v0
	s_and_saveexec_b32 s1, vcc_lo
	s_cbranch_execz .LBB169_18
; %bb.17:
	v_bfe_u32 v2, v46, 16, 1
	v_cmp_o_f32_e64 s0, v46, v46
	v_add_nc_u32_e32 v3, v0, v5
	s_delay_alu instid0(VALU_DEP_3) | instskip(NEXT) | instid1(VALU_DEP_1)
	v_add3_u32 v2, v46, v2, 0x7fff
	v_lshrrev_b32_e32 v2, 16, v2
	s_delay_alu instid0(VALU_DEP_1)
	v_cndmask_b32_e64 v2, 0x7fc0, v2, s0
	s_wait_kmcnt 0x0
	global_store_b16 v3, v2, s[8:9] scale_offset
.LBB169_18:
	s_wait_xcnt 0x0
	s_or_b32 exec_lo, exec_lo, s1
	v_add_nc_u32_e32 v2, 32, v0
	s_delay_alu instid0(VALU_DEP_1)
	v_cmp_gt_u32_e64 s0, s6, v2
	s_and_saveexec_b32 s2, s0
	s_cbranch_execz .LBB169_20
; %bb.19:
	v_bfe_u32 v3, v44, 16, 1
	v_cmp_o_f32_e64 s1, v44, v44
	v_add_nc_u32_e32 v4, v2, v5
	s_delay_alu instid0(VALU_DEP_3) | instskip(NEXT) | instid1(VALU_DEP_1)
	v_add3_u32 v3, v44, v3, 0x7fff
	v_lshrrev_b32_e32 v3, 16, v3
	s_delay_alu instid0(VALU_DEP_1)
	v_cndmask_b32_e64 v3, 0x7fc0, v3, s1
	s_wait_kmcnt 0x0
	global_store_b16 v4, v3, s[8:9] scale_offset
.LBB169_20:
	s_wait_xcnt 0x0
	s_or_b32 exec_lo, exec_lo, s2
	v_add_nc_u32_e32 v3, 64, v0
	s_delay_alu instid0(VALU_DEP_1)
	v_cmp_gt_u32_e64 s1, s6, v3
	s_and_saveexec_b32 s3, s1
	;; [unrolled: 19-line block ×3, first 2 shown]
	s_cbranch_execz .LBB169_24
; %bb.23:
	v_bfe_u32 v6, v41, 16, 1
	v_cmp_o_f32_e64 s3, v41, v41
	v_add_nc_u32_e32 v5, v4, v5
	s_delay_alu instid0(VALU_DEP_3) | instskip(NEXT) | instid1(VALU_DEP_1)
	v_add3_u32 v6, v41, v6, 0x7fff
	v_lshrrev_b32_e32 v6, 16, v6
	s_delay_alu instid0(VALU_DEP_1)
	v_cndmask_b32_e64 v6, 0x7fc0, v6, s3
	s_wait_kmcnt 0x0
	global_store_b16 v5, v6, s[8:9] scale_offset
.LBB169_24:
	s_wait_xcnt 0x0
	s_or_b32 exec_lo, exec_lo, s5
	v_add3_u32 v5, v1, s7, 8
	s_delay_alu instid0(VALU_DEP_1)
	v_cmp_gt_u32_e64 s3, s4, v5
	s_and_b32 exec_lo, exec_lo, s3
	s_cbranch_execz .LBB169_66
; %bb.25:
	v_mul_lo_u32 v5, v5, s6
	s_and_saveexec_b32 s5, vcc_lo
	s_cbranch_execnz .LBB169_67
; %bb.26:
	s_or_b32 exec_lo, exec_lo, s5
	s_and_saveexec_b32 s5, s0
	s_cbranch_execnz .LBB169_68
.LBB169_27:
	s_or_b32 exec_lo, exec_lo, s5
	s_and_saveexec_b32 s5, s1
	s_cbranch_execnz .LBB169_69
.LBB169_28:
	s_or_b32 exec_lo, exec_lo, s5
	s_and_saveexec_b32 s5, s2
	s_cbranch_execz .LBB169_30
.LBB169_29:
	v_bfe_u32 v6, v40, 16, 1
	v_cmp_o_f32_e64 s3, v40, v40
	v_add_nc_u32_e32 v5, v5, v4
	s_delay_alu instid0(VALU_DEP_3) | instskip(NEXT) | instid1(VALU_DEP_1)
	v_add3_u32 v6, v40, v6, 0x7fff
	v_lshrrev_b32_e32 v6, 16, v6
	s_delay_alu instid0(VALU_DEP_1)
	v_cndmask_b32_e64 v6, 0x7fc0, v6, s3
	s_wait_kmcnt 0x0
	global_store_b16 v5, v6, s[8:9] scale_offset
.LBB169_30:
	s_wait_xcnt 0x0
	s_or_b32 exec_lo, exec_lo, s5
	v_add3_u32 v5, v1, s7, 16
	s_delay_alu instid0(VALU_DEP_1)
	v_cmp_gt_u32_e64 s3, s4, v5
	s_and_b32 exec_lo, exec_lo, s3
	s_cbranch_execz .LBB169_66
; %bb.31:
	v_mul_lo_u32 v5, v5, s6
	s_and_saveexec_b32 s5, vcc_lo
	s_cbranch_execnz .LBB169_70
; %bb.32:
	s_or_b32 exec_lo, exec_lo, s5
	s_and_saveexec_b32 s5, s0
	s_cbranch_execnz .LBB169_71
.LBB169_33:
	s_or_b32 exec_lo, exec_lo, s5
	s_and_saveexec_b32 s5, s1
	s_cbranch_execnz .LBB169_72
.LBB169_34:
	s_or_b32 exec_lo, exec_lo, s5
	s_and_saveexec_b32 s5, s2
	s_cbranch_execz .LBB169_36
.LBB169_35:
	v_bfe_u32 v6, v30, 16, 1
	v_cmp_o_f32_e64 s3, v30, v30
	v_add_nc_u32_e32 v5, v5, v4
	s_delay_alu instid0(VALU_DEP_3) | instskip(NEXT) | instid1(VALU_DEP_1)
	v_add3_u32 v6, v30, v6, 0x7fff
	v_lshrrev_b32_e32 v6, 16, v6
	s_delay_alu instid0(VALU_DEP_1)
	v_cndmask_b32_e64 v6, 0x7fc0, v6, s3
	s_wait_kmcnt 0x0
	global_store_b16 v5, v6, s[8:9] scale_offset
.LBB169_36:
	s_wait_xcnt 0x0
	s_or_b32 exec_lo, exec_lo, s5
	v_add3_u32 v5, v1, s7, 24
	s_delay_alu instid0(VALU_DEP_1)
	v_cmp_gt_u32_e64 s3, s4, v5
	s_and_b32 exec_lo, exec_lo, s3
	s_cbranch_execz .LBB169_66
; %bb.37:
	v_mul_lo_u32 v5, v5, s6
	s_and_saveexec_b32 s5, vcc_lo
	s_cbranch_execnz .LBB169_73
; %bb.38:
	s_or_b32 exec_lo, exec_lo, s5
	s_and_saveexec_b32 s5, s0
	s_cbranch_execnz .LBB169_74
.LBB169_39:
	s_or_b32 exec_lo, exec_lo, s5
	s_and_saveexec_b32 s5, s1
	s_cbranch_execnz .LBB169_75
.LBB169_40:
	s_or_b32 exec_lo, exec_lo, s5
	s_and_saveexec_b32 s5, s2
	s_cbranch_execz .LBB169_42
.LBB169_41:
	v_bfe_u32 v6, v31, 16, 1
	v_cmp_o_f32_e64 s3, v31, v31
	v_add_nc_u32_e32 v5, v5, v4
	s_delay_alu instid0(VALU_DEP_3) | instskip(NEXT) | instid1(VALU_DEP_1)
	v_add3_u32 v6, v31, v6, 0x7fff
	v_lshrrev_b32_e32 v6, 16, v6
	s_delay_alu instid0(VALU_DEP_1)
	v_cndmask_b32_e64 v6, 0x7fc0, v6, s3
	s_wait_kmcnt 0x0
	global_store_b16 v5, v6, s[8:9] scale_offset
.LBB169_42:
	s_wait_xcnt 0x0
	s_or_b32 exec_lo, exec_lo, s5
	v_add3_u32 v5, v1, s7, 32
	s_delay_alu instid0(VALU_DEP_1)
	v_cmp_gt_u32_e64 s3, s4, v5
	s_and_b32 exec_lo, exec_lo, s3
	s_cbranch_execz .LBB169_66
; %bb.43:
	v_mul_lo_u32 v5, v5, s6
	s_and_saveexec_b32 s5, vcc_lo
	s_cbranch_execnz .LBB169_76
; %bb.44:
	s_or_b32 exec_lo, exec_lo, s5
	s_and_saveexec_b32 s5, s0
	s_cbranch_execnz .LBB169_77
.LBB169_45:
	s_or_b32 exec_lo, exec_lo, s5
	s_and_saveexec_b32 s5, s1
	s_cbranch_execnz .LBB169_78
.LBB169_46:
	s_or_b32 exec_lo, exec_lo, s5
	s_and_saveexec_b32 s5, s2
	s_cbranch_execz .LBB169_48
.LBB169_47:
	v_bfe_u32 v6, v16, 16, 1
	v_cmp_o_f32_e64 s3, v16, v16
	v_add_nc_u32_e32 v5, v5, v4
	s_delay_alu instid0(VALU_DEP_3) | instskip(NEXT) | instid1(VALU_DEP_1)
	v_add3_u32 v6, v16, v6, 0x7fff
	v_lshrrev_b32_e32 v6, 16, v6
	s_delay_alu instid0(VALU_DEP_1)
	v_cndmask_b32_e64 v6, 0x7fc0, v6, s3
	s_wait_kmcnt 0x0
	global_store_b16 v5, v6, s[8:9] scale_offset
.LBB169_48:
	s_wait_xcnt 0x0
	s_or_b32 exec_lo, exec_lo, s5
	v_add3_u32 v5, v1, s7, 40
	s_delay_alu instid0(VALU_DEP_1)
	v_cmp_gt_u32_e64 s3, s4, v5
	s_and_b32 exec_lo, exec_lo, s3
	s_cbranch_execz .LBB169_66
; %bb.49:
	v_mul_lo_u32 v5, v5, s6
	s_and_saveexec_b32 s5, vcc_lo
	s_cbranch_execnz .LBB169_79
; %bb.50:
	s_or_b32 exec_lo, exec_lo, s5
	s_and_saveexec_b32 s5, s0
	s_cbranch_execnz .LBB169_80
.LBB169_51:
	s_or_b32 exec_lo, exec_lo, s5
	s_and_saveexec_b32 s5, s1
	s_cbranch_execnz .LBB169_81
.LBB169_52:
	s_or_b32 exec_lo, exec_lo, s5
	s_and_saveexec_b32 s5, s2
	s_cbranch_execz .LBB169_54
.LBB169_53:
	v_bfe_u32 v6, v17, 16, 1
	v_cmp_o_f32_e64 s3, v17, v17
	v_add_nc_u32_e32 v5, v5, v4
	s_delay_alu instid0(VALU_DEP_3) | instskip(NEXT) | instid1(VALU_DEP_1)
	v_add3_u32 v6, v17, v6, 0x7fff
	v_lshrrev_b32_e32 v6, 16, v6
	s_delay_alu instid0(VALU_DEP_1)
	v_cndmask_b32_e64 v6, 0x7fc0, v6, s3
	s_wait_kmcnt 0x0
	global_store_b16 v5, v6, s[8:9] scale_offset
.LBB169_54:
	s_wait_xcnt 0x0
	s_or_b32 exec_lo, exec_lo, s5
	v_add3_u32 v5, v1, s7, 48
	s_delay_alu instid0(VALU_DEP_1)
	v_cmp_gt_u32_e64 s3, s4, v5
	s_and_b32 exec_lo, exec_lo, s3
	s_cbranch_execz .LBB169_66
; %bb.55:
	v_mul_lo_u32 v5, v5, s6
	s_and_saveexec_b32 s5, vcc_lo
	s_cbranch_execnz .LBB169_82
; %bb.56:
	s_or_b32 exec_lo, exec_lo, s5
	s_and_saveexec_b32 s5, s0
	s_cbranch_execnz .LBB169_83
.LBB169_57:
	s_or_b32 exec_lo, exec_lo, s5
	s_and_saveexec_b32 s5, s1
	s_cbranch_execnz .LBB169_84
.LBB169_58:
	s_or_b32 exec_lo, exec_lo, s5
	s_and_saveexec_b32 s5, s2
	s_cbranch_execz .LBB169_60
.LBB169_59:
	v_bfe_u32 v6, v8, 16, 1
	v_cmp_o_f32_e64 s3, v8, v8
	v_add_nc_u32_e32 v5, v5, v4
	s_delay_alu instid0(VALU_DEP_3) | instskip(NEXT) | instid1(VALU_DEP_1)
	v_add3_u32 v6, v8, v6, 0x7fff
	v_lshrrev_b32_e32 v6, 16, v6
	s_delay_alu instid0(VALU_DEP_1)
	v_cndmask_b32_e64 v6, 0x7fc0, v6, s3
	s_wait_kmcnt 0x0
	global_store_b16 v5, v6, s[8:9] scale_offset
.LBB169_60:
	s_wait_xcnt 0x0
	s_or_b32 exec_lo, exec_lo, s5
	v_add3_u32 v1, v1, s7, 56
	s_delay_alu instid0(VALU_DEP_1)
	v_cmp_gt_u32_e64 s3, s4, v1
	s_and_b32 exec_lo, exec_lo, s3
	s_cbranch_execz .LBB169_66
; %bb.61:
	v_mul_lo_u32 v1, v1, s6
	s_and_saveexec_b32 s3, vcc_lo
	s_cbranch_execnz .LBB169_85
; %bb.62:
	s_or_b32 exec_lo, exec_lo, s3
	s_and_saveexec_b32 s3, s0
	s_cbranch_execnz .LBB169_86
.LBB169_63:
	s_or_b32 exec_lo, exec_lo, s3
	s_and_saveexec_b32 s0, s1
	s_cbranch_execnz .LBB169_87
.LBB169_64:
	s_or_b32 exec_lo, exec_lo, s0
	s_delay_alu instid0(SALU_CYCLE_1)
	s_and_b32 exec_lo, exec_lo, s2
	s_cbranch_execz .LBB169_66
.LBB169_65:
	v_bfe_u32 v0, v9, 16, 1
	v_cmp_o_f32_e32 vcc_lo, v9, v9
	v_add_nc_u32_e32 v1, v1, v4
	s_delay_alu instid0(VALU_DEP_3) | instskip(NEXT) | instid1(VALU_DEP_1)
	v_add3_u32 v0, v9, v0, 0x7fff
	v_lshrrev_b32_e32 v0, 16, v0
	s_delay_alu instid0(VALU_DEP_1)
	v_cndmask_b32_e32 v0, 0x7fc0, v0, vcc_lo
	s_wait_kmcnt 0x0
	global_store_b16 v1, v0, s[8:9] scale_offset
.LBB169_66:
	s_sendmsg sendmsg(MSG_DEALLOC_VGPRS)
	s_endpgm
.LBB169_67:
	v_bfe_u32 v6, v47, 16, 1
	v_cmp_o_f32_e64 s3, v47, v47
	s_delay_alu instid0(VALU_DEP_3) | instskip(NEXT) | instid1(VALU_DEP_3)
	v_add_nc_u32_e32 v7, v5, v0
	v_add3_u32 v6, v47, v6, 0x7fff
	s_delay_alu instid0(VALU_DEP_1) | instskip(NEXT) | instid1(VALU_DEP_1)
	v_lshrrev_b32_e32 v6, 16, v6
	v_cndmask_b32_e64 v6, 0x7fc0, v6, s3
	s_wait_kmcnt 0x0
	global_store_b16 v7, v6, s[8:9] scale_offset
	s_wait_xcnt 0x0
	s_or_b32 exec_lo, exec_lo, s5
	s_and_saveexec_b32 s5, s0
	s_cbranch_execz .LBB169_27
.LBB169_68:
	v_bfe_u32 v6, v45, 16, 1
	v_cmp_o_f32_e64 s3, v45, v45
	s_delay_alu instid0(VALU_DEP_3) | instskip(NEXT) | instid1(VALU_DEP_3)
	v_add_nc_u32_e32 v7, v5, v2
	v_add3_u32 v6, v45, v6, 0x7fff
	s_delay_alu instid0(VALU_DEP_1) | instskip(NEXT) | instid1(VALU_DEP_1)
	v_lshrrev_b32_e32 v6, 16, v6
	v_cndmask_b32_e64 v6, 0x7fc0, v6, s3
	s_wait_kmcnt 0x0
	global_store_b16 v7, v6, s[8:9] scale_offset
	s_wait_xcnt 0x0
	s_or_b32 exec_lo, exec_lo, s5
	s_and_saveexec_b32 s5, s1
	s_cbranch_execz .LBB169_28
.LBB169_69:
	v_bfe_u32 v6, v43, 16, 1
	v_cmp_o_f32_e64 s3, v43, v43
	v_add_nc_u32_e32 v7, v5, v3
	s_delay_alu instid0(VALU_DEP_3) | instskip(NEXT) | instid1(VALU_DEP_1)
	v_add3_u32 v6, v43, v6, 0x7fff
	v_lshrrev_b32_e32 v6, 16, v6
	s_delay_alu instid0(VALU_DEP_1)
	v_cndmask_b32_e64 v6, 0x7fc0, v6, s3
	s_wait_kmcnt 0x0
	global_store_b16 v7, v6, s[8:9] scale_offset
	s_wait_xcnt 0x0
	s_or_b32 exec_lo, exec_lo, s5
	s_and_saveexec_b32 s5, s2
	s_cbranch_execnz .LBB169_29
	s_branch .LBB169_30
.LBB169_70:
	v_bfe_u32 v6, v36, 16, 1
	v_cmp_o_f32_e64 s3, v36, v36
	s_delay_alu instid0(VALU_DEP_3) | instskip(NEXT) | instid1(VALU_DEP_3)
	v_add_nc_u32_e32 v7, v5, v0
	v_add3_u32 v6, v36, v6, 0x7fff
	s_delay_alu instid0(VALU_DEP_1) | instskip(NEXT) | instid1(VALU_DEP_1)
	v_lshrrev_b32_e32 v6, 16, v6
	v_cndmask_b32_e64 v6, 0x7fc0, v6, s3
	s_wait_kmcnt 0x0
	global_store_b16 v7, v6, s[8:9] scale_offset
	s_wait_xcnt 0x0
	s_or_b32 exec_lo, exec_lo, s5
	s_and_saveexec_b32 s5, s0
	s_cbranch_execz .LBB169_33
.LBB169_71:
	v_bfe_u32 v6, v34, 16, 1
	v_cmp_o_f32_e64 s3, v34, v34
	s_delay_alu instid0(VALU_DEP_3) | instskip(NEXT) | instid1(VALU_DEP_3)
	v_add_nc_u32_e32 v7, v5, v2
	v_add3_u32 v6, v34, v6, 0x7fff
	s_delay_alu instid0(VALU_DEP_1) | instskip(NEXT) | instid1(VALU_DEP_1)
	v_lshrrev_b32_e32 v6, 16, v6
	v_cndmask_b32_e64 v6, 0x7fc0, v6, s3
	s_wait_kmcnt 0x0
	global_store_b16 v7, v6, s[8:9] scale_offset
	s_wait_xcnt 0x0
	s_or_b32 exec_lo, exec_lo, s5
	s_and_saveexec_b32 s5, s1
	s_cbranch_execz .LBB169_34
.LBB169_72:
	v_bfe_u32 v6, v32, 16, 1
	v_cmp_o_f32_e64 s3, v32, v32
	v_add_nc_u32_e32 v7, v5, v3
	s_delay_alu instid0(VALU_DEP_3) | instskip(NEXT) | instid1(VALU_DEP_1)
	v_add3_u32 v6, v32, v6, 0x7fff
	v_lshrrev_b32_e32 v6, 16, v6
	s_delay_alu instid0(VALU_DEP_1)
	v_cndmask_b32_e64 v6, 0x7fc0, v6, s3
	s_wait_kmcnt 0x0
	global_store_b16 v7, v6, s[8:9] scale_offset
	s_wait_xcnt 0x0
	s_or_b32 exec_lo, exec_lo, s5
	s_and_saveexec_b32 s5, s2
	s_cbranch_execnz .LBB169_35
	s_branch .LBB169_36
.LBB169_73:
	v_bfe_u32 v6, v37, 16, 1
	v_cmp_o_f32_e64 s3, v37, v37
	s_delay_alu instid0(VALU_DEP_3) | instskip(NEXT) | instid1(VALU_DEP_3)
	v_add_nc_u32_e32 v7, v5, v0
	v_add3_u32 v6, v37, v6, 0x7fff
	s_delay_alu instid0(VALU_DEP_1) | instskip(NEXT) | instid1(VALU_DEP_1)
	v_lshrrev_b32_e32 v6, 16, v6
	v_cndmask_b32_e64 v6, 0x7fc0, v6, s3
	s_wait_kmcnt 0x0
	global_store_b16 v7, v6, s[8:9] scale_offset
	s_wait_xcnt 0x0
	s_or_b32 exec_lo, exec_lo, s5
	s_and_saveexec_b32 s5, s0
	s_cbranch_execz .LBB169_39
.LBB169_74:
	v_bfe_u32 v6, v35, 16, 1
	v_cmp_o_f32_e64 s3, v35, v35
	s_delay_alu instid0(VALU_DEP_3) | instskip(NEXT) | instid1(VALU_DEP_3)
	v_add_nc_u32_e32 v7, v5, v2
	v_add3_u32 v6, v35, v6, 0x7fff
	s_delay_alu instid0(VALU_DEP_1) | instskip(NEXT) | instid1(VALU_DEP_1)
	v_lshrrev_b32_e32 v6, 16, v6
	v_cndmask_b32_e64 v6, 0x7fc0, v6, s3
	s_wait_kmcnt 0x0
	global_store_b16 v7, v6, s[8:9] scale_offset
	s_wait_xcnt 0x0
	s_or_b32 exec_lo, exec_lo, s5
	s_and_saveexec_b32 s5, s1
	s_cbranch_execz .LBB169_40
.LBB169_75:
	v_bfe_u32 v6, v33, 16, 1
	v_cmp_o_f32_e64 s3, v33, v33
	v_add_nc_u32_e32 v7, v5, v3
	s_delay_alu instid0(VALU_DEP_3) | instskip(NEXT) | instid1(VALU_DEP_1)
	v_add3_u32 v6, v33, v6, 0x7fff
	v_lshrrev_b32_e32 v6, 16, v6
	s_delay_alu instid0(VALU_DEP_1)
	v_cndmask_b32_e64 v6, 0x7fc0, v6, s3
	s_wait_kmcnt 0x0
	global_store_b16 v7, v6, s[8:9] scale_offset
	s_wait_xcnt 0x0
	s_or_b32 exec_lo, exec_lo, s5
	s_and_saveexec_b32 s5, s2
	s_cbranch_execnz .LBB169_41
	s_branch .LBB169_42
.LBB169_76:
	v_bfe_u32 v6, v28, 16, 1
	v_cmp_o_f32_e64 s3, v28, v28
	s_delay_alu instid0(VALU_DEP_3) | instskip(NEXT) | instid1(VALU_DEP_3)
	v_add_nc_u32_e32 v7, v5, v0
	v_add3_u32 v6, v28, v6, 0x7fff
	s_delay_alu instid0(VALU_DEP_1) | instskip(NEXT) | instid1(VALU_DEP_1)
	v_lshrrev_b32_e32 v6, 16, v6
	v_cndmask_b32_e64 v6, 0x7fc0, v6, s3
	s_wait_kmcnt 0x0
	global_store_b16 v7, v6, s[8:9] scale_offset
	s_wait_xcnt 0x0
	s_or_b32 exec_lo, exec_lo, s5
	s_and_saveexec_b32 s5, s0
	s_cbranch_execz .LBB169_45
.LBB169_77:
	v_bfe_u32 v6, v26, 16, 1
	v_cmp_o_f32_e64 s3, v26, v26
	s_delay_alu instid0(VALU_DEP_3) | instskip(NEXT) | instid1(VALU_DEP_3)
	v_add_nc_u32_e32 v7, v5, v2
	v_add3_u32 v6, v26, v6, 0x7fff
	s_delay_alu instid0(VALU_DEP_1) | instskip(NEXT) | instid1(VALU_DEP_1)
	v_lshrrev_b32_e32 v6, 16, v6
	v_cndmask_b32_e64 v6, 0x7fc0, v6, s3
	s_wait_kmcnt 0x0
	global_store_b16 v7, v6, s[8:9] scale_offset
	s_wait_xcnt 0x0
	s_or_b32 exec_lo, exec_lo, s5
	s_and_saveexec_b32 s5, s1
	s_cbranch_execz .LBB169_46
.LBB169_78:
	v_bfe_u32 v6, v24, 16, 1
	v_cmp_o_f32_e64 s3, v24, v24
	v_add_nc_u32_e32 v7, v5, v3
	s_delay_alu instid0(VALU_DEP_3) | instskip(NEXT) | instid1(VALU_DEP_1)
	v_add3_u32 v6, v24, v6, 0x7fff
	v_lshrrev_b32_e32 v6, 16, v6
	s_delay_alu instid0(VALU_DEP_1)
	v_cndmask_b32_e64 v6, 0x7fc0, v6, s3
	s_wait_kmcnt 0x0
	global_store_b16 v7, v6, s[8:9] scale_offset
	s_wait_xcnt 0x0
	s_or_b32 exec_lo, exec_lo, s5
	s_and_saveexec_b32 s5, s2
	s_cbranch_execnz .LBB169_47
	s_branch .LBB169_48
.LBB169_79:
	v_bfe_u32 v6, v29, 16, 1
	v_cmp_o_f32_e64 s3, v29, v29
	s_delay_alu instid0(VALU_DEP_3) | instskip(NEXT) | instid1(VALU_DEP_3)
	v_add_nc_u32_e32 v7, v5, v0
	v_add3_u32 v6, v29, v6, 0x7fff
	s_delay_alu instid0(VALU_DEP_1) | instskip(NEXT) | instid1(VALU_DEP_1)
	v_lshrrev_b32_e32 v6, 16, v6
	v_cndmask_b32_e64 v6, 0x7fc0, v6, s3
	s_wait_kmcnt 0x0
	global_store_b16 v7, v6, s[8:9] scale_offset
	s_wait_xcnt 0x0
	s_or_b32 exec_lo, exec_lo, s5
	s_and_saveexec_b32 s5, s0
	s_cbranch_execz .LBB169_51
.LBB169_80:
	v_bfe_u32 v6, v27, 16, 1
	v_cmp_o_f32_e64 s3, v27, v27
	s_delay_alu instid0(VALU_DEP_3) | instskip(NEXT) | instid1(VALU_DEP_3)
	v_add_nc_u32_e32 v7, v5, v2
	v_add3_u32 v6, v27, v6, 0x7fff
	s_delay_alu instid0(VALU_DEP_1) | instskip(NEXT) | instid1(VALU_DEP_1)
	v_lshrrev_b32_e32 v6, 16, v6
	v_cndmask_b32_e64 v6, 0x7fc0, v6, s3
	s_wait_kmcnt 0x0
	global_store_b16 v7, v6, s[8:9] scale_offset
	s_wait_xcnt 0x0
	s_or_b32 exec_lo, exec_lo, s5
	s_and_saveexec_b32 s5, s1
	s_cbranch_execz .LBB169_52
.LBB169_81:
	v_bfe_u32 v6, v25, 16, 1
	v_cmp_o_f32_e64 s3, v25, v25
	v_add_nc_u32_e32 v7, v5, v3
	s_delay_alu instid0(VALU_DEP_3) | instskip(NEXT) | instid1(VALU_DEP_1)
	v_add3_u32 v6, v25, v6, 0x7fff
	v_lshrrev_b32_e32 v6, 16, v6
	s_delay_alu instid0(VALU_DEP_1)
	v_cndmask_b32_e64 v6, 0x7fc0, v6, s3
	s_wait_kmcnt 0x0
	global_store_b16 v7, v6, s[8:9] scale_offset
	s_wait_xcnt 0x0
	s_or_b32 exec_lo, exec_lo, s5
	s_and_saveexec_b32 s5, s2
	s_cbranch_execnz .LBB169_53
	s_branch .LBB169_54
.LBB169_82:
	v_bfe_u32 v6, v14, 16, 1
	v_cmp_o_f32_e64 s3, v14, v14
	s_delay_alu instid0(VALU_DEP_3) | instskip(NEXT) | instid1(VALU_DEP_3)
	v_add_nc_u32_e32 v7, v5, v0
	v_add3_u32 v6, v14, v6, 0x7fff
	s_delay_alu instid0(VALU_DEP_1) | instskip(NEXT) | instid1(VALU_DEP_1)
	v_lshrrev_b32_e32 v6, 16, v6
	v_cndmask_b32_e64 v6, 0x7fc0, v6, s3
	s_wait_kmcnt 0x0
	global_store_b16 v7, v6, s[8:9] scale_offset
	s_wait_xcnt 0x0
	s_or_b32 exec_lo, exec_lo, s5
	s_and_saveexec_b32 s5, s0
	s_cbranch_execz .LBB169_57
.LBB169_83:
	v_bfe_u32 v6, v12, 16, 1
	v_cmp_o_f32_e64 s3, v12, v12
	s_delay_alu instid0(VALU_DEP_3) | instskip(NEXT) | instid1(VALU_DEP_3)
	v_add_nc_u32_e32 v7, v5, v2
	v_add3_u32 v6, v12, v6, 0x7fff
	s_delay_alu instid0(VALU_DEP_1) | instskip(NEXT) | instid1(VALU_DEP_1)
	v_lshrrev_b32_e32 v6, 16, v6
	v_cndmask_b32_e64 v6, 0x7fc0, v6, s3
	s_wait_kmcnt 0x0
	global_store_b16 v7, v6, s[8:9] scale_offset
	s_wait_xcnt 0x0
	s_or_b32 exec_lo, exec_lo, s5
	s_and_saveexec_b32 s5, s1
	s_cbranch_execz .LBB169_58
.LBB169_84:
	v_bfe_u32 v6, v10, 16, 1
	v_cmp_o_f32_e64 s3, v10, v10
	v_add_nc_u32_e32 v7, v5, v3
	s_delay_alu instid0(VALU_DEP_3) | instskip(NEXT) | instid1(VALU_DEP_1)
	v_add3_u32 v6, v10, v6, 0x7fff
	v_lshrrev_b32_e32 v6, 16, v6
	s_delay_alu instid0(VALU_DEP_1)
	v_cndmask_b32_e64 v6, 0x7fc0, v6, s3
	s_wait_kmcnt 0x0
	global_store_b16 v7, v6, s[8:9] scale_offset
	s_wait_xcnt 0x0
	s_or_b32 exec_lo, exec_lo, s5
	s_and_saveexec_b32 s5, s2
	s_cbranch_execnz .LBB169_59
	s_branch .LBB169_60
.LBB169_85:
	v_bfe_u32 v5, v15, 16, 1
	v_cmp_o_f32_e32 vcc_lo, v15, v15
	s_delay_alu instid0(VALU_DEP_3) | instskip(NEXT) | instid1(VALU_DEP_3)
	v_add_nc_u32_e32 v0, v1, v0
	v_add3_u32 v5, v15, v5, 0x7fff
	s_delay_alu instid0(VALU_DEP_1) | instskip(NEXT) | instid1(VALU_DEP_1)
	v_lshrrev_b32_e32 v5, 16, v5
	v_cndmask_b32_e32 v5, 0x7fc0, v5, vcc_lo
	s_wait_kmcnt 0x0
	global_store_b16 v0, v5, s[8:9] scale_offset
	s_wait_xcnt 0x0
	s_or_b32 exec_lo, exec_lo, s3
	s_and_saveexec_b32 s3, s0
	s_cbranch_execz .LBB169_63
.LBB169_86:
	v_bfe_u32 v0, v13, 16, 1
	v_cmp_o_f32_e32 vcc_lo, v13, v13
	s_delay_alu instid0(VALU_DEP_3) | instskip(NEXT) | instid1(VALU_DEP_3)
	v_add_nc_u32_e32 v2, v1, v2
	v_add3_u32 v0, v13, v0, 0x7fff
	s_delay_alu instid0(VALU_DEP_1) | instskip(NEXT) | instid1(VALU_DEP_1)
	v_lshrrev_b32_e32 v0, 16, v0
	v_cndmask_b32_e32 v0, 0x7fc0, v0, vcc_lo
	s_wait_kmcnt 0x0
	global_store_b16 v2, v0, s[8:9] scale_offset
	s_wait_xcnt 0x0
	s_or_b32 exec_lo, exec_lo, s3
	s_and_saveexec_b32 s0, s1
	s_cbranch_execz .LBB169_64
.LBB169_87:
	v_bfe_u32 v0, v11, 16, 1
	v_cmp_o_f32_e32 vcc_lo, v11, v11
	v_add_nc_u32_e32 v2, v1, v3
	s_delay_alu instid0(VALU_DEP_3) | instskip(NEXT) | instid1(VALU_DEP_1)
	v_add3_u32 v0, v11, v0, 0x7fff
	v_lshrrev_b32_e32 v0, 16, v0
	s_delay_alu instid0(VALU_DEP_1) | instskip(SKIP_4) | instid1(SALU_CYCLE_1)
	v_cndmask_b32_e32 v0, 0x7fc0, v0, vcc_lo
	s_wait_kmcnt 0x0
	global_store_b16 v2, v0, s[8:9] scale_offset
	s_wait_xcnt 0x0
	s_or_b32 exec_lo, exec_lo, s0
	s_and_b32 exec_lo, exec_lo, s2
	s_cbranch_execnz .LBB169_65
	s_branch .LBB169_66
	.section	.rodata,"a",@progbits
	.p2align	6, 0x0
	.amdhsa_kernel _ZL12mul_mat_q3_KIN3c108BFloat16ELb0EEvPKvS3_PT_iiiii
		.amdhsa_group_segment_fixed_size 39840
		.amdhsa_private_segment_fixed_size 0
		.amdhsa_kernarg_size 44
		.amdhsa_user_sgpr_count 2
		.amdhsa_user_sgpr_dispatch_ptr 0
		.amdhsa_user_sgpr_queue_ptr 0
		.amdhsa_user_sgpr_kernarg_segment_ptr 1
		.amdhsa_user_sgpr_dispatch_id 0
		.amdhsa_user_sgpr_kernarg_preload_length 0
		.amdhsa_user_sgpr_kernarg_preload_offset 0
		.amdhsa_user_sgpr_private_segment_size 0
		.amdhsa_wavefront_size32 1
		.amdhsa_uses_dynamic_stack 0
		.amdhsa_enable_private_segment 0
		.amdhsa_system_sgpr_workgroup_id_x 1
		.amdhsa_system_sgpr_workgroup_id_y 1
		.amdhsa_system_sgpr_workgroup_id_z 0
		.amdhsa_system_sgpr_workgroup_info 0
		.amdhsa_system_vgpr_workitem_id 1
		.amdhsa_next_free_vgpr 307
		.amdhsa_next_free_sgpr 24
		.amdhsa_named_barrier_count 0
		.amdhsa_reserve_vcc 1
		.amdhsa_float_round_mode_32 0
		.amdhsa_float_round_mode_16_64 0
		.amdhsa_float_denorm_mode_32 3
		.amdhsa_float_denorm_mode_16_64 3
		.amdhsa_fp16_overflow 0
		.amdhsa_memory_ordered 1
		.amdhsa_forward_progress 1
		.amdhsa_inst_pref_size 255
		.amdhsa_round_robin_scheduling 0
		.amdhsa_exception_fp_ieee_invalid_op 0
		.amdhsa_exception_fp_denorm_src 0
		.amdhsa_exception_fp_ieee_div_zero 0
		.amdhsa_exception_fp_ieee_overflow 0
		.amdhsa_exception_fp_ieee_underflow 0
		.amdhsa_exception_fp_ieee_inexact 0
		.amdhsa_exception_int_div_zero 0
	.end_amdhsa_kernel
	.section	.text._ZL12mul_mat_q3_KIN3c108BFloat16ELb0EEvPKvS3_PT_iiiii,"axG",@progbits,_ZL12mul_mat_q3_KIN3c108BFloat16ELb0EEvPKvS3_PT_iiiii,comdat
.Lfunc_end169:
	.size	_ZL12mul_mat_q3_KIN3c108BFloat16ELb0EEvPKvS3_PT_iiiii, .Lfunc_end169-_ZL12mul_mat_q3_KIN3c108BFloat16ELb0EEvPKvS3_PT_iiiii
                                        ; -- End function
	.set _ZL12mul_mat_q3_KIN3c108BFloat16ELb0EEvPKvS3_PT_iiiii.num_vgpr, 307
	.set _ZL12mul_mat_q3_KIN3c108BFloat16ELb0EEvPKvS3_PT_iiiii.num_agpr, 0
	.set _ZL12mul_mat_q3_KIN3c108BFloat16ELb0EEvPKvS3_PT_iiiii.numbered_sgpr, 24
	.set _ZL12mul_mat_q3_KIN3c108BFloat16ELb0EEvPKvS3_PT_iiiii.num_named_barrier, 0
	.set _ZL12mul_mat_q3_KIN3c108BFloat16ELb0EEvPKvS3_PT_iiiii.private_seg_size, 0
	.set _ZL12mul_mat_q3_KIN3c108BFloat16ELb0EEvPKvS3_PT_iiiii.uses_vcc, 1
	.set _ZL12mul_mat_q3_KIN3c108BFloat16ELb0EEvPKvS3_PT_iiiii.uses_flat_scratch, 0
	.set _ZL12mul_mat_q3_KIN3c108BFloat16ELb0EEvPKvS3_PT_iiiii.has_dyn_sized_stack, 0
	.set _ZL12mul_mat_q3_KIN3c108BFloat16ELb0EEvPKvS3_PT_iiiii.has_recursion, 0
	.set _ZL12mul_mat_q3_KIN3c108BFloat16ELb0EEvPKvS3_PT_iiiii.has_indirect_call, 0
	.section	.AMDGPU.csdata,"",@progbits
; Kernel info:
; codeLenInByte = 43204
; TotalNumSgprs: 26
; NumVgprs: 307
; ScratchSize: 0
; MemoryBound: 0
; FloatMode: 240
; IeeeMode: 1
; LDSByteSize: 39840 bytes/workgroup (compile time only)
; SGPRBlocks: 0
; VGPRBlocks: 19
; NumSGPRsForWavesPerEU: 26
; NumVGPRsForWavesPerEU: 307
; NamedBarCnt: 0
; Occupancy: 3
; WaveLimiterHint : 0
; COMPUTE_PGM_RSRC2:SCRATCH_EN: 0
; COMPUTE_PGM_RSRC2:USER_SGPR: 2
; COMPUTE_PGM_RSRC2:TRAP_HANDLER: 0
; COMPUTE_PGM_RSRC2:TGID_X_EN: 1
; COMPUTE_PGM_RSRC2:TGID_Y_EN: 1
; COMPUTE_PGM_RSRC2:TGID_Z_EN: 0
; COMPUTE_PGM_RSRC2:TIDIG_COMP_CNT: 1
	.section	.text._ZL12mul_mat_q3_KIN3c108BFloat16ELb1EEvPKvS3_PT_iiiii,"axG",@progbits,_ZL12mul_mat_q3_KIN3c108BFloat16ELb1EEvPKvS3_PT_iiiii,comdat
	.globl	_ZL12mul_mat_q3_KIN3c108BFloat16ELb1EEvPKvS3_PT_iiiii ; -- Begin function _ZL12mul_mat_q3_KIN3c108BFloat16ELb1EEvPKvS3_PT_iiiii
	.p2align	8
	.type	_ZL12mul_mat_q3_KIN3c108BFloat16ELb1EEvPKvS3_PT_iiiii,@function
_ZL12mul_mat_q3_KIN3c108BFloat16ELb1EEvPKvS3_PT_iiiii: ; @_ZL12mul_mat_q3_KIN3c108BFloat16ELb1EEvPKvS3_PT_iiiii
; %bb.0:
	s_clause 0x1
	s_load_b128 s[4:7], s[0:1], 0x18
	s_load_b32 s12, s[0:1], 0x28
	s_bfe_u32 s2, ttmp6, 0x4000c
	s_bfe_u32 s8, ttmp6, 0x40010
	s_add_co_i32 s2, s2, 1
	s_and_b32 s3, ttmp6, 15
	s_mul_i32 s2, ttmp9, s2
	s_add_co_i32 s8, s8, 1
	s_add_co_i32 s3, s3, s2
	s_mul_i32 s2, ttmp7, s8
	s_bfe_u32 s8, ttmp6, 0x40004
	s_getreg_b32 s9, hwreg(HW_REG_IB_STS2, 6, 4)
	s_add_co_i32 s8, s8, s2
	s_cmp_eq_u32 s9, 0
	v_bfe_u32 v17, v0, 10, 10
	s_cselect_b32 s8, ttmp7, s8
	v_and_b32_e32 v19, 0x3ff, v0
	s_cselect_b32 s2, ttmp9, s3
	s_lshl_b32 s13, s8, 6
	s_mov_b32 s3, 0
	s_wait_kmcnt 0x0
	s_cmp_gt_i32 s4, 0xff
	s_cbranch_scc1 .LBB170_2
; %bb.1:
	v_bfe_u32 v1, v0, 10, 10
	v_and_b32_e32 v2, 0x3ff, v0
	s_delay_alu instid0(VALU_DEP_2)
	v_add_nc_u32_e32 v53, s13, v1
	s_branch .LBB170_3
.LBB170_2:
	s_mov_b32 s3, -1
                                        ; implicit-def: $vgpr1
                                        ; implicit-def: $vgpr2
                                        ; implicit-def: $vgpr53
.LBB170_3:
	s_load_b64 s[8:9], s[0:1], 0x10
	v_dual_mov_b32 v9, 0 :: v_dual_mov_b32 v8, 0
	v_dual_mov_b32 v21, 0 :: v_dual_mov_b32 v20, 0
	;; [unrolled: 1-line block ×16, first 2 shown]
	s_and_not1_b32 vcc_lo, exec_lo, s3
	s_lshl_b32 s14, s2, 7
	s_cbranch_vccnz .LBB170_15
; %bb.4:
	v_bfe_u32 v24, v0, 1, 9
	v_dual_add_nc_u32 v25, 8, v17 :: v_dual_bitop2_b32 v110, 15, v0 bitop3:0x40
	s_not_b32 s2, s14
	v_bfe_u32 v16, v0, 4, 6
	s_delay_alu instid0(VALU_DEP_3) | instskip(SKIP_3) | instid1(VALU_DEP_3)
	v_lshl_add_u32 v1, v17, 4, v24
	s_add_co_i32 s5, s5, s2
	v_dual_add_nc_u32 v53, s13, v17 :: v_dual_bitop2_b32 v112, 7, v0 bitop3:0x40
	v_dual_add_nc_u32 v26, 16, v17 :: v_dual_bitop2_b32 v18, 1, v0 bitop3:0x40
	v_and_b32_e32 v1, 0x7f, v1
	v_lshlrev_b32_e32 v28, 2, v110
	v_lshl_add_u32 v29, v17, 1, v16
	v_dual_add_nc_u32 v10, 24, v53 :: v_dual_add_nc_u32 v12, 32, v53
	s_delay_alu instid0(VALU_DEP_4) | instskip(SKIP_2) | instid1(VALU_DEP_2)
	v_dual_lshlrev_b32 v1, 2, v18 :: v_dual_min_i32 v27, s5, v1
	v_add_nc_u32_e32 v6, 8, v53
	s_add_co_i32 s16, s6, -1
	v_dual_add_nc_u32 v8, 16, v53 :: v_dual_ashrrev_i32 v7, 31, v27
	v_add_nc_u32_e32 v14, 40, v53
	v_cvt_f64_i32_e32 v[2:3], s16
	v_cvt_f64_u32_e32 v[4:5], v53
	v_dual_add_nc_u32 v20, 48, v53 :: v_dual_add_nc_u32 v22, 56, v53
	v_dual_lshrrev_b32 v7, 28, v7 :: v_dual_min_i32 v30, s5, v29
	v_cvt_f64_u32_e32 v[8:9], v8
	v_cvt_f64_u32_e32 v[10:11], v10
	v_cvt_f64_u32_e32 v[12:13], v12
	s_delay_alu instid0(VALU_DEP_4)
	v_add_nc_u32_e32 v15, v27, v7
	v_cvt_f64_u32_e32 v[6:7], v6
	v_add_min_i32_e64 v33, v29, 32, s5
	v_lshrrev_b32_e32 v32, 31, v30
	v_cvt_f64_u32_e32 v[20:21], v20
	v_ashrrev_i32_e32 v23, 4, v15
	v_cvt_f64_u32_e32 v[14:15], v14
	v_add_min_i32_e64 v31, v29, 16, s5
	v_add_lshl_u32 v32, v30, v32, 1
	s_delay_alu instid0(VALU_DEP_4) | instskip(SKIP_1) | instid1(VALU_DEP_3)
	v_dual_lshrrev_b32 v37, 31, v33 :: v_dual_lshlrev_b32 v34, 2, v23
	v_cvt_f64_u32_e32 v[22:23], v22
	v_dual_lshrrev_b32 v35, 31, v31 :: v_dual_bitop2_b32 v32, -4, v32 bitop3:0x40
	v_add_min_i32_e64 v44, 0x50, v29, s5
	s_delay_alu instid0(VALU_DEP_4) | instskip(SKIP_1) | instid1(VALU_DEP_4)
	v_add3_u32 v1, v34, v1, 0x9380
	v_add_min_i32_e64 v45, 0x60, v29, s5
	v_add_lshl_u32 v34, v31, v35, 1
	v_add_lshl_u32 v35, v33, v37, 1
	v_add_min_i32_e64 v37, v29, 48, s5
	v_add_min_i32_e64 v41, v29, 64, s5
	v_add_min_i32_e64 v100, 0x70, v29, s5
	v_dual_lshrrev_b32 v46, 31, v45 :: v_dual_bitop2_b32 v34, -4, v34 bitop3:0x40
	s_delay_alu instid0(VALU_DEP_4) | instskip(NEXT) | instid1(VALU_DEP_4)
	v_dual_min_num_f64 v[4:5], v[4:5], v[2:3] :: v_dual_lshrrev_b32 v40, 31, v37
	v_dual_lshlrev_b32 v42, 6, v31 :: v_dual_lshrrev_b32 v43, 31, v41
	s_delay_alu instid0(VALU_DEP_3) | instskip(NEXT) | instid1(VALU_DEP_3)
	v_add_lshl_u32 v46, v45, v46, 1
	v_add_lshl_u32 v40, v37, v40, 1
	v_min_num_f64_e32 v[8:9], v[8:9], v[2:3]
	v_min_num_f64_e32 v[10:11], v[10:11], v[2:3]
	v_dual_min_num_f64 v[12:13], v[12:13], v[2:3] :: v_dual_lshlrev_b32 v47, 6, v37
	v_min_num_f64_e32 v[6:7], v[6:7], v[2:3]
	v_bfe_u32 v48, v0, 3, 7
	v_min_num_f64_e32 v[20:21], v[20:21], v[2:3]
	v_add_lshl_u32 v43, v41, v43, 1
	v_dual_min_num_f64 v[14:15], v[14:15], v[2:3] :: v_dual_lshlrev_b32 v49, 6, v41
	v_and_b32_e32 v46, -4, v46
	v_lshl_add_u32 v29, v17, 2, v48
	v_dual_min_num_f64 v[2:3], v[22:23], v[2:3] :: v_dual_lshrrev_b32 v50, 31, v100
	v_lshrrev_b32_e32 v22, 31, v44
	v_dual_lshlrev_b32 v40, 6, v33 :: v_dual_bitop2_b32 v23, -4, v40 bitop3:0x40
	s_delay_alu instid0(VALU_DEP_4) | instskip(SKIP_1) | instid1(VALU_DEP_4)
	v_dual_lshlrev_b32 v36, 3, v27 :: v_dual_min_i32 v102, s5, v29
	v_lshlrev_b32_e32 v38, 2, v112
	v_add_lshl_u32 v22, v44, v22, 1
	v_lshlrev_b32_e32 v48, 6, v44
	v_add3_u32 v32, v32, v28, 0x4200
	v_dual_lshlrev_b32 v39, 6, v30 :: v_dual_bitop2_b32 v35, -4, v35 bitop3:0x40
	s_delay_alu instid0(VALU_DEP_4)
	v_and_b32_e32 v22, -4, v22
	v_add3_u32 v34, v34, v28, 0x4200
	v_cvt_i32_f64_e32 v4, v[4:5]
	v_add3_u32 v23, v23, v28, 0x4200
	v_add3_u32 v35, v35, v28, 0x4200
	s_wait_xcnt 0x0
	s_load_b128 s[0:3], s[0:1], 0x0
	s_ashr_i32 s10, s4, 31
	s_ashr_i32 s11, s7, 31
	v_dual_add_nc_u32 v71, v23, v47 :: v_dual_lshlrev_b32 v23, 6, v100
	s_lshr_b32 s10, s10, 24
	v_cvt_i32_f64_e32 v5, v[6:7]
	v_cvt_i32_f64_e32 v6, v[8:9]
	;; [unrolled: 1-line block ×4, first 2 shown]
	v_lshlrev_b32_e32 v10, 5, v19
	v_and_b32_e32 v11, 0xfc, v0
	v_add_nc_u32_e32 v13, 32, v19
	v_and_b32_e32 v43, -4, v43
	v_cvt_i32_f64_e32 v9, v[14:15]
	v_cvt_i32_f64_e32 v2, v[2:3]
	v_add_nc_u32_e32 v3, 64, v19
	v_add3_u32 v55, v10, v11, 0x8300
	v_add_nc_u32_e32 v10, 0x60, v19
	v_lshlrev_b32_e32 v11, 5, v13
	v_and_b32_e32 v14, 0x1fc, v13
	v_cvt_i32_f64_e32 v12, v[20:21]
	s_delay_alu instid0(VALU_DEP_4)
	v_dual_lshlrev_b32 v15, 5, v3 :: v_dual_lshlrev_b32 v21, 5, v10
	v_and_b32_e32 v20, 0x1fc, v3
	v_and_b32_e32 v51, 0x1fc, v10
	v_add3_u32 v57, v11, v14, 0x8300
	v_ashrrev_i32_e32 v11, 31, v102
	v_add_min_i32_e64 v14, v29, 32, s5
	v_add3_u32 v59, v15, v20, 0x8300
	v_add3_u32 v61, v21, v51, 0x8300
	v_lshlrev_b32_e32 v15, 6, v45
	v_add_lshl_u32 v20, v100, v50, 1
	v_dual_lshrrev_b32 v11, 30, v11 :: v_dual_add_nc_u32 v63, v1, v36
	v_dual_ashrrev_i32 v1, 31, v14 :: v_dual_add_nc_u32 v65, v32, v39
	v_add_min_i32_e64 v21, v29, 64, s5
	s_delay_alu instid0(VALU_DEP_3) | instskip(NEXT) | instid1(VALU_DEP_3)
	v_dual_add_nc_u32 v11, v102, v11 :: v_dual_bitop2_b32 v20, -4, v20 bitop3:0x40
	v_dual_lshrrev_b32 v1, 30, v1 :: v_dual_add_nc_u32 v67, v34, v42
	s_delay_alu instid0(VALU_DEP_3) | instskip(SKIP_1) | instid1(VALU_DEP_3)
	v_ashrrev_i32_e32 v32, 31, v21
	v_add_min_i32_e64 v34, 0x60, v29, s5
	v_dual_add_nc_u32 v1, v14, v1 :: v_dual_bitop2_b32 v11, -4, v11 bitop3:0x40
	v_add_nc_u32_e32 v69, v35, v40
	s_delay_alu instid0(VALU_DEP_3) | instskip(SKIP_3) | instid1(VALU_DEP_4)
	v_dual_lshrrev_b32 v29, 30, v32 :: v_dual_ashrrev_i32 v32, 31, v34
	v_add3_u32 v43, v43, v28, 0x4200
	v_add3_u32 v22, v22, v28, 0x4200
	;; [unrolled: 1-line block ×3, first 2 shown]
	v_dual_add_nc_u32 v29, v21, v29 :: v_dual_lshrrev_b32 v32, 30, v32
	v_dual_lshlrev_b32 v35, 5, v102 :: v_dual_bitop2_b32 v1, -4, v1 bitop3:0x40
	v_add_nc_u32_e32 v73, v43, v49
	v_add3_u32 v20, v20, v28, 0x4200
	s_delay_alu instid0(VALU_DEP_4) | instskip(SKIP_3) | instid1(VALU_DEP_4)
	v_add_nc_u32_e32 v32, v34, v32
	v_add3_u32 v11, v11, v38, 0x8300
	v_dual_add_nc_u32 v75, v22, v48 :: v_dual_bitop2_b32 v29, -4, v29 bitop3:0x40
	v_add3_u32 v1, v1, v38, 0x8300
	v_dual_lshlrev_b32 v22, 5, v14 :: v_dual_bitop2_b32 v32, -4, v32 bitop3:0x40
	v_dual_add_nc_u32 v77, v46, v15 :: v_dual_bitop2_b32 v15, 31, v0 bitop3:0x40
	s_delay_alu instid0(VALU_DEP_4) | instskip(SKIP_1) | instid1(VALU_DEP_4)
	v_add3_u32 v29, v29, v38, 0x8300
	v_dual_add_nc_u32 v79, v20, v23 :: v_dual_lshlrev_b32 v20, 5, v21
	v_add3_u32 v23, v32, v38, 0x8300
	v_dual_add_nc_u32 v81, v11, v35 :: v_dual_lshlrev_b32 v11, 5, v34
	v_lshl_or_b32 v15, v15, 2, 0x6300
	v_dual_add_nc_u32 v83, v1, v22 :: v_dual_lshlrev_b32 v1, 7, v17
	v_dual_lshlrev_b32 v22, 7, v25 :: v_dual_lshlrev_b32 v32, 7, v26
	s_delay_alu instid0(VALU_DEP_4) | instskip(SKIP_1) | instid1(VALU_DEP_3)
	v_dual_add_nc_u32 v85, v29, v20 :: v_dual_add_nc_u32 v87, v23, v11
	v_add_nc_u32_e32 v11, 24, v17
	v_dual_add_nc_u32 v89, v15, v1 :: v_dual_add_nc_u32 v91, v15, v22
	s_delay_alu instid0(VALU_DEP_4) | instskip(SKIP_1) | instid1(VALU_DEP_4)
	v_dual_add_nc_u32 v93, v15, v32 :: v_dual_add_nc_u32 v20, 32, v17
	v_dual_add_nc_u32 v22, 40, v17 :: v_dual_add_nc_u32 v23, 48, v17
	v_dual_add_nc_u32 v32, 56, v17 :: v_dual_lshlrev_b32 v1, 7, v11
	s_delay_alu instid0(VALU_DEP_2) | instskip(NEXT) | instid1(VALU_DEP_2)
	v_dual_lshlrev_b32 v29, 7, v20 :: v_dual_lshlrev_b32 v35, 7, v22
	v_dual_lshlrev_b32 v36, 7, v23 :: v_dual_lshlrev_b32 v39, 7, v32
	s_delay_alu instid0(VALU_DEP_3) | instskip(SKIP_1) | instid1(VALU_DEP_4)
	v_add_nc_u32_e32 v95, v15, v1
	v_bfe_u32 v1, v0, 2, 8
	v_dual_add_nc_u32 v97, v15, v29 :: v_dual_bitop2_b32 v0, 3, v0 bitop3:0x40
	s_delay_alu instid0(VALU_DEP_4) | instskip(SKIP_1) | instid1(VALU_DEP_4)
	v_dual_add_nc_u32 v99, v15, v35 :: v_dual_add_nc_u32 v101, v15, v36
	v_add_nc_u32_e32 v103, v15, v39
	v_lshl_add_u32 v1, v17, 3, v1
	v_mov_b32_e32 v29, 0
	v_add_nc_u16 v15, v0, -2
	v_cmp_gt_u32_e32 vcc_lo, 2, v0
	s_delay_alu instid0(VALU_DEP_4) | instskip(SKIP_3) | instid1(VALU_DEP_2)
	v_dual_lshlrev_b32 v35, 2, v0 :: v_dual_bitop2_b32 v1, 63, v1 bitop3:0x40
	s_add_co_i32 s4, s4, s10
	s_lshr_b32 s10, s11, 27
	v_dual_cndmask_b32 v15, v15, v0, vcc_lo :: v_dual_mov_b32 v39, v29
	v_or_b32_e32 v36, s13, v1
	v_lshl_or_b32 v35, v1, 4, v35
	s_ashr_i32 s15, s4, 8
	s_delay_alu instid0(VALU_DEP_3) | instskip(SKIP_4) | instid1(VALU_DEP_2)
	v_and_b32_e32 v1, 0xff, v15
	s_add_co_i32 s4, s7, s10
	v_dual_lshlrev_b32 v40, 2, v19 :: v_dual_min_i32 v15, s16, v36
	s_ashr_i32 s4, s4, 5
	v_dual_mov_b32 v49, v29 :: v_dual_min_i32 v36, s5, v17
	v_mad_u32 v105, v15, s4, v0
	v_min_i32_e32 v15, s5, v25
	v_dual_lshlrev_b32 v138, 5, v25 :: v_dual_min_i32 v42, s5, v26
	v_dual_lshlrev_b32 v139, 5, v26 :: v_dual_min_i32 v43, s5, v11
	;; [unrolled: 1-line block ×6, first 2 shown]
	v_add_min_i32_e64 v68, v17, 64, s5
	v_add_min_i32_e64 v70, 0x48, v17, s5
	;; [unrolled: 1-line block ×8, first 2 shown]
	v_cmp_lt_u32_e32 vcc_lo, 7, v110
	v_dual_lshlrev_b32 v48, 2, v1 :: v_dual_lshlrev_b32 v107, 1, v0
	v_dual_mov_b32 v1, v29 :: v_dual_bitop2_b32 v0, 28, v40 bitop3:0x40
	v_mul_lo_u32 v134, s4, v8
	v_dual_lshlrev_b32 v8, 1, v19 :: v_dual_lshlrev_b32 v149, 6, v10
	v_mad_u32 v109, 0x84, v36, v40
	v_mad_u32 v111, 0x84, v15, v40
	;; [unrolled: 1-line block ×16, first 2 shown]
	v_mul_lo_u32 v130, s4, v4
	v_mul_lo_u32 v131, s4, v5
	;; [unrolled: 1-line block ×36, first 2 shown]
	v_dual_lshlrev_b32 v144, 5, v32 :: v_dual_lshrrev_b32 v4, 4, v13
	v_dual_lshrrev_b32 v2, 1, v13 :: v_dual_lshrrev_b32 v5, 1, v3
	v_dual_lshrrev_b32 v6, 4, v3 :: v_dual_lshlrev_b32 v147, 6, v3
	v_dual_lshlrev_b32 v148, 3, v3 :: v_dual_lshrrev_b32 v3, 1, v10
	v_lshrrev_b32_e32 v7, 4, v10
	v_cndmask_b32_e64 v110, 0, 1, vcc_lo
	v_cmp_lt_u32_e32 vcc_lo, 3, v112
	s_mul_i32 s10, s15, s14
	v_add_nc_u32_e32 v129, 0x97a0, v35
	v_dual_lshlrev_b32 v145, 6, v13 :: v_dual_lshlrev_b32 v146, 3, v13
	v_dual_lshlrev_b32 v150, 3, v10 :: v_dual_lshlrev_b32 v151, 2, v24
	s_wait_kmcnt 0x0
	v_add_nc_u64_e32 v[50:51], s[2:3], v[0:1]
	v_dual_lshlrev_b32 v153, 2, v8 :: v_dual_bitop2_b32 v152, 4, v8 bitop3:0x40
	v_mov_b64_e32 v[40:41], 0
	v_mov_b64_e32 v[30:31], 0
	;; [unrolled: 1-line block ×16, first 2 shown]
	s_ashr_i32 s11, s10, 31
	v_dual_lshlrev_b32 v154, 2, v2 :: v_dual_lshlrev_b32 v155, 2, v4
	v_dual_lshlrev_b32 v156, 2, v5 :: v_dual_lshlrev_b32 v157, 2, v6
	;; [unrolled: 1-line block ×4, first 2 shown]
	v_mul_u32_u24_e32 v161, 0x84, v19
	v_lshlrev_b32_e32 v162, 6, v19
	v_cndmask_b32_e64 v112, 0, 1, vcc_lo
	s_mul_u64 s[10:11], s[10:11], 0x6e
	s_mov_b32 s5, 0
	s_add_nc_u64 s[0:1], s[0:1], s[10:11]
	s_mov_b32 s4, s5
	s_branch .LBB170_6
.LBB170_5:                              ;   in Loop: Header=BB170_6 Depth=1
	s_add_co_i32 s4, s4, 2
	s_delay_alu instid0(SALU_CYCLE_1)
	s_cmp_ge_i32 s4, s15
	s_cbranch_scc1 .LBB170_14
.LBB170_6:                              ; =>This Loop Header: Depth=1
                                        ;     Child Loop BB170_8 Depth 2
                                        ;       Child Loop BB170_10 Depth 3
                                        ;       Child Loop BB170_12 Depth 3
	s_mul_u64 s[10:11], s[4:5], 0x6e
	s_lshl_b32 s7, s4, 3
	s_add_nc_u64 s[10:11], s[0:1], s[10:11]
	v_add_nc_u32_e32 v164, s7, v105
	v_mad_nc_u64_u32 v[0:1], 0x6e, v16, s[10:11]
	s_delay_alu instid0(VALU_DEP_1) | instskip(NEXT) | instid1(VALU_DEP_1)
	v_mad_nc_i64_i32 v[2:3], 0x6e, v52, v[0:1]
	v_add_nc_u64_e32 v[2:3], v[2:3], v[28:29]
	global_load_b32 v2, v[2:3], off offset:32
	s_wait_loadcnt 0x0
	ds_store_b32 v109, v2
	s_wait_xcnt 0x0
	v_mad_nc_i64_i32 v[2:3], 0x6e, v54, v[0:1]
	s_delay_alu instid0(VALU_DEP_1)
	v_add_nc_u64_e32 v[2:3], v[2:3], v[28:29]
	global_load_b32 v2, v[2:3], off offset:32
	s_wait_loadcnt 0x0
	ds_store_b32 v111, v2
	s_wait_xcnt 0x0
	v_mad_nc_i64_i32 v[2:3], 0x6e, v56, v[0:1]
	s_delay_alu instid0(VALU_DEP_1)
	;; [unrolled: 7-line block ×13, first 2 shown]
	v_add_nc_u64_e32 v[2:3], v[2:3], v[28:29]
	global_load_b32 v2, v[2:3], off offset:32
	s_wait_loadcnt 0x0
	ds_store_b32 v126, v2
	s_wait_xcnt 0x0
	v_mad_nc_i64_i32 v[2:3], 0x6e, v80, v[0:1]
	v_mad_nc_i64_i32 v[0:1], 0x6e, v82, v[0:1]
	s_delay_alu instid0(VALU_DEP_2) | instskip(NEXT) | instid1(VALU_DEP_2)
	v_add_nc_u64_e32 v[2:3], v[2:3], v[28:29]
	v_add_nc_u64_e32 v[0:1], v[0:1], v[28:29]
	s_clause 0x1
	global_load_b32 v2, v[2:3], off offset:32
	global_load_b32 v0, v[0:1], off offset:32
	s_wait_loadcnt 0x1
	ds_store_b32 v127, v2
	s_wait_loadcnt 0x0
	ds_store_b32 v128, v0
	s_wait_xcnt 0x0
	v_mad_nc_i64_i32 v[0:1], 0x6e, v84, s[10:11]
	s_delay_alu instid0(VALU_DEP_1)
	v_mad_nc_u64_u32 v[0:1], 0x6e, v18, v[0:1]
	global_load_u16 v0, v[0:1], off offset:108
	s_wait_loadcnt 0x0
	s_wait_xcnt 0x0
	v_cvt_f32_f16_e32 v0, v0
	ds_store_b32 v63, v0
	v_mad_nc_u64_u32 v[0:1], 0x6e, v110, s[10:11]
	s_delay_alu instid0(VALU_DEP_1) | instskip(NEXT) | instid1(VALU_DEP_1)
	v_add_nc_u64_e32 v[0:1], v[0:1], v[38:39]
	v_mad_nc_i64_i32 v[2:3], 0x6e, v86, v[0:1]
	global_load_b32 v2, v[2:3], off
	s_wait_loadcnt 0x0
	s_wait_xcnt 0x0
	v_not_b32_e32 v2, v2
	ds_store_b32 v65, v2
	v_mad_nc_i64_i32 v[2:3], 0x6e, v88, v[0:1]
	global_load_b32 v2, v[2:3], off
	s_wait_loadcnt 0x0
	s_wait_xcnt 0x0
	v_not_b32_e32 v2, v2
	ds_store_b32 v67, v2
	;; [unrolled: 6-line block ×6, first 2 shown]
	v_mad_nc_i64_i32 v[2:3], 0x6e, v98, v[0:1]
	v_mad_nc_i64_i32 v[0:1], 0x6e, v100, v[0:1]
	s_clause 0x1
	global_load_b32 v2, v[2:3], off
	global_load_b32 v0, v[0:1], off
	s_wait_loadcnt 0x1
	s_wait_xcnt 0x1
	v_not_b32_e32 v2, v2
	s_wait_loadcnt 0x0
	s_wait_xcnt 0x0
	v_not_b32_e32 v0, v0
	ds_store_b32 v77, v2
	ds_store_b32 v79, v0
	v_mad_nc_u64_u32 v[0:1], 0x6e, v112, s[10:11]
	s_mov_b32 s10, 0
	s_delay_alu instid0(VALU_DEP_1) | instskip(NEXT) | instid1(VALU_DEP_1)
	v_mad_nc_i64_i32 v[2:3], 0x6e, v102, v[0:1]
	v_add_nc_u64_e32 v[4:5], v[2:3], v[48:49]
	s_clause 0x1
	global_load_b32 v2, v[2:3], off offset:104
	global_load_b32 v4, v[4:5], off offset:96
	s_wait_loadcnt 0x1
	s_wait_xcnt 0x1
	v_ashrrev_i32_e32 v2, v107, v2
	s_wait_loadcnt 0x0
	s_wait_xcnt 0x0
	s_delay_alu instid0(VALU_DEP_1) | instskip(NEXT) | instid1(VALU_DEP_1)
	v_dual_lshlrev_b32 v2, 4, v2 :: v_dual_ashrrev_i32 v4, v152, v4
	v_and_b32_e32 v4, 0xf0f0f0f, v4
	s_delay_alu instid0(VALU_DEP_1) | instskip(NEXT) | instid1(VALU_DEP_1)
	v_and_or_b32 v2, 0x30303030, v2, v4
	v_lshlrev_b16 v4, 8, v2
	v_lshrrev_b32_e32 v3, 16, v2
	s_delay_alu instid0(VALU_DEP_2) | instskip(NEXT) | instid1(VALU_DEP_1)
	v_add_nc_u16 v4, 0xe000, v4
	v_lshrrev_b16 v4, 8, v4
	s_delay_alu instid0(VALU_DEP_1) | instskip(NEXT) | instid1(VALU_DEP_4)
	v_bitop3_b16 v2, v2, v4, 0x3f00 bitop3:0xec
	v_lshlrev_b16 v4, 8, v3
	s_delay_alu instid0(VALU_DEP_2) | instskip(NEXT) | instid1(VALU_DEP_2)
	v_add_nc_u16 v2, 0xe000, v2
	v_add_nc_u16 v4, 0xe000, v4
	s_delay_alu instid0(VALU_DEP_2) | instskip(NEXT) | instid1(VALU_DEP_2)
	v_and_b32_e32 v2, 0xffff, v2
	v_lshrrev_b16 v4, 8, v4
	s_delay_alu instid0(VALU_DEP_1) | instskip(NEXT) | instid1(VALU_DEP_1)
	v_bitop3_b16 v3, v3, v4, 0x3f00 bitop3:0xec
	v_add_nc_u16 v3, 0xe000, v3
	s_delay_alu instid0(VALU_DEP_1) | instskip(NEXT) | instid1(VALU_DEP_1)
	v_lshlrev_b32_e32 v3, 16, v3
	v_or_b32_e32 v2, v2, v3
	ds_store_b32 v81, v2
	v_mad_nc_i64_i32 v[2:3], 0x6e, v104, v[0:1]
	s_delay_alu instid0(VALU_DEP_1)
	v_add_nc_u64_e32 v[4:5], v[2:3], v[48:49]
	s_clause 0x1
	global_load_b32 v2, v[2:3], off offset:104
	global_load_b32 v4, v[4:5], off offset:96
	s_wait_loadcnt 0x1
	s_wait_xcnt 0x1
	v_ashrrev_i32_e32 v2, v107, v2
	s_wait_loadcnt 0x0
	s_wait_xcnt 0x0
	s_delay_alu instid0(VALU_DEP_1) | instskip(NEXT) | instid1(VALU_DEP_1)
	v_dual_lshlrev_b32 v2, 4, v2 :: v_dual_ashrrev_i32 v4, v152, v4
	v_and_b32_e32 v4, 0xf0f0f0f, v4
	s_delay_alu instid0(VALU_DEP_1) | instskip(NEXT) | instid1(VALU_DEP_1)
	v_and_or_b32 v2, 0x30303030, v2, v4
	v_lshlrev_b16 v4, 8, v2
	v_lshrrev_b32_e32 v3, 16, v2
	s_delay_alu instid0(VALU_DEP_2) | instskip(NEXT) | instid1(VALU_DEP_1)
	v_add_nc_u16 v4, 0xe000, v4
	v_lshrrev_b16 v4, 8, v4
	s_delay_alu instid0(VALU_DEP_1) | instskip(NEXT) | instid1(VALU_DEP_4)
	v_bitop3_b16 v2, v2, v4, 0x3f00 bitop3:0xec
	v_lshlrev_b16 v4, 8, v3
	s_delay_alu instid0(VALU_DEP_2) | instskip(NEXT) | instid1(VALU_DEP_2)
	v_add_nc_u16 v2, 0xe000, v2
	v_add_nc_u16 v4, 0xe000, v4
	s_delay_alu instid0(VALU_DEP_2) | instskip(NEXT) | instid1(VALU_DEP_2)
	v_and_b32_e32 v2, 0xffff, v2
	v_lshrrev_b16 v4, 8, v4
	s_delay_alu instid0(VALU_DEP_1) | instskip(NEXT) | instid1(VALU_DEP_1)
	v_bitop3_b16 v3, v3, v4, 0x3f00 bitop3:0xec
	v_add_nc_u16 v3, 0xe000, v3
	s_delay_alu instid0(VALU_DEP_1) | instskip(NEXT) | instid1(VALU_DEP_1)
	v_lshlrev_b32_e32 v3, 16, v3
	v_or_b32_e32 v2, v2, v3
	ds_store_b32 v83, v2
	v_mad_nc_i64_i32 v[2:3], 0x6e, v106, v[0:1]
	v_mad_nc_i64_i32 v[0:1], 0x6e, v108, v[0:1]
	s_delay_alu instid0(VALU_DEP_2)
	v_add_nc_u64_e32 v[4:5], v[2:3], v[48:49]
	s_clause 0x1
	global_load_b32 v2, v[2:3], off offset:104
	global_load_b32 v4, v[4:5], off offset:96
	s_wait_loadcnt 0x1
	s_wait_xcnt 0x1
	v_ashrrev_i32_e32 v2, v107, v2
	s_wait_loadcnt 0x0
	s_wait_xcnt 0x0
	s_delay_alu instid0(VALU_DEP_1) | instskip(NEXT) | instid1(VALU_DEP_1)
	v_dual_lshlrev_b32 v2, 4, v2 :: v_dual_ashrrev_i32 v4, v152, v4
	v_and_b32_e32 v4, 0xf0f0f0f, v4
	s_delay_alu instid0(VALU_DEP_1) | instskip(NEXT) | instid1(VALU_DEP_1)
	v_and_or_b32 v2, 0x30303030, v2, v4
	v_lshlrev_b16 v4, 8, v2
	v_lshrrev_b32_e32 v3, 16, v2
	s_delay_alu instid0(VALU_DEP_2) | instskip(NEXT) | instid1(VALU_DEP_1)
	v_add_nc_u16 v4, 0xe000, v4
	v_lshrrev_b16 v4, 8, v4
	s_delay_alu instid0(VALU_DEP_1) | instskip(NEXT) | instid1(VALU_DEP_4)
	v_bitop3_b16 v2, v2, v4, 0x3f00 bitop3:0xec
	v_lshlrev_b16 v4, 8, v3
	s_delay_alu instid0(VALU_DEP_2) | instskip(NEXT) | instid1(VALU_DEP_2)
	v_add_nc_u16 v2, 0xe000, v2
	v_add_nc_u16 v4, 0xe000, v4
	s_delay_alu instid0(VALU_DEP_2) | instskip(NEXT) | instid1(VALU_DEP_2)
	v_and_b32_e32 v2, 0xffff, v2
	v_lshrrev_b16 v4, 8, v4
	s_delay_alu instid0(VALU_DEP_1) | instskip(NEXT) | instid1(VALU_DEP_1)
	v_bitop3_b16 v3, v3, v4, 0x3f00 bitop3:0xec
	v_add_nc_u16 v3, 0xe000, v3
	s_delay_alu instid0(VALU_DEP_1) | instskip(NEXT) | instid1(VALU_DEP_1)
	v_lshlrev_b32_e32 v3, 16, v3
	v_or_b32_e32 v2, v2, v3
	ds_store_b32 v85, v2
	v_add_nc_u64_e32 v[2:3], v[0:1], v[48:49]
	s_clause 0x1
	global_load_b32 v0, v[0:1], off offset:104
	global_load_b32 v2, v[2:3], off offset:96
	s_wait_loadcnt 0x1
	s_wait_xcnt 0x1
	v_ashrrev_i32_e32 v0, v107, v0
	s_wait_loadcnt 0x0
	s_wait_xcnt 0x0
	s_delay_alu instid0(VALU_DEP_1) | instskip(NEXT) | instid1(VALU_DEP_1)
	v_dual_lshlrev_b32 v0, 4, v0 :: v_dual_ashrrev_i32 v2, v152, v2
	v_and_b32_e32 v2, 0xf0f0f0f, v2
	s_delay_alu instid0(VALU_DEP_1) | instskip(NEXT) | instid1(VALU_DEP_1)
	v_and_or_b32 v0, 0x30303030, v0, v2
	v_lshlrev_b16 v2, 8, v0
	v_lshrrev_b32_e32 v1, 16, v0
	s_delay_alu instid0(VALU_DEP_2) | instskip(NEXT) | instid1(VALU_DEP_1)
	v_add_nc_u16 v2, 0xe000, v2
	v_lshrrev_b16 v2, 8, v2
	s_delay_alu instid0(VALU_DEP_1) | instskip(NEXT) | instid1(VALU_DEP_4)
	v_bitop3_b16 v0, v0, v2, 0x3f00 bitop3:0xec
	v_lshlrev_b16 v2, 8, v1
	s_delay_alu instid0(VALU_DEP_2) | instskip(NEXT) | instid1(VALU_DEP_2)
	v_add_nc_u16 v0, 0xe000, v0
	v_add_nc_u16 v2, 0xe000, v2
	s_delay_alu instid0(VALU_DEP_2) | instskip(NEXT) | instid1(VALU_DEP_2)
	v_and_b32_e32 v0, 0xffff, v0
	v_lshrrev_b16 v2, 8, v2
	s_delay_alu instid0(VALU_DEP_1) | instskip(NEXT) | instid1(VALU_DEP_1)
	v_bitop3_b16 v1, v1, v2, 0x3f00 bitop3:0xec
	v_add_nc_u16 v1, 0xe000, v1
	s_delay_alu instid0(VALU_DEP_1) | instskip(NEXT) | instid1(VALU_DEP_1)
	v_lshlrev_b32_e32 v1, 16, v1
	v_or_b32_e32 v0, v0, v1
	ds_store_b32 v87, v0
	s_branch .LBB170_8
.LBB170_7:                              ;   in Loop: Header=BB170_8 Depth=2
                                        ; implicit-def: $sgpr10
	s_and_b32 vcc_lo, exec_lo, s11
	s_cbranch_vccnz .LBB170_5
.LBB170_8:                              ;   Parent Loop BB170_6 Depth=1
                                        ; =>  This Loop Header: Depth=2
                                        ;       Child Loop BB170_10 Depth 3
                                        ;       Child Loop BB170_12 Depth 3
	s_lshr_b32 s11, s10, 1
	s_delay_alu instid0(SALU_CYCLE_1) | instskip(NEXT) | instid1(SALU_CYCLE_1)
	s_or_b32 s11, s11, s4
	s_cmp_lt_i32 s11, s15
	s_mov_b32 s11, -1
	s_cbranch_scc0 .LBB170_7
; %bb.9:                                ;   in Loop: Header=BB170_8 Depth=2
	v_lshl_add_u32 v0, s10, 5, v19
	v_lshl_add_u32 v1, s10, 2, v164
	s_or_b32 s16, s10, 1
	s_lshl_b32 s17, s10, 3
	s_lshl_b32 s11, s16, 3
	v_lshrrev_b32_e32 v0, 3, v0
	s_delay_alu instid0(VALU_DEP_1) | instskip(SKIP_1) | instid1(VALU_DEP_2)
	v_add_nc_u32_e32 v2, s7, v0
	v_mad_nc_u64_u32 v[0:1], v1, 36, s[2:3]
	v_dual_add_nc_u32 v3, v2, v137 :: v_dual_add_nc_u32 v168, v2, v134
	v_dual_add_nc_u32 v4, v2, v130 :: v_dual_add_nc_u32 v6, v2, v131
	;; [unrolled: 1-line block ×4, first 2 shown]
	s_delay_alu instid0(VALU_DEP_4) | instskip(NEXT) | instid1(VALU_DEP_4)
	v_mad_nc_i64_i32 v[2:3], v3, 36, v[50:51]
	v_mad_nc_i64_i32 v[4:5], v4, 36, v[50:51]
	;; [unrolled: 1-line block ×8, first 2 shown]
	s_clause 0x8
	global_load_b32 v165, v[0:1], off
	global_load_b32 v174, v[2:3], off offset:4
	global_load_b32 v175, v[4:5], off offset:4
	;; [unrolled: 1-line block ×8, first 2 shown]
	s_wait_loadcnt 0x8
	s_wait_xcnt 0x8
	v_cvt_f32_f16_e64 v0, v165
	s_wait_loadcnt 0x7
	ds_store_b32 v103, v174
	s_wait_loadcnt 0x6
	ds_store_b32 v89, v175
	;; [unrolled: 2-line block ×8, first 2 shown]
	ds_store_b32 v129, v0
	s_wait_dscnt 0x0
	s_barrier_signal -1
	s_barrier_wait -1
.LBB170_10:                             ;   Parent Loop BB170_6 Depth=1
                                        ;     Parent Loop BB170_8 Depth=2
                                        ; =>    This Inner Loop Header: Depth=3
	s_lshl_b32 s18, s17, 2
	s_and_b32 s20, s17, 6
	s_and_b32 s18, s18, 24
	s_and_b32 s22, s17, 0x3ffffff8
	v_or_b32_e32 v0, s18, v160
	v_lshl_add_u32 v237, s22, 2, v161
	s_lshr_b32 s21, s17, 4
	s_bfe_u32 s19, s17, 0x30001
	s_lshl_b32 s23, s21, 2
	v_dual_lshlrev_b32 v4, 2, v0 :: v_dual_lshrrev_b32 v0, 1, v0
	s_lshl_b32 s21, s21, 5
	s_and_b32 s22, s17, -2
	s_addk_co_i32 s21, 0x4200
	ds_load_b32 v115, v0 offset:38816
	ds_load_b128 v[0:3], v4 offset:25344
	ds_load_b128 v[4:7], v4 offset:25360
	ds_load_2addr_b32 v[166:167], v237 offset1:1
	v_add3_u32 v172, s21, v151, v162
	s_add_co_i32 s23, s23, 0x9380
	s_add_co_i32 s17, s17, 2
	s_set_vgpr_msb 64                       ;  msbs: dst=1 src0=0 src1=0 src2=0
	v_add_nc_u32_e32 v46 /*v302*/, s22, v61
	s_cmp_lt_u32 s17, s11
	s_set_vgpr_msb 0                        ;  msbs: dst=0 src0=0 src1=0 src2=0
	ds_load_2addr_b32 v[168:169], v172 offset1:1
	s_wait_dscnt 0x3
	v_bfe_i32 v224, v0, 0, 8
	v_bfe_i32 v225, v0, 8, 8
	s_wait_dscnt 0x1
	v_ashrrev_i32_e32 v165, s20, v166
	v_bfe_i32 v208, v3, 8, 8
	v_perm_b32 v245, v0, v0, 0xc0c0302
	v_bfe_i32 v222, v1, 0, 8
	v_bfe_i32 v218, v2, 0, 8
	v_and_b32_e32 v166, 0x3030303, v165
	s_wait_dscnt 0x0
	v_ashrrev_i32_e32 v168, s19, v168
	v_bfe_u32 v165, v165, 24, 2
	v_ashrrev_i32_e32 v169, s19, v169
	v_bfe_i32 v206, v2, 8, 8
	s_delay_alu instid0(VALU_DEP_4) | instskip(SKIP_1) | instid1(VALU_DEP_4)
	v_dual_lshrrev_b32 v171, 16, v166 :: v_dual_lshlrev_b32 v168, 2, v168
	v_lshrrev_b16 v170, 8, v166
	v_lshlrev_b32_e32 v169, 2, v169
	v_perm_b32 v209, v1, v1, 0xc030201
	v_bfe_i32 v207, v3, 0, 8
	v_and_b32_e32 v168, 0x4040404, v168
	v_perm_b32 v210, v2, v2, 0xc0c0302
	v_and_b32_e32 v169, 0x4040404, v169
	v_bfe_i32 v219, v4, 0, 8
	v_bfe_i32 v220, v4, 8, 8
	v_dual_lshrrev_b32 v174, 24, v168 :: v_dual_lshrrev_b32 v175, 16, v168
	v_lshrrev_b16 v173, 8, v168
	v_dual_lshrrev_b32 v176, 24, v169 :: v_dual_lshrrev_b32 v177, 16, v169
	s_delay_alu instid0(VALU_DEP_3) | instskip(NEXT) | instid1(VALU_DEP_4)
	v_sub_nc_u16 v165, v165, v174
	v_sub_nc_u16 v171, v171, v175
	v_lshrrev_b16 v175, 8, v169
	v_perm_b32 v211, v3, v3, 0xc0c0302
	v_bfe_i32 v217, v7, 8, 8
	v_lshlrev_b16 v165, 8, v165
	v_perm_b32 v246, v4, v4, 0xc0c0302
	v_bfe_i32 v215, v5, 0, 8
	v_bfe_i32 v114, v6, 0, 8
	;; [unrolled: 1-line block ×3, first 2 shown]
	v_bitop3_b16 v174, v171, v165, 0xff bitop3:0xec
	v_sub_nc_u16 v165, v170, v173
	v_sub_nc_u16 v173, v166, v168
	v_perm_b32 v221, v5, v5, 0xc030201
	v_bfe_i32 v199, v7, 0, 8
	v_perm_b32 v232, v6, v6, 0xc0c0302
	v_lshlrev_b16 v170, 8, v165
	v_ashrrev_i32_e32 v165, s20, v167
	v_perm_b32 v233, v7, v7, 0xc0c0302
	v_bfe_i32 v223, v1, 8, 8
	v_perm_b32 v1, v1, v1, 0xc0c0302
	v_bfe_i32 v216, v5, 8, 8
	v_and_b32_e32 v166, 0x3030303, v165
	v_bfe_u32 v165, v165, 24, 2
	v_perm_b32 v5, v5, v5, 0xc0c0302
	v_perm_b32 v6, v6, v6, 0xc030201
	;; [unrolled: 1-line block ×3, first 2 shown]
	v_lshrrev_b32_e32 v168, 16, v166
	v_sub_nc_u16 v165, v165, v176
	v_lshrrev_b16 v167, 8, v166
	v_sub_nc_u16 v178, v166, v169
	v_perm_b32 v2, v2, v2, 0xc030201
	v_sub_nc_u16 v177, v168, v177
	v_lshlrev_b16 v165, 8, v165
	ds_load_2addr_b32 v[168:169], v172 offset0:2 offset1:3
	v_bitop3_b16 v176, v177, v165, 0xff bitop3:0xec
	v_sub_nc_u16 v165, v167, v175
	ds_load_2addr_b32 v[166:167], v237 offset0:2 offset1:3
	v_lshlrev_b16 v175, 8, v165
	s_delay_alu instid0(VALU_DEP_1) | instskip(SKIP_3) | instid1(VALU_DEP_1)
	v_perm_b32 v175, v175, v175, 0xc0c0c01
	s_wait_dscnt 0x1
	v_dual_ashrrev_i32 v168, s19, v168 :: v_dual_ashrrev_i32 v169, s19, v169
	s_wait_dscnt 0x0
	v_dual_lshlrev_b32 v168, 2, v168 :: v_dual_ashrrev_i32 v165, s20, v166
	s_delay_alu instid0(VALU_DEP_2) | instskip(NEXT) | instid1(VALU_DEP_2)
	v_lshlrev_b32_e32 v169, 2, v169
	v_and_b32_e32 v168, 0x4040404, v168
	s_delay_alu instid0(VALU_DEP_3) | instskip(SKIP_1) | instid1(VALU_DEP_4)
	v_and_b32_e32 v166, 0x3030303, v165
	v_bfe_u32 v165, v165, 24, 2
	v_and_b32_e32 v169, 0x4040404, v169
	s_delay_alu instid0(VALU_DEP_4) | instskip(NEXT) | instid1(VALU_DEP_4)
	v_dual_lshrrev_b32 v182, 24, v168 :: v_dual_lshrrev_b32 v183, 16, v168
	v_lshrrev_b32_e32 v180, 16, v166
	v_lshrrev_b16 v179, 8, v166
	v_lshrrev_b16 v181, 8, v168
	s_delay_alu instid0(VALU_DEP_4) | instskip(SKIP_3) | instid1(VALU_DEP_4)
	v_sub_nc_u16 v165, v165, v182
	v_lshrrev_b32_e32 v182, 16, v169
	v_sub_nc_u16 v226, v180, v183
	v_sub_nc_u16 v180, v166, v168
	v_lshlrev_b16 v165, 8, v165
	s_delay_alu instid0(VALU_DEP_1) | instskip(SKIP_3) | instid1(VALU_DEP_3)
	v_bitop3_b16 v227, v226, v165, 0xff bitop3:0xec
	v_sub_nc_u16 v165, v179, v181
	v_lshrrev_b32_e32 v181, 24, v169
	v_lshrrev_b16 v179, 8, v169
	v_lshlrev_b16 v228, 8, v165
	v_ashrrev_i32_e32 v165, s20, v167
	s_delay_alu instid0(VALU_DEP_1) | instskip(SKIP_1) | instid1(VALU_DEP_2)
	v_and_b32_e32 v166, 0x3030303, v165
	v_bfe_u32 v165, v165, 24, 2
	v_lshrrev_b32_e32 v168, 16, v166
	s_delay_alu instid0(VALU_DEP_2) | instskip(SKIP_2) | instid1(VALU_DEP_4)
	v_sub_nc_u16 v165, v165, v181
	v_lshrrev_b16 v167, 8, v166
	v_sub_nc_u16 v181, v166, v169
	v_sub_nc_u16 v229, v168, v182
	s_delay_alu instid0(VALU_DEP_4)
	v_lshlrev_b16 v165, 8, v165
	ds_load_2addr_b32 v[168:169], v172 offset0:4 offset1:5
	v_bitop3_b16 v230, v229, v165, 0xff bitop3:0xec
	v_sub_nc_u16 v165, v167, v179
	ds_load_2addr_b32 v[166:167], v237 offset0:4 offset1:5
	v_lshlrev_b16 v231, 8, v165
	s_wait_dscnt 0x1
	v_dual_ashrrev_i32 v168, s19, v168 :: v_dual_ashrrev_i32 v169, s19, v169
	s_wait_dscnt 0x0
	s_delay_alu instid0(VALU_DEP_1) | instskip(NEXT) | instid1(VALU_DEP_2)
	v_dual_lshlrev_b32 v168, 2, v168 :: v_dual_ashrrev_i32 v165, s20, v166
	v_lshlrev_b32_e32 v169, 2, v169
	s_delay_alu instid0(VALU_DEP_2) | instskip(NEXT) | instid1(VALU_DEP_3)
	v_and_b32_e32 v168, 0x4040404, v168
	v_and_b32_e32 v166, 0x3030303, v165
	v_bfe_u32 v165, v165, 24, 2
	s_delay_alu instid0(VALU_DEP_4) | instskip(NEXT) | instid1(VALU_DEP_4)
	v_and_b32_e32 v169, 0x4040404, v169
	v_dual_lshrrev_b32 v184, 24, v168 :: v_dual_lshrrev_b32 v185, 16, v168
	s_delay_alu instid0(VALU_DEP_4) | instskip(SKIP_2) | instid1(VALU_DEP_4)
	v_lshrrev_b32_e32 v182, 16, v166
	v_lshrrev_b16 v179, 8, v166
	v_lshrrev_b16 v183, 8, v168
	v_sub_nc_u16 v165, v165, v184
	v_dual_lshrrev_b32 v186, 24, v169 :: v_dual_lshrrev_b32 v187, 16, v169
	v_sub_nc_u16 v182, v182, v185
	v_lshrrev_b16 v185, 8, v169
	s_delay_alu instid0(VALU_DEP_4) | instskip(NEXT) | instid1(VALU_DEP_1)
	v_lshlrev_b16 v165, 8, v165
	v_bitop3_b16 v184, v182, v165, 0xff bitop3:0xec
	v_sub_nc_u16 v165, v179, v183
	v_sub_nc_u16 v183, v166, v168
	s_delay_alu instid0(VALU_DEP_2) | instskip(SKIP_1) | instid1(VALU_DEP_1)
	v_lshlrev_b16 v179, 8, v165
	v_ashrrev_i32_e32 v165, s20, v167
	v_and_b32_e32 v166, 0x3030303, v165
	v_bfe_u32 v165, v165, 24, 2
	s_delay_alu instid0(VALU_DEP_2) | instskip(NEXT) | instid1(VALU_DEP_2)
	v_lshrrev_b32_e32 v168, 16, v166
	v_sub_nc_u16 v165, v165, v186
	v_lshrrev_b16 v167, 8, v166
	v_sub_nc_u16 v188, v166, v169
	s_delay_alu instid0(VALU_DEP_4) | instskip(NEXT) | instid1(VALU_DEP_4)
	v_sub_nc_u16 v187, v168, v187
	v_lshlrev_b16 v165, 8, v165
	ds_load_2addr_b32 v[168:169], v172 offset0:6 offset1:7
	v_bitop3_b16 v186, v187, v165, 0xff bitop3:0xec
	v_sub_nc_u16 v165, v167, v185
	ds_load_2addr_b32 v[166:167], v237 offset0:6 offset1:7
	v_lshlrev_b16 v185, 8, v165
	s_delay_alu instid0(VALU_DEP_1) | instskip(SKIP_3) | instid1(VALU_DEP_1)
	v_perm_b32 v185, v185, v185, 0xc0c0c01
	s_wait_dscnt 0x1
	v_dual_ashrrev_i32 v168, s19, v168 :: v_dual_ashrrev_i32 v169, s19, v169
	s_wait_dscnt 0x0
	v_dual_lshlrev_b32 v168, 2, v168 :: v_dual_ashrrev_i32 v165, s20, v166
	s_delay_alu instid0(VALU_DEP_2) | instskip(NEXT) | instid1(VALU_DEP_2)
	v_lshlrev_b32_e32 v169, 2, v169
	v_and_b32_e32 v168, 0x4040404, v168
	s_delay_alu instid0(VALU_DEP_3) | instskip(SKIP_1) | instid1(VALU_DEP_4)
	v_and_b32_e32 v166, 0x3030303, v165
	v_bfe_u32 v165, v165, 24, 2
	v_and_b32_e32 v169, 0x4040404, v169
	s_delay_alu instid0(VALU_DEP_4) | instskip(NEXT) | instid1(VALU_DEP_4)
	v_dual_lshrrev_b32 v191, 24, v168 :: v_dual_lshrrev_b32 v192, 16, v168
	v_lshrrev_b32_e32 v190, 16, v166
	v_lshrrev_b16 v189, 8, v166
	v_lshrrev_b16 v172, 8, v168
	s_delay_alu instid0(VALU_DEP_4) | instskip(SKIP_3) | instid1(VALU_DEP_4)
	v_sub_nc_u16 v165, v165, v191
	v_lshrrev_b32_e32 v191, 16, v169
	v_sub_nc_u16 v239, v190, v192
	v_sub_nc_u16 v190, v166, v168
	v_lshlrev_b16 v165, 8, v165
	s_delay_alu instid0(VALU_DEP_1) | instskip(SKIP_3) | instid1(VALU_DEP_3)
	v_bitop3_b16 v240, v239, v165, 0xff bitop3:0xec
	v_sub_nc_u16 v165, v189, v172
	v_lshrrev_b32_e32 v189, 24, v169
	v_lshrrev_b16 v172, 8, v169
	v_lshlrev_b16 v241, 8, v165
	v_ashrrev_i32_e32 v165, s20, v167
	s_delay_alu instid0(VALU_DEP_1) | instskip(SKIP_1) | instid1(VALU_DEP_2)
	v_and_b32_e32 v166, 0x3030303, v165
	v_bfe_u32 v165, v165, 24, 2
	v_lshrrev_b32_e32 v168, 16, v166
	s_delay_alu instid0(VALU_DEP_2)
	v_sub_nc_u16 v165, v165, v189
	v_lshrrev_b16 v167, 8, v166
	v_sub_nc_u16 v189, v166, v169
	v_bfe_i32 v166, v173, 0, 8
	v_sub_nc_u16 v242, v168, v191
	v_lshlrev_b16 v165, 8, v165
	v_add_nc_u32_e32 v191, s22, v55
	s_delay_alu instid0(VALU_DEP_4) | instskip(NEXT) | instid1(VALU_DEP_3)
	v_mul_i32_i24_e32 v168, v166, v224
	v_bitop3_b16 v243, v242, v165, 0xff bitop3:0xec
	v_sub_nc_u16 v165, v167, v172
	v_bfe_i32 v167, v170, 8, 8
	v_bfe_i32 v172, v231, 8, 8
	;; [unrolled: 1-line block ×3, first 2 shown]
	s_delay_alu instid0(VALU_DEP_4) | instskip(NEXT) | instid1(VALU_DEP_4)
	v_lshlrev_b16 v244, 8, v165
	v_mad_i32_i24 v169, v167, v225, v168
	v_perm_b32 v168, v174, v171, 0xc0c0500
	v_add3_u32 v165, s23, v163, v153
	v_bfe_i32 v171, v228, 8, 8
	s_delay_alu instid0(VALU_DEP_3)
	v_dot4_i32_iu8 v0, v168, v245, v169 neg_lo:[1,1,0]
	v_bfe_i32 v169, v180, 0, 8
	v_mul_i32_i24_e32 v180, v208, v172
	v_perm_b32 v172, v176, v177, 0xc05000c
	ds_load_b32 v165, v165
	v_mad_i32_i24 v0, v170, v222, v0
	v_mul_i32_i24_e32 v173, v218, v169
	v_mul_i32_i24_e32 v174, v206, v171
	v_or_b32_e32 v172, v172, v175
	v_bfe_i32 v171, v181, 0, 8
	v_bfe_i32 v175, v179, 8, 8
	;; [unrolled: 1-line block ×3, first 2 shown]
	s_delay_alu instid0(VALU_DEP_4) | instskip(NEXT) | instid1(VALU_DEP_4)
	v_dot4_i32_iu8 v0, v172, v209, v0 neg_lo:[1,1,0]
	v_mul_i32_i24_e32 v178, v207, v171
	s_delay_alu instid0(VALU_DEP_2)
	v_add3_u32 v0, v0, v173, v174
	v_perm_b32 v173, v227, v226, 0xc0c0500
	v_bfe_i32 v174, v183, 0, 8
	v_mul_i32_i24_e32 v183, v214, v179
	v_bfe_i32 v179, v189, 0, 8
	v_perm_b32 v226, v227, v226, 0xc05000c
	v_dot4_i32_iu8 v0, v210, v173, v0 neg_lo:[1,1,0]
	v_mul_i32_i24_e32 v176, v174, v219
	v_perm_b32 v173, v230, v229, 0xc0c0500
	v_perm_b32 v227, v228, v228, 0xc0c0c01
	s_delay_alu instid0(VALU_DEP_4) | instskip(NEXT) | instid1(VALU_DEP_4)
	v_add3_u32 v0, v0, v178, v180
	v_mad_i32_i24 v177, v175, v220, v176
	v_perm_b32 v176, v184, v182, 0xc0c0500
	v_bfe_i32 v180, v244, 8, 8
	v_bfe_i32 v178, v188, 0, 8
	v_dot4_i32_iu8 v0, v211, v173, v0 neg_lo:[1,1,0]
	ds_load_u16 v173, v191
	v_dot4_i32_iu8 v4, v176, v246, v177 neg_lo:[1,1,0]
	v_mul_i32_i24_e32 v188, v217, v180
	v_perm_b32 v180, v186, v187, 0xc05000c
	v_bfe_i32 v177, v190, 0, 8
	v_mul_i32_i24_e32 v184, v199, v179
	v_mad_i32_i24 v4, v178, v215, v4
	v_or_b32_e32 v228, v226, v227
	v_or_b32_e32 v180, v180, v185
	v_mul_i32_i24_e32 v182, v114, v177
	v_perm_b32 v227, v230, v229, 0xc05000c
	v_perm_b32 v229, v231, v231, 0xc0c0c01
	s_delay_alu instid0(VALU_DEP_4) | instskip(NEXT) | instid1(VALU_DEP_2)
	v_dot4_i32_iu8 v4, v180, v221, v4 neg_lo:[1,1,0]
	v_or_b32_e32 v229, v227, v229
	s_delay_alu instid0(VALU_DEP_2) | instskip(SKIP_4) | instid1(VALU_DEP_3)
	v_add3_u32 v4, v4, v182, v183
	v_perm_b32 v182, v240, v239, 0xc0c0500
	s_wait_dscnt 0x0
	v_lshrrev_b16 v181, 8, v173
	v_bfe_i32 v173, v173, 0, 8
	v_dot4_i32_iu8 v4, v232, v182, v4 neg_lo:[1,1,0]
	v_perm_b32 v182, v243, v242, 0xc0c0500
	s_delay_alu instid0(VALU_DEP_3) | instskip(SKIP_1) | instid1(VALU_DEP_4)
	v_mul_lo_u32 v0, v0, v173
	v_bfe_i32 v181, v181, 0, 8
	v_add3_u32 v4, v4, v184, v188
	v_add3_u32 v188, s21, v154, v145
	s_delay_alu instid0(VALU_DEP_2) | instskip(SKIP_3) | instid1(VALU_DEP_2)
	v_dot4_i32_iu8 v4, v233, v182, v4 neg_lo:[1,1,0]
	ds_load_2addr_b32 v[184:185], v188 offset1:1
	v_mad_u32 v0, v4, v181, v0
	v_mul_f32_e32 v4, v115, v165
	v_cvt_f32_i32_e32 v0, v0
	s_delay_alu instid0(VALU_DEP_1)
	v_mul_f32_e32 v4, v4, v0
	v_add_nc_u32_e32 v0, 0x1080, v237
	s_wait_dscnt 0x0
	v_ashrrev_i32_e32 v185, s19, v185
	ds_load_2addr_b32 v[182:183], v0 offset1:1
	v_dual_ashrrev_i32 v184, s19, v184 :: v_dual_lshlrev_b32 v185, 2, v185
	s_delay_alu instid0(VALU_DEP_1) | instskip(NEXT) | instid1(VALU_DEP_2)
	v_lshlrev_b32_e32 v184, 2, v184
	v_and_b32_e32 v185, 0x4040404, v185
	s_delay_alu instid0(VALU_DEP_2) | instskip(NEXT) | instid1(VALU_DEP_2)
	v_and_b32_e32 v184, 0x4040404, v184
	v_dual_lshrrev_b32 v192, 24, v185 :: v_dual_lshrrev_b32 v193, 16, v185
	s_delay_alu instid0(VALU_DEP_2) | instskip(SKIP_3) | instid1(VALU_DEP_1)
	v_lshrrev_b16 v189, 8, v184
	v_dual_lshrrev_b32 v190, 24, v184 :: v_dual_lshrrev_b32 v191, 16, v184
	s_wait_dscnt 0x0
	v_ashrrev_i32_e32 v0, s20, v182
	v_and_b32_e32 v182, 0x3030303, v0
	v_bfe_u32 v0, v0, 24, 2
	s_delay_alu instid0(VALU_DEP_2) | instskip(SKIP_1) | instid1(VALU_DEP_3)
	v_lshrrev_b16 v186, 8, v182
	v_lshrrev_b32_e32 v187, 16, v182
	v_sub_nc_u16 v0, v0, v190
	s_delay_alu instid0(VALU_DEP_3)
	v_sub_nc_u16 v186, v186, v189
	v_sub_nc_u16 v189, v182, v184
	v_ashrrev_i32_e32 v182, s20, v183
	v_sub_nc_u16 v187, v187, v191
	v_lshrrev_b16 v191, 8, v185
	v_lshlrev_b16 v0, 8, v0
	v_lshlrev_b16 v186, 8, v186
	v_and_b32_e32 v183, 0x3030303, v182
	v_bfe_u32 v182, v182, 24, 2
	s_delay_alu instid0(VALU_DEP_4) | instskip(NEXT) | instid1(VALU_DEP_3)
	v_bitop3_b16 v0, v187, v0, 0xff bitop3:0xec
	v_lshrrev_b32_e32 v190, 16, v183
	s_delay_alu instid0(VALU_DEP_3) | instskip(SKIP_1) | instid1(VALU_DEP_3)
	v_sub_nc_u16 v182, v182, v192
	v_lshrrev_b16 v184, 8, v183
	v_sub_nc_u16 v190, v190, v193
	s_delay_alu instid0(VALU_DEP_3) | instskip(SKIP_1) | instid1(VALU_DEP_2)
	v_lshlrev_b16 v182, 8, v182
	v_sub_nc_u16 v193, v183, v185
	v_bitop3_b16 v192, v190, v182, 0xff bitop3:0xec
	v_sub_nc_u16 v182, v184, v191
	ds_load_2addr_b32 v[184:185], v188 offset0:2 offset1:3
	v_lshlrev_b16 v191, 8, v182
	v_add_nc_u32_e32 v182, 0x1088, v237
	ds_load_2addr_b32 v[182:183], v182 offset1:1
	s_wait_dscnt 0x1
	v_dual_ashrrev_i32 v184, s19, v184 :: v_dual_ashrrev_i32 v185, s19, v185
	s_delay_alu instid0(VALU_DEP_1) | instskip(SKIP_2) | instid1(VALU_DEP_2)
	v_dual_lshlrev_b32 v184, 2, v184 :: v_dual_lshlrev_b32 v185, 2, v185
	s_wait_dscnt 0x0
	v_ashrrev_i32_e32 v182, s20, v182
	v_and_b32_e32 v184, 0x4040404, v184
	s_delay_alu instid0(VALU_DEP_3) | instskip(NEXT) | instid1(VALU_DEP_3)
	v_and_b32_e32 v185, 0x4040404, v185
	v_and_b32_e32 v194, 0x3030303, v182
	v_bfe_u32 v182, v182, 24, 2
	s_delay_alu instid0(VALU_DEP_4) | instskip(SKIP_1) | instid1(VALU_DEP_4)
	v_dual_lshrrev_b32 v198, 24, v184 :: v_dual_lshrrev_b32 v200, 16, v184
	v_lshrrev_b16 v197, 8, v184
	v_lshrrev_b32_e32 v196, 16, v194
	v_lshrrev_b16 v195, 8, v194
	s_delay_alu instid0(VALU_DEP_4)
	v_sub_nc_u16 v182, v182, v198
	v_lshrrev_b32_e32 v198, 16, v185
	v_sub_nc_u16 v194, v194, v184
	v_sub_nc_u16 v247, v196, v200
	v_lshrrev_b16 v196, 8, v185
	v_lshlrev_b16 v182, 8, v182
	s_delay_alu instid0(VALU_DEP_1) | instskip(SKIP_2) | instid1(VALU_DEP_2)
	v_bitop3_b16 v248, v247, v182, 0xff bitop3:0xec
	v_sub_nc_u16 v182, v195, v197
	v_lshrrev_b32_e32 v197, 24, v185
	v_lshlrev_b16 v249, 8, v182
	v_ashrrev_i32_e32 v182, s20, v183
	s_delay_alu instid0(VALU_DEP_1) | instskip(SKIP_1) | instid1(VALU_DEP_2)
	v_and_b32_e32 v183, 0x3030303, v182
	v_bfe_u32 v182, v182, 24, 2
	v_lshrrev_b32_e32 v195, 16, v183
	s_delay_alu instid0(VALU_DEP_2) | instskip(SKIP_1) | instid1(VALU_DEP_3)
	v_sub_nc_u16 v182, v182, v197
	v_lshrrev_b16 v184, 8, v183
	v_sub_nc_u16 v250, v195, v198
	s_delay_alu instid0(VALU_DEP_3) | instskip(SKIP_1) | instid1(VALU_DEP_2)
	v_lshlrev_b16 v182, 8, v182
	v_sub_nc_u16 v195, v183, v185
	v_bitop3_b16 v251, v250, v182, 0xff bitop3:0xec
	v_sub_nc_u16 v182, v184, v196
	ds_load_2addr_b32 v[184:185], v188 offset0:4 offset1:5
	v_lshlrev_b16 v252, 8, v182
	v_add_nc_u32_e32 v182, 0x1090, v237
	ds_load_2addr_b32 v[182:183], v182 offset1:1
	s_wait_dscnt 0x1
	v_dual_ashrrev_i32 v184, s19, v184 :: v_dual_ashrrev_i32 v185, s19, v185
	s_delay_alu instid0(VALU_DEP_1) | instskip(SKIP_2) | instid1(VALU_DEP_2)
	v_dual_lshlrev_b32 v184, 2, v184 :: v_dual_lshlrev_b32 v185, 2, v185
	s_wait_dscnt 0x0
	v_ashrrev_i32_e32 v182, s20, v182
	v_and_b32_e32 v184, 0x4040404, v184
	s_delay_alu instid0(VALU_DEP_3) | instskip(NEXT) | instid1(VALU_DEP_3)
	v_and_b32_e32 v185, 0x4040404, v185
	v_and_b32_e32 v196, 0x3030303, v182
	v_bfe_u32 v182, v182, 24, 2
	s_delay_alu instid0(VALU_DEP_4) | instskip(SKIP_1) | instid1(VALU_DEP_4)
	v_dual_lshrrev_b32 v201, 24, v184 :: v_dual_lshrrev_b32 v202, 16, v184
	v_lshrrev_b16 v200, 8, v184
	v_lshrrev_b32_e32 v198, 16, v196
	v_lshrrev_b16 v197, 8, v196
	s_delay_alu instid0(VALU_DEP_4) | instskip(SKIP_1) | instid1(VALU_DEP_4)
	v_sub_nc_u16 v182, v182, v201
	v_dual_lshrrev_b32 v203, 24, v185 :: v_dual_lshrrev_b32 v204, 16, v185
	v_sub_nc_u16 v198, v198, v202
	v_sub_nc_u16 v196, v196, v184
	s_delay_alu instid0(VALU_DEP_4) | instskip(SKIP_1) | instid1(VALU_DEP_2)
	v_lshlrev_b16 v182, 8, v182
	v_lshrrev_b16 v202, 8, v185
	v_bitop3_b16 v201, v198, v182, 0xff bitop3:0xec
	v_sub_nc_u16 v182, v197, v200
	s_delay_alu instid0(VALU_DEP_1) | instskip(SKIP_1) | instid1(VALU_DEP_1)
	v_lshlrev_b16 v197, 8, v182
	v_ashrrev_i32_e32 v182, s20, v183
	v_and_b32_e32 v183, 0x3030303, v182
	v_bfe_u32 v182, v182, 24, 2
	s_delay_alu instid0(VALU_DEP_2) | instskip(NEXT) | instid1(VALU_DEP_2)
	v_lshrrev_b32_e32 v200, 16, v183
	v_sub_nc_u16 v182, v182, v203
	v_lshrrev_b16 v184, 8, v183
	s_delay_alu instid0(VALU_DEP_3) | instskip(NEXT) | instid1(VALU_DEP_3)
	v_sub_nc_u16 v200, v200, v204
	v_lshlrev_b16 v182, 8, v182
	v_sub_nc_u16 v204, v183, v185
	s_delay_alu instid0(VALU_DEP_2)
	v_bitop3_b16 v203, v200, v182, 0xff bitop3:0xec
	v_sub_nc_u16 v182, v184, v202
	ds_load_2addr_b32 v[184:185], v188 offset0:6 offset1:7
	v_lshlrev_b16 v202, 8, v182
	v_add_nc_u32_e32 v182, 0x1098, v237
	ds_load_2addr_b32 v[182:183], v182 offset1:1
	s_wait_dscnt 0x1
	v_dual_ashrrev_i32 v184, s19, v184 :: v_dual_ashrrev_i32 v185, s19, v185
	s_delay_alu instid0(VALU_DEP_1) | instskip(SKIP_2) | instid1(VALU_DEP_2)
	v_dual_lshlrev_b32 v184, 2, v184 :: v_dual_lshlrev_b32 v185, 2, v185
	s_wait_dscnt 0x0
	v_ashrrev_i32_e32 v182, s20, v182
	v_and_b32_e32 v184, 0x4040404, v184
	s_delay_alu instid0(VALU_DEP_3) | instskip(NEXT) | instid1(VALU_DEP_3)
	v_and_b32_e32 v185, 0x4040404, v185
	v_and_b32_e32 v205, 0x3030303, v182
	v_bfe_u32 v182, v182, 24, 2
	s_delay_alu instid0(VALU_DEP_4) | instskip(SKIP_1) | instid1(VALU_DEP_4)
	v_dual_lshrrev_b32 v234, 24, v184 :: v_dual_lshrrev_b32 v235, 16, v184
	v_lshrrev_b16 v188, 8, v184
	v_lshrrev_b32_e32 v213, 16, v205
	v_lshrrev_b16 v212, 8, v205
	s_delay_alu instid0(VALU_DEP_4)
	v_sub_nc_u16 v182, v182, v234
	v_lshrrev_b32_e32 v234, 16, v185
	v_sub_nc_u16 v205, v205, v184
	v_sub_nc_u16 v253, v213, v235
	v_lshrrev_b32_e32 v213, 24, v185
	v_lshlrev_b16 v182, 8, v182
	s_delay_alu instid0(VALU_DEP_1) | instskip(SKIP_2) | instid1(VALU_DEP_2)
	v_bitop3_b16 v254, v253, v182, 0xff bitop3:0xec
	v_sub_nc_u16 v182, v212, v188
	v_lshrrev_b16 v212, 8, v185
	v_lshlrev_b16 v255, 8, v182
	v_ashrrev_i32_e32 v182, s20, v183
	s_delay_alu instid0(VALU_DEP_1) | instskip(NEXT) | instid1(VALU_DEP_1)
	v_and_b32_e32 v183, 0x3030303, v182
	v_lshrrev_b32_e32 v188, 16, v183
	v_bfe_u32 v182, v182, 24, 2
	v_lshrrev_b16 v184, 8, v183
	s_set_vgpr_msb 64                       ;  msbs: dst=1 src0=0 src1=0 src2=0
	s_delay_alu instid0(VALU_DEP_3)
	v_sub_nc_u16 v0 /*v256*/, v188, v234
	s_set_vgpr_msb 0                        ;  msbs: dst=0 src0=0 src1=0 src2=0
	v_sub_nc_u16 v182, v182, v213
	v_sub_nc_u16 v213, v183, v185
	v_bfe_i32 v183, v189, 0, 8
	v_bfe_i32 v189, v252, 8, 8
	;; [unrolled: 1-line block ×3, first 2 shown]
	v_lshlrev_b16 v182, 8, v182
	s_delay_alu instid0(VALU_DEP_4) | instskip(NEXT) | instid1(VALU_DEP_4)
	v_mul_i32_i24_e32 v185, v183, v224
	v_mul_i32_i24_e32 v234, v208, v189
	v_perm_b32 v189, v192, v190, 0xc05000c
	s_set_vgpr_msb 0x41                     ;  msbs: dst=1 src0=1 src1=0 src2=0
	v_bitop3_b16 v1 /*v257*/, v0 /*v256*/, v182, 0xff bitop3:0xec
	s_set_vgpr_msb 0                        ;  msbs: dst=0 src0=0 src1=0 src2=0
	v_sub_nc_u16 v182, v184, v212
	v_bfe_i32 v184, v186, 8, 8
	v_perm_b32 v190, v191, v191, 0xc0c0c01
	v_bfe_i32 v191, v196, 0, 8
	v_bfe_i32 v192, v197, 8, 8
	s_set_vgpr_msb 64                       ;  msbs: dst=1 src0=0 src1=0 src2=0
	v_lshlrev_b16 v2 /*v258*/, 8, v182
	s_set_vgpr_msb 0                        ;  msbs: dst=0 src0=0 src1=0 src2=0
	v_mad_i32_i24 v186, v184, v225, v185
	v_perm_b32 v185, v0, v187, 0xc0c0500
	v_bfe_i32 v187, v194, 0, 8
	v_or_b32_e32 v189, v189, v190
	v_mul_i32_i24_e32 v194, v206, v188
	v_bfe_i32 v188, v195, 0, 8
	v_dot4_i32_iu8 v0, v185, v245, v186 neg_lo:[1,1,0]
	v_bfe_i32 v186, v193, 0, 8
	v_mul_i32_i24_e32 v193, v218, v187
	v_perm_b32 v190, v248, v247, 0xc0c0500
	v_add3_u32 v182, s23, v155, v146
	v_mul_i32_i24_e32 v195, v207, v188
	v_mad_i32_i24 v0, v186, v222, v0
	v_bfe_i32 v196, v255, 8, 8
	ds_load_b32 v182, v182
	v_add_nc_u32_e32 v212, s22, v57
	v_dot4_i32_iu8 v0, v189, v209, v0 neg_lo:[1,1,0]
	s_delay_alu instid0(VALU_DEP_1) | instskip(SKIP_1) | instid1(VALU_DEP_2)
	v_add3_u32 v0, v0, v193, v194
	v_mul_i32_i24_e32 v193, v191, v219
	v_dot4_i32_iu8 v0, v210, v190, v0 neg_lo:[1,1,0]
	s_delay_alu instid0(VALU_DEP_2)
	v_mad_i32_i24 v194, v192, v220, v193
	v_perm_b32 v193, v201, v198, 0xc0c0500
	v_perm_b32 v190, v251, v250, 0xc0c0500
	v_mul_i32_i24_e32 v201, v214, v196
	v_add3_u32 v0, v0, v195, v234
	v_bfe_i32 v196, v213, 0, 8
	v_dot4_i32_iu8 v197, v193, v246, v194 neg_lo:[1,1,0]
	v_bfe_i32 v194, v204, 0, 8
	v_bfe_i32 v195, v205, 0, 8
	v_dot4_i32_iu8 v0, v211, v190, v0 neg_lo:[1,1,0]
	ds_load_u16 v190, v212
	s_set_vgpr_msb 1                        ;  msbs: dst=0 src0=1 src1=0 src2=0
	v_bfe_i32 v204, v2 /*v258*/, 8, 8
	s_set_vgpr_msb 0                        ;  msbs: dst=0 src0=0 src1=0 src2=0
	v_mad_i32_i24 v213, v194, v215, v197
	v_perm_b32 v197, v203, v200, 0xc05000c
	v_perm_b32 v200, v202, v202, 0xc0c0c01
	v_mul_i32_i24_e32 v198, v114, v195
	v_mul_i32_i24_e32 v205, v199, v196
	;; [unrolled: 1-line block ×3, first 2 shown]
	s_delay_alu instid0(VALU_DEP_4) | instskip(NEXT) | instid1(VALU_DEP_1)
	v_or_b32_e32 v197, v197, v200
	v_dot4_i32_iu8 v200, v197, v221, v213 neg_lo:[1,1,0]
	s_delay_alu instid0(VALU_DEP_1) | instskip(SKIP_4) | instid1(VALU_DEP_3)
	v_add3_u32 v198, v200, v198, v201
	v_perm_b32 v200, v254, v253, 0xc0c0500
	s_wait_dscnt 0x0
	v_lshrrev_b16 v212, 8, v190
	v_bfe_i32 v190, v190, 0, 8
	v_dot4_i32_iu8 v198, v232, v200, v198 neg_lo:[1,1,0]
	s_set_vgpr_msb 5                        ;  msbs: dst=0 src0=1 src1=1 src2=0
	v_perm_b32 v200, v1 /*v257*/, v0 /*v256*/, 0xc0c0500
	s_set_vgpr_msb 0                        ;  msbs: dst=0 src0=0 src1=0 src2=0
	v_mul_lo_u32 v0, v0, v190
	v_add3_u32 v198, v198, v205, v204
	s_delay_alu instid0(VALU_DEP_1) | instskip(SKIP_2) | instid1(VALU_DEP_2)
	v_dot4_i32_iu8 v200, v233, v200, v198 neg_lo:[1,1,0]
	v_bfe_i32 v198, v212, 0, 8
	v_add3_u32 v212, s21, v156, v147
	v_mad_u32 v0, v200, v198, v0
	v_mul_f32_e32 v200, v115, v182
	ds_load_2addr_b32 v[202:203], v212 offset1:1
	v_cvt_f32_i32_e32 v0, v0
	s_delay_alu instid0(VALU_DEP_1) | instskip(SKIP_4) | instid1(VALU_DEP_1)
	v_mul_f32_e32 v236, v200, v0
	v_add_nc_u32_e32 v0, 0x2100, v237
	ds_load_2addr_b32 v[200:201], v0 offset1:1
	s_wait_dscnt 0x1
	v_dual_ashrrev_i32 v202, s19, v202 :: v_dual_ashrrev_i32 v203, s19, v203
	v_dual_lshlrev_b32 v202, 2, v202 :: v_dual_lshlrev_b32 v203, 2, v203
	s_delay_alu instid0(VALU_DEP_1) | instskip(NEXT) | instid1(VALU_DEP_2)
	v_and_b32_e32 v202, 0x4040404, v202
	v_and_b32_e32 v203, 0x4040404, v203
	s_delay_alu instid0(VALU_DEP_2) | instskip(SKIP_2) | instid1(VALU_DEP_3)
	v_lshrrev_b16 v213, 8, v202
	v_dual_lshrrev_b32 v234, 24, v202 :: v_dual_lshrrev_b32 v235, 16, v202
	s_wait_dscnt 0x0
	v_dual_lshrrev_b32 v238, 24, v203 :: v_dual_ashrrev_i32 v0, s20, v200
	s_set_vgpr_msb 64                       ;  msbs: dst=1 src0=0 src1=0 src2=0
	v_lshrrev_b32_e32 v3 /*v259*/, 16, v203
	s_set_vgpr_msb 0                        ;  msbs: dst=0 src0=0 src1=0 src2=0
	s_delay_alu instid0(VALU_DEP_2) | instskip(NEXT) | instid1(VALU_DEP_1)
	v_and_b32_e32 v200, 0x3030303, v0
	v_lshrrev_b16 v204, 8, v200
	v_lshrrev_b32_e32 v205, 16, v200
	v_bfe_u32 v0, v0, 24, 2
	s_delay_alu instid0(VALU_DEP_3) | instskip(SKIP_2) | instid1(VALU_DEP_4)
	v_sub_nc_u16 v204, v204, v213
	v_sub_nc_u16 v213, v200, v202
	v_ashrrev_i32_e32 v200, s20, v201
	v_sub_nc_u16 v0, v0, v234
	v_sub_nc_u16 v205, v205, v235
	v_lshrrev_b16 v235, 8, v203
	v_lshlrev_b16 v204, 8, v204
	v_and_b32_e32 v201, 0x3030303, v200
	v_bfe_u32 v200, v200, 24, 2
	v_lshlrev_b16 v0, 8, v0
	s_delay_alu instid0(VALU_DEP_3) | instskip(NEXT) | instid1(VALU_DEP_3)
	v_lshrrev_b32_e32 v234, 16, v201
	v_sub_nc_u16 v200, v200, v238
	v_lshrrev_b16 v202, 8, v201
	s_delay_alu instid0(VALU_DEP_4)
	v_bitop3_b16 v0, v205, v0, 0xff bitop3:0xec
	s_set_vgpr_msb 4                        ;  msbs: dst=0 src0=0 src1=1 src2=0
	v_sub_nc_u16 v234, v234, v3 /*v259*/
	s_set_vgpr_msb 0                        ;  msbs: dst=0 src0=0 src1=0 src2=0
	v_lshlrev_b16 v200, 8, v200
	s_set_vgpr_msb 64                       ;  msbs: dst=1 src0=0 src1=0 src2=0
	v_sub_nc_u16 v3 /*v259*/, v201, v203
	s_set_vgpr_msb 0                        ;  msbs: dst=0 src0=0 src1=0 src2=0
	s_delay_alu instid0(VALU_DEP_2)
	v_bitop3_b16 v238, v234, v200, 0xff bitop3:0xec
	v_sub_nc_u16 v200, v202, v235
	ds_load_2addr_b32 v[202:203], v212 offset0:2 offset1:3
	v_lshlrev_b16 v235, 8, v200
	v_add_nc_u32_e32 v200, 0x2108, v237
	ds_load_2addr_b32 v[200:201], v200 offset1:1
	s_wait_dscnt 0x1
	v_dual_ashrrev_i32 v202, s19, v202 :: v_dual_ashrrev_i32 v203, s19, v203
	s_delay_alu instid0(VALU_DEP_1) | instskip(SKIP_2) | instid1(VALU_DEP_2)
	v_dual_lshlrev_b32 v202, 2, v202 :: v_dual_lshlrev_b32 v203, 2, v203
	s_wait_dscnt 0x0
	v_ashrrev_i32_e32 v200, s20, v200
	v_and_b32_e32 v202, 0x4040404, v202
	s_delay_alu instid0(VALU_DEP_3) | instskip(SKIP_1) | instid1(VALU_DEP_3)
	v_and_b32_e32 v203, 0x4040404, v203
	s_set_vgpr_msb 64                       ;  msbs: dst=1 src0=0 src1=0 src2=0
	v_and_b32_e32 v4 /*v260*/, 0x3030303, v200
	s_set_vgpr_msb 0                        ;  msbs: dst=0 src0=0 src1=0 src2=0
	v_bfe_u32 v200, v200, 24, 2
	s_set_vgpr_msb 64                       ;  msbs: dst=1 src0=0 src1=0 src2=0
	v_dual_lshrrev_b32 v8 /*v264*/, 24, v202 :: v_dual_lshrrev_b32 v9 /*v265*/, 16, v202
	v_lshrrev_b16 v7 /*v263*/, 8, v202
	s_set_vgpr_msb 0x44                     ;  msbs: dst=1 src0=0 src1=1 src2=0
	v_lshrrev_b32_e32 v6 /*v262*/, 16, v4 /*v260*/
	v_lshrrev_b16 v5 /*v261*/, 8, v4 /*v260*/
	s_set_vgpr_msb 4                        ;  msbs: dst=0 src0=0 src1=1 src2=0
	v_sub_nc_u16 v200, v200, v8 /*v264*/
	s_set_vgpr_msb 64                       ;  msbs: dst=1 src0=0 src1=0 src2=0
	v_dual_lshrrev_b32 v10 /*v266*/, 24, v203 :: v_dual_lshrrev_b32 v11 /*v267*/, 16, v203
	s_set_vgpr_msb 0x45                     ;  msbs: dst=1 src0=1 src1=1 src2=0
	v_sub_nc_u16 v6 /*v262*/, v6 /*v262*/, v9 /*v265*/
	s_set_vgpr_msb 0x41                     ;  msbs: dst=1 src0=1 src1=0 src2=0
	v_sub_nc_u16 v4 /*v260*/, v4 /*v260*/, v202
	s_set_vgpr_msb 0                        ;  msbs: dst=0 src0=0 src1=0 src2=0
	v_lshlrev_b16 v200, 8, v200
	s_set_vgpr_msb 0x41                     ;  msbs: dst=1 src0=1 src1=0 src2=0
	v_lshrrev_b16 v9 /*v265*/, 8, v203
	s_delay_alu instid0(VALU_DEP_2) | instskip(SKIP_3) | instid1(VALU_DEP_1)
	v_bitop3_b16 v8 /*v264*/, v6 /*v262*/, v200, 0xff bitop3:0xec
	s_set_vgpr_msb 5                        ;  msbs: dst=0 src0=1 src1=1 src2=0
	v_sub_nc_u16 v200, v5 /*v261*/, v7 /*v263*/
	s_set_vgpr_msb 64                       ;  msbs: dst=1 src0=0 src1=0 src2=0
	v_lshlrev_b16 v5 /*v261*/, 8, v200
	s_set_vgpr_msb 0                        ;  msbs: dst=0 src0=0 src1=0 src2=0
	v_ashrrev_i32_e32 v200, s20, v201
	s_delay_alu instid0(VALU_DEP_1) | instskip(SKIP_2) | instid1(VALU_DEP_2)
	v_and_b32_e32 v201, 0x3030303, v200
	v_bfe_u32 v200, v200, 24, 2
	s_set_vgpr_msb 64                       ;  msbs: dst=1 src0=0 src1=0 src2=0
	v_lshrrev_b32_e32 v7 /*v263*/, 16, v201
	s_set_vgpr_msb 4                        ;  msbs: dst=0 src0=0 src1=1 src2=0
	s_delay_alu instid0(VALU_DEP_2)
	v_sub_nc_u16 v200, v200, v10 /*v266*/
	s_set_vgpr_msb 0                        ;  msbs: dst=0 src0=0 src1=0 src2=0
	v_lshrrev_b16 v202, 8, v201
	s_set_vgpr_msb 0x45                     ;  msbs: dst=1 src0=1 src1=1 src2=0
	v_sub_nc_u16 v7 /*v263*/, v7 /*v263*/, v11 /*v267*/
	s_set_vgpr_msb 0                        ;  msbs: dst=0 src0=0 src1=0 src2=0
	v_lshlrev_b16 v200, 8, v200
	s_set_vgpr_msb 64                       ;  msbs: dst=1 src0=0 src1=0 src2=0
	v_sub_nc_u16 v11 /*v267*/, v201, v203
	s_set_vgpr_msb 0x41                     ;  msbs: dst=1 src0=1 src1=0 src2=0
	s_delay_alu instid0(VALU_DEP_2)
	v_bitop3_b16 v10 /*v266*/, v7 /*v263*/, v200, 0xff bitop3:0xec
	s_set_vgpr_msb 4                        ;  msbs: dst=0 src0=0 src1=1 src2=0
	v_sub_nc_u16 v200, v202, v9 /*v265*/
	ds_load_2addr_b32 v[202:203], v212 offset0:4 offset1:5
	s_set_vgpr_msb 64                       ;  msbs: dst=1 src0=0 src1=0 src2=0
	v_lshlrev_b16 v9 /*v265*/, 8, v200
	s_set_vgpr_msb 0                        ;  msbs: dst=0 src0=0 src1=0 src2=0
	v_add_nc_u32_e32 v200, 0x2110, v237
	ds_load_2addr_b32 v[200:201], v200 offset1:1
	s_wait_dscnt 0x1
	v_dual_ashrrev_i32 v202, s19, v202 :: v_dual_ashrrev_i32 v203, s19, v203
	s_delay_alu instid0(VALU_DEP_1) | instskip(SKIP_2) | instid1(VALU_DEP_2)
	v_dual_lshlrev_b32 v202, 2, v202 :: v_dual_lshlrev_b32 v203, 2, v203
	s_wait_dscnt 0x0
	v_ashrrev_i32_e32 v200, s20, v200
	v_and_b32_e32 v202, 0x4040404, v202
	s_delay_alu instid0(VALU_DEP_3) | instskip(SKIP_1) | instid1(VALU_DEP_3)
	v_and_b32_e32 v203, 0x4040404, v203
	s_set_vgpr_msb 64                       ;  msbs: dst=1 src0=0 src1=0 src2=0
	v_and_b32_e32 v12 /*v268*/, 0x3030303, v200
	s_set_vgpr_msb 0                        ;  msbs: dst=0 src0=0 src1=0 src2=0
	v_bfe_u32 v200, v200, 24, 2
	s_set_vgpr_msb 64                       ;  msbs: dst=1 src0=0 src1=0 src2=0
	v_dual_lshrrev_b32 v16 /*v272*/, 24, v202 :: v_dual_lshrrev_b32 v17 /*v273*/, 16, v202
	v_lshrrev_b16 v15 /*v271*/, 8, v202
	s_set_vgpr_msb 0x44                     ;  msbs: dst=1 src0=0 src1=1 src2=0
	v_lshrrev_b32_e32 v14 /*v270*/, 16, v12 /*v268*/
	v_lshrrev_b16 v13 /*v269*/, 8, v12 /*v268*/
	s_set_vgpr_msb 4                        ;  msbs: dst=0 src0=0 src1=1 src2=0
	v_sub_nc_u16 v200, v200, v16 /*v272*/
	s_set_vgpr_msb 64                       ;  msbs: dst=1 src0=0 src1=0 src2=0
	v_dual_lshrrev_b32 v18 /*v274*/, 24, v203 :: v_dual_lshrrev_b32 v19 /*v275*/, 16, v203
	s_set_vgpr_msb 0x45                     ;  msbs: dst=1 src0=1 src1=1 src2=0
	v_sub_nc_u16 v14 /*v270*/, v14 /*v270*/, v17 /*v273*/
	s_set_vgpr_msb 0x41                     ;  msbs: dst=1 src0=1 src1=0 src2=0
	v_sub_nc_u16 v12 /*v268*/, v12 /*v268*/, v202
	s_set_vgpr_msb 0                        ;  msbs: dst=0 src0=0 src1=0 src2=0
	v_lshlrev_b16 v200, 8, v200
	s_set_vgpr_msb 0x41                     ;  msbs: dst=1 src0=1 src1=0 src2=0
	v_lshrrev_b16 v17 /*v273*/, 8, v203
	s_delay_alu instid0(VALU_DEP_2) | instskip(SKIP_3) | instid1(VALU_DEP_1)
	v_bitop3_b16 v16 /*v272*/, v14 /*v270*/, v200, 0xff bitop3:0xec
	s_set_vgpr_msb 5                        ;  msbs: dst=0 src0=1 src1=1 src2=0
	v_sub_nc_u16 v200, v13 /*v269*/, v15 /*v271*/
	s_set_vgpr_msb 64                       ;  msbs: dst=1 src0=0 src1=0 src2=0
	v_lshlrev_b16 v13 /*v269*/, 8, v200
	s_set_vgpr_msb 0                        ;  msbs: dst=0 src0=0 src1=0 src2=0
	v_ashrrev_i32_e32 v200, s20, v201
	s_delay_alu instid0(VALU_DEP_1) | instskip(SKIP_2) | instid1(VALU_DEP_2)
	v_and_b32_e32 v201, 0x3030303, v200
	v_bfe_u32 v200, v200, 24, 2
	s_set_vgpr_msb 64                       ;  msbs: dst=1 src0=0 src1=0 src2=0
	v_lshrrev_b32_e32 v15 /*v271*/, 16, v201
	s_set_vgpr_msb 4                        ;  msbs: dst=0 src0=0 src1=1 src2=0
	s_delay_alu instid0(VALU_DEP_2)
	v_sub_nc_u16 v200, v200, v18 /*v274*/
	s_set_vgpr_msb 0                        ;  msbs: dst=0 src0=0 src1=0 src2=0
	v_lshrrev_b16 v202, 8, v201
	s_set_vgpr_msb 0x45                     ;  msbs: dst=1 src0=1 src1=1 src2=0
	v_sub_nc_u16 v15 /*v271*/, v15 /*v271*/, v19 /*v275*/
	s_set_vgpr_msb 0                        ;  msbs: dst=0 src0=0 src1=0 src2=0
	v_lshlrev_b16 v200, 8, v200
	s_set_vgpr_msb 64                       ;  msbs: dst=1 src0=0 src1=0 src2=0
	v_sub_nc_u16 v19 /*v275*/, v201, v203
	s_set_vgpr_msb 0x41                     ;  msbs: dst=1 src0=1 src1=0 src2=0
	s_delay_alu instid0(VALU_DEP_2)
	v_bitop3_b16 v18 /*v274*/, v15 /*v271*/, v200, 0xff bitop3:0xec
	s_set_vgpr_msb 4                        ;  msbs: dst=0 src0=0 src1=1 src2=0
	v_sub_nc_u16 v200, v202, v17 /*v273*/
	ds_load_2addr_b32 v[202:203], v212 offset0:6 offset1:7
	s_set_vgpr_msb 64                       ;  msbs: dst=1 src0=0 src1=0 src2=0
	v_lshlrev_b16 v17 /*v273*/, 8, v200
	s_set_vgpr_msb 0                        ;  msbs: dst=0 src0=0 src1=0 src2=0
	v_add_nc_u32_e32 v200, 0x2118, v237
	ds_load_2addr_b32 v[200:201], v200 offset1:1
	s_wait_dscnt 0x1
	v_dual_ashrrev_i32 v202, s19, v202 :: v_dual_ashrrev_i32 v203, s19, v203
	s_delay_alu instid0(VALU_DEP_1) | instskip(SKIP_2) | instid1(VALU_DEP_2)
	v_dual_lshlrev_b32 v202, 2, v202 :: v_dual_lshlrev_b32 v203, 2, v203
	s_wait_dscnt 0x0
	v_ashrrev_i32_e32 v200, s20, v200
	v_and_b32_e32 v202, 0x4040404, v202
	s_delay_alu instid0(VALU_DEP_3) | instskip(SKIP_1) | instid1(VALU_DEP_3)
	v_and_b32_e32 v203, 0x4040404, v203
	s_set_vgpr_msb 64                       ;  msbs: dst=1 src0=0 src1=0 src2=0
	v_and_b32_e32 v20 /*v276*/, 0x3030303, v200
	s_set_vgpr_msb 0                        ;  msbs: dst=0 src0=0 src1=0 src2=0
	v_bfe_u32 v200, v200, 24, 2
	s_set_vgpr_msb 64                       ;  msbs: dst=1 src0=0 src1=0 src2=0
	v_dual_lshrrev_b32 v23 /*v279*/, 24, v202 :: v_dual_lshrrev_b32 v24 /*v280*/, 16, v202
	v_lshrrev_b32_e32 v25 /*v281*/, 24, v203
	s_set_vgpr_msb 0x44                     ;  msbs: dst=1 src0=0 src1=1 src2=0
	v_lshrrev_b32_e32 v22 /*v278*/, 16, v20 /*v276*/
	v_lshrrev_b16 v21 /*v277*/, 8, v20 /*v276*/
	s_set_vgpr_msb 4                        ;  msbs: dst=0 src0=0 src1=1 src2=0
	v_sub_nc_u16 v200, v200, v23 /*v279*/
	s_set_vgpr_msb 0                        ;  msbs: dst=0 src0=0 src1=0 src2=0
	v_lshrrev_b16 v212, 8, v202
	s_set_vgpr_msb 0x41                     ;  msbs: dst=1 src0=1 src1=0 src2=0
	v_sub_nc_u16 v20 /*v276*/, v20 /*v276*/, v202
	s_set_vgpr_msb 0x45                     ;  msbs: dst=1 src0=1 src1=1 src2=0
	v_sub_nc_u16 v22 /*v278*/, v22 /*v278*/, v24 /*v280*/
	s_set_vgpr_msb 64                       ;  msbs: dst=1 src0=0 src1=0 src2=0
	v_lshrrev_b32_e32 v26 /*v282*/, 16, v203
	s_set_vgpr_msb 0                        ;  msbs: dst=0 src0=0 src1=0 src2=0
	v_lshlrev_b16 v200, 8, v200
	s_set_vgpr_msb 0x41                     ;  msbs: dst=1 src0=1 src1=0 src2=0
	v_lshrrev_b16 v24 /*v280*/, 8, v203
	s_delay_alu instid0(VALU_DEP_2) | instskip(SKIP_3) | instid1(VALU_DEP_1)
	v_bitop3_b16 v23 /*v279*/, v22 /*v278*/, v200, 0xff bitop3:0xec
	s_set_vgpr_msb 1                        ;  msbs: dst=0 src0=1 src1=0 src2=0
	v_sub_nc_u16 v200, v21 /*v277*/, v212
	s_set_vgpr_msb 64                       ;  msbs: dst=1 src0=0 src1=0 src2=0
	v_lshlrev_b16 v21 /*v277*/, 8, v200
	s_set_vgpr_msb 0                        ;  msbs: dst=0 src0=0 src1=0 src2=0
	v_ashrrev_i32_e32 v200, s20, v201
	s_delay_alu instid0(VALU_DEP_1) | instskip(SKIP_1) | instid1(VALU_DEP_2)
	v_and_b32_e32 v201, 0x3030303, v200
	v_bfe_u32 v200, v200, 24, 2
	v_lshrrev_b16 v202, 8, v201
	v_lshrrev_b32_e32 v212, 16, v201
	s_set_vgpr_msb 64                       ;  msbs: dst=1 src0=0 src1=0 src2=0
	v_sub_nc_u16 v27 /*v283*/, v201, v203
	s_set_vgpr_msb 0                        ;  msbs: dst=0 src0=0 src1=0 src2=0
	v_bfe_i32 v201, v213, 0, 8
	s_set_vgpr_msb 1                        ;  msbs: dst=0 src0=1 src1=0 src2=0
	v_bfe_i32 v213, v5 /*v261*/, 8, 8
	s_set_vgpr_msb 4                        ;  msbs: dst=0 src0=0 src1=1 src2=0
	v_sub_nc_u16 v200, v200, v25 /*v281*/
	s_set_vgpr_msb 0                        ;  msbs: dst=0 src0=0 src1=0 src2=0
	v_mul_i32_i24_e32 v203, v201, v224
	v_mul_i32_i24_e32 v213, v206, v213
	s_set_vgpr_msb 1                        ;  msbs: dst=0 src0=1 src1=0 src2=0
	v_bfe_i32 v206, v11 /*v267*/, 0, 8
	v_lshlrev_b16 v200, 8, v200
	s_set_vgpr_msb 64                       ;  msbs: dst=1 src0=0 src1=0 src2=0
	s_delay_alu instid0(VALU_DEP_2)
	v_mul_i32_i24_e32 v11 /*v267*/, v207, v206
	s_set_vgpr_msb 0                        ;  msbs: dst=0 src0=0 src1=0 src2=0
	v_perm_b32 v207, v238, v234, 0xc05000c
	v_perm_b32 v234, v235, v235, 0xc0c0c01
	s_set_vgpr_msb 1                        ;  msbs: dst=0 src0=1 src1=0 src2=0
	v_bfe_i32 v238, v21 /*v277*/, 8, 8
	s_set_vgpr_msb 0                        ;  msbs: dst=0 src0=0 src1=0 src2=0
	s_delay_alu instid0(VALU_DEP_2)
	v_or_b32_e32 v207, v207, v234
	s_set_vgpr_msb 0x44                     ;  msbs: dst=1 src0=0 src1=1 src2=0
	v_sub_nc_u16 v26 /*v282*/, v212, v26 /*v282*/
	s_set_vgpr_msb 0                        ;  msbs: dst=0 src0=0 src1=0 src2=0
	v_add_nc_u32_e32 v212, s22, v59
	v_mul_i32_i24_e32 v238, v214, v238
	s_set_vgpr_msb 1                        ;  msbs: dst=0 src0=1 src1=0 src2=0
	v_bfe_i32 v214, v27 /*v283*/, 0, 8
	s_set_vgpr_msb 0x41                     ;  msbs: dst=1 src0=1 src1=0 src2=0
	v_bitop3_b16 v25 /*v281*/, v26 /*v282*/, v200, 0xff bitop3:0xec
	s_set_vgpr_msb 4                        ;  msbs: dst=0 src0=0 src1=1 src2=0
	v_sub_nc_u16 v200, v202, v24 /*v280*/
	v_bfe_i32 v202, v204, 8, 8
	s_set_vgpr_msb 64                       ;  msbs: dst=1 src0=0 src1=0 src2=0
	s_delay_alu instid0(VALU_DEP_2) | instskip(SKIP_1) | instid1(VALU_DEP_2)
	v_lshlrev_b16 v24 /*v280*/, 8, v200
	s_set_vgpr_msb 0                        ;  msbs: dst=0 src0=0 src1=0 src2=0
	v_mad_i32_i24 v204, v202, v225, v203
	v_perm_b32 v203, v0, v205, 0xc0c0500
	s_set_vgpr_msb 1                        ;  msbs: dst=0 src0=1 src1=0 src2=0
	v_bfe_i32 v205, v4 /*v260*/, 0, 8
	s_set_vgpr_msb 0x41                     ;  msbs: dst=1 src0=1 src1=0 src2=0
	v_bfe_i32 v4 /*v260*/, v9 /*v265*/, 8, 8
	s_set_vgpr_msb 0                        ;  msbs: dst=0 src0=0 src1=0 src2=0
	v_add3_u32 v200, s23, v157, v148
	v_dot4_i32_iu8 v0, v203, v245, v204 neg_lo:[1,1,0]
	s_set_vgpr_msb 1                        ;  msbs: dst=0 src0=1 src1=0 src2=0
	v_bfe_i32 v204, v3 /*v259*/, 0, 8
	s_set_vgpr_msb 64                       ;  msbs: dst=1 src0=0 src1=0 src2=0
	v_mul_i32_i24_e32 v3 /*v259*/, v218, v205
	s_set_vgpr_msb 4                        ;  msbs: dst=0 src0=0 src1=1 src2=0
	v_mul_i32_i24_e32 v208, v208, v4 /*v260*/
	ds_load_b32 v200, v200
	s_set_vgpr_msb 0x41                     ;  msbs: dst=1 src0=1 src1=0 src2=0
	v_bfe_i32 v4 /*v260*/, v24 /*v280*/, 8, 8
	s_set_vgpr_msb 0                        ;  msbs: dst=0 src0=0 src1=0 src2=0
	v_mad_i32_i24 v0, v204, v222, v0
	s_set_vgpr_msb 0x44                     ;  msbs: dst=1 src0=0 src1=1 src2=0
	s_delay_alu instid0(VALU_DEP_2) | instskip(SKIP_1) | instid1(VALU_DEP_2)
	v_mul_i32_i24_e32 v4 /*v260*/, v217, v4 /*v260*/
	s_set_vgpr_msb 0                        ;  msbs: dst=0 src0=0 src1=0 src2=0
	v_dot4_i32_iu8 v0, v207, v209, v0 neg_lo:[1,1,0]
	s_set_vgpr_msb 5                        ;  msbs: dst=0 src0=1 src1=1 src2=0
	v_perm_b32 v209, v8 /*v264*/, v6 /*v262*/, 0xc0c0500
	v_perm_b32 v217, v18 /*v274*/, v15 /*v271*/, 0xc05000c
	s_set_vgpr_msb 4                        ;  msbs: dst=0 src0=0 src1=1 src2=0
	v_add3_u32 v0, v0, v3 /*v259*/, v213
	s_set_vgpr_msb 1                        ;  msbs: dst=0 src0=1 src1=0 src2=0
	v_bfe_i32 v213, v20 /*v276*/, 0, 8
	s_set_vgpr_msb 0                        ;  msbs: dst=0 src0=0 src1=0 src2=0
	s_delay_alu instid0(VALU_DEP_2)
	v_dot4_i32_iu8 v0, v210, v209, v0 neg_lo:[1,1,0]
	s_set_vgpr_msb 1                        ;  msbs: dst=0 src0=1 src1=0 src2=0
	v_bfe_i32 v209, v12 /*v268*/, 0, 8
	v_bfe_i32 v210, v13 /*v269*/, 8, 8
	s_set_vgpr_msb 0x45                     ;  msbs: dst=1 src0=1 src1=1 src2=0
	v_perm_b32 v12 /*v268*/, v17 /*v273*/, v17 /*v273*/, 0xc0c0c01
	s_set_vgpr_msb 64                       ;  msbs: dst=1 src0=0 src1=0 src2=0
	v_mul_i32_i24_e32 v3 /*v259*/, v114, v213
	s_set_vgpr_msb 4                        ;  msbs: dst=0 src0=0 src1=1 src2=0
	v_add3_u32 v0, v0, v11 /*v267*/, v208
	s_set_vgpr_msb 5                        ;  msbs: dst=0 src0=1 src1=1 src2=0
	v_perm_b32 v208, v10 /*v266*/, v7 /*v263*/, 0xc0c0500
	s_set_vgpr_msb 64                       ;  msbs: dst=1 src0=0 src1=0 src2=0
	v_mul_i32_i24_e32 v11 /*v267*/, v199, v214
	s_set_vgpr_msb 4                        ;  msbs: dst=0 src0=0 src1=1 src2=0
	v_or_b32_e32 v217, v217, v12 /*v268*/
	s_set_vgpr_msb 0                        ;  msbs: dst=0 src0=0 src1=0 src2=0
	v_dot4_i32_iu8 v0, v211, v208, v0 neg_lo:[1,1,0]
	v_mul_i32_i24_e32 v211, v209, v219
	ds_load_u16 v208, v212
	v_mad_i32_i24 v212, v210, v220, v211
	s_set_vgpr_msb 5                        ;  msbs: dst=0 src0=1 src1=1 src2=0
	v_perm_b32 v211, v16 /*v272*/, v14 /*v270*/, 0xc0c0500
	s_set_vgpr_msb 0                        ;  msbs: dst=0 src0=0 src1=0 src2=0
	s_delay_alu instid0(VALU_DEP_1) | instskip(SKIP_3) | instid1(VALU_DEP_1)
	v_dot4_i32_iu8 v235, v211, v246, v212 neg_lo:[1,1,0]
	s_set_vgpr_msb 1                        ;  msbs: dst=0 src0=1 src1=0 src2=0
	v_bfe_i32 v212, v19 /*v275*/, 0, 8
	s_set_vgpr_msb 0                        ;  msbs: dst=0 src0=0 src1=0 src2=0
	v_mad_i32_i24 v235, v212, v215, v235
	s_wait_dscnt 0x0
	v_lshrrev_b16 v234, 8, v208
	s_delay_alu instid0(VALU_DEP_2)
	v_dot4_i32_iu8 v221, v217, v221, v235 neg_lo:[1,1,0]
	s_set_vgpr_msb 5                        ;  msbs: dst=0 src0=1 src1=1 src2=0
	v_perm_b32 v235, v23 /*v279*/, v22 /*v278*/, 0xc0c0500
	s_set_vgpr_msb 4                        ;  msbs: dst=0 src0=0 src1=1 src2=0
	v_bfe_i32 v208, v208, 0, 8
	v_add3_u32 v221, v221, v3 /*v259*/, v238
	s_set_vgpr_msb 0                        ;  msbs: dst=0 src0=0 src1=0 src2=0
	s_delay_alu instid0(VALU_DEP_2) | instskip(NEXT) | instid1(VALU_DEP_2)
	v_mul_lo_u32 v0, v0, v208
	v_dot4_i32_iu8 v221, v232, v235, v221 neg_lo:[1,1,0]
	s_set_vgpr_msb 5                        ;  msbs: dst=0 src0=1 src1=1 src2=0
	v_perm_b32 v232, v25 /*v281*/, v26 /*v282*/, 0xc0c0500
	s_set_vgpr_msb 20                       ;  msbs: dst=0 src0=0 src1=1 src2=1
	s_delay_alu instid0(VALU_DEP_2) | instskip(SKIP_3) | instid1(VALU_DEP_2)
	v_add3_u32 v221, v221, v11 /*v267*/, v4 /*v260*/
	s_set_vgpr_msb 64                       ;  msbs: dst=1 src0=0 src1=0 src2=0
	v_add3_u32 v11 /*v267*/, s21, v158, v149
	s_set_vgpr_msb 0                        ;  msbs: dst=0 src0=0 src1=0 src2=0
	v_dot4_i32_iu8 v232, v233, v232, v221 neg_lo:[1,1,0]
	v_bfe_i32 v221, v234, 0, 8
	s_set_vgpr_msb 1                        ;  msbs: dst=0 src0=1 src1=0 src2=0
	ds_load_2addr_b32 v[234:235], v11 /*v267*/ offset1:1
	s_set_vgpr_msb 0                        ;  msbs: dst=0 src0=0 src1=0 src2=0
	v_mad_u32 v0, v232, v221, v0
	v_mul_f32_e32 v232, v115, v200
	s_delay_alu instid0(VALU_DEP_2) | instskip(NEXT) | instid1(VALU_DEP_1)
	v_cvt_f32_i32_e32 v0, v0
	v_mul_f32_e32 v238, v232, v0
	v_add_nc_u32_e32 v0, 0x3180, v237
	s_wait_dscnt 0x0
	v_ashrrev_i32_e32 v235, s19, v235
	ds_load_2addr_b32 v[232:233], v0 offset1:1
	v_dual_ashrrev_i32 v234, s19, v234 :: v_dual_lshlrev_b32 v235, 2, v235
	s_delay_alu instid0(VALU_DEP_1) | instskip(NEXT) | instid1(VALU_DEP_2)
	v_lshlrev_b32_e32 v234, 2, v234
	v_and_b32_e32 v235, 0x4040404, v235
	s_delay_alu instid0(VALU_DEP_2) | instskip(SKIP_1) | instid1(VALU_DEP_2)
	v_and_b32_e32 v234, 0x4040404, v234
	s_set_vgpr_msb 64                       ;  msbs: dst=1 src0=0 src1=0 src2=0
	v_dual_lshrrev_b32 v15 /*v271*/, 24, v235 :: v_dual_lshrrev_b32 v16 /*v272*/, 16, v235
	s_delay_alu instid0(VALU_DEP_2) | instskip(SKIP_4) | instid1(VALU_DEP_1)
	v_dual_lshrrev_b32 v13 /*v269*/, 24, v234 :: v_dual_lshrrev_b32 v14 /*v270*/, 16, v234
	v_lshrrev_b16 v12 /*v268*/, 8, v234
	s_wait_dscnt 0x0
	s_set_vgpr_msb 0                        ;  msbs: dst=0 src0=0 src1=0 src2=0
	v_ashrrev_i32_e32 v0, s20, v232
	v_and_b32_e32 v232, 0x3030303, v0
	v_bfe_u32 v0, v0, 24, 2
	s_set_vgpr_msb 64                       ;  msbs: dst=1 src0=0 src1=0 src2=0
	s_delay_alu instid0(VALU_DEP_2) | instskip(SKIP_1) | instid1(VALU_DEP_2)
	v_lshrrev_b32_e32 v4 /*v260*/, 16, v232
	s_set_vgpr_msb 4                        ;  msbs: dst=0 src0=0 src1=1 src2=0
	v_sub_nc_u16 v0, v0, v13 /*v269*/
	s_set_vgpr_msb 64                       ;  msbs: dst=1 src0=0 src1=0 src2=0
	v_lshrrev_b16 v3 /*v259*/, 8, v232
	s_set_vgpr_msb 0x45                     ;  msbs: dst=1 src0=1 src1=1 src2=0
	v_sub_nc_u16 v4 /*v260*/, v4 /*v260*/, v14 /*v270*/
	s_set_vgpr_msb 0                        ;  msbs: dst=0 src0=0 src1=0 src2=0
	v_lshlrev_b16 v0, 8, v0
	s_set_vgpr_msb 64                       ;  msbs: dst=1 src0=0 src1=0 src2=0
	v_sub_nc_u16 v14 /*v270*/, v232, v234
	s_set_vgpr_msb 0x41                     ;  msbs: dst=1 src0=1 src1=0 src2=0
	s_delay_alu instid0(VALU_DEP_2)
	v_bitop3_b16 v13 /*v269*/, v4 /*v260*/, v0, 0xff bitop3:0xec
	s_set_vgpr_msb 5                        ;  msbs: dst=0 src0=1 src1=1 src2=0
	v_sub_nc_u16 v0, v3 /*v259*/, v12 /*v268*/
	s_set_vgpr_msb 0x41                     ;  msbs: dst=1 src0=1 src1=0 src2=0
	v_lshrrev_b16 v12 /*v268*/, 8, v235
	v_bfe_i32 v14 /*v270*/, v14 /*v270*/, 0, 8
	s_set_vgpr_msb 0x45                     ;  msbs: dst=1 src0=1 src1=1 src2=0
	v_perm_b32 v4 /*v260*/, v13 /*v269*/, v4 /*v260*/, 0xc0c0500
	s_set_vgpr_msb 64                       ;  msbs: dst=1 src0=0 src1=0 src2=0
	v_lshlrev_b16 v3 /*v259*/, 8, v0
	s_set_vgpr_msb 0                        ;  msbs: dst=0 src0=0 src1=0 src2=0
	v_ashrrev_i32_e32 v0, s20, v233
	s_set_vgpr_msb 4                        ;  msbs: dst=0 src0=0 src1=1 src2=0
	v_mul_i32_i24_e32 v224, v224, v14 /*v270*/
	s_set_vgpr_msb 0x41                     ;  msbs: dst=1 src0=1 src1=0 src2=0
	v_bfe_i32 v3 /*v259*/, v3 /*v259*/, 8, 8
	s_set_vgpr_msb 0                        ;  msbs: dst=0 src0=0 src1=0 src2=0
	v_and_b32_e32 v232, 0x3030303, v0
	v_bfe_u32 v0, v0, 24, 2
	s_set_vgpr_msb 4                        ;  msbs: dst=0 src0=0 src1=1 src2=0
	v_mad_i32_i24 v224, v225, v3 /*v259*/, v224
	s_set_vgpr_msb 0                        ;  msbs: dst=0 src0=0 src1=0 src2=0
	v_lshrrev_b32_e32 v234, 16, v232
	s_set_vgpr_msb 4                        ;  msbs: dst=0 src0=0 src1=1 src2=0
	v_sub_nc_u16 v0, v0, v15 /*v271*/
	s_set_vgpr_msb 0                        ;  msbs: dst=0 src0=0 src1=0 src2=0
	v_lshrrev_b16 v233, 8, v232
	s_set_vgpr_msb 64                       ;  msbs: dst=1 src0=0 src1=0 src2=0
	v_sub_nc_u16 v17 /*v273*/, v232, v235
	s_set_vgpr_msb 4                        ;  msbs: dst=0 src0=0 src1=1 src2=0
	v_dot4_i32_iu8 v224, v245, v4 /*v260*/, v224 neg_lo:[1,1,0]
	s_set_vgpr_msb 0x44                     ;  msbs: dst=1 src0=0 src1=1 src2=0
	v_sub_nc_u16 v16 /*v272*/, v234, v16 /*v272*/
	s_set_vgpr_msb 1                        ;  msbs: dst=0 src0=1 src1=0 src2=0
	v_lshlrev_b16 v0, 8, v0
	ds_load_2addr_b32 v[234:235], v11 /*v267*/ offset0:2 offset1:3
	v_bfe_i32 v245, v17 /*v273*/, 0, 8
	s_set_vgpr_msb 0x41                     ;  msbs: dst=1 src0=1 src1=0 src2=0
	v_bitop3_b16 v15 /*v271*/, v16 /*v272*/, v0, 0xff bitop3:0xec
	s_set_vgpr_msb 4                        ;  msbs: dst=0 src0=0 src1=1 src2=0
	v_sub_nc_u16 v0, v233, v12 /*v268*/
	s_set_vgpr_msb 0                        ;  msbs: dst=0 src0=0 src1=0 src2=0
	v_mul_i32_i24_e32 v222, v222, v245
	s_set_vgpr_msb 64                       ;  msbs: dst=1 src0=0 src1=0 src2=0
	s_delay_alu instid0(VALU_DEP_2) | instskip(SKIP_2) | instid1(VALU_DEP_2)
	v_lshlrev_b16 v12 /*v268*/, 8, v0
	s_set_vgpr_msb 1                        ;  msbs: dst=0 src0=1 src1=0 src2=0
	v_add_nc_u32_e32 v0, 0x3188, v237
	v_bfe_i32 v225, v12 /*v268*/, 8, 8
	s_set_vgpr_msb 0                        ;  msbs: dst=0 src0=0 src1=0 src2=0
	ds_load_2addr_b32 v[232:233], v0 offset1:1
	s_wait_dscnt 0x1
	v_dual_ashrrev_i32 v234, s19, v234 :: v_dual_ashrrev_i32 v235, s19, v235
	v_mul_i32_i24_e32 v223, v223, v225
	s_delay_alu instid0(VALU_DEP_2) | instskip(NEXT) | instid1(VALU_DEP_2)
	v_dual_lshlrev_b32 v234, 2, v234 :: v_dual_lshlrev_b32 v235, 2, v235
	v_add3_u32 v222, v224, v222, v223
	s_set_vgpr_msb 5                        ;  msbs: dst=0 src0=1 src1=1 src2=0
	v_perm_b32 v223, v15 /*v271*/, v16 /*v272*/, 0xc0c0500
	s_set_vgpr_msb 0                        ;  msbs: dst=0 src0=0 src1=0 src2=0
	v_and_b32_e32 v234, 0x4040404, v234
	v_and_b32_e32 v235, 0x4040404, v235
	s_delay_alu instid0(VALU_DEP_3) | instskip(SKIP_1) | instid1(VALU_DEP_3)
	v_dot4_i32_iu8 v1, v1, v223, v222 neg_lo:[1,1,0]
	s_set_vgpr_msb 64                       ;  msbs: dst=1 src0=0 src1=0 src2=0
	v_lshrrev_b32_e32 v27 /*v283*/, 24, v234
	s_wait_dscnt 0x0
	s_set_vgpr_msb 0                        ;  msbs: dst=0 src0=0 src1=0 src2=0
	v_ashrrev_i32_e32 v0, s20, v232
	s_set_vgpr_msb 64                       ;  msbs: dst=1 src0=0 src1=0 src2=0
	v_dual_lshrrev_b32 v28 /*v284*/, 16, v234 :: v_dual_lshrrev_b32 v29 /*v285*/, 16, v235
	v_lshrrev_b16 v20 /*v276*/, 8, v234
	v_lshrrev_b16 v30 /*v286*/, 8, v235
	s_set_vgpr_msb 0                        ;  msbs: dst=0 src0=0 src1=0 src2=0
	v_and_b32_e32 v232, 0x3030303, v0
	v_bfe_u32 v0, v0, 24, 2
	s_set_vgpr_msb 64                       ;  msbs: dst=1 src0=0 src1=0 src2=0
	s_delay_alu instid0(VALU_DEP_2) | instskip(SKIP_1) | instid1(VALU_DEP_2)
	v_lshrrev_b32_e32 v19 /*v275*/, 16, v232
	s_set_vgpr_msb 4                        ;  msbs: dst=0 src0=0 src1=1 src2=0
	v_sub_nc_u16 v0, v0, v27 /*v283*/
	s_set_vgpr_msb 64                       ;  msbs: dst=1 src0=0 src1=0 src2=0
	v_lshrrev_b16 v18 /*v274*/, 8, v232
	s_set_vgpr_msb 0x45                     ;  msbs: dst=1 src0=1 src1=1 src2=0
	v_sub_nc_u16 v19 /*v275*/, v19 /*v275*/, v28 /*v284*/
	s_set_vgpr_msb 0                        ;  msbs: dst=0 src0=0 src1=0 src2=0
	v_lshlrev_b16 v0, 8, v0
	s_set_vgpr_msb 0x41                     ;  msbs: dst=1 src0=1 src1=0 src2=0
	v_lshrrev_b32_e32 v28 /*v284*/, 24, v235
	s_delay_alu instid0(VALU_DEP_2) | instskip(SKIP_4) | instid1(VALU_DEP_2)
	v_bitop3_b16 v27 /*v283*/, v19 /*v275*/, v0, 0xff bitop3:0xec
	s_set_vgpr_msb 5                        ;  msbs: dst=0 src0=1 src1=1 src2=0
	v_sub_nc_u16 v0, v18 /*v274*/, v20 /*v276*/
	s_set_vgpr_msb 64                       ;  msbs: dst=1 src0=0 src1=0 src2=0
	v_sub_nc_u16 v20 /*v276*/, v232, v234
	v_lshlrev_b16 v18 /*v274*/, 8, v0
	s_set_vgpr_msb 0                        ;  msbs: dst=0 src0=0 src1=0 src2=0
	v_ashrrev_i32_e32 v0, s20, v233
	s_set_vgpr_msb 0x41                     ;  msbs: dst=1 src0=1 src1=0 src2=0
	v_bfe_i32 v13 /*v269*/, v20 /*v276*/, 0, 8
	s_set_vgpr_msb 0                        ;  msbs: dst=0 src0=0 src1=0 src2=0
	s_delay_alu instid0(VALU_DEP_2) | instskip(SKIP_3) | instid1(VALU_DEP_2)
	v_bfe_u32 v232, v0, 24, 2
	v_and_b32_e32 v0, 0x3030303, v0
	s_set_vgpr_msb 1                        ;  msbs: dst=0 src0=1 src1=0 src2=0
	v_mad_i32_i24 v1, v13 /*v269*/, v218, v1
	v_lshrrev_b16 v234, 8, v0
	v_lshrrev_b32_e32 v233, 16, v0
	s_set_vgpr_msb 64                       ;  msbs: dst=1 src0=0 src1=0 src2=0
	v_sub_nc_u16 v31 /*v287*/, v0, v235
	s_set_vgpr_msb 4                        ;  msbs: dst=0 src0=0 src1=1 src2=0
	v_sub_nc_u16 v0, v234, v30 /*v286*/
	s_set_vgpr_msb 0x44                     ;  msbs: dst=1 src0=0 src1=1 src2=0
	v_sub_nc_u16 v29 /*v285*/, v233, v29 /*v285*/
	s_set_vgpr_msb 1                        ;  msbs: dst=0 src0=1 src1=0 src2=0
	ds_load_2addr_b32 v[234:235], v11 /*v267*/ offset0:4 offset1:5
	v_lshlrev_b16 v0, 8, v0
	s_set_vgpr_msb 0x41                     ;  msbs: dst=1 src0=1 src1=0 src2=0
	s_delay_alu instid0(VALU_DEP_1) | instskip(SKIP_3) | instid1(VALU_DEP_1)
	v_bitop3_b16 v30 /*v286*/, v31 /*v287*/, v0, 0xff bitop3:0xec
	s_set_vgpr_msb 4                        ;  msbs: dst=0 src0=0 src1=1 src2=0
	v_sub_nc_u16 v0, v232, v28 /*v284*/
	s_set_vgpr_msb 0                        ;  msbs: dst=0 src0=0 src1=0 src2=0
	v_lshlrev_b16 v0, 8, v0
	s_set_vgpr_msb 0x41                     ;  msbs: dst=1 src0=1 src1=0 src2=0
	s_delay_alu instid0(VALU_DEP_1)
	v_bitop3_b16 v28 /*v284*/, v29 /*v285*/, v0, 0xff bitop3:0xec
	s_set_vgpr_msb 0                        ;  msbs: dst=0 src0=0 src1=0 src2=0
	v_add_nc_u32_e32 v0, 0x3190, v237
	s_wait_dscnt 0x0
	v_dual_ashrrev_i32 v234, s19, v234 :: v_dual_ashrrev_i32 v235, s19, v235
	ds_load_2addr_b32 v[232:233], v0 offset1:1
	v_dual_lshlrev_b32 v234, 2, v234 :: v_dual_lshlrev_b32 v235, 2, v235
	s_delay_alu instid0(VALU_DEP_1) | instskip(NEXT) | instid1(VALU_DEP_2)
	v_and_b32_e32 v234, 0x4040404, v234
	v_and_b32_e32 v235, 0x4040404, v235
	s_set_vgpr_msb 64                       ;  msbs: dst=1 src0=0 src1=0 src2=0
	s_delay_alu instid0(VALU_DEP_2) | instskip(SKIP_1) | instid1(VALU_DEP_3)
	v_dual_lshrrev_b32 v35 /*v291*/, 24, v234 :: v_dual_lshrrev_b32 v36 /*v292*/, 16, v234
	v_lshrrev_b16 v34 /*v290*/, 8, v234
	v_dual_lshrrev_b32 v37 /*v293*/, 24, v235 :: v_dual_lshrrev_b32 v38 /*v294*/, 16, v235
	s_wait_dscnt 0x0
	s_set_vgpr_msb 0                        ;  msbs: dst=0 src0=0 src1=0 src2=0
	v_ashrrev_i32_e32 v0, s20, v232
	s_delay_alu instid0(VALU_DEP_1) | instskip(SKIP_2) | instid1(VALU_DEP_2)
	v_and_b32_e32 v232, 0x3030303, v0
	v_bfe_u32 v0, v0, 24, 2
	s_set_vgpr_msb 64                       ;  msbs: dst=1 src0=0 src1=0 src2=0
	v_lshrrev_b32_e32 v33 /*v289*/, 16, v232
	s_set_vgpr_msb 4                        ;  msbs: dst=0 src0=0 src1=1 src2=0
	s_delay_alu instid0(VALU_DEP_2)
	v_sub_nc_u16 v0, v0, v35 /*v291*/
	s_set_vgpr_msb 64                       ;  msbs: dst=1 src0=0 src1=0 src2=0
	v_lshrrev_b16 v32 /*v288*/, 8, v232
	s_set_vgpr_msb 0x45                     ;  msbs: dst=1 src0=1 src1=1 src2=0
	v_sub_nc_u16 v33 /*v289*/, v33 /*v289*/, v36 /*v292*/
	s_set_vgpr_msb 0                        ;  msbs: dst=0 src0=0 src1=0 src2=0
	v_lshlrev_b16 v0, 8, v0
	s_set_vgpr_msb 64                       ;  msbs: dst=1 src0=0 src1=0 src2=0
	v_sub_nc_u16 v36 /*v292*/, v232, v234
	s_set_vgpr_msb 0x41                     ;  msbs: dst=1 src0=1 src1=0 src2=0
	s_delay_alu instid0(VALU_DEP_2)
	v_bitop3_b16 v35 /*v291*/, v33 /*v289*/, v0, 0xff bitop3:0xec
	s_set_vgpr_msb 5                        ;  msbs: dst=0 src0=1 src1=1 src2=0
	v_sub_nc_u16 v0, v32 /*v288*/, v34 /*v290*/
	s_set_vgpr_msb 0x41                     ;  msbs: dst=1 src0=1 src1=0 src2=0
	v_lshrrev_b16 v34 /*v290*/, 8, v235
	v_bfe_i32 v20 /*v276*/, v36 /*v292*/, 0, 8
	s_delay_alu instid0(VALU_DEP_3)
	v_lshlrev_b16 v32 /*v288*/, 8, v0
	s_set_vgpr_msb 0                        ;  msbs: dst=0 src0=0 src1=0 src2=0
	v_ashrrev_i32_e32 v0, s20, v233
	s_set_vgpr_msb 4                        ;  msbs: dst=0 src0=0 src1=1 src2=0
	v_mul_i32_i24_e32 v218, v219, v20 /*v276*/
	s_set_vgpr_msb 0x41                     ;  msbs: dst=1 src0=1 src1=0 src2=0
	v_bfe_i32 v17 /*v273*/, v32 /*v288*/, 8, 8
	s_set_vgpr_msb 0                        ;  msbs: dst=0 src0=0 src1=0 src2=0
	v_and_b32_e32 v232, 0x3030303, v0
	s_set_vgpr_msb 4                        ;  msbs: dst=0 src0=0 src1=1 src2=0
	s_delay_alu instid0(VALU_DEP_2) | instskip(SKIP_1) | instid1(VALU_DEP_2)
	v_mad_i32_i24 v218, v220, v17 /*v273*/, v218
	s_set_vgpr_msb 0                        ;  msbs: dst=0 src0=0 src1=0 src2=0
	v_lshrrev_b32_e32 v234, 16, v232
	v_bfe_u32 v0, v0, 24, 2
	v_lshrrev_b16 v233, 8, v232
	s_set_vgpr_msb 64                       ;  msbs: dst=1 src0=0 src1=0 src2=0
	v_sub_nc_u16 v39 /*v295*/, v232, v235
	s_set_vgpr_msb 5                        ;  msbs: dst=0 src0=1 src1=1 src2=0
	v_perm_b32 v220, v35 /*v291*/, v33 /*v289*/, 0xc0c0500
	s_set_vgpr_msb 0x44                     ;  msbs: dst=1 src0=0 src1=1 src2=0
	v_sub_nc_u16 v38 /*v294*/, v234, v38 /*v294*/
	s_set_vgpr_msb 4                        ;  msbs: dst=0 src0=0 src1=1 src2=0
	v_sub_nc_u16 v0, v0, v37 /*v293*/
	s_set_vgpr_msb 1                        ;  msbs: dst=0 src0=1 src1=0 src2=0
	ds_load_2addr_b32 v[234:235], v11 /*v267*/ offset0:6 offset1:7
	s_set_vgpr_msb 0                        ;  msbs: dst=0 src0=0 src1=0 src2=0
	v_dot4_i32_iu8 v218, v246, v220, v218 neg_lo:[1,1,0]
	s_set_vgpr_msb 1                        ;  msbs: dst=0 src0=1 src1=0 src2=0
	v_bfe_i32 v246, v39 /*v295*/, 0, 8
	v_lshlrev_b16 v0, 8, v0
	s_set_vgpr_msb 0                        ;  msbs: dst=0 src0=0 src1=0 src2=0
	s_delay_alu instid0(VALU_DEP_2) | instskip(SKIP_1) | instid1(VALU_DEP_2)
	v_mul_i32_i24_e32 v215, v215, v246
	s_set_vgpr_msb 0x41                     ;  msbs: dst=1 src0=1 src1=0 src2=0
	v_bitop3_b16 v37 /*v293*/, v38 /*v294*/, v0, 0xff bitop3:0xec
	s_set_vgpr_msb 4                        ;  msbs: dst=0 src0=0 src1=1 src2=0
	v_sub_nc_u16 v0, v233, v34 /*v290*/
	s_set_vgpr_msb 64                       ;  msbs: dst=1 src0=0 src1=0 src2=0
	s_delay_alu instid0(VALU_DEP_1)
	v_lshlrev_b16 v34 /*v290*/, 8, v0
	s_set_vgpr_msb 0                        ;  msbs: dst=0 src0=0 src1=0 src2=0
	v_add_nc_u32_e32 v0, 0x3198, v237
	s_wait_dscnt 0x0
	v_ashrrev_i32_e32 v234, s19, v234
	ds_load_2addr_b32 v[232:233], v0 offset1:1
	v_ashrrev_i32_e32 v235, s19, v235
	s_set_vgpr_msb 1                        ;  msbs: dst=0 src0=1 src1=0 src2=0
	v_bfe_i32 v219, v34 /*v290*/, 8, 8
	s_delay_alu instid0(VALU_DEP_2) | instskip(SKIP_1) | instid1(VALU_DEP_2)
	v_dual_lshlrev_b32 v234, 2, v234 :: v_dual_lshlrev_b32 v235, 2, v235
	s_set_vgpr_msb 0                        ;  msbs: dst=0 src0=0 src1=0 src2=0
	v_mul_i32_i24_e32 v216, v216, v219
	s_delay_alu instid0(VALU_DEP_2) | instskip(NEXT) | instid1(VALU_DEP_3)
	v_and_b32_e32 v234, 0x4040404, v234
	v_and_b32_e32 v235, 0x4040404, v235
	s_delay_alu instid0(VALU_DEP_3)
	v_add3_u32 v215, v218, v215, v216
	s_set_vgpr_msb 5                        ;  msbs: dst=0 src0=1 src1=1 src2=0
	v_perm_b32 v216, v37 /*v293*/, v38 /*v294*/, 0xc0c0500
	s_set_vgpr_msb 64                       ;  msbs: dst=1 src0=0 src1=0 src2=0
	v_dual_lshrrev_b32 v41 /*v297*/, 24, v234 :: v_dual_lshrrev_b32 v42 /*v298*/, 16, v234
	v_lshrrev_b32_e32 v43 /*v299*/, 24, v235
	v_lshrrev_b16 v11 /*v267*/, 8, v234
	v_lshrrev_b32_e32 v44 /*v300*/, 16, v235
	s_set_vgpr_msb 0                        ;  msbs: dst=0 src0=0 src1=0 src2=0
	v_dot4_i32_iu8 v5, v5, v216, v215 neg_lo:[1,1,0]
	s_wait_dscnt 0x0
	v_ashrrev_i32_e32 v0, s20, v232
	s_delay_alu instid0(VALU_DEP_1) | instskip(SKIP_2) | instid1(VALU_DEP_2)
	v_and_b32_e32 v232, 0x3030303, v0
	v_bfe_u32 v0, v0, 24, 2
	s_set_vgpr_msb 64                       ;  msbs: dst=1 src0=0 src1=0 src2=0
	v_lshrrev_b32_e32 v40 /*v296*/, 16, v232
	s_set_vgpr_msb 0                        ;  msbs: dst=0 src0=0 src1=0 src2=0
	v_lshrrev_b16 v237, 8, v232
	v_sub_nc_u16 v232, v232, v234
	s_set_vgpr_msb 4                        ;  msbs: dst=0 src0=0 src1=1 src2=0
	v_sub_nc_u16 v0, v0, v41 /*v297*/
	s_set_vgpr_msb 0x45                     ;  msbs: dst=1 src0=1 src1=1 src2=0
	v_sub_nc_u16 v40 /*v296*/, v40 /*v296*/, v42 /*v298*/
	s_set_vgpr_msb 64                       ;  msbs: dst=1 src0=0 src1=0 src2=0
	v_lshrrev_b16 v42 /*v298*/, 8, v235
	v_bfe_i32 v32 /*v288*/, v232, 0, 8
	s_set_vgpr_msb 1                        ;  msbs: dst=0 src0=1 src1=0 src2=0
	v_lshlrev_b16 v0, 8, v0
	s_delay_alu instid0(VALU_DEP_2) | instskip(SKIP_1) | instid1(VALU_DEP_2)
	v_mad_i32_i24 v215, v32 /*v288*/, v114, v5
	s_set_vgpr_msb 0x41                     ;  msbs: dst=1 src0=1 src1=0 src2=0
	v_bitop3_b16 v41 /*v297*/, v40 /*v296*/, v0, 0xff bitop3:0xec
	s_set_vgpr_msb 4                        ;  msbs: dst=0 src0=0 src1=1 src2=0
	v_sub_nc_u16 v0, v237, v11 /*v267*/
	s_set_vgpr_msb 0                        ;  msbs: dst=0 src0=0 src1=0 src2=0
	v_or_b32_e32 v5, s18, v138
	s_set_vgpr_msb 64                       ;  msbs: dst=1 src0=0 src1=0 src2=0
	s_delay_alu instid0(VALU_DEP_2) | instskip(SKIP_3) | instid1(VALU_DEP_2)
	v_lshlrev_b16 v11 /*v267*/, 8, v0
	s_set_vgpr_msb 0                        ;  msbs: dst=0 src0=0 src1=0 src2=0
	v_ashrrev_i32_e32 v0, s20, v233
	v_dual_lshlrev_b32 v216, 2, v5 :: v_dual_lshrrev_b32 v5, 1, v5
	v_and_b32_e32 v233, 0x3030303, v0
	v_bfe_u32 v0, v0, 24, 2
	s_delay_alu instid0(VALU_DEP_2) | instskip(SKIP_1) | instid1(VALU_DEP_2)
	v_lshrrev_b32_e32 v237, 16, v233
	s_set_vgpr_msb 4                        ;  msbs: dst=0 src0=0 src1=1 src2=0
	v_sub_nc_u16 v0, v0, v43 /*v299*/
	s_set_vgpr_msb 0                        ;  msbs: dst=0 src0=0 src1=0 src2=0
	v_lshrrev_b16 v234, 8, v233
	s_set_vgpr_msb 64                       ;  msbs: dst=1 src0=0 src1=0 src2=0
	v_sub_nc_u16 v45 /*v301*/, v233, v235
	s_set_vgpr_msb 0x44                     ;  msbs: dst=1 src0=0 src1=1 src2=0
	v_sub_nc_u16 v44 /*v300*/, v237, v44 /*v300*/
	s_set_vgpr_msb 0                        ;  msbs: dst=0 src0=0 src1=0 src2=0
	v_lshlrev_b16 v0, 8, v0
	v_perm_b32 v237, v244, v244, 0xc0c0c01
	s_set_vgpr_msb 0x41                     ;  msbs: dst=1 src0=1 src1=0 src2=0
	s_delay_alu instid0(VALU_DEP_2) | instskip(SKIP_3) | instid1(VALU_DEP_1)
	v_bitop3_b16 v43 /*v299*/, v44 /*v300*/, v0, 0xff bitop3:0xec
	s_set_vgpr_msb 4                        ;  msbs: dst=0 src0=0 src1=1 src2=0
	v_sub_nc_u16 v0, v234, v42 /*v298*/
	s_set_vgpr_msb 64                       ;  msbs: dst=1 src0=0 src1=0 src2=0
	v_lshlrev_b16 v42 /*v298*/, 8, v0
	s_set_vgpr_msb 0                        ;  msbs: dst=0 src0=0 src1=0 src2=0
	v_add3_u32 v0, s23, v159, v150
	ds_load_b32 v0, v0
	ds_load_b32 v114, v5 offset:38816
	ds_load_b128 v[222:225], v216 offset:25344
	ds_load_b128 v[232:235], v216 offset:25360
	s_wait_dscnt 0x1
	v_bfe_i32 v216, v222, 0, 8
	v_bfe_i32 v218, v222, 8, 8
	v_perm_b32 v222, v222, v222, 0xc0c0302
	v_bfe_i32 v219, v223, 0, 8
	v_perm_b32 v223, v223, v223, 0xc030201
	s_set_vgpr_msb 64                       ;  msbs: dst=1 src0=0 src1=0 src2=0
	v_bfe_i32 v33 /*v289*/, v224, 0, 8
	v_perm_b32 v50 /*v306*/, v224, v224, 0xc030201
	v_bfe_i32 v35 /*v291*/, v225, 0, 8
	s_set_vgpr_msb 0                        ;  msbs: dst=0 src0=0 src1=0 src2=0
	v_perm_b32 v226, v225, v225, 0xc030201
	s_wait_dscnt 0x0
	s_set_vgpr_msb 64                       ;  msbs: dst=1 src0=0 src1=0 src2=0
	v_bfe_i32 v36 /*v292*/, v232, 0, 8
	v_bfe_i32 v39 /*v295*/, v232, 8, 8
	s_set_vgpr_msb 0                        ;  msbs: dst=0 src0=0 src1=0 src2=0
	v_perm_b32 v230, v232, v232, 0xc0c0302
	s_set_vgpr_msb 64                       ;  msbs: dst=1 src0=0 src1=0 src2=0
	v_bfe_i32 v47 /*v303*/, v233, 0, 8
	s_set_vgpr_msb 0                        ;  msbs: dst=0 src0=0 src1=0 src2=0
	v_perm_b32 v231, v233, v233, 0xc030201
	s_set_vgpr_msb 64                       ;  msbs: dst=1 src0=0 src1=0 src2=0
	v_bfe_i32 v48 /*v304*/, v234, 0, 8
	s_set_vgpr_msb 0                        ;  msbs: dst=0 src0=0 src1=0 src2=0
	v_perm_b32 v232, v234, v234, 0xc030201
	v_perm_b32 v233, v240, v239, 0xc05000c
	;; [unrolled: 1-line block ×3, first 2 shown]
	s_set_vgpr_msb 64                       ;  msbs: dst=1 src0=0 src1=0 src2=0
	v_bfe_i32 v49 /*v305*/, v235, 0, 8
	s_set_vgpr_msb 5                        ;  msbs: dst=0 src0=1 src1=1 src2=0
	v_perm_b32 v239, v21 /*v277*/, v21 /*v277*/, 0xc0c0c01
	s_set_vgpr_msb 0                        ;  msbs: dst=0 src0=0 src1=0 src2=0
	v_mul_i32_i24_e32 v5, v216, v166
	s_set_vgpr_msb 1                        ;  msbs: dst=0 src0=1 src1=0 src2=0
	v_mul_i32_i24_e32 v227, v36 /*v292*/, v174
	s_set_vgpr_msb 0                        ;  msbs: dst=0 src0=0 src1=0 src2=0
	v_or_b32_e32 v233, v233, v234
	v_perm_b32 v234, v235, v235, 0xc030201
	v_perm_b32 v235, v243, v242, 0xc05000c
	v_mad_i32_i24 v5, v218, v167, v5
	s_set_vgpr_msb 1                        ;  msbs: dst=0 src0=1 src1=0 src2=0
	v_mad_i32_i24 v227, v39 /*v295*/, v175, v227
	s_set_vgpr_msb 0                        ;  msbs: dst=0 src0=0 src1=0 src2=0
	v_or_b32_e32 v235, v235, v237
	v_perm_b32 v237, v255, v255, 0xc0c0c01
	v_dot4_i32_iu8 v5, v222, v168, v5 neg_lo:[1,1,0]
	v_dot4_i32_iu8 v227, v230, v176, v227 neg_lo:[1,1,0]
	s_delay_alu instid0(VALU_DEP_2) | instskip(SKIP_1) | instid1(VALU_DEP_2)
	v_mad_i32_i24 v5, v219, v170, v5
	s_set_vgpr_msb 1                        ;  msbs: dst=0 src0=1 src1=0 src2=0
	v_mad_i32_i24 v227, v47 /*v303*/, v178, v227
	s_set_vgpr_msb 0                        ;  msbs: dst=0 src0=0 src1=0 src2=0
	s_delay_alu instid0(VALU_DEP_2) | instskip(NEXT) | instid1(VALU_DEP_2)
	v_dot4_i32_iu8 v5, v223, v172, v5 neg_lo:[1,1,0]
	v_dot4_i32_iu8 v227, v231, v180, v227 neg_lo:[1,1,0]
	s_set_vgpr_msb 4                        ;  msbs: dst=0 src0=0 src1=1 src2=0
	s_delay_alu instid0(VALU_DEP_2) | instskip(NEXT) | instid1(VALU_DEP_2)
	v_mad_i32_i24 v5, v169, v33 /*v289*/, v5
	v_mad_i32_i24 v227, v177, v48 /*v304*/, v227
	s_delay_alu instid0(VALU_DEP_2) | instskip(SKIP_1) | instid1(VALU_DEP_2)
	v_dot4_i32_iu8 v5, v228, v50 /*v306*/, v5 neg_lo:[1,1,0]
	s_set_vgpr_msb 0                        ;  msbs: dst=0 src0=0 src1=0 src2=0
	v_dot4_i32_iu8 v227, v233, v232, v227 neg_lo:[1,1,0]
	s_set_vgpr_msb 4                        ;  msbs: dst=0 src0=0 src1=1 src2=0
	s_delay_alu instid0(VALU_DEP_2) | instskip(NEXT) | instid1(VALU_DEP_2)
	v_mad_i32_i24 v5, v171, v35 /*v291*/, v5
	v_mad_i32_i24 v227, v179, v49 /*v305*/, v227
	s_set_vgpr_msb 0                        ;  msbs: dst=0 src0=0 src1=0 src2=0
	s_delay_alu instid0(VALU_DEP_2) | instskip(NEXT) | instid1(VALU_DEP_2)
	v_dot4_i32_iu8 v5, v229, v226, v5 neg_lo:[1,1,0]
	v_dot4_i32_iu8 v227, v235, v234, v227 neg_lo:[1,1,0]
	s_delay_alu instid0(VALU_DEP_2) | instskip(NEXT) | instid1(VALU_DEP_1)
	v_mul_lo_u32 v5, v5, v173
	v_mad_u32 v5, v227, v181, v5
	v_mul_f32_e32 v227, v165, v114
	s_delay_alu instid0(VALU_DEP_2) | instskip(NEXT) | instid1(VALU_DEP_1)
	v_cvt_f32_i32_e32 v5, v5
	v_mul_f32_e32 v5, v227, v5
	v_perm_b32 v227, v249, v249, 0xc0c0c01
	s_delay_alu instid0(VALU_DEP_2) | instskip(SKIP_2) | instid1(VALU_DEP_2)
	v_pk_add_f32 v[46:47], v[46:47], v[4:5]
	v_mul_i32_i24_e32 v4, v216, v183
	v_perm_b32 v5, v248, v247, 0xc05000c
	v_mad_i32_i24 v4, v218, v184, v4
	s_delay_alu instid0(VALU_DEP_2) | instskip(SKIP_2) | instid1(VALU_DEP_4)
	v_or_b32_e32 v240, v5, v227
	v_perm_b32 v5, v251, v250, 0xc05000c
	v_perm_b32 v227, v252, v252, 0xc0c0c01
	v_dot4_i32_iu8 v4, v222, v185, v4 neg_lo:[1,1,0]
	s_delay_alu instid0(VALU_DEP_2)
	v_or_b32_e32 v241, v5, v227
	s_set_vgpr_msb 1                        ;  msbs: dst=0 src0=1 src1=0 src2=0
	v_mul_i32_i24_e32 v5, v36 /*v292*/, v191
	s_set_vgpr_msb 0                        ;  msbs: dst=0 src0=0 src1=0 src2=0
	v_perm_b32 v227, v254, v253, 0xc05000c
	v_mad_i32_i24 v4, v219, v186, v4
	s_set_vgpr_msb 1                        ;  msbs: dst=0 src0=1 src1=0 src2=0
	v_mad_i32_i24 v5, v39 /*v295*/, v192, v5
	s_set_vgpr_msb 0                        ;  msbs: dst=0 src0=0 src1=0 src2=0
	v_or_b32_e32 v242, v227, v237
	s_set_vgpr_msb 5                        ;  msbs: dst=0 src0=1 src1=1 src2=0
	v_perm_b32 v227, v1 /*v257*/, v0 /*v256*/, 0xc05000c
	v_perm_b32 v237, v2 /*v258*/, v2 /*v258*/, 0xc0c0c01
	s_set_vgpr_msb 0                        ;  msbs: dst=0 src0=0 src1=0 src2=0
	v_dot4_i32_iu8 v4, v223, v189, v4 neg_lo:[1,1,0]
	v_dot4_i32_iu8 v5, v230, v193, v5 neg_lo:[1,1,0]
	s_delay_alu instid0(VALU_DEP_3)
	v_or_b32_e32 v243, v227, v237
	s_set_vgpr_msb 5                        ;  msbs: dst=0 src0=1 src1=1 src2=0
	v_perm_b32 v227, v5 /*v261*/, v5 /*v261*/, 0xc0c0c01
	s_set_vgpr_msb 4                        ;  msbs: dst=0 src0=0 src1=1 src2=0
	v_mad_i32_i24 v4, v187, v33 /*v289*/, v4
	s_set_vgpr_msb 1                        ;  msbs: dst=0 src0=1 src1=0 src2=0
	v_mad_i32_i24 v5, v47 /*v303*/, v194, v5
	s_set_vgpr_msb 4                        ;  msbs: dst=0 src0=0 src1=1 src2=0
	s_delay_alu instid0(VALU_DEP_2) | instskip(SKIP_1) | instid1(VALU_DEP_2)
	v_dot4_i32_iu8 v4, v240, v50 /*v306*/, v4 neg_lo:[1,1,0]
	s_set_vgpr_msb 0                        ;  msbs: dst=0 src0=0 src1=0 src2=0
	v_dot4_i32_iu8 v5, v231, v197, v5 neg_lo:[1,1,0]
	s_set_vgpr_msb 4                        ;  msbs: dst=0 src0=0 src1=1 src2=0
	s_delay_alu instid0(VALU_DEP_2) | instskip(NEXT) | instid1(VALU_DEP_2)
	v_mad_i32_i24 v4, v188, v35 /*v291*/, v4
	v_mad_i32_i24 v5, v195, v48 /*v304*/, v5
	s_set_vgpr_msb 0                        ;  msbs: dst=0 src0=0 src1=0 src2=0
	s_delay_alu instid0(VALU_DEP_2) | instskip(NEXT) | instid1(VALU_DEP_2)
	v_dot4_i32_iu8 v4, v241, v226, v4 neg_lo:[1,1,0]
	v_dot4_i32_iu8 v5, v242, v232, v5 neg_lo:[1,1,0]
	s_delay_alu instid0(VALU_DEP_2) | instskip(SKIP_1) | instid1(VALU_DEP_2)
	v_mul_lo_u32 v4, v4, v190
	s_set_vgpr_msb 4                        ;  msbs: dst=0 src0=0 src1=1 src2=0
	v_mad_i32_i24 v5, v196, v49 /*v305*/, v5
	s_set_vgpr_msb 0                        ;  msbs: dst=0 src0=0 src1=0 src2=0
	s_delay_alu instid0(VALU_DEP_1) | instskip(NEXT) | instid1(VALU_DEP_1)
	v_dot4_i32_iu8 v5, v243, v234, v5 neg_lo:[1,1,0]
	v_mad_u32 v4, v5, v198, v4
	v_mul_f32_e32 v5, v182, v114
	s_delay_alu instid0(VALU_DEP_2) | instskip(NEXT) | instid1(VALU_DEP_1)
	v_cvt_f32_i32_e32 v4, v4
	v_mul_f32_e32 v237, v5, v4
	v_mul_i32_i24_e32 v4, v216, v201
	s_set_vgpr_msb 5                        ;  msbs: dst=0 src0=1 src1=1 src2=0
	v_perm_b32 v5, v8 /*v264*/, v6 /*v262*/, 0xc05000c
	s_set_vgpr_msb 0                        ;  msbs: dst=0 src0=0 src1=0 src2=0
	v_pk_add_f32 v[44:45], v[44:45], v[236:237]
	v_mad_i32_i24 v4, v218, v202, v4
	s_delay_alu instid0(VALU_DEP_3)
	v_or_b32_e32 v236, v5, v227
	s_set_vgpr_msb 5                        ;  msbs: dst=0 src0=1 src1=1 src2=0
	v_perm_b32 v5, v10 /*v266*/, v7 /*v263*/, 0xc05000c
	v_perm_b32 v227, v9 /*v265*/, v9 /*v265*/, 0xc0c0c01
	s_set_vgpr_msb 0                        ;  msbs: dst=0 src0=0 src1=0 src2=0
	v_dot4_i32_iu8 v4, v222, v203, v4 neg_lo:[1,1,0]
	s_delay_alu instid0(VALU_DEP_2)
	v_or_b32_e32 v237, v5, v227
	s_set_vgpr_msb 1                        ;  msbs: dst=0 src0=1 src1=0 src2=0
	v_mul_i32_i24_e32 v5, v36 /*v292*/, v209
	s_set_vgpr_msb 5                        ;  msbs: dst=0 src0=1 src1=1 src2=0
	v_perm_b32 v227, v23 /*v279*/, v22 /*v278*/, 0xc05000c
	s_set_vgpr_msb 0                        ;  msbs: dst=0 src0=0 src1=0 src2=0
	v_mad_i32_i24 v4, v219, v204, v4
	s_set_vgpr_msb 1                        ;  msbs: dst=0 src0=1 src1=0 src2=0
	v_mad_i32_i24 v5, v39 /*v295*/, v210, v5
	s_set_vgpr_msb 0                        ;  msbs: dst=0 src0=0 src1=0 src2=0
	v_or_b32_e32 v244, v227, v239
	s_set_vgpr_msb 5                        ;  msbs: dst=0 src0=1 src1=1 src2=0
	v_perm_b32 v227, v25 /*v281*/, v26 /*v282*/, 0xc05000c
	v_perm_b32 v239, v24 /*v280*/, v24 /*v280*/, 0xc0c0c01
	s_set_vgpr_msb 0                        ;  msbs: dst=0 src0=0 src1=0 src2=0
	v_dot4_i32_iu8 v4, v223, v207, v4 neg_lo:[1,1,0]
	v_dot4_i32_iu8 v5, v230, v211, v5 neg_lo:[1,1,0]
	s_delay_alu instid0(VALU_DEP_3) | instskip(SKIP_1) | instid1(VALU_DEP_3)
	v_or_b32_e32 v247, v227, v239
	s_set_vgpr_msb 4                        ;  msbs: dst=0 src0=0 src1=1 src2=0
	v_mad_i32_i24 v4, v205, v33 /*v289*/, v4
	s_set_vgpr_msb 1                        ;  msbs: dst=0 src0=1 src1=0 src2=0
	v_mad_i32_i24 v5, v47 /*v303*/, v212, v5
	s_set_vgpr_msb 4                        ;  msbs: dst=0 src0=0 src1=1 src2=0
	s_delay_alu instid0(VALU_DEP_2) | instskip(SKIP_1) | instid1(VALU_DEP_2)
	v_dot4_i32_iu8 v4, v236, v50 /*v306*/, v4 neg_lo:[1,1,0]
	s_set_vgpr_msb 0                        ;  msbs: dst=0 src0=0 src1=0 src2=0
	v_dot4_i32_iu8 v5, v231, v217, v5 neg_lo:[1,1,0]
	s_set_vgpr_msb 4                        ;  msbs: dst=0 src0=0 src1=1 src2=0
	s_delay_alu instid0(VALU_DEP_2) | instskip(NEXT) | instid1(VALU_DEP_2)
	v_mad_i32_i24 v4, v206, v35 /*v291*/, v4
	v_mad_i32_i24 v5, v213, v48 /*v304*/, v5
	s_set_vgpr_msb 0                        ;  msbs: dst=0 src0=0 src1=0 src2=0
	s_delay_alu instid0(VALU_DEP_2) | instskip(NEXT) | instid1(VALU_DEP_2)
	v_dot4_i32_iu8 v4, v237, v226, v4 neg_lo:[1,1,0]
	v_dot4_i32_iu8 v5, v244, v232, v5 neg_lo:[1,1,0]
	s_delay_alu instid0(VALU_DEP_2) | instskip(SKIP_1) | instid1(VALU_DEP_2)
	v_mul_lo_u32 v4, v4, v208
	s_set_vgpr_msb 4                        ;  msbs: dst=0 src0=0 src1=1 src2=0
	v_mad_i32_i24 v5, v214, v49 /*v305*/, v5
	s_set_vgpr_msb 0                        ;  msbs: dst=0 src0=0 src1=0 src2=0
	s_delay_alu instid0(VALU_DEP_1) | instskip(NEXT) | instid1(VALU_DEP_1)
	v_dot4_i32_iu8 v5, v247, v234, v5 neg_lo:[1,1,0]
	v_mad_u32 v4, v5, v221, v4
	v_mul_f32_e32 v5, v200, v114
	s_delay_alu instid0(VALU_DEP_2) | instskip(NEXT) | instid1(VALU_DEP_1)
	v_cvt_f32_i32_e32 v4, v4
	v_mul_f32_e32 v239, v5, v4
	s_set_vgpr_msb 1                        ;  msbs: dst=0 src0=1 src1=0 src2=0
	v_mul_i32_i24_e32 v4, v14 /*v270*/, v216
	s_set_vgpr_msb 5                        ;  msbs: dst=0 src0=1 src1=1 src2=0
	v_perm_b32 v5, v15 /*v271*/, v16 /*v272*/, 0xc05000c
	v_perm_b32 v216, v12 /*v268*/, v12 /*v268*/, 0xc0c0c01
	s_set_vgpr_msb 0                        ;  msbs: dst=0 src0=0 src1=0 src2=0
	v_pk_add_f32 v[42:43], v[42:43], v[238:239]
	s_set_vgpr_msb 1                        ;  msbs: dst=0 src0=1 src1=0 src2=0
	v_mad_i32_i24 v4, v3 /*v259*/, v218, v4
	s_set_vgpr_msb 5                        ;  msbs: dst=0 src0=1 src1=1 src2=0
	v_perm_b32 v218, v34 /*v290*/, v34 /*v290*/, 0xc0c0c01
	s_set_vgpr_msb 0                        ;  msbs: dst=0 src0=0 src1=0 src2=0
	v_or_b32_e32 v238, v5, v216
	s_set_vgpr_msb 5                        ;  msbs: dst=0 src0=1 src1=1 src2=0
	v_mul_i32_i24_e32 v5, v20 /*v276*/, v36 /*v292*/
	v_perm_b32 v216, v37 /*v293*/, v38 /*v294*/, 0xc05000c
	s_set_vgpr_msb 1                        ;  msbs: dst=0 src0=1 src1=0 src2=0
	v_dot4_i32_iu8 v4, v4 /*v260*/, v222, v4 neg_lo:[1,1,0]
	s_set_vgpr_msb 5                        ;  msbs: dst=0 src0=1 src1=1 src2=0
	v_mad_i32_i24 v5, v17 /*v273*/, v39 /*v295*/, v5
	s_set_vgpr_msb 0                        ;  msbs: dst=0 src0=0 src1=0 src2=0
	s_delay_alu instid0(VALU_DEP_2) | instskip(NEXT) | instid1(VALU_DEP_2)
	v_mad_i32_i24 v4, v245, v219, v4
	v_dot4_i32_iu8 v5, v220, v230, v5 neg_lo:[1,1,0]
	v_or_b32_e32 v230, v216, v218
	s_set_vgpr_msb 1                        ;  msbs: dst=0 src0=1 src1=0 src2=0
	ds_load_u16 v216, v46 /*v302*/
	s_set_vgpr_msb 0                        ;  msbs: dst=0 src0=0 src1=0 src2=0
	v_dot4_i32_iu8 v4, v238, v223, v4 neg_lo:[1,1,0]
	s_set_vgpr_msb 4                        ;  msbs: dst=0 src0=0 src1=1 src2=0
	v_mad_i32_i24 v5, v246, v47 /*v303*/, v5
	s_set_vgpr_msb 5                        ;  msbs: dst=0 src0=1 src1=1 src2=0
	s_delay_alu instid0(VALU_DEP_2) | instskip(SKIP_1) | instid1(VALU_DEP_2)
	v_mad_i32_i24 v4, v33 /*v289*/, v13 /*v269*/, v4
	s_set_vgpr_msb 0                        ;  msbs: dst=0 src0=0 src1=0 src2=0
	v_dot4_i32_iu8 v5, v230, v231, v5 neg_lo:[1,1,0]
	s_set_vgpr_msb 5                        ;  msbs: dst=0 src0=1 src1=1 src2=0
	v_bfe_i32 v231, v45 /*v301*/, 0, 8
	s_delay_alu instid0(VALU_DEP_2)
	v_mad_i32_i24 v5, v48 /*v304*/, v32 /*v288*/, v5
	s_wait_dscnt 0x0
	s_set_vgpr_msb 0                        ;  msbs: dst=0 src0=0 src1=0 src2=0
	v_lshrrev_b16 v218, 8, v216
	v_bfe_i32 v248, v216, 0, 8
	s_set_vgpr_msb 5                        ;  msbs: dst=0 src0=1 src1=1 src2=0
	v_perm_b32 v216, v19 /*v275*/, v18 /*v274*/, 0xc0c0401
	s_set_vgpr_msb 0                        ;  msbs: dst=0 src0=0 src1=0 src2=0
	v_bfe_i32 v239, v218, 0, 8
	v_perm_b32 v218, v224, v224, 0xc0c0201
	s_delay_alu instid0(VALU_DEP_1) | instskip(SKIP_4) | instid1(VALU_DEP_1)
	v_dot4_i32_iu8 v4, v218, v216, v4 neg_lo:[1,1,0]
	s_set_vgpr_msb 5                        ;  msbs: dst=0 src0=1 src1=1 src2=0
	v_perm_b32 v216, v41 /*v297*/, v40 /*v296*/, 0xc05000c
	v_perm_b32 v218, v11 /*v267*/, v11 /*v267*/, 0xc0c0c01
	s_set_vgpr_msb 0                        ;  msbs: dst=0 src0=0 src1=0 src2=0
	v_or_b32_e32 v249, v216, v218
	s_delay_alu instid0(VALU_DEP_1) | instskip(SKIP_1) | instid1(VALU_DEP_2)
	v_dot4_i32_iu8 v6, v6, v249, v215 neg_lo:[1,1,0]
	v_perm_b32 v215, v225, v224, 0xc0c0403
	v_mad_i32_i24 v6, v199, v231, v6
	s_set_vgpr_msb 5                        ;  msbs: dst=0 src0=1 src1=1 src2=0
	v_perm_b32 v199, v31 /*v287*/, v27 /*v283*/, 0xc0c0401
	s_set_vgpr_msb 0                        ;  msbs: dst=0 src0=0 src1=0 src2=0
	s_delay_alu instid0(VALU_DEP_1) | instskip(SKIP_4) | instid1(VALU_DEP_1)
	v_dot4_i32_iu8 v4, v215, v199, v4 neg_lo:[1,1,0]
	s_set_vgpr_msb 5                        ;  msbs: dst=0 src0=1 src1=1 src2=0
	v_perm_b32 v199, v28 /*v284*/, v29 /*v285*/, 0xc05000c
	v_perm_b32 v215, v30 /*v286*/, v30 /*v286*/, 0xc0c0c01
	s_set_vgpr_msb 0                        ;  msbs: dst=0 src0=0 src1=0 src2=0
	v_or_b32_e32 v199, v199, v215
	s_set_vgpr_msb 5                        ;  msbs: dst=0 src0=1 src1=1 src2=0
	v_perm_b32 v215, v42 /*v298*/, v42 /*v298*/, 0xc0c0c01
	s_set_vgpr_msb 0                        ;  msbs: dst=0 src0=0 src1=0 src2=0
	s_delay_alu instid0(VALU_DEP_2) | instskip(SKIP_3) | instid1(VALU_DEP_2)
	v_dot4_i32_iu8 v4, v226, v199, v4 neg_lo:[1,1,0]
	s_set_vgpr_msb 5                        ;  msbs: dst=0 src0=1 src1=1 src2=0
	v_perm_b32 v199, v43 /*v299*/, v44 /*v300*/, 0xc05000c
	s_set_vgpr_msb 0                        ;  msbs: dst=0 src0=0 src1=0 src2=0
	v_mul_lo_u32 v4, v4, v248
	s_delay_alu instid0(VALU_DEP_2) | instskip(SKIP_3) | instid1(VALU_DEP_2)
	v_or_b32_e32 v199, v199, v215
	s_set_vgpr_msb 5                        ;  msbs: dst=0 src0=1 src1=1 src2=0
	v_perm_b32 v215, v18 /*v274*/, v18 /*v274*/, 0xc0c0c01
	s_set_vgpr_msb 0                        ;  msbs: dst=0 src0=0 src1=0 src2=0
	v_dot4_i32_iu8 v6, v7, v199, v6 neg_lo:[1,1,0]
	s_set_vgpr_msb 5                        ;  msbs: dst=0 src0=1 src1=1 src2=0
	v_perm_b32 v7, v27 /*v283*/, v19 /*v275*/, 0xc05000c
	s_set_vgpr_msb 0                        ;  msbs: dst=0 src0=0 src1=0 src2=0
	s_delay_alu instid0(VALU_DEP_2) | instskip(NEXT) | instid1(VALU_DEP_2)
	v_mul_lo_u32 v6, v6, v239
	v_or_b32_e32 v215, v7, v215
	s_set_vgpr_msb 5                        ;  msbs: dst=0 src0=1 src1=1 src2=0
	v_perm_b32 v7, v28 /*v284*/, v29 /*v285*/, 0x5000c0c
	s_set_vgpr_msb 0                        ;  msbs: dst=0 src0=0 src1=0 src2=0
	s_delay_alu instid0(VALU_DEP_2) | instskip(SKIP_4) | instid1(VALU_DEP_2)
	v_dot4_i32_iu8 v1, v2, v215, v1 neg_lo:[1,1,0]
	v_dot4_i32_iu8 v2, v232, v249, v5 neg_lo:[1,1,0]
	s_set_vgpr_msb 5                        ;  msbs: dst=0 src0=1 src1=1 src2=0
	v_perm_b32 v5, v30 /*v286*/, v31 /*v287*/, 0xc0c0500
	s_set_vgpr_msb 1                        ;  msbs: dst=0 src0=1 src1=0 src2=0
	v_mad_i32_i24 v2, v49 /*v305*/, v231, v2
	s_set_vgpr_msb 0                        ;  msbs: dst=0 src0=0 src1=0 src2=0
	s_delay_alu instid0(VALU_DEP_2) | instskip(NEXT) | instid1(VALU_DEP_2)
	v_or_b32_e32 v232, v7, v5
	v_dot4_i32_iu8 v2, v234, v199, v2 neg_lo:[1,1,0]
	s_delay_alu instid0(VALU_DEP_2) | instskip(NEXT) | instid1(VALU_DEP_2)
	v_dot4_i32_iu8 v1, v3, v232, v1 neg_lo:[1,1,0]
	v_mad_u32 v4, v2, v239, v4
	s_delay_alu instid0(VALU_DEP_2) | instskip(NEXT) | instid1(VALU_DEP_2)
	v_mad_u32 v1, v1, v248, v6
	v_cvt_f32_i32_e32 v4, v4
	s_delay_alu instid0(VALU_DEP_2) | instskip(SKIP_2) | instid1(VALU_DEP_2)
	v_pk_mul_f32 v[2:3], v[0:1], v[114:115] op_sel_hi:[0,1]
	v_cvt_f32_i32_e32 v5, v1
	v_or_b32_e32 v1, s18, v139
	v_pk_fma_f32 v[40:41], v[2:3], v[4:5], v[40:41]
	s_delay_alu instid0(VALU_DEP_2)
	v_dual_lshlrev_b32 v6, 2, v1 :: v_dual_lshrrev_b32 v1, 1, v1
	ds_load_b32 v1, v1 offset:38816
	ds_load_b128 v[2:5], v6 offset:25344
	ds_load_b128 v[222:225], v6 offset:25360
	s_wait_dscnt 0x1
	v_bfe_i32 v7, v2, 0, 8
	v_bfe_i32 v115, v2, 8, 8
	v_perm_b32 v2, v2, v2, 0xc0c0302
	v_bfe_i32 v216, v3, 0, 8
	v_perm_b32 v3, v3, v3, 0xc030201
	;; [unrolled: 2-line block ×4, first 2 shown]
	s_wait_dscnt 0x0
	v_bfe_i32 v226, v222, 0, 8
	v_bfe_i32 v227, v222, 8, 8
	v_perm_b32 v222, v222, v222, 0xc0c0302
	v_bfe_i32 v234, v223, 0, 8
	v_perm_b32 v223, v223, v223, 0xc030201
	;; [unrolled: 2-line block ×4, first 2 shown]
	v_mul_i32_i24_e32 v6, v7, v166
	v_mul_i32_i24_e32 v114, v226, v174
	;; [unrolled: 1-line block ×3, first 2 shown]
	s_delay_alu instid0(VALU_DEP_3) | instskip(NEXT) | instid1(VALU_DEP_3)
	v_mad_i32_i24 v6, v115, v167, v6
	v_mad_i32_i24 v114, v227, v175, v114
	s_delay_alu instid0(VALU_DEP_3) | instskip(NEXT) | instid1(VALU_DEP_3)
	v_mad_i32_i24 v253, v227, v192, v253
	v_dot4_i32_iu8 v6, v2, v168, v6 neg_lo:[1,1,0]
	s_delay_alu instid0(VALU_DEP_3) | instskip(NEXT) | instid1(VALU_DEP_3)
	v_dot4_i32_iu8 v114, v222, v176, v114 neg_lo:[1,1,0]
	v_dot4_i32_iu8 v253, v222, v193, v253 neg_lo:[1,1,0]
	s_delay_alu instid0(VALU_DEP_3) | instskip(NEXT) | instid1(VALU_DEP_3)
	v_mad_i32_i24 v6, v216, v170, v6
	v_mad_i32_i24 v114, v234, v178, v114
	s_delay_alu instid0(VALU_DEP_3) | instskip(NEXT) | instid1(VALU_DEP_3)
	v_mad_i32_i24 v253, v234, v194, v253
	v_dot4_i32_iu8 v6, v3, v172, v6 neg_lo:[1,1,0]
	s_delay_alu instid0(VALU_DEP_3) | instskip(NEXT) | instid1(VALU_DEP_3)
	v_dot4_i32_iu8 v114, v223, v180, v114 neg_lo:[1,1,0]
	v_dot4_i32_iu8 v253, v223, v197, v253 neg_lo:[1,1,0]
	;; [unrolled: 9-line block ×4, first 2 shown]
	s_delay_alu instid0(VALU_DEP_3) | instskip(NEXT) | instid1(VALU_DEP_1)
	v_mul_lo_u32 v6, v6, v173
	v_mad_u32 v6, v114, v181, v6
	v_mul_f32_e32 v114, v165, v1
	s_delay_alu instid0(VALU_DEP_2) | instskip(NEXT) | instid1(VALU_DEP_1)
	v_cvt_f32_i32_e32 v6, v6
	v_mul_f32_e32 v6, v114, v6
	v_mul_i32_i24_e32 v114, v7, v183
	s_delay_alu instid0(VALU_DEP_1) | instskip(NEXT) | instid1(VALU_DEP_1)
	v_mad_i32_i24 v114, v115, v184, v114
	v_dot4_i32_iu8 v114, v2, v185, v114 neg_lo:[1,1,0]
	s_delay_alu instid0(VALU_DEP_1) | instskip(NEXT) | instid1(VALU_DEP_1)
	v_mad_i32_i24 v114, v216, v186, v114
	v_dot4_i32_iu8 v114, v3, v189, v114 neg_lo:[1,1,0]
	;; [unrolled: 3-line block ×4, first 2 shown]
	s_delay_alu instid0(VALU_DEP_1) | instskip(NEXT) | instid1(VALU_DEP_1)
	v_mul_lo_u32 v114, v114, v190
	v_mad_u32 v114, v253, v198, v114
	v_mul_f32_e32 v253, v182, v1
	s_delay_alu instid0(VALU_DEP_2) | instskip(NEXT) | instid1(VALU_DEP_1)
	v_cvt_f32_i32_e32 v114, v114
	v_mul_f32_e32 v114, v253, v114
	v_mul_i32_i24_e32 v253, v7, v201
	s_set_vgpr_msb 1                        ;  msbs: dst=0 src0=1 src1=0 src2=0
	v_mul_i32_i24_e32 v7, v14 /*v270*/, v7
	s_set_vgpr_msb 0                        ;  msbs: dst=0 src0=0 src1=0 src2=0
	s_delay_alu instid0(VALU_DEP_2) | instskip(SKIP_1) | instid1(VALU_DEP_2)
	v_mad_i32_i24 v253, v115, v202, v253
	s_set_vgpr_msb 1                        ;  msbs: dst=0 src0=1 src1=0 src2=0
	v_mad_i32_i24 v7, v3 /*v259*/, v115, v7
	s_set_vgpr_msb 0                        ;  msbs: dst=0 src0=0 src1=0 src2=0
	s_delay_alu instid0(VALU_DEP_2) | instskip(SKIP_1) | instid1(VALU_DEP_2)
	v_dot4_i32_iu8 v253, v2, v203, v253 neg_lo:[1,1,0]
	s_set_vgpr_msb 1                        ;  msbs: dst=0 src0=1 src1=0 src2=0
	v_dot4_i32_iu8 v2, v4 /*v260*/, v2, v7 neg_lo:[1,1,0]
	s_set_vgpr_msb 0                        ;  msbs: dst=0 src0=0 src1=0 src2=0
	s_delay_alu instid0(VALU_DEP_2) | instskip(NEXT) | instid1(VALU_DEP_2)
	v_mad_i32_i24 v253, v216, v204, v253
	v_mad_i32_i24 v2, v245, v216, v2
	s_delay_alu instid0(VALU_DEP_2) | instskip(NEXT) | instid1(VALU_DEP_2)
	v_dot4_i32_iu8 v253, v3, v207, v253 neg_lo:[1,1,0]
	v_dot4_i32_iu8 v2, v238, v3, v2 neg_lo:[1,1,0]
	s_set_vgpr_msb 1                        ;  msbs: dst=0 src0=1 src1=0 src2=0
	v_mul_i32_i24_e32 v3, v20 /*v276*/, v226
	s_set_vgpr_msb 0                        ;  msbs: dst=0 src0=0 src1=0 src2=0
	v_mad_i32_i24 v253, v205, v219, v253
	s_set_vgpr_msb 4                        ;  msbs: dst=0 src0=0 src1=1 src2=0
	v_mad_i32_i24 v2, v219, v13 /*v269*/, v2
	s_set_vgpr_msb 1                        ;  msbs: dst=0 src0=1 src1=0 src2=0
	v_mad_i32_i24 v3, v17 /*v273*/, v227, v3
	s_set_vgpr_msb 0                        ;  msbs: dst=0 src0=0 src1=0 src2=0
	v_dot4_i32_iu8 v253, v236, v4, v253 neg_lo:[1,1,0]
	v_dot4_i32_iu8 v2, v4, v215, v2 neg_lo:[1,1,0]
	s_delay_alu instid0(VALU_DEP_3) | instskip(NEXT) | instid1(VALU_DEP_3)
	v_dot4_i32_iu8 v3, v220, v222, v3 neg_lo:[1,1,0]
	v_mad_i32_i24 v218, v206, v218, v253
	s_delay_alu instid0(VALU_DEP_3) | instskip(NEXT) | instid1(VALU_DEP_3)
	v_dot4_i32_iu8 v2, v232, v5, v2 neg_lo:[1,1,0]
	v_mad_i32_i24 v3, v246, v234, v3
	s_delay_alu instid0(VALU_DEP_3) | instskip(SKIP_1) | instid1(VALU_DEP_3)
	v_dot4_i32_iu8 v218, v237, v252, v218 neg_lo:[1,1,0]
	v_mul_i32_i24_e32 v252, v226, v209
	v_dot4_i32_iu8 v3, v230, v223, v3 neg_lo:[1,1,0]
	v_mul_lo_u32 v2, v2, v248
	s_delay_alu instid0(VALU_DEP_4) | instskip(NEXT) | instid1(VALU_DEP_4)
	v_mul_lo_u32 v218, v218, v208
	v_mad_i32_i24 v252, v227, v210, v252
	s_set_vgpr_msb 4                        ;  msbs: dst=0 src0=0 src1=1 src2=0
	v_mad_i32_i24 v3, v250, v32 /*v288*/, v3
	s_set_vgpr_msb 0                        ;  msbs: dst=0 src0=0 src1=0 src2=0
	s_delay_alu instid0(VALU_DEP_2) | instskip(NEXT) | instid1(VALU_DEP_2)
	v_dot4_i32_iu8 v252, v222, v211, v252 neg_lo:[1,1,0]
	v_dot4_i32_iu8 v3, v224, v249, v3 neg_lo:[1,1,0]
	s_delay_alu instid0(VALU_DEP_2) | instskip(NEXT) | instid1(VALU_DEP_2)
	v_mad_i32_i24 v252, v234, v212, v252
	v_mad_i32_i24 v3, v231, v251, v3
	s_delay_alu instid0(VALU_DEP_2) | instskip(NEXT) | instid1(VALU_DEP_2)
	v_dot4_i32_iu8 v252, v223, v217, v252 neg_lo:[1,1,0]
	v_dot4_i32_iu8 v3, v199, v225, v3 neg_lo:[1,1,0]
	s_delay_alu instid0(VALU_DEP_2) | instskip(NEXT) | instid1(VALU_DEP_2)
	v_mad_i32_i24 v252, v213, v250, v252
	v_mad_u32 v2, v3, v239, v2
	s_delay_alu instid0(VALU_DEP_2) | instskip(NEXT) | instid1(VALU_DEP_1)
	v_dot4_i32_iu8 v252, v244, v224, v252 neg_lo:[1,1,0]
	v_mad_i32_i24 v252, v214, v251, v252
	s_delay_alu instid0(VALU_DEP_3) | instskip(NEXT) | instid1(VALU_DEP_2)
	v_cvt_f32_i32_e32 v2, v2
	v_dot4_i32_iu8 v252, v247, v225, v252 neg_lo:[1,1,0]
	s_delay_alu instid0(VALU_DEP_1) | instskip(SKIP_2) | instid1(VALU_DEP_1)
	v_mad_u32 v218, v252, v221, v218
	v_mul_f32_e32 v252, v200, v1
	v_mul_f32_e32 v1, v0, v1
	v_dual_mul_f32 v226, v1, v2 :: v_dual_bitop2_b32 v1, s18, v140 bitop3:0x54
	s_delay_alu instid0(VALU_DEP_4) | instskip(NEXT) | instid1(VALU_DEP_2)
	v_cvt_f32_i32_e32 v218, v218
	v_dual_lshlrev_b32 v7, 2, v1 :: v_dual_lshrrev_b32 v1, 1, v1
	ds_load_b32 v1, v1 offset:38816
	ds_load_b128 v[2:5], v7 offset:25344
	ds_load_b128 v[222:225], v7 offset:25360
	v_mul_f32_e32 v218, v252, v218
	s_wait_dscnt 0x1
	v_bfe_i32 v216, v2, 0, 8
	v_bfe_i32 v227, v2, 8, 8
	v_perm_b32 v2, v2, v2, 0xc0c0302
	v_bfe_i32 v234, v3, 0, 8
	v_perm_b32 v3, v3, v3, 0xc030201
	;; [unrolled: 2-line block ×3, first 2 shown]
	v_bfe_i32 v219, v5, 0, 8
	s_set_vgpr_msb 64                       ;  msbs: dst=1 src0=0 src1=0 src2=0
	v_perm_b32 v0 /*v256*/, v5, v5, 0xc030201
	s_wait_dscnt 0x0
	s_set_vgpr_msb 0                        ;  msbs: dst=0 src0=0 src1=0 src2=0
	v_bfe_i32 v251, v222, 0, 8
	v_bfe_i32 v252, v222, 8, 8
	v_perm_b32 v222, v222, v222, 0xc0c0302
	v_bfe_i32 v253, v223, 0, 8
	v_perm_b32 v223, v223, v223, 0xc030201
	v_bfe_i32 v254, v224, 0, 8
	v_perm_b32 v224, v224, v224, 0xc030201
	v_bfe_i32 v255, v225, 0, 8
	v_perm_b32 v225, v225, v225, 0xc030201
	v_mul_i32_i24_e32 v7, v216, v166
	v_mul_i32_i24_e32 v115, v251, v174
	s_delay_alu instid0(VALU_DEP_2) | instskip(NEXT) | instid1(VALU_DEP_2)
	v_mad_i32_i24 v7, v227, v167, v7
	v_mad_i32_i24 v115, v252, v175, v115
	s_delay_alu instid0(VALU_DEP_2) | instskip(NEXT) | instid1(VALU_DEP_2)
	v_dot4_i32_iu8 v7, v2, v168, v7 neg_lo:[1,1,0]
	v_dot4_i32_iu8 v115, v222, v176, v115 neg_lo:[1,1,0]
	s_delay_alu instid0(VALU_DEP_2) | instskip(NEXT) | instid1(VALU_DEP_2)
	v_mad_i32_i24 v7, v234, v170, v7
	v_mad_i32_i24 v115, v253, v178, v115
	s_delay_alu instid0(VALU_DEP_2) | instskip(NEXT) | instid1(VALU_DEP_2)
	v_dot4_i32_iu8 v7, v3, v172, v7 neg_lo:[1,1,0]
	v_dot4_i32_iu8 v115, v223, v180, v115 neg_lo:[1,1,0]
	;; [unrolled: 6-line block ×3, first 2 shown]
	s_delay_alu instid0(VALU_DEP_2) | instskip(NEXT) | instid1(VALU_DEP_2)
	v_mad_i32_i24 v7, v171, v219, v7
	v_mad_i32_i24 v115, v179, v255, v115
	s_set_vgpr_msb 4                        ;  msbs: dst=0 src0=0 src1=1 src2=0
	s_delay_alu instid0(VALU_DEP_2) | instskip(SKIP_1) | instid1(VALU_DEP_2)
	v_dot4_i32_iu8 v7, v229, v0 /*v256*/, v7 neg_lo:[1,1,0]
	s_set_vgpr_msb 0                        ;  msbs: dst=0 src0=0 src1=0 src2=0
	v_dot4_i32_iu8 v115, v235, v225, v115 neg_lo:[1,1,0]
	s_delay_alu instid0(VALU_DEP_2) | instskip(NEXT) | instid1(VALU_DEP_1)
	v_mul_lo_u32 v7, v7, v173
	v_mad_u32 v7, v115, v181, v7
	v_mul_f32_e32 v115, v165, v1
	s_delay_alu instid0(VALU_DEP_2) | instskip(NEXT) | instid1(VALU_DEP_1)
	v_cvt_f32_i32_e32 v7, v7
	v_mul_f32_e32 v7, v115, v7
	s_delay_alu instid0(VALU_DEP_1) | instskip(SKIP_2) | instid1(VALU_DEP_2)
	v_pk_add_f32 v[36:37], v[36:37], v[6:7]
	v_mul_i32_i24_e32 v6, v216, v183
	v_mul_i32_i24_e32 v7, v251, v191
	v_mad_i32_i24 v6, v227, v184, v6
	s_delay_alu instid0(VALU_DEP_2) | instskip(NEXT) | instid1(VALU_DEP_2)
	v_mad_i32_i24 v7, v252, v192, v7
	v_dot4_i32_iu8 v6, v2, v185, v6 neg_lo:[1,1,0]
	s_delay_alu instid0(VALU_DEP_2) | instskip(NEXT) | instid1(VALU_DEP_2)
	v_dot4_i32_iu8 v7, v222, v193, v7 neg_lo:[1,1,0]
	v_mad_i32_i24 v6, v234, v186, v6
	s_delay_alu instid0(VALU_DEP_2) | instskip(NEXT) | instid1(VALU_DEP_2)
	v_mad_i32_i24 v7, v253, v194, v7
	v_dot4_i32_iu8 v6, v3, v189, v6 neg_lo:[1,1,0]
	s_delay_alu instid0(VALU_DEP_2) | instskip(NEXT) | instid1(VALU_DEP_2)
	v_dot4_i32_iu8 v7, v223, v197, v7 neg_lo:[1,1,0]
	;; [unrolled: 6-line block ×3, first 2 shown]
	v_mad_i32_i24 v6, v188, v219, v6
	s_delay_alu instid0(VALU_DEP_2) | instskip(SKIP_1) | instid1(VALU_DEP_2)
	v_mad_i32_i24 v7, v196, v255, v7
	s_set_vgpr_msb 4                        ;  msbs: dst=0 src0=0 src1=1 src2=0
	v_dot4_i32_iu8 v6, v241, v0 /*v256*/, v6 neg_lo:[1,1,0]
	s_set_vgpr_msb 0                        ;  msbs: dst=0 src0=0 src1=0 src2=0
	s_delay_alu instid0(VALU_DEP_2) | instskip(NEXT) | instid1(VALU_DEP_2)
	v_dot4_i32_iu8 v7, v243, v225, v7 neg_lo:[1,1,0]
	v_mul_lo_u32 v6, v6, v190
	s_delay_alu instid0(VALU_DEP_1) | instskip(SKIP_1) | instid1(VALU_DEP_2)
	v_mad_u32 v6, v7, v198, v6
	v_mul_f32_e32 v7, v182, v1
	v_cvt_f32_i32_e32 v6, v6
	s_delay_alu instid0(VALU_DEP_1) | instskip(SKIP_2) | instid1(VALU_DEP_3)
	v_mul_f32_e32 v115, v7, v6
	v_mul_i32_i24_e32 v6, v216, v201
	v_mul_i32_i24_e32 v7, v251, v209
	v_pk_add_f32 v[34:35], v[34:35], v[114:115]
	s_delay_alu instid0(VALU_DEP_3) | instskip(NEXT) | instid1(VALU_DEP_3)
	v_mad_i32_i24 v6, v227, v202, v6
	v_mad_i32_i24 v7, v252, v210, v7
	s_delay_alu instid0(VALU_DEP_2) | instskip(NEXT) | instid1(VALU_DEP_2)
	v_dot4_i32_iu8 v6, v2, v203, v6 neg_lo:[1,1,0]
	v_dot4_i32_iu8 v7, v222, v211, v7 neg_lo:[1,1,0]
	s_delay_alu instid0(VALU_DEP_2) | instskip(NEXT) | instid1(VALU_DEP_2)
	v_mad_i32_i24 v6, v234, v204, v6
	v_mad_i32_i24 v7, v253, v212, v7
	s_delay_alu instid0(VALU_DEP_2) | instskip(NEXT) | instid1(VALU_DEP_2)
	v_dot4_i32_iu8 v6, v3, v207, v6 neg_lo:[1,1,0]
	v_dot4_i32_iu8 v7, v223, v217, v7 neg_lo:[1,1,0]
	s_delay_alu instid0(VALU_DEP_2) | instskip(NEXT) | instid1(VALU_DEP_2)
	;; [unrolled: 6-line block ×3, first 2 shown]
	v_mad_i32_i24 v6, v206, v219, v6
	v_mad_i32_i24 v7, v214, v255, v7
	s_set_vgpr_msb 4                        ;  msbs: dst=0 src0=0 src1=1 src2=0
	s_delay_alu instid0(VALU_DEP_2) | instskip(SKIP_1) | instid1(VALU_DEP_2)
	v_dot4_i32_iu8 v6, v237, v0 /*v256*/, v6 neg_lo:[1,1,0]
	s_set_vgpr_msb 0                        ;  msbs: dst=0 src0=0 src1=0 src2=0
	v_dot4_i32_iu8 v7, v247, v225, v7 neg_lo:[1,1,0]
	s_delay_alu instid0(VALU_DEP_2) | instskip(NEXT) | instid1(VALU_DEP_1)
	v_mul_lo_u32 v6, v6, v208
	v_mad_u32 v6, v7, v221, v6
	v_mul_f32_e32 v7, v200, v1
	v_mul_f32_e32 v1, v0, v1
	s_delay_alu instid0(VALU_DEP_3) | instskip(NEXT) | instid1(VALU_DEP_1)
	v_cvt_f32_i32_e32 v6, v6
	v_mul_f32_e32 v219, v7, v6
	s_set_vgpr_msb 1                        ;  msbs: dst=0 src0=1 src1=0 src2=0
	v_mul_i32_i24_e32 v6, v14 /*v270*/, v216
	s_set_vgpr_msb 0                        ;  msbs: dst=0 src0=0 src1=0 src2=0
	s_delay_alu instid0(VALU_DEP_2) | instskip(SKIP_1) | instid1(VALU_DEP_2)
	v_pk_add_f32 v[32:33], v[32:33], v[218:219]
	s_set_vgpr_msb 1                        ;  msbs: dst=0 src0=1 src1=0 src2=0
	v_mad_i32_i24 v6, v3 /*v259*/, v227, v6
	s_delay_alu instid0(VALU_DEP_1) | instskip(SKIP_1) | instid1(VALU_DEP_1)
	v_dot4_i32_iu8 v2, v4 /*v260*/, v2, v6 neg_lo:[1,1,0]
	s_set_vgpr_msb 0                        ;  msbs: dst=0 src0=0 src1=0 src2=0
	v_mad_i32_i24 v2, v245, v234, v2
	s_delay_alu instid0(VALU_DEP_1) | instskip(SKIP_3) | instid1(VALU_DEP_2)
	v_dot4_i32_iu8 v2, v238, v3, v2 neg_lo:[1,1,0]
	s_set_vgpr_msb 1                        ;  msbs: dst=0 src0=1 src1=0 src2=0
	v_mul_i32_i24_e32 v3, v20 /*v276*/, v251
	s_set_vgpr_msb 4                        ;  msbs: dst=0 src0=0 src1=1 src2=0
	v_mad_i32_i24 v2, v250, v13 /*v269*/, v2
	s_set_vgpr_msb 1                        ;  msbs: dst=0 src0=1 src1=0 src2=0
	s_delay_alu instid0(VALU_DEP_2) | instskip(SKIP_1) | instid1(VALU_DEP_2)
	v_mad_i32_i24 v3, v17 /*v273*/, v252, v3
	s_set_vgpr_msb 0                        ;  msbs: dst=0 src0=0 src1=0 src2=0
	v_dot4_i32_iu8 v2, v4, v215, v2 neg_lo:[1,1,0]
	s_delay_alu instid0(VALU_DEP_2) | instskip(NEXT) | instid1(VALU_DEP_2)
	v_dot4_i32_iu8 v3, v220, v222, v3 neg_lo:[1,1,0]
	v_dot4_i32_iu8 v2, v232, v5, v2 neg_lo:[1,1,0]
	s_delay_alu instid0(VALU_DEP_2) | instskip(NEXT) | instid1(VALU_DEP_2)
	v_mad_i32_i24 v3, v246, v253, v3
	v_mul_lo_u32 v2, v2, v248
	s_delay_alu instid0(VALU_DEP_2) | instskip(SKIP_1) | instid1(VALU_DEP_1)
	v_dot4_i32_iu8 v3, v230, v223, v3 neg_lo:[1,1,0]
	s_set_vgpr_msb 4                        ;  msbs: dst=0 src0=0 src1=1 src2=0
	v_mad_i32_i24 v3, v254, v32 /*v288*/, v3
	s_set_vgpr_msb 0                        ;  msbs: dst=0 src0=0 src1=0 src2=0
	s_delay_alu instid0(VALU_DEP_1) | instskip(NEXT) | instid1(VALU_DEP_1)
	v_dot4_i32_iu8 v3, v224, v249, v3 neg_lo:[1,1,0]
	v_mad_i32_i24 v3, v231, v255, v3
	s_delay_alu instid0(VALU_DEP_1) | instskip(NEXT) | instid1(VALU_DEP_1)
	v_dot4_i32_iu8 v3, v199, v225, v3 neg_lo:[1,1,0]
	v_mad_u32 v2, v3, v239, v2
	s_delay_alu instid0(VALU_DEP_1) | instskip(NEXT) | instid1(VALU_DEP_1)
	v_cvt_f32_i32_e32 v2, v2
	v_dual_mul_f32 v227, v1, v2 :: v_dual_bitop2_b32 v1, s18, v141 bitop3:0x54
	s_delay_alu instid0(VALU_DEP_1) | instskip(NEXT) | instid1(VALU_DEP_2)
	v_pk_add_f32 v[30:31], v[30:31], v[226:227]
	v_dual_lshlrev_b32 v6, 2, v1 :: v_dual_lshrrev_b32 v1, 1, v1
	ds_load_b32 v1, v1 offset:38816
	ds_load_b128 v[2:5], v6 offset:25344
	ds_load_b128 v[222:225], v6 offset:25360
	s_wait_dscnt 0x1
	v_bfe_i32 v7, v2, 0, 8
	v_bfe_i32 v115, v2, 8, 8
	v_perm_b32 v2, v2, v2, 0xc0c0302
	v_bfe_i32 v216, v3, 0, 8
	v_perm_b32 v3, v3, v3, 0xc030201
	;; [unrolled: 2-line block ×4, first 2 shown]
	s_wait_dscnt 0x0
	v_bfe_i32 v226, v222, 0, 8
	v_bfe_i32 v227, v222, 8, 8
	v_perm_b32 v222, v222, v222, 0xc0c0302
	v_bfe_i32 v234, v223, 0, 8
	v_perm_b32 v223, v223, v223, 0xc030201
	;; [unrolled: 2-line block ×4, first 2 shown]
	v_mul_i32_i24_e32 v6, v7, v166
	v_mul_i32_i24_e32 v114, v226, v174
	v_mul_i32_i24_e32 v253, v226, v191
	s_delay_alu instid0(VALU_DEP_3) | instskip(NEXT) | instid1(VALU_DEP_3)
	v_mad_i32_i24 v6, v115, v167, v6
	v_mad_i32_i24 v114, v227, v175, v114
	s_delay_alu instid0(VALU_DEP_3) | instskip(NEXT) | instid1(VALU_DEP_3)
	v_mad_i32_i24 v253, v227, v192, v253
	v_dot4_i32_iu8 v6, v2, v168, v6 neg_lo:[1,1,0]
	s_delay_alu instid0(VALU_DEP_3) | instskip(NEXT) | instid1(VALU_DEP_3)
	v_dot4_i32_iu8 v114, v222, v176, v114 neg_lo:[1,1,0]
	v_dot4_i32_iu8 v253, v222, v193, v253 neg_lo:[1,1,0]
	s_delay_alu instid0(VALU_DEP_3) | instskip(NEXT) | instid1(VALU_DEP_3)
	v_mad_i32_i24 v6, v216, v170, v6
	v_mad_i32_i24 v114, v234, v178, v114
	s_delay_alu instid0(VALU_DEP_3) | instskip(NEXT) | instid1(VALU_DEP_3)
	v_mad_i32_i24 v253, v234, v194, v253
	v_dot4_i32_iu8 v6, v3, v172, v6 neg_lo:[1,1,0]
	s_delay_alu instid0(VALU_DEP_3) | instskip(NEXT) | instid1(VALU_DEP_3)
	v_dot4_i32_iu8 v114, v223, v180, v114 neg_lo:[1,1,0]
	v_dot4_i32_iu8 v253, v223, v197, v253 neg_lo:[1,1,0]
	;; [unrolled: 9-line block ×4, first 2 shown]
	s_delay_alu instid0(VALU_DEP_3) | instskip(NEXT) | instid1(VALU_DEP_1)
	v_mul_lo_u32 v6, v6, v173
	v_mad_u32 v6, v114, v181, v6
	v_mul_f32_e32 v114, v165, v1
	s_delay_alu instid0(VALU_DEP_2) | instskip(NEXT) | instid1(VALU_DEP_1)
	v_cvt_f32_i32_e32 v6, v6
	v_mul_f32_e32 v6, v114, v6
	v_mul_i32_i24_e32 v114, v7, v183
	s_delay_alu instid0(VALU_DEP_1) | instskip(NEXT) | instid1(VALU_DEP_1)
	v_mad_i32_i24 v114, v115, v184, v114
	v_dot4_i32_iu8 v114, v2, v185, v114 neg_lo:[1,1,0]
	s_delay_alu instid0(VALU_DEP_1) | instskip(NEXT) | instid1(VALU_DEP_1)
	v_mad_i32_i24 v114, v216, v186, v114
	v_dot4_i32_iu8 v114, v3, v189, v114 neg_lo:[1,1,0]
	;; [unrolled: 3-line block ×4, first 2 shown]
	s_delay_alu instid0(VALU_DEP_1) | instskip(NEXT) | instid1(VALU_DEP_1)
	v_mul_lo_u32 v114, v114, v190
	v_mad_u32 v114, v253, v198, v114
	v_mul_f32_e32 v253, v182, v1
	s_delay_alu instid0(VALU_DEP_2) | instskip(NEXT) | instid1(VALU_DEP_1)
	v_cvt_f32_i32_e32 v114, v114
	v_mul_f32_e32 v114, v253, v114
	v_mul_i32_i24_e32 v253, v7, v201
	s_set_vgpr_msb 1                        ;  msbs: dst=0 src0=1 src1=0 src2=0
	v_mul_i32_i24_e32 v7, v14 /*v270*/, v7
	s_set_vgpr_msb 0                        ;  msbs: dst=0 src0=0 src1=0 src2=0
	s_delay_alu instid0(VALU_DEP_2) | instskip(SKIP_1) | instid1(VALU_DEP_2)
	v_mad_i32_i24 v253, v115, v202, v253
	s_set_vgpr_msb 1                        ;  msbs: dst=0 src0=1 src1=0 src2=0
	v_mad_i32_i24 v7, v3 /*v259*/, v115, v7
	s_set_vgpr_msb 0                        ;  msbs: dst=0 src0=0 src1=0 src2=0
	s_delay_alu instid0(VALU_DEP_2) | instskip(SKIP_1) | instid1(VALU_DEP_2)
	v_dot4_i32_iu8 v253, v2, v203, v253 neg_lo:[1,1,0]
	s_set_vgpr_msb 1                        ;  msbs: dst=0 src0=1 src1=0 src2=0
	v_dot4_i32_iu8 v2, v4 /*v260*/, v2, v7 neg_lo:[1,1,0]
	s_set_vgpr_msb 0                        ;  msbs: dst=0 src0=0 src1=0 src2=0
	s_delay_alu instid0(VALU_DEP_2) | instskip(NEXT) | instid1(VALU_DEP_2)
	v_mad_i32_i24 v253, v216, v204, v253
	v_mad_i32_i24 v2, v245, v216, v2
	s_delay_alu instid0(VALU_DEP_2) | instskip(NEXT) | instid1(VALU_DEP_2)
	v_dot4_i32_iu8 v253, v3, v207, v253 neg_lo:[1,1,0]
	v_dot4_i32_iu8 v2, v238, v3, v2 neg_lo:[1,1,0]
	s_set_vgpr_msb 1                        ;  msbs: dst=0 src0=1 src1=0 src2=0
	v_mul_i32_i24_e32 v3, v20 /*v276*/, v226
	s_set_vgpr_msb 0                        ;  msbs: dst=0 src0=0 src1=0 src2=0
	v_mad_i32_i24 v253, v205, v219, v253
	s_set_vgpr_msb 4                        ;  msbs: dst=0 src0=0 src1=1 src2=0
	v_mad_i32_i24 v2, v219, v13 /*v269*/, v2
	s_set_vgpr_msb 1                        ;  msbs: dst=0 src0=1 src1=0 src2=0
	v_mad_i32_i24 v3, v17 /*v273*/, v227, v3
	s_set_vgpr_msb 0                        ;  msbs: dst=0 src0=0 src1=0 src2=0
	v_dot4_i32_iu8 v253, v236, v4, v253 neg_lo:[1,1,0]
	v_dot4_i32_iu8 v2, v4, v215, v2 neg_lo:[1,1,0]
	s_delay_alu instid0(VALU_DEP_3) | instskip(NEXT) | instid1(VALU_DEP_3)
	v_dot4_i32_iu8 v3, v220, v222, v3 neg_lo:[1,1,0]
	v_mad_i32_i24 v218, v206, v218, v253
	s_delay_alu instid0(VALU_DEP_3) | instskip(NEXT) | instid1(VALU_DEP_3)
	v_dot4_i32_iu8 v2, v232, v5, v2 neg_lo:[1,1,0]
	v_mad_i32_i24 v3, v246, v234, v3
	s_delay_alu instid0(VALU_DEP_3) | instskip(SKIP_1) | instid1(VALU_DEP_3)
	v_dot4_i32_iu8 v218, v237, v252, v218 neg_lo:[1,1,0]
	v_mul_i32_i24_e32 v252, v226, v209
	v_dot4_i32_iu8 v3, v230, v223, v3 neg_lo:[1,1,0]
	v_mul_lo_u32 v2, v2, v248
	s_delay_alu instid0(VALU_DEP_4) | instskip(NEXT) | instid1(VALU_DEP_4)
	v_mul_lo_u32 v218, v218, v208
	v_mad_i32_i24 v252, v227, v210, v252
	s_set_vgpr_msb 4                        ;  msbs: dst=0 src0=0 src1=1 src2=0
	v_mad_i32_i24 v3, v250, v32 /*v288*/, v3
	s_set_vgpr_msb 0                        ;  msbs: dst=0 src0=0 src1=0 src2=0
	s_delay_alu instid0(VALU_DEP_2) | instskip(NEXT) | instid1(VALU_DEP_2)
	v_dot4_i32_iu8 v252, v222, v211, v252 neg_lo:[1,1,0]
	v_dot4_i32_iu8 v3, v224, v249, v3 neg_lo:[1,1,0]
	s_delay_alu instid0(VALU_DEP_2) | instskip(NEXT) | instid1(VALU_DEP_2)
	v_mad_i32_i24 v252, v234, v212, v252
	v_mad_i32_i24 v3, v231, v251, v3
	s_delay_alu instid0(VALU_DEP_2) | instskip(NEXT) | instid1(VALU_DEP_2)
	v_dot4_i32_iu8 v252, v223, v217, v252 neg_lo:[1,1,0]
	v_dot4_i32_iu8 v3, v199, v225, v3 neg_lo:[1,1,0]
	s_delay_alu instid0(VALU_DEP_2) | instskip(NEXT) | instid1(VALU_DEP_2)
	v_mad_i32_i24 v252, v213, v250, v252
	v_mad_u32 v2, v3, v239, v2
	s_delay_alu instid0(VALU_DEP_2) | instskip(NEXT) | instid1(VALU_DEP_1)
	v_dot4_i32_iu8 v252, v244, v224, v252 neg_lo:[1,1,0]
	v_mad_i32_i24 v252, v214, v251, v252
	s_delay_alu instid0(VALU_DEP_3) | instskip(NEXT) | instid1(VALU_DEP_2)
	v_cvt_f32_i32_e32 v2, v2
	v_dot4_i32_iu8 v252, v247, v225, v252 neg_lo:[1,1,0]
	s_delay_alu instid0(VALU_DEP_1) | instskip(SKIP_2) | instid1(VALU_DEP_1)
	v_mad_u32 v218, v252, v221, v218
	v_mul_f32_e32 v252, v200, v1
	v_mul_f32_e32 v1, v0, v1
	;; [unrolled: 1-line block ×3, first 2 shown]
	v_or_b32_e32 v1, s18, v142
	v_cvt_f32_i32_e32 v218, v218
	s_delay_alu instid0(VALU_DEP_2)
	v_dual_lshlrev_b32 v7, 2, v1 :: v_dual_lshrrev_b32 v1, 1, v1
	ds_load_b32 v1, v1 offset:38816
	ds_load_b128 v[2:5], v7 offset:25344
	ds_load_b128 v[222:225], v7 offset:25360
	v_mul_f32_e32 v218, v252, v218
	s_wait_dscnt 0x1
	v_bfe_i32 v216, v2, 0, 8
	v_bfe_i32 v227, v2, 8, 8
	v_perm_b32 v2, v2, v2, 0xc0c0302
	v_bfe_i32 v234, v3, 0, 8
	v_perm_b32 v3, v3, v3, 0xc030201
	;; [unrolled: 2-line block ×3, first 2 shown]
	v_bfe_i32 v219, v5, 0, 8
	s_set_vgpr_msb 64                       ;  msbs: dst=1 src0=0 src1=0 src2=0
	v_perm_b32 v0 /*v256*/, v5, v5, 0xc030201
	s_wait_dscnt 0x0
	s_set_vgpr_msb 0                        ;  msbs: dst=0 src0=0 src1=0 src2=0
	v_bfe_i32 v251, v222, 0, 8
	v_bfe_i32 v252, v222, 8, 8
	v_perm_b32 v222, v222, v222, 0xc0c0302
	v_bfe_i32 v253, v223, 0, 8
	v_perm_b32 v223, v223, v223, 0xc030201
	;; [unrolled: 2-line block ×4, first 2 shown]
	v_mul_i32_i24_e32 v7, v216, v166
	v_mul_i32_i24_e32 v115, v251, v174
	s_delay_alu instid0(VALU_DEP_2) | instskip(NEXT) | instid1(VALU_DEP_2)
	v_mad_i32_i24 v7, v227, v167, v7
	v_mad_i32_i24 v115, v252, v175, v115
	s_delay_alu instid0(VALU_DEP_2) | instskip(NEXT) | instid1(VALU_DEP_2)
	v_dot4_i32_iu8 v7, v2, v168, v7 neg_lo:[1,1,0]
	v_dot4_i32_iu8 v115, v222, v176, v115 neg_lo:[1,1,0]
	s_delay_alu instid0(VALU_DEP_2) | instskip(NEXT) | instid1(VALU_DEP_2)
	v_mad_i32_i24 v7, v234, v170, v7
	v_mad_i32_i24 v115, v253, v178, v115
	s_delay_alu instid0(VALU_DEP_2) | instskip(NEXT) | instid1(VALU_DEP_2)
	v_dot4_i32_iu8 v7, v3, v172, v7 neg_lo:[1,1,0]
	v_dot4_i32_iu8 v115, v223, v180, v115 neg_lo:[1,1,0]
	;; [unrolled: 6-line block ×3, first 2 shown]
	s_delay_alu instid0(VALU_DEP_2) | instskip(NEXT) | instid1(VALU_DEP_2)
	v_mad_i32_i24 v7, v171, v219, v7
	v_mad_i32_i24 v115, v179, v255, v115
	s_set_vgpr_msb 4                        ;  msbs: dst=0 src0=0 src1=1 src2=0
	s_delay_alu instid0(VALU_DEP_2) | instskip(SKIP_1) | instid1(VALU_DEP_2)
	v_dot4_i32_iu8 v7, v229, v0 /*v256*/, v7 neg_lo:[1,1,0]
	s_set_vgpr_msb 0                        ;  msbs: dst=0 src0=0 src1=0 src2=0
	v_dot4_i32_iu8 v115, v235, v225, v115 neg_lo:[1,1,0]
	s_delay_alu instid0(VALU_DEP_2) | instskip(NEXT) | instid1(VALU_DEP_1)
	v_mul_lo_u32 v7, v7, v173
	v_mad_u32 v7, v115, v181, v7
	v_mul_f32_e32 v115, v165, v1
	s_delay_alu instid0(VALU_DEP_2) | instskip(NEXT) | instid1(VALU_DEP_1)
	v_cvt_f32_i32_e32 v7, v7
	v_mul_f32_e32 v7, v115, v7
	s_delay_alu instid0(VALU_DEP_1) | instskip(SKIP_2) | instid1(VALU_DEP_2)
	v_pk_add_f32 v[26:27], v[26:27], v[6:7]
	v_mul_i32_i24_e32 v6, v216, v183
	v_mul_i32_i24_e32 v7, v251, v191
	v_mad_i32_i24 v6, v227, v184, v6
	s_delay_alu instid0(VALU_DEP_2) | instskip(NEXT) | instid1(VALU_DEP_2)
	v_mad_i32_i24 v7, v252, v192, v7
	v_dot4_i32_iu8 v6, v2, v185, v6 neg_lo:[1,1,0]
	s_delay_alu instid0(VALU_DEP_2) | instskip(NEXT) | instid1(VALU_DEP_2)
	v_dot4_i32_iu8 v7, v222, v193, v7 neg_lo:[1,1,0]
	v_mad_i32_i24 v6, v234, v186, v6
	s_delay_alu instid0(VALU_DEP_2) | instskip(NEXT) | instid1(VALU_DEP_2)
	v_mad_i32_i24 v7, v253, v194, v7
	v_dot4_i32_iu8 v6, v3, v189, v6 neg_lo:[1,1,0]
	s_delay_alu instid0(VALU_DEP_2) | instskip(NEXT) | instid1(VALU_DEP_2)
	v_dot4_i32_iu8 v7, v223, v197, v7 neg_lo:[1,1,0]
	;; [unrolled: 6-line block ×3, first 2 shown]
	v_mad_i32_i24 v6, v188, v219, v6
	s_delay_alu instid0(VALU_DEP_2) | instskip(SKIP_1) | instid1(VALU_DEP_2)
	v_mad_i32_i24 v7, v196, v255, v7
	s_set_vgpr_msb 4                        ;  msbs: dst=0 src0=0 src1=1 src2=0
	v_dot4_i32_iu8 v6, v241, v0 /*v256*/, v6 neg_lo:[1,1,0]
	s_set_vgpr_msb 0                        ;  msbs: dst=0 src0=0 src1=0 src2=0
	s_delay_alu instid0(VALU_DEP_2) | instskip(NEXT) | instid1(VALU_DEP_2)
	v_dot4_i32_iu8 v7, v243, v225, v7 neg_lo:[1,1,0]
	v_mul_lo_u32 v6, v6, v190
	s_delay_alu instid0(VALU_DEP_1) | instskip(SKIP_1) | instid1(VALU_DEP_2)
	v_mad_u32 v6, v7, v198, v6
	v_mul_f32_e32 v7, v182, v1
	v_cvt_f32_i32_e32 v6, v6
	s_delay_alu instid0(VALU_DEP_1) | instskip(SKIP_2) | instid1(VALU_DEP_3)
	v_mul_f32_e32 v115, v7, v6
	v_mul_i32_i24_e32 v6, v216, v201
	v_mul_i32_i24_e32 v7, v251, v209
	v_pk_add_f32 v[24:25], v[24:25], v[114:115]
	s_delay_alu instid0(VALU_DEP_3) | instskip(NEXT) | instid1(VALU_DEP_3)
	v_mad_i32_i24 v6, v227, v202, v6
	v_mad_i32_i24 v7, v252, v210, v7
	s_delay_alu instid0(VALU_DEP_2) | instskip(NEXT) | instid1(VALU_DEP_2)
	v_dot4_i32_iu8 v6, v2, v203, v6 neg_lo:[1,1,0]
	v_dot4_i32_iu8 v7, v222, v211, v7 neg_lo:[1,1,0]
	s_delay_alu instid0(VALU_DEP_2) | instskip(NEXT) | instid1(VALU_DEP_2)
	v_mad_i32_i24 v6, v234, v204, v6
	v_mad_i32_i24 v7, v253, v212, v7
	s_delay_alu instid0(VALU_DEP_2) | instskip(NEXT) | instid1(VALU_DEP_2)
	v_dot4_i32_iu8 v6, v3, v207, v6 neg_lo:[1,1,0]
	v_dot4_i32_iu8 v7, v223, v217, v7 neg_lo:[1,1,0]
	s_delay_alu instid0(VALU_DEP_2) | instskip(NEXT) | instid1(VALU_DEP_2)
	;; [unrolled: 6-line block ×3, first 2 shown]
	v_mad_i32_i24 v6, v206, v219, v6
	v_mad_i32_i24 v7, v214, v255, v7
	s_set_vgpr_msb 4                        ;  msbs: dst=0 src0=0 src1=1 src2=0
	s_delay_alu instid0(VALU_DEP_2) | instskip(SKIP_1) | instid1(VALU_DEP_2)
	v_dot4_i32_iu8 v6, v237, v0 /*v256*/, v6 neg_lo:[1,1,0]
	s_set_vgpr_msb 0                        ;  msbs: dst=0 src0=0 src1=0 src2=0
	v_dot4_i32_iu8 v7, v247, v225, v7 neg_lo:[1,1,0]
	s_delay_alu instid0(VALU_DEP_2) | instskip(NEXT) | instid1(VALU_DEP_1)
	v_mul_lo_u32 v6, v6, v208
	v_mad_u32 v6, v7, v221, v6
	v_mul_f32_e32 v7, v200, v1
	v_mul_f32_e32 v1, v0, v1
	s_delay_alu instid0(VALU_DEP_3) | instskip(NEXT) | instid1(VALU_DEP_1)
	v_cvt_f32_i32_e32 v6, v6
	v_mul_f32_e32 v219, v7, v6
	s_set_vgpr_msb 1                        ;  msbs: dst=0 src0=1 src1=0 src2=0
	v_mul_i32_i24_e32 v6, v14 /*v270*/, v216
	s_set_vgpr_msb 0                        ;  msbs: dst=0 src0=0 src1=0 src2=0
	s_delay_alu instid0(VALU_DEP_2) | instskip(SKIP_1) | instid1(VALU_DEP_2)
	v_pk_add_f32 v[22:23], v[22:23], v[218:219]
	s_set_vgpr_msb 1                        ;  msbs: dst=0 src0=1 src1=0 src2=0
	v_mad_i32_i24 v6, v3 /*v259*/, v227, v6
	s_delay_alu instid0(VALU_DEP_1) | instskip(SKIP_1) | instid1(VALU_DEP_1)
	v_dot4_i32_iu8 v2, v4 /*v260*/, v2, v6 neg_lo:[1,1,0]
	s_set_vgpr_msb 0                        ;  msbs: dst=0 src0=0 src1=0 src2=0
	v_mad_i32_i24 v2, v245, v234, v2
	s_delay_alu instid0(VALU_DEP_1) | instskip(SKIP_3) | instid1(VALU_DEP_2)
	v_dot4_i32_iu8 v2, v238, v3, v2 neg_lo:[1,1,0]
	s_set_vgpr_msb 1                        ;  msbs: dst=0 src0=1 src1=0 src2=0
	v_mul_i32_i24_e32 v3, v20 /*v276*/, v251
	s_set_vgpr_msb 4                        ;  msbs: dst=0 src0=0 src1=1 src2=0
	v_mad_i32_i24 v2, v250, v13 /*v269*/, v2
	s_set_vgpr_msb 1                        ;  msbs: dst=0 src0=1 src1=0 src2=0
	s_delay_alu instid0(VALU_DEP_2) | instskip(SKIP_1) | instid1(VALU_DEP_2)
	v_mad_i32_i24 v3, v17 /*v273*/, v252, v3
	s_set_vgpr_msb 0                        ;  msbs: dst=0 src0=0 src1=0 src2=0
	v_dot4_i32_iu8 v2, v4, v215, v2 neg_lo:[1,1,0]
	s_delay_alu instid0(VALU_DEP_2) | instskip(NEXT) | instid1(VALU_DEP_2)
	v_dot4_i32_iu8 v3, v220, v222, v3 neg_lo:[1,1,0]
	v_dot4_i32_iu8 v2, v232, v5, v2 neg_lo:[1,1,0]
	s_delay_alu instid0(VALU_DEP_2) | instskip(NEXT) | instid1(VALU_DEP_2)
	v_mad_i32_i24 v3, v246, v253, v3
	v_mul_lo_u32 v2, v2, v248
	s_delay_alu instid0(VALU_DEP_2) | instskip(SKIP_1) | instid1(VALU_DEP_1)
	v_dot4_i32_iu8 v3, v230, v223, v3 neg_lo:[1,1,0]
	s_set_vgpr_msb 4                        ;  msbs: dst=0 src0=0 src1=1 src2=0
	v_mad_i32_i24 v3, v254, v32 /*v288*/, v3
	s_set_vgpr_msb 0                        ;  msbs: dst=0 src0=0 src1=0 src2=0
	s_delay_alu instid0(VALU_DEP_1) | instskip(NEXT) | instid1(VALU_DEP_1)
	v_dot4_i32_iu8 v3, v224, v249, v3 neg_lo:[1,1,0]
	v_mad_i32_i24 v3, v231, v255, v3
	s_delay_alu instid0(VALU_DEP_1) | instskip(NEXT) | instid1(VALU_DEP_1)
	v_dot4_i32_iu8 v3, v199, v225, v3 neg_lo:[1,1,0]
	v_mad_u32 v2, v3, v239, v2
	s_delay_alu instid0(VALU_DEP_1) | instskip(NEXT) | instid1(VALU_DEP_1)
	v_cvt_f32_i32_e32 v2, v2
	v_dual_mul_f32 v227, v1, v2 :: v_dual_bitop2_b32 v1, s18, v143 bitop3:0x54
	s_delay_alu instid0(VALU_DEP_1) | instskip(NEXT) | instid1(VALU_DEP_2)
	v_pk_add_f32 v[20:21], v[20:21], v[226:227]
	v_dual_lshlrev_b32 v6, 2, v1 :: v_dual_lshrrev_b32 v1, 1, v1
	ds_load_b32 v1, v1 offset:38816
	ds_load_b128 v[2:5], v6 offset:25344
	ds_load_b128 v[222:225], v6 offset:25360
	s_wait_dscnt 0x1
	v_bfe_i32 v7, v2, 0, 8
	v_bfe_i32 v115, v2, 8, 8
	v_perm_b32 v2, v2, v2, 0xc0c0302
	v_bfe_i32 v218, v3, 0, 8
	v_perm_b32 v3, v3, v3, 0xc030201
	v_bfe_i32 v219, v4, 0, 8
	v_perm_b32 v4, v4, v4, 0xc030201
	v_bfe_i32 v216, v5, 0, 8
	v_perm_b32 v252, v5, v5, 0xc030201
	s_wait_dscnt 0x0
	v_bfe_i32 v226, v222, 0, 8
	v_bfe_i32 v227, v222, 8, 8
	v_perm_b32 v222, v222, v222, 0xc0c0302
	v_bfe_i32 v234, v223, 0, 8
	v_perm_b32 v223, v223, v223, 0xc030201
	;; [unrolled: 2-line block ×4, first 2 shown]
	v_mul_i32_i24_e32 v6, v7, v166
	v_mul_i32_i24_e32 v114, v226, v174
	;; [unrolled: 1-line block ×3, first 2 shown]
	s_delay_alu instid0(VALU_DEP_3) | instskip(NEXT) | instid1(VALU_DEP_3)
	v_mad_i32_i24 v6, v115, v167, v6
	v_mad_i32_i24 v114, v227, v175, v114
	s_delay_alu instid0(VALU_DEP_3) | instskip(NEXT) | instid1(VALU_DEP_3)
	v_mad_i32_i24 v253, v227, v192, v253
	v_dot4_i32_iu8 v6, v2, v168, v6 neg_lo:[1,1,0]
	s_delay_alu instid0(VALU_DEP_3) | instskip(NEXT) | instid1(VALU_DEP_3)
	v_dot4_i32_iu8 v114, v222, v176, v114 neg_lo:[1,1,0]
	v_dot4_i32_iu8 v253, v222, v193, v253 neg_lo:[1,1,0]
	s_delay_alu instid0(VALU_DEP_3) | instskip(NEXT) | instid1(VALU_DEP_3)
	v_mad_i32_i24 v6, v218, v170, v6
	v_mad_i32_i24 v114, v234, v178, v114
	s_delay_alu instid0(VALU_DEP_3) | instskip(NEXT) | instid1(VALU_DEP_3)
	v_mad_i32_i24 v253, v234, v194, v253
	v_dot4_i32_iu8 v6, v3, v172, v6 neg_lo:[1,1,0]
	s_delay_alu instid0(VALU_DEP_3) | instskip(NEXT) | instid1(VALU_DEP_3)
	v_dot4_i32_iu8 v114, v223, v180, v114 neg_lo:[1,1,0]
	v_dot4_i32_iu8 v253, v223, v197, v253 neg_lo:[1,1,0]
	;; [unrolled: 9-line block ×4, first 2 shown]
	s_delay_alu instid0(VALU_DEP_3) | instskip(NEXT) | instid1(VALU_DEP_1)
	v_mul_lo_u32 v6, v6, v173
	v_mad_u32 v6, v114, v181, v6
	v_mul_f32_e32 v114, v165, v1
	s_delay_alu instid0(VALU_DEP_2) | instskip(NEXT) | instid1(VALU_DEP_1)
	v_cvt_f32_i32_e32 v6, v6
	v_mul_f32_e32 v6, v114, v6
	v_mul_i32_i24_e32 v114, v7, v183
	s_delay_alu instid0(VALU_DEP_1) | instskip(NEXT) | instid1(VALU_DEP_1)
	v_mad_i32_i24 v114, v115, v184, v114
	v_dot4_i32_iu8 v114, v2, v185, v114 neg_lo:[1,1,0]
	s_delay_alu instid0(VALU_DEP_1) | instskip(NEXT) | instid1(VALU_DEP_1)
	v_mad_i32_i24 v114, v218, v186, v114
	v_dot4_i32_iu8 v114, v3, v189, v114 neg_lo:[1,1,0]
	;; [unrolled: 3-line block ×4, first 2 shown]
	s_delay_alu instid0(VALU_DEP_1) | instskip(NEXT) | instid1(VALU_DEP_1)
	v_mul_lo_u32 v114, v114, v190
	v_mad_u32 v114, v253, v198, v114
	v_mul_f32_e32 v253, v182, v1
	s_delay_alu instid0(VALU_DEP_2) | instskip(NEXT) | instid1(VALU_DEP_1)
	v_cvt_f32_i32_e32 v114, v114
	v_mul_f32_e32 v114, v253, v114
	v_mul_i32_i24_e32 v253, v7, v201
	s_set_vgpr_msb 1                        ;  msbs: dst=0 src0=1 src1=0 src2=0
	v_mul_i32_i24_e32 v7, v14 /*v270*/, v7
	s_set_vgpr_msb 0                        ;  msbs: dst=0 src0=0 src1=0 src2=0
	s_delay_alu instid0(VALU_DEP_2) | instskip(SKIP_1) | instid1(VALU_DEP_2)
	v_mad_i32_i24 v253, v115, v202, v253
	s_set_vgpr_msb 1                        ;  msbs: dst=0 src0=1 src1=0 src2=0
	v_mad_i32_i24 v7, v3 /*v259*/, v115, v7
	s_set_vgpr_msb 0                        ;  msbs: dst=0 src0=0 src1=0 src2=0
	s_delay_alu instid0(VALU_DEP_2) | instskip(SKIP_1) | instid1(VALU_DEP_2)
	v_dot4_i32_iu8 v253, v2, v203, v253 neg_lo:[1,1,0]
	s_set_vgpr_msb 1                        ;  msbs: dst=0 src0=1 src1=0 src2=0
	v_dot4_i32_iu8 v2, v4 /*v260*/, v2, v7 neg_lo:[1,1,0]
	s_set_vgpr_msb 0                        ;  msbs: dst=0 src0=0 src1=0 src2=0
	s_delay_alu instid0(VALU_DEP_2) | instskip(NEXT) | instid1(VALU_DEP_2)
	v_mad_i32_i24 v253, v218, v204, v253
	v_mad_i32_i24 v2, v245, v218, v2
	s_delay_alu instid0(VALU_DEP_2) | instskip(NEXT) | instid1(VALU_DEP_2)
	v_dot4_i32_iu8 v253, v3, v207, v253 neg_lo:[1,1,0]
	v_dot4_i32_iu8 v2, v238, v3, v2 neg_lo:[1,1,0]
	s_set_vgpr_msb 1                        ;  msbs: dst=0 src0=1 src1=0 src2=0
	v_mul_i32_i24_e32 v3, v20 /*v276*/, v226
	s_set_vgpr_msb 0                        ;  msbs: dst=0 src0=0 src1=0 src2=0
	v_mad_i32_i24 v253, v205, v219, v253
	s_set_vgpr_msb 4                        ;  msbs: dst=0 src0=0 src1=1 src2=0
	v_mad_i32_i24 v2, v219, v13 /*v269*/, v2
	s_set_vgpr_msb 1                        ;  msbs: dst=0 src0=1 src1=0 src2=0
	v_mad_i32_i24 v3, v17 /*v273*/, v227, v3
	s_set_vgpr_msb 0                        ;  msbs: dst=0 src0=0 src1=0 src2=0
	v_dot4_i32_iu8 v253, v236, v4, v253 neg_lo:[1,1,0]
	v_dot4_i32_iu8 v2, v4, v215, v2 neg_lo:[1,1,0]
	s_delay_alu instid0(VALU_DEP_3) | instskip(NEXT) | instid1(VALU_DEP_3)
	v_dot4_i32_iu8 v3, v220, v222, v3 neg_lo:[1,1,0]
	v_mad_i32_i24 v216, v206, v216, v253
	s_delay_alu instid0(VALU_DEP_3) | instskip(NEXT) | instid1(VALU_DEP_3)
	v_dot4_i32_iu8 v2, v232, v5, v2 neg_lo:[1,1,0]
	v_mad_i32_i24 v3, v246, v234, v3
	s_delay_alu instid0(VALU_DEP_3) | instskip(SKIP_1) | instid1(VALU_DEP_3)
	v_dot4_i32_iu8 v216, v237, v252, v216 neg_lo:[1,1,0]
	v_mul_i32_i24_e32 v252, v226, v209
	v_dot4_i32_iu8 v3, v230, v223, v3 neg_lo:[1,1,0]
	v_mul_lo_u32 v2, v2, v248
	s_delay_alu instid0(VALU_DEP_4) | instskip(NEXT) | instid1(VALU_DEP_4)
	v_mul_lo_u32 v216, v216, v208
	v_mad_i32_i24 v252, v227, v210, v252
	s_set_vgpr_msb 4                        ;  msbs: dst=0 src0=0 src1=1 src2=0
	v_mad_i32_i24 v3, v250, v32 /*v288*/, v3
	s_set_vgpr_msb 0                        ;  msbs: dst=0 src0=0 src1=0 src2=0
	s_delay_alu instid0(VALU_DEP_2) | instskip(NEXT) | instid1(VALU_DEP_2)
	v_dot4_i32_iu8 v252, v222, v211, v252 neg_lo:[1,1,0]
	v_dot4_i32_iu8 v3, v224, v249, v3 neg_lo:[1,1,0]
	s_delay_alu instid0(VALU_DEP_2) | instskip(NEXT) | instid1(VALU_DEP_2)
	v_mad_i32_i24 v252, v234, v212, v252
	v_mad_i32_i24 v3, v231, v251, v3
	s_delay_alu instid0(VALU_DEP_2) | instskip(NEXT) | instid1(VALU_DEP_2)
	v_dot4_i32_iu8 v252, v223, v217, v252 neg_lo:[1,1,0]
	v_dot4_i32_iu8 v3, v199, v225, v3 neg_lo:[1,1,0]
	s_delay_alu instid0(VALU_DEP_2) | instskip(NEXT) | instid1(VALU_DEP_2)
	v_mad_i32_i24 v252, v213, v250, v252
	v_mad_u32 v2, v3, v239, v2
	s_delay_alu instid0(VALU_DEP_2) | instskip(NEXT) | instid1(VALU_DEP_1)
	v_dot4_i32_iu8 v252, v244, v224, v252 neg_lo:[1,1,0]
	v_mad_i32_i24 v252, v214, v251, v252
	s_delay_alu instid0(VALU_DEP_3) | instskip(NEXT) | instid1(VALU_DEP_2)
	v_cvt_f32_i32_e32 v2, v2
	v_dot4_i32_iu8 v252, v247, v225, v252 neg_lo:[1,1,0]
	s_delay_alu instid0(VALU_DEP_1) | instskip(SKIP_2) | instid1(VALU_DEP_1)
	v_mad_u32 v216, v252, v221, v216
	v_mul_f32_e32 v252, v200, v1
	v_mul_f32_e32 v1, v0, v1
	v_dual_mul_f32 v218, v1, v2 :: v_dual_bitop2_b32 v1, s18, v144 bitop3:0x54
	s_delay_alu instid0(VALU_DEP_4) | instskip(NEXT) | instid1(VALU_DEP_2)
	v_cvt_f32_i32_e32 v216, v216
	v_dual_lshlrev_b32 v7, 2, v1 :: v_dual_lshrrev_b32 v1, 1, v1
	ds_load_b32 v1, v1 offset:38816
	ds_load_b128 v[2:5], v7 offset:25344
	ds_load_b128 v[222:225], v7 offset:25360
	v_mul_f32_e32 v216, v252, v216
	s_wait_dscnt 0x2
	v_mul_f32_e32 v0, v0, v1
	s_wait_dscnt 0x1
	v_bfe_i32 v219, v2, 0, 8
	v_bfe_i32 v226, v2, 8, 8
	v_perm_b32 v2, v2, v2, 0xc0c0302
	v_bfe_i32 v227, v3, 0, 8
	v_perm_b32 v3, v3, v3, 0xc030201
	v_bfe_i32 v234, v4, 0, 8
	v_perm_b32 v4, v4, v4, 0xc030201
	v_bfe_i32 v250, v5, 0, 8
	s_wait_dscnt 0x0
	v_bfe_i32 v251, v222, 0, 8
	v_bfe_i32 v252, v222, 8, 8
	;; [unrolled: 1-line block ×5, first 2 shown]
	v_mul_i32_i24_e32 v7, v219, v166
	v_perm_b32 v166, v5, v5, 0xc030201
	v_mul_i32_i24_e32 v115, v251, v174
	s_delay_alu instid0(VALU_DEP_3) | instskip(SKIP_1) | instid1(VALU_DEP_3)
	v_mad_i32_i24 v7, v226, v167, v7
	v_perm_b32 v167, v222, v222, 0xc0c0302
	v_mad_i32_i24 v115, v252, v175, v115
	s_delay_alu instid0(VALU_DEP_3) | instskip(SKIP_1) | instid1(VALU_DEP_3)
	v_dot4_i32_iu8 v7, v2, v168, v7 neg_lo:[1,1,0]
	v_perm_b32 v168, v223, v223, 0xc030201
	v_dot4_i32_iu8 v115, v167, v176, v115 neg_lo:[1,1,0]
	s_delay_alu instid0(VALU_DEP_3) | instskip(SKIP_1) | instid1(VALU_DEP_3)
	v_mad_i32_i24 v7, v227, v170, v7
	v_perm_b32 v170, v225, v225, 0xc030201
	v_mad_i32_i24 v115, v253, v178, v115
	s_delay_alu instid0(VALU_DEP_3) | instskip(NEXT) | instid1(VALU_DEP_2)
	v_dot4_i32_iu8 v7, v3, v172, v7 neg_lo:[1,1,0]
	v_dot4_i32_iu8 v115, v168, v180, v115 neg_lo:[1,1,0]
	s_delay_alu instid0(VALU_DEP_2) | instskip(SKIP_1) | instid1(VALU_DEP_3)
	v_mad_i32_i24 v7, v169, v234, v7
	v_perm_b32 v169, v224, v224, 0xc030201
	v_mad_i32_i24 v115, v177, v254, v115
	s_delay_alu instid0(VALU_DEP_3) | instskip(NEXT) | instid1(VALU_DEP_2)
	v_dot4_i32_iu8 v7, v228, v4, v7 neg_lo:[1,1,0]
	v_dot4_i32_iu8 v115, v233, v169, v115 neg_lo:[1,1,0]
	s_delay_alu instid0(VALU_DEP_2) | instskip(NEXT) | instid1(VALU_DEP_2)
	v_mad_i32_i24 v7, v171, v250, v7
	v_mad_i32_i24 v115, v179, v255, v115
	s_delay_alu instid0(VALU_DEP_2) | instskip(NEXT) | instid1(VALU_DEP_2)
	v_dot4_i32_iu8 v7, v229, v166, v7 neg_lo:[1,1,0]
	v_dot4_i32_iu8 v115, v235, v170, v115 neg_lo:[1,1,0]
	s_delay_alu instid0(VALU_DEP_2) | instskip(NEXT) | instid1(VALU_DEP_1)
	v_mul_lo_u32 v7, v7, v173
	v_mad_u32 v7, v115, v181, v7
	v_mul_f32_e32 v115, v165, v1
	s_delay_alu instid0(VALU_DEP_2) | instskip(NEXT) | instid1(VALU_DEP_1)
	v_cvt_f32_i32_e32 v7, v7
	v_mul_f32_e32 v7, v115, v7
	s_delay_alu instid0(VALU_DEP_1) | instskip(SKIP_2) | instid1(VALU_DEP_2)
	v_pk_add_f32 v[14:15], v[14:15], v[6:7]
	v_mul_i32_i24_e32 v6, v219, v183
	v_mul_i32_i24_e32 v7, v251, v191
	v_mad_i32_i24 v6, v226, v184, v6
	s_delay_alu instid0(VALU_DEP_2) | instskip(NEXT) | instid1(VALU_DEP_2)
	v_mad_i32_i24 v7, v252, v192, v7
	v_dot4_i32_iu8 v6, v2, v185, v6 neg_lo:[1,1,0]
	s_delay_alu instid0(VALU_DEP_2) | instskip(NEXT) | instid1(VALU_DEP_2)
	v_dot4_i32_iu8 v7, v167, v193, v7 neg_lo:[1,1,0]
	v_mad_i32_i24 v6, v227, v186, v6
	s_delay_alu instid0(VALU_DEP_2) | instskip(NEXT) | instid1(VALU_DEP_2)
	v_mad_i32_i24 v7, v253, v194, v7
	v_dot4_i32_iu8 v6, v3, v189, v6 neg_lo:[1,1,0]
	s_delay_alu instid0(VALU_DEP_2) | instskip(NEXT) | instid1(VALU_DEP_2)
	v_dot4_i32_iu8 v7, v168, v197, v7 neg_lo:[1,1,0]
	;; [unrolled: 6-line block ×4, first 2 shown]
	v_mul_lo_u32 v6, v6, v190
	s_delay_alu instid0(VALU_DEP_1) | instskip(SKIP_1) | instid1(VALU_DEP_2)
	v_mad_u32 v6, v7, v198, v6
	v_mul_f32_e32 v7, v182, v1
	v_cvt_f32_i32_e32 v6, v6
	s_delay_alu instid0(VALU_DEP_1) | instskip(SKIP_2) | instid1(VALU_DEP_3)
	v_mul_f32_e32 v115, v7, v6
	v_mul_i32_i24_e32 v6, v219, v201
	v_mul_i32_i24_e32 v7, v251, v209
	v_pk_add_f32 v[12:13], v[12:13], v[114:115]
	s_delay_alu instid0(VALU_DEP_3) | instskip(NEXT) | instid1(VALU_DEP_3)
	v_mad_i32_i24 v6, v226, v202, v6
	v_mad_i32_i24 v7, v252, v210, v7
	s_delay_alu instid0(VALU_DEP_2) | instskip(NEXT) | instid1(VALU_DEP_2)
	v_dot4_i32_iu8 v6, v2, v203, v6 neg_lo:[1,1,0]
	v_dot4_i32_iu8 v7, v167, v211, v7 neg_lo:[1,1,0]
	s_delay_alu instid0(VALU_DEP_2) | instskip(NEXT) | instid1(VALU_DEP_2)
	v_mad_i32_i24 v6, v227, v204, v6
	v_mad_i32_i24 v7, v253, v212, v7
	s_delay_alu instid0(VALU_DEP_2) | instskip(NEXT) | instid1(VALU_DEP_2)
	v_dot4_i32_iu8 v6, v3, v207, v6 neg_lo:[1,1,0]
	v_dot4_i32_iu8 v7, v168, v217, v7 neg_lo:[1,1,0]
	s_delay_alu instid0(VALU_DEP_2) | instskip(NEXT) | instid1(VALU_DEP_2)
	;; [unrolled: 6-line block ×3, first 2 shown]
	v_mad_i32_i24 v6, v206, v250, v6
	v_mad_i32_i24 v7, v214, v255, v7
	s_delay_alu instid0(VALU_DEP_2) | instskip(NEXT) | instid1(VALU_DEP_2)
	v_dot4_i32_iu8 v6, v237, v166, v6 neg_lo:[1,1,0]
	v_dot4_i32_iu8 v7, v247, v170, v7 neg_lo:[1,1,0]
	s_delay_alu instid0(VALU_DEP_2) | instskip(NEXT) | instid1(VALU_DEP_1)
	v_mul_lo_u32 v6, v6, v208
	v_mad_u32 v6, v7, v221, v6
	v_mul_f32_e32 v7, v200, v1
	s_delay_alu instid0(VALU_DEP_2) | instskip(NEXT) | instid1(VALU_DEP_1)
	v_cvt_f32_i32_e32 v6, v6
	v_mul_f32_e32 v217, v7, v6
	s_set_vgpr_msb 1                        ;  msbs: dst=0 src0=1 src1=0 src2=0
	v_mul_i32_i24_e32 v6, v14 /*v270*/, v219
	s_set_vgpr_msb 0                        ;  msbs: dst=0 src0=0 src1=0 src2=0
	s_delay_alu instid0(VALU_DEP_2) | instskip(SKIP_1) | instid1(VALU_DEP_2)
	v_pk_add_f32 v[10:11], v[10:11], v[216:217]
	s_set_vgpr_msb 1                        ;  msbs: dst=0 src0=1 src1=0 src2=0
	v_mad_i32_i24 v6, v3 /*v259*/, v226, v6
	s_delay_alu instid0(VALU_DEP_1) | instskip(SKIP_1) | instid1(VALU_DEP_1)
	v_dot4_i32_iu8 v2, v4 /*v260*/, v2, v6 neg_lo:[1,1,0]
	s_set_vgpr_msb 0                        ;  msbs: dst=0 src0=0 src1=0 src2=0
	v_mad_i32_i24 v2, v245, v227, v2
	s_delay_alu instid0(VALU_DEP_1) | instskip(SKIP_3) | instid1(VALU_DEP_2)
	v_dot4_i32_iu8 v2, v238, v3, v2 neg_lo:[1,1,0]
	s_set_vgpr_msb 1                        ;  msbs: dst=0 src0=1 src1=0 src2=0
	v_mul_i32_i24_e32 v3, v20 /*v276*/, v251
	s_set_vgpr_msb 4                        ;  msbs: dst=0 src0=0 src1=1 src2=0
	v_mad_i32_i24 v2, v234, v13 /*v269*/, v2
	s_set_vgpr_msb 1                        ;  msbs: dst=0 src0=1 src1=0 src2=0
	s_delay_alu instid0(VALU_DEP_2) | instskip(SKIP_1) | instid1(VALU_DEP_2)
	v_mad_i32_i24 v3, v17 /*v273*/, v252, v3
	s_set_vgpr_msb 0                        ;  msbs: dst=0 src0=0 src1=0 src2=0
	v_dot4_i32_iu8 v2, v4, v215, v2 neg_lo:[1,1,0]
	s_delay_alu instid0(VALU_DEP_2) | instskip(NEXT) | instid1(VALU_DEP_2)
	v_dot4_i32_iu8 v3, v220, v167, v3 neg_lo:[1,1,0]
	v_dot4_i32_iu8 v2, v232, v5, v2 neg_lo:[1,1,0]
	s_delay_alu instid0(VALU_DEP_2) | instskip(NEXT) | instid1(VALU_DEP_2)
	v_mad_i32_i24 v3, v246, v253, v3
	v_mul_lo_u32 v2, v2, v248
	s_delay_alu instid0(VALU_DEP_2) | instskip(SKIP_1) | instid1(VALU_DEP_1)
	v_dot4_i32_iu8 v3, v230, v168, v3 neg_lo:[1,1,0]
	s_set_vgpr_msb 4                        ;  msbs: dst=0 src0=0 src1=1 src2=0
	v_mad_i32_i24 v3, v254, v32 /*v288*/, v3
	s_set_vgpr_msb 0                        ;  msbs: dst=0 src0=0 src1=0 src2=0
	s_delay_alu instid0(VALU_DEP_1) | instskip(NEXT) | instid1(VALU_DEP_1)
	v_dot4_i32_iu8 v3, v169, v249, v3 neg_lo:[1,1,0]
	v_mad_i32_i24 v3, v231, v255, v3
	s_delay_alu instid0(VALU_DEP_1) | instskip(NEXT) | instid1(VALU_DEP_1)
	v_dot4_i32_iu8 v3, v199, v170, v3 neg_lo:[1,1,0]
	v_mad_u32 v2, v3, v239, v2
	s_delay_alu instid0(VALU_DEP_1) | instskip(NEXT) | instid1(VALU_DEP_1)
	v_cvt_f32_i32_e32 v1, v2
	v_mul_f32_e32 v219, v0, v1
	s_delay_alu instid0(VALU_DEP_1)
	v_pk_add_f32 v[8:9], v[8:9], v[218:219]
	s_cbranch_scc1 .LBB170_10
; %bb.11:                               ;   in Loop: Header=BB170_8 Depth=2
	v_lshl_add_u32 v0, s16, 5, v19
	v_lshl_add_u32 v1, s16, 2, v164
	s_barrier_signal -1
	s_barrier_wait -1
	s_delay_alu instid0(VALU_DEP_2) | instskip(SKIP_1) | instid1(SALU_CYCLE_1)
	v_lshrrev_b32_e32 v0, 3, v0
	s_add_co_i32 s10, s10, 2
	s_lshl_b32 s16, s10, 3
	s_delay_alu instid0(VALU_DEP_1) | instskip(SKIP_1) | instid1(VALU_DEP_2)
	v_add_nc_u32_e32 v2, s7, v0
	v_mad_nc_u64_u32 v[0:1], v1, 36, s[2:3]
	v_dual_add_nc_u32 v3, v2, v137 :: v_dual_add_nc_u32 v168, v2, v134
	v_dual_add_nc_u32 v4, v2, v130 :: v_dual_add_nc_u32 v6, v2, v131
	;; [unrolled: 1-line block ×4, first 2 shown]
	s_delay_alu instid0(VALU_DEP_4) | instskip(NEXT) | instid1(VALU_DEP_4)
	v_mad_nc_i64_i32 v[2:3], v3, 36, v[50:51]
	v_mad_nc_i64_i32 v[4:5], v4, 36, v[50:51]
	;; [unrolled: 1-line block ×8, first 2 shown]
	s_clause 0x8
	global_load_b32 v165, v[0:1], off
	global_load_b32 v174, v[2:3], off offset:4
	global_load_b32 v175, v[4:5], off offset:4
	;; [unrolled: 1-line block ×8, first 2 shown]
	s_wait_loadcnt 0x8
	s_wait_xcnt 0x8
	v_cvt_f32_f16_e64 v0, v165
	s_wait_loadcnt 0x7
	ds_store_b32 v103, v174
	s_wait_loadcnt 0x6
	ds_store_b32 v89, v175
	;; [unrolled: 2-line block ×8, first 2 shown]
	ds_store_b32 v129, v0
	s_wait_dscnt 0x0
	s_barrier_signal -1
	s_barrier_wait -1
.LBB170_12:                             ;   Parent Loop BB170_6 Depth=1
                                        ;     Parent Loop BB170_8 Depth=2
                                        ; =>    This Inner Loop Header: Depth=3
	s_lshl_b32 s17, s11, 2
	s_and_b32 s19, s11, 6
	s_and_b32 s17, s17, 24
	;; [unrolled: 1-line block ×3, first 2 shown]
	v_or_b32_e32 v0, s17, v160
	v_lshl_add_u32 v215, s21, 2, v161
	s_lshr_b32 s20, s11, 4
	s_bfe_u32 s18, s11, 0x30001
	s_lshl_b32 s22, s20, 2
	v_dual_lshlrev_b32 v4, 2, v0 :: v_dual_lshrrev_b32 v0, 1, v0
	s_lshl_b32 s20, s20, 5
	s_and_b32 s21, s11, -2
	s_addk_co_i32 s20, 0x4200
	ds_load_b32 v115, v0 offset:38816
	ds_load_b128 v[0:3], v4 offset:25344
	ds_load_b128 v[4:7], v4 offset:25360
	ds_load_2addr_b32 v[166:167], v215 offset1:1
	v_add3_u32 v172, s20, v151, v162
	s_add_co_i32 s22, s22, 0x9380
	s_add_co_i32 s11, s11, 2
	s_delay_alu instid0(SALU_CYCLE_1)
	s_cmp_lt_u32 s11, s16
	ds_load_2addr_b32 v[168:169], v172 offset1:1
	s_wait_dscnt 0x3
	v_bfe_i32 v207, v0, 0, 8
	v_bfe_i32 v208, v0, 8, 8
	s_wait_dscnt 0x1
	v_ashrrev_i32_e32 v165, s19, v166
	v_bfe_i32 v230, v3, 8, 8
	v_perm_b32 v239, v0, v0, 0xc0c0302
	v_bfe_i32 v205, v1, 0, 8
	v_bfe_i32 v202, v2, 0, 8
	v_and_b32_e32 v166, 0x3030303, v165
	v_bfe_u32 v165, v165, 24, 2
	v_bfe_i32 v228, v2, 8, 8
	s_wait_dscnt 0x0
	v_ashrrev_i32_e32 v168, s18, v168
	v_perm_b32 v231, v1, v1, 0xc030201
	v_lshrrev_b32_e32 v171, 16, v166
	v_lshrrev_b16 v170, 8, v166
	v_bfe_i32 v229, v3, 0, 8
	v_lshlrev_b32_e32 v168, 2, v168
	v_perm_b32 v232, v2, v2, 0xc0c0302
	v_bfe_i32 v203, v4, 0, 8
	v_bfe_i32 v204, v4, 8, 8
	v_perm_b32 v233, v3, v3, 0xc0c0302
	v_and_b32_e32 v168, 0x4040404, v168
	v_bfe_i32 v237, v7, 8, 8
	v_perm_b32 v241, v4, v4, 0xc0c0302
	v_bfe_i32 v200, v5, 0, 8
	v_bfe_i32 v114, v6, 0, 8
	v_dual_lshrrev_b32 v174, 24, v168 :: v_dual_lshrrev_b32 v175, 16, v168
	v_lshrrev_b16 v173, 8, v168
	v_bfe_i32 v236, v6, 8, 8
	v_perm_b32 v238, v5, v5, 0xc030201
	s_delay_alu instid0(VALU_DEP_4)
	v_sub_nc_u16 v165, v165, v174
	v_sub_nc_u16 v171, v171, v175
	v_bfe_i32 v182, v7, 0, 8
	v_perm_b32 v242, v6, v6, 0xc0c0302
	v_perm_b32 v243, v7, v7, 0xc0c0302
	v_lshlrev_b16 v165, 8, v165
	v_bfe_i32 v206, v1, 8, 8
	v_perm_b32 v1, v1, v1, 0xc0c0302
	v_bfe_i32 v201, v5, 8, 8
	v_perm_b32 v5, v5, v5, 0xc0c0302
	v_bitop3_b16 v174, v171, v165, 0xff bitop3:0xec
	v_sub_nc_u16 v165, v170, v173
	v_sub_nc_u16 v173, v166, v168
	v_perm_b32 v6, v6, v6, 0xc030201
	v_perm_b32 v7, v7, v7, 0xc030201
	;; [unrolled: 1-line block ×3, first 2 shown]
	v_lshlrev_b16 v170, 8, v165
	v_dual_ashrrev_i32 v165, s19, v167 :: v_dual_ashrrev_i32 v169, s18, v169
	s_delay_alu instid0(VALU_DEP_1) | instskip(SKIP_1) | instid1(VALU_DEP_2)
	v_and_b32_e32 v166, 0x3030303, v165
	v_bfe_u32 v165, v165, 24, 2
	v_dual_lshlrev_b32 v169, 2, v169 :: v_dual_lshrrev_b32 v168, 16, v166
	v_lshrrev_b16 v167, 8, v166
	s_delay_alu instid0(VALU_DEP_2) | instskip(NEXT) | instid1(VALU_DEP_1)
	v_and_b32_e32 v169, 0x4040404, v169
	v_dual_lshrrev_b32 v176, 24, v169 :: v_dual_lshrrev_b32 v177, 16, v169
	v_lshrrev_b16 v175, 8, v169
	v_sub_nc_u16 v178, v166, v169
	s_delay_alu instid0(VALU_DEP_3) | instskip(NEXT) | instid1(VALU_DEP_4)
	v_sub_nc_u16 v165, v165, v176
	v_sub_nc_u16 v177, v168, v177
	ds_load_2addr_b32 v[168:169], v172 offset0:2 offset1:3
	v_lshlrev_b16 v165, 8, v165
	s_delay_alu instid0(VALU_DEP_1) | instskip(SKIP_3) | instid1(VALU_DEP_1)
	v_bitop3_b16 v176, v177, v165, 0xff bitop3:0xec
	v_sub_nc_u16 v165, v167, v175
	ds_load_2addr_b32 v[166:167], v215 offset0:2 offset1:3
	v_lshlrev_b16 v175, 8, v165
	v_perm_b32 v175, v175, v175, 0xc0c0c01
	s_wait_dscnt 0x1
	v_dual_ashrrev_i32 v168, s18, v168 :: v_dual_ashrrev_i32 v169, s18, v169
	s_delay_alu instid0(VALU_DEP_1) | instskip(SKIP_2) | instid1(VALU_DEP_2)
	v_dual_lshlrev_b32 v168, 2, v168 :: v_dual_lshlrev_b32 v169, 2, v169
	s_wait_dscnt 0x0
	v_ashrrev_i32_e32 v165, s19, v166
	v_and_b32_e32 v168, 0x4040404, v168
	s_delay_alu instid0(VALU_DEP_3) | instskip(NEXT) | instid1(VALU_DEP_3)
	v_and_b32_e32 v169, 0x4040404, v169
	v_and_b32_e32 v166, 0x3030303, v165
	v_bfe_u32 v165, v165, 24, 2
	s_delay_alu instid0(VALU_DEP_4) | instskip(SKIP_1) | instid1(VALU_DEP_4)
	v_dual_lshrrev_b32 v183, 24, v168 :: v_dual_lshrrev_b32 v184, 16, v168
	v_lshrrev_b16 v181, 8, v168
	v_lshrrev_b32_e32 v180, 16, v166
	v_lshrrev_b16 v179, 8, v166
	s_delay_alu instid0(VALU_DEP_4) | instskip(SKIP_1) | instid1(VALU_DEP_4)
	v_sub_nc_u16 v165, v165, v183
	v_lshrrev_b32_e32 v183, 16, v169
	v_sub_nc_u16 v209, v180, v184
	v_sub_nc_u16 v180, v166, v168
	s_delay_alu instid0(VALU_DEP_4) | instskip(NEXT) | instid1(VALU_DEP_1)
	v_lshlrev_b16 v165, 8, v165
	v_bitop3_b16 v210, v209, v165, 0xff bitop3:0xec
	v_sub_nc_u16 v165, v179, v181
	v_lshrrev_b32_e32 v181, 24, v169
	v_lshrrev_b16 v179, 8, v169
	s_delay_alu instid0(VALU_DEP_3) | instskip(SKIP_1) | instid1(VALU_DEP_1)
	v_lshlrev_b16 v211, 8, v165
	v_ashrrev_i32_e32 v165, s19, v167
	v_and_b32_e32 v166, 0x3030303, v165
	v_bfe_u32 v165, v165, 24, 2
	s_delay_alu instid0(VALU_DEP_2) | instskip(SKIP_1) | instid1(VALU_DEP_3)
	v_lshrrev_b32_e32 v168, 16, v166
	v_lshrrev_b16 v167, 8, v166
	v_sub_nc_u16 v165, v165, v181
	v_sub_nc_u16 v181, v166, v169
	s_delay_alu instid0(VALU_DEP_4) | instskip(SKIP_2) | instid1(VALU_DEP_1)
	v_sub_nc_u16 v212, v168, v183
	ds_load_2addr_b32 v[168:169], v172 offset0:4 offset1:5
	v_lshlrev_b16 v165, 8, v165
	v_bitop3_b16 v213, v212, v165, 0xff bitop3:0xec
	v_sub_nc_u16 v165, v167, v179
	ds_load_2addr_b32 v[166:167], v215 offset0:4 offset1:5
	v_lshlrev_b16 v214, 8, v165
	s_wait_dscnt 0x1
	v_dual_ashrrev_i32 v168, s18, v168 :: v_dual_ashrrev_i32 v169, s18, v169
	s_delay_alu instid0(VALU_DEP_1) | instskip(SKIP_2) | instid1(VALU_DEP_2)
	v_dual_lshlrev_b32 v168, 2, v168 :: v_dual_lshlrev_b32 v169, 2, v169
	s_wait_dscnt 0x0
	v_ashrrev_i32_e32 v165, s19, v166
	v_and_b32_e32 v168, 0x4040404, v168
	s_delay_alu instid0(VALU_DEP_3) | instskip(NEXT) | instid1(VALU_DEP_3)
	v_and_b32_e32 v169, 0x4040404, v169
	v_and_b32_e32 v166, 0x3030303, v165
	v_bfe_u32 v165, v165, 24, 2
	s_delay_alu instid0(VALU_DEP_4) | instskip(SKIP_1) | instid1(VALU_DEP_4)
	v_dual_lshrrev_b32 v185, 24, v168 :: v_dual_lshrrev_b32 v186, 16, v168
	v_lshrrev_b16 v184, 8, v168
	v_lshrrev_b32_e32 v183, 16, v166
	v_lshrrev_b16 v179, 8, v166
	s_delay_alu instid0(VALU_DEP_4) | instskip(SKIP_1) | instid1(VALU_DEP_4)
	v_sub_nc_u16 v165, v165, v185
	v_dual_lshrrev_b32 v187, 24, v169 :: v_dual_lshrrev_b32 v188, 16, v169
	v_sub_nc_u16 v183, v183, v186
	v_lshrrev_b16 v186, 8, v169
	s_delay_alu instid0(VALU_DEP_4) | instskip(NEXT) | instid1(VALU_DEP_1)
	v_lshlrev_b16 v165, 8, v165
	v_bitop3_b16 v185, v183, v165, 0xff bitop3:0xec
	v_sub_nc_u16 v165, v179, v184
	v_sub_nc_u16 v184, v166, v168
	s_delay_alu instid0(VALU_DEP_2) | instskip(SKIP_1) | instid1(VALU_DEP_1)
	v_lshlrev_b16 v179, 8, v165
	v_ashrrev_i32_e32 v165, s19, v167
	v_and_b32_e32 v166, 0x3030303, v165
	v_bfe_u32 v165, v165, 24, 2
	s_delay_alu instid0(VALU_DEP_2) | instskip(SKIP_2) | instid1(VALU_DEP_4)
	v_lshrrev_b32_e32 v168, 16, v166
	v_lshrrev_b16 v167, 8, v166
	v_sub_nc_u16 v189, v166, v169
	v_sub_nc_u16 v165, v165, v187
	s_delay_alu instid0(VALU_DEP_4) | instskip(SKIP_2) | instid1(VALU_DEP_1)
	v_sub_nc_u16 v188, v168, v188
	ds_load_2addr_b32 v[168:169], v172 offset0:6 offset1:7
	v_lshlrev_b16 v165, 8, v165
	v_bitop3_b16 v187, v188, v165, 0xff bitop3:0xec
	v_sub_nc_u16 v165, v167, v186
	ds_load_2addr_b32 v[166:167], v215 offset0:6 offset1:7
	v_lshlrev_b16 v186, 8, v165
	s_delay_alu instid0(VALU_DEP_1) | instskip(SKIP_2) | instid1(VALU_DEP_1)
	v_perm_b32 v186, v186, v186, 0xc0c0c01
	s_wait_dscnt 0x1
	v_dual_ashrrev_i32 v168, s18, v168 :: v_dual_ashrrev_i32 v169, s18, v169
	v_dual_lshlrev_b32 v168, 2, v168 :: v_dual_lshlrev_b32 v169, 2, v169
	s_wait_dscnt 0x0
	v_ashrrev_i32_e32 v165, s19, v166
	s_delay_alu instid0(VALU_DEP_2) | instskip(NEXT) | instid1(VALU_DEP_3)
	v_and_b32_e32 v168, 0x4040404, v168
	v_and_b32_e32 v169, 0x4040404, v169
	s_delay_alu instid0(VALU_DEP_3) | instskip(SKIP_1) | instid1(VALU_DEP_4)
	v_and_b32_e32 v166, 0x3030303, v165
	v_bfe_u32 v165, v165, 24, 2
	v_dual_lshrrev_b32 v192, 24, v168 :: v_dual_lshrrev_b32 v193, 16, v168
	v_lshrrev_b16 v172, 8, v168
	s_delay_alu instid0(VALU_DEP_4) | instskip(SKIP_1) | instid1(VALU_DEP_4)
	v_lshrrev_b32_e32 v191, 16, v166
	v_lshrrev_b16 v190, 8, v166
	v_sub_nc_u16 v165, v165, v192
	v_lshrrev_b32_e32 v192, 16, v169
	s_delay_alu instid0(VALU_DEP_4) | instskip(SKIP_1) | instid1(VALU_DEP_4)
	v_sub_nc_u16 v216, v191, v193
	v_sub_nc_u16 v191, v166, v168
	v_lshlrev_b16 v165, 8, v165
	s_delay_alu instid0(VALU_DEP_1) | instskip(SKIP_3) | instid1(VALU_DEP_3)
	v_bitop3_b16 v217, v216, v165, 0xff bitop3:0xec
	v_sub_nc_u16 v165, v190, v172
	v_lshrrev_b32_e32 v190, 24, v169
	v_lshrrev_b16 v172, 8, v169
	v_lshlrev_b16 v218, 8, v165
	v_ashrrev_i32_e32 v165, s19, v167
	s_delay_alu instid0(VALU_DEP_1) | instskip(SKIP_1) | instid1(VALU_DEP_2)
	v_and_b32_e32 v166, 0x3030303, v165
	v_bfe_u32 v165, v165, 24, 2
	v_lshrrev_b32_e32 v168, 16, v166
	v_lshrrev_b16 v167, 8, v166
	s_delay_alu instid0(VALU_DEP_3)
	v_sub_nc_u16 v165, v165, v190
	v_sub_nc_u16 v190, v166, v169
	v_bfe_i32 v166, v173, 0, 8
	v_sub_nc_u16 v220, v168, v192
	v_add_nc_u32_e32 v192, s21, v55
	v_lshlrev_b16 v165, 8, v165
	s_delay_alu instid0(VALU_DEP_4) | instskip(NEXT) | instid1(VALU_DEP_2)
	v_mul_i32_i24_e32 v168, v166, v207
	v_bitop3_b16 v221, v220, v165, 0xff bitop3:0xec
	v_sub_nc_u16 v165, v167, v172
	v_bfe_i32 v167, v170, 8, 8
	v_bfe_i32 v172, v214, 8, 8
	;; [unrolled: 1-line block ×3, first 2 shown]
	s_delay_alu instid0(VALU_DEP_4) | instskip(NEXT) | instid1(VALU_DEP_4)
	v_lshlrev_b16 v222, 8, v165
	v_mad_i32_i24 v169, v167, v208, v168
	v_perm_b32 v168, v174, v171, 0xc0c0500
	v_add3_u32 v165, s22, v163, v153
	v_bfe_i32 v171, v211, 8, 8
	s_delay_alu instid0(VALU_DEP_3)
	v_dot4_i32_iu8 v0, v168, v239, v169 neg_lo:[1,1,0]
	v_bfe_i32 v169, v180, 0, 8
	v_mul_i32_i24_e32 v180, v230, v172
	v_perm_b32 v172, v176, v177, 0xc05000c
	ds_load_b32 v165, v165
	v_mul_i32_i24_e32 v174, v228, v171
	v_bfe_i32 v171, v181, 0, 8
	v_mad_i32_i24 v0, v170, v205, v0
	v_or_b32_e32 v172, v172, v175
	v_mul_i32_i24_e32 v173, v202, v169
	v_bfe_i32 v175, v179, 8, 8
	v_mul_i32_i24_e32 v178, v229, v171
	v_bfe_i32 v179, v218, 8, 8
	v_dot4_i32_iu8 v0, v172, v231, v0 neg_lo:[1,1,0]
	s_delay_alu instid0(VALU_DEP_1)
	v_add3_u32 v0, v0, v173, v174
	v_perm_b32 v173, v210, v209, 0xc0c0500
	v_bfe_i32 v174, v184, 0, 8
	v_mul_i32_i24_e32 v184, v236, v179
	v_bfe_i32 v179, v190, 0, 8
	v_perm_b32 v209, v210, v209, 0xc05000c
	v_perm_b32 v210, v211, v211, 0xc0c0c01
	;; [unrolled: 1-line block ×3, first 2 shown]
	v_dot4_i32_iu8 v0, v232, v173, v0 neg_lo:[1,1,0]
	v_mul_i32_i24_e32 v176, v174, v203
	v_perm_b32 v173, v213, v212, 0xc0c0500
	v_perm_b32 v212, v214, v214, 0xc0c0c01
	;; [unrolled: 1-line block ×4, first 2 shown]
	v_add3_u32 v0, v0, v178, v180
	v_mad_i32_i24 v177, v175, v204, v176
	v_perm_b32 v176, v185, v183, 0xc0c0500
	v_bfe_i32 v180, v222, 8, 8
	v_bfe_i32 v178, v189, 0, 8
	v_mul_i32_i24_e32 v185, v182, v179
	v_or_b32_e32 v211, v211, v212
	v_or_b32_e32 v213, v213, v214
	v_perm_b32 v214, v221, v220, 0xc05000c
	v_dot4_i32_iu8 v0, v233, v173, v0 neg_lo:[1,1,0]
	ds_load_u16 v173, v192
	v_dot4_i32_iu8 v4, v176, v241, v177 neg_lo:[1,1,0]
	v_mul_i32_i24_e32 v189, v237, v180
	v_perm_b32 v180, v187, v188, 0xc05000c
	v_bfe_i32 v177, v191, 0, 8
	v_or_b32_e32 v209, v209, v210
	v_mad_i32_i24 v4, v178, v200, v4
	s_delay_alu instid0(VALU_DEP_4) | instskip(NEXT) | instid1(VALU_DEP_4)
	v_or_b32_e32 v180, v180, v186
	v_mul_i32_i24_e32 v183, v114, v177
	s_delay_alu instid0(VALU_DEP_2) | instskip(NEXT) | instid1(VALU_DEP_1)
	v_dot4_i32_iu8 v4, v180, v238, v4 neg_lo:[1,1,0]
	v_add3_u32 v4, v4, v183, v184
	v_perm_b32 v183, v217, v216, 0xc0c0500
	s_wait_dscnt 0x0
	v_lshrrev_b16 v181, 8, v173
	v_bfe_i32 v173, v173, 0, 8
	v_perm_b32 v216, v222, v222, 0xc0c0c01
	v_dot4_i32_iu8 v4, v242, v183, v4 neg_lo:[1,1,0]
	v_perm_b32 v183, v221, v220, 0xc0c0500
	s_delay_alu instid0(VALU_DEP_4) | instskip(SKIP_1) | instid1(VALU_DEP_4)
	v_mul_lo_u32 v0, v0, v173
	v_bfe_i32 v181, v181, 0, 8
	v_add3_u32 v4, v4, v185, v189
	v_add3_u32 v189, s20, v154, v145
	s_delay_alu instid0(VALU_DEP_2) | instskip(SKIP_3) | instid1(VALU_DEP_2)
	v_dot4_i32_iu8 v4, v243, v183, v4 neg_lo:[1,1,0]
	ds_load_2addr_b32 v[186:187], v189 offset1:1
	v_mad_u32 v0, v4, v181, v0
	v_mul_f32_e32 v4, v115, v165
	v_cvt_f32_i32_e32 v0, v0
	s_delay_alu instid0(VALU_DEP_1)
	v_mul_f32_e32 v4, v4, v0
	v_add_nc_u32_e32 v0, 0x1080, v215
	s_wait_dscnt 0x0
	v_ashrrev_i32_e32 v187, s18, v187
	ds_load_2addr_b32 v[184:185], v0 offset1:1
	v_dual_ashrrev_i32 v186, s18, v186 :: v_dual_lshlrev_b32 v187, 2, v187
	s_delay_alu instid0(VALU_DEP_1) | instskip(NEXT) | instid1(VALU_DEP_2)
	v_lshlrev_b32_e32 v186, 2, v186
	v_and_b32_e32 v187, 0x4040404, v187
	s_delay_alu instid0(VALU_DEP_2) | instskip(NEXT) | instid1(VALU_DEP_2)
	v_and_b32_e32 v186, 0x4040404, v186
	v_dual_lshrrev_b32 v193, 24, v187 :: v_dual_lshrrev_b32 v194, 16, v187
	s_delay_alu instid0(VALU_DEP_2) | instskip(SKIP_3) | instid1(VALU_DEP_1)
	v_lshrrev_b16 v190, 8, v186
	v_dual_lshrrev_b32 v191, 24, v186 :: v_dual_lshrrev_b32 v192, 16, v186
	s_wait_dscnt 0x0
	v_ashrrev_i32_e32 v0, s19, v184
	v_and_b32_e32 v183, 0x3030303, v0
	v_bfe_u32 v0, v0, 24, 2
	s_delay_alu instid0(VALU_DEP_2) | instskip(SKIP_1) | instid1(VALU_DEP_3)
	v_lshrrev_b16 v184, 8, v183
	v_lshrrev_b32_e32 v188, 16, v183
	v_sub_nc_u16 v0, v0, v191
	v_sub_nc_u16 v191, v183, v186
	v_ashrrev_i32_e32 v183, s19, v185
	v_sub_nc_u16 v184, v184, v190
	v_sub_nc_u16 v188, v188, v192
	v_lshrrev_b16 v192, 8, v187
	v_lshlrev_b16 v0, 8, v0
	s_delay_alu instid0(VALU_DEP_4) | instskip(SKIP_2) | instid1(VALU_DEP_4)
	v_lshlrev_b16 v190, 8, v184
	v_and_b32_e32 v184, 0x3030303, v183
	v_bfe_u32 v183, v183, 24, 2
	v_bitop3_b16 v0, v188, v0, 0xff bitop3:0xec
	s_delay_alu instid0(VALU_DEP_3) | instskip(NEXT) | instid1(VALU_DEP_3)
	v_lshrrev_b32_e32 v186, 16, v184
	v_sub_nc_u16 v183, v183, v193
	v_lshrrev_b16 v185, 8, v184
	v_sub_nc_u16 v195, v184, v187
	s_delay_alu instid0(VALU_DEP_4) | instskip(NEXT) | instid1(VALU_DEP_4)
	v_sub_nc_u16 v194, v186, v194
	v_lshlrev_b16 v183, 8, v183
	ds_load_2addr_b32 v[186:187], v189 offset0:2 offset1:3
	v_bitop3_b16 v193, v194, v183, 0xff bitop3:0xec
	v_sub_nc_u16 v183, v185, v192
	s_delay_alu instid0(VALU_DEP_1) | instskip(SKIP_1) | instid1(VALU_DEP_2)
	v_lshlrev_b16 v192, 8, v183
	v_add_nc_u32_e32 v183, 0x1088, v215
	v_perm_b32 v192, v192, v192, 0xc0c0c01
	ds_load_2addr_b32 v[184:185], v183 offset1:1
	s_wait_dscnt 0x1
	v_dual_ashrrev_i32 v186, s18, v186 :: v_dual_ashrrev_i32 v187, s18, v187
	s_delay_alu instid0(VALU_DEP_1) | instskip(NEXT) | instid1(VALU_DEP_1)
	v_dual_lshlrev_b32 v186, 2, v186 :: v_dual_lshlrev_b32 v187, 2, v187
	v_and_b32_e32 v186, 0x4040404, v186
	s_delay_alu instid0(VALU_DEP_2) | instskip(NEXT) | instid1(VALU_DEP_2)
	v_and_b32_e32 v187, 0x4040404, v187
	v_dual_lshrrev_b32 v199, 24, v186 :: v_dual_lshrrev_b32 v219, 16, v186
	s_wait_dscnt 0x0
	v_ashrrev_i32_e32 v183, s19, v184
	v_lshrrev_b16 v198, 8, v186
	s_delay_alu instid0(VALU_DEP_2) | instskip(NEXT) | instid1(VALU_DEP_1)
	v_and_b32_e32 v184, 0x3030303, v183
	v_lshrrev_b32_e32 v197, 16, v184
	v_bfe_u32 v183, v183, 24, 2
	v_lshrrev_b16 v196, 8, v184
	s_delay_alu instid0(VALU_DEP_3) | instskip(NEXT) | instid1(VALU_DEP_3)
	v_sub_nc_u16 v248, v197, v219
	v_sub_nc_u16 v183, v183, v199
	;; [unrolled: 1-line block ×3, first 2 shown]
	v_lshrrev_b32_e32 v199, 16, v187
	s_delay_alu instid0(VALU_DEP_3) | instskip(NEXT) | instid1(VALU_DEP_1)
	v_lshlrev_b16 v183, 8, v183
	v_bitop3_b16 v249, v248, v183, 0xff bitop3:0xec
	v_sub_nc_u16 v183, v196, v198
	v_lshrrev_b32_e32 v198, 24, v187
	v_lshrrev_b16 v196, 8, v187
	s_delay_alu instid0(VALU_DEP_3) | instskip(SKIP_1) | instid1(VALU_DEP_1)
	v_lshlrev_b16 v250, 8, v183
	v_ashrrev_i32_e32 v183, s19, v185
	v_and_b32_e32 v184, 0x3030303, v183
	v_bfe_u32 v183, v183, 24, 2
	s_delay_alu instid0(VALU_DEP_2) | instskip(NEXT) | instid1(VALU_DEP_2)
	v_lshrrev_b32_e32 v186, 16, v184
	v_sub_nc_u16 v183, v183, v198
	v_lshrrev_b16 v185, 8, v184
	v_sub_nc_u16 v198, v184, v187
	s_delay_alu instid0(VALU_DEP_4) | instskip(NEXT) | instid1(VALU_DEP_4)
	v_sub_nc_u16 v251, v186, v199
	v_lshlrev_b16 v183, 8, v183
	ds_load_2addr_b32 v[186:187], v189 offset0:4 offset1:5
	v_bitop3_b16 v252, v251, v183, 0xff bitop3:0xec
	v_sub_nc_u16 v183, v185, v196
	s_delay_alu instid0(VALU_DEP_1) | instskip(SKIP_4) | instid1(VALU_DEP_1)
	v_lshlrev_b16 v253, 8, v183
	v_add_nc_u32_e32 v183, 0x1090, v215
	ds_load_2addr_b32 v[184:185], v183 offset1:1
	s_wait_dscnt 0x1
	v_dual_ashrrev_i32 v186, s18, v186 :: v_dual_ashrrev_i32 v187, s18, v187
	v_dual_lshlrev_b32 v186, 2, v186 :: v_dual_lshlrev_b32 v187, 2, v187
	s_delay_alu instid0(VALU_DEP_1) | instskip(NEXT) | instid1(VALU_DEP_2)
	v_and_b32_e32 v186, 0x4040404, v186
	v_and_b32_e32 v187, 0x4040404, v187
	s_delay_alu instid0(VALU_DEP_2) | instskip(SKIP_4) | instid1(VALU_DEP_3)
	v_dual_lshrrev_b32 v223, 24, v186 :: v_dual_lshrrev_b32 v224, 16, v186
	s_wait_dscnt 0x0
	v_ashrrev_i32_e32 v183, s19, v184
	v_lshrrev_b16 v219, 8, v186
	v_dual_lshrrev_b32 v225, 24, v187 :: v_dual_lshrrev_b32 v226, 16, v187
	v_and_b32_e32 v184, 0x3030303, v183
	s_delay_alu instid0(VALU_DEP_1) | instskip(SKIP_2) | instid1(VALU_DEP_3)
	v_lshrrev_b32_e32 v199, 16, v184
	v_bfe_u32 v183, v183, 24, 2
	v_lshrrev_b16 v196, 8, v184
	v_sub_nc_u16 v199, v199, v224
	s_delay_alu instid0(VALU_DEP_3) | instskip(SKIP_1) | instid1(VALU_DEP_2)
	v_sub_nc_u16 v183, v183, v223
	v_lshrrev_b16 v224, 8, v187
	v_lshlrev_b16 v183, 8, v183
	s_delay_alu instid0(VALU_DEP_1) | instskip(SKIP_2) | instid1(VALU_DEP_2)
	v_bitop3_b16 v223, v199, v183, 0xff bitop3:0xec
	v_sub_nc_u16 v183, v196, v219
	v_sub_nc_u16 v219, v184, v186
	v_lshlrev_b16 v196, 8, v183
	v_ashrrev_i32_e32 v183, s19, v185
	s_delay_alu instid0(VALU_DEP_1) | instskip(SKIP_1) | instid1(VALU_DEP_2)
	v_and_b32_e32 v184, 0x3030303, v183
	v_bfe_u32 v183, v183, 24, 2
	v_lshrrev_b32_e32 v186, 16, v184
	s_delay_alu instid0(VALU_DEP_2) | instskip(SKIP_2) | instid1(VALU_DEP_4)
	v_sub_nc_u16 v183, v183, v225
	v_lshrrev_b16 v185, 8, v184
	v_sub_nc_u16 v227, v184, v187
	v_sub_nc_u16 v226, v186, v226
	s_delay_alu instid0(VALU_DEP_4) | instskip(SKIP_3) | instid1(VALU_DEP_1)
	v_lshlrev_b16 v183, 8, v183
	ds_load_2addr_b32 v[186:187], v189 offset0:6 offset1:7
	v_bitop3_b16 v225, v226, v183, 0xff bitop3:0xec
	v_sub_nc_u16 v183, v185, v224
	v_lshlrev_b16 v224, 8, v183
	v_add_nc_u32_e32 v183, 0x1098, v215
	s_delay_alu instid0(VALU_DEP_2) | instskip(SKIP_3) | instid1(VALU_DEP_1)
	v_perm_b32 v224, v224, v224, 0xc0c0c01
	ds_load_2addr_b32 v[184:185], v183 offset1:1
	s_wait_dscnt 0x1
	v_dual_ashrrev_i32 v186, s18, v186 :: v_dual_ashrrev_i32 v187, s18, v187
	v_dual_lshlrev_b32 v186, 2, v186 :: v_dual_lshlrev_b32 v187, 2, v187
	s_delay_alu instid0(VALU_DEP_1) | instskip(NEXT) | instid1(VALU_DEP_2)
	v_and_b32_e32 v186, 0x4040404, v186
	v_and_b32_e32 v187, 0x4040404, v187
	s_delay_alu instid0(VALU_DEP_2) | instskip(SKIP_3) | instid1(VALU_DEP_2)
	v_dual_lshrrev_b32 v240, 24, v186 :: v_dual_lshrrev_b32 v244, 16, v186
	s_wait_dscnt 0x0
	v_ashrrev_i32_e32 v183, s19, v184
	v_lshrrev_b16 v189, 8, v186
	v_and_b32_e32 v184, 0x3030303, v183
	s_delay_alu instid0(VALU_DEP_1) | instskip(SKIP_2) | instid1(VALU_DEP_3)
	v_lshrrev_b32_e32 v235, 16, v184
	v_bfe_u32 v183, v183, 24, 2
	v_lshrrev_b16 v234, 8, v184
	v_sub_nc_u16 v254, v235, v244
	s_delay_alu instid0(VALU_DEP_3) | instskip(SKIP_2) | instid1(VALU_DEP_3)
	v_sub_nc_u16 v183, v183, v240
	v_sub_nc_u16 v235, v184, v186
	v_lshrrev_b32_e32 v240, 16, v187
	v_lshlrev_b16 v183, 8, v183
	s_delay_alu instid0(VALU_DEP_1) | instskip(SKIP_3) | instid1(VALU_DEP_4)
	v_bitop3_b16 v255, v254, v183, 0xff bitop3:0xec
	v_sub_nc_u16 v183, v234, v189
	v_lshrrev_b32_e32 v234, 24, v187
	v_lshrrev_b16 v189, 8, v187
	v_perm_b32 v217, v255, v254, 0xc05000c
	s_set_vgpr_msb 64                       ;  msbs: dst=1 src0=0 src1=0 src2=0
	v_lshlrev_b16 v0 /*v256*/, 8, v183
	s_set_vgpr_msb 0                        ;  msbs: dst=0 src0=0 src1=0 src2=0
	v_ashrrev_i32_e32 v183, s19, v185
	s_set_vgpr_msb 5                        ;  msbs: dst=0 src0=1 src1=1 src2=0
	s_delay_alu instid0(VALU_DEP_2) | instskip(SKIP_1) | instid1(VALU_DEP_2)
	v_perm_b32 v218, v0 /*v256*/, v0 /*v256*/, 0xc0c0c01
	s_set_vgpr_msb 0                        ;  msbs: dst=0 src0=0 src1=0 src2=0
	v_and_b32_e32 v184, 0x3030303, v183
	v_bfe_u32 v183, v183, 24, 2
	s_delay_alu instid0(VALU_DEP_2) | instskip(NEXT) | instid1(VALU_DEP_2)
	v_dual_lshrrev_b32 v186, 16, v184 :: v_dual_bitop2_b32 v217, v217, v218 bitop3:0x54
	v_sub_nc_u16 v183, v183, v234
	v_lshrrev_b16 v185, 8, v184
	v_sub_nc_u16 v234, v184, v187
	v_bfe_i32 v184, v191, 0, 8
	s_set_vgpr_msb 64                       ;  msbs: dst=1 src0=0 src1=0 src2=0
	v_sub_nc_u16 v1 /*v257*/, v186, v240
	s_set_vgpr_msb 0                        ;  msbs: dst=0 src0=0 src1=0 src2=0
	v_lshlrev_b16 v183, 8, v183
	v_mul_i32_i24_e32 v186, v184, v207
	s_set_vgpr_msb 0x41                     ;  msbs: dst=1 src0=1 src1=0 src2=0
	s_delay_alu instid0(VALU_DEP_2)
	v_bitop3_b16 v2 /*v258*/, v1 /*v257*/, v183, 0xff bitop3:0xec
	s_set_vgpr_msb 0                        ;  msbs: dst=0 src0=0 src1=0 src2=0
	v_sub_nc_u16 v183, v185, v189
	v_bfe_i32 v185, v190, 8, 8
	v_bfe_i32 v189, v250, 8, 8
	;; [unrolled: 1-line block ×3, first 2 shown]
	s_set_vgpr_msb 5                        ;  msbs: dst=0 src0=1 src1=1 src2=0
	v_perm_b32 v218, v2 /*v258*/, v1 /*v257*/, 0xc05000c
	s_set_vgpr_msb 64                       ;  msbs: dst=1 src0=0 src1=0 src2=0
	v_lshlrev_b16 v3 /*v259*/, 8, v183
	s_set_vgpr_msb 0                        ;  msbs: dst=0 src0=0 src1=0 src2=0
	v_mad_i32_i24 v187, v185, v208, v186
	v_perm_b32 v186, v0, v188, 0xc0c0500
	v_bfe_i32 v188, v197, 0, 8
	v_add3_u32 v183, s22, v155, v146
	s_set_vgpr_msb 5                        ;  msbs: dst=0 src0=1 src1=1 src2=0
	v_perm_b32 v220, v3 /*v259*/, v3 /*v259*/, 0xc0c0c01
	s_set_vgpr_msb 0                        ;  msbs: dst=0 src0=0 src1=0 src2=0
	v_dot4_i32_iu8 v0, v186, v239, v187 neg_lo:[1,1,0]
	v_bfe_i32 v187, v195, 0, 8
	v_mul_i32_i24_e32 v195, v228, v189
	v_bfe_i32 v189, v198, 0, 8
	v_mul_i32_i24_e32 v198, v230, v190
	v_perm_b32 v190, v193, v194, 0xc05000c
	v_add_nc_u32_e32 v240, s21, v57
	v_mad_i32_i24 v0, v187, v205, v0
	v_mul_i32_i24_e32 v191, v202, v188
	v_bfe_i32 v193, v196, 8, 8
	v_or_b32_e32 v190, v190, v192
	v_bfe_i32 v192, v219, 0, 8
	v_mul_i32_i24_e32 v197, v229, v189
	ds_load_b32 v183, v183
	v_bfe_i32 v196, v235, 0, 8
	v_dot4_i32_iu8 v0, v190, v231, v0 neg_lo:[1,1,0]
	v_mul_i32_i24_e32 v194, v192, v203
	v_or_b32_e32 v218, v218, v220
	s_delay_alu instid0(VALU_DEP_3) | instskip(SKIP_1) | instid1(VALU_DEP_4)
	v_add3_u32 v0, v0, v191, v195
	v_perm_b32 v191, v249, v248, 0xc0c0500
	v_mad_i32_i24 v195, v193, v204, v194
	v_perm_b32 v194, v223, v199, 0xc0c0500
	v_mul_i32_i24_e32 v199, v114, v196
	s_set_vgpr_msb 1                        ;  msbs: dst=0 src0=1 src1=0 src2=0
	v_bfe_i32 v223, v3 /*v259*/, 8, 8
	s_set_vgpr_msb 0                        ;  msbs: dst=0 src0=0 src1=0 src2=0
	v_dot4_i32_iu8 v0, v232, v191, v0 neg_lo:[1,1,0]
	v_perm_b32 v191, v252, v251, 0xc0c0500
	s_delay_alu instid0(VALU_DEP_3) | instskip(NEXT) | instid1(VALU_DEP_3)
	v_mul_i32_i24_e32 v223, v237, v223
	v_add3_u32 v0, v0, v197, v198
	v_dot4_i32_iu8 v198, v194, v241, v195 neg_lo:[1,1,0]
	v_bfe_i32 v195, v227, 0, 8
	s_set_vgpr_msb 1                        ;  msbs: dst=0 src0=1 src1=0 src2=0
	v_bfe_i32 v197, v0 /*v256*/, 8, 8
	s_set_vgpr_msb 0                        ;  msbs: dst=0 src0=0 src1=0 src2=0
	v_dot4_i32_iu8 v0, v233, v191, v0 neg_lo:[1,1,0]
	ds_load_u16 v191, v240
	v_mul_i32_i24_e32 v219, v236, v197
	v_bfe_i32 v197, v234, 0, 8
	v_mad_i32_i24 v234, v195, v200, v198
	v_perm_b32 v198, v225, v226, 0xc05000c
	s_delay_alu instid0(VALU_DEP_3) | instskip(NEXT) | instid1(VALU_DEP_2)
	v_mul_i32_i24_e32 v227, v182, v197
	v_or_b32_e32 v198, v198, v224
	s_delay_alu instid0(VALU_DEP_1) | instskip(SKIP_1) | instid1(VALU_DEP_2)
	v_dot4_i32_iu8 v224, v198, v238, v234 neg_lo:[1,1,0]
	v_add3_u32 v234, s20, v156, v147
	v_add3_u32 v199, v224, v199, v219
	v_perm_b32 v219, v255, v254, 0xc0c0500
	s_wait_dscnt 0x0
	v_lshrrev_b16 v240, 8, v191
	v_bfe_i32 v191, v191, 0, 8
	s_delay_alu instid0(VALU_DEP_3)
	v_dot4_i32_iu8 v199, v242, v219, v199 neg_lo:[1,1,0]
	s_set_vgpr_msb 5                        ;  msbs: dst=0 src0=1 src1=1 src2=0
	v_perm_b32 v219, v2 /*v258*/, v1 /*v257*/, 0xc0c0500
	s_set_vgpr_msb 0                        ;  msbs: dst=0 src0=0 src1=0 src2=0
	v_mul_lo_u32 v0, v0, v191
	v_add3_u32 v199, v199, v227, v223
	ds_load_2addr_b32 v[226:227], v234 offset1:1
	v_dot4_i32_iu8 v219, v243, v219, v199 neg_lo:[1,1,0]
	v_bfe_i32 v199, v240, 0, 8
	s_delay_alu instid0(VALU_DEP_1) | instskip(SKIP_3) | instid1(VALU_DEP_3)
	v_mad_u32 v0, v219, v199, v0
	v_mul_f32_e32 v219, v115, v183
	s_wait_dscnt 0x0
	v_ashrrev_i32_e32 v227, s18, v227
	v_cvt_f32_i32_e32 v0, v0
	s_delay_alu instid0(VALU_DEP_1) | instskip(SKIP_1) | instid1(VALU_DEP_2)
	v_dual_mul_f32 v240, v219, v0 :: v_dual_lshlrev_b32 v227, 2, v227
	v_add_nc_u32_e32 v0, 0x2100, v215
	v_and_b32_e32 v227, 0x4040404, v227
	ds_load_2addr_b32 v[224:225], v0 offset1:1
	v_dual_ashrrev_i32 v226, s18, v226 :: v_dual_lshrrev_b32 v246, 24, v227
	s_delay_alu instid0(VALU_DEP_1) | instskip(NEXT) | instid1(VALU_DEP_1)
	v_dual_lshrrev_b32 v247, 16, v227 :: v_dual_lshlrev_b32 v226, 2, v226
	v_and_b32_e32 v226, 0x4040404, v226
	s_delay_alu instid0(VALU_DEP_1) | instskip(SKIP_3) | instid1(VALU_DEP_1)
	v_lshrrev_b16 v235, 8, v226
	v_dual_lshrrev_b32 v244, 24, v226 :: v_dual_lshrrev_b32 v245, 16, v226
	s_wait_dscnt 0x0
	v_ashrrev_i32_e32 v0, s19, v224
	v_and_b32_e32 v219, 0x3030303, v0
	s_delay_alu instid0(VALU_DEP_1) | instskip(SKIP_2) | instid1(VALU_DEP_3)
	v_lshrrev_b16 v223, 8, v219
	v_lshrrev_b32_e32 v224, 16, v219
	v_bfe_u32 v0, v0, 24, 2
	v_sub_nc_u16 v223, v223, v235
	s_delay_alu instid0(VALU_DEP_3) | instskip(NEXT) | instid1(VALU_DEP_3)
	v_sub_nc_u16 v245, v224, v245
	v_sub_nc_u16 v0, v0, v244
	v_lshrrev_b16 v244, 8, v227
	s_delay_alu instid0(VALU_DEP_4) | instskip(SKIP_3) | instid1(VALU_DEP_3)
	v_lshlrev_b16 v235, 8, v223
	v_sub_nc_u16 v223, v219, v226
	v_ashrrev_i32_e32 v219, s19, v225
	v_lshlrev_b16 v0, 8, v0
	v_bfe_i32 v223, v223, 0, 8
	s_delay_alu instid0(VALU_DEP_3) | instskip(SKIP_1) | instid1(VALU_DEP_4)
	v_and_b32_e32 v224, 0x3030303, v219
	v_bfe_u32 v219, v219, 24, 2
	v_bitop3_b16 v0, v245, v0, 0xff bitop3:0xec
	s_delay_alu instid0(VALU_DEP_3) | instskip(NEXT) | instid1(VALU_DEP_3)
	v_lshrrev_b32_e32 v226, 16, v224
	v_sub_nc_u16 v219, v219, v246
	v_lshrrev_b16 v225, 8, v224
	s_set_vgpr_msb 64                       ;  msbs: dst=1 src0=0 src1=0 src2=0
	v_sub_nc_u16 v4 /*v260*/, v224, v227
	s_set_vgpr_msb 0                        ;  msbs: dst=0 src0=0 src1=0 src2=0
	v_sub_nc_u16 v247, v226, v247
	v_lshlrev_b16 v219, 8, v219
	ds_load_2addr_b32 v[226:227], v234 offset0:2 offset1:3
	v_bitop3_b16 v246, v247, v219, 0xff bitop3:0xec
	v_sub_nc_u16 v219, v225, v244
	s_delay_alu instid0(VALU_DEP_1) | instskip(SKIP_1) | instid1(VALU_DEP_2)
	v_lshlrev_b16 v244, 8, v219
	v_add_nc_u32_e32 v219, 0x2108, v215
	v_perm_b32 v244, v244, v244, 0xc0c0c01
	ds_load_2addr_b32 v[224:225], v219 offset1:1
	s_wait_dscnt 0x1
	v_dual_ashrrev_i32 v226, s18, v226 :: v_dual_ashrrev_i32 v227, s18, v227
	s_delay_alu instid0(VALU_DEP_1) | instskip(NEXT) | instid1(VALU_DEP_1)
	v_dual_lshlrev_b32 v226, 2, v226 :: v_dual_lshlrev_b32 v227, 2, v227
	v_and_b32_e32 v226, 0x4040404, v226
	s_delay_alu instid0(VALU_DEP_2) | instskip(SKIP_1) | instid1(VALU_DEP_2)
	v_and_b32_e32 v227, 0x4040404, v227
	s_set_vgpr_msb 64                       ;  msbs: dst=1 src0=0 src1=0 src2=0
	v_lshrrev_b32_e32 v8 /*v264*/, 24, v226
	s_wait_dscnt 0x0
	s_set_vgpr_msb 0                        ;  msbs: dst=0 src0=0 src1=0 src2=0
	v_ashrrev_i32_e32 v219, s19, v224
	s_set_vgpr_msb 64                       ;  msbs: dst=1 src0=0 src1=0 src2=0
	v_dual_lshrrev_b32 v9 /*v265*/, 16, v226 :: v_dual_lshrrev_b32 v10 /*v266*/, 24, v227
	v_lshrrev_b16 v7 /*v263*/, 8, v226
	v_lshrrev_b32_e32 v11 /*v267*/, 16, v227
	s_set_vgpr_msb 0                        ;  msbs: dst=0 src0=0 src1=0 src2=0
	v_and_b32_e32 v224, 0x3030303, v219
	v_bfe_u32 v219, v219, 24, 2
	s_set_vgpr_msb 64                       ;  msbs: dst=1 src0=0 src1=0 src2=0
	s_delay_alu instid0(VALU_DEP_2) | instskip(SKIP_1) | instid1(VALU_DEP_2)
	v_lshrrev_b32_e32 v6 /*v262*/, 16, v224
	s_set_vgpr_msb 4                        ;  msbs: dst=0 src0=0 src1=1 src2=0
	v_sub_nc_u16 v219, v219, v8 /*v264*/
	s_set_vgpr_msb 64                       ;  msbs: dst=1 src0=0 src1=0 src2=0
	v_lshrrev_b16 v5 /*v261*/, 8, v224
	s_set_vgpr_msb 0x45                     ;  msbs: dst=1 src0=1 src1=1 src2=0
	v_sub_nc_u16 v6 /*v262*/, v6 /*v262*/, v9 /*v265*/
	s_set_vgpr_msb 0                        ;  msbs: dst=0 src0=0 src1=0 src2=0
	v_lshlrev_b16 v219, 8, v219
	s_set_vgpr_msb 64                       ;  msbs: dst=1 src0=0 src1=0 src2=0
	v_sub_nc_u16 v9 /*v265*/, v224, v226
	s_set_vgpr_msb 0x41                     ;  msbs: dst=1 src0=1 src1=0 src2=0
	s_delay_alu instid0(VALU_DEP_2) | instskip(SKIP_4) | instid1(VALU_DEP_2)
	v_bitop3_b16 v8 /*v264*/, v6 /*v262*/, v219, 0xff bitop3:0xec
	s_set_vgpr_msb 5                        ;  msbs: dst=0 src0=1 src1=1 src2=0
	v_sub_nc_u16 v219, v5 /*v261*/, v7 /*v263*/
	s_set_vgpr_msb 64                       ;  msbs: dst=1 src0=0 src1=0 src2=0
	v_lshrrev_b16 v7 /*v263*/, 8, v227
	v_lshlrev_b16 v5 /*v261*/, 8, v219
	s_set_vgpr_msb 0                        ;  msbs: dst=0 src0=0 src1=0 src2=0
	v_ashrrev_i32_e32 v219, s19, v225
	s_set_vgpr_msb 5                        ;  msbs: dst=0 src0=1 src1=1 src2=0
	s_delay_alu instid0(VALU_DEP_2) | instskip(SKIP_1) | instid1(VALU_DEP_2)
	v_perm_b32 v220, v5 /*v261*/, v5 /*v261*/, 0xc0c0c01
	s_set_vgpr_msb 0                        ;  msbs: dst=0 src0=0 src1=0 src2=0
	v_and_b32_e32 v224, 0x3030303, v219
	v_bfe_u32 v219, v219, 24, 2
	s_delay_alu instid0(VALU_DEP_2) | instskip(SKIP_1) | instid1(VALU_DEP_2)
	v_lshrrev_b32_e32 v226, 16, v224
	s_set_vgpr_msb 4                        ;  msbs: dst=0 src0=0 src1=1 src2=0
	v_sub_nc_u16 v219, v219, v10 /*v266*/
	s_set_vgpr_msb 0                        ;  msbs: dst=0 src0=0 src1=0 src2=0
	v_lshrrev_b16 v225, 8, v224
	s_set_vgpr_msb 64                       ;  msbs: dst=1 src0=0 src1=0 src2=0
	v_sub_nc_u16 v12 /*v268*/, v224, v227
	s_set_vgpr_msb 0x44                     ;  msbs: dst=1 src0=0 src1=1 src2=0
	v_sub_nc_u16 v11 /*v267*/, v226, v11 /*v267*/
	s_set_vgpr_msb 0                        ;  msbs: dst=0 src0=0 src1=0 src2=0
	v_lshlrev_b16 v219, 8, v219
	ds_load_2addr_b32 v[226:227], v234 offset0:4 offset1:5
	s_set_vgpr_msb 0x41                     ;  msbs: dst=1 src0=1 src1=0 src2=0
	v_bitop3_b16 v10 /*v266*/, v11 /*v267*/, v219, 0xff bitop3:0xec
	s_set_vgpr_msb 4                        ;  msbs: dst=0 src0=0 src1=1 src2=0
	v_sub_nc_u16 v219, v225, v7 /*v263*/
	s_set_vgpr_msb 64                       ;  msbs: dst=1 src0=0 src1=0 src2=0
	s_delay_alu instid0(VALU_DEP_1) | instskip(SKIP_3) | instid1(VALU_DEP_2)
	v_lshlrev_b16 v7 /*v263*/, 8, v219
	s_set_vgpr_msb 0                        ;  msbs: dst=0 src0=0 src1=0 src2=0
	v_add_nc_u32_e32 v219, 0x2110, v215
	s_set_vgpr_msb 5                        ;  msbs: dst=0 src0=1 src1=1 src2=0
	v_perm_b32 v221, v7 /*v263*/, v7 /*v263*/, 0xc0c0c01
	s_set_vgpr_msb 0                        ;  msbs: dst=0 src0=0 src1=0 src2=0
	ds_load_2addr_b32 v[224:225], v219 offset1:1
	s_wait_dscnt 0x1
	v_dual_ashrrev_i32 v226, s18, v226 :: v_dual_ashrrev_i32 v227, s18, v227
	s_delay_alu instid0(VALU_DEP_1) | instskip(NEXT) | instid1(VALU_DEP_1)
	v_dual_lshlrev_b32 v226, 2, v226 :: v_dual_lshlrev_b32 v227, 2, v227
	v_and_b32_e32 v226, 0x4040404, v226
	s_delay_alu instid0(VALU_DEP_2) | instskip(SKIP_1) | instid1(VALU_DEP_2)
	v_and_b32_e32 v227, 0x4040404, v227
	s_set_vgpr_msb 64                       ;  msbs: dst=1 src0=0 src1=0 src2=0
	v_dual_lshrrev_b32 v16 /*v272*/, 24, v226 :: v_dual_lshrrev_b32 v17 /*v273*/, 16, v226
	s_wait_dscnt 0x0
	s_set_vgpr_msb 0                        ;  msbs: dst=0 src0=0 src1=0 src2=0
	v_ashrrev_i32_e32 v219, s19, v224
	s_set_vgpr_msb 64                       ;  msbs: dst=1 src0=0 src1=0 src2=0
	v_lshrrev_b16 v15 /*v271*/, 8, v226
	v_dual_lshrrev_b32 v18 /*v274*/, 24, v227 :: v_dual_lshrrev_b32 v19 /*v275*/, 16, v227
	s_set_vgpr_msb 0                        ;  msbs: dst=0 src0=0 src1=0 src2=0
	v_and_b32_e32 v224, 0x3030303, v219
	v_bfe_u32 v219, v219, 24, 2
	s_set_vgpr_msb 64                       ;  msbs: dst=1 src0=0 src1=0 src2=0
	s_delay_alu instid0(VALU_DEP_2) | instskip(SKIP_1) | instid1(VALU_DEP_2)
	v_lshrrev_b32_e32 v14 /*v270*/, 16, v224
	s_set_vgpr_msb 4                        ;  msbs: dst=0 src0=0 src1=1 src2=0
	v_sub_nc_u16 v219, v219, v16 /*v272*/
	s_set_vgpr_msb 64                       ;  msbs: dst=1 src0=0 src1=0 src2=0
	v_lshrrev_b16 v13 /*v269*/, 8, v224
	s_set_vgpr_msb 0x45                     ;  msbs: dst=1 src0=1 src1=1 src2=0
	v_sub_nc_u16 v14 /*v270*/, v14 /*v270*/, v17 /*v273*/
	s_set_vgpr_msb 0                        ;  msbs: dst=0 src0=0 src1=0 src2=0
	v_lshlrev_b16 v219, 8, v219
	s_set_vgpr_msb 0x41                     ;  msbs: dst=1 src0=1 src1=0 src2=0
	v_lshrrev_b16 v17 /*v273*/, 8, v227
	s_delay_alu instid0(VALU_DEP_2) | instskip(SKIP_4) | instid1(VALU_DEP_2)
	v_bitop3_b16 v16 /*v272*/, v14 /*v270*/, v219, 0xff bitop3:0xec
	s_set_vgpr_msb 5                        ;  msbs: dst=0 src0=1 src1=1 src2=0
	v_sub_nc_u16 v219, v13 /*v269*/, v15 /*v271*/
	s_set_vgpr_msb 64                       ;  msbs: dst=1 src0=0 src1=0 src2=0
	v_sub_nc_u16 v15 /*v271*/, v224, v226
	v_lshlrev_b16 v13 /*v269*/, 8, v219
	s_set_vgpr_msb 0                        ;  msbs: dst=0 src0=0 src1=0 src2=0
	v_ashrrev_i32_e32 v219, s19, v225
	s_delay_alu instid0(VALU_DEP_1) | instskip(NEXT) | instid1(VALU_DEP_1)
	v_and_b32_e32 v224, 0x3030303, v219
	v_lshrrev_b32_e32 v226, 16, v224
	v_bfe_u32 v219, v219, 24, 2
	v_lshrrev_b16 v225, 8, v224
	s_set_vgpr_msb 64                       ;  msbs: dst=1 src0=0 src1=0 src2=0
	v_sub_nc_u16 v20 /*v276*/, v224, v227
	s_set_vgpr_msb 0x44                     ;  msbs: dst=1 src0=0 src1=1 src2=0
	v_sub_nc_u16 v19 /*v275*/, v226, v19 /*v275*/
	s_set_vgpr_msb 4                        ;  msbs: dst=0 src0=0 src1=1 src2=0
	v_sub_nc_u16 v219, v219, v18 /*v274*/
	ds_load_2addr_b32 v[226:227], v234 offset0:6 offset1:7
	s_set_vgpr_msb 0                        ;  msbs: dst=0 src0=0 src1=0 src2=0
	v_lshlrev_b16 v219, 8, v219
	s_set_vgpr_msb 0x41                     ;  msbs: dst=1 src0=1 src1=0 src2=0
	s_delay_alu instid0(VALU_DEP_1) | instskip(SKIP_3) | instid1(VALU_DEP_1)
	v_bitop3_b16 v18 /*v274*/, v19 /*v275*/, v219, 0xff bitop3:0xec
	s_set_vgpr_msb 4                        ;  msbs: dst=0 src0=0 src1=1 src2=0
	v_sub_nc_u16 v219, v225, v17 /*v273*/
	s_set_vgpr_msb 64                       ;  msbs: dst=1 src0=0 src1=0 src2=0
	v_lshlrev_b16 v17 /*v273*/, 8, v219
	s_set_vgpr_msb 0                        ;  msbs: dst=0 src0=0 src1=0 src2=0
	v_add_nc_u32_e32 v219, 0x2118, v215
	s_wait_dscnt 0x0
	v_ashrrev_i32_e32 v226, s18, v226
	ds_load_2addr_b32 v[224:225], v219 offset1:1
	v_dual_ashrrev_i32 v227, s18, v227 :: v_dual_lshlrev_b32 v226, 2, v226
	s_delay_alu instid0(VALU_DEP_1) | instskip(NEXT) | instid1(VALU_DEP_2)
	v_lshlrev_b32_e32 v227, 2, v227
	v_and_b32_e32 v226, 0x4040404, v226
	s_delay_alu instid0(VALU_DEP_2) | instskip(SKIP_1) | instid1(VALU_DEP_2)
	v_and_b32_e32 v227, 0x4040404, v227
	s_set_vgpr_msb 64                       ;  msbs: dst=1 src0=0 src1=0 src2=0
	v_dual_lshrrev_b32 v23 /*v279*/, 24, v226 :: v_dual_lshrrev_b32 v24 /*v280*/, 16, v226
	s_delay_alu instid0(VALU_DEP_2)
	v_lshrrev_b32_e32 v25 /*v281*/, 24, v227
	s_set_vgpr_msb 0                        ;  msbs: dst=0 src0=0 src1=0 src2=0
	v_lshrrev_b16 v234, 8, v226
	s_set_vgpr_msb 64                       ;  msbs: dst=1 src0=0 src1=0 src2=0
	v_lshrrev_b32_e32 v26 /*v282*/, 16, v227
	s_wait_dscnt 0x0
	s_set_vgpr_msb 0                        ;  msbs: dst=0 src0=0 src1=0 src2=0
	v_ashrrev_i32_e32 v219, s19, v224
	s_delay_alu instid0(VALU_DEP_1) | instskip(SKIP_2) | instid1(VALU_DEP_2)
	v_and_b32_e32 v224, 0x3030303, v219
	v_bfe_u32 v219, v219, 24, 2
	s_set_vgpr_msb 64                       ;  msbs: dst=1 src0=0 src1=0 src2=0
	v_lshrrev_b32_e32 v22 /*v278*/, 16, v224
	s_set_vgpr_msb 4                        ;  msbs: dst=0 src0=0 src1=1 src2=0
	s_delay_alu instid0(VALU_DEP_2)
	v_sub_nc_u16 v219, v219, v23 /*v279*/
	s_set_vgpr_msb 64                       ;  msbs: dst=1 src0=0 src1=0 src2=0
	v_lshrrev_b16 v21 /*v277*/, 8, v224
	s_set_vgpr_msb 0x45                     ;  msbs: dst=1 src0=1 src1=1 src2=0
	v_sub_nc_u16 v22 /*v278*/, v22 /*v278*/, v24 /*v280*/
	s_set_vgpr_msb 0                        ;  msbs: dst=0 src0=0 src1=0 src2=0
	v_lshlrev_b16 v219, 8, v219
	s_set_vgpr_msb 64                       ;  msbs: dst=1 src0=0 src1=0 src2=0
	v_sub_nc_u16 v24 /*v280*/, v224, v226
	s_set_vgpr_msb 0x41                     ;  msbs: dst=1 src0=1 src1=0 src2=0
	s_delay_alu instid0(VALU_DEP_2)
	v_bitop3_b16 v23 /*v279*/, v22 /*v278*/, v219, 0xff bitop3:0xec
	s_set_vgpr_msb 1                        ;  msbs: dst=0 src0=1 src1=0 src2=0
	v_sub_nc_u16 v219, v21 /*v277*/, v234
	v_lshrrev_b16 v234, 8, v227
	s_set_vgpr_msb 5                        ;  msbs: dst=0 src0=1 src1=1 src2=0
	v_perm_b32 v222, v23 /*v279*/, v22 /*v278*/, 0xc05000c
	s_set_vgpr_msb 64                       ;  msbs: dst=1 src0=0 src1=0 src2=0
	v_lshlrev_b16 v21 /*v277*/, 8, v219
	s_set_vgpr_msb 0                        ;  msbs: dst=0 src0=0 src1=0 src2=0
	v_ashrrev_i32_e32 v219, s19, v225
	s_delay_alu instid0(VALU_DEP_1) | instskip(SKIP_1) | instid1(VALU_DEP_2)
	v_and_b32_e32 v224, 0x3030303, v219
	v_bfe_u32 v219, v219, 24, 2
	v_lshrrev_b32_e32 v226, 16, v224
	s_set_vgpr_msb 4                        ;  msbs: dst=0 src0=0 src1=1 src2=0
	s_delay_alu instid0(VALU_DEP_2)
	v_sub_nc_u16 v219, v219, v25 /*v281*/
	s_set_vgpr_msb 0                        ;  msbs: dst=0 src0=0 src1=0 src2=0
	v_lshrrev_b16 v225, 8, v224
	s_set_vgpr_msb 64                       ;  msbs: dst=1 src0=0 src1=0 src2=0
	v_sub_nc_u16 v27 /*v283*/, v224, v227
	s_set_vgpr_msb 0                        ;  msbs: dst=0 src0=0 src1=0 src2=0
	v_bfe_i32 v224, v235, 8, 8
	s_set_vgpr_msb 0x44                     ;  msbs: dst=1 src0=0 src1=1 src2=0
	v_sub_nc_u16 v26 /*v282*/, v226, v26 /*v282*/
	s_set_vgpr_msb 1                        ;  msbs: dst=0 src0=1 src1=0 src2=0
	v_lshlrev_b16 v219, 8, v219
	v_bfe_i32 v235, v5 /*v261*/, 8, 8
	v_bfe_i32 v227, v9 /*v265*/, 0, 8
	s_set_vgpr_msb 0x41                     ;  msbs: dst=1 src0=1 src1=0 src2=0
	s_delay_alu instid0(VALU_DEP_3)
	v_bitop3_b16 v25 /*v281*/, v26 /*v282*/, v219, 0xff bitop3:0xec
	s_set_vgpr_msb 0                        ;  msbs: dst=0 src0=0 src1=0 src2=0
	v_sub_nc_u16 v219, v225, v234
	v_mul_i32_i24_e32 v225, v223, v207
	v_mul_i32_i24_e32 v235, v228, v235
	s_set_vgpr_msb 1                        ;  msbs: dst=0 src0=1 src1=0 src2=0
	v_bfe_i32 v228, v12 /*v268*/, 0, 8
	v_add_nc_u32_e32 v234, s21, v59
	s_set_vgpr_msb 64                       ;  msbs: dst=1 src0=0 src1=0 src2=0
	v_lshlrev_b16 v28 /*v284*/, 8, v219
	s_set_vgpr_msb 0                        ;  msbs: dst=0 src0=0 src1=0 src2=0
	v_mad_i32_i24 v226, v224, v208, v225
	v_perm_b32 v225, v0, v245, 0xc0c0500
	s_set_vgpr_msb 64                       ;  msbs: dst=1 src0=0 src1=0 src2=0
	v_mul_i32_i24_e32 v9 /*v265*/, v229, v228
	s_set_vgpr_msb 0                        ;  msbs: dst=0 src0=0 src1=0 src2=0
	v_perm_b32 v229, v246, v247, 0xc05000c
	v_mul_i32_i24_e32 v245, v202, v227
	v_add3_u32 v219, s22, v157, v148
	v_dot4_i32_iu8 v0, v225, v239, v226 neg_lo:[1,1,0]
	s_set_vgpr_msb 1                        ;  msbs: dst=0 src0=1 src1=0 src2=0
	v_bfe_i32 v226, v4 /*v260*/, 0, 8
	s_set_vgpr_msb 0                        ;  msbs: dst=0 src0=0 src1=0 src2=0
	v_or_b32_e32 v229, v229, v244
	s_set_vgpr_msb 0x41                     ;  msbs: dst=1 src0=1 src1=0 src2=0
	v_bfe_i32 v4 /*v260*/, v7 /*v263*/, 8, 8
	s_set_vgpr_msb 0                        ;  msbs: dst=0 src0=0 src1=0 src2=0
	ds_load_b32 v219, v219
	s_set_vgpr_msb 0x45                     ;  msbs: dst=1 src0=1 src1=1 src2=0
	v_perm_b32 v12 /*v268*/, v17 /*v273*/, v17 /*v273*/, 0xc0c0c01
	s_set_vgpr_msb 0                        ;  msbs: dst=0 src0=0 src1=0 src2=0
	v_mad_i32_i24 v0, v226, v205, v0
	s_set_vgpr_msb 1                        ;  msbs: dst=0 src0=1 src1=0 src2=0
	v_bfe_i32 v246, v21 /*v277*/, 8, 8
	s_set_vgpr_msb 4                        ;  msbs: dst=0 src0=0 src1=1 src2=0
	v_mul_i32_i24_e32 v230, v230, v4 /*v260*/
	s_set_vgpr_msb 0x41                     ;  msbs: dst=1 src0=1 src1=0 src2=0
	v_bfe_i32 v4 /*v260*/, v28 /*v284*/, 8, 8
	s_set_vgpr_msb 0                        ;  msbs: dst=0 src0=0 src1=0 src2=0
	v_dot4_i32_iu8 v0, v229, v231, v0 neg_lo:[1,1,0]
	s_set_vgpr_msb 5                        ;  msbs: dst=0 src0=1 src1=1 src2=0
	v_perm_b32 v231, v8 /*v264*/, v6 /*v262*/, 0xc0c0500
	s_set_vgpr_msb 0                        ;  msbs: dst=0 src0=0 src1=0 src2=0
	v_mul_i32_i24_e32 v246, v236, v246
	s_set_vgpr_msb 0x44                     ;  msbs: dst=1 src0=0 src1=1 src2=0
	v_mul_i32_i24_e32 v4 /*v260*/, v237, v4 /*v260*/
	s_set_vgpr_msb 5                        ;  msbs: dst=0 src0=1 src1=1 src2=0
	v_perm_b32 v237, v18 /*v274*/, v19 /*v275*/, 0xc05000c
	s_set_vgpr_msb 0                        ;  msbs: dst=0 src0=0 src1=0 src2=0
	v_add3_u32 v0, v0, v245, v235
	s_set_vgpr_msb 1                        ;  msbs: dst=0 src0=1 src1=0 src2=0
	v_bfe_i32 v235, v24 /*v280*/, 0, 8
	v_bfe_i32 v236, v27 /*v283*/, 0, 8
	s_set_vgpr_msb 4                        ;  msbs: dst=0 src0=0 src1=1 src2=0
	v_or_b32_e32 v237, v237, v12 /*v268*/
	s_set_vgpr_msb 0                        ;  msbs: dst=0 src0=0 src1=0 src2=0
	v_dot4_i32_iu8 v0, v232, v231, v0 neg_lo:[1,1,0]
	s_set_vgpr_msb 1                        ;  msbs: dst=0 src0=1 src1=0 src2=0
	v_bfe_i32 v231, v15 /*v271*/, 0, 8
	v_bfe_i32 v232, v13 /*v269*/, 8, 8
	s_set_vgpr_msb 0                        ;  msbs: dst=0 src0=0 src1=0 src2=0
	v_mul_i32_i24_e32 v247, v114, v235
	s_set_vgpr_msb 4                        ;  msbs: dst=0 src0=0 src1=1 src2=0
	v_add3_u32 v0, v0, v9 /*v265*/, v230
	s_set_vgpr_msb 5                        ;  msbs: dst=0 src0=1 src1=1 src2=0
	v_perm_b32 v230, v10 /*v266*/, v11 /*v267*/, 0xc0c0500
	s_set_vgpr_msb 64                       ;  msbs: dst=1 src0=0 src1=0 src2=0
	v_mul_i32_i24_e32 v9 /*v265*/, v182, v236
	s_set_vgpr_msb 0                        ;  msbs: dst=0 src0=0 src1=0 src2=0
	s_delay_alu instid0(VALU_DEP_2)
	v_dot4_i32_iu8 v0, v233, v230, v0 neg_lo:[1,1,0]
	v_mul_i32_i24_e32 v233, v231, v203
	ds_load_u16 v230, v234
	v_or_b32_e32 v214, v214, v216
	v_perm_b32 v216, v253, v253, 0xc0c0c01
	v_mad_i32_i24 v234, v232, v204, v233
	s_set_vgpr_msb 5                        ;  msbs: dst=0 src0=1 src1=1 src2=0
	v_perm_b32 v233, v16 /*v272*/, v14 /*v270*/, 0xc0c0500
	s_set_vgpr_msb 0                        ;  msbs: dst=0 src0=0 src1=0 src2=0
	s_delay_alu instid0(VALU_DEP_1) | instskip(SKIP_3) | instid1(VALU_DEP_1)
	v_dot4_i32_iu8 v245, v233, v241, v234 neg_lo:[1,1,0]
	s_set_vgpr_msb 1                        ;  msbs: dst=0 src0=1 src1=0 src2=0
	v_bfe_i32 v234, v20 /*v276*/, 0, 8
	s_set_vgpr_msb 0                        ;  msbs: dst=0 src0=0 src1=0 src2=0
	v_mad_i32_i24 v245, v234, v200, v245
	s_wait_dscnt 0x0
	v_lshrrev_b16 v244, 8, v230
	s_delay_alu instid0(VALU_DEP_2)
	v_dot4_i32_iu8 v238, v237, v238, v245 neg_lo:[1,1,0]
	s_set_vgpr_msb 5                        ;  msbs: dst=0 src0=1 src1=1 src2=0
	v_perm_b32 v245, v23 /*v279*/, v22 /*v278*/, 0xc0c0500
	s_set_vgpr_msb 0                        ;  msbs: dst=0 src0=0 src1=0 src2=0
	v_bfe_i32 v230, v230, 0, 8
	v_add3_u32 v238, v238, v247, v246
	s_delay_alu instid0(VALU_DEP_2) | instskip(NEXT) | instid1(VALU_DEP_2)
	v_mul_lo_u32 v0, v0, v230
	v_dot4_i32_iu8 v238, v242, v245, v238 neg_lo:[1,1,0]
	s_set_vgpr_msb 5                        ;  msbs: dst=0 src0=1 src1=1 src2=0
	v_perm_b32 v242, v25 /*v281*/, v26 /*v282*/, 0xc0c0500
	s_set_vgpr_msb 20                       ;  msbs: dst=0 src0=0 src1=1 src2=1
	s_delay_alu instid0(VALU_DEP_2) | instskip(SKIP_3) | instid1(VALU_DEP_2)
	v_add3_u32 v238, v238, v9 /*v265*/, v4 /*v260*/
	s_set_vgpr_msb 64                       ;  msbs: dst=1 src0=0 src1=0 src2=0
	v_add3_u32 v9 /*v265*/, s20, v158, v149
	s_set_vgpr_msb 0                        ;  msbs: dst=0 src0=0 src1=0 src2=0
	v_dot4_i32_iu8 v242, v243, v242, v238 neg_lo:[1,1,0]
	v_bfe_i32 v238, v244, 0, 8
	s_set_vgpr_msb 1                        ;  msbs: dst=0 src0=1 src1=0 src2=0
	ds_load_2addr_b32 v[246:247], v9 /*v265*/ offset1:1
	s_set_vgpr_msb 0                        ;  msbs: dst=0 src0=0 src1=0 src2=0
	v_mad_u32 v0, v242, v238, v0
	v_mul_f32_e32 v242, v115, v219
	s_delay_alu instid0(VALU_DEP_2) | instskip(NEXT) | instid1(VALU_DEP_1)
	v_cvt_f32_i32_e32 v0, v0
	v_mul_f32_e32 v242, v242, v0
	v_add_nc_u32_e32 v0, 0x3180, v215
	s_wait_dscnt 0x0
	v_dual_ashrrev_i32 v246, s18, v246 :: v_dual_ashrrev_i32 v247, s18, v247
	ds_load_2addr_b32 v[244:245], v0 offset1:1
	v_dual_lshlrev_b32 v246, 2, v246 :: v_dual_lshlrev_b32 v247, 2, v247
	s_delay_alu instid0(VALU_DEP_1) | instskip(NEXT) | instid1(VALU_DEP_2)
	v_and_b32_e32 v246, 0x4040404, v246
	v_and_b32_e32 v247, 0x4040404, v247
	s_set_vgpr_msb 64                       ;  msbs: dst=1 src0=0 src1=0 src2=0
	s_delay_alu instid0(VALU_DEP_2) | instskip(SKIP_1) | instid1(VALU_DEP_3)
	v_dual_lshrrev_b32 v13 /*v269*/, 24, v246 :: v_dual_lshrrev_b32 v14 /*v270*/, 16, v246
	v_lshrrev_b16 v12 /*v268*/, 8, v246
	v_dual_lshrrev_b32 v15 /*v271*/, 24, v247 :: v_dual_lshrrev_b32 v16 /*v272*/, 16, v247
	s_wait_dscnt 0x0
	s_set_vgpr_msb 0                        ;  msbs: dst=0 src0=0 src1=0 src2=0
	v_ashrrev_i32_e32 v0, s19, v244
	s_delay_alu instid0(VALU_DEP_1) | instskip(SKIP_2) | instid1(VALU_DEP_2)
	v_and_b32_e32 v243, 0x3030303, v0
	v_bfe_u32 v0, v0, 24, 2
	s_set_vgpr_msb 64                       ;  msbs: dst=1 src0=0 src1=0 src2=0
	v_lshrrev_b32_e32 v4 /*v260*/, 16, v243
	s_set_vgpr_msb 4                        ;  msbs: dst=0 src0=0 src1=1 src2=0
	s_delay_alu instid0(VALU_DEP_2)
	v_sub_nc_u16 v0, v0, v13 /*v269*/
	s_set_vgpr_msb 0                        ;  msbs: dst=0 src0=0 src1=0 src2=0
	v_lshrrev_b16 v244, 8, v243
	v_sub_nc_u16 v243, v243, v246
	s_set_vgpr_msb 0x45                     ;  msbs: dst=1 src0=1 src1=1 src2=0
	v_sub_nc_u16 v4 /*v260*/, v4 /*v260*/, v14 /*v270*/
	s_set_vgpr_msb 0                        ;  msbs: dst=0 src0=0 src1=0 src2=0
	v_lshlrev_b16 v0, 8, v0
	s_set_vgpr_msb 0x41                     ;  msbs: dst=1 src0=1 src1=0 src2=0
	v_lshrrev_b16 v14 /*v270*/, 8, v247
	s_delay_alu instid0(VALU_DEP_2) | instskip(SKIP_3) | instid1(VALU_DEP_1)
	v_bitop3_b16 v13 /*v269*/, v4 /*v260*/, v0, 0xff bitop3:0xec
	s_set_vgpr_msb 4                        ;  msbs: dst=0 src0=0 src1=1 src2=0
	v_sub_nc_u16 v0, v244, v12 /*v268*/
	s_set_vgpr_msb 64                       ;  msbs: dst=1 src0=0 src1=0 src2=0
	v_lshlrev_b16 v12 /*v268*/, 8, v0
	s_set_vgpr_msb 0                        ;  msbs: dst=0 src0=0 src1=0 src2=0
	v_ashrrev_i32_e32 v0, s19, v245
	s_set_vgpr_msb 0x41                     ;  msbs: dst=1 src0=1 src1=0 src2=0
	s_delay_alu instid0(VALU_DEP_2) | instskip(SKIP_1) | instid1(VALU_DEP_2)
	v_bfe_i32 v12 /*v268*/, v12 /*v268*/, 8, 8
	s_set_vgpr_msb 0                        ;  msbs: dst=0 src0=0 src1=0 src2=0
	v_and_b32_e32 v244, 0x3030303, v0
	v_bfe_u32 v0, v0, 24, 2
	s_delay_alu instid0(VALU_DEP_2) | instskip(SKIP_1) | instid1(VALU_DEP_2)
	v_lshrrev_b32_e32 v246, 16, v244
	s_set_vgpr_msb 4                        ;  msbs: dst=0 src0=0 src1=1 src2=0
	v_sub_nc_u16 v0, v0, v15 /*v271*/
	s_set_vgpr_msb 0                        ;  msbs: dst=0 src0=0 src1=0 src2=0
	v_lshrrev_b16 v245, 8, v244
	s_set_vgpr_msb 64                       ;  msbs: dst=1 src0=0 src1=0 src2=0
	v_sub_nc_u16 v17 /*v273*/, v244, v247
	s_set_vgpr_msb 0x44                     ;  msbs: dst=1 src0=0 src1=1 src2=0
	v_sub_nc_u16 v16 /*v272*/, v246, v16 /*v272*/
	s_set_vgpr_msb 1                        ;  msbs: dst=0 src0=1 src1=0 src2=0
	v_lshlrev_b16 v0, 8, v0
	ds_load_2addr_b32 v[246:247], v9 /*v265*/ offset0:2 offset1:3
	s_set_vgpr_msb 0x41                     ;  msbs: dst=1 src0=1 src1=0 src2=0
	v_bitop3_b16 v15 /*v271*/, v16 /*v272*/, v0, 0xff bitop3:0xec
	s_set_vgpr_msb 4                        ;  msbs: dst=0 src0=0 src1=1 src2=0
	v_sub_nc_u16 v0, v245, v14 /*v270*/
	s_set_vgpr_msb 64                       ;  msbs: dst=1 src0=0 src1=0 src2=0
	s_delay_alu instid0(VALU_DEP_1)
	v_lshlrev_b16 v14 /*v270*/, 8, v0
	s_set_vgpr_msb 0                        ;  msbs: dst=0 src0=0 src1=0 src2=0
	v_add_nc_u32_e32 v0, 0x3188, v215
	ds_load_2addr_b32 v[244:245], v0 offset1:1
	s_wait_dscnt 0x1
	v_dual_ashrrev_i32 v246, s18, v246 :: v_dual_ashrrev_i32 v247, s18, v247
	s_delay_alu instid0(VALU_DEP_1) | instskip(NEXT) | instid1(VALU_DEP_1)
	v_dual_lshlrev_b32 v246, 2, v246 :: v_dual_lshlrev_b32 v247, 2, v247
	v_and_b32_e32 v246, 0x4040404, v246
	s_delay_alu instid0(VALU_DEP_2) | instskip(SKIP_1) | instid1(VALU_DEP_2)
	v_and_b32_e32 v247, 0x4040404, v247
	s_set_vgpr_msb 64                       ;  msbs: dst=1 src0=0 src1=0 src2=0
	v_lshrrev_b32_e32 v24 /*v280*/, 24, v246
	s_wait_dscnt 0x0
	s_set_vgpr_msb 0                        ;  msbs: dst=0 src0=0 src1=0 src2=0
	v_ashrrev_i32_e32 v0, s19, v244
	s_set_vgpr_msb 64                       ;  msbs: dst=1 src0=0 src1=0 src2=0
	v_dual_lshrrev_b32 v27 /*v283*/, 16, v246 :: v_dual_lshrrev_b32 v29 /*v285*/, 16, v247
	v_lshrrev_b16 v20 /*v276*/, 8, v246
	v_lshrrev_b16 v30 /*v286*/, 8, v247
	s_set_vgpr_msb 0                        ;  msbs: dst=0 src0=0 src1=0 src2=0
	v_and_b32_e32 v244, 0x3030303, v0
	v_bfe_u32 v0, v0, 24, 2
	s_set_vgpr_msb 64                       ;  msbs: dst=1 src0=0 src1=0 src2=0
	s_delay_alu instid0(VALU_DEP_2) | instskip(SKIP_1) | instid1(VALU_DEP_2)
	v_lshrrev_b32_e32 v19 /*v275*/, 16, v244
	s_set_vgpr_msb 4                        ;  msbs: dst=0 src0=0 src1=1 src2=0
	v_sub_nc_u16 v0, v0, v24 /*v280*/
	s_set_vgpr_msb 64                       ;  msbs: dst=1 src0=0 src1=0 src2=0
	v_lshrrev_b16 v18 /*v274*/, 8, v244
	s_set_vgpr_msb 0x45                     ;  msbs: dst=1 src0=1 src1=1 src2=0
	v_sub_nc_u16 v19 /*v275*/, v19 /*v275*/, v27 /*v283*/
	s_set_vgpr_msb 0                        ;  msbs: dst=0 src0=0 src1=0 src2=0
	v_lshlrev_b16 v0, 8, v0
	s_set_vgpr_msb 0x41                     ;  msbs: dst=1 src0=1 src1=0 src2=0
	v_lshrrev_b32_e32 v27 /*v283*/, 24, v247
	s_delay_alu instid0(VALU_DEP_2) | instskip(SKIP_4) | instid1(VALU_DEP_2)
	v_bitop3_b16 v24 /*v280*/, v19 /*v275*/, v0, 0xff bitop3:0xec
	s_set_vgpr_msb 5                        ;  msbs: dst=0 src0=1 src1=1 src2=0
	v_sub_nc_u16 v0, v18 /*v274*/, v20 /*v276*/
	s_set_vgpr_msb 64                       ;  msbs: dst=1 src0=0 src1=0 src2=0
	v_sub_nc_u16 v20 /*v276*/, v244, v246
	v_lshlrev_b16 v18 /*v274*/, 8, v0
	s_set_vgpr_msb 0                        ;  msbs: dst=0 src0=0 src1=0 src2=0
	v_ashrrev_i32_e32 v0, s19, v245
	s_delay_alu instid0(VALU_DEP_1) | instskip(SKIP_1) | instid1(VALU_DEP_1)
	v_bfe_u32 v244, v0, 24, 2
	v_and_b32_e32 v0, 0x3030303, v0
	v_lshrrev_b16 v246, 8, v0
	v_lshrrev_b32_e32 v245, 16, v0
	s_set_vgpr_msb 64                       ;  msbs: dst=1 src0=0 src1=0 src2=0
	v_sub_nc_u16 v31 /*v287*/, v0, v247
	s_set_vgpr_msb 4                        ;  msbs: dst=0 src0=0 src1=1 src2=0
	v_sub_nc_u16 v0, v246, v30 /*v286*/
	s_set_vgpr_msb 0x44                     ;  msbs: dst=1 src0=0 src1=1 src2=0
	v_sub_nc_u16 v29 /*v285*/, v245, v29 /*v285*/
	s_set_vgpr_msb 1                        ;  msbs: dst=0 src0=1 src1=0 src2=0
	ds_load_2addr_b32 v[246:247], v9 /*v265*/ offset0:4 offset1:5
	v_lshlrev_b16 v0, 8, v0
	s_set_vgpr_msb 0x41                     ;  msbs: dst=1 src0=1 src1=0 src2=0
	s_delay_alu instid0(VALU_DEP_1) | instskip(SKIP_3) | instid1(VALU_DEP_1)
	v_bitop3_b16 v30 /*v286*/, v31 /*v287*/, v0, 0xff bitop3:0xec
	s_set_vgpr_msb 4                        ;  msbs: dst=0 src0=0 src1=1 src2=0
	v_sub_nc_u16 v0, v244, v27 /*v283*/
	s_set_vgpr_msb 0                        ;  msbs: dst=0 src0=0 src1=0 src2=0
	v_lshlrev_b16 v0, 8, v0
	s_set_vgpr_msb 0x41                     ;  msbs: dst=1 src0=1 src1=0 src2=0
	s_delay_alu instid0(VALU_DEP_1)
	v_bitop3_b16 v27 /*v283*/, v29 /*v285*/, v0, 0xff bitop3:0xec
	s_set_vgpr_msb 0                        ;  msbs: dst=0 src0=0 src1=0 src2=0
	v_add_nc_u32_e32 v0, 0x3190, v215
	s_wait_dscnt 0x0
	v_dual_ashrrev_i32 v246, s18, v246 :: v_dual_ashrrev_i32 v247, s18, v247
	ds_load_2addr_b32 v[244:245], v0 offset1:1
	v_dual_lshlrev_b32 v246, 2, v246 :: v_dual_lshlrev_b32 v247, 2, v247
	s_delay_alu instid0(VALU_DEP_1) | instskip(NEXT) | instid1(VALU_DEP_2)
	v_and_b32_e32 v246, 0x4040404, v246
	v_and_b32_e32 v247, 0x4040404, v247
	s_set_vgpr_msb 64                       ;  msbs: dst=1 src0=0 src1=0 src2=0
	s_delay_alu instid0(VALU_DEP_2) | instskip(SKIP_1) | instid1(VALU_DEP_3)
	v_dual_lshrrev_b32 v35 /*v291*/, 24, v246 :: v_dual_lshrrev_b32 v36 /*v292*/, 16, v246
	v_lshrrev_b16 v34 /*v290*/, 8, v246
	v_dual_lshrrev_b32 v37 /*v293*/, 24, v247 :: v_dual_lshrrev_b32 v38 /*v294*/, 16, v247
	s_wait_dscnt 0x0
	s_set_vgpr_msb 0                        ;  msbs: dst=0 src0=0 src1=0 src2=0
	v_ashrrev_i32_e32 v0, s19, v244
	s_delay_alu instid0(VALU_DEP_1) | instskip(SKIP_2) | instid1(VALU_DEP_2)
	v_and_b32_e32 v244, 0x3030303, v0
	v_bfe_u32 v0, v0, 24, 2
	s_set_vgpr_msb 64                       ;  msbs: dst=1 src0=0 src1=0 src2=0
	v_lshrrev_b32_e32 v33 /*v289*/, 16, v244
	s_set_vgpr_msb 4                        ;  msbs: dst=0 src0=0 src1=1 src2=0
	s_delay_alu instid0(VALU_DEP_2)
	v_sub_nc_u16 v0, v0, v35 /*v291*/
	s_set_vgpr_msb 64                       ;  msbs: dst=1 src0=0 src1=0 src2=0
	v_lshrrev_b16 v32 /*v288*/, 8, v244
	s_set_vgpr_msb 0x45                     ;  msbs: dst=1 src0=1 src1=1 src2=0
	v_sub_nc_u16 v33 /*v289*/, v33 /*v289*/, v36 /*v292*/
	s_set_vgpr_msb 0                        ;  msbs: dst=0 src0=0 src1=0 src2=0
	v_lshlrev_b16 v0, 8, v0
	s_set_vgpr_msb 64                       ;  msbs: dst=1 src0=0 src1=0 src2=0
	v_sub_nc_u16 v36 /*v292*/, v244, v246
	s_set_vgpr_msb 0x41                     ;  msbs: dst=1 src0=1 src1=0 src2=0
	s_delay_alu instid0(VALU_DEP_2) | instskip(SKIP_4) | instid1(VALU_DEP_2)
	v_bitop3_b16 v35 /*v291*/, v33 /*v289*/, v0, 0xff bitop3:0xec
	s_set_vgpr_msb 5                        ;  msbs: dst=0 src0=1 src1=1 src2=0
	v_sub_nc_u16 v0, v32 /*v288*/, v34 /*v290*/
	s_set_vgpr_msb 64                       ;  msbs: dst=1 src0=0 src1=0 src2=0
	v_lshrrev_b16 v34 /*v290*/, 8, v247
	v_lshlrev_b16 v32 /*v288*/, 8, v0
	s_set_vgpr_msb 0                        ;  msbs: dst=0 src0=0 src1=0 src2=0
	v_ashrrev_i32_e32 v0, s19, v245
	s_delay_alu instid0(VALU_DEP_1) | instskip(SKIP_1) | instid1(VALU_DEP_2)
	v_and_b32_e32 v244, 0x3030303, v0
	v_bfe_u32 v0, v0, 24, 2
	v_lshrrev_b32_e32 v246, 16, v244
	s_set_vgpr_msb 4                        ;  msbs: dst=0 src0=0 src1=1 src2=0
	s_delay_alu instid0(VALU_DEP_2)
	v_sub_nc_u16 v0, v0, v37 /*v293*/
	s_set_vgpr_msb 0                        ;  msbs: dst=0 src0=0 src1=0 src2=0
	v_lshrrev_b16 v245, 8, v244
	s_set_vgpr_msb 64                       ;  msbs: dst=1 src0=0 src1=0 src2=0
	v_sub_nc_u16 v39 /*v295*/, v244, v247
	s_set_vgpr_msb 0x44                     ;  msbs: dst=1 src0=0 src1=1 src2=0
	v_sub_nc_u16 v38 /*v294*/, v246, v38 /*v294*/
	s_set_vgpr_msb 1                        ;  msbs: dst=0 src0=1 src1=0 src2=0
	v_lshlrev_b16 v0, 8, v0
	ds_load_2addr_b32 v[246:247], v9 /*v265*/ offset0:6 offset1:7
	s_set_vgpr_msb 0x41                     ;  msbs: dst=1 src0=1 src1=0 src2=0
	v_bitop3_b16 v37 /*v293*/, v38 /*v294*/, v0, 0xff bitop3:0xec
	s_set_vgpr_msb 4                        ;  msbs: dst=0 src0=0 src1=1 src2=0
	v_sub_nc_u16 v0, v245, v34 /*v290*/
	s_set_vgpr_msb 64                       ;  msbs: dst=1 src0=0 src1=0 src2=0
	s_delay_alu instid0(VALU_DEP_1)
	v_lshlrev_b16 v34 /*v290*/, 8, v0
	s_set_vgpr_msb 0                        ;  msbs: dst=0 src0=0 src1=0 src2=0
	v_add_nc_u32_e32 v0, 0x3198, v215
	ds_load_2addr_b32 v[244:245], v0 offset1:1
	s_wait_dscnt 0x1
	v_dual_ashrrev_i32 v246, s18, v246 :: v_dual_ashrrev_i32 v247, s18, v247
	s_delay_alu instid0(VALU_DEP_1) | instskip(NEXT) | instid1(VALU_DEP_1)
	v_dual_lshlrev_b32 v246, 2, v246 :: v_dual_lshlrev_b32 v247, 2, v247
	v_and_b32_e32 v246, 0x4040404, v246
	s_delay_alu instid0(VALU_DEP_2) | instskip(SKIP_1) | instid1(VALU_DEP_2)
	v_and_b32_e32 v247, 0x4040404, v247
	s_set_vgpr_msb 64                       ;  msbs: dst=1 src0=0 src1=0 src2=0
	v_lshrrev_b32_e32 v41 /*v297*/, 24, v246
	s_wait_dscnt 0x0
	s_set_vgpr_msb 0                        ;  msbs: dst=0 src0=0 src1=0 src2=0
	v_ashrrev_i32_e32 v0, s19, v244
	s_set_vgpr_msb 64                       ;  msbs: dst=1 src0=0 src1=0 src2=0
	v_lshrrev_b32_e32 v42 /*v298*/, 16, v246
	v_lshrrev_b16 v9 /*v265*/, 8, v246
	v_dual_lshrrev_b32 v43 /*v299*/, 24, v247 :: v_dual_lshrrev_b32 v44 /*v300*/, 16, v247
	s_set_vgpr_msb 0                        ;  msbs: dst=0 src0=0 src1=0 src2=0
	v_and_b32_e32 v215, 0x3030303, v0
	v_bfe_u32 v0, v0, 24, 2
	s_set_vgpr_msb 64                       ;  msbs: dst=1 src0=0 src1=0 src2=0
	s_delay_alu instid0(VALU_DEP_2) | instskip(SKIP_1) | instid1(VALU_DEP_2)
	v_lshrrev_b32_e32 v40 /*v296*/, 16, v215
	s_set_vgpr_msb 4                        ;  msbs: dst=0 src0=0 src1=1 src2=0
	v_sub_nc_u16 v0, v0, v41 /*v297*/
	s_set_vgpr_msb 0                        ;  msbs: dst=0 src0=0 src1=0 src2=0
	v_lshrrev_b16 v244, 8, v215
	v_sub_nc_u16 v215, v215, v246
	s_set_vgpr_msb 0x45                     ;  msbs: dst=1 src0=1 src1=1 src2=0
	v_sub_nc_u16 v40 /*v296*/, v40 /*v296*/, v42 /*v298*/
	s_set_vgpr_msb 0                        ;  msbs: dst=0 src0=0 src1=0 src2=0
	v_lshlrev_b16 v0, 8, v0
	s_set_vgpr_msb 64                       ;  msbs: dst=1 src0=0 src1=0 src2=0
	v_lshrrev_b16 v42 /*v298*/, 8, v247
	s_set_vgpr_msb 0                        ;  msbs: dst=0 src0=0 src1=0 src2=0
	v_bfe_i32 v215, v215, 0, 8
	s_set_vgpr_msb 0x41                     ;  msbs: dst=1 src0=1 src1=0 src2=0
	v_bitop3_b16 v41 /*v297*/, v40 /*v296*/, v0, 0xff bitop3:0xec
	s_set_vgpr_msb 4                        ;  msbs: dst=0 src0=0 src1=1 src2=0
	v_sub_nc_u16 v0, v244, v9 /*v265*/
	s_set_vgpr_msb 0                        ;  msbs: dst=0 src0=0 src1=0 src2=0
	s_delay_alu instid0(VALU_DEP_1) | instskip(SKIP_1) | instid1(VALU_DEP_1)
	v_lshlrev_b16 v244, 8, v0
	v_ashrrev_i32_e32 v0, s19, v245
	v_and_b32_e32 v245, 0x3030303, v0
	v_bfe_u32 v0, v0, 24, 2
	s_set_vgpr_msb 64                       ;  msbs: dst=1 src0=0 src1=0 src2=0
	s_delay_alu instid0(VALU_DEP_2) | instskip(SKIP_1) | instid1(VALU_DEP_2)
	v_lshrrev_b32_e32 v9 /*v265*/, 16, v245
	s_set_vgpr_msb 4                        ;  msbs: dst=0 src0=0 src1=1 src2=0
	v_sub_nc_u16 v0, v0, v43 /*v299*/
	s_set_vgpr_msb 0                        ;  msbs: dst=0 src0=0 src1=0 src2=0
	v_lshrrev_b16 v246, 8, v245
	v_sub_nc_u16 v245, v245, v247
	v_add_nc_u32_e32 v247, s21, v61
	s_set_vgpr_msb 0x45                     ;  msbs: dst=1 src0=1 src1=1 src2=0
	v_sub_nc_u16 v9 /*v265*/, v9 /*v265*/, v44 /*v300*/
	s_set_vgpr_msb 0                        ;  msbs: dst=0 src0=0 src1=0 src2=0
	v_lshlrev_b16 v0, 8, v0
	s_set_vgpr_msb 0x41                     ;  msbs: dst=1 src0=1 src1=0 src2=0
	s_delay_alu instid0(VALU_DEP_1)
	v_bitop3_b16 v43 /*v299*/, v9 /*v265*/, v0, 0xff bitop3:0xec
	s_set_vgpr_msb 4                        ;  msbs: dst=0 src0=0 src1=1 src2=0
	v_sub_nc_u16 v0, v246, v42 /*v298*/
	s_set_vgpr_msb 64                       ;  msbs: dst=1 src0=0 src1=0 src2=0
	v_bfe_i32 v42 /*v298*/, v243, 0, 8
	s_set_vgpr_msb 0                        ;  msbs: dst=0 src0=0 src1=0 src2=0
	s_delay_alu instid0(VALU_DEP_2) | instskip(SKIP_1) | instid1(VALU_DEP_2)
	v_lshlrev_b16 v246, 8, v0
	s_set_vgpr_msb 4                        ;  msbs: dst=0 src0=0 src1=1 src2=0
	v_mul_i32_i24_e32 v207, v207, v42 /*v298*/
	s_set_vgpr_msb 0                        ;  msbs: dst=0 src0=0 src1=0 src2=0
	v_add3_u32 v0, s22, v159, v150
	s_set_vgpr_msb 4                        ;  msbs: dst=0 src0=0 src1=1 src2=0
	s_delay_alu instid0(VALU_DEP_2)
	v_mad_i32_i24 v207, v208, v12 /*v268*/, v207
	s_set_vgpr_msb 5                        ;  msbs: dst=0 src0=1 src1=1 src2=0
	v_perm_b32 v208, v13 /*v269*/, v4 /*v260*/, 0xc0c0500
	s_set_vgpr_msb 0x41                     ;  msbs: dst=1 src0=1 src1=0 src2=0
	v_bfe_i32 v4 /*v260*/, v17 /*v273*/, 0, 8
	v_bfe_i32 v17 /*v273*/, v36 /*v292*/, 0, 8
	;; [unrolled: 1-line block ×4, first 2 shown]
	s_set_vgpr_msb 0                        ;  msbs: dst=0 src0=0 src1=0 src2=0
	ds_load_b32 v0, v0
	v_dot4_i32_iu8 v207, v239, v208, v207 neg_lo:[1,1,0]
	s_set_vgpr_msb 1                        ;  msbs: dst=0 src0=1 src1=0 src2=0
	v_bfe_i32 v239, v14 /*v270*/, 8, 8
	s_set_vgpr_msb 4                        ;  msbs: dst=0 src0=0 src1=1 src2=0
	v_mul_i32_i24_e32 v205, v205, v4 /*v260*/
	v_mul_i32_i24_e32 v200, v200, v32 /*v288*/
	s_set_vgpr_msb 0                        ;  msbs: dst=0 src0=0 src1=0 src2=0
	v_mul_i32_i24_e32 v206, v206, v239
	s_set_vgpr_msb 1                        ;  msbs: dst=0 src0=1 src1=0 src2=0
	v_bfe_i32 v239, v20 /*v276*/, 0, 8
	s_set_vgpr_msb 0x45                     ;  msbs: dst=1 src0=1 src1=1 src2=0
	v_perm_b32 v20 /*v276*/, v35 /*v291*/, v33 /*v289*/, 0xc0c0500
	s_set_vgpr_msb 0                        ;  msbs: dst=0 src0=0 src1=0 src2=0
	v_add3_u32 v205, v207, v205, v206
	s_set_vgpr_msb 5                        ;  msbs: dst=0 src0=1 src1=1 src2=0
	v_perm_b32 v206, v15 /*v271*/, v16 /*v272*/, 0xc0c0500
	s_set_vgpr_msb 0                        ;  msbs: dst=0 src0=0 src1=0 src2=0
	s_delay_alu instid0(VALU_DEP_1) | instskip(NEXT) | instid1(VALU_DEP_1)
	v_dot4_i32_iu8 v1, v1, v206, v205 neg_lo:[1,1,0]
	v_mad_i32_i24 v1, v239, v202, v1
	s_set_vgpr_msb 4                        ;  msbs: dst=0 src0=0 src1=1 src2=0
	v_mul_i32_i24_e32 v202, v203, v17 /*v273*/
	s_set_vgpr_msb 1                        ;  msbs: dst=0 src0=1 src1=0 src2=0
	v_bfe_i32 v203, v34 /*v290*/, 8, 8
	s_set_vgpr_msb 4                        ;  msbs: dst=0 src0=0 src1=1 src2=0
	s_delay_alu instid0(VALU_DEP_2) | instskip(SKIP_1) | instid1(VALU_DEP_2)
	v_mad_i32_i24 v202, v204, v13 /*v269*/, v202
	s_set_vgpr_msb 0                        ;  msbs: dst=0 src0=0 src1=0 src2=0
	v_mul_i32_i24_e32 v201, v201, v203
	s_set_vgpr_msb 4                        ;  msbs: dst=0 src0=0 src1=1 src2=0
	s_delay_alu instid0(VALU_DEP_2) | instskip(SKIP_1) | instid1(VALU_DEP_1)
	v_dot4_i32_iu8 v202, v241, v20 /*v276*/, v202 neg_lo:[1,1,0]
	s_set_vgpr_msb 0                        ;  msbs: dst=0 src0=0 src1=0 src2=0
	v_add3_u32 v200, v202, v200, v201
	s_set_vgpr_msb 5                        ;  msbs: dst=0 src0=1 src1=1 src2=0
	v_perm_b32 v201, v37 /*v293*/, v38 /*v294*/, 0xc0c0500
	s_set_vgpr_msb 0                        ;  msbs: dst=0 src0=0 src1=0 src2=0
	s_delay_alu instid0(VALU_DEP_1) | instskip(SKIP_1) | instid1(VALU_DEP_1)
	v_dot4_i32_iu8 v5, v5, v201, v200 neg_lo:[1,1,0]
	s_set_vgpr_msb 64                       ;  msbs: dst=1 src0=0 src1=0 src2=0
	v_mad_i32_i24 v33 /*v289*/, v215, v114, v5
	s_set_vgpr_msb 0                        ;  msbs: dst=0 src0=0 src1=0 src2=0
	v_or_b32_e32 v5, s17, v138
	s_delay_alu instid0(VALU_DEP_1)
	v_dual_lshlrev_b32 v204, 2, v5 :: v_dual_lshrrev_b32 v5, 1, v5
	ds_load_b32 v114, v5 offset:38816
	ds_load_b128 v[200:203], v204 offset:25344
	ds_load_b128 v[204:207], v204 offset:25360
	s_wait_dscnt 0x1
	s_set_vgpr_msb 64                       ;  msbs: dst=1 src0=0 src1=0 src2=0
	v_bfe_i32 v35 /*v291*/, v200, 0, 8
	v_bfe_i32 v36 /*v292*/, v200, 8, 8
	s_set_vgpr_msb 0                        ;  msbs: dst=0 src0=0 src1=0 src2=0
	v_perm_b32 v200, v200, v200, 0xc0c0302
	s_set_vgpr_msb 64                       ;  msbs: dst=1 src0=0 src1=0 src2=0
	v_bfe_i32 v39 /*v295*/, v201, 0, 8
	s_set_vgpr_msb 0                        ;  msbs: dst=0 src0=0 src1=0 src2=0
	v_perm_b32 v201, v201, v201, 0xc030201
	s_set_vgpr_msb 64                       ;  msbs: dst=1 src0=0 src1=0 src2=0
	v_bfe_i32 v44 /*v300*/, v202, 0, 8
	v_perm_b32 v50 /*v306*/, v202, v202, 0xc030201
	s_set_vgpr_msb 0                        ;  msbs: dst=0 src0=0 src1=0 src2=0
	v_bfe_i32 v243, v203, 0, 8
	v_perm_b32 v210, v203, v203, 0xc030201
	s_wait_dscnt 0x0
	s_set_vgpr_msb 64                       ;  msbs: dst=1 src0=0 src1=0 src2=0
	v_bfe_i32 v45 /*v301*/, v204, 0, 8
	v_bfe_i32 v46 /*v302*/, v204, 8, 8
	s_set_vgpr_msb 0                        ;  msbs: dst=0 src0=0 src1=0 src2=0
	v_perm_b32 v204, v204, v204, 0xc0c0302
	s_set_vgpr_msb 64                       ;  msbs: dst=1 src0=0 src1=0 src2=0
	v_bfe_i32 v47 /*v303*/, v205, 0, 8
	s_set_vgpr_msb 0                        ;  msbs: dst=0 src0=0 src1=0 src2=0
	v_perm_b32 v205, v205, v205, 0xc030201
	s_set_vgpr_msb 64                       ;  msbs: dst=1 src0=0 src1=0 src2=0
	;; [unrolled: 4-line block ×3, first 2 shown]
	v_bfe_i32 v49 /*v305*/, v207, 0, 8
	s_set_vgpr_msb 0                        ;  msbs: dst=0 src0=0 src1=0 src2=0
	v_perm_b32 v207, v207, v207, 0xc030201
	s_set_vgpr_msb 1                        ;  msbs: dst=0 src0=1 src1=0 src2=0
	v_mul_i32_i24_e32 v5, v35 /*v291*/, v166
	v_mul_i32_i24_e32 v212, v45 /*v301*/, v174
	s_delay_alu instid0(VALU_DEP_2) | instskip(NEXT) | instid1(VALU_DEP_2)
	v_mad_i32_i24 v5, v36 /*v292*/, v167, v5
	v_mad_i32_i24 v212, v46 /*v302*/, v175, v212
	s_set_vgpr_msb 0                        ;  msbs: dst=0 src0=0 src1=0 src2=0
	s_delay_alu instid0(VALU_DEP_2) | instskip(NEXT) | instid1(VALU_DEP_2)
	v_dot4_i32_iu8 v5, v200, v168, v5 neg_lo:[1,1,0]
	v_dot4_i32_iu8 v212, v204, v176, v212 neg_lo:[1,1,0]
	s_set_vgpr_msb 1                        ;  msbs: dst=0 src0=1 src1=0 src2=0
	s_delay_alu instid0(VALU_DEP_2) | instskip(NEXT) | instid1(VALU_DEP_2)
	v_mad_i32_i24 v5, v39 /*v295*/, v170, v5
	v_mad_i32_i24 v212, v47 /*v303*/, v178, v212
	s_set_vgpr_msb 0                        ;  msbs: dst=0 src0=0 src1=0 src2=0
	s_delay_alu instid0(VALU_DEP_2) | instskip(NEXT) | instid1(VALU_DEP_2)
	v_dot4_i32_iu8 v5, v201, v172, v5 neg_lo:[1,1,0]
	v_dot4_i32_iu8 v212, v205, v180, v212 neg_lo:[1,1,0]
	s_set_vgpr_msb 4                        ;  msbs: dst=0 src0=0 src1=1 src2=0
	s_delay_alu instid0(VALU_DEP_2) | instskip(NEXT) | instid1(VALU_DEP_2)
	v_mad_i32_i24 v5, v169, v44 /*v300*/, v5
	v_mad_i32_i24 v212, v177, v48 /*v304*/, v212
	s_delay_alu instid0(VALU_DEP_2) | instskip(SKIP_1) | instid1(VALU_DEP_2)
	v_dot4_i32_iu8 v5, v209, v50 /*v306*/, v5 neg_lo:[1,1,0]
	s_set_vgpr_msb 0                        ;  msbs: dst=0 src0=0 src1=0 src2=0
	v_dot4_i32_iu8 v212, v213, v206, v212 neg_lo:[1,1,0]
	s_delay_alu instid0(VALU_DEP_2) | instskip(SKIP_1) | instid1(VALU_DEP_2)
	v_mad_i32_i24 v5, v171, v243, v5
	s_set_vgpr_msb 4                        ;  msbs: dst=0 src0=0 src1=1 src2=0
	v_mad_i32_i24 v212, v179, v49 /*v305*/, v212
	s_set_vgpr_msb 0                        ;  msbs: dst=0 src0=0 src1=0 src2=0
	s_delay_alu instid0(VALU_DEP_2) | instskip(NEXT) | instid1(VALU_DEP_2)
	v_dot4_i32_iu8 v5, v211, v210, v5 neg_lo:[1,1,0]
	v_dot4_i32_iu8 v212, v214, v207, v212 neg_lo:[1,1,0]
	s_delay_alu instid0(VALU_DEP_2) | instskip(NEXT) | instid1(VALU_DEP_1)
	v_mul_lo_u32 v5, v5, v173
	v_mad_u32 v5, v212, v181, v5
	v_mul_f32_e32 v212, v165, v114
	s_delay_alu instid0(VALU_DEP_2) | instskip(NEXT) | instid1(VALU_DEP_1)
	v_cvt_f32_i32_e32 v5, v5
	v_mul_f32_e32 v5, v212, v5
	v_perm_b32 v212, v250, v250, 0xc0c0c01
	s_delay_alu instid0(VALU_DEP_2)
	v_pk_add_f32 v[46:47], v[46:47], v[4:5]
	s_set_vgpr_msb 1                        ;  msbs: dst=0 src0=1 src1=0 src2=0
	v_mul_i32_i24_e32 v4, v35 /*v291*/, v184
	s_set_vgpr_msb 0                        ;  msbs: dst=0 src0=0 src1=0 src2=0
	v_perm_b32 v5, v249, v248, 0xc05000c
	s_set_vgpr_msb 1                        ;  msbs: dst=0 src0=1 src1=0 src2=0
	s_delay_alu instid0(VALU_DEP_2) | instskip(SKIP_1) | instid1(VALU_DEP_2)
	v_mad_i32_i24 v4, v36 /*v292*/, v185, v4
	s_set_vgpr_msb 0                        ;  msbs: dst=0 src0=0 src1=0 src2=0
	v_or_b32_e32 v212, v5, v212
	v_perm_b32 v5, v252, v251, 0xc05000c
	s_delay_alu instid0(VALU_DEP_3) | instskip(NEXT) | instid1(VALU_DEP_2)
	v_dot4_i32_iu8 v4, v200, v186, v4 neg_lo:[1,1,0]
	v_or_b32_e32 v216, v5, v216
	s_set_vgpr_msb 1                        ;  msbs: dst=0 src0=1 src1=0 src2=0
	v_mul_i32_i24_e32 v5, v45 /*v301*/, v192
	s_delay_alu instid0(VALU_DEP_3) | instskip(NEXT) | instid1(VALU_DEP_2)
	v_mad_i32_i24 v4, v39 /*v295*/, v187, v4
	v_mad_i32_i24 v5, v46 /*v302*/, v193, v5
	s_set_vgpr_msb 0                        ;  msbs: dst=0 src0=0 src1=0 src2=0
	s_delay_alu instid0(VALU_DEP_2) | instskip(NEXT) | instid1(VALU_DEP_2)
	v_dot4_i32_iu8 v4, v201, v190, v4 neg_lo:[1,1,0]
	v_dot4_i32_iu8 v5, v204, v194, v5 neg_lo:[1,1,0]
	s_set_vgpr_msb 4                        ;  msbs: dst=0 src0=0 src1=1 src2=0
	s_delay_alu instid0(VALU_DEP_2) | instskip(SKIP_1) | instid1(VALU_DEP_2)
	v_mad_i32_i24 v4, v188, v44 /*v300*/, v4
	s_set_vgpr_msb 1                        ;  msbs: dst=0 src0=1 src1=0 src2=0
	v_mad_i32_i24 v5, v47 /*v303*/, v195, v5
	s_set_vgpr_msb 4                        ;  msbs: dst=0 src0=0 src1=1 src2=0
	s_delay_alu instid0(VALU_DEP_2) | instskip(SKIP_1) | instid1(VALU_DEP_2)
	v_dot4_i32_iu8 v4, v212, v50 /*v306*/, v4 neg_lo:[1,1,0]
	s_set_vgpr_msb 0                        ;  msbs: dst=0 src0=0 src1=0 src2=0
	v_dot4_i32_iu8 v5, v205, v198, v5 neg_lo:[1,1,0]
	s_delay_alu instid0(VALU_DEP_2) | instskip(SKIP_1) | instid1(VALU_DEP_2)
	v_mad_i32_i24 v4, v189, v243, v4
	s_set_vgpr_msb 4                        ;  msbs: dst=0 src0=0 src1=1 src2=0
	v_mad_i32_i24 v5, v196, v48 /*v304*/, v5
	s_set_vgpr_msb 0                        ;  msbs: dst=0 src0=0 src1=0 src2=0
	s_delay_alu instid0(VALU_DEP_2) | instskip(NEXT) | instid1(VALU_DEP_2)
	v_dot4_i32_iu8 v4, v216, v210, v4 neg_lo:[1,1,0]
	v_dot4_i32_iu8 v5, v217, v206, v5 neg_lo:[1,1,0]
	s_delay_alu instid0(VALU_DEP_2) | instskip(SKIP_1) | instid1(VALU_DEP_2)
	v_mul_lo_u32 v4, v4, v191
	s_set_vgpr_msb 4                        ;  msbs: dst=0 src0=0 src1=1 src2=0
	v_mad_i32_i24 v5, v197, v49 /*v305*/, v5
	s_set_vgpr_msb 0                        ;  msbs: dst=0 src0=0 src1=0 src2=0
	s_delay_alu instid0(VALU_DEP_1) | instskip(NEXT) | instid1(VALU_DEP_1)
	v_dot4_i32_iu8 v5, v218, v207, v5 neg_lo:[1,1,0]
	v_mad_u32 v4, v5, v199, v4
	v_mul_f32_e32 v5, v183, v114
	s_delay_alu instid0(VALU_DEP_2) | instskip(NEXT) | instid1(VALU_DEP_1)
	v_cvt_f32_i32_e32 v4, v4
	v_mul_f32_e32 v241, v5, v4
	s_set_vgpr_msb 1                        ;  msbs: dst=0 src0=1 src1=0 src2=0
	v_mul_i32_i24_e32 v4, v35 /*v291*/, v223
	s_set_vgpr_msb 5                        ;  msbs: dst=0 src0=1 src1=1 src2=0
	v_perm_b32 v5, v8 /*v264*/, v6 /*v262*/, 0xc05000c
	s_set_vgpr_msb 0                        ;  msbs: dst=0 src0=0 src1=0 src2=0
	v_pk_add_f32 v[44:45], v[44:45], v[240:241]
	s_set_vgpr_msb 1                        ;  msbs: dst=0 src0=1 src1=0 src2=0
	v_mad_i32_i24 v4, v36 /*v292*/, v224, v4
	s_set_vgpr_msb 0                        ;  msbs: dst=0 src0=0 src1=0 src2=0
	v_or_b32_e32 v220, v5, v220
	s_set_vgpr_msb 5                        ;  msbs: dst=0 src0=1 src1=1 src2=0
	v_perm_b32 v5, v10 /*v266*/, v11 /*v267*/, 0xc05000c
	v_perm_b32 v240, v21 /*v277*/, v21 /*v277*/, 0xc0c0c01
	v_perm_b32 v241, v28 /*v284*/, v28 /*v284*/, 0xc0c0c01
	s_set_vgpr_msb 0                        ;  msbs: dst=0 src0=0 src1=0 src2=0
	v_dot4_i32_iu8 v4, v200, v225, v4 neg_lo:[1,1,0]
	v_or_b32_e32 v221, v5, v221
	s_set_vgpr_msb 1                        ;  msbs: dst=0 src0=1 src1=0 src2=0
	v_mul_i32_i24_e32 v5, v45 /*v301*/, v231
	s_set_vgpr_msb 0                        ;  msbs: dst=0 src0=0 src1=0 src2=0
	v_or_b32_e32 v222, v222, v240
	s_set_vgpr_msb 5                        ;  msbs: dst=0 src0=1 src1=1 src2=0
	v_perm_b32 v240, v25 /*v281*/, v26 /*v282*/, 0xc05000c
	s_set_vgpr_msb 1                        ;  msbs: dst=0 src0=1 src1=0 src2=0
	v_mad_i32_i24 v4, v39 /*v295*/, v226, v4
	v_mad_i32_i24 v5, v46 /*v302*/, v232, v5
	s_set_vgpr_msb 0                        ;  msbs: dst=0 src0=0 src1=0 src2=0
	v_or_b32_e32 v240, v240, v241
	s_delay_alu instid0(VALU_DEP_3) | instskip(NEXT) | instid1(VALU_DEP_3)
	v_dot4_i32_iu8 v4, v201, v229, v4 neg_lo:[1,1,0]
	v_dot4_i32_iu8 v5, v204, v233, v5 neg_lo:[1,1,0]
	s_set_vgpr_msb 4                        ;  msbs: dst=0 src0=0 src1=1 src2=0
	s_delay_alu instid0(VALU_DEP_2) | instskip(SKIP_1) | instid1(VALU_DEP_2)
	v_mad_i32_i24 v4, v227, v44 /*v300*/, v4
	s_set_vgpr_msb 1                        ;  msbs: dst=0 src0=1 src1=0 src2=0
	v_mad_i32_i24 v5, v47 /*v303*/, v234, v5
	s_set_vgpr_msb 4                        ;  msbs: dst=0 src0=0 src1=1 src2=0
	s_delay_alu instid0(VALU_DEP_2) | instskip(SKIP_1) | instid1(VALU_DEP_2)
	v_dot4_i32_iu8 v4, v220, v50 /*v306*/, v4 neg_lo:[1,1,0]
	s_set_vgpr_msb 0                        ;  msbs: dst=0 src0=0 src1=0 src2=0
	v_dot4_i32_iu8 v5, v205, v237, v5 neg_lo:[1,1,0]
	s_delay_alu instid0(VALU_DEP_2) | instskip(SKIP_1) | instid1(VALU_DEP_2)
	v_mad_i32_i24 v4, v228, v243, v4
	s_set_vgpr_msb 4                        ;  msbs: dst=0 src0=0 src1=1 src2=0
	v_mad_i32_i24 v5, v235, v48 /*v304*/, v5
	s_set_vgpr_msb 0                        ;  msbs: dst=0 src0=0 src1=0 src2=0
	s_delay_alu instid0(VALU_DEP_2) | instskip(NEXT) | instid1(VALU_DEP_2)
	v_dot4_i32_iu8 v4, v221, v210, v4 neg_lo:[1,1,0]
	v_dot4_i32_iu8 v5, v222, v206, v5 neg_lo:[1,1,0]
	s_delay_alu instid0(VALU_DEP_2) | instskip(SKIP_1) | instid1(VALU_DEP_2)
	v_mul_lo_u32 v4, v4, v230
	s_set_vgpr_msb 4                        ;  msbs: dst=0 src0=0 src1=1 src2=0
	v_mad_i32_i24 v5, v236, v49 /*v305*/, v5
	s_set_vgpr_msb 0                        ;  msbs: dst=0 src0=0 src1=0 src2=0
	s_delay_alu instid0(VALU_DEP_1) | instskip(NEXT) | instid1(VALU_DEP_1)
	v_dot4_i32_iu8 v5, v240, v207, v5 neg_lo:[1,1,0]
	v_mad_u32 v4, v5, v238, v4
	v_mul_f32_e32 v5, v219, v114
	s_delay_alu instid0(VALU_DEP_2) | instskip(NEXT) | instid1(VALU_DEP_1)
	v_cvt_f32_i32_e32 v4, v4
	v_mul_f32_e32 v243, v5, v4
	s_set_vgpr_msb 5                        ;  msbs: dst=0 src0=1 src1=1 src2=0
	v_mul_i32_i24_e32 v4, v42 /*v298*/, v35 /*v291*/
	v_perm_b32 v5, v15 /*v271*/, v16 /*v272*/, 0xc05000c
	s_set_vgpr_msb 0                        ;  msbs: dst=0 src0=0 src1=0 src2=0
	v_pk_add_f32 v[42:43], v[42:43], v[242:243]
	s_set_vgpr_msb 5                        ;  msbs: dst=0 src0=1 src1=1 src2=0
	v_mad_i32_i24 v4, v12 /*v268*/, v36 /*v292*/, v4
	s_set_vgpr_msb 0                        ;  msbs: dst=0 src0=0 src1=0 src2=0
	v_bfe_i32 v243, v245, 0, 8
	s_delay_alu instid0(VALU_DEP_2) | instskip(SKIP_2) | instid1(VALU_DEP_2)
	v_dot4_i32_iu8 v4, v208, v200, v4 neg_lo:[1,1,0]
	s_set_vgpr_msb 5                        ;  msbs: dst=0 src0=1 src1=1 src2=0
	v_perm_b32 v200, v14 /*v270*/, v14 /*v270*/, 0xc0c0c01
	v_mad_i32_i24 v4, v4 /*v260*/, v39 /*v295*/, v4
	s_set_vgpr_msb 0                        ;  msbs: dst=0 src0=0 src1=0 src2=0
	s_delay_alu instid0(VALU_DEP_2)
	v_or_b32_e32 v241, v5, v200
	s_set_vgpr_msb 5                        ;  msbs: dst=0 src0=1 src1=1 src2=0
	v_perm_b32 v200, v37 /*v293*/, v38 /*v294*/, 0xc05000c
	v_mul_i32_i24_e32 v5, v17 /*v273*/, v45 /*v301*/
	s_set_vgpr_msb 0                        ;  msbs: dst=0 src0=0 src1=0 src2=0
	v_dot4_i32_iu8 v4, v241, v201, v4 neg_lo:[1,1,0]
	s_set_vgpr_msb 5                        ;  msbs: dst=0 src0=1 src1=1 src2=0
	v_perm_b32 v201, v34 /*v290*/, v34 /*v290*/, 0xc0c0c01
	v_mad_i32_i24 v5, v13 /*v269*/, v46 /*v302*/, v5
	s_set_vgpr_msb 1                        ;  msbs: dst=0 src0=1 src1=0 src2=0
	v_mad_i32_i24 v4, v44 /*v300*/, v239, v4
	s_set_vgpr_msb 0                        ;  msbs: dst=0 src0=0 src1=0 src2=0
	v_or_b32_e32 v242, v200, v201
	ds_load_u16 v200, v247
	s_set_vgpr_msb 1                        ;  msbs: dst=0 src0=1 src1=0 src2=0
	v_dot4_i32_iu8 v5, v20 /*v276*/, v204, v5 neg_lo:[1,1,0]
	s_set_vgpr_msb 5                        ;  msbs: dst=0 src0=1 src1=1 src2=0
	s_delay_alu instid0(VALU_DEP_1) | instskip(SKIP_1) | instid1(VALU_DEP_1)
	v_mad_i32_i24 v5, v32 /*v288*/, v47 /*v303*/, v5
	s_set_vgpr_msb 0                        ;  msbs: dst=0 src0=0 src1=0 src2=0
	v_dot4_i32_iu8 v5, v242, v205, v5 neg_lo:[1,1,0]
	s_set_vgpr_msb 1                        ;  msbs: dst=0 src0=1 src1=0 src2=0
	s_delay_alu instid0(VALU_DEP_1)
	v_mad_i32_i24 v5, v48 /*v304*/, v215, v5
	s_wait_dscnt 0x0
	v_lshrrev_b16 v201, 8, v200
	s_set_vgpr_msb 0                        ;  msbs: dst=0 src0=0 src1=0 src2=0
	v_bfe_i32 v247, v200, 0, 8
	s_set_vgpr_msb 5                        ;  msbs: dst=0 src0=1 src1=1 src2=0
	v_perm_b32 v200, v19 /*v275*/, v18 /*v274*/, 0xc0c0401
	s_set_vgpr_msb 0                        ;  msbs: dst=0 src0=0 src1=0 src2=0
	v_bfe_i32 v245, v201, 0, 8
	v_perm_b32 v201, v202, v202, 0xc0c0201
	s_delay_alu instid0(VALU_DEP_1) | instskip(SKIP_4) | instid1(VALU_DEP_1)
	v_dot4_i32_iu8 v4, v201, v200, v4 neg_lo:[1,1,0]
	s_set_vgpr_msb 5                        ;  msbs: dst=0 src0=1 src1=1 src2=0
	v_perm_b32 v200, v41 /*v297*/, v40 /*v296*/, 0xc05000c
	s_set_vgpr_msb 16                       ;  msbs: dst=0 src0=0 src1=0 src2=1
	v_perm_b32 v201, v244, v244, 0xc0c0c01
	v_or_b32_e32 v244, v200, v201
	v_perm_b32 v200, v203, v202, 0xc0c0403
	s_delay_alu instid0(VALU_DEP_2) | instskip(SKIP_1) | instid1(VALU_DEP_1)
	v_dot4_i32_iu8 v6, v6, v244, v33 /*v289*/ neg_lo:[1,1,0]
	s_set_vgpr_msb 0                        ;  msbs: dst=0 src0=0 src1=0 src2=0
	v_mad_i32_i24 v6, v182, v243, v6
	s_set_vgpr_msb 5                        ;  msbs: dst=0 src0=1 src1=1 src2=0
	v_perm_b32 v182, v31 /*v287*/, v24 /*v280*/, 0xc0c0401
	s_set_vgpr_msb 0                        ;  msbs: dst=0 src0=0 src1=0 src2=0
	s_delay_alu instid0(VALU_DEP_1) | instskip(SKIP_4) | instid1(VALU_DEP_1)
	v_dot4_i32_iu8 v4, v200, v182, v4 neg_lo:[1,1,0]
	s_set_vgpr_msb 5                        ;  msbs: dst=0 src0=1 src1=1 src2=0
	v_perm_b32 v182, v27 /*v283*/, v29 /*v285*/, 0xc05000c
	v_perm_b32 v200, v30 /*v286*/, v30 /*v286*/, 0xc0c0c01
	s_set_vgpr_msb 0                        ;  msbs: dst=0 src0=0 src1=0 src2=0
	v_or_b32_e32 v182, v182, v200
	v_perm_b32 v200, v246, v246, 0xc0c0c01
	s_delay_alu instid0(VALU_DEP_2) | instskip(SKIP_3) | instid1(VALU_DEP_2)
	v_dot4_i32_iu8 v4, v210, v182, v4 neg_lo:[1,1,0]
	s_set_vgpr_msb 5                        ;  msbs: dst=0 src0=1 src1=1 src2=0
	v_perm_b32 v182, v43 /*v299*/, v9 /*v265*/, 0xc05000c
	s_set_vgpr_msb 0                        ;  msbs: dst=0 src0=0 src1=0 src2=0
	v_mul_lo_u32 v4, v4, v247
	s_delay_alu instid0(VALU_DEP_2) | instskip(SKIP_3) | instid1(VALU_DEP_2)
	v_or_b32_e32 v210, v182, v200
	s_set_vgpr_msb 5                        ;  msbs: dst=0 src0=1 src1=1 src2=0
	v_perm_b32 v182, v18 /*v274*/, v18 /*v274*/, 0xc0c0c01
	s_set_vgpr_msb 0                        ;  msbs: dst=0 src0=0 src1=0 src2=0
	v_dot4_i32_iu8 v6, v7, v210, v6 neg_lo:[1,1,0]
	s_set_vgpr_msb 5                        ;  msbs: dst=0 src0=1 src1=1 src2=0
	v_perm_b32 v7, v24 /*v280*/, v19 /*v275*/, 0xc05000c
	s_set_vgpr_msb 0                        ;  msbs: dst=0 src0=0 src1=0 src2=0
	s_delay_alu instid0(VALU_DEP_2) | instskip(NEXT) | instid1(VALU_DEP_2)
	v_mul_lo_u32 v6, v6, v245
	v_or_b32_e32 v246, v7, v182
	s_set_vgpr_msb 5                        ;  msbs: dst=0 src0=1 src1=1 src2=0
	v_perm_b32 v7, v27 /*v283*/, v29 /*v285*/, 0x5000c0c
	s_set_vgpr_msb 0                        ;  msbs: dst=0 src0=0 src1=0 src2=0
	s_delay_alu instid0(VALU_DEP_2) | instskip(SKIP_4) | instid1(VALU_DEP_2)
	v_dot4_i32_iu8 v1, v2, v246, v1 neg_lo:[1,1,0]
	v_dot4_i32_iu8 v2, v206, v244, v5 neg_lo:[1,1,0]
	s_set_vgpr_msb 5                        ;  msbs: dst=0 src0=1 src1=1 src2=0
	v_perm_b32 v5, v30 /*v286*/, v31 /*v287*/, 0xc0c0500
	s_set_vgpr_msb 1                        ;  msbs: dst=0 src0=1 src1=0 src2=0
	v_mad_i32_i24 v2, v49 /*v305*/, v243, v2
	s_set_vgpr_msb 0                        ;  msbs: dst=0 src0=0 src1=0 src2=0
	s_delay_alu instid0(VALU_DEP_2) | instskip(NEXT) | instid1(VALU_DEP_2)
	v_or_b32_e32 v248, v7, v5
	v_dot4_i32_iu8 v2, v207, v210, v2 neg_lo:[1,1,0]
	s_delay_alu instid0(VALU_DEP_2) | instskip(NEXT) | instid1(VALU_DEP_2)
	v_dot4_i32_iu8 v1, v3, v248, v1 neg_lo:[1,1,0]
	v_mad_u32 v4, v2, v245, v4
	s_delay_alu instid0(VALU_DEP_2) | instskip(NEXT) | instid1(VALU_DEP_2)
	v_mad_u32 v1, v1, v247, v6
	v_cvt_f32_i32_e32 v4, v4
	s_delay_alu instid0(VALU_DEP_2) | instskip(SKIP_2) | instid1(VALU_DEP_2)
	v_pk_mul_f32 v[2:3], v[0:1], v[114:115] op_sel_hi:[0,1]
	v_cvt_f32_i32_e32 v5, v1
	v_or_b32_e32 v1, s17, v139
	v_pk_fma_f32 v[40:41], v[2:3], v[4:5], v[40:41]
	s_delay_alu instid0(VALU_DEP_2)
	v_dual_lshlrev_b32 v6, 2, v1 :: v_dual_lshrrev_b32 v1, 1, v1
	ds_load_b32 v1, v1 offset:38816
	ds_load_b128 v[2:5], v6 offset:25344
	ds_load_b128 v[200:203], v6 offset:25360
	s_wait_dscnt 0x1
	v_bfe_i32 v7, v2, 0, 8
	v_bfe_i32 v115, v2, 8, 8
	v_perm_b32 v2, v2, v2, 0xc0c0302
	v_bfe_i32 v182, v3, 0, 8
	v_perm_b32 v3, v3, v3, 0xc030201
	;; [unrolled: 2-line block ×4, first 2 shown]
	s_wait_dscnt 0x0
	v_bfe_i32 v206, v200, 0, 8
	v_bfe_i32 v207, v200, 8, 8
	v_perm_b32 v200, v200, v200, 0xc0c0302
	v_bfe_i32 v249, v201, 0, 8
	v_perm_b32 v201, v201, v201, 0xc030201
	;; [unrolled: 2-line block ×4, first 2 shown]
	v_mul_i32_i24_e32 v6, v7, v166
	v_mul_i32_i24_e32 v114, v206, v174
	;; [unrolled: 1-line block ×3, first 2 shown]
	s_delay_alu instid0(VALU_DEP_3) | instskip(NEXT) | instid1(VALU_DEP_3)
	v_mad_i32_i24 v6, v115, v167, v6
	v_mad_i32_i24 v114, v207, v175, v114
	s_delay_alu instid0(VALU_DEP_3) | instskip(NEXT) | instid1(VALU_DEP_3)
	v_mad_i32_i24 v253, v207, v193, v253
	v_dot4_i32_iu8 v6, v2, v168, v6 neg_lo:[1,1,0]
	s_delay_alu instid0(VALU_DEP_3) | instskip(NEXT) | instid1(VALU_DEP_3)
	v_dot4_i32_iu8 v114, v200, v176, v114 neg_lo:[1,1,0]
	v_dot4_i32_iu8 v253, v200, v194, v253 neg_lo:[1,1,0]
	s_delay_alu instid0(VALU_DEP_3) | instskip(NEXT) | instid1(VALU_DEP_3)
	v_mad_i32_i24 v6, v182, v170, v6
	v_mad_i32_i24 v114, v249, v178, v114
	s_delay_alu instid0(VALU_DEP_3) | instskip(NEXT) | instid1(VALU_DEP_3)
	v_mad_i32_i24 v253, v249, v195, v253
	v_dot4_i32_iu8 v6, v3, v172, v6 neg_lo:[1,1,0]
	s_delay_alu instid0(VALU_DEP_3) | instskip(NEXT) | instid1(VALU_DEP_3)
	v_dot4_i32_iu8 v114, v201, v180, v114 neg_lo:[1,1,0]
	v_dot4_i32_iu8 v253, v201, v198, v253 neg_lo:[1,1,0]
	s_delay_alu instid0(VALU_DEP_3) | instskip(NEXT) | instid1(VALU_DEP_3)
	v_mad_i32_i24 v6, v169, v205, v6
	v_mad_i32_i24 v114, v177, v250, v114
	s_delay_alu instid0(VALU_DEP_3) | instskip(NEXT) | instid1(VALU_DEP_3)
	v_mad_i32_i24 v253, v196, v250, v253
	v_dot4_i32_iu8 v6, v209, v4, v6 neg_lo:[1,1,0]
	s_delay_alu instid0(VALU_DEP_3) | instskip(NEXT) | instid1(VALU_DEP_3)
	v_dot4_i32_iu8 v114, v213, v202, v114 neg_lo:[1,1,0]
	v_dot4_i32_iu8 v253, v217, v202, v253 neg_lo:[1,1,0]
	s_delay_alu instid0(VALU_DEP_3) | instskip(NEXT) | instid1(VALU_DEP_3)
	v_mad_i32_i24 v6, v171, v204, v6
	v_mad_i32_i24 v114, v179, v251, v114
	s_delay_alu instid0(VALU_DEP_3) | instskip(NEXT) | instid1(VALU_DEP_3)
	v_mad_i32_i24 v253, v197, v251, v253
	v_dot4_i32_iu8 v6, v211, v252, v6 neg_lo:[1,1,0]
	s_delay_alu instid0(VALU_DEP_3) | instskip(NEXT) | instid1(VALU_DEP_3)
	v_dot4_i32_iu8 v114, v214, v203, v114 neg_lo:[1,1,0]
	v_dot4_i32_iu8 v253, v218, v203, v253 neg_lo:[1,1,0]
	s_delay_alu instid0(VALU_DEP_3) | instskip(NEXT) | instid1(VALU_DEP_1)
	v_mul_lo_u32 v6, v6, v173
	v_mad_u32 v6, v114, v181, v6
	v_mul_f32_e32 v114, v165, v1
	s_delay_alu instid0(VALU_DEP_2) | instskip(NEXT) | instid1(VALU_DEP_1)
	v_cvt_f32_i32_e32 v6, v6
	v_mul_f32_e32 v6, v114, v6
	v_mul_i32_i24_e32 v114, v7, v184
	s_delay_alu instid0(VALU_DEP_1) | instskip(NEXT) | instid1(VALU_DEP_1)
	v_mad_i32_i24 v114, v115, v185, v114
	v_dot4_i32_iu8 v114, v2, v186, v114 neg_lo:[1,1,0]
	s_delay_alu instid0(VALU_DEP_1) | instskip(NEXT) | instid1(VALU_DEP_1)
	v_mad_i32_i24 v114, v182, v187, v114
	v_dot4_i32_iu8 v114, v3, v190, v114 neg_lo:[1,1,0]
	;; [unrolled: 3-line block ×4, first 2 shown]
	s_delay_alu instid0(VALU_DEP_1) | instskip(NEXT) | instid1(VALU_DEP_1)
	v_mul_lo_u32 v114, v114, v191
	v_mad_u32 v114, v253, v199, v114
	v_mul_f32_e32 v253, v183, v1
	s_delay_alu instid0(VALU_DEP_2) | instskip(NEXT) | instid1(VALU_DEP_1)
	v_cvt_f32_i32_e32 v114, v114
	v_mul_f32_e32 v114, v253, v114
	v_mul_i32_i24_e32 v253, v7, v223
	s_set_vgpr_msb 1                        ;  msbs: dst=0 src0=1 src1=0 src2=0
	v_mul_i32_i24_e32 v7, v42 /*v298*/, v7
	s_set_vgpr_msb 0                        ;  msbs: dst=0 src0=0 src1=0 src2=0
	s_delay_alu instid0(VALU_DEP_2) | instskip(SKIP_1) | instid1(VALU_DEP_2)
	v_mad_i32_i24 v253, v115, v224, v253
	s_set_vgpr_msb 1                        ;  msbs: dst=0 src0=1 src1=0 src2=0
	v_mad_i32_i24 v7, v12 /*v268*/, v115, v7
	s_set_vgpr_msb 0                        ;  msbs: dst=0 src0=0 src1=0 src2=0
	s_delay_alu instid0(VALU_DEP_2) | instskip(NEXT) | instid1(VALU_DEP_2)
	v_dot4_i32_iu8 v253, v2, v225, v253 neg_lo:[1,1,0]
	v_dot4_i32_iu8 v2, v208, v2, v7 neg_lo:[1,1,0]
	s_delay_alu instid0(VALU_DEP_2) | instskip(SKIP_1) | instid1(VALU_DEP_2)
	v_mad_i32_i24 v253, v182, v226, v253
	s_set_vgpr_msb 1                        ;  msbs: dst=0 src0=1 src1=0 src2=0
	v_mad_i32_i24 v2, v4 /*v260*/, v182, v2
	s_set_vgpr_msb 0                        ;  msbs: dst=0 src0=0 src1=0 src2=0
	s_delay_alu instid0(VALU_DEP_2) | instskip(NEXT) | instid1(VALU_DEP_2)
	v_dot4_i32_iu8 v253, v3, v229, v253 neg_lo:[1,1,0]
	v_dot4_i32_iu8 v2, v241, v3, v2 neg_lo:[1,1,0]
	s_set_vgpr_msb 1                        ;  msbs: dst=0 src0=1 src1=0 src2=0
	v_mul_i32_i24_e32 v3, v17 /*v273*/, v206
	s_set_vgpr_msb 0                        ;  msbs: dst=0 src0=0 src1=0 src2=0
	v_mad_i32_i24 v253, v227, v205, v253
	v_mad_i32_i24 v2, v205, v239, v2
	s_set_vgpr_msb 1                        ;  msbs: dst=0 src0=1 src1=0 src2=0
	v_mad_i32_i24 v3, v13 /*v269*/, v207, v3
	s_set_vgpr_msb 0                        ;  msbs: dst=0 src0=0 src1=0 src2=0
	v_dot4_i32_iu8 v253, v220, v4, v253 neg_lo:[1,1,0]
	v_dot4_i32_iu8 v2, v4, v246, v2 neg_lo:[1,1,0]
	s_set_vgpr_msb 1                        ;  msbs: dst=0 src0=1 src1=0 src2=0
	v_dot4_i32_iu8 v3, v20 /*v276*/, v200, v3 neg_lo:[1,1,0]
	s_set_vgpr_msb 0                        ;  msbs: dst=0 src0=0 src1=0 src2=0
	v_mad_i32_i24 v204, v228, v204, v253
	v_dot4_i32_iu8 v2, v248, v5, v2 neg_lo:[1,1,0]
	s_set_vgpr_msb 1                        ;  msbs: dst=0 src0=1 src1=0 src2=0
	v_mad_i32_i24 v3, v32 /*v288*/, v249, v3
	s_set_vgpr_msb 0                        ;  msbs: dst=0 src0=0 src1=0 src2=0
	v_dot4_i32_iu8 v204, v221, v252, v204 neg_lo:[1,1,0]
	v_mul_i32_i24_e32 v252, v206, v231
	s_delay_alu instid0(VALU_DEP_3) | instskip(SKIP_1) | instid1(VALU_DEP_4)
	v_dot4_i32_iu8 v3, v242, v201, v3 neg_lo:[1,1,0]
	v_mul_lo_u32 v2, v2, v247
	v_mul_lo_u32 v204, v204, v230
	s_delay_alu instid0(VALU_DEP_4) | instskip(NEXT) | instid1(VALU_DEP_4)
	v_mad_i32_i24 v252, v207, v232, v252
	v_mad_i32_i24 v3, v250, v215, v3
	s_delay_alu instid0(VALU_DEP_2) | instskip(NEXT) | instid1(VALU_DEP_2)
	v_dot4_i32_iu8 v252, v200, v233, v252 neg_lo:[1,1,0]
	v_dot4_i32_iu8 v3, v202, v244, v3 neg_lo:[1,1,0]
	s_delay_alu instid0(VALU_DEP_2) | instskip(NEXT) | instid1(VALU_DEP_2)
	v_mad_i32_i24 v252, v249, v234, v252
	v_mad_i32_i24 v3, v243, v251, v3
	s_delay_alu instid0(VALU_DEP_2) | instskip(NEXT) | instid1(VALU_DEP_2)
	v_dot4_i32_iu8 v252, v201, v237, v252 neg_lo:[1,1,0]
	v_dot4_i32_iu8 v3, v210, v203, v3 neg_lo:[1,1,0]
	s_delay_alu instid0(VALU_DEP_2) | instskip(NEXT) | instid1(VALU_DEP_2)
	v_mad_i32_i24 v252, v235, v250, v252
	v_mad_u32 v2, v3, v245, v2
	s_delay_alu instid0(VALU_DEP_2) | instskip(NEXT) | instid1(VALU_DEP_1)
	v_dot4_i32_iu8 v252, v222, v202, v252 neg_lo:[1,1,0]
	v_mad_i32_i24 v252, v236, v251, v252
	s_delay_alu instid0(VALU_DEP_3) | instskip(NEXT) | instid1(VALU_DEP_2)
	v_cvt_f32_i32_e32 v2, v2
	v_dot4_i32_iu8 v252, v240, v203, v252 neg_lo:[1,1,0]
	s_delay_alu instid0(VALU_DEP_1) | instskip(SKIP_1) | instid1(VALU_DEP_1)
	v_mad_u32 v204, v252, v238, v204
	v_dual_mul_f32 v252, v219, v1 :: v_dual_mul_f32 v1, v0, v1
	v_dual_mul_f32 v206, v1, v2 :: v_dual_bitop2_b32 v1, s17, v140 bitop3:0x54
	s_delay_alu instid0(VALU_DEP_3) | instskip(NEXT) | instid1(VALU_DEP_2)
	v_cvt_f32_i32_e32 v204, v204
	v_dual_lshlrev_b32 v7, 2, v1 :: v_dual_lshrrev_b32 v1, 1, v1
	ds_load_b32 v1, v1 offset:38816
	ds_load_b128 v[2:5], v7 offset:25344
	ds_load_b128 v[200:203], v7 offset:25360
	v_mul_f32_e32 v204, v252, v204
	s_wait_dscnt 0x1
	v_bfe_i32 v182, v2, 0, 8
	v_bfe_i32 v207, v2, 8, 8
	v_perm_b32 v2, v2, v2, 0xc0c0302
	v_bfe_i32 v249, v3, 0, 8
	v_perm_b32 v3, v3, v3, 0xc030201
	;; [unrolled: 2-line block ×3, first 2 shown]
	v_bfe_i32 v205, v5, 0, 8
	s_set_vgpr_msb 64                       ;  msbs: dst=1 src0=0 src1=0 src2=0
	v_perm_b32 v0 /*v256*/, v5, v5, 0xc030201
	s_wait_dscnt 0x0
	s_set_vgpr_msb 0                        ;  msbs: dst=0 src0=0 src1=0 src2=0
	v_bfe_i32 v251, v200, 0, 8
	v_bfe_i32 v252, v200, 8, 8
	v_perm_b32 v200, v200, v200, 0xc0c0302
	v_bfe_i32 v253, v201, 0, 8
	v_perm_b32 v201, v201, v201, 0xc030201
	;; [unrolled: 2-line block ×4, first 2 shown]
	v_mul_i32_i24_e32 v7, v182, v166
	v_mul_i32_i24_e32 v115, v251, v174
	s_delay_alu instid0(VALU_DEP_2) | instskip(NEXT) | instid1(VALU_DEP_2)
	v_mad_i32_i24 v7, v207, v167, v7
	v_mad_i32_i24 v115, v252, v175, v115
	s_delay_alu instid0(VALU_DEP_2) | instskip(NEXT) | instid1(VALU_DEP_2)
	v_dot4_i32_iu8 v7, v2, v168, v7 neg_lo:[1,1,0]
	v_dot4_i32_iu8 v115, v200, v176, v115 neg_lo:[1,1,0]
	s_delay_alu instid0(VALU_DEP_2) | instskip(NEXT) | instid1(VALU_DEP_2)
	v_mad_i32_i24 v7, v249, v170, v7
	v_mad_i32_i24 v115, v253, v178, v115
	s_delay_alu instid0(VALU_DEP_2) | instskip(NEXT) | instid1(VALU_DEP_2)
	v_dot4_i32_iu8 v7, v3, v172, v7 neg_lo:[1,1,0]
	v_dot4_i32_iu8 v115, v201, v180, v115 neg_lo:[1,1,0]
	;; [unrolled: 6-line block ×3, first 2 shown]
	s_delay_alu instid0(VALU_DEP_2) | instskip(NEXT) | instid1(VALU_DEP_2)
	v_mad_i32_i24 v7, v171, v205, v7
	v_mad_i32_i24 v115, v179, v255, v115
	s_set_vgpr_msb 4                        ;  msbs: dst=0 src0=0 src1=1 src2=0
	s_delay_alu instid0(VALU_DEP_2) | instskip(SKIP_1) | instid1(VALU_DEP_2)
	v_dot4_i32_iu8 v7, v211, v0 /*v256*/, v7 neg_lo:[1,1,0]
	s_set_vgpr_msb 0                        ;  msbs: dst=0 src0=0 src1=0 src2=0
	v_dot4_i32_iu8 v115, v214, v203, v115 neg_lo:[1,1,0]
	s_delay_alu instid0(VALU_DEP_2) | instskip(NEXT) | instid1(VALU_DEP_1)
	v_mul_lo_u32 v7, v7, v173
	v_mad_u32 v7, v115, v181, v7
	v_mul_f32_e32 v115, v165, v1
	s_delay_alu instid0(VALU_DEP_2) | instskip(NEXT) | instid1(VALU_DEP_1)
	v_cvt_f32_i32_e32 v7, v7
	v_mul_f32_e32 v7, v115, v7
	s_delay_alu instid0(VALU_DEP_1) | instskip(SKIP_2) | instid1(VALU_DEP_2)
	v_pk_add_f32 v[36:37], v[36:37], v[6:7]
	v_mul_i32_i24_e32 v6, v182, v184
	v_mul_i32_i24_e32 v7, v251, v192
	v_mad_i32_i24 v6, v207, v185, v6
	s_delay_alu instid0(VALU_DEP_2) | instskip(NEXT) | instid1(VALU_DEP_2)
	v_mad_i32_i24 v7, v252, v193, v7
	v_dot4_i32_iu8 v6, v2, v186, v6 neg_lo:[1,1,0]
	s_delay_alu instid0(VALU_DEP_2) | instskip(NEXT) | instid1(VALU_DEP_2)
	v_dot4_i32_iu8 v7, v200, v194, v7 neg_lo:[1,1,0]
	v_mad_i32_i24 v6, v249, v187, v6
	s_delay_alu instid0(VALU_DEP_2) | instskip(NEXT) | instid1(VALU_DEP_2)
	v_mad_i32_i24 v7, v253, v195, v7
	v_dot4_i32_iu8 v6, v3, v190, v6 neg_lo:[1,1,0]
	s_delay_alu instid0(VALU_DEP_2) | instskip(NEXT) | instid1(VALU_DEP_2)
	v_dot4_i32_iu8 v7, v201, v198, v7 neg_lo:[1,1,0]
	;; [unrolled: 6-line block ×3, first 2 shown]
	v_mad_i32_i24 v6, v189, v205, v6
	s_delay_alu instid0(VALU_DEP_2) | instskip(SKIP_1) | instid1(VALU_DEP_2)
	v_mad_i32_i24 v7, v197, v255, v7
	s_set_vgpr_msb 4                        ;  msbs: dst=0 src0=0 src1=1 src2=0
	v_dot4_i32_iu8 v6, v216, v0 /*v256*/, v6 neg_lo:[1,1,0]
	s_set_vgpr_msb 0                        ;  msbs: dst=0 src0=0 src1=0 src2=0
	s_delay_alu instid0(VALU_DEP_2) | instskip(NEXT) | instid1(VALU_DEP_2)
	v_dot4_i32_iu8 v7, v218, v203, v7 neg_lo:[1,1,0]
	v_mul_lo_u32 v6, v6, v191
	s_delay_alu instid0(VALU_DEP_1) | instskip(SKIP_1) | instid1(VALU_DEP_2)
	v_mad_u32 v6, v7, v199, v6
	v_mul_f32_e32 v7, v183, v1
	v_cvt_f32_i32_e32 v6, v6
	s_delay_alu instid0(VALU_DEP_1) | instskip(SKIP_2) | instid1(VALU_DEP_3)
	v_mul_f32_e32 v115, v7, v6
	v_mul_i32_i24_e32 v6, v182, v223
	v_mul_i32_i24_e32 v7, v251, v231
	v_pk_add_f32 v[34:35], v[34:35], v[114:115]
	s_delay_alu instid0(VALU_DEP_3) | instskip(NEXT) | instid1(VALU_DEP_3)
	v_mad_i32_i24 v6, v207, v224, v6
	v_mad_i32_i24 v7, v252, v232, v7
	s_delay_alu instid0(VALU_DEP_2) | instskip(NEXT) | instid1(VALU_DEP_2)
	v_dot4_i32_iu8 v6, v2, v225, v6 neg_lo:[1,1,0]
	v_dot4_i32_iu8 v7, v200, v233, v7 neg_lo:[1,1,0]
	s_delay_alu instid0(VALU_DEP_2) | instskip(NEXT) | instid1(VALU_DEP_2)
	v_mad_i32_i24 v6, v249, v226, v6
	v_mad_i32_i24 v7, v253, v234, v7
	s_delay_alu instid0(VALU_DEP_2) | instskip(NEXT) | instid1(VALU_DEP_2)
	v_dot4_i32_iu8 v6, v3, v229, v6 neg_lo:[1,1,0]
	v_dot4_i32_iu8 v7, v201, v237, v7 neg_lo:[1,1,0]
	s_delay_alu instid0(VALU_DEP_2) | instskip(NEXT) | instid1(VALU_DEP_2)
	v_mad_i32_i24 v6, v227, v250, v6
	v_mad_i32_i24 v7, v235, v254, v7
	s_delay_alu instid0(VALU_DEP_2) | instskip(NEXT) | instid1(VALU_DEP_2)
	v_dot4_i32_iu8 v6, v220, v4, v6 neg_lo:[1,1,0]
	v_dot4_i32_iu8 v7, v222, v202, v7 neg_lo:[1,1,0]
	s_delay_alu instid0(VALU_DEP_2) | instskip(NEXT) | instid1(VALU_DEP_2)
	v_mad_i32_i24 v6, v228, v205, v6
	v_mad_i32_i24 v7, v236, v255, v7
	s_set_vgpr_msb 4                        ;  msbs: dst=0 src0=0 src1=1 src2=0
	s_delay_alu instid0(VALU_DEP_2) | instskip(SKIP_1) | instid1(VALU_DEP_2)
	v_dot4_i32_iu8 v6, v221, v0 /*v256*/, v6 neg_lo:[1,1,0]
	s_set_vgpr_msb 0                        ;  msbs: dst=0 src0=0 src1=0 src2=0
	v_dot4_i32_iu8 v7, v240, v203, v7 neg_lo:[1,1,0]
	s_delay_alu instid0(VALU_DEP_2) | instskip(NEXT) | instid1(VALU_DEP_1)
	v_mul_lo_u32 v6, v6, v230
	v_mad_u32 v6, v7, v238, v6
	v_dual_mul_f32 v7, v219, v1 :: v_dual_mul_f32 v1, v0, v1
	s_delay_alu instid0(VALU_DEP_2) | instskip(NEXT) | instid1(VALU_DEP_1)
	v_cvt_f32_i32_e32 v6, v6
	v_mul_f32_e32 v205, v7, v6
	s_set_vgpr_msb 1                        ;  msbs: dst=0 src0=1 src1=0 src2=0
	v_mul_i32_i24_e32 v6, v42 /*v298*/, v182
	s_set_vgpr_msb 0                        ;  msbs: dst=0 src0=0 src1=0 src2=0
	s_delay_alu instid0(VALU_DEP_2) | instskip(SKIP_1) | instid1(VALU_DEP_2)
	v_pk_add_f32 v[32:33], v[32:33], v[204:205]
	s_set_vgpr_msb 1                        ;  msbs: dst=0 src0=1 src1=0 src2=0
	v_mad_i32_i24 v6, v12 /*v268*/, v207, v6
	s_set_vgpr_msb 0                        ;  msbs: dst=0 src0=0 src1=0 src2=0
	s_delay_alu instid0(VALU_DEP_1) | instskip(SKIP_1) | instid1(VALU_DEP_1)
	v_dot4_i32_iu8 v2, v208, v2, v6 neg_lo:[1,1,0]
	s_set_vgpr_msb 1                        ;  msbs: dst=0 src0=1 src1=0 src2=0
	v_mad_i32_i24 v2, v4 /*v260*/, v249, v2
	s_set_vgpr_msb 0                        ;  msbs: dst=0 src0=0 src1=0 src2=0
	s_delay_alu instid0(VALU_DEP_1) | instskip(SKIP_3) | instid1(VALU_DEP_2)
	v_dot4_i32_iu8 v2, v241, v3, v2 neg_lo:[1,1,0]
	s_set_vgpr_msb 1                        ;  msbs: dst=0 src0=1 src1=0 src2=0
	v_mul_i32_i24_e32 v3, v17 /*v273*/, v251
	s_set_vgpr_msb 0                        ;  msbs: dst=0 src0=0 src1=0 src2=0
	v_mad_i32_i24 v2, v250, v239, v2
	s_set_vgpr_msb 1                        ;  msbs: dst=0 src0=1 src1=0 src2=0
	s_delay_alu instid0(VALU_DEP_2) | instskip(SKIP_1) | instid1(VALU_DEP_2)
	v_mad_i32_i24 v3, v13 /*v269*/, v252, v3
	s_set_vgpr_msb 0                        ;  msbs: dst=0 src0=0 src1=0 src2=0
	v_dot4_i32_iu8 v2, v4, v246, v2 neg_lo:[1,1,0]
	s_set_vgpr_msb 1                        ;  msbs: dst=0 src0=1 src1=0 src2=0
	s_delay_alu instid0(VALU_DEP_2) | instskip(SKIP_1) | instid1(VALU_DEP_2)
	v_dot4_i32_iu8 v3, v20 /*v276*/, v200, v3 neg_lo:[1,1,0]
	s_set_vgpr_msb 0                        ;  msbs: dst=0 src0=0 src1=0 src2=0
	v_dot4_i32_iu8 v2, v248, v5, v2 neg_lo:[1,1,0]
	s_set_vgpr_msb 1                        ;  msbs: dst=0 src0=1 src1=0 src2=0
	s_delay_alu instid0(VALU_DEP_2) | instskip(SKIP_1) | instid1(VALU_DEP_2)
	v_mad_i32_i24 v3, v32 /*v288*/, v253, v3
	s_set_vgpr_msb 0                        ;  msbs: dst=0 src0=0 src1=0 src2=0
	v_mul_lo_u32 v2, v2, v247
	s_delay_alu instid0(VALU_DEP_2) | instskip(NEXT) | instid1(VALU_DEP_1)
	v_dot4_i32_iu8 v3, v242, v201, v3 neg_lo:[1,1,0]
	v_mad_i32_i24 v3, v254, v215, v3
	s_delay_alu instid0(VALU_DEP_1) | instskip(NEXT) | instid1(VALU_DEP_1)
	v_dot4_i32_iu8 v3, v202, v244, v3 neg_lo:[1,1,0]
	v_mad_i32_i24 v3, v243, v255, v3
	s_delay_alu instid0(VALU_DEP_1) | instskip(NEXT) | instid1(VALU_DEP_1)
	v_dot4_i32_iu8 v3, v210, v203, v3 neg_lo:[1,1,0]
	v_mad_u32 v2, v3, v245, v2
	s_delay_alu instid0(VALU_DEP_1) | instskip(NEXT) | instid1(VALU_DEP_1)
	v_cvt_f32_i32_e32 v2, v2
	v_dual_mul_f32 v207, v1, v2 :: v_dual_bitop2_b32 v1, s17, v141 bitop3:0x54
	s_delay_alu instid0(VALU_DEP_1) | instskip(NEXT) | instid1(VALU_DEP_2)
	v_pk_add_f32 v[30:31], v[30:31], v[206:207]
	v_dual_lshlrev_b32 v6, 2, v1 :: v_dual_lshrrev_b32 v1, 1, v1
	ds_load_b32 v1, v1 offset:38816
	ds_load_b128 v[2:5], v6 offset:25344
	ds_load_b128 v[200:203], v6 offset:25360
	s_wait_dscnt 0x1
	v_bfe_i32 v7, v2, 0, 8
	v_bfe_i32 v115, v2, 8, 8
	v_perm_b32 v2, v2, v2, 0xc0c0302
	v_bfe_i32 v182, v3, 0, 8
	v_perm_b32 v3, v3, v3, 0xc030201
	;; [unrolled: 2-line block ×4, first 2 shown]
	s_wait_dscnt 0x0
	v_bfe_i32 v206, v200, 0, 8
	v_bfe_i32 v207, v200, 8, 8
	v_perm_b32 v200, v200, v200, 0xc0c0302
	v_bfe_i32 v249, v201, 0, 8
	v_perm_b32 v201, v201, v201, 0xc030201
	;; [unrolled: 2-line block ×4, first 2 shown]
	v_mul_i32_i24_e32 v6, v7, v166
	v_mul_i32_i24_e32 v114, v206, v174
	;; [unrolled: 1-line block ×3, first 2 shown]
	s_delay_alu instid0(VALU_DEP_3) | instskip(NEXT) | instid1(VALU_DEP_3)
	v_mad_i32_i24 v6, v115, v167, v6
	v_mad_i32_i24 v114, v207, v175, v114
	s_delay_alu instid0(VALU_DEP_3) | instskip(NEXT) | instid1(VALU_DEP_3)
	v_mad_i32_i24 v253, v207, v193, v253
	v_dot4_i32_iu8 v6, v2, v168, v6 neg_lo:[1,1,0]
	s_delay_alu instid0(VALU_DEP_3) | instskip(NEXT) | instid1(VALU_DEP_3)
	v_dot4_i32_iu8 v114, v200, v176, v114 neg_lo:[1,1,0]
	v_dot4_i32_iu8 v253, v200, v194, v253 neg_lo:[1,1,0]
	s_delay_alu instid0(VALU_DEP_3) | instskip(NEXT) | instid1(VALU_DEP_3)
	v_mad_i32_i24 v6, v182, v170, v6
	v_mad_i32_i24 v114, v249, v178, v114
	s_delay_alu instid0(VALU_DEP_3) | instskip(NEXT) | instid1(VALU_DEP_3)
	v_mad_i32_i24 v253, v249, v195, v253
	v_dot4_i32_iu8 v6, v3, v172, v6 neg_lo:[1,1,0]
	s_delay_alu instid0(VALU_DEP_3) | instskip(NEXT) | instid1(VALU_DEP_3)
	v_dot4_i32_iu8 v114, v201, v180, v114 neg_lo:[1,1,0]
	v_dot4_i32_iu8 v253, v201, v198, v253 neg_lo:[1,1,0]
	;; [unrolled: 9-line block ×4, first 2 shown]
	s_delay_alu instid0(VALU_DEP_3) | instskip(NEXT) | instid1(VALU_DEP_1)
	v_mul_lo_u32 v6, v6, v173
	v_mad_u32 v6, v114, v181, v6
	v_mul_f32_e32 v114, v165, v1
	s_delay_alu instid0(VALU_DEP_2) | instskip(NEXT) | instid1(VALU_DEP_1)
	v_cvt_f32_i32_e32 v6, v6
	v_mul_f32_e32 v6, v114, v6
	v_mul_i32_i24_e32 v114, v7, v184
	s_delay_alu instid0(VALU_DEP_1) | instskip(NEXT) | instid1(VALU_DEP_1)
	v_mad_i32_i24 v114, v115, v185, v114
	v_dot4_i32_iu8 v114, v2, v186, v114 neg_lo:[1,1,0]
	s_delay_alu instid0(VALU_DEP_1) | instskip(NEXT) | instid1(VALU_DEP_1)
	v_mad_i32_i24 v114, v182, v187, v114
	v_dot4_i32_iu8 v114, v3, v190, v114 neg_lo:[1,1,0]
	;; [unrolled: 3-line block ×4, first 2 shown]
	s_delay_alu instid0(VALU_DEP_1) | instskip(NEXT) | instid1(VALU_DEP_1)
	v_mul_lo_u32 v114, v114, v191
	v_mad_u32 v114, v253, v199, v114
	v_mul_f32_e32 v253, v183, v1
	s_delay_alu instid0(VALU_DEP_2) | instskip(NEXT) | instid1(VALU_DEP_1)
	v_cvt_f32_i32_e32 v114, v114
	v_mul_f32_e32 v114, v253, v114
	v_mul_i32_i24_e32 v253, v7, v223
	s_set_vgpr_msb 1                        ;  msbs: dst=0 src0=1 src1=0 src2=0
	v_mul_i32_i24_e32 v7, v42 /*v298*/, v7
	s_set_vgpr_msb 0                        ;  msbs: dst=0 src0=0 src1=0 src2=0
	s_delay_alu instid0(VALU_DEP_2) | instskip(SKIP_1) | instid1(VALU_DEP_2)
	v_mad_i32_i24 v253, v115, v224, v253
	s_set_vgpr_msb 1                        ;  msbs: dst=0 src0=1 src1=0 src2=0
	v_mad_i32_i24 v7, v12 /*v268*/, v115, v7
	s_set_vgpr_msb 0                        ;  msbs: dst=0 src0=0 src1=0 src2=0
	s_delay_alu instid0(VALU_DEP_2) | instskip(NEXT) | instid1(VALU_DEP_2)
	v_dot4_i32_iu8 v253, v2, v225, v253 neg_lo:[1,1,0]
	v_dot4_i32_iu8 v2, v208, v2, v7 neg_lo:[1,1,0]
	s_delay_alu instid0(VALU_DEP_2) | instskip(SKIP_1) | instid1(VALU_DEP_2)
	v_mad_i32_i24 v253, v182, v226, v253
	s_set_vgpr_msb 1                        ;  msbs: dst=0 src0=1 src1=0 src2=0
	v_mad_i32_i24 v2, v4 /*v260*/, v182, v2
	s_set_vgpr_msb 0                        ;  msbs: dst=0 src0=0 src1=0 src2=0
	s_delay_alu instid0(VALU_DEP_2) | instskip(NEXT) | instid1(VALU_DEP_2)
	v_dot4_i32_iu8 v253, v3, v229, v253 neg_lo:[1,1,0]
	v_dot4_i32_iu8 v2, v241, v3, v2 neg_lo:[1,1,0]
	s_set_vgpr_msb 1                        ;  msbs: dst=0 src0=1 src1=0 src2=0
	v_mul_i32_i24_e32 v3, v17 /*v273*/, v206
	s_set_vgpr_msb 0                        ;  msbs: dst=0 src0=0 src1=0 src2=0
	v_mad_i32_i24 v253, v227, v205, v253
	v_mad_i32_i24 v2, v205, v239, v2
	s_set_vgpr_msb 1                        ;  msbs: dst=0 src0=1 src1=0 src2=0
	v_mad_i32_i24 v3, v13 /*v269*/, v207, v3
	s_set_vgpr_msb 0                        ;  msbs: dst=0 src0=0 src1=0 src2=0
	v_dot4_i32_iu8 v253, v220, v4, v253 neg_lo:[1,1,0]
	v_dot4_i32_iu8 v2, v4, v246, v2 neg_lo:[1,1,0]
	s_set_vgpr_msb 1                        ;  msbs: dst=0 src0=1 src1=0 src2=0
	v_dot4_i32_iu8 v3, v20 /*v276*/, v200, v3 neg_lo:[1,1,0]
	s_set_vgpr_msb 0                        ;  msbs: dst=0 src0=0 src1=0 src2=0
	v_mad_i32_i24 v204, v228, v204, v253
	v_dot4_i32_iu8 v2, v248, v5, v2 neg_lo:[1,1,0]
	s_set_vgpr_msb 1                        ;  msbs: dst=0 src0=1 src1=0 src2=0
	v_mad_i32_i24 v3, v32 /*v288*/, v249, v3
	s_set_vgpr_msb 0                        ;  msbs: dst=0 src0=0 src1=0 src2=0
	v_dot4_i32_iu8 v204, v221, v252, v204 neg_lo:[1,1,0]
	v_mul_i32_i24_e32 v252, v206, v231
	s_delay_alu instid0(VALU_DEP_3) | instskip(SKIP_1) | instid1(VALU_DEP_4)
	v_dot4_i32_iu8 v3, v242, v201, v3 neg_lo:[1,1,0]
	v_mul_lo_u32 v2, v2, v247
	v_mul_lo_u32 v204, v204, v230
	s_delay_alu instid0(VALU_DEP_4) | instskip(NEXT) | instid1(VALU_DEP_4)
	v_mad_i32_i24 v252, v207, v232, v252
	v_mad_i32_i24 v3, v250, v215, v3
	s_delay_alu instid0(VALU_DEP_2) | instskip(NEXT) | instid1(VALU_DEP_2)
	v_dot4_i32_iu8 v252, v200, v233, v252 neg_lo:[1,1,0]
	v_dot4_i32_iu8 v3, v202, v244, v3 neg_lo:[1,1,0]
	s_delay_alu instid0(VALU_DEP_2) | instskip(NEXT) | instid1(VALU_DEP_2)
	v_mad_i32_i24 v252, v249, v234, v252
	v_mad_i32_i24 v3, v243, v251, v3
	s_delay_alu instid0(VALU_DEP_2) | instskip(NEXT) | instid1(VALU_DEP_2)
	v_dot4_i32_iu8 v252, v201, v237, v252 neg_lo:[1,1,0]
	v_dot4_i32_iu8 v3, v210, v203, v3 neg_lo:[1,1,0]
	s_delay_alu instid0(VALU_DEP_2) | instskip(NEXT) | instid1(VALU_DEP_2)
	v_mad_i32_i24 v252, v235, v250, v252
	v_mad_u32 v2, v3, v245, v2
	s_delay_alu instid0(VALU_DEP_2) | instskip(NEXT) | instid1(VALU_DEP_1)
	v_dot4_i32_iu8 v252, v222, v202, v252 neg_lo:[1,1,0]
	v_mad_i32_i24 v252, v236, v251, v252
	s_delay_alu instid0(VALU_DEP_3) | instskip(NEXT) | instid1(VALU_DEP_2)
	v_cvt_f32_i32_e32 v2, v2
	v_dot4_i32_iu8 v252, v240, v203, v252 neg_lo:[1,1,0]
	s_delay_alu instid0(VALU_DEP_1) | instskip(SKIP_1) | instid1(VALU_DEP_1)
	v_mad_u32 v204, v252, v238, v204
	v_dual_mul_f32 v252, v219, v1 :: v_dual_mul_f32 v1, v0, v1
	v_mul_f32_e32 v206, v1, v2
	v_or_b32_e32 v1, s17, v142
	s_delay_alu instid0(VALU_DEP_4) | instskip(NEXT) | instid1(VALU_DEP_2)
	v_cvt_f32_i32_e32 v204, v204
	v_dual_lshlrev_b32 v7, 2, v1 :: v_dual_lshrrev_b32 v1, 1, v1
	ds_load_b32 v1, v1 offset:38816
	ds_load_b128 v[2:5], v7 offset:25344
	ds_load_b128 v[200:203], v7 offset:25360
	v_mul_f32_e32 v204, v252, v204
	s_wait_dscnt 0x1
	v_bfe_i32 v182, v2, 0, 8
	v_bfe_i32 v207, v2, 8, 8
	v_perm_b32 v2, v2, v2, 0xc0c0302
	v_bfe_i32 v249, v3, 0, 8
	v_perm_b32 v3, v3, v3, 0xc030201
	;; [unrolled: 2-line block ×3, first 2 shown]
	v_bfe_i32 v205, v5, 0, 8
	s_set_vgpr_msb 64                       ;  msbs: dst=1 src0=0 src1=0 src2=0
	v_perm_b32 v0 /*v256*/, v5, v5, 0xc030201
	s_wait_dscnt 0x0
	s_set_vgpr_msb 0                        ;  msbs: dst=0 src0=0 src1=0 src2=0
	v_bfe_i32 v251, v200, 0, 8
	v_bfe_i32 v252, v200, 8, 8
	v_perm_b32 v200, v200, v200, 0xc0c0302
	v_bfe_i32 v253, v201, 0, 8
	v_perm_b32 v201, v201, v201, 0xc030201
	;; [unrolled: 2-line block ×4, first 2 shown]
	v_mul_i32_i24_e32 v7, v182, v166
	v_mul_i32_i24_e32 v115, v251, v174
	s_delay_alu instid0(VALU_DEP_2) | instskip(NEXT) | instid1(VALU_DEP_2)
	v_mad_i32_i24 v7, v207, v167, v7
	v_mad_i32_i24 v115, v252, v175, v115
	s_delay_alu instid0(VALU_DEP_2) | instskip(NEXT) | instid1(VALU_DEP_2)
	v_dot4_i32_iu8 v7, v2, v168, v7 neg_lo:[1,1,0]
	v_dot4_i32_iu8 v115, v200, v176, v115 neg_lo:[1,1,0]
	s_delay_alu instid0(VALU_DEP_2) | instskip(NEXT) | instid1(VALU_DEP_2)
	v_mad_i32_i24 v7, v249, v170, v7
	v_mad_i32_i24 v115, v253, v178, v115
	s_delay_alu instid0(VALU_DEP_2) | instskip(NEXT) | instid1(VALU_DEP_2)
	v_dot4_i32_iu8 v7, v3, v172, v7 neg_lo:[1,1,0]
	v_dot4_i32_iu8 v115, v201, v180, v115 neg_lo:[1,1,0]
	;; [unrolled: 6-line block ×3, first 2 shown]
	s_delay_alu instid0(VALU_DEP_2) | instskip(NEXT) | instid1(VALU_DEP_2)
	v_mad_i32_i24 v7, v171, v205, v7
	v_mad_i32_i24 v115, v179, v255, v115
	s_set_vgpr_msb 4                        ;  msbs: dst=0 src0=0 src1=1 src2=0
	s_delay_alu instid0(VALU_DEP_2) | instskip(SKIP_1) | instid1(VALU_DEP_2)
	v_dot4_i32_iu8 v7, v211, v0 /*v256*/, v7 neg_lo:[1,1,0]
	s_set_vgpr_msb 0                        ;  msbs: dst=0 src0=0 src1=0 src2=0
	v_dot4_i32_iu8 v115, v214, v203, v115 neg_lo:[1,1,0]
	s_delay_alu instid0(VALU_DEP_2) | instskip(NEXT) | instid1(VALU_DEP_1)
	v_mul_lo_u32 v7, v7, v173
	v_mad_u32 v7, v115, v181, v7
	v_mul_f32_e32 v115, v165, v1
	s_delay_alu instid0(VALU_DEP_2) | instskip(NEXT) | instid1(VALU_DEP_1)
	v_cvt_f32_i32_e32 v7, v7
	v_mul_f32_e32 v7, v115, v7
	s_delay_alu instid0(VALU_DEP_1) | instskip(SKIP_2) | instid1(VALU_DEP_2)
	v_pk_add_f32 v[26:27], v[26:27], v[6:7]
	v_mul_i32_i24_e32 v6, v182, v184
	v_mul_i32_i24_e32 v7, v251, v192
	v_mad_i32_i24 v6, v207, v185, v6
	s_delay_alu instid0(VALU_DEP_2) | instskip(NEXT) | instid1(VALU_DEP_2)
	v_mad_i32_i24 v7, v252, v193, v7
	v_dot4_i32_iu8 v6, v2, v186, v6 neg_lo:[1,1,0]
	s_delay_alu instid0(VALU_DEP_2) | instskip(NEXT) | instid1(VALU_DEP_2)
	v_dot4_i32_iu8 v7, v200, v194, v7 neg_lo:[1,1,0]
	v_mad_i32_i24 v6, v249, v187, v6
	s_delay_alu instid0(VALU_DEP_2) | instskip(NEXT) | instid1(VALU_DEP_2)
	v_mad_i32_i24 v7, v253, v195, v7
	v_dot4_i32_iu8 v6, v3, v190, v6 neg_lo:[1,1,0]
	s_delay_alu instid0(VALU_DEP_2) | instskip(NEXT) | instid1(VALU_DEP_2)
	v_dot4_i32_iu8 v7, v201, v198, v7 neg_lo:[1,1,0]
	v_mad_i32_i24 v6, v188, v250, v6
	s_delay_alu instid0(VALU_DEP_2) | instskip(NEXT) | instid1(VALU_DEP_2)
	v_mad_i32_i24 v7, v196, v254, v7
	v_dot4_i32_iu8 v6, v212, v4, v6 neg_lo:[1,1,0]
	s_delay_alu instid0(VALU_DEP_2) | instskip(NEXT) | instid1(VALU_DEP_2)
	v_dot4_i32_iu8 v7, v217, v202, v7 neg_lo:[1,1,0]
	v_mad_i32_i24 v6, v189, v205, v6
	s_delay_alu instid0(VALU_DEP_2) | instskip(SKIP_1) | instid1(VALU_DEP_2)
	v_mad_i32_i24 v7, v197, v255, v7
	s_set_vgpr_msb 4                        ;  msbs: dst=0 src0=0 src1=1 src2=0
	v_dot4_i32_iu8 v6, v216, v0 /*v256*/, v6 neg_lo:[1,1,0]
	s_set_vgpr_msb 0                        ;  msbs: dst=0 src0=0 src1=0 src2=0
	s_delay_alu instid0(VALU_DEP_2) | instskip(NEXT) | instid1(VALU_DEP_2)
	v_dot4_i32_iu8 v7, v218, v203, v7 neg_lo:[1,1,0]
	v_mul_lo_u32 v6, v6, v191
	s_delay_alu instid0(VALU_DEP_1) | instskip(SKIP_1) | instid1(VALU_DEP_2)
	v_mad_u32 v6, v7, v199, v6
	v_mul_f32_e32 v7, v183, v1
	v_cvt_f32_i32_e32 v6, v6
	s_delay_alu instid0(VALU_DEP_1) | instskip(SKIP_2) | instid1(VALU_DEP_3)
	v_mul_f32_e32 v115, v7, v6
	v_mul_i32_i24_e32 v6, v182, v223
	v_mul_i32_i24_e32 v7, v251, v231
	v_pk_add_f32 v[24:25], v[24:25], v[114:115]
	s_delay_alu instid0(VALU_DEP_3) | instskip(NEXT) | instid1(VALU_DEP_3)
	v_mad_i32_i24 v6, v207, v224, v6
	v_mad_i32_i24 v7, v252, v232, v7
	s_delay_alu instid0(VALU_DEP_2) | instskip(NEXT) | instid1(VALU_DEP_2)
	v_dot4_i32_iu8 v6, v2, v225, v6 neg_lo:[1,1,0]
	v_dot4_i32_iu8 v7, v200, v233, v7 neg_lo:[1,1,0]
	s_delay_alu instid0(VALU_DEP_2) | instskip(NEXT) | instid1(VALU_DEP_2)
	v_mad_i32_i24 v6, v249, v226, v6
	v_mad_i32_i24 v7, v253, v234, v7
	s_delay_alu instid0(VALU_DEP_2) | instskip(NEXT) | instid1(VALU_DEP_2)
	v_dot4_i32_iu8 v6, v3, v229, v6 neg_lo:[1,1,0]
	v_dot4_i32_iu8 v7, v201, v237, v7 neg_lo:[1,1,0]
	s_delay_alu instid0(VALU_DEP_2) | instskip(NEXT) | instid1(VALU_DEP_2)
	v_mad_i32_i24 v6, v227, v250, v6
	v_mad_i32_i24 v7, v235, v254, v7
	s_delay_alu instid0(VALU_DEP_2) | instskip(NEXT) | instid1(VALU_DEP_2)
	v_dot4_i32_iu8 v6, v220, v4, v6 neg_lo:[1,1,0]
	v_dot4_i32_iu8 v7, v222, v202, v7 neg_lo:[1,1,0]
	s_delay_alu instid0(VALU_DEP_2) | instskip(NEXT) | instid1(VALU_DEP_2)
	v_mad_i32_i24 v6, v228, v205, v6
	v_mad_i32_i24 v7, v236, v255, v7
	s_set_vgpr_msb 4                        ;  msbs: dst=0 src0=0 src1=1 src2=0
	s_delay_alu instid0(VALU_DEP_2) | instskip(SKIP_1) | instid1(VALU_DEP_2)
	v_dot4_i32_iu8 v6, v221, v0 /*v256*/, v6 neg_lo:[1,1,0]
	s_set_vgpr_msb 0                        ;  msbs: dst=0 src0=0 src1=0 src2=0
	v_dot4_i32_iu8 v7, v240, v203, v7 neg_lo:[1,1,0]
	s_delay_alu instid0(VALU_DEP_2) | instskip(NEXT) | instid1(VALU_DEP_1)
	v_mul_lo_u32 v6, v6, v230
	v_mad_u32 v6, v7, v238, v6
	v_dual_mul_f32 v7, v219, v1 :: v_dual_mul_f32 v1, v0, v1
	s_delay_alu instid0(VALU_DEP_2) | instskip(NEXT) | instid1(VALU_DEP_1)
	v_cvt_f32_i32_e32 v6, v6
	v_mul_f32_e32 v205, v7, v6
	s_set_vgpr_msb 1                        ;  msbs: dst=0 src0=1 src1=0 src2=0
	v_mul_i32_i24_e32 v6, v42 /*v298*/, v182
	s_set_vgpr_msb 0                        ;  msbs: dst=0 src0=0 src1=0 src2=0
	s_delay_alu instid0(VALU_DEP_2) | instskip(SKIP_1) | instid1(VALU_DEP_2)
	v_pk_add_f32 v[22:23], v[22:23], v[204:205]
	s_set_vgpr_msb 1                        ;  msbs: dst=0 src0=1 src1=0 src2=0
	v_mad_i32_i24 v6, v12 /*v268*/, v207, v6
	s_set_vgpr_msb 0                        ;  msbs: dst=0 src0=0 src1=0 src2=0
	s_delay_alu instid0(VALU_DEP_1) | instskip(SKIP_1) | instid1(VALU_DEP_1)
	v_dot4_i32_iu8 v2, v208, v2, v6 neg_lo:[1,1,0]
	s_set_vgpr_msb 1                        ;  msbs: dst=0 src0=1 src1=0 src2=0
	v_mad_i32_i24 v2, v4 /*v260*/, v249, v2
	s_set_vgpr_msb 0                        ;  msbs: dst=0 src0=0 src1=0 src2=0
	s_delay_alu instid0(VALU_DEP_1) | instskip(SKIP_3) | instid1(VALU_DEP_2)
	v_dot4_i32_iu8 v2, v241, v3, v2 neg_lo:[1,1,0]
	s_set_vgpr_msb 1                        ;  msbs: dst=0 src0=1 src1=0 src2=0
	v_mul_i32_i24_e32 v3, v17 /*v273*/, v251
	s_set_vgpr_msb 0                        ;  msbs: dst=0 src0=0 src1=0 src2=0
	v_mad_i32_i24 v2, v250, v239, v2
	s_set_vgpr_msb 1                        ;  msbs: dst=0 src0=1 src1=0 src2=0
	s_delay_alu instid0(VALU_DEP_2) | instskip(SKIP_1) | instid1(VALU_DEP_2)
	v_mad_i32_i24 v3, v13 /*v269*/, v252, v3
	s_set_vgpr_msb 0                        ;  msbs: dst=0 src0=0 src1=0 src2=0
	v_dot4_i32_iu8 v2, v4, v246, v2 neg_lo:[1,1,0]
	s_set_vgpr_msb 1                        ;  msbs: dst=0 src0=1 src1=0 src2=0
	s_delay_alu instid0(VALU_DEP_2) | instskip(SKIP_1) | instid1(VALU_DEP_2)
	v_dot4_i32_iu8 v3, v20 /*v276*/, v200, v3 neg_lo:[1,1,0]
	s_set_vgpr_msb 0                        ;  msbs: dst=0 src0=0 src1=0 src2=0
	v_dot4_i32_iu8 v2, v248, v5, v2 neg_lo:[1,1,0]
	s_set_vgpr_msb 1                        ;  msbs: dst=0 src0=1 src1=0 src2=0
	s_delay_alu instid0(VALU_DEP_2) | instskip(SKIP_1) | instid1(VALU_DEP_2)
	v_mad_i32_i24 v3, v32 /*v288*/, v253, v3
	s_set_vgpr_msb 0                        ;  msbs: dst=0 src0=0 src1=0 src2=0
	v_mul_lo_u32 v2, v2, v247
	s_delay_alu instid0(VALU_DEP_2) | instskip(NEXT) | instid1(VALU_DEP_1)
	v_dot4_i32_iu8 v3, v242, v201, v3 neg_lo:[1,1,0]
	v_mad_i32_i24 v3, v254, v215, v3
	s_delay_alu instid0(VALU_DEP_1) | instskip(NEXT) | instid1(VALU_DEP_1)
	v_dot4_i32_iu8 v3, v202, v244, v3 neg_lo:[1,1,0]
	v_mad_i32_i24 v3, v243, v255, v3
	s_delay_alu instid0(VALU_DEP_1) | instskip(NEXT) | instid1(VALU_DEP_1)
	v_dot4_i32_iu8 v3, v210, v203, v3 neg_lo:[1,1,0]
	v_mad_u32 v2, v3, v245, v2
	s_delay_alu instid0(VALU_DEP_1) | instskip(NEXT) | instid1(VALU_DEP_1)
	v_cvt_f32_i32_e32 v2, v2
	v_dual_mul_f32 v207, v1, v2 :: v_dual_bitop2_b32 v1, s17, v143 bitop3:0x54
	s_delay_alu instid0(VALU_DEP_1) | instskip(NEXT) | instid1(VALU_DEP_2)
	v_pk_add_f32 v[20:21], v[20:21], v[206:207]
	v_dual_lshlrev_b32 v6, 2, v1 :: v_dual_lshrrev_b32 v1, 1, v1
	ds_load_b32 v1, v1 offset:38816
	ds_load_b128 v[2:5], v6 offset:25344
	ds_load_b128 v[200:203], v6 offset:25360
	s_wait_dscnt 0x1
	v_bfe_i32 v7, v2, 0, 8
	v_bfe_i32 v115, v2, 8, 8
	v_perm_b32 v2, v2, v2, 0xc0c0302
	v_bfe_i32 v204, v3, 0, 8
	v_perm_b32 v3, v3, v3, 0xc030201
	;; [unrolled: 2-line block ×4, first 2 shown]
	s_wait_dscnt 0x0
	v_bfe_i32 v206, v200, 0, 8
	v_bfe_i32 v207, v200, 8, 8
	v_perm_b32 v200, v200, v200, 0xc0c0302
	v_bfe_i32 v249, v201, 0, 8
	v_perm_b32 v201, v201, v201, 0xc030201
	;; [unrolled: 2-line block ×4, first 2 shown]
	v_mul_i32_i24_e32 v6, v7, v166
	v_mul_i32_i24_e32 v114, v206, v174
	;; [unrolled: 1-line block ×3, first 2 shown]
	s_delay_alu instid0(VALU_DEP_3) | instskip(NEXT) | instid1(VALU_DEP_3)
	v_mad_i32_i24 v6, v115, v167, v6
	v_mad_i32_i24 v114, v207, v175, v114
	s_delay_alu instid0(VALU_DEP_3) | instskip(NEXT) | instid1(VALU_DEP_3)
	v_mad_i32_i24 v253, v207, v193, v253
	v_dot4_i32_iu8 v6, v2, v168, v6 neg_lo:[1,1,0]
	s_delay_alu instid0(VALU_DEP_3) | instskip(NEXT) | instid1(VALU_DEP_3)
	v_dot4_i32_iu8 v114, v200, v176, v114 neg_lo:[1,1,0]
	v_dot4_i32_iu8 v253, v200, v194, v253 neg_lo:[1,1,0]
	s_delay_alu instid0(VALU_DEP_3) | instskip(NEXT) | instid1(VALU_DEP_3)
	v_mad_i32_i24 v6, v204, v170, v6
	v_mad_i32_i24 v114, v249, v178, v114
	s_delay_alu instid0(VALU_DEP_3) | instskip(NEXT) | instid1(VALU_DEP_3)
	v_mad_i32_i24 v253, v249, v195, v253
	v_dot4_i32_iu8 v6, v3, v172, v6 neg_lo:[1,1,0]
	s_delay_alu instid0(VALU_DEP_3) | instskip(NEXT) | instid1(VALU_DEP_3)
	v_dot4_i32_iu8 v114, v201, v180, v114 neg_lo:[1,1,0]
	v_dot4_i32_iu8 v253, v201, v198, v253 neg_lo:[1,1,0]
	;; [unrolled: 9-line block ×4, first 2 shown]
	s_delay_alu instid0(VALU_DEP_3) | instskip(NEXT) | instid1(VALU_DEP_1)
	v_mul_lo_u32 v6, v6, v173
	v_mad_u32 v6, v114, v181, v6
	v_mul_f32_e32 v114, v165, v1
	s_delay_alu instid0(VALU_DEP_2) | instskip(NEXT) | instid1(VALU_DEP_1)
	v_cvt_f32_i32_e32 v6, v6
	v_mul_f32_e32 v6, v114, v6
	v_mul_i32_i24_e32 v114, v7, v184
	s_delay_alu instid0(VALU_DEP_1) | instskip(NEXT) | instid1(VALU_DEP_1)
	v_mad_i32_i24 v114, v115, v185, v114
	v_dot4_i32_iu8 v114, v2, v186, v114 neg_lo:[1,1,0]
	s_delay_alu instid0(VALU_DEP_1) | instskip(NEXT) | instid1(VALU_DEP_1)
	v_mad_i32_i24 v114, v204, v187, v114
	v_dot4_i32_iu8 v114, v3, v190, v114 neg_lo:[1,1,0]
	s_delay_alu instid0(VALU_DEP_1) | instskip(NEXT) | instid1(VALU_DEP_1)
	v_mad_i32_i24 v114, v188, v205, v114
	v_dot4_i32_iu8 v114, v212, v4, v114 neg_lo:[1,1,0]
	s_delay_alu instid0(VALU_DEP_1) | instskip(NEXT) | instid1(VALU_DEP_1)
	v_mad_i32_i24 v114, v189, v182, v114
	v_dot4_i32_iu8 v114, v216, v252, v114 neg_lo:[1,1,0]
	s_delay_alu instid0(VALU_DEP_1) | instskip(NEXT) | instid1(VALU_DEP_1)
	v_mul_lo_u32 v114, v114, v191
	v_mad_u32 v114, v253, v199, v114
	v_mul_f32_e32 v253, v183, v1
	s_delay_alu instid0(VALU_DEP_2) | instskip(NEXT) | instid1(VALU_DEP_1)
	v_cvt_f32_i32_e32 v114, v114
	v_mul_f32_e32 v114, v253, v114
	v_mul_i32_i24_e32 v253, v7, v223
	s_set_vgpr_msb 1                        ;  msbs: dst=0 src0=1 src1=0 src2=0
	v_mul_i32_i24_e32 v7, v42 /*v298*/, v7
	s_set_vgpr_msb 0                        ;  msbs: dst=0 src0=0 src1=0 src2=0
	s_delay_alu instid0(VALU_DEP_2) | instskip(SKIP_1) | instid1(VALU_DEP_2)
	v_mad_i32_i24 v253, v115, v224, v253
	s_set_vgpr_msb 1                        ;  msbs: dst=0 src0=1 src1=0 src2=0
	v_mad_i32_i24 v7, v12 /*v268*/, v115, v7
	s_set_vgpr_msb 0                        ;  msbs: dst=0 src0=0 src1=0 src2=0
	s_delay_alu instid0(VALU_DEP_2) | instskip(NEXT) | instid1(VALU_DEP_2)
	v_dot4_i32_iu8 v253, v2, v225, v253 neg_lo:[1,1,0]
	v_dot4_i32_iu8 v2, v208, v2, v7 neg_lo:[1,1,0]
	s_delay_alu instid0(VALU_DEP_2) | instskip(SKIP_1) | instid1(VALU_DEP_2)
	v_mad_i32_i24 v253, v204, v226, v253
	s_set_vgpr_msb 1                        ;  msbs: dst=0 src0=1 src1=0 src2=0
	v_mad_i32_i24 v2, v4 /*v260*/, v204, v2
	s_set_vgpr_msb 0                        ;  msbs: dst=0 src0=0 src1=0 src2=0
	s_delay_alu instid0(VALU_DEP_2) | instskip(NEXT) | instid1(VALU_DEP_2)
	v_dot4_i32_iu8 v253, v3, v229, v253 neg_lo:[1,1,0]
	v_dot4_i32_iu8 v2, v241, v3, v2 neg_lo:[1,1,0]
	s_set_vgpr_msb 1                        ;  msbs: dst=0 src0=1 src1=0 src2=0
	v_mul_i32_i24_e32 v3, v17 /*v273*/, v206
	s_set_vgpr_msb 0                        ;  msbs: dst=0 src0=0 src1=0 src2=0
	v_mad_i32_i24 v253, v227, v205, v253
	v_mad_i32_i24 v2, v205, v239, v2
	s_set_vgpr_msb 1                        ;  msbs: dst=0 src0=1 src1=0 src2=0
	v_mad_i32_i24 v3, v13 /*v269*/, v207, v3
	s_set_vgpr_msb 0                        ;  msbs: dst=0 src0=0 src1=0 src2=0
	v_dot4_i32_iu8 v253, v220, v4, v253 neg_lo:[1,1,0]
	v_dot4_i32_iu8 v2, v4, v246, v2 neg_lo:[1,1,0]
	s_set_vgpr_msb 1                        ;  msbs: dst=0 src0=1 src1=0 src2=0
	v_dot4_i32_iu8 v3, v20 /*v276*/, v200, v3 neg_lo:[1,1,0]
	s_set_vgpr_msb 0                        ;  msbs: dst=0 src0=0 src1=0 src2=0
	v_mad_i32_i24 v182, v228, v182, v253
	v_dot4_i32_iu8 v2, v248, v5, v2 neg_lo:[1,1,0]
	s_set_vgpr_msb 1                        ;  msbs: dst=0 src0=1 src1=0 src2=0
	v_mad_i32_i24 v3, v32 /*v288*/, v249, v3
	s_set_vgpr_msb 0                        ;  msbs: dst=0 src0=0 src1=0 src2=0
	v_dot4_i32_iu8 v182, v221, v252, v182 neg_lo:[1,1,0]
	v_mul_i32_i24_e32 v252, v206, v231
	s_delay_alu instid0(VALU_DEP_3) | instskip(SKIP_1) | instid1(VALU_DEP_4)
	v_dot4_i32_iu8 v3, v242, v201, v3 neg_lo:[1,1,0]
	v_mul_lo_u32 v2, v2, v247
	v_mul_lo_u32 v182, v182, v230
	s_delay_alu instid0(VALU_DEP_4) | instskip(NEXT) | instid1(VALU_DEP_4)
	v_mad_i32_i24 v252, v207, v232, v252
	v_mad_i32_i24 v3, v250, v215, v3
	s_delay_alu instid0(VALU_DEP_2) | instskip(NEXT) | instid1(VALU_DEP_2)
	v_dot4_i32_iu8 v252, v200, v233, v252 neg_lo:[1,1,0]
	v_dot4_i32_iu8 v3, v202, v244, v3 neg_lo:[1,1,0]
	s_delay_alu instid0(VALU_DEP_2) | instskip(NEXT) | instid1(VALU_DEP_2)
	v_mad_i32_i24 v252, v249, v234, v252
	v_mad_i32_i24 v3, v243, v251, v3
	s_delay_alu instid0(VALU_DEP_2) | instskip(NEXT) | instid1(VALU_DEP_2)
	v_dot4_i32_iu8 v252, v201, v237, v252 neg_lo:[1,1,0]
	v_dot4_i32_iu8 v3, v210, v203, v3 neg_lo:[1,1,0]
	s_delay_alu instid0(VALU_DEP_2) | instskip(NEXT) | instid1(VALU_DEP_2)
	v_mad_i32_i24 v252, v235, v250, v252
	v_mad_u32 v2, v3, v245, v2
	s_delay_alu instid0(VALU_DEP_2) | instskip(NEXT) | instid1(VALU_DEP_1)
	v_dot4_i32_iu8 v252, v222, v202, v252 neg_lo:[1,1,0]
	v_mad_i32_i24 v252, v236, v251, v252
	s_delay_alu instid0(VALU_DEP_3) | instskip(NEXT) | instid1(VALU_DEP_2)
	v_cvt_f32_i32_e32 v2, v2
	v_dot4_i32_iu8 v252, v240, v203, v252 neg_lo:[1,1,0]
	s_delay_alu instid0(VALU_DEP_1) | instskip(SKIP_1) | instid1(VALU_DEP_1)
	v_mad_u32 v182, v252, v238, v182
	v_dual_mul_f32 v252, v219, v1 :: v_dual_mul_f32 v1, v0, v1
	v_dual_mul_f32 v204, v1, v2 :: v_dual_bitop2_b32 v1, s17, v144 bitop3:0x54
	s_delay_alu instid0(VALU_DEP_3) | instskip(NEXT) | instid1(VALU_DEP_2)
	v_cvt_f32_i32_e32 v182, v182
	v_dual_lshlrev_b32 v7, 2, v1 :: v_dual_lshrrev_b32 v1, 1, v1
	ds_load_b32 v1, v1 offset:38816
	ds_load_b128 v[2:5], v7 offset:25344
	ds_load_b128 v[200:203], v7 offset:25360
	v_mul_f32_e32 v182, v252, v182
	s_wait_dscnt 0x2
	v_mul_f32_e32 v0, v0, v1
	s_wait_dscnt 0x1
	v_bfe_i32 v205, v2, 0, 8
	v_bfe_i32 v206, v2, 8, 8
	v_perm_b32 v2, v2, v2, 0xc0c0302
	s_wait_dscnt 0x0
	v_bfe_i32 v251, v200, 0, 8
	v_bfe_i32 v207, v3, 0, 8
	v_mul_i32_i24_e32 v7, v205, v166
	v_bfe_i32 v252, v200, 8, 8
	v_perm_b32 v3, v3, v3, 0xc030201
	v_mul_i32_i24_e32 v115, v251, v174
	v_bfe_i32 v249, v4, 0, 8
	v_mad_i32_i24 v7, v206, v167, v7
	v_perm_b32 v167, v200, v200, 0xc0c0302
	v_bfe_i32 v253, v201, 0, 8
	v_mad_i32_i24 v115, v252, v175, v115
	v_perm_b32 v4, v4, v4, 0xc030201
	v_dot4_i32_iu8 v7, v2, v168, v7 neg_lo:[1,1,0]
	v_perm_b32 v168, v201, v201, 0xc030201
	v_bfe_i32 v250, v5, 0, 8
	v_dot4_i32_iu8 v115, v167, v176, v115 neg_lo:[1,1,0]
	v_bfe_i32 v254, v202, 0, 8
	v_mad_i32_i24 v7, v207, v170, v7
	v_perm_b32 v166, v5, v5, 0xc030201
	v_bfe_i32 v255, v203, 0, 8
	v_mad_i32_i24 v115, v253, v178, v115
	v_perm_b32 v170, v203, v203, 0xc030201
	v_dot4_i32_iu8 v7, v3, v172, v7 neg_lo:[1,1,0]
	s_delay_alu instid0(VALU_DEP_3) | instskip(NEXT) | instid1(VALU_DEP_2)
	v_dot4_i32_iu8 v115, v168, v180, v115 neg_lo:[1,1,0]
	v_mad_i32_i24 v7, v169, v249, v7
	v_perm_b32 v169, v202, v202, 0xc030201
	s_delay_alu instid0(VALU_DEP_3) | instskip(NEXT) | instid1(VALU_DEP_3)
	v_mad_i32_i24 v115, v177, v254, v115
	v_dot4_i32_iu8 v7, v209, v4, v7 neg_lo:[1,1,0]
	s_delay_alu instid0(VALU_DEP_2) | instskip(NEXT) | instid1(VALU_DEP_2)
	v_dot4_i32_iu8 v115, v213, v169, v115 neg_lo:[1,1,0]
	v_mad_i32_i24 v7, v171, v250, v7
	s_delay_alu instid0(VALU_DEP_2) | instskip(NEXT) | instid1(VALU_DEP_2)
	v_mad_i32_i24 v115, v179, v255, v115
	v_dot4_i32_iu8 v7, v211, v166, v7 neg_lo:[1,1,0]
	s_delay_alu instid0(VALU_DEP_2) | instskip(NEXT) | instid1(VALU_DEP_2)
	v_dot4_i32_iu8 v115, v214, v170, v115 neg_lo:[1,1,0]
	v_mul_lo_u32 v7, v7, v173
	s_delay_alu instid0(VALU_DEP_1) | instskip(SKIP_1) | instid1(VALU_DEP_2)
	v_mad_u32 v7, v115, v181, v7
	v_mul_f32_e32 v115, v165, v1
	v_cvt_f32_i32_e32 v7, v7
	s_delay_alu instid0(VALU_DEP_1) | instskip(NEXT) | instid1(VALU_DEP_1)
	v_mul_f32_e32 v7, v115, v7
	v_pk_add_f32 v[14:15], v[14:15], v[6:7]
	v_mul_i32_i24_e32 v6, v205, v184
	v_mul_i32_i24_e32 v7, v251, v192
	s_delay_alu instid0(VALU_DEP_2) | instskip(NEXT) | instid1(VALU_DEP_2)
	v_mad_i32_i24 v6, v206, v185, v6
	v_mad_i32_i24 v7, v252, v193, v7
	s_delay_alu instid0(VALU_DEP_2) | instskip(NEXT) | instid1(VALU_DEP_2)
	v_dot4_i32_iu8 v6, v2, v186, v6 neg_lo:[1,1,0]
	v_dot4_i32_iu8 v7, v167, v194, v7 neg_lo:[1,1,0]
	s_delay_alu instid0(VALU_DEP_2) | instskip(NEXT) | instid1(VALU_DEP_2)
	v_mad_i32_i24 v6, v207, v187, v6
	v_mad_i32_i24 v7, v253, v195, v7
	s_delay_alu instid0(VALU_DEP_2) | instskip(NEXT) | instid1(VALU_DEP_2)
	v_dot4_i32_iu8 v6, v3, v190, v6 neg_lo:[1,1,0]
	v_dot4_i32_iu8 v7, v168, v198, v7 neg_lo:[1,1,0]
	;; [unrolled: 6-line block ×4, first 2 shown]
	s_delay_alu instid0(VALU_DEP_2) | instskip(NEXT) | instid1(VALU_DEP_1)
	v_mul_lo_u32 v6, v6, v191
	v_mad_u32 v6, v7, v199, v6
	v_mul_f32_e32 v7, v183, v1
	s_delay_alu instid0(VALU_DEP_2) | instskip(NEXT) | instid1(VALU_DEP_1)
	v_cvt_f32_i32_e32 v6, v6
	v_mul_f32_e32 v115, v7, v6
	v_mul_i32_i24_e32 v6, v205, v223
	v_mul_i32_i24_e32 v7, v251, v231
	s_delay_alu instid0(VALU_DEP_3) | instskip(NEXT) | instid1(VALU_DEP_3)
	v_pk_add_f32 v[12:13], v[12:13], v[114:115]
	v_mad_i32_i24 v6, v206, v224, v6
	s_delay_alu instid0(VALU_DEP_3) | instskip(NEXT) | instid1(VALU_DEP_2)
	v_mad_i32_i24 v7, v252, v232, v7
	v_dot4_i32_iu8 v6, v2, v225, v6 neg_lo:[1,1,0]
	s_delay_alu instid0(VALU_DEP_2) | instskip(NEXT) | instid1(VALU_DEP_2)
	v_dot4_i32_iu8 v7, v167, v233, v7 neg_lo:[1,1,0]
	v_mad_i32_i24 v6, v207, v226, v6
	s_delay_alu instid0(VALU_DEP_2) | instskip(NEXT) | instid1(VALU_DEP_2)
	v_mad_i32_i24 v7, v253, v234, v7
	v_dot4_i32_iu8 v6, v3, v229, v6 neg_lo:[1,1,0]
	s_delay_alu instid0(VALU_DEP_2) | instskip(NEXT) | instid1(VALU_DEP_2)
	v_dot4_i32_iu8 v7, v168, v237, v7 neg_lo:[1,1,0]
	v_mad_i32_i24 v6, v227, v249, v6
	s_delay_alu instid0(VALU_DEP_2) | instskip(NEXT) | instid1(VALU_DEP_2)
	;; [unrolled: 6-line block ×3, first 2 shown]
	v_mad_i32_i24 v7, v236, v255, v7
	v_dot4_i32_iu8 v6, v221, v166, v6 neg_lo:[1,1,0]
	s_delay_alu instid0(VALU_DEP_2) | instskip(NEXT) | instid1(VALU_DEP_2)
	v_dot4_i32_iu8 v7, v240, v170, v7 neg_lo:[1,1,0]
	v_mul_lo_u32 v6, v6, v230
	s_delay_alu instid0(VALU_DEP_1) | instskip(SKIP_1) | instid1(VALU_DEP_2)
	v_mad_u32 v6, v7, v238, v6
	v_mul_f32_e32 v7, v219, v1
	v_cvt_f32_i32_e32 v6, v6
	s_delay_alu instid0(VALU_DEP_1) | instskip(SKIP_2) | instid1(VALU_DEP_1)
	v_mul_f32_e32 v183, v7, v6
	s_set_vgpr_msb 1                        ;  msbs: dst=0 src0=1 src1=0 src2=0
	v_mul_i32_i24_e32 v6, v42 /*v298*/, v205
	v_mad_i32_i24 v6, v12 /*v268*/, v206, v6
	s_set_vgpr_msb 0                        ;  msbs: dst=0 src0=0 src1=0 src2=0
	s_delay_alu instid0(VALU_DEP_1) | instskip(SKIP_1) | instid1(VALU_DEP_1)
	v_dot4_i32_iu8 v2, v208, v2, v6 neg_lo:[1,1,0]
	s_set_vgpr_msb 1                        ;  msbs: dst=0 src0=1 src1=0 src2=0
	v_mad_i32_i24 v2, v4 /*v260*/, v207, v2
	s_set_vgpr_msb 0                        ;  msbs: dst=0 src0=0 src1=0 src2=0
	s_delay_alu instid0(VALU_DEP_1) | instskip(SKIP_3) | instid1(VALU_DEP_2)
	v_dot4_i32_iu8 v2, v241, v3, v2 neg_lo:[1,1,0]
	s_set_vgpr_msb 1                        ;  msbs: dst=0 src0=1 src1=0 src2=0
	v_mul_i32_i24_e32 v3, v17 /*v273*/, v251
	s_set_vgpr_msb 0                        ;  msbs: dst=0 src0=0 src1=0 src2=0
	v_mad_i32_i24 v2, v249, v239, v2
	s_set_vgpr_msb 1                        ;  msbs: dst=0 src0=1 src1=0 src2=0
	s_delay_alu instid0(VALU_DEP_2) | instskip(SKIP_1) | instid1(VALU_DEP_2)
	v_mad_i32_i24 v3, v13 /*v269*/, v252, v3
	s_set_vgpr_msb 0                        ;  msbs: dst=0 src0=0 src1=0 src2=0
	v_dot4_i32_iu8 v2, v4, v246, v2 neg_lo:[1,1,0]
	s_set_vgpr_msb 1                        ;  msbs: dst=0 src0=1 src1=0 src2=0
	s_delay_alu instid0(VALU_DEP_2) | instskip(SKIP_1) | instid1(VALU_DEP_2)
	v_dot4_i32_iu8 v3, v20 /*v276*/, v167, v3 neg_lo:[1,1,0]
	s_set_vgpr_msb 0                        ;  msbs: dst=0 src0=0 src1=0 src2=0
	v_dot4_i32_iu8 v2, v248, v5, v2 neg_lo:[1,1,0]
	s_set_vgpr_msb 1                        ;  msbs: dst=0 src0=1 src1=0 src2=0
	s_delay_alu instid0(VALU_DEP_2) | instskip(SKIP_1) | instid1(VALU_DEP_2)
	v_mad_i32_i24 v3, v32 /*v288*/, v253, v3
	s_set_vgpr_msb 0                        ;  msbs: dst=0 src0=0 src1=0 src2=0
	v_mul_lo_u32 v2, v2, v247
	s_delay_alu instid0(VALU_DEP_2) | instskip(NEXT) | instid1(VALU_DEP_1)
	v_dot4_i32_iu8 v3, v242, v168, v3 neg_lo:[1,1,0]
	v_mad_i32_i24 v3, v254, v215, v3
	s_delay_alu instid0(VALU_DEP_1) | instskip(NEXT) | instid1(VALU_DEP_1)
	v_dot4_i32_iu8 v3, v169, v244, v3 neg_lo:[1,1,0]
	v_mad_i32_i24 v3, v243, v255, v3
	s_delay_alu instid0(VALU_DEP_1) | instskip(NEXT) | instid1(VALU_DEP_1)
	v_dot4_i32_iu8 v3, v210, v170, v3 neg_lo:[1,1,0]
	v_mad_u32 v2, v3, v245, v2
	s_delay_alu instid0(VALU_DEP_1) | instskip(NEXT) | instid1(VALU_DEP_1)
	v_cvt_f32_i32_e32 v1, v2
	v_mul_f32_e32 v205, v0, v1
	v_pk_add_f32 v[10:11], v[10:11], v[182:183]
	s_delay_alu instid0(VALU_DEP_2)
	v_pk_add_f32 v[8:9], v[8:9], v[204:205]
	s_cbranch_scc1 .LBB170_12
; %bb.13:                               ;   in Loop: Header=BB170_8 Depth=2
	s_cmp_eq_u32 s10, 4
	s_barrier_signal -1
	s_barrier_wait -1
	s_cselect_b32 s11, -1, 0
	s_delay_alu instid0(SALU_CYCLE_1)
	s_and_b32 vcc_lo, exec_lo, s11
	s_cbranch_vccz .LBB170_8
	s_branch .LBB170_5
.LBB170_14:
	v_dual_mov_b32 v1, v17 :: v_dual_mov_b32 v2, v19
.LBB170_15:
	s_wait_xcnt 0x0
	s_mov_b32 s0, exec_lo
	v_cmpx_gt_u32_e64 s6, v53
	s_cbranch_execz .LBB170_66
; %bb.16:
	v_mul_lo_u32 v5, v53, s12
	v_add_nc_u32_e32 v0, s14, v2
	s_delay_alu instid0(VALU_DEP_1)
	v_cmp_gt_u32_e32 vcc_lo, s12, v0
	s_and_saveexec_b32 s1, vcc_lo
	s_cbranch_execz .LBB170_18
; %bb.17:
	v_bfe_u32 v2, v46, 16, 1
	v_cmp_o_f32_e64 s0, v46, v46
	v_add_nc_u32_e32 v3, v0, v5
	s_delay_alu instid0(VALU_DEP_3) | instskip(NEXT) | instid1(VALU_DEP_1)
	v_add3_u32 v2, v46, v2, 0x7fff
	v_lshrrev_b32_e32 v2, 16, v2
	s_delay_alu instid0(VALU_DEP_1)
	v_cndmask_b32_e64 v2, 0x7fc0, v2, s0
	s_wait_kmcnt 0x0
	global_store_b16 v3, v2, s[8:9] scale_offset
.LBB170_18:
	s_wait_xcnt 0x0
	s_or_b32 exec_lo, exec_lo, s1
	v_add_nc_u32_e32 v2, 32, v0
	s_delay_alu instid0(VALU_DEP_1)
	v_cmp_gt_u32_e64 s0, s12, v2
	s_and_saveexec_b32 s2, s0
	s_cbranch_execz .LBB170_20
; %bb.19:
	v_bfe_u32 v3, v44, 16, 1
	v_cmp_o_f32_e64 s1, v44, v44
	v_add_nc_u32_e32 v4, v2, v5
	s_delay_alu instid0(VALU_DEP_3) | instskip(NEXT) | instid1(VALU_DEP_1)
	v_add3_u32 v3, v44, v3, 0x7fff
	v_lshrrev_b32_e32 v3, 16, v3
	s_delay_alu instid0(VALU_DEP_1)
	v_cndmask_b32_e64 v3, 0x7fc0, v3, s1
	s_wait_kmcnt 0x0
	global_store_b16 v4, v3, s[8:9] scale_offset
.LBB170_20:
	s_wait_xcnt 0x0
	s_or_b32 exec_lo, exec_lo, s2
	v_add_nc_u32_e32 v3, 64, v0
	s_delay_alu instid0(VALU_DEP_1)
	v_cmp_gt_u32_e64 s1, s12, v3
	s_and_saveexec_b32 s3, s1
	;; [unrolled: 19-line block ×3, first 2 shown]
	s_cbranch_execz .LBB170_24
; %bb.23:
	v_bfe_u32 v6, v41, 16, 1
	v_cmp_o_f32_e64 s3, v41, v41
	v_add_nc_u32_e32 v5, v4, v5
	s_delay_alu instid0(VALU_DEP_3) | instskip(NEXT) | instid1(VALU_DEP_1)
	v_add3_u32 v6, v41, v6, 0x7fff
	v_lshrrev_b32_e32 v6, 16, v6
	s_delay_alu instid0(VALU_DEP_1)
	v_cndmask_b32_e64 v6, 0x7fc0, v6, s3
	s_wait_kmcnt 0x0
	global_store_b16 v5, v6, s[8:9] scale_offset
.LBB170_24:
	s_wait_xcnt 0x0
	s_or_b32 exec_lo, exec_lo, s4
	v_add3_u32 v5, v1, s13, 8
	s_delay_alu instid0(VALU_DEP_1)
	v_cmp_gt_u32_e64 s3, s6, v5
	s_and_b32 exec_lo, exec_lo, s3
	s_cbranch_execz .LBB170_66
; %bb.25:
	v_mul_lo_u32 v5, v5, s12
	s_and_saveexec_b32 s4, vcc_lo
	s_cbranch_execnz .LBB170_67
; %bb.26:
	s_or_b32 exec_lo, exec_lo, s4
	s_and_saveexec_b32 s4, s0
	s_cbranch_execnz .LBB170_68
.LBB170_27:
	s_or_b32 exec_lo, exec_lo, s4
	s_and_saveexec_b32 s4, s1
	s_cbranch_execnz .LBB170_69
.LBB170_28:
	s_or_b32 exec_lo, exec_lo, s4
	s_and_saveexec_b32 s4, s2
	s_cbranch_execz .LBB170_30
.LBB170_29:
	v_bfe_u32 v6, v40, 16, 1
	v_cmp_o_f32_e64 s3, v40, v40
	v_add_nc_u32_e32 v5, v5, v4
	s_delay_alu instid0(VALU_DEP_3) | instskip(NEXT) | instid1(VALU_DEP_1)
	v_add3_u32 v6, v40, v6, 0x7fff
	v_lshrrev_b32_e32 v6, 16, v6
	s_delay_alu instid0(VALU_DEP_1)
	v_cndmask_b32_e64 v6, 0x7fc0, v6, s3
	s_wait_kmcnt 0x0
	global_store_b16 v5, v6, s[8:9] scale_offset
.LBB170_30:
	s_wait_xcnt 0x0
	s_or_b32 exec_lo, exec_lo, s4
	v_add3_u32 v5, v1, s13, 16
	s_delay_alu instid0(VALU_DEP_1)
	v_cmp_gt_u32_e64 s3, s6, v5
	s_and_b32 exec_lo, exec_lo, s3
	s_cbranch_execz .LBB170_66
; %bb.31:
	v_mul_lo_u32 v5, v5, s12
	s_and_saveexec_b32 s4, vcc_lo
	s_cbranch_execnz .LBB170_70
; %bb.32:
	s_or_b32 exec_lo, exec_lo, s4
	s_and_saveexec_b32 s4, s0
	s_cbranch_execnz .LBB170_71
.LBB170_33:
	s_or_b32 exec_lo, exec_lo, s4
	s_and_saveexec_b32 s4, s1
	s_cbranch_execnz .LBB170_72
.LBB170_34:
	s_or_b32 exec_lo, exec_lo, s4
	s_and_saveexec_b32 s4, s2
	s_cbranch_execz .LBB170_36
.LBB170_35:
	v_bfe_u32 v6, v30, 16, 1
	v_cmp_o_f32_e64 s3, v30, v30
	v_add_nc_u32_e32 v5, v5, v4
	s_delay_alu instid0(VALU_DEP_3) | instskip(NEXT) | instid1(VALU_DEP_1)
	v_add3_u32 v6, v30, v6, 0x7fff
	v_lshrrev_b32_e32 v6, 16, v6
	s_delay_alu instid0(VALU_DEP_1)
	v_cndmask_b32_e64 v6, 0x7fc0, v6, s3
	s_wait_kmcnt 0x0
	global_store_b16 v5, v6, s[8:9] scale_offset
.LBB170_36:
	s_wait_xcnt 0x0
	s_or_b32 exec_lo, exec_lo, s4
	v_add3_u32 v5, v1, s13, 24
	s_delay_alu instid0(VALU_DEP_1)
	v_cmp_gt_u32_e64 s3, s6, v5
	s_and_b32 exec_lo, exec_lo, s3
	s_cbranch_execz .LBB170_66
; %bb.37:
	v_mul_lo_u32 v5, v5, s12
	s_and_saveexec_b32 s4, vcc_lo
	s_cbranch_execnz .LBB170_73
; %bb.38:
	s_or_b32 exec_lo, exec_lo, s4
	s_and_saveexec_b32 s4, s0
	s_cbranch_execnz .LBB170_74
.LBB170_39:
	s_or_b32 exec_lo, exec_lo, s4
	s_and_saveexec_b32 s4, s1
	s_cbranch_execnz .LBB170_75
.LBB170_40:
	s_or_b32 exec_lo, exec_lo, s4
	s_and_saveexec_b32 s4, s2
	s_cbranch_execz .LBB170_42
.LBB170_41:
	v_bfe_u32 v6, v31, 16, 1
	v_cmp_o_f32_e64 s3, v31, v31
	v_add_nc_u32_e32 v5, v5, v4
	s_delay_alu instid0(VALU_DEP_3) | instskip(NEXT) | instid1(VALU_DEP_1)
	v_add3_u32 v6, v31, v6, 0x7fff
	v_lshrrev_b32_e32 v6, 16, v6
	s_delay_alu instid0(VALU_DEP_1)
	v_cndmask_b32_e64 v6, 0x7fc0, v6, s3
	s_wait_kmcnt 0x0
	global_store_b16 v5, v6, s[8:9] scale_offset
.LBB170_42:
	s_wait_xcnt 0x0
	s_or_b32 exec_lo, exec_lo, s4
	v_add3_u32 v5, v1, s13, 32
	s_delay_alu instid0(VALU_DEP_1)
	v_cmp_gt_u32_e64 s3, s6, v5
	s_and_b32 exec_lo, exec_lo, s3
	s_cbranch_execz .LBB170_66
; %bb.43:
	v_mul_lo_u32 v5, v5, s12
	s_and_saveexec_b32 s4, vcc_lo
	s_cbranch_execnz .LBB170_76
; %bb.44:
	s_or_b32 exec_lo, exec_lo, s4
	s_and_saveexec_b32 s4, s0
	s_cbranch_execnz .LBB170_77
.LBB170_45:
	s_or_b32 exec_lo, exec_lo, s4
	s_and_saveexec_b32 s4, s1
	s_cbranch_execnz .LBB170_78
.LBB170_46:
	s_or_b32 exec_lo, exec_lo, s4
	s_and_saveexec_b32 s4, s2
	s_cbranch_execz .LBB170_48
.LBB170_47:
	v_bfe_u32 v6, v20, 16, 1
	v_cmp_o_f32_e64 s3, v20, v20
	v_add_nc_u32_e32 v5, v5, v4
	s_delay_alu instid0(VALU_DEP_3) | instskip(NEXT) | instid1(VALU_DEP_1)
	v_add3_u32 v6, v20, v6, 0x7fff
	v_lshrrev_b32_e32 v6, 16, v6
	s_delay_alu instid0(VALU_DEP_1)
	v_cndmask_b32_e64 v6, 0x7fc0, v6, s3
	s_wait_kmcnt 0x0
	global_store_b16 v5, v6, s[8:9] scale_offset
.LBB170_48:
	s_wait_xcnt 0x0
	s_or_b32 exec_lo, exec_lo, s4
	v_add3_u32 v5, v1, s13, 40
	s_delay_alu instid0(VALU_DEP_1)
	v_cmp_gt_u32_e64 s3, s6, v5
	s_and_b32 exec_lo, exec_lo, s3
	s_cbranch_execz .LBB170_66
; %bb.49:
	v_mul_lo_u32 v5, v5, s12
	s_and_saveexec_b32 s4, vcc_lo
	s_cbranch_execnz .LBB170_79
; %bb.50:
	s_or_b32 exec_lo, exec_lo, s4
	s_and_saveexec_b32 s4, s0
	s_cbranch_execnz .LBB170_80
.LBB170_51:
	s_or_b32 exec_lo, exec_lo, s4
	s_and_saveexec_b32 s4, s1
	s_cbranch_execnz .LBB170_81
.LBB170_52:
	s_or_b32 exec_lo, exec_lo, s4
	s_and_saveexec_b32 s4, s2
	s_cbranch_execz .LBB170_54
.LBB170_53:
	v_bfe_u32 v6, v21, 16, 1
	v_cmp_o_f32_e64 s3, v21, v21
	v_add_nc_u32_e32 v5, v5, v4
	s_delay_alu instid0(VALU_DEP_3) | instskip(NEXT) | instid1(VALU_DEP_1)
	v_add3_u32 v6, v21, v6, 0x7fff
	v_lshrrev_b32_e32 v6, 16, v6
	s_delay_alu instid0(VALU_DEP_1)
	v_cndmask_b32_e64 v6, 0x7fc0, v6, s3
	s_wait_kmcnt 0x0
	global_store_b16 v5, v6, s[8:9] scale_offset
.LBB170_54:
	s_wait_xcnt 0x0
	s_or_b32 exec_lo, exec_lo, s4
	v_add3_u32 v5, v1, s13, 48
	s_delay_alu instid0(VALU_DEP_1)
	v_cmp_gt_u32_e64 s3, s6, v5
	s_and_b32 exec_lo, exec_lo, s3
	s_cbranch_execz .LBB170_66
; %bb.55:
	v_mul_lo_u32 v5, v5, s12
	s_and_saveexec_b32 s4, vcc_lo
	s_cbranch_execnz .LBB170_82
; %bb.56:
	s_or_b32 exec_lo, exec_lo, s4
	s_and_saveexec_b32 s4, s0
	s_cbranch_execnz .LBB170_83
.LBB170_57:
	s_or_b32 exec_lo, exec_lo, s4
	s_and_saveexec_b32 s4, s1
	s_cbranch_execnz .LBB170_84
.LBB170_58:
	s_or_b32 exec_lo, exec_lo, s4
	s_and_saveexec_b32 s4, s2
	s_cbranch_execz .LBB170_60
.LBB170_59:
	v_bfe_u32 v6, v8, 16, 1
	v_cmp_o_f32_e64 s3, v8, v8
	v_add_nc_u32_e32 v5, v5, v4
	s_delay_alu instid0(VALU_DEP_3) | instskip(NEXT) | instid1(VALU_DEP_1)
	v_add3_u32 v6, v8, v6, 0x7fff
	v_lshrrev_b32_e32 v6, 16, v6
	s_delay_alu instid0(VALU_DEP_1)
	v_cndmask_b32_e64 v6, 0x7fc0, v6, s3
	s_wait_kmcnt 0x0
	global_store_b16 v5, v6, s[8:9] scale_offset
.LBB170_60:
	s_wait_xcnt 0x0
	s_or_b32 exec_lo, exec_lo, s4
	v_add3_u32 v1, v1, s13, 56
	s_delay_alu instid0(VALU_DEP_1)
	v_cmp_gt_u32_e64 s3, s6, v1
	s_and_b32 exec_lo, exec_lo, s3
	s_cbranch_execz .LBB170_66
; %bb.61:
	v_mul_lo_u32 v1, v1, s12
	s_and_saveexec_b32 s3, vcc_lo
	s_cbranch_execnz .LBB170_85
; %bb.62:
	s_or_b32 exec_lo, exec_lo, s3
	s_and_saveexec_b32 s3, s0
	s_cbranch_execnz .LBB170_86
.LBB170_63:
	s_or_b32 exec_lo, exec_lo, s3
	s_and_saveexec_b32 s0, s1
	s_cbranch_execnz .LBB170_87
.LBB170_64:
	s_or_b32 exec_lo, exec_lo, s0
	s_delay_alu instid0(SALU_CYCLE_1)
	s_and_b32 exec_lo, exec_lo, s2
	s_cbranch_execz .LBB170_66
.LBB170_65:
	v_bfe_u32 v0, v9, 16, 1
	v_cmp_o_f32_e32 vcc_lo, v9, v9
	v_add_nc_u32_e32 v1, v1, v4
	s_delay_alu instid0(VALU_DEP_3) | instskip(NEXT) | instid1(VALU_DEP_1)
	v_add3_u32 v0, v9, v0, 0x7fff
	v_lshrrev_b32_e32 v0, 16, v0
	s_delay_alu instid0(VALU_DEP_1)
	v_cndmask_b32_e32 v0, 0x7fc0, v0, vcc_lo
	s_wait_kmcnt 0x0
	global_store_b16 v1, v0, s[8:9] scale_offset
.LBB170_66:
	s_sendmsg sendmsg(MSG_DEALLOC_VGPRS)
	s_endpgm
.LBB170_67:
	v_bfe_u32 v6, v47, 16, 1
	v_cmp_o_f32_e64 s3, v47, v47
	s_delay_alu instid0(VALU_DEP_3) | instskip(NEXT) | instid1(VALU_DEP_3)
	v_add_nc_u32_e32 v7, v5, v0
	v_add3_u32 v6, v47, v6, 0x7fff
	s_delay_alu instid0(VALU_DEP_1) | instskip(NEXT) | instid1(VALU_DEP_1)
	v_lshrrev_b32_e32 v6, 16, v6
	v_cndmask_b32_e64 v6, 0x7fc0, v6, s3
	s_wait_kmcnt 0x0
	global_store_b16 v7, v6, s[8:9] scale_offset
	s_wait_xcnt 0x0
	s_or_b32 exec_lo, exec_lo, s4
	s_and_saveexec_b32 s4, s0
	s_cbranch_execz .LBB170_27
.LBB170_68:
	v_bfe_u32 v6, v45, 16, 1
	v_cmp_o_f32_e64 s3, v45, v45
	s_delay_alu instid0(VALU_DEP_3) | instskip(NEXT) | instid1(VALU_DEP_3)
	v_add_nc_u32_e32 v7, v5, v2
	v_add3_u32 v6, v45, v6, 0x7fff
	s_delay_alu instid0(VALU_DEP_1) | instskip(NEXT) | instid1(VALU_DEP_1)
	v_lshrrev_b32_e32 v6, 16, v6
	v_cndmask_b32_e64 v6, 0x7fc0, v6, s3
	s_wait_kmcnt 0x0
	global_store_b16 v7, v6, s[8:9] scale_offset
	s_wait_xcnt 0x0
	s_or_b32 exec_lo, exec_lo, s4
	s_and_saveexec_b32 s4, s1
	s_cbranch_execz .LBB170_28
.LBB170_69:
	v_bfe_u32 v6, v43, 16, 1
	v_cmp_o_f32_e64 s3, v43, v43
	v_add_nc_u32_e32 v7, v5, v3
	s_delay_alu instid0(VALU_DEP_3) | instskip(NEXT) | instid1(VALU_DEP_1)
	v_add3_u32 v6, v43, v6, 0x7fff
	v_lshrrev_b32_e32 v6, 16, v6
	s_delay_alu instid0(VALU_DEP_1)
	v_cndmask_b32_e64 v6, 0x7fc0, v6, s3
	s_wait_kmcnt 0x0
	global_store_b16 v7, v6, s[8:9] scale_offset
	s_wait_xcnt 0x0
	s_or_b32 exec_lo, exec_lo, s4
	s_and_saveexec_b32 s4, s2
	s_cbranch_execnz .LBB170_29
	s_branch .LBB170_30
.LBB170_70:
	v_bfe_u32 v6, v36, 16, 1
	v_cmp_o_f32_e64 s3, v36, v36
	s_delay_alu instid0(VALU_DEP_3) | instskip(NEXT) | instid1(VALU_DEP_3)
	v_add_nc_u32_e32 v7, v5, v0
	v_add3_u32 v6, v36, v6, 0x7fff
	s_delay_alu instid0(VALU_DEP_1) | instskip(NEXT) | instid1(VALU_DEP_1)
	v_lshrrev_b32_e32 v6, 16, v6
	v_cndmask_b32_e64 v6, 0x7fc0, v6, s3
	s_wait_kmcnt 0x0
	global_store_b16 v7, v6, s[8:9] scale_offset
	s_wait_xcnt 0x0
	s_or_b32 exec_lo, exec_lo, s4
	s_and_saveexec_b32 s4, s0
	s_cbranch_execz .LBB170_33
.LBB170_71:
	v_bfe_u32 v6, v34, 16, 1
	v_cmp_o_f32_e64 s3, v34, v34
	s_delay_alu instid0(VALU_DEP_3) | instskip(NEXT) | instid1(VALU_DEP_3)
	v_add_nc_u32_e32 v7, v5, v2
	v_add3_u32 v6, v34, v6, 0x7fff
	s_delay_alu instid0(VALU_DEP_1) | instskip(NEXT) | instid1(VALU_DEP_1)
	v_lshrrev_b32_e32 v6, 16, v6
	v_cndmask_b32_e64 v6, 0x7fc0, v6, s3
	s_wait_kmcnt 0x0
	global_store_b16 v7, v6, s[8:9] scale_offset
	s_wait_xcnt 0x0
	s_or_b32 exec_lo, exec_lo, s4
	s_and_saveexec_b32 s4, s1
	s_cbranch_execz .LBB170_34
.LBB170_72:
	v_bfe_u32 v6, v32, 16, 1
	v_cmp_o_f32_e64 s3, v32, v32
	v_add_nc_u32_e32 v7, v5, v3
	s_delay_alu instid0(VALU_DEP_3) | instskip(NEXT) | instid1(VALU_DEP_1)
	v_add3_u32 v6, v32, v6, 0x7fff
	v_lshrrev_b32_e32 v6, 16, v6
	s_delay_alu instid0(VALU_DEP_1)
	v_cndmask_b32_e64 v6, 0x7fc0, v6, s3
	s_wait_kmcnt 0x0
	global_store_b16 v7, v6, s[8:9] scale_offset
	s_wait_xcnt 0x0
	s_or_b32 exec_lo, exec_lo, s4
	s_and_saveexec_b32 s4, s2
	s_cbranch_execnz .LBB170_35
	s_branch .LBB170_36
.LBB170_73:
	v_bfe_u32 v6, v37, 16, 1
	v_cmp_o_f32_e64 s3, v37, v37
	s_delay_alu instid0(VALU_DEP_3) | instskip(NEXT) | instid1(VALU_DEP_3)
	v_add_nc_u32_e32 v7, v5, v0
	v_add3_u32 v6, v37, v6, 0x7fff
	s_delay_alu instid0(VALU_DEP_1) | instskip(NEXT) | instid1(VALU_DEP_1)
	v_lshrrev_b32_e32 v6, 16, v6
	v_cndmask_b32_e64 v6, 0x7fc0, v6, s3
	s_wait_kmcnt 0x0
	global_store_b16 v7, v6, s[8:9] scale_offset
	s_wait_xcnt 0x0
	s_or_b32 exec_lo, exec_lo, s4
	s_and_saveexec_b32 s4, s0
	s_cbranch_execz .LBB170_39
.LBB170_74:
	v_bfe_u32 v6, v35, 16, 1
	v_cmp_o_f32_e64 s3, v35, v35
	s_delay_alu instid0(VALU_DEP_3) | instskip(NEXT) | instid1(VALU_DEP_3)
	v_add_nc_u32_e32 v7, v5, v2
	v_add3_u32 v6, v35, v6, 0x7fff
	s_delay_alu instid0(VALU_DEP_1) | instskip(NEXT) | instid1(VALU_DEP_1)
	v_lshrrev_b32_e32 v6, 16, v6
	v_cndmask_b32_e64 v6, 0x7fc0, v6, s3
	s_wait_kmcnt 0x0
	global_store_b16 v7, v6, s[8:9] scale_offset
	s_wait_xcnt 0x0
	s_or_b32 exec_lo, exec_lo, s4
	s_and_saveexec_b32 s4, s1
	s_cbranch_execz .LBB170_40
.LBB170_75:
	v_bfe_u32 v6, v33, 16, 1
	v_cmp_o_f32_e64 s3, v33, v33
	v_add_nc_u32_e32 v7, v5, v3
	s_delay_alu instid0(VALU_DEP_3) | instskip(NEXT) | instid1(VALU_DEP_1)
	v_add3_u32 v6, v33, v6, 0x7fff
	v_lshrrev_b32_e32 v6, 16, v6
	s_delay_alu instid0(VALU_DEP_1)
	v_cndmask_b32_e64 v6, 0x7fc0, v6, s3
	s_wait_kmcnt 0x0
	global_store_b16 v7, v6, s[8:9] scale_offset
	s_wait_xcnt 0x0
	s_or_b32 exec_lo, exec_lo, s4
	s_and_saveexec_b32 s4, s2
	s_cbranch_execnz .LBB170_41
	s_branch .LBB170_42
.LBB170_76:
	v_bfe_u32 v6, v26, 16, 1
	v_cmp_o_f32_e64 s3, v26, v26
	s_delay_alu instid0(VALU_DEP_3) | instskip(NEXT) | instid1(VALU_DEP_3)
	v_add_nc_u32_e32 v7, v5, v0
	v_add3_u32 v6, v26, v6, 0x7fff
	s_delay_alu instid0(VALU_DEP_1) | instskip(NEXT) | instid1(VALU_DEP_1)
	v_lshrrev_b32_e32 v6, 16, v6
	v_cndmask_b32_e64 v6, 0x7fc0, v6, s3
	s_wait_kmcnt 0x0
	global_store_b16 v7, v6, s[8:9] scale_offset
	s_wait_xcnt 0x0
	s_or_b32 exec_lo, exec_lo, s4
	s_and_saveexec_b32 s4, s0
	s_cbranch_execz .LBB170_45
.LBB170_77:
	v_bfe_u32 v6, v24, 16, 1
	v_cmp_o_f32_e64 s3, v24, v24
	s_delay_alu instid0(VALU_DEP_3) | instskip(NEXT) | instid1(VALU_DEP_3)
	v_add_nc_u32_e32 v7, v5, v2
	v_add3_u32 v6, v24, v6, 0x7fff
	s_delay_alu instid0(VALU_DEP_1) | instskip(NEXT) | instid1(VALU_DEP_1)
	v_lshrrev_b32_e32 v6, 16, v6
	v_cndmask_b32_e64 v6, 0x7fc0, v6, s3
	s_wait_kmcnt 0x0
	global_store_b16 v7, v6, s[8:9] scale_offset
	s_wait_xcnt 0x0
	s_or_b32 exec_lo, exec_lo, s4
	s_and_saveexec_b32 s4, s1
	s_cbranch_execz .LBB170_46
.LBB170_78:
	v_bfe_u32 v6, v22, 16, 1
	v_cmp_o_f32_e64 s3, v22, v22
	v_add_nc_u32_e32 v7, v5, v3
	s_delay_alu instid0(VALU_DEP_3) | instskip(NEXT) | instid1(VALU_DEP_1)
	v_add3_u32 v6, v22, v6, 0x7fff
	v_lshrrev_b32_e32 v6, 16, v6
	s_delay_alu instid0(VALU_DEP_1)
	v_cndmask_b32_e64 v6, 0x7fc0, v6, s3
	s_wait_kmcnt 0x0
	global_store_b16 v7, v6, s[8:9] scale_offset
	s_wait_xcnt 0x0
	s_or_b32 exec_lo, exec_lo, s4
	s_and_saveexec_b32 s4, s2
	s_cbranch_execnz .LBB170_47
	s_branch .LBB170_48
.LBB170_79:
	v_bfe_u32 v6, v27, 16, 1
	v_cmp_o_f32_e64 s3, v27, v27
	s_delay_alu instid0(VALU_DEP_3) | instskip(NEXT) | instid1(VALU_DEP_3)
	v_add_nc_u32_e32 v7, v5, v0
	v_add3_u32 v6, v27, v6, 0x7fff
	s_delay_alu instid0(VALU_DEP_1) | instskip(NEXT) | instid1(VALU_DEP_1)
	v_lshrrev_b32_e32 v6, 16, v6
	v_cndmask_b32_e64 v6, 0x7fc0, v6, s3
	s_wait_kmcnt 0x0
	global_store_b16 v7, v6, s[8:9] scale_offset
	s_wait_xcnt 0x0
	s_or_b32 exec_lo, exec_lo, s4
	s_and_saveexec_b32 s4, s0
	s_cbranch_execz .LBB170_51
.LBB170_80:
	v_bfe_u32 v6, v25, 16, 1
	v_cmp_o_f32_e64 s3, v25, v25
	s_delay_alu instid0(VALU_DEP_3) | instskip(NEXT) | instid1(VALU_DEP_3)
	v_add_nc_u32_e32 v7, v5, v2
	v_add3_u32 v6, v25, v6, 0x7fff
	s_delay_alu instid0(VALU_DEP_1) | instskip(NEXT) | instid1(VALU_DEP_1)
	v_lshrrev_b32_e32 v6, 16, v6
	v_cndmask_b32_e64 v6, 0x7fc0, v6, s3
	s_wait_kmcnt 0x0
	global_store_b16 v7, v6, s[8:9] scale_offset
	s_wait_xcnt 0x0
	s_or_b32 exec_lo, exec_lo, s4
	s_and_saveexec_b32 s4, s1
	s_cbranch_execz .LBB170_52
.LBB170_81:
	v_bfe_u32 v6, v23, 16, 1
	v_cmp_o_f32_e64 s3, v23, v23
	v_add_nc_u32_e32 v7, v5, v3
	s_delay_alu instid0(VALU_DEP_3) | instskip(NEXT) | instid1(VALU_DEP_1)
	v_add3_u32 v6, v23, v6, 0x7fff
	v_lshrrev_b32_e32 v6, 16, v6
	s_delay_alu instid0(VALU_DEP_1)
	v_cndmask_b32_e64 v6, 0x7fc0, v6, s3
	s_wait_kmcnt 0x0
	global_store_b16 v7, v6, s[8:9] scale_offset
	s_wait_xcnt 0x0
	s_or_b32 exec_lo, exec_lo, s4
	s_and_saveexec_b32 s4, s2
	s_cbranch_execnz .LBB170_53
	s_branch .LBB170_54
.LBB170_82:
	v_bfe_u32 v6, v14, 16, 1
	v_cmp_o_f32_e64 s3, v14, v14
	s_delay_alu instid0(VALU_DEP_3) | instskip(NEXT) | instid1(VALU_DEP_3)
	v_add_nc_u32_e32 v7, v5, v0
	v_add3_u32 v6, v14, v6, 0x7fff
	s_delay_alu instid0(VALU_DEP_1) | instskip(NEXT) | instid1(VALU_DEP_1)
	v_lshrrev_b32_e32 v6, 16, v6
	v_cndmask_b32_e64 v6, 0x7fc0, v6, s3
	s_wait_kmcnt 0x0
	global_store_b16 v7, v6, s[8:9] scale_offset
	s_wait_xcnt 0x0
	s_or_b32 exec_lo, exec_lo, s4
	s_and_saveexec_b32 s4, s0
	s_cbranch_execz .LBB170_57
.LBB170_83:
	v_bfe_u32 v6, v12, 16, 1
	v_cmp_o_f32_e64 s3, v12, v12
	s_delay_alu instid0(VALU_DEP_3) | instskip(NEXT) | instid1(VALU_DEP_3)
	v_add_nc_u32_e32 v7, v5, v2
	v_add3_u32 v6, v12, v6, 0x7fff
	s_delay_alu instid0(VALU_DEP_1) | instskip(NEXT) | instid1(VALU_DEP_1)
	v_lshrrev_b32_e32 v6, 16, v6
	v_cndmask_b32_e64 v6, 0x7fc0, v6, s3
	s_wait_kmcnt 0x0
	global_store_b16 v7, v6, s[8:9] scale_offset
	s_wait_xcnt 0x0
	s_or_b32 exec_lo, exec_lo, s4
	s_and_saveexec_b32 s4, s1
	s_cbranch_execz .LBB170_58
.LBB170_84:
	v_bfe_u32 v6, v10, 16, 1
	v_cmp_o_f32_e64 s3, v10, v10
	v_add_nc_u32_e32 v7, v5, v3
	s_delay_alu instid0(VALU_DEP_3) | instskip(NEXT) | instid1(VALU_DEP_1)
	v_add3_u32 v6, v10, v6, 0x7fff
	v_lshrrev_b32_e32 v6, 16, v6
	s_delay_alu instid0(VALU_DEP_1)
	v_cndmask_b32_e64 v6, 0x7fc0, v6, s3
	s_wait_kmcnt 0x0
	global_store_b16 v7, v6, s[8:9] scale_offset
	s_wait_xcnt 0x0
	s_or_b32 exec_lo, exec_lo, s4
	s_and_saveexec_b32 s4, s2
	s_cbranch_execnz .LBB170_59
	s_branch .LBB170_60
.LBB170_85:
	v_bfe_u32 v5, v15, 16, 1
	v_cmp_o_f32_e32 vcc_lo, v15, v15
	s_delay_alu instid0(VALU_DEP_3) | instskip(NEXT) | instid1(VALU_DEP_3)
	v_add_nc_u32_e32 v0, v1, v0
	v_add3_u32 v5, v15, v5, 0x7fff
	s_delay_alu instid0(VALU_DEP_1) | instskip(NEXT) | instid1(VALU_DEP_1)
	v_lshrrev_b32_e32 v5, 16, v5
	v_cndmask_b32_e32 v5, 0x7fc0, v5, vcc_lo
	s_wait_kmcnt 0x0
	global_store_b16 v0, v5, s[8:9] scale_offset
	s_wait_xcnt 0x0
	s_or_b32 exec_lo, exec_lo, s3
	s_and_saveexec_b32 s3, s0
	s_cbranch_execz .LBB170_63
.LBB170_86:
	v_bfe_u32 v0, v13, 16, 1
	v_cmp_o_f32_e32 vcc_lo, v13, v13
	s_delay_alu instid0(VALU_DEP_3) | instskip(NEXT) | instid1(VALU_DEP_3)
	v_add_nc_u32_e32 v2, v1, v2
	v_add3_u32 v0, v13, v0, 0x7fff
	s_delay_alu instid0(VALU_DEP_1) | instskip(NEXT) | instid1(VALU_DEP_1)
	v_lshrrev_b32_e32 v0, 16, v0
	v_cndmask_b32_e32 v0, 0x7fc0, v0, vcc_lo
	s_wait_kmcnt 0x0
	global_store_b16 v2, v0, s[8:9] scale_offset
	s_wait_xcnt 0x0
	s_or_b32 exec_lo, exec_lo, s3
	s_and_saveexec_b32 s0, s1
	s_cbranch_execz .LBB170_64
.LBB170_87:
	v_bfe_u32 v0, v11, 16, 1
	v_cmp_o_f32_e32 vcc_lo, v11, v11
	v_add_nc_u32_e32 v2, v1, v3
	s_delay_alu instid0(VALU_DEP_3) | instskip(NEXT) | instid1(VALU_DEP_1)
	v_add3_u32 v0, v11, v0, 0x7fff
	v_lshrrev_b32_e32 v0, 16, v0
	s_delay_alu instid0(VALU_DEP_1) | instskip(SKIP_4) | instid1(SALU_CYCLE_1)
	v_cndmask_b32_e32 v0, 0x7fc0, v0, vcc_lo
	s_wait_kmcnt 0x0
	global_store_b16 v2, v0, s[8:9] scale_offset
	s_wait_xcnt 0x0
	s_or_b32 exec_lo, exec_lo, s0
	s_and_b32 exec_lo, exec_lo, s2
	s_cbranch_execnz .LBB170_65
	s_branch .LBB170_66
	.section	.rodata,"a",@progbits
	.p2align	6, 0x0
	.amdhsa_kernel _ZL12mul_mat_q3_KIN3c108BFloat16ELb1EEvPKvS3_PT_iiiii
		.amdhsa_group_segment_fixed_size 39840
		.amdhsa_private_segment_fixed_size 0
		.amdhsa_kernarg_size 44
		.amdhsa_user_sgpr_count 2
		.amdhsa_user_sgpr_dispatch_ptr 0
		.amdhsa_user_sgpr_queue_ptr 0
		.amdhsa_user_sgpr_kernarg_segment_ptr 1
		.amdhsa_user_sgpr_dispatch_id 0
		.amdhsa_user_sgpr_kernarg_preload_length 0
		.amdhsa_user_sgpr_kernarg_preload_offset 0
		.amdhsa_user_sgpr_private_segment_size 0
		.amdhsa_wavefront_size32 1
		.amdhsa_uses_dynamic_stack 0
		.amdhsa_enable_private_segment 0
		.amdhsa_system_sgpr_workgroup_id_x 1
		.amdhsa_system_sgpr_workgroup_id_y 1
		.amdhsa_system_sgpr_workgroup_id_z 0
		.amdhsa_system_sgpr_workgroup_info 0
		.amdhsa_system_vgpr_workitem_id 1
		.amdhsa_next_free_vgpr 307
		.amdhsa_next_free_sgpr 24
		.amdhsa_named_barrier_count 0
		.amdhsa_reserve_vcc 1
		.amdhsa_float_round_mode_32 0
		.amdhsa_float_round_mode_16_64 0
		.amdhsa_float_denorm_mode_32 3
		.amdhsa_float_denorm_mode_16_64 3
		.amdhsa_fp16_overflow 0
		.amdhsa_memory_ordered 1
		.amdhsa_forward_progress 1
		.amdhsa_inst_pref_size 255
		.amdhsa_round_robin_scheduling 0
		.amdhsa_exception_fp_ieee_invalid_op 0
		.amdhsa_exception_fp_denorm_src 0
		.amdhsa_exception_fp_ieee_div_zero 0
		.amdhsa_exception_fp_ieee_overflow 0
		.amdhsa_exception_fp_ieee_underflow 0
		.amdhsa_exception_fp_ieee_inexact 0
		.amdhsa_exception_int_div_zero 0
	.end_amdhsa_kernel
	.section	.text._ZL12mul_mat_q3_KIN3c108BFloat16ELb1EEvPKvS3_PT_iiiii,"axG",@progbits,_ZL12mul_mat_q3_KIN3c108BFloat16ELb1EEvPKvS3_PT_iiiii,comdat
.Lfunc_end170:
	.size	_ZL12mul_mat_q3_KIN3c108BFloat16ELb1EEvPKvS3_PT_iiiii, .Lfunc_end170-_ZL12mul_mat_q3_KIN3c108BFloat16ELb1EEvPKvS3_PT_iiiii
                                        ; -- End function
	.set _ZL12mul_mat_q3_KIN3c108BFloat16ELb1EEvPKvS3_PT_iiiii.num_vgpr, 307
	.set _ZL12mul_mat_q3_KIN3c108BFloat16ELb1EEvPKvS3_PT_iiiii.num_agpr, 0
	.set _ZL12mul_mat_q3_KIN3c108BFloat16ELb1EEvPKvS3_PT_iiiii.numbered_sgpr, 24
	.set _ZL12mul_mat_q3_KIN3c108BFloat16ELb1EEvPKvS3_PT_iiiii.num_named_barrier, 0
	.set _ZL12mul_mat_q3_KIN3c108BFloat16ELb1EEvPKvS3_PT_iiiii.private_seg_size, 0
	.set _ZL12mul_mat_q3_KIN3c108BFloat16ELb1EEvPKvS3_PT_iiiii.uses_vcc, 1
	.set _ZL12mul_mat_q3_KIN3c108BFloat16ELb1EEvPKvS3_PT_iiiii.uses_flat_scratch, 0
	.set _ZL12mul_mat_q3_KIN3c108BFloat16ELb1EEvPKvS3_PT_iiiii.has_dyn_sized_stack, 0
	.set _ZL12mul_mat_q3_KIN3c108BFloat16ELb1EEvPKvS3_PT_iiiii.has_recursion, 0
	.set _ZL12mul_mat_q3_KIN3c108BFloat16ELb1EEvPKvS3_PT_iiiii.has_indirect_call, 0
	.section	.AMDGPU.csdata,"",@progbits
; Kernel info:
; codeLenInByte = 43700
; TotalNumSgprs: 26
; NumVgprs: 307
; ScratchSize: 0
; MemoryBound: 0
; FloatMode: 240
; IeeeMode: 1
; LDSByteSize: 39840 bytes/workgroup (compile time only)
; SGPRBlocks: 0
; VGPRBlocks: 19
; NumSGPRsForWavesPerEU: 26
; NumVGPRsForWavesPerEU: 307
; NamedBarCnt: 0
; Occupancy: 3
; WaveLimiterHint : 0
; COMPUTE_PGM_RSRC2:SCRATCH_EN: 0
; COMPUTE_PGM_RSRC2:USER_SGPR: 2
; COMPUTE_PGM_RSRC2:TRAP_HANDLER: 0
; COMPUTE_PGM_RSRC2:TGID_X_EN: 1
; COMPUTE_PGM_RSRC2:TGID_Y_EN: 1
; COMPUTE_PGM_RSRC2:TGID_Z_EN: 0
; COMPUTE_PGM_RSRC2:TIDIG_COMP_CNT: 1
	.section	.text._ZL12mul_mat_q4_KIN3c108BFloat16ELb0EEvPKvS3_PT_iiiii,"axG",@progbits,_ZL12mul_mat_q4_KIN3c108BFloat16ELb0EEvPKvS3_PT_iiiii,comdat
	.globl	_ZL12mul_mat_q4_KIN3c108BFloat16ELb0EEvPKvS3_PT_iiiii ; -- Begin function _ZL12mul_mat_q4_KIN3c108BFloat16ELb0EEvPKvS3_PT_iiiii
	.p2align	8
	.type	_ZL12mul_mat_q4_KIN3c108BFloat16ELb0EEvPKvS3_PT_iiiii,@function
_ZL12mul_mat_q4_KIN3c108BFloat16ELb0EEvPKvS3_PT_iiiii: ; @_ZL12mul_mat_q4_KIN3c108BFloat16ELb0EEvPKvS3_PT_iiiii
; %bb.0:
	s_clause 0x1
	s_load_b32 s10, s[0:1], 0x18
	s_load_b96 s[4:6], s[0:1], 0x20
	s_bfe_u32 s2, ttmp6, 0x4000c
	s_bfe_u32 s7, ttmp6, 0x40010
	s_add_co_i32 s2, s2, 1
	s_and_b32 s3, ttmp6, 15
	s_mul_i32 s2, ttmp9, s2
	s_add_co_i32 s7, s7, 1
	s_add_co_i32 s3, s3, s2
	s_mul_i32 s2, ttmp7, s7
	s_bfe_u32 s7, ttmp6, 0x40004
	s_getreg_b32 s8, hwreg(HW_REG_IB_STS2, 6, 4)
	s_add_co_i32 s7, s7, s2
	s_cmp_eq_u32 s8, 0
	v_bfe_u32 v41, v0, 10, 10
	s_cselect_b32 s7, ttmp7, s7
	v_and_b32_e32 v40, 0x3ff, v0
	s_cselect_b32 s2, ttmp9, s3
	s_lshl_b32 s7, s7, 6
	s_mov_b32 s3, 0
	s_wait_kmcnt 0x0
	s_cmp_gt_i32 s10, 0xff
	s_cbranch_scc1 .LBB171_2
; %bb.1:
	v_bfe_u32 v1, v0, 10, 10
	v_and_b32_e32 v2, 0x3ff, v0
	s_delay_alu instid0(VALU_DEP_2)
	v_add_nc_u32_e32 v3, s7, v1
	s_branch .LBB171_3
.LBB171_2:
	s_mov_b32 s3, -1
                                        ; implicit-def: $vgpr1
                                        ; implicit-def: $vgpr2
                                        ; implicit-def: $vgpr3
.LBB171_3:
	s_load_b64 s[8:9], s[0:1], 0x10
	v_dual_mov_b32 v17, 0 :: v_dual_mov_b32 v16, 0
	v_dual_mov_b32 v25, 0 :: v_dual_mov_b32 v24, 0
	;; [unrolled: 1-line block ×16, first 2 shown]
	s_and_not1_b32 vcc_lo, exec_lo, s3
	s_lshl_b32 s14, s2, 7
	s_cbranch_vccnz .LBB171_11
; %bb.4:
	v_add_nc_u32_e32 v16, s7, v41
	s_add_co_i32 s17, s4, -1
	v_dual_lshlrev_b32 v59, 5, v41 :: v_dual_add_nc_u32 v24, 40, v41
	v_cvt_f64_i32_e32 v[2:3], s17
	s_delay_alu instid0(VALU_DEP_3)
	v_dual_add_nc_u32 v1, 8, v16 :: v_dual_add_nc_u32 v8, 16, v16
	v_add_nc_u32_e32 v14, 40, v16
	v_cvt_f64_u32_e32 v[4:5], v16
	scratch_store_b32 off, v16, off offset:128 ; 4-byte Folded Spill
	v_cvt_f64_u32_e32 v[6:7], v1
	v_dual_add_nc_u32 v1, 24, v16 :: v_dual_add_nc_u32 v12, 32, v16
	v_cvt_f64_u32_e32 v[8:9], v8
	v_dual_mov_b32 v43, 0 :: v_dual_add_nc_u32 v18, 56, v16
	s_delay_alu instid0(VALU_DEP_3)
	v_cvt_f64_u32_e32 v[10:11], v1
	v_add_nc_u32_e32 v1, 48, v16
	v_cvt_f64_u32_e32 v[14:15], v14
	v_cvt_f64_u32_e32 v[12:13], v12
	v_cvt_f64_u32_e32 v[18:19], v18
	v_add_nc_u32_e32 v26, v59, v40
	s_wait_xcnt 0x0
	v_cvt_f64_u32_e32 v[16:17], v1
	v_lshlrev_b32_e32 v1, 2, v40
	v_bfe_u32 v31, v0, 2, 8
	s_ashr_i32 s2, s10, 31
	v_dual_add_nc_u32 v20, 8, v41 :: v_dual_add_nc_u32 v21, 16, v41
	s_lshr_b32 s11, s2, 24
	v_bfe_u32 v34, v0, 5, 5
	s_add_co_i32 s10, s10, s11
	s_ashr_i32 s11, s5, 31
	s_ashr_i32 s15, s10, 8
	s_lshr_b32 s10, s11, 27
	v_dual_add_nc_u32 v22, 24, v41 :: v_dual_add_nc_u32 v23, 32, v41
	s_add_co_i32 s5, s5, s10
	v_add_nc_u32_e32 v25, 48, v41
	s_ashr_i32 s18, s5, 5
	s_lshl_b32 s5, s15, 3
	v_min_num_f64_e32 v[4:5], v[4:5], v[2:3]
	s_load_b128 s[0:3], s[0:1], 0x0
	v_dual_min_num_f64 v[6:7], v[6:7], v[2:3] :: v_dual_add_nc_u32 v27, 56, v41
	s_mul_i32 s10, s15, s14
	v_min_num_f64_e32 v[8:9], v[8:9], v[2:3]
	v_dual_lshrrev_b32 v29, 3, v26 :: v_dual_bitop2_b32 v28, 3, v0 bitop3:0x40
	v_min_num_f64_e32 v[10:11], v[10:11], v[2:3]
	v_and_b32_e32 v26, 0x7f, v26
	v_min_num_f64_e32 v[14:15], v[14:15], v[2:3]
	v_min_num_f64_e32 v[12:13], v[12:13], v[2:3]
	v_cmp_gt_u32_e32 vcc_lo, 2, v28
	v_add_nc_u32_e32 v30, 0xfe, v28
	v_dual_min_num_f64 v[16:17], v[16:17], v[2:3] :: v_dual_bitop2_b32 v32, 4, v1 bitop3:0x40
	v_min_num_f64_e32 v[2:3], v[18:19], v[2:3]
	v_dual_lshlrev_b32 v18, 2, v26 :: v_dual_bitop2_b32 v29, 12, v29 bitop3:0x40
	s_delay_alu instid0(VALU_DEP_4)
	v_and_b32_e32 v19, 0xff, v30
	v_lshlrev_b32_e32 v30, 3, v41
	s_ashr_i32 s11, s10, 31
	s_movk_i32 s16, 0x3180
	v_add3_u32 v18, v18, v29, 0x6e40
	v_cndmask_b32_e32 v19, v19, v28, vcc_lo
	v_add_nc_u32_e32 v29, v31, v30
	v_add_nc_u16 v30, v31, v30
	v_cmp_ne_u32_e32 vcc_lo, 0, v28
	s_mul_u64 s[12:13], s[10:11], 0x90
	s_movk_i32 s10, 0x1080
	v_and_b32_e32 v31, 0x7f, v29
	s_movk_i32 s11, 0x2100
	v_cvt_i32_f64_e32 v33, v[4:5]
	v_lshlrev_b32_e32 v4, 2, v28
	v_lshrrev_b16 v5, 1, v30
	v_cvt_i32_f64_e32 v6, v[6:7]
	v_mad_i32_i24 v30, s15, v41, s5
	v_cvt_i32_f64_e32 v7, v[8:9]
	v_dual_lshlrev_b32 v138, 5, v20 :: v_dual_lshlrev_b32 v139, 5, v21
	v_cvt_i32_f64_e32 v9, v[10:11]
	v_and_b32_e32 v5, 60, v5
	v_cvt_i32_f64_e32 v11, v[14:15]
	v_cvt_i32_f64_e32 v10, v[12:13]
	v_lshl_or_b32 v12, v31, 4, v4
	v_dual_lshlrev_b32 v140, 5, v22 :: v_dual_lshlrev_b32 v141, 5, v23
	v_cvt_i32_f64_e32 v14, v[16:17]
	v_cvt_i32_f64_e32 v3, v[2:3]
	s_delay_alu instid0(VALU_DEP_4)
	v_add3_u32 v5, v12, v5, 0x6200
	s_clause 0x1
	scratch_store_b32 off, v18, off offset:8
	scratch_store_b32 off, v40, off offset:124
	s_wait_xcnt 0x1
	v_add_co_ci_u32_e64 v18, null, 0, v19, vcc_lo
	v_cmp_lt_u32_e32 vcc_lo, 1, v28
	v_lshlrev_b32_e32 v65, 1, v19
	scratch_store_b32 off, v5, off offset:12 ; 4-byte Folded Spill
	v_and_b32_e32 v12, 31, v0
	v_dual_lshlrev_b32 v142, 5, v24 :: v_dual_lshlrev_b32 v143, 5, v25
	v_cndmask_b32_e32 v63, 0, v32, vcc_lo
	v_bitop3_b32 v8, v29, 64, 0x7f bitop3:0x6c
	v_and_b32_e32 v15, 63, v29
	v_cndmask_b32_e64 v2, 0, 1, vcc_lo
	v_mul_lo_u32 v81, s18, v33
	v_mov_b64_e32 v[50:51], 0
	v_lshrrev_b32_e32 v13, 1, v8
	v_lshl_or_b32 v16, v8, 4, v4
	v_or_b32_e32 v17, s7, v15
	v_lshl_or_b32 v15, v15, 4, v4
	v_mul_lo_u32 v83, s18, v6
	v_dual_lshlrev_b32 v6, 7, v20 :: v_dual_bitop2_b32 v13, 60, v13 bitop3:0x40
	v_and_b32_e32 v4, 28, v1
	s_delay_alu instid0(VALU_DEP_4)
	v_add_nc_u32_e32 v79, 0x6a40, v15
	v_add_nc_u32_e32 v15, 32, v40
	s_wait_xcnt 0x0
	v_add3_u32 v5, v16, v13, 0x6200
	v_dual_add_nc_u32 v16, 64, v40 :: v_dual_min_i32 v13, s17, v17
	v_mul_lo_u32 v93, s18, v14
	v_lshlrev_b32_e32 v14, 7, v25
	v_mul_lo_u32 v121, s18, v3
	s_delay_alu instid0(VALU_DEP_4)
	v_mad_u32 v13, v13, s18, v28
	v_dual_mov_b32 v28, v30 :: v_dual_add_nc_u32 v30, s5, v30
	v_add_nc_u32_e32 v17, 0x60, v40
	v_dual_lshrrev_b32 v123, 3, v15 :: v_dual_lshrrev_b32 v3, 3, v16
	scratch_store_b64 off, v[28:29], off offset:24 ; 8-byte Folded Spill
	s_wait_xcnt 0x0
	v_dual_mov_b32 v28, v30 :: v_dual_lshlrev_b32 v19, 7, v27
	v_dual_add_nc_u32 v36, s5, v30 :: v_dual_lshrrev_b32 v32, 3, v17
	v_mul_lo_u32 v85, s18, v7
	scratch_store_b64 off, v[28:29], off offset:32 ; 8-byte Folded Spill
	s_wait_xcnt 0x0
	v_mov_b32_e32 v28, v34
	scratch_store_b32 off, v5, off offset:16 ; 4-byte Folded Spill
	v_lshlrev_b32_e32 v7, 7, v21
	v_lshl_or_b32 v12, v12, 2, 0x4200
	v_mul_lo_u32 v87, s18, v9
	scratch_store_b64 off, v[28:29], off    ; 8-byte Folded Spill
	s_wait_xcnt 0x0
	v_dual_lshlrev_b32 v28, 2, v34 :: v_dual_bitop2_b32 v30, 60, v3 bitop3:0x40
	v_mov_b32_e32 v34, v36
	scratch_store_b32 off, v13, off offset:20 ; 4-byte Folded Spill
	s_wait_xcnt 0x0
	v_dual_lshlrev_b32 v13, 7, v41 :: v_dual_lshlrev_b32 v9, 7, v22
	v_mul_lo_u32 v89, s18, v10
	scratch_store_b64 off, v[34:35], off offset:40 ; 8-byte Folded Spill
	s_wait_xcnt 0x0
	v_dual_add_nc_u32 v34, s5, v36 :: v_dual_add_nc_u32 v125, v12, v13
	v_lshlrev_b32_e32 v10, 7, v23
	v_mul_lo_u32 v91, s18, v11
	v_dual_lshlrev_b32 v11, 7, v24 :: v_dual_add_nc_u32 v126, v12, v6
	v_dual_add_nc_u32 v127, v12, v7 :: v_dual_add_nc_u32 v128, v12, v9
	v_dual_mov_b32 v6, v34 :: v_dual_add_nc_u32 v34, s5, v34
	s_delay_alu instid0(VALU_DEP_3)
	v_dual_add_nc_u32 v130, v12, v11 :: v_dual_add_nc_u32 v129, v12, v10
	v_add_nc_u32_e32 v132, v12, v19
	scratch_store_b64 off, v[6:7], off offset:48 ; 8-byte Folded Spill
	s_wait_xcnt 0x0
	v_dual_mov_b32 v6, v34 :: v_dual_add_nc_u32 v131, v12, v14
	v_add_nc_u32_e32 v10, s5, v34
	v_dual_mov_b32 v5, v43 :: v_dual_lshlrev_b32 v74, 2, v18
	v_and_b32_e32 v29, 60, v123
	scratch_store_b64 off, v[6:7], off offset:56 ; 8-byte Folded Spill
	s_wait_xcnt 0x0
	v_and_b32_e32 v6, 60, v32
	v_bfe_u32 v7, v0, 3, 7
	v_dual_mov_b32 v0, v10 :: v_dual_add_nc_u32 v10, s5, v10
	v_mov_b32_e32 v77, v43
	s_delay_alu instid0(VALU_DEP_4)
	v_add3_u32 v137, v1, v6, 0x6e40
	v_add3_u32 v134, v28, v1, 0x6e40
	s_clause 0x1
	scratch_store_b64 off, v[0:1], off offset:64
	scratch_store_b32 off, v7, off offset:72
	s_wait_xcnt 0x1
	v_dual_mov_b32 v0, v10 :: v_dual_add_nc_u32 v6, s5, v10
	v_lshlrev_b32_e32 v155, 2, v7
	v_add3_u32 v135, v1, v29, 0x6e40
	v_add3_u32 v136, v1, v30, 0x6e40
	scratch_store_b64 off, v[0:1], off offset:76 ; 8-byte Folded Spill
	s_wait_xcnt 0x0
	v_dual_mov_b32 v0, v6 :: v_dual_add_nc_u32 v68, s5, v6
	v_dual_lshlrev_b32 v144, 5, v27 :: v_dual_lshlrev_b32 v146, 4, v16
	v_dual_lshlrev_b32 v145, 4, v15 :: v_dual_lshlrev_b32 v147, 4, v17
	s_delay_alu instid0(VALU_DEP_3)
	v_add_nc_u32_e32 v70, s5, v68
	scratch_store_b64 off, v[0:1], off offset:84 ; 8-byte Folded Spill
	s_wait_xcnt 0x0
	v_mul_i32_i24_e32 v0, s15, v26
	s_wait_kmcnt 0x0
	v_add_nc_u64_e32 v[72:73], s[2:3], v[4:5]
	v_mov_b64_e32 v[38:39], 0
	v_dual_add_nc_u32 v78, s5, v70 :: v_dual_lshlrev_b32 v150, 2, v32
	scratch_store_b64 off, v[0:1], off offset:92 ; 8-byte Folded Spill
	s_wait_xcnt 0x0
	v_mul_i32_i24_e32 v0, s15, v31
	v_mov_b64_e32 v[30:31], 0
	v_add_nc_u32_e32 v80, s5, v78
	v_mov_b64_e32 v[22:23], 0
	v_mov_b64_e32 v[48:49], 0
	scratch_store_b64 off, v[0:1], off offset:100 ; 8-byte Folded Spill
	s_wait_xcnt 0x0
	v_mul_i32_i24_e32 v0, s15, v8
	v_add_nc_u32_e32 v88, s5, v80
	v_mov_b64_e32 v[36:37], 0
	v_mov_b64_e32 v[28:29], 0
	;; [unrolled: 1-line block ×4, first 2 shown]
	v_dual_add_nc_u32 v90, s5, v88 :: v_dual_lshlrev_b32 v156, 2, v123
	v_mov_b64_e32 v[34:35], 0
	v_mov_b64_e32 v[26:27], 0
	;; [unrolled: 1-line block ×7, first 2 shown]
	v_and_b32_e32 v42, 0x7c, v1
	v_mad_u32_u24 v57, 0x84, v41, v1
	v_dual_mov_b32 v75, v43 :: v_dual_lshlrev_b32 v76, 2, v2
	v_dual_lshlrev_b32 v148, 2, v1 :: v_dual_lshlrev_b32 v149, 2, v3
	scratch_store_b64 off, v[0:1], off offset:108 ; 8-byte Folded Spill
	v_mul_u32_u24_e32 v151, 0x84, v40
	v_mad_u32_u24 v152, 0x84, v40, s10
	v_mad_u32_u24 v153, 0x84, v40, s11
	;; [unrolled: 1-line block ×3, first 2 shown]
	s_wait_xcnt 0x0
	v_add_nc_u32_e32 v0, s5, v90
	s_mov_b32 s11, 0
	s_add_nc_u64 s[0:1], s[0:1], s[12:13]
	s_mov_b32 s10, s11
	scratch_store_b64 off, v[0:1], off offset:116 ; 8-byte Folded Spill
.LBB171_5:                              ; =>This Loop Header: Depth=1
                                        ;     Child Loop BB171_6 Depth 2
                                        ;     Child Loop BB171_8 Depth 2
	s_clause 0x7
	scratch_load_b64 v[0:1], off, off
	scratch_load_b64 v[6:7], off, off offset:24
	scratch_load_b64 v[8:9], off, off offset:32
	;; [unrolled: 1-line block ×7, first 2 shown]
	s_mul_u64 s[12:13], s[10:11], 0x90
	v_mul_i32_i24_e32 v4, s15, v41
	s_add_nc_u64 s[12:13], s[0:1], s[12:13]
	s_lshl_b32 s5, s10, 3
	s_mov_b32 s16, 0
	s_wait_loadcnt 0x7
	v_mad_nc_u64_u32 v[0:1], 0x90, v0, s[12:13]
	s_wait_loadcnt 0x3
	v_mad_nc_u64_u32 v[2:3], 0x90, v2, s[12:13]
	s_wait_loadcnt 0x0
	s_delay_alu instid0(VALU_DEP_2)
	v_mad_nc_u64_u32 v[94:95], 0x90, v52, v[0:1]
	scratch_load_b64 v[52:53], off, off offset:76 ; 8-byte Folded Reload
	v_mad_nc_u64_u32 v[4:5], 0x90, v4, v[0:1]
	v_mad_nc_u64_u32 v[6:7], 0x90, v6, v[0:1]
	;; [unrolled: 1-line block ×9, first 2 shown]
	v_add_nc_u64_e32 v[94:95], v[94:95], v[42:43]
	v_mad_nc_u64_u32 v[106:107], 0x90, v80, v[0:1]
	v_add_nc_u64_e32 v[4:5], v[4:5], v[42:43]
	v_add_nc_u64_e32 v[6:7], v[6:7], v[42:43]
	;; [unrolled: 1-line block ×6, first 2 shown]
	v_mad_nc_u64_u32 v[108:109], 0x90, v88, v[0:1]
	s_wait_loadcnt 0x0
	v_mad_nc_u64_u32 v[96:97], 0x90, v52, v[0:1]
	scratch_load_b64 v[52:53], off, off offset:84 ; 8-byte Folded Reload
	v_add_nc_u64_e32 v[96:97], v[96:97], v[42:43]
	s_clause 0x7
	global_load_b32 v110, v[4:5], off offset:16
	global_load_b32 v111, v[6:7], off offset:16
	;; [unrolled: 1-line block ×8, first 2 shown]
                                        ; kill: killed $vgpr8_vgpr9
                                        ; kill: killed $vgpr14_vgpr15
                                        ; kill: killed $vgpr6_vgpr7
                                        ; kill: killed $vgpr12_vgpr13
                                        ; kill: killed $vgpr96_vgpr97
                                        ; kill: killed $vgpr4_vgpr5
                                        ; kill: killed $vgpr10_vgpr11
                                        ; kill: killed $vgpr94_vgpr95
	s_clause 0x1
	scratch_load_b64 v[4:5], off, off offset:108
	scratch_load_b64 v[10:11], off, off offset:116
	v_mad_nc_u64_u32 v[8:9], 0x90, v90, v[0:1]
	s_wait_xcnt 0x5
	v_add_nc_u64_e32 v[12:13], v[102:103], v[42:43]
	s_wait_xcnt 0x4
	v_add_nc_u64_e32 v[14:15], v[104:105], v[42:43]
	s_wait_xcnt 0x3
	v_add_nc_u64_e32 v[94:95], v[106:107], v[42:43]
	s_wait_xcnt 0x2
	v_add_nc_u64_e32 v[96:97], v[108:109], v[42:43]
	v_add_nc_u64_e32 v[8:9], v[8:9], v[42:43]
	s_wait_loadcnt 0xa
	v_mad_nc_u64_u32 v[98:99], 0x90, v52, v[0:1]
	s_wait_loadcnt 0x1
	v_mad_nc_u64_u32 v[4:5], 0x90, v4, s[12:13]
	s_delay_alu instid0(VALU_DEP_2)
	v_add_nc_u64_e32 v[6:7], v[98:99], v[42:43]
	s_wait_loadcnt 0x0
	v_mad_nc_u64_u32 v[0:1], 0x90, v10, v[0:1]
	v_add_nc_u64_e32 v[98:99], v[2:3], v[74:75]
	v_add_nc_u64_e32 v[2:3], v[2:3], v[76:77]
	;; [unrolled: 1-line block ×6, first 2 shown]
	s_clause 0x3
	global_load_b32 v102, v[98:99], off offset:4
	global_load_b32 v103, v[2:3], off offset:4
	;; [unrolled: 1-line block ×4, first 2 shown]
                                        ; kill: killed $vgpr100_vgpr101
                                        ; kill: killed $vgpr2_vgpr3
                                        ; kill: killed $vgpr98_vgpr99
                                        ; kill: killed $vgpr4_vgpr5
	scratch_load_b32 v2, off, off offset:72 ; 4-byte Folded Reload
	s_clause 0x7
	global_load_b32 v100, v[6:7], off offset:16
	global_load_b32 v101, v[10:11], off offset:16
	;; [unrolled: 1-line block ×8, first 2 shown]
	s_clause 0x1
	scratch_load_b64 v[0:1], off, off offset:92
	scratch_load_b32 v3, off, off offset:20
	s_wait_loadcnt 0xa
	v_add_nc_u32_e32 v98, s5, v2
	s_wait_loadcnt 0x1
	v_mad_nc_u64_u32 v[0:1], 0x90, v0, s[12:13]
	s_wait_loadcnt 0x0
	v_add_nc_u32_e32 v95, s5, v3
	s_mov_b32 s12, -1
	v_dual_add_nc_u32 v4, v98, v85 :: v_dual_add_nc_u32 v10, v98, v87
	v_dual_add_nc_u32 v2, v98, v81 :: v_dual_add_nc_u32 v6, v98, v91
	;; [unrolled: 1-line block ×3, first 2 shown]
	s_delay_alu instid0(VALU_DEP_3) | instskip(SKIP_1) | instid1(VALU_DEP_4)
	v_mad_nc_i64_i32 v[4:5], v4, 36, v[72:73]
	v_mad_nc_u64_u32 v[8:9], v95, 36, s[2:3]
	v_mad_nc_i64_i32 v[6:7], v6, 36, v[72:73]
	v_add_nc_u32_e32 v94, v98, v89
	v_mad_nc_i64_i32 v[2:3], v2, 36, v[72:73]
	v_add_nc_u32_e32 v98, v98, v121
	v_mad_nc_i64_i32 v[10:11], v10, 36, v[72:73]
	v_mad_nc_i64_i32 v[12:13], v12, 36, v[72:73]
	;; [unrolled: 1-line block ×5, first 2 shown]
	s_clause 0x2
	global_load_b32 v94, v[4:5], off offset:4
	global_load_b32 v120, v[6:7], off offset:4
	global_load_b32 v122, v[8:9], off
	global_load_b32 v124, v[0:1], off
	s_clause 0x5
	global_load_b32 v157, v[2:3], off offset:4
	global_load_b32 v158, v[10:11], off offset:4
	;; [unrolled: 1-line block ×6, first 2 shown]
	s_wait_xcnt 0x5
	v_dual_ashrrev_i32 v0, v63, v102 :: v_dual_ashrrev_i32 v2, v65, v103
	v_dual_ashrrev_i32 v3, v65, v105 :: v_dual_ashrrev_i32 v1, v63, v104
	s_delay_alu instid0(VALU_DEP_2) | instskip(NEXT) | instid1(VALU_DEP_2)
	v_and_b32_e32 v0, 0xf0f0f0f, v0
	v_and_b32_e32 v1, 0xf0f0f0f, v1
	s_delay_alu instid0(VALU_DEP_2)
	v_and_or_b32 v0, 0x30303030, v2, v0
	v_add_nc_u32_e32 v2, 0x420, v57
	ds_store_b32 v57, v110
	v_and_or_b32 v1, 0x30303030, v3, v1
	ds_store_b32 v2, v111
	v_add_nc_u32_e32 v2, 0x840, v57
	ds_store_b32 v2, v112
	v_add_nc_u32_e32 v2, 0xc60, v57
	;; [unrolled: 2-line block ×14, first 2 shown]
	ds_store_b32 v2, v119
	s_wait_loadcnt 0x9
	ds_store_b32 v127, v94
	s_wait_loadcnt 0x8
	;; [unrolled: 2-line block ×3, first 2 shown]
	ds_store_b32 v79, v122
	scratch_load_b32 v2, off, off offset:8  ; 4-byte Folded Reload
	s_wait_loadcnt 0x0
	ds_store_b32 v2, v124
	scratch_load_b32 v2, off, off offset:12 ; 4-byte Folded Reload
	s_wait_loadcnt 0x0
	ds_store_b32 v2, v0
	ds_store_b32 v125, v157
	;; [unrolled: 1-line block ×4, first 2 shown]
	scratch_load_b32 v0, off, off offset:16 ; 4-byte Folded Reload
	s_wait_loadcnt 0x0
	ds_store_b32 v0, v1
	ds_store_b32 v126, v160
	;; [unrolled: 1-line block ×4, first 2 shown]
	s_wait_storecnt_dscnt 0x0
	s_barrier_signal -1
	s_barrier_wait -1
	ds_load_b32 v1, v134
	ds_load_b32 v3, v135 offset:128
	ds_load_b32 v5, v136 offset:256
	;; [unrolled: 1-line block ×3, first 2 shown]
	s_wait_dscnt 0x3
	v_cvt_f32_f16_e32 v0, v1
	v_lshrrev_b32_e32 v1, 16, v1
	s_wait_dscnt 0x2
	v_cvt_f32_f16_e32 v2, v3
	v_lshrrev_b32_e32 v3, 16, v3
	s_wait_dscnt 0x1
	v_cvt_f32_f16_e32 v4, v5
	s_wait_dscnt 0x0
	v_dual_lshrrev_b32 v5, 16, v5 :: v_dual_lshrrev_b32 v7, 16, v6
	v_cvt_f32_f16_e32 v6, v6
	v_cvt_f32_f16_e32 v8, v1
	s_wait_xcnt 0x7
	v_cvt_f32_f16_e32 v10, v3
	s_wait_xcnt 0x6
	;; [unrolled: 2-line block ×3, first 2 shown]
	v_cvt_f32_f16_e32 v14, v7
	v_dual_mov_b32 v1, v0 :: v_dual_mov_b32 v3, v2
	v_dual_mov_b32 v5, v4 :: v_dual_mov_b32 v7, v6
	;; [unrolled: 1-line block ×3, first 2 shown]
	s_delay_alu instid0(VALU_DEP_4)
	v_dual_mov_b32 v13, v12 :: v_dual_mov_b32 v15, v14
.LBB171_6:                              ;   Parent Loop BB171_5 Depth=1
                                        ; =>  This Inner Loop Header: Depth=2
	s_lshl_b32 s13, s16, 1
	s_lshr_b32 s17, s16, 2
	v_or_b32_e32 v94, s13, v59
	s_lshl_b32 s16, s16, 2
	s_addk_co_i32 s17, 0x6200
	s_and_b32 vcc_lo, exec_lo, s12
	s_mov_b32 s12, 0
	v_lshlrev_b32_e32 v108, 2, v94
	s_wait_xcnt 0x3
	ds_load_b128 v[96:99], v108 offset:16896
	ds_load_b128 v[100:103], v108 offset:16912
	;; [unrolled: 1-line block ×4, first 2 shown]
	s_set_vgpr_msb 64                       ;  msbs: dst=1 src0=0 src1=0 src2=0
	v_lshrrev_b32_e32 v139 /*v395*/, 1, v94
	s_set_vgpr_msb 0                        ;  msbs: dst=0 src0=0 src1=0 src2=0
	v_add3_u32 v94, s17, v155, v148
	s_wait_dscnt 0x3
	s_set_vgpr_msb 64                       ;  msbs: dst=1 src0=0 src1=0 src2=0
	v_bfe_i32 v29 /*v285*/, v96, 0, 8
	v_bfe_i32 v33 /*v289*/, v96, 8, 8
	;; [unrolled: 1-line block ×3, first 2 shown]
	v_ashrrev_i32_e32 v50 /*v306*/, 24, v96
	s_set_vgpr_msb 0                        ;  msbs: dst=0 src0=0 src1=0 src2=0
	v_add_nc_u32_e32 v96, s16, v151
	s_wait_dscnt 0x1
	s_set_vgpr_msb 64                       ;  msbs: dst=1 src0=0 src1=0 src2=0
	v_bfe_i32 v137 /*v393*/, v106, 0, 8
	v_bfe_i32 v138 /*v394*/, v106, 8, 8
	;; [unrolled: 1-line block ×3, first 2 shown]
	v_dual_ashrrev_i32 v158 /*v414*/, 24, v106 :: v_dual_ashrrev_i32 v156 /*v412*/, 24, v107
	s_set_vgpr_msb 0                        ;  msbs: dst=0 src0=0 src1=0 src2=0
	ds_load_2addr_b32 v[116:117], v96 offset1:1
	ds_load_2addr_b32 v[114:115], v96 offset0:2 offset1:3
	s_wait_dscnt 0x2
	s_set_vgpr_msb 64                       ;  msbs: dst=1 src0=0 src1=0 src2=0
	v_bfe_i32 v141 /*v397*/, v110, 0, 8
	v_bfe_i32 v142 /*v398*/, v110, 8, 8
	;; [unrolled: 1-line block ×3, first 2 shown]
	v_dual_ashrrev_i32 v153 /*v409*/, 24, v110 :: v_dual_ashrrev_i32 v151 /*v407*/, 24, v111
	v_bfe_i32 v143 /*v399*/, v111, 0, 8
	v_bfe_i32 v144 /*v400*/, v111, 8, 8
	;; [unrolled: 1-line block ×6, first 2 shown]
	v_dual_ashrrev_i32 v149 /*v405*/, 24, v112 :: v_dual_ashrrev_i32 v145 /*v401*/, 24, v113
	v_bfe_i32 v27 /*v283*/, v113, 0, 8
	v_bfe_i32 v26 /*v282*/, v113, 8, 8
	s_set_vgpr_msb 0                        ;  msbs: dst=0 src0=0 src1=0 src2=0
	v_bfe_i32 v106, v113, 16, 8
	ds_load_2addr_b32 v[110:111], v96 offset0:4 offset1:5
	ds_load_2addr_b32 v[112:113], v96 offset0:6 offset1:7
	s_wait_dscnt 0x3
	v_dual_ashrrev_i32 v108, 24, v103 :: v_dual_bitop2_b32 v119, 15, v116 bitop3:0x40
	s_set_vgpr_msb 64                       ;  msbs: dst=1 src0=0 src1=0 src2=0
	v_bfe_i32 v34 /*v290*/, v97, 0, 8
	v_bfe_i32 v35 /*v291*/, v97, 8, 8
	;; [unrolled: 1-line block ×3, first 2 shown]
	v_dual_ashrrev_i32 v37 /*v293*/, 24, v97 :: v_dual_ashrrev_i32 v41 /*v297*/, 24, v98
	s_set_vgpr_msb 4                        ;  msbs: dst=0 src0=0 src1=1 src2=0
	v_mul_i32_i24_e32 v97, v119, v29 /*v285*/
	v_bfe_u32 v118, v116, 8, 4
	s_set_vgpr_msb 64                       ;  msbs: dst=1 src0=0 src1=0 src2=0
	v_bfe_u32 v92 /*v348*/, v116, 16, 4
	v_bfe_u32 v93 /*v349*/, v116, 24, 4
	v_bfe_i32 v38 /*v294*/, v98, 0, 8
	v_bfe_i32 v39 /*v295*/, v98, 8, 8
	;; [unrolled: 1-line block ×6, first 2 shown]
	v_dual_ashrrev_i32 v45 /*v301*/, 24, v99 :: v_dual_ashrrev_i32 v49 /*v305*/, 24, v100
	s_set_vgpr_msb 5                        ;  msbs: dst=0 src0=1 src1=1 src2=0
	v_mul_i32_i24_e32 v98, v92 /*v348*/, v32 /*v288*/
	v_mul_i32_i24_e32 v99, v93 /*v349*/, v50 /*v306*/
	s_set_vgpr_msb 4                        ;  msbs: dst=0 src0=0 src1=1 src2=0
	v_mad_i32_i24 v97, v118, v33 /*v289*/, v97
	s_set_vgpr_msb 64                       ;  msbs: dst=1 src0=0 src1=0 src2=0
	v_dual_lshrrev_b32 v123 /*v379*/, 28, v116 :: v_dual_bitop2_b32 v94 /*v350*/, 15, v117 bitop3:0x40
	v_bfe_u32 v95 /*v351*/, v117, 8, 4
	v_bfe_u32 v96 /*v352*/, v117, 16, 4
	s_set_vgpr_msb 0                        ;  msbs: dst=0 src0=0 src1=0 src2=0
	v_add3_u32 v97, v97, v98, v99
	s_set_vgpr_msb 5                        ;  msbs: dst=0 src0=1 src1=1 src2=0
	v_mul_i32_i24_e32 v98, v94 /*v350*/, v34 /*v290*/
	s_set_vgpr_msb 64                       ;  msbs: dst=1 src0=0 src1=0 src2=0
	v_bfe_u32 v97 /*v353*/, v117, 24, 4
	s_set_vgpr_msb 5                        ;  msbs: dst=0 src0=1 src1=1 src2=0
	v_mul_i32_i24_e32 v99, v95 /*v351*/, v35 /*v291*/
	s_set_vgpr_msb 64                       ;  msbs: dst=1 src0=0 src1=0 src2=0
	v_bfe_i32 v46 /*v302*/, v100, 0, 8
	v_bfe_i32 v47 /*v303*/, v100, 8, 8
	;; [unrolled: 1-line block ×6, first 2 shown]
	v_dual_ashrrev_i32 v54 /*v310*/, 24, v101 :: v_dual_ashrrev_i32 v60 /*v316*/, 24, v102
	s_set_vgpr_msb 5                        ;  msbs: dst=0 src0=1 src1=1 src2=0
	v_mul_i32_i24_e32 v100, v96 /*v352*/, v36 /*v292*/
	v_mul_i32_i24_e32 v101, v97 /*v353*/, v37 /*v293*/
	s_set_vgpr_msb 0                        ;  msbs: dst=0 src0=0 src1=0 src2=0
	v_add3_u32 v97, v97, v99, v98
	s_wait_dscnt 0x2
	s_set_vgpr_msb 64                       ;  msbs: dst=1 src0=0 src1=0 src2=0
	v_dual_lshrrev_b32 v115 /*v371*/, 28, v117 :: v_dual_bitop2_b32 v98 /*v354*/, 15, v114 bitop3:0x40
	v_bfe_u32 v99 /*v355*/, v114, 8, 4
	v_bfe_u32 v100 /*v356*/, v114, 16, 4
	s_set_vgpr_msb 0                        ;  msbs: dst=0 src0=0 src1=0 src2=0
	v_add3_u32 v97, v97, v100, v101
	s_set_vgpr_msb 5                        ;  msbs: dst=0 src0=1 src1=1 src2=0
	v_mul_i32_i24_e32 v98, v98 /*v354*/, v38 /*v294*/
	s_set_vgpr_msb 64                       ;  msbs: dst=1 src0=0 src1=0 src2=0
	v_bfe_u32 v101 /*v357*/, v114, 24, 4
	s_set_vgpr_msb 5                        ;  msbs: dst=0 src0=1 src1=1 src2=0
	v_mul_i32_i24_e32 v99, v99 /*v355*/, v39 /*v295*/
	v_mul_i32_i24_e32 v100, v100 /*v356*/, v40 /*v296*/
	s_set_vgpr_msb 64                       ;  msbs: dst=1 src0=0 src1=0 src2=0
	v_dual_lshrrev_b32 v116 /*v372*/, 28, v114 :: v_dual_bitop2_b32 v102 /*v358*/, 15, v115 bitop3:0x40
	s_set_vgpr_msb 5                        ;  msbs: dst=0 src0=1 src1=1 src2=0
	v_mul_i32_i24_e32 v101, v101 /*v357*/, v41 /*v297*/
	s_set_vgpr_msb 0                        ;  msbs: dst=0 src0=0 src1=0 src2=0
	v_add3_u32 v97, v97, v99, v98
	s_set_vgpr_msb 64                       ;  msbs: dst=1 src0=0 src1=0 src2=0
	v_bfe_u32 v103 /*v359*/, v115, 8, 4
	s_set_vgpr_msb 5                        ;  msbs: dst=0 src0=1 src1=1 src2=0
	v_mul_i32_i24_e32 v98, v102 /*v358*/, v42 /*v298*/
	s_set_vgpr_msb 64                       ;  msbs: dst=1 src0=0 src1=0 src2=0
	v_bfe_u32 v104 /*v360*/, v115, 16, 4
	v_bfe_u32 v105 /*v361*/, v115, 24, 4
	s_set_vgpr_msb 0                        ;  msbs: dst=0 src0=0 src1=0 src2=0
	v_add3_u32 v97, v97, v100, v101
	s_set_vgpr_msb 5                        ;  msbs: dst=0 src0=1 src1=1 src2=0
	v_mul_i32_i24_e32 v99, v103 /*v359*/, v43 /*v299*/
	s_wait_dscnt 0x1
	s_set_vgpr_msb 64                       ;  msbs: dst=1 src0=0 src1=0 src2=0
	v_dual_lshrrev_b32 v117 /*v373*/, 28, v115 :: v_dual_bitop2_b32 v106 /*v362*/, 15, v110 bitop3:0x40
	s_set_vgpr_msb 5                        ;  msbs: dst=0 src0=1 src1=1 src2=0
	v_mul_i32_i24_e32 v100, v104 /*v360*/, v44 /*v300*/
	v_mul_i32_i24_e32 v101, v105 /*v361*/, v45 /*v301*/
	s_set_vgpr_msb 0                        ;  msbs: dst=0 src0=0 src1=0 src2=0
	v_add3_u32 v97, v97, v99, v98
	s_set_vgpr_msb 64                       ;  msbs: dst=1 src0=0 src1=0 src2=0
	v_bfe_u32 v107 /*v363*/, v110, 8, 4
	s_set_vgpr_msb 5                        ;  msbs: dst=0 src0=1 src1=1 src2=0
	v_mul_i32_i24_e32 v98, v106 /*v362*/, v46 /*v302*/
	s_set_vgpr_msb 64                       ;  msbs: dst=1 src0=0 src1=0 src2=0
	v_bfe_u32 v108 /*v364*/, v110, 16, 4
	v_bfe_u32 v109 /*v365*/, v110, 24, 4
	s_set_vgpr_msb 0                        ;  msbs: dst=0 src0=0 src1=0 src2=0
	v_add3_u32 v97, v97, v100, v101
	s_set_vgpr_msb 5                        ;  msbs: dst=0 src0=1 src1=1 src2=0
	v_mul_i32_i24_e32 v99, v107 /*v363*/, v47 /*v303*/
	s_set_vgpr_msb 64                       ;  msbs: dst=1 src0=0 src1=0 src2=0
	v_bfe_u32 v110 /*v366*/, v111, 8, 4
	s_set_vgpr_msb 5                        ;  msbs: dst=0 src0=1 src1=1 src2=0
	v_mul_i32_i24_e32 v100, v108 /*v364*/, v48 /*v304*/
	v_mul_i32_i24_e32 v101, v109 /*v365*/, v49 /*v305*/
	s_set_vgpr_msb 64                       ;  msbs: dst=1 src0=0 src1=0 src2=0
	v_dual_lshrrev_b32 v118 /*v374*/, 28, v110 :: v_dual_bitop2_b32 v111 /*v367*/, 15, v111 bitop3:0x40
	s_set_vgpr_msb 0                        ;  msbs: dst=0 src0=0 src1=0 src2=0
	v_add3_u32 v97, v97, v99, v98
	s_set_vgpr_msb 5                        ;  msbs: dst=0 src0=1 src1=1 src2=0
	v_mul_i32_i24_e32 v99, v52 /*v308*/, v110 /*v366*/
	s_set_vgpr_msb 64                       ;  msbs: dst=1 src0=0 src1=0 src2=0
	v_bfe_u32 v112 /*v368*/, v111, 24, 4
	s_set_vgpr_msb 5                        ;  msbs: dst=0 src0=1 src1=1 src2=0
	v_mul_i32_i24_e32 v98, v51 /*v307*/, v111 /*v367*/
	s_set_vgpr_msb 64                       ;  msbs: dst=1 src0=0 src1=0 src2=0
	v_bfe_u32 v113 /*v369*/, v111, 16, 4
	s_set_vgpr_msb 0                        ;  msbs: dst=0 src0=0 src1=0 src2=0
	v_add3_u32 v97, v97, v100, v101
	s_set_vgpr_msb 64                       ;  msbs: dst=1 src0=0 src1=0 src2=0
	v_bfe_i32 v55 /*v311*/, v102, 0, 8
	v_bfe_i32 v57 /*v313*/, v102, 8, 8
	s_set_vgpr_msb 5                        ;  msbs: dst=0 src0=1 src1=1 src2=0
	v_mul_i32_i24_e32 v100, v54 /*v310*/, v112 /*v368*/
	v_mul_i32_i24_e32 v101, v53 /*v309*/, v113 /*v369*/
	s_set_vgpr_msb 0                        ;  msbs: dst=0 src0=0 src1=0 src2=0
	v_add3_u32 v97, v97, v99, v98
	s_wait_dscnt 0x0
	s_set_vgpr_msb 64                       ;  msbs: dst=1 src0=0 src1=0 src2=0
	v_bfe_u32 v114 /*v370*/, v112, 8, 4
	v_dual_lshrrev_b32 v119 /*v375*/, 28, v111 :: v_dual_bitop2_b32 v121 /*v377*/, 15, v112 bitop3:0x40
	v_bfe_i32 v59 /*v315*/, v102, 16, 8
	s_set_vgpr_msb 0                        ;  msbs: dst=0 src0=0 src1=0 src2=0
	v_add3_u32 v97, v97, v101, v100
	s_set_vgpr_msb 5                        ;  msbs: dst=0 src0=1 src1=1 src2=0
	v_mul_i32_i24_e32 v98, v57 /*v313*/, v114 /*v370*/
	v_mul_i32_i24_e32 v96, v55 /*v311*/, v121 /*v377*/
	s_set_vgpr_msb 64                       ;  msbs: dst=1 src0=0 src1=0 src2=0
	v_bfe_u32 v122 /*v378*/, v112, 24, 4
	v_bfe_u32 v125 /*v381*/, v112, 16, 4
	v_bfe_i32 v58 /*v314*/, v103, 0, 8
	v_bfe_i32 v56 /*v312*/, v103, 8, 8
	s_set_vgpr_msb 0                        ;  msbs: dst=0 src0=0 src1=0 src2=0
	v_add3_u32 v96, v97, v98, v96
	s_set_vgpr_msb 5                        ;  msbs: dst=0 src0=1 src1=1 src2=0
	v_mul_i32_i24_e32 v99, v60 /*v316*/, v122 /*v378*/
	v_mul_i32_i24_e32 v100, v59 /*v315*/, v125 /*v381*/
	s_set_vgpr_msb 64                       ;  msbs: dst=1 src0=0 src1=0 src2=0
	v_dual_lshrrev_b32 v120 /*v376*/, 28, v112 :: v_dual_bitop2_b32 v128 /*v384*/, 15, v113 bitop3:0x40
	v_bfe_u32 v129 /*v385*/, v113, 8, 4
	v_dual_ashrrev_i32 v162 /*v418*/, 24, v104 :: v_dual_ashrrev_i32 v160 /*v416*/, 24, v105
	s_set_vgpr_msb 0                        ;  msbs: dst=0 src0=0 src1=0 src2=0
	v_add3_u32 v96, v96, v100, v99
	s_set_vgpr_msb 5                        ;  msbs: dst=0 src0=1 src1=1 src2=0
	v_mul_i32_i24_e32 v97, v128 /*v384*/, v58 /*v314*/
	v_mul_i32_i24_e32 v98, v129 /*v385*/, v56 /*v312*/
	s_set_vgpr_msb 64                       ;  msbs: dst=1 src0=0 src1=0 src2=0
	v_bfe_i32 v135 /*v391*/, v105, 0, 8
	v_bfe_i32 v136 /*v392*/, v105, 8, 8
	;; [unrolled: 1-line block ×3, first 2 shown]
	s_set_vgpr_msb 0                        ;  msbs: dst=0 src0=0 src1=0 src2=0
	v_add_nc_u32_e32 v99, s16, v152
	s_set_vgpr_msb 64                       ;  msbs: dst=1 src0=0 src1=0 src2=0
	v_add3_u32 v169 /*v425*/, v96, v98, v97
	s_set_vgpr_msb 0                        ;  msbs: dst=0 src0=0 src1=0 src2=0
	ds_load_u16 v96, v94
	ds_load_u16 v94, v94 offset:8
	s_set_vgpr_msb 64                       ;  msbs: dst=1 src0=0 src1=0 src2=0
	v_bfe_i32 v28 /*v284*/, v103, 16, 8
	s_set_vgpr_msb 0                        ;  msbs: dst=0 src0=0 src1=0 src2=0
	v_lshrrev_b32_e32 v103, 28, v113
	s_set_vgpr_msb 64                       ;  msbs: dst=1 src0=0 src1=0 src2=0
	v_bfe_i32 v134 /*v390*/, v104, 0, 8
	v_bfe_i32 v133 /*v389*/, v104, 8, 8
	;; [unrolled: 1-line block ×6, first 2 shown]
	v_bfe_u32 v130 /*v386*/, v113, 16, 4
	v_bfe_u32 v131 /*v387*/, v113, 24, 4
	;; [unrolled: 1-line block ×5, first 2 shown]
	s_set_vgpr_msb 0x45                     ;  msbs: dst=1 src0=1 src1=1 src2=0
	v_mul_i32_i24_e32 v167 /*v423*/, v130 /*v386*/, v28 /*v284*/
	s_set_vgpr_msb 0x41                     ;  msbs: dst=1 src0=1 src1=0 src2=0
	v_mul_i32_i24_e32 v168 /*v424*/, v131 /*v387*/, v108
	s_set_vgpr_msb 0x45                     ;  msbs: dst=1 src0=1 src1=1 src2=0
	v_mul_i32_i24_e32 v164 /*v420*/, v124 /*v380*/, v27 /*v283*/
	v_mul_i32_i24_e32 v165 /*v421*/, v126 /*v382*/, v26 /*v282*/
	s_set_vgpr_msb 0x41                     ;  msbs: dst=1 src0=1 src1=0 src2=0
	v_mul_i32_i24_e32 v163 /*v419*/, v127 /*v383*/, v106
	s_wait_dscnt 0x1
	s_set_vgpr_msb 0                        ;  msbs: dst=0 src0=0 src1=0 src2=0
	v_lshrrev_b16 v97, 8, v96
	v_and_b32_e32 v105, 0xff, v96
	v_lshrrev_b32_e32 v96, 4, v116
	s_wait_dscnt 0x0
	v_cvt_f32_ubyte0_e32 v98, v94
	v_cvt_f32_ubyte1_e32 v100, v94
	v_and_b32_e32 v101, 0xffff, v97
	v_add3_u32 v94, s17, v156, v145
	v_lshrrev_b16 v96, 8, v96
	s_set_vgpr_msb 1                        ;  msbs: dst=0 src0=1 src1=0 src2=0
	v_mul_i32_i24_e32 v56, v145 /*v401*/, v103
	s_set_vgpr_msb 0                        ;  msbs: dst=0 src0=0 src1=0 src2=0
	ds_load_2addr_b32 v[158:159], v99 offset0:2 offset1:3
	ds_load_2addr_b32 v[160:161], v99 offset0:4 offset1:5
	;; [unrolled: 1-line block ×3, first 2 shown]
	s_set_vgpr_msb 64                       ;  msbs: dst=1 src0=0 src1=0 src2=0
	v_and_b32_e32 v132 /*v388*/, 15, v96
	s_set_vgpr_msb 0                        ;  msbs: dst=0 src0=0 src1=0 src2=0
	v_lshrrev_b32_e32 v96, 4, v117
	s_delay_alu instid0(VALU_DEP_1) | instskip(SKIP_1) | instid1(VALU_DEP_1)
	v_lshrrev_b16 v96, 8, v96
	s_set_vgpr_msb 64                       ;  msbs: dst=1 src0=0 src1=0 src2=0
	v_and_b32_e32 v174 /*v430*/, 15, v96
	s_set_vgpr_msb 0                        ;  msbs: dst=0 src0=0 src1=0 src2=0
	v_lshrrev_b32_e32 v96, 4, v114
	s_delay_alu instid0(VALU_DEP_1)
	v_lshrrev_b16 v96, 8, v96
	s_wait_dscnt 0x2
	v_and_b32_e32 v227, 15, v158
	v_bfe_u32 v228, v158, 8, 4
	v_bfe_u32 v229, v158, 16, 4
	;; [unrolled: 1-line block ×3, first 2 shown]
	s_set_vgpr_msb 64                       ;  msbs: dst=1 src0=0 src1=0 src2=0
	v_dual_lshrrev_b32 v10 /*v266*/, 28, v159 :: v_dual_bitop2_b32 v173 /*v429*/, 15, v96 bitop3:0x40
	s_set_vgpr_msb 0                        ;  msbs: dst=0 src0=0 src1=0 src2=0
	v_lshrrev_b32_e32 v96, 4, v115
	v_and_b32_e32 v231, 15, v159
	v_bfe_u32 v232, v159, 8, 4
	v_bfe_u32 v233, v159, 16, 4
	;; [unrolled: 1-line block ×3, first 2 shown]
	v_lshrrev_b16 v96, 8, v96
	s_wait_dscnt 0x1
	v_and_b32_e32 v235, 15, v160
	v_bfe_u32 v236, v160, 8, 4
	v_bfe_u32 v237, v160, 16, 4
	;; [unrolled: 1-line block ×3, first 2 shown]
	s_set_vgpr_msb 64                       ;  msbs: dst=1 src0=0 src1=0 src2=0
	v_dual_lshrrev_b32 v17 /*v273*/, 28, v161 :: v_dual_bitop2_b32 v172 /*v428*/, 15, v96 bitop3:0x40
	s_set_vgpr_msb 0                        ;  msbs: dst=0 src0=0 src1=0 src2=0
	v_lshrrev_b32_e32 v96, 4, v110
	v_bfe_u32 v239, v161, 8, 4
	v_and_b32_e32 v240, 15, v161
	v_bfe_u32 v241, v161, 24, 4
	v_bfe_u32 v242, v161, 16, 4
	v_lshrrev_b16 v96, 8, v96
	s_wait_dscnt 0x0
	v_bfe_u32 v243, v162, 8, 4
	v_and_b32_e32 v244, 15, v162
	v_bfe_u32 v245, v162, 24, 4
	v_bfe_u32 v247, v162, 16, 4
	s_set_vgpr_msb 64                       ;  msbs: dst=1 src0=0 src1=0 src2=0
	v_dual_lshrrev_b32 v21 /*v277*/, 28, v162 :: v_dual_bitop2_b32 v171 /*v427*/, 15, v96 bitop3:0x40
	s_set_vgpr_msb 0                        ;  msbs: dst=0 src0=0 src1=0 src2=0
	v_lshrrev_b32_e32 v96, 4, v111
	v_and_b32_e32 v251, 15, v163
	v_bfe_u32 v253, v163, 8, 4
	s_set_vgpr_msb 64                       ;  msbs: dst=1 src0=0 src1=0 src2=0
	v_bfe_u32 v4 /*v260*/, v158, 4, 4
	v_bfe_u32 v5 /*v261*/, v158, 12, 4
	s_set_vgpr_msb 0                        ;  msbs: dst=0 src0=0 src1=0 src2=0
	v_lshrrev_b16 v96, 8, v96
	s_set_vgpr_msb 64                       ;  msbs: dst=1 src0=0 src1=0 src2=0
	v_bfe_u32 v2 /*v258*/, v158, 20, 4
	v_lshrrev_b32_e32 v7 /*v263*/, 28, v158
	s_set_vgpr_msb 5                        ;  msbs: dst=0 src0=1 src1=1 src2=0
	v_mul_i32_i24_e32 v120, v4 /*v260*/, v137 /*v393*/
	v_mul_i32_i24_e32 v122, v5 /*v261*/, v138 /*v394*/
	s_set_vgpr_msb 64                       ;  msbs: dst=1 src0=0 src1=0 src2=0
	v_and_b32_e32 v170 /*v426*/, 15, v96
	s_set_vgpr_msb 0                        ;  msbs: dst=0 src0=0 src1=0 src2=0
	v_lshrrev_b32_e32 v96, 4, v112
	s_set_vgpr_msb 5                        ;  msbs: dst=0 src0=1 src1=1 src2=0
	v_mul_i32_i24_e32 v124, v2 /*v258*/, v157 /*v413*/
	v_mul_i32_i24_e32 v157, v7 /*v263*/, v158 /*v414*/
	s_set_vgpr_msb 64                       ;  msbs: dst=1 src0=0 src1=0 src2=0
	v_bfe_u32 v8 /*v264*/, v159, 4, 4
	v_bfe_u32 v9 /*v265*/, v159, 12, 4
	s_set_vgpr_msb 0                        ;  msbs: dst=0 src0=0 src1=0 src2=0
	v_lshrrev_b16 v96, 8, v96
	s_set_vgpr_msb 64                       ;  msbs: dst=1 src0=0 src1=0 src2=0
	v_bfe_u32 v6 /*v262*/, v159, 20, 4
	s_set_vgpr_msb 5                        ;  msbs: dst=0 src0=1 src1=1 src2=0
	v_mul_i32_i24_e32 v159, v10 /*v266*/, v156 /*v412*/
	v_mul_i32_i24_e32 v158, v8 /*v264*/, v140 /*v396*/
	;; [unrolled: 1-line block ×3, first 2 shown]
	s_set_vgpr_msb 64                       ;  msbs: dst=1 src0=0 src1=0 src2=0
	v_and_b32_e32 v166 /*v422*/, 15, v96
	s_set_vgpr_msb 0                        ;  msbs: dst=0 src0=0 src1=0 src2=0
	ds_load_2addr_b32 v[96:97], v99 offset1:1
	s_set_vgpr_msb 1                        ;  msbs: dst=0 src0=1 src1=0 src2=0
	v_mul_i32_i24_e32 v99, v55 /*v311*/, v244
	s_set_vgpr_msb 5                        ;  msbs: dst=0 src0=1 src1=1 src2=0
	v_mul_i32_i24_e32 v165, v6 /*v262*/, v155 /*v411*/
	s_set_vgpr_msb 64                       ;  msbs: dst=1 src0=0 src1=0 src2=0
	v_bfe_u32 v11 /*v267*/, v160, 4, 4
	v_bfe_u32 v12 /*v268*/, v160, 12, 4
	v_lshrrev_b32_e32 v13 /*v269*/, 28, v160
	v_bfe_u32 v14 /*v270*/, v160, 20, 4
	v_bfe_u32 v15 /*v271*/, v161, 4, 4
	s_set_vgpr_msb 5                        ;  msbs: dst=0 src0=1 src1=1 src2=0
	v_mul_i32_i24_e32 v166, v11 /*v267*/, v141 /*v397*/
	v_mul_i32_i24_e32 v167, v12 /*v268*/, v142 /*v398*/
	v_mul_i32_i24_e32 v160, v153 /*v409*/, v13 /*v269*/
	v_mul_i32_i24_e32 v168, v152 /*v408*/, v14 /*v270*/
	s_set_vgpr_msb 64                       ;  msbs: dst=1 src0=0 src1=0 src2=0
	v_bfe_u32 v16 /*v272*/, v161, 12, 4
	s_set_vgpr_msb 5                        ;  msbs: dst=0 src0=1 src1=1 src2=0
	v_mul_i32_i24_e32 v170, v143 /*v399*/, v15 /*v271*/
	s_set_vgpr_msb 64                       ;  msbs: dst=1 src0=0 src1=0 src2=0
	v_bfe_u32 v18 /*v274*/, v161, 20, 4
	s_set_vgpr_msb 5                        ;  msbs: dst=0 src0=1 src1=1 src2=0
	v_mul_i32_i24_e32 v161, v151 /*v407*/, v17 /*v273*/
	;; [unrolled: 4-line block ×4, first 2 shown]
	s_wait_dscnt 0x0
	s_set_vgpr_msb 0                        ;  msbs: dst=0 src0=0 src1=0 src2=0
	v_dual_lshrrev_b32 v252, 28, v96 :: v_dual_bitop2_b32 v220, 15, v96 bitop3:0x40
	v_bfe_u32 v219, v96, 8, 4
	v_bfe_u32 v221, v96, 16, 4
	;; [unrolled: 1-line block ×3, first 2 shown]
	s_set_vgpr_msb 4                        ;  msbs: dst=0 src0=0 src1=1 src2=0
	v_mul_i32_i24_e32 v102, v220, v29 /*v285*/
	s_set_vgpr_msb 0                        ;  msbs: dst=0 src0=0 src1=0 src2=0
	v_and_b32_e32 v223, 15, v97
	v_bfe_u32 v224, v97, 8, 4
	s_set_vgpr_msb 4                        ;  msbs: dst=0 src0=0 src1=1 src2=0
	v_mul_i32_i24_e32 v104, v221, v32 /*v288*/
	v_mul_i32_i24_e32 v107, v222, v50 /*v306*/
	v_mad_i32_i24 v102, v219, v33 /*v289*/, v102
	v_bfe_u32 v225, v97, 16, 4
	v_bfe_u32 v226, v97, 24, 4
	;; [unrolled: 1-line block ×4, first 2 shown]
	s_set_vgpr_msb 0                        ;  msbs: dst=0 src0=0 src1=0 src2=0
	v_add3_u32 v102, v102, v104, v107
	s_set_vgpr_msb 4                        ;  msbs: dst=0 src0=0 src1=1 src2=0
	v_mul_i32_i24_e32 v104, v223, v34 /*v290*/
	v_mul_i32_i24_e32 v107, v224, v35 /*v291*/
	;; [unrolled: 1-line block ×4, first 2 shown]
	v_bfe_u32 v248, v96, 12, 4
	v_mul_i32_i24_e32 v96, v252, v162 /*v418*/
	s_set_vgpr_msb 0                        ;  msbs: dst=0 src0=0 src1=0 src2=0
	v_add3_u32 v102, v102, v107, v104
	s_set_vgpr_msb 4                        ;  msbs: dst=0 src0=0 src1=1 src2=0
	v_mul_i32_i24_e32 v104, v227, v38 /*v294*/
	v_mul_i32_i24_e32 v107, v228, v39 /*v295*/
	v_bfe_u32 v255, v97, 4, 4
	s_set_vgpr_msb 64                       ;  msbs: dst=1 src0=0 src1=0 src2=0
	v_bfe_u32 v1 /*v257*/, v97, 12, 4
	s_set_vgpr_msb 0                        ;  msbs: dst=0 src0=0 src1=0 src2=0
	v_add3_u32 v102, v102, v109, v113
	s_set_vgpr_msb 4                        ;  msbs: dst=0 src0=0 src1=1 src2=0
	v_mul_i32_i24_e32 v109, v229, v40 /*v296*/
	v_mul_i32_i24_e32 v113, v230, v41 /*v297*/
	v_bfe_u32 v250, v97, 20, 4
	s_set_vgpr_msb 64                       ;  msbs: dst=1 src0=0 src1=0 src2=0
	v_lshrrev_b32_e32 v3 /*v259*/, 28, v97
	s_set_vgpr_msb 0                        ;  msbs: dst=0 src0=0 src1=0 src2=0
	v_add3_u32 v102, v102, v107, v104
	s_set_vgpr_msb 4                        ;  msbs: dst=0 src0=0 src1=1 src2=0
	v_mul_i32_i24_e32 v104, v231, v42 /*v298*/
	v_mul_i32_i24_e32 v107, v232, v43 /*v299*/
	s_set_vgpr_msb 5                        ;  msbs: dst=0 src0=1 src1=1 src2=0
	v_mul_i32_i24_e32 v172, v147 /*v403*/, v20 /*v276*/
	v_mul_i32_i24_e32 v97, v3 /*v259*/, v160 /*v416*/
	s_set_vgpr_msb 0                        ;  msbs: dst=0 src0=0 src1=0 src2=0
	v_add3_u32 v102, v102, v109, v113
	s_set_vgpr_msb 4                        ;  msbs: dst=0 src0=0 src1=1 src2=0
	v_mul_i32_i24_e32 v109, v233, v44 /*v300*/
	v_mul_i32_i24_e32 v113, v234, v45 /*v301*/
	s_set_vgpr_msb 5                        ;  msbs: dst=0 src0=1 src1=1 src2=0
	v_mul_i32_i24_e32 v173, v146 /*v402*/, v19 /*v275*/
	s_set_vgpr_msb 64                       ;  msbs: dst=1 src0=0 src1=0 src2=0
	v_bfe_u32 v22 /*v278*/, v162, 20, 4
	s_set_vgpr_msb 0                        ;  msbs: dst=0 src0=0 src1=0 src2=0
	v_add3_u32 v102, v102, v107, v104
	s_set_vgpr_msb 4                        ;  msbs: dst=0 src0=0 src1=1 src2=0
	v_mul_i32_i24_e32 v104, v235, v46 /*v302*/
	v_mul_i32_i24_e32 v107, v236, v47 /*v303*/
	s_set_vgpr_msb 5                        ;  msbs: dst=0 src0=1 src1=1 src2=0
	v_mul_i32_i24_e32 v162, v149 /*v405*/, v21 /*v277*/
	v_mul_i32_i24_e32 v174, v148 /*v404*/, v22 /*v278*/
	s_set_vgpr_msb 0                        ;  msbs: dst=0 src0=0 src1=0 src2=0
	v_add3_u32 v102, v102, v109, v113
	s_set_vgpr_msb 4                        ;  msbs: dst=0 src0=0 src1=1 src2=0
	v_mul_i32_i24_e32 v109, v237, v48 /*v304*/
	v_mul_i32_i24_e32 v113, v238, v49 /*v305*/
	s_set_vgpr_msb 64                       ;  msbs: dst=1 src0=0 src1=0 src2=0
	v_bfe_u32 v23 /*v279*/, v163, 4, 4
	v_bfe_u32 v24 /*v280*/, v163, 12, 4
	s_set_vgpr_msb 0                        ;  msbs: dst=0 src0=0 src1=0 src2=0
	v_add3_u32 v102, v102, v107, v104
	s_set_vgpr_msb 1                        ;  msbs: dst=0 src0=1 src1=0 src2=0
	v_mul_i32_i24_e32 v104, v51 /*v307*/, v240
	v_mul_i32_i24_e32 v107, v52 /*v308*/, v239
	s_set_vgpr_msb 5                        ;  msbs: dst=0 src0=1 src1=1 src2=0
	v_mul_i32_i24_e32 v175, v23 /*v279*/, v27 /*v283*/
	v_mul_i32_i24_e32 v176, v24 /*v280*/, v26 /*v282*/
	s_set_vgpr_msb 0                        ;  msbs: dst=0 src0=0 src1=0 src2=0
	v_add3_u32 v102, v102, v109, v113
	s_set_vgpr_msb 1                        ;  msbs: dst=0 src0=1 src1=0 src2=0
	v_mul_i32_i24_e32 v109, v54 /*v310*/, v241
	v_mul_i32_i24_e32 v113, v53 /*v309*/, v242
	s_set_vgpr_msb 0                        ;  msbs: dst=0 src0=0 src1=0 src2=0
	v_bfe_u32 v254, v163, 16, 4
	s_set_vgpr_msb 64                       ;  msbs: dst=1 src0=0 src1=0 src2=0
	v_bfe_u32 v0 /*v256*/, v163, 24, 4
	s_set_vgpr_msb 0                        ;  msbs: dst=0 src0=0 src1=0 src2=0
	v_add3_u32 v102, v102, v107, v104
	s_set_vgpr_msb 1                        ;  msbs: dst=0 src0=1 src1=0 src2=0
	v_mul_i32_i24_e32 v104, v57 /*v313*/, v243
	v_mul_i32_i24_e32 v107, v60 /*v316*/, v245
	s_set_vgpr_msb 64                       ;  msbs: dst=1 src0=0 src1=0 src2=0
	v_bfe_u32 v25 /*v281*/, v163, 20, 4
	s_set_vgpr_msb 0x41                     ;  msbs: dst=1 src0=1 src1=0 src2=0
	v_mul_i32_i24_e32 v176 /*v432*/, v0 /*v256*/, v108
	s_set_vgpr_msb 0                        ;  msbs: dst=0 src0=0 src1=0 src2=0
	v_add3_u32 v102, v102, v113, v109
	s_set_vgpr_msb 1                        ;  msbs: dst=0 src0=1 src1=0 src2=0
	v_mul_i32_i24_e32 v109, v59 /*v315*/, v247
	s_set_vgpr_msb 4                        ;  msbs: dst=0 src0=0 src1=1 src2=0
	v_mul_i32_i24_e32 v113, v250, v159 /*v415*/
	s_set_vgpr_msb 0x41                     ;  msbs: dst=1 src0=1 src1=0 src2=0
	v_mul_i32_i24_e32 v181 /*v437*/, v25 /*v281*/, v106
	s_set_vgpr_msb 0x44                     ;  msbs: dst=1 src0=0 src1=1 src2=0
	v_mul_i32_i24_e32 v175 /*v431*/, v254, v28 /*v284*/
	s_set_vgpr_msb 0                        ;  msbs: dst=0 src0=0 src1=0 src2=0
	v_add3_u32 v99, v102, v104, v99
	s_set_vgpr_msb 4                        ;  msbs: dst=0 src0=0 src1=1 src2=0
	v_mul_i32_i24_e32 v102, v251, v58 /*v314*/
	v_mul_i32_i24_e32 v104, v253, v56 /*v312*/
	s_set_vgpr_msb 0                        ;  msbs: dst=0 src0=0 src1=0 src2=0
	v_add3_u32 v99, v99, v109, v107
	s_set_vgpr_msb 4                        ;  msbs: dst=0 src0=0 src1=1 src2=0
	v_mul_i32_i24_e32 v107, v246, v161 /*v417*/
	s_set_vgpr_msb 0                        ;  msbs: dst=0 src0=0 src1=0 src2=0
	v_lshrrev_b32_e32 v109, 28, v163
	s_set_vgpr_msb 64                       ;  msbs: dst=1 src0=0 src1=0 src2=0
	v_add3_u32 v177 /*v433*/, v99, v104, v102
	s_set_vgpr_msb 0                        ;  msbs: dst=0 src0=0 src1=0 src2=0
	ds_load_u16 v99, v94
	ds_load_u16 v94, v94 offset:8
	s_wait_dscnt 0x1
	v_lshrrev_b16 v104, 8, v99
	v_and_b32_e32 v218, 0xff, v99
	s_set_vgpr_msb 4                        ;  msbs: dst=0 src0=0 src1=1 src2=0
	v_mul_i32_i24_e32 v99, v249, v134 /*v390*/
	s_wait_dscnt 0x0
	v_cvt_f32_ubyte0_e32 v102, v94
	s_delay_alu instid0(VALU_DEP_2) | instskip(SKIP_1) | instid1(VALU_DEP_1)
	v_mad_i32_i24 v99, v248, v133 /*v389*/, v99
	s_set_vgpr_msb 0                        ;  msbs: dst=0 src0=0 src1=0 src2=0
	v_add3_u32 v96, v99, v107, v96
	s_set_vgpr_msb 4                        ;  msbs: dst=0 src0=0 src1=1 src2=0
	v_mul_i32_i24_e32 v99, v255, v135 /*v391*/
	s_set_vgpr_msb 5                        ;  msbs: dst=0 src0=1 src1=1 src2=0
	v_mul_i32_i24_e32 v107, v1 /*v257*/, v136 /*v392*/
	s_set_vgpr_msb 0                        ;  msbs: dst=0 src0=0 src1=0 src2=0
	s_delay_alu instid0(VALU_DEP_1) | instskip(SKIP_1) | instid1(VALU_DEP_2)
	v_add3_u32 v96, v96, v99, v107
	v_add_nc_u32_e32 v99, s16, v153
	v_add3_u32 v96, v96, v113, v97
	ds_load_2addr_b32 v[202:203], v99 offset0:2 offset1:3
	ds_load_2addr_b32 v[210:211], v99 offset0:4 offset1:5
	s_set_vgpr_msb 64                       ;  msbs: dst=1 src0=0 src1=0 src2=0
	ds_load_2addr_b32 v[30:31] /*v[286:287]*/, v99 offset0:6 offset1:7
	s_set_vgpr_msb 0                        ;  msbs: dst=0 src0=0 src1=0 src2=0
	v_add3_u32 v96, v96, v120, v122
	s_delay_alu instid0(VALU_DEP_1) | instskip(SKIP_3) | instid1(VALU_DEP_4)
	v_add3_u32 v96, v96, v124, v157
	v_and_b32_e32 v157, 0xffff, v104
	v_cvt_f32_ubyte1_e32 v104, v94
	v_add3_u32 v94, s17, v149, v146
	v_add3_u32 v96, v96, v158, v164
	s_delay_alu instid0(VALU_DEP_1)
	v_add3_u32 v96, v96, v165, v159
	s_wait_dscnt 0x2
	v_bfe_u32 v194, v202, 20, 4
	v_bfe_u32 v196, v202, 4, 4
	;; [unrolled: 1-line block ×3, first 2 shown]
	s_wait_dscnt 0x1
	v_bfe_u32 v178, v211, 16, 4
	v_add3_u32 v96, v96, v166, v167
	v_bfe_u32 v166, v202, 24, 4
	s_wait_dscnt 0x0
	s_set_vgpr_msb 1                        ;  msbs: dst=0 src0=1 src1=0 src2=0
	v_bfe_u32 v183, v30 /*v286*/, 16, 4
	s_set_vgpr_msb 4                        ;  msbs: dst=0 src0=0 src1=1 src2=0
	v_and_b32_e32 v187, 15, v31 /*v287*/
	s_set_vgpr_msb 1                        ;  msbs: dst=0 src0=1 src1=0 src2=0
	v_mul_i32_i24_e32 v181, v53 /*v309*/, v178
	s_set_vgpr_msb 0                        ;  msbs: dst=0 src0=0 src1=0 src2=0
	v_add3_u32 v96, v96, v168, v160
	s_set_vgpr_msb 1                        ;  msbs: dst=0 src0=1 src1=0 src2=0
	v_bfe_u32 v189, v31 /*v287*/, 8, 4
	v_lshrrev_b32_e32 v199, 28, v202
	v_mul_i32_i24_e32 v184, v59 /*v315*/, v183
	s_set_vgpr_msb 0x44                     ;  msbs: dst=1 src0=0 src1=1 src2=0
	v_mul_i32_i24_e32 v65 /*v321*/, v196, v137 /*v393*/
	s_set_vgpr_msb 0                        ;  msbs: dst=0 src0=0 src1=0 src2=0
	v_add3_u32 v96, v96, v170, v169
	s_set_vgpr_msb 4                        ;  msbs: dst=0 src0=0 src1=1 src2=0
	v_mul_i32_i24_e32 v169, v166, v41 /*v297*/
	v_bfe_u32 v170, v203, 24, 4
	s_set_vgpr_msb 0x44                     ;  msbs: dst=1 src0=0 src1=1 src2=0
	v_mul_i32_i24_e32 v66 /*v322*/, v197, v138 /*v394*/
	v_mul_i32_i24_e32 v67 /*v323*/, v194, v157 /*v413*/
	s_set_vgpr_msb 0                        ;  msbs: dst=0 src0=0 src1=0 src2=0
	v_add3_u32 v96, v96, v171, v161
	s_set_vgpr_msb 0x44                     ;  msbs: dst=1 src0=0 src1=1 src2=0
	v_mul_i32_i24_e32 v68 /*v324*/, v199, v158 /*v414*/
	s_set_vgpr_msb 0                        ;  msbs: dst=0 src0=0 src1=0 src2=0
	v_bfe_u32 v200, v203, 4, 4
	v_bfe_u32 v201, v203, 12, 4
	;; [unrolled: 1-line block ×3, first 2 shown]
	v_add3_u32 v96, v96, v173, v172
	s_set_vgpr_msb 4                        ;  msbs: dst=0 src0=0 src1=1 src2=0
	v_mul_i32_i24_e32 v173, v170, v45 /*v301*/
	s_set_vgpr_msb 0x44                     ;  msbs: dst=1 src0=0 src1=1 src2=0
	v_mul_i32_i24_e32 v69 /*v325*/, v200, v140 /*v396*/
	v_mul_i32_i24_e32 v70 /*v326*/, v201, v154 /*v410*/
	;; [unrolled: 1-line block ×3, first 2 shown]
	s_set_vgpr_msb 0                        ;  msbs: dst=0 src0=0 src1=0 src2=0
	v_add3_u32 v96, v96, v174, v162
	v_bfe_u32 v174, v210, 24, 4
	v_bfe_u32 v204, v210, 12, 4
	;; [unrolled: 1-line block ×4, first 2 shown]
	s_set_vgpr_msb 64                       ;  msbs: dst=1 src0=0 src1=0 src2=0
	v_add3_u32 v182 /*v438*/, v96, v175, v176
	s_set_vgpr_msb 0                        ;  msbs: dst=0 src0=0 src1=0 src2=0
	ds_load_2addr_b32 v[96:97], v99 offset1:1
	v_lshrrev_b32_e32 v205, 28, v210
	s_set_vgpr_msb 4                        ;  msbs: dst=0 src0=0 src1=1 src2=0
	v_mul_i32_i24_e32 v177, v174, v49 /*v305*/
	s_set_vgpr_msb 0x44                     ;  msbs: dst=1 src0=0 src1=1 src2=0
	v_mul_i32_i24_e32 v74 /*v330*/, v204, v142 /*v398*/
	s_set_vgpr_msb 0x41                     ;  msbs: dst=1 src0=1 src1=0 src2=0
	v_mul_i32_i24_e32 v76 /*v332*/, v152 /*v408*/, v206
	s_set_vgpr_msb 0                        ;  msbs: dst=0 src0=0 src1=0 src2=0
	v_bfe_u32 v208, v211, 12, 4
	s_set_vgpr_msb 0x41                     ;  msbs: dst=1 src0=1 src1=0 src2=0
	v_mul_i32_i24_e32 v75 /*v331*/, v153 /*v409*/, v205
	v_mul_i32_i24_e32 v78 /*v334*/, v143 /*v399*/, v207
	s_set_vgpr_msb 1                        ;  msbs: dst=0 src0=1 src1=0 src2=0
	v_bfe_u32 v212, v30 /*v286*/, 12, 4
	v_bfe_u32 v214, v30 /*v286*/, 20, 4
	s_set_vgpr_msb 0x41                     ;  msbs: dst=1 src0=1 src1=0 src2=0
	v_mul_i32_i24_e32 v77 /*v333*/, v144 /*v400*/, v208
	s_set_vgpr_msb 1                        ;  msbs: dst=0 src0=1 src1=0 src2=0
	v_bfe_u32 v215, v31 /*v287*/, 4, 4
	v_bfe_u32 v216, v31 /*v287*/, 12, 4
	s_set_vgpr_msb 0x41                     ;  msbs: dst=1 src0=1 src1=0 src2=0
	v_mul_i32_i24_e32 v81 /*v337*/, v147 /*v403*/, v212
	v_mul_i32_i24_e32 v83 /*v339*/, v148 /*v404*/, v214
	s_set_vgpr_msb 1                        ;  msbs: dst=0 src0=1 src1=0 src2=0
	v_bfe_u32 v190, v31 /*v287*/, 16, 4
	v_lshrrev_b32_e32 v209, 28, v211
	s_set_vgpr_msb 0x44                     ;  msbs: dst=1 src0=0 src1=1 src2=0
	v_mul_i32_i24_e32 v84 /*v340*/, v215, v27 /*v283*/
	v_mul_i32_i24_e32 v85 /*v341*/, v216, v26 /*v282*/
	s_set_vgpr_msb 1                        ;  msbs: dst=0 src0=1 src1=0 src2=0
	v_bfe_u32 v192, v31 /*v287*/, 24, 4
	s_wait_dscnt 0x0
	v_dual_lshrrev_b32 v195, 28, v97 :: v_dual_bitop2_b32 v122, 15, v96 bitop3:0x40
	s_set_vgpr_msb 4                        ;  msbs: dst=0 src0=0 src1=1 src2=0
	v_bfe_u32 v120, v96, 8, 4
	v_bfe_u32 v124, v96, 16, 4
	;; [unrolled: 1-line block ×3, first 2 shown]
	v_mul_i32_i24_e32 v107, v122, v29 /*v285*/
	v_bfe_u32 v160, v97, 8, 4
	v_bfe_u32 v161, v97, 16, 4
	v_mul_i32_i24_e32 v113, v124, v32 /*v288*/
	v_mul_i32_i24_e32 v159, v158, v50 /*v306*/
	v_mad_i32_i24 v107, v120, v33 /*v289*/, v107
	v_mul_i32_i24_e32 v163, v160, v35 /*v291*/
	v_bfe_u32 v162, v97, 24, 4
	v_mul_i32_i24_e32 v164, v161, v36 /*v292*/
	v_bfe_u32 v185, v96, 4, 4
	s_set_vgpr_msb 0                        ;  msbs: dst=0 src0=0 src1=0 src2=0
	v_add3_u32 v107, v107, v113, v159
	v_and_b32_e32 v159, 15, v97
	s_set_vgpr_msb 4                        ;  msbs: dst=0 src0=0 src1=1 src2=0
	v_mul_i32_i24_e32 v165, v162, v37 /*v293*/
	s_set_vgpr_msb 0                        ;  msbs: dst=0 src0=0 src1=0 src2=0
	v_lshrrev_b32_e32 v188, 28, v96
	v_bfe_u32 v191, v97, 4, 4
	v_bfe_u32 v193, v97, 12, 4
	s_set_vgpr_msb 4                        ;  msbs: dst=0 src0=0 src1=1 src2=0
	v_mul_i32_i24_e32 v113, v159, v34 /*v290*/
	s_set_vgpr_msb 0x44                     ;  msbs: dst=1 src0=0 src1=1 src2=0
	v_mul_i32_i24_e32 v64 /*v320*/, v195, v160 /*v416*/
	s_set_vgpr_msb 0x41                     ;  msbs: dst=1 src0=1 src1=0 src2=0
	v_mul_i32_i24_e32 v79 /*v335*/, v151 /*v407*/, v209
	s_set_vgpr_msb 1                        ;  msbs: dst=0 src0=1 src1=0 src2=0
	v_bfe_u32 v217, v31 /*v287*/, 20, 4
	s_set_vgpr_msb 0x44                     ;  msbs: dst=1 src0=0 src1=1 src2=0
	v_mul_i32_i24_e32 v62 /*v318*/, v193, v136 /*v392*/
	s_set_vgpr_msb 0                        ;  msbs: dst=0 src0=0 src1=0 src2=0
	v_add3_u32 v107, v107, v163, v113
	v_and_b32_e32 v163, 15, v202
	s_set_vgpr_msb 64                       ;  msbs: dst=1 src0=0 src1=0 src2=0
	v_mul_i32_i24_e32 v179 /*v435*/, v192, v108
	v_mul_i32_i24_e32 v183 /*v439*/, v217, v106
	s_set_vgpr_msb 0x44                     ;  msbs: dst=1 src0=0 src1=1 src2=0
	v_mul_i32_i24_e32 v178 /*v434*/, v190, v28 /*v284*/
	s_set_vgpr_msb 0                        ;  msbs: dst=0 src0=0 src1=0 src2=0
	v_add3_u32 v107, v107, v164, v165
	v_bfe_u32 v164, v202, 8, 4
	v_bfe_u32 v165, v202, 16, 4
	v_lshrrev_b32_e32 v202, 28, v203
	s_set_vgpr_msb 4                        ;  msbs: dst=0 src0=0 src1=1 src2=0
	v_mul_i32_i24_e32 v113, v163, v38 /*v294*/
	v_lshrrev_b32_e32 v213, 28, v30 /*v286*/
	v_mul_i32_i24_e32 v167, v164, v39 /*v295*/
	v_mul_i32_i24_e32 v168, v165, v40 /*v296*/
	s_set_vgpr_msb 0x44                     ;  msbs: dst=1 src0=0 src1=1 src2=0
	v_mul_i32_i24_e32 v72 /*v328*/, v202, v156 /*v412*/
	s_set_vgpr_msb 0                        ;  msbs: dst=0 src0=0 src1=0 src2=0
	v_add3_u32 v107, v107, v167, v113
	v_and_b32_e32 v167, 15, v203
	s_delay_alu instid0(VALU_DEP_2) | instskip(SKIP_2) | instid1(VALU_DEP_3)
	v_add3_u32 v107, v107, v168, v169
	v_bfe_u32 v168, v203, 8, 4
	s_set_vgpr_msb 4                        ;  msbs: dst=0 src0=0 src1=1 src2=0
	v_mul_i32_i24_e32 v113, v167, v42 /*v298*/
	v_bfe_u32 v169, v203, 16, 4
	v_bfe_u32 v203, v210, 4, 4
	v_mul_i32_i24_e32 v171, v168, v43 /*v299*/
	s_delay_alu instid0(VALU_DEP_3) | instskip(SKIP_1) | instid1(VALU_DEP_3)
	v_mul_i32_i24_e32 v172, v169, v44 /*v300*/
	s_set_vgpr_msb 0x44                     ;  msbs: dst=1 src0=0 src1=1 src2=0
	v_mul_i32_i24_e32 v73 /*v329*/, v203, v141 /*v397*/
	s_set_vgpr_msb 0                        ;  msbs: dst=0 src0=0 src1=0 src2=0
	v_add3_u32 v107, v107, v171, v113
	v_and_b32_e32 v171, 15, v210
	s_delay_alu instid0(VALU_DEP_2) | instskip(SKIP_2) | instid1(VALU_DEP_3)
	v_add3_u32 v107, v107, v172, v173
	v_bfe_u32 v172, v210, 8, 4
	s_set_vgpr_msb 4                        ;  msbs: dst=0 src0=0 src1=1 src2=0
	v_mul_i32_i24_e32 v113, v171, v46 /*v302*/
	v_bfe_u32 v173, v210, 16, 4
	v_bfe_u32 v210, v211, 20, 4
	v_mul_i32_i24_e32 v175, v172, v47 /*v303*/
	s_delay_alu instid0(VALU_DEP_3) | instskip(SKIP_1) | instid1(VALU_DEP_3)
	v_mul_i32_i24_e32 v176, v173, v48 /*v304*/
	s_set_vgpr_msb 0x41                     ;  msbs: dst=1 src0=1 src1=0 src2=0
	v_mul_i32_i24_e32 v80 /*v336*/, v150 /*v406*/, v210
	s_set_vgpr_msb 0                        ;  msbs: dst=0 src0=0 src1=0 src2=0
	v_add3_u32 v107, v107, v175, v113
	v_bfe_u32 v175, v211, 8, 4
	s_delay_alu instid0(VALU_DEP_2) | instskip(SKIP_2) | instid1(VALU_DEP_3)
	v_add3_u32 v107, v107, v176, v177
	v_and_b32_e32 v176, 15, v211
	s_set_vgpr_msb 1                        ;  msbs: dst=0 src0=1 src1=0 src2=0
	v_mul_i32_i24_e32 v179, v52 /*v308*/, v175
	s_set_vgpr_msb 0                        ;  msbs: dst=0 src0=0 src1=0 src2=0
	v_bfe_u32 v177, v211, 24, 4
	s_set_vgpr_msb 1                        ;  msbs: dst=0 src0=1 src1=0 src2=0
	v_bfe_u32 v211, v30 /*v286*/, 4, 4
	v_mul_i32_i24_e32 v113, v51 /*v307*/, v176
	s_delay_alu instid0(VALU_DEP_3) | instskip(SKIP_1) | instid1(VALU_DEP_3)
	v_mul_i32_i24_e32 v180, v54 /*v310*/, v177
	s_set_vgpr_msb 0x41                     ;  msbs: dst=1 src0=1 src1=0 src2=0
	v_mul_i32_i24_e32 v82 /*v338*/, v146 /*v402*/, v211
	s_set_vgpr_msb 0                        ;  msbs: dst=0 src0=0 src1=0 src2=0
	v_add3_u32 v107, v107, v179, v113
	s_set_vgpr_msb 1                        ;  msbs: dst=0 src0=1 src1=0 src2=0
	v_bfe_u32 v179, v30 /*v286*/, 8, 4
	s_set_vgpr_msb 0                        ;  msbs: dst=0 src0=0 src1=0 src2=0
	s_delay_alu instid0(VALU_DEP_2)
	v_add3_u32 v107, v107, v181, v180
	s_set_vgpr_msb 4                        ;  msbs: dst=0 src0=0 src1=1 src2=0
	v_and_b32_e32 v180, 15, v30 /*v286*/
	s_set_vgpr_msb 1                        ;  msbs: dst=0 src0=1 src1=0 src2=0
	v_mul_i32_i24_e32 v113, v57 /*v313*/, v179
	v_bfe_u32 v181, v30 /*v286*/, 24, 4
	s_set_vgpr_msb 0x41                     ;  msbs: dst=1 src0=1 src1=0 src2=0
	v_mul_i32_i24_e32 v30 /*v286*/, v149 /*v405*/, v213
	s_set_vgpr_msb 1                        ;  msbs: dst=0 src0=1 src1=0 src2=0
	v_mul_i32_i24_e32 v99, v55 /*v311*/, v180
	v_mul_i32_i24_e32 v182, v60 /*v316*/, v181
	s_set_vgpr_msb 0                        ;  msbs: dst=0 src0=0 src1=0 src2=0
	s_delay_alu instid0(VALU_DEP_2)
	v_add3_u32 v99, v107, v113, v99
	s_set_vgpr_msb 4                        ;  msbs: dst=0 src0=0 src1=1 src2=0
	v_mul_i32_i24_e32 v107, v187, v58 /*v314*/
	v_mul_i32_i24_e32 v113, v189, v56 /*v312*/
	s_set_vgpr_msb 0                        ;  msbs: dst=0 src0=0 src1=0 src2=0
	v_add3_u32 v99, v99, v184, v182
	v_bfe_u32 v182, v96, 20, 4
	v_bfe_u32 v184, v96, 12, 4
	s_set_vgpr_msb 4                        ;  msbs: dst=0 src0=0 src1=1 src2=0
	v_mul_i32_i24_e32 v96, v188, v162 /*v418*/
	s_set_vgpr_msb 64                       ;  msbs: dst=1 src0=0 src1=0 src2=0
	v_add3_u32 v180 /*v436*/, v99, v113, v107
	s_set_vgpr_msb 4                        ;  msbs: dst=0 src0=0 src1=1 src2=0
	ds_load_u16 v99, v94
	ds_load_u16 v113, v94 offset:8
	v_mul_i32_i24_e32 v186, v182, v161 /*v417*/
	s_wait_dscnt 0x1
	s_set_vgpr_msb 64                       ;  msbs: dst=1 src0=0 src1=0 src2=0
	v_lshrrev_b16 v61 /*v317*/, 8, v99
	s_set_vgpr_msb 0                        ;  msbs: dst=0 src0=0 src1=0 src2=0
	v_and_b32_e32 v107, 0xff, v99
	s_set_vgpr_msb 4                        ;  msbs: dst=0 src0=0 src1=1 src2=0
	v_mul_i32_i24_e32 v99, v185, v134 /*v390*/
	s_wait_dscnt 0x0
	v_cvt_f32_ubyte0_e32 v94, v113
	s_delay_alu instid0(VALU_DEP_2) | instskip(SKIP_1) | instid1(VALU_DEP_1)
	v_mad_i32_i24 v99, v184, v133 /*v389*/, v99
	s_set_vgpr_msb 0                        ;  msbs: dst=0 src0=0 src1=0 src2=0
	v_add3_u32 v96, v99, v186, v96
	v_bfe_u32 v186, v97, 20, 4
	s_set_vgpr_msb 4                        ;  msbs: dst=0 src0=0 src1=1 src2=0
	v_mul_i32_i24_e32 v99, v191, v135 /*v391*/
	v_lshrrev_b32_e32 v97, 28, v31 /*v287*/
	s_set_vgpr_msb 0x44                     ;  msbs: dst=1 src0=0 src1=1 src2=0
	v_mul_i32_i24_e32 v63 /*v319*/, v186, v159 /*v415*/
	s_set_vgpr_msb 16                       ;  msbs: dst=0 src0=0 src1=0 src2=1
	v_add3_u32 v96, v96, v99, v62 /*v318*/
	s_set_vgpr_msb 4                        ;  msbs: dst=0 src0=0 src1=1 src2=0
	v_and_b32_e32 v99, 0xffff, v61 /*v317*/
	s_set_vgpr_msb 64                       ;  msbs: dst=1 src0=0 src1=0 src2=0
	v_add_nc_u32_e32 v61 /*v317*/, s16, v154
	s_mov_b32 s16, 8
	s_set_vgpr_msb 20                       ;  msbs: dst=0 src0=0 src1=1 src2=1
	v_add3_u32 v96, v96, v63 /*v319*/, v64 /*v320*/
	s_set_vgpr_msb 0x41                     ;  msbs: dst=1 src0=1 src1=0 src2=0
	ds_load_2addr_b32 v[188:189] /*v[444:445]*/, v61 /*v317*/ offset0:6 offset1:7
	s_set_vgpr_msb 20                       ;  msbs: dst=0 src0=0 src1=1 src2=1
	v_add3_u32 v96, v96, v65 /*v321*/, v66 /*v322*/
	s_delay_alu instid0(VALU_DEP_1) | instskip(NEXT) | instid1(VALU_DEP_1)
	v_add3_u32 v96, v96, v67 /*v323*/, v68 /*v324*/
	v_add3_u32 v96, v96, v69 /*v325*/, v70 /*v326*/
	s_set_vgpr_msb 0x41                     ;  msbs: dst=1 src0=1 src1=0 src2=0
	ds_load_2addr_b32 v[68:69] /*v[324:325]*/, v61 /*v317*/ offset1:1
	s_set_vgpr_msb 20                       ;  msbs: dst=0 src0=0 src1=1 src2=1
	v_add3_u32 v96, v96, v71 /*v327*/, v72 /*v328*/
	s_wait_dscnt 0x1
	s_set_vgpr_msb 0x41                     ;  msbs: dst=1 src0=1 src1=0 src2=0
	v_bfe_u32 v90 /*v346*/, v189 /*v445*/, 12, 4
	v_bfe_u32 v91 /*v347*/, v189 /*v445*/, 20, 4
	;; [unrolled: 1-line block ×3, first 2 shown]
	s_set_vgpr_msb 20                       ;  msbs: dst=0 src0=0 src1=1 src2=1
	v_add3_u32 v96, v96, v73 /*v329*/, v74 /*v330*/
	s_set_vgpr_msb 0x45                     ;  msbs: dst=1 src0=1 src1=1 src2=0
	v_bfe_u32 v88 /*v344*/, v188 /*v444*/, 20, 4
	v_mul_i32_i24_e32 v216 /*v472*/, v90 /*v346*/, v26 /*v282*/
	v_bfe_u32 v66 /*v322*/, v189 /*v445*/, 24, 4
	v_mul_i32_i24_e32 v212 /*v468*/, v147 /*v403*/, v86 /*v342*/
	s_set_vgpr_msb 20                       ;  msbs: dst=0 src0=0 src1=1 src2=1
	v_add3_u32 v96, v96, v76 /*v332*/, v75 /*v331*/
	s_set_vgpr_msb 0x45                     ;  msbs: dst=1 src0=1 src1=1 src2=0
	v_mul_i32_i24_e32 v215 /*v471*/, v148 /*v404*/, v88 /*v344*/
	v_bfe_u32 v89 /*v345*/, v189 /*v445*/, 4, 4
	s_set_vgpr_msb 0x41                     ;  msbs: dst=1 src0=1 src1=0 src2=0
	v_mul_i32_i24_e32 v186 /*v442*/, v66 /*v322*/, v108
	s_set_vgpr_msb 0x44                     ;  msbs: dst=1 src0=0 src1=1 src2=0
	v_lshrrev_b32_e32 v87 /*v343*/, 28, v188 /*v444*/
	s_set_vgpr_msb 20                       ;  msbs: dst=0 src0=0 src1=1 src2=1
	v_add3_u32 v96, v96, v78 /*v334*/, v77 /*v333*/
	s_set_vgpr_msb 0x45                     ;  msbs: dst=1 src0=1 src1=1 src2=0
	ds_load_2addr_b32 v[76:77] /*v[332:333]*/, v61 /*v317*/ offset0:2 offset1:3
	v_mul_i32_i24_e32 v27 /*v283*/, v89 /*v345*/, v27 /*v283*/
	v_lshrrev_b32_e32 v26 /*v282*/, 28, v189 /*v445*/
	v_mul_i32_i24_e32 v214 /*v470*/, v149 /*v405*/, v87 /*v343*/
	s_set_vgpr_msb 20                       ;  msbs: dst=0 src0=0 src1=1 src2=1
	v_add3_u32 v96, v96, v80 /*v336*/, v79 /*v335*/
	s_set_vgpr_msb 0x45                     ;  msbs: dst=1 src0=1 src1=1 src2=0
	v_mul_i32_i24_e32 v149 /*v405*/, v120 /*v376*/, v149 /*v405*/
	s_set_vgpr_msb 20                       ;  msbs: dst=0 src0=0 src1=1 src2=1
	s_delay_alu instid0(VALU_DEP_2) | instskip(NEXT) | instid1(VALU_DEP_1)
	v_add3_u32 v96, v96, v82 /*v338*/, v81 /*v337*/
	v_add3_u32 v96, v96, v83 /*v339*/, v30 /*v286*/
	s_set_vgpr_msb 0x54                     ;  msbs: dst=1 src0=0 src1=1 src2=1
	s_delay_alu instid0(VALU_DEP_1)
	v_add3_u32 v184 /*v440*/, v96, v84 /*v340*/, v85 /*v341*/
	s_set_vgpr_msb 0x41                     ;  msbs: dst=1 src0=1 src1=0 src2=0
	ds_load_2addr_b32 v[84:85] /*v[340:341]*/, v61 /*v317*/ offset0:4 offset1:5
	s_wait_dscnt 0x2
	s_set_vgpr_msb 0x44                     ;  msbs: dst=1 src0=0 src1=1 src2=0
	v_and_b32_e32 v30 /*v286*/, 15, v68 /*v324*/
	s_set_vgpr_msb 0x41                     ;  msbs: dst=1 src0=1 src1=0 src2=0
	v_bfe_u32 v31 /*v287*/, v68 /*v324*/, 16, 4
	s_wait_dscnt 0x1
	s_set_vgpr_msb 0x44                     ;  msbs: dst=1 src0=0 src1=1 src2=0
	v_lshrrev_b32_e32 v73 /*v329*/, 28, v76 /*v332*/
	s_set_vgpr_msb 0x55                     ;  msbs: dst=1 src0=1 src1=1 src2=1
	v_bfe_u32 v70 /*v326*/, v76 /*v332*/, 4, 4
	v_bfe_u32 v71 /*v327*/, v76 /*v332*/, 12, 4
	v_mul_i32_i24_e32 v62 /*v318*/, v30 /*v286*/, v29 /*v285*/
	v_bfe_u32 v29 /*v285*/, v68 /*v324*/, 8, 4
	v_mul_i32_i24_e32 v63 /*v319*/, v31 /*v287*/, v32 /*v288*/
	v_bfe_u32 v32 /*v288*/, v68 /*v324*/, 24, 4
	v_bfe_u32 v72 /*v328*/, v77 /*v333*/, 20, 4
	;; [unrolled: 1-line block ×3, first 2 shown]
	v_mad_i32_i24 v33 /*v289*/, v29 /*v285*/, v33 /*v289*/, v62 /*v318*/
	v_bfe_u32 v75 /*v331*/, v77 /*v333*/, 12, 4
	v_mul_i32_i24_e32 v50 /*v306*/, v32 /*v288*/, v50 /*v306*/
	v_mul_i32_i24_e32 v196 /*v452*/, v70 /*v326*/, v137 /*v393*/
	;; [unrolled: 1-line block ×5, first 2 shown]
	v_add3_u32 v50 /*v306*/, v33 /*v289*/, v63 /*v319*/, v50 /*v306*/
	s_wait_dscnt 0x0
	v_dual_lshrrev_b32 v79 /*v335*/, 28, v84 /*v340*/ :: v_dual_bitop2_b32 v33 /*v289*/, 15, v69 /*v325*/ bitop3:0x40
	v_lshrrev_b32_e32 v83 /*v339*/, 28, v85 /*v341*/
	v_bfe_u32 v78 /*v334*/, v84 /*v340*/, 12, 4
	v_bfe_u32 v80 /*v336*/, v84 /*v340*/, 20, 4
	s_delay_alu instid0(VALU_DEP_4)
	v_mul_i32_i24_e32 v62 /*v318*/, v33 /*v289*/, v34 /*v290*/
	v_bfe_u32 v34 /*v290*/, v69 /*v325*/, 8, 4
	v_bfe_u32 v81 /*v337*/, v85 /*v341*/, 4, 4
	;; [unrolled: 1-line block ×3, first 2 shown]
	v_mul_i32_i24_e32 v201 /*v457*/, v75 /*v331*/, v154 /*v410*/
	v_mul_i32_i24_e32 v202 /*v458*/, v72 /*v328*/, v155 /*v411*/
	;; [unrolled: 1-line block ×3, first 2 shown]
	v_bfe_u32 v35 /*v291*/, v69 /*v325*/, 16, 4
	v_mul_i32_i24_e32 v205 /*v461*/, v78 /*v334*/, v142 /*v398*/
	v_mul_i32_i24_e32 v206 /*v462*/, v153 /*v409*/, v79 /*v335*/
	;; [unrolled: 1-line block ×3, first 2 shown]
	v_add3_u32 v50 /*v306*/, v50 /*v306*/, v63 /*v319*/, v62 /*v318*/
	v_mul_i32_i24_e32 v64 /*v320*/, v35 /*v291*/, v36 /*v292*/
	v_bfe_u32 v36 /*v292*/, v69 /*v325*/, 24, 4
	s_set_vgpr_msb 0                        ;  msbs: dst=0 src0=0 src1=0 src2=0
	v_cvt_f32_ubyte1_e32 v96, v113
	v_add3_u32 v113, s17, v150, v147
	s_set_vgpr_msb 0x45                     ;  msbs: dst=1 src0=1 src1=1 src2=0
	v_mul_i32_i24_e32 v208 /*v464*/, v144 /*v400*/, v82 /*v338*/
	v_mul_i32_i24_e32 v209 /*v465*/, v143 /*v399*/, v81 /*v337*/
	;; [unrolled: 1-line block ×3, first 2 shown]
	s_set_vgpr_msb 0                        ;  msbs: dst=0 src0=0 src1=0 src2=0
	ds_load_u16 v108, v113
	ds_load_u16 v113, v113 offset:8
	s_set_vgpr_msb 0x55                     ;  msbs: dst=1 src0=1 src1=1 src2=1
	v_mul_i32_i24_e32 v210 /*v466*/, v151 /*v407*/, v83 /*v339*/
	v_mul_i32_i24_e32 v158 /*v414*/, v116 /*v372*/, v158 /*v414*/
	v_add3_u32 v50 /*v306*/, v50 /*v306*/, v64 /*v320*/, v37 /*v293*/
	v_and_b32_e32 v37 /*v293*/, 15, v76 /*v332*/
	v_mul_i32_i24_e32 v151 /*v407*/, v119 /*v375*/, v151 /*v407*/
	s_delay_alu instid0(VALU_DEP_2) | instskip(SKIP_1) | instid1(VALU_DEP_1)
	v_mul_i32_i24_e32 v62 /*v318*/, v37 /*v293*/, v38 /*v294*/
	v_bfe_u32 v38 /*v294*/, v76 /*v332*/, 8, 4
	v_mul_i32_i24_e32 v63 /*v319*/, v38 /*v294*/, v39 /*v295*/
	v_bfe_u32 v39 /*v295*/, v76 /*v332*/, 16, 4
	s_wait_dscnt 0x1
	s_set_vgpr_msb 64                       ;  msbs: dst=1 src0=0 src1=0 src2=0
	v_lshrrev_b16 v190 /*v446*/, 8, v108
	s_set_vgpr_msb 0x55                     ;  msbs: dst=1 src0=1 src1=1 src2=1
	v_add3_u32 v50 /*v306*/, v50 /*v306*/, v63 /*v319*/, v62 /*v318*/
	v_mul_i32_i24_e32 v64 /*v320*/, v39 /*v295*/, v40 /*v296*/
	v_bfe_u32 v40 /*v296*/, v76 /*v332*/, 24, 4
	s_delay_alu instid0(VALU_DEP_1) | instskip(NEXT) | instid1(VALU_DEP_1)
	v_mul_i32_i24_e32 v41 /*v297*/, v40 /*v296*/, v41 /*v297*/
	v_add3_u32 v50 /*v306*/, v50 /*v306*/, v64 /*v320*/, v41 /*v297*/
	v_and_b32_e32 v41 /*v297*/, 15, v77 /*v333*/
	s_delay_alu instid0(VALU_DEP_1) | instskip(SKIP_1) | instid1(VALU_DEP_1)
	v_mul_i32_i24_e32 v62 /*v318*/, v41 /*v297*/, v42 /*v298*/
	v_bfe_u32 v42 /*v298*/, v77 /*v333*/, 8, 4
	v_mul_i32_i24_e32 v63 /*v319*/, v42 /*v298*/, v43 /*v299*/
	v_bfe_u32 v43 /*v299*/, v77 /*v333*/, 16, 4
	s_delay_alu instid0(VALU_DEP_2) | instskip(NEXT) | instid1(VALU_DEP_2)
	v_add3_u32 v50 /*v306*/, v50 /*v306*/, v63 /*v319*/, v62 /*v318*/
	v_mul_i32_i24_e32 v64 /*v320*/, v43 /*v299*/, v44 /*v300*/
	v_bfe_u32 v44 /*v300*/, v77 /*v333*/, 24, 4
	s_delay_alu instid0(VALU_DEP_1) | instskip(NEXT) | instid1(VALU_DEP_1)
	v_mul_i32_i24_e32 v45 /*v301*/, v44 /*v300*/, v45 /*v301*/
	v_add3_u32 v50 /*v306*/, v50 /*v306*/, v64 /*v320*/, v45 /*v301*/
	v_and_b32_e32 v45 /*v301*/, 15, v84 /*v340*/
	s_delay_alu instid0(VALU_DEP_1) | instskip(SKIP_1) | instid1(VALU_DEP_1)
	v_mul_i32_i24_e32 v62 /*v318*/, v45 /*v301*/, v46 /*v302*/
	v_bfe_u32 v46 /*v302*/, v84 /*v340*/, 8, 4
	v_mul_i32_i24_e32 v63 /*v319*/, v46 /*v302*/, v47 /*v303*/
	v_bfe_u32 v47 /*v303*/, v84 /*v340*/, 16, 4
	s_delay_alu instid0(VALU_DEP_2) | instskip(NEXT) | instid1(VALU_DEP_2)
	v_add3_u32 v50 /*v306*/, v50 /*v306*/, v63 /*v319*/, v62 /*v318*/
	v_mul_i32_i24_e32 v64 /*v320*/, v47 /*v303*/, v48 /*v304*/
	v_bfe_u32 v48 /*v304*/, v84 /*v340*/, 24, 4
	s_delay_alu instid0(VALU_DEP_1) | instskip(NEXT) | instid1(VALU_DEP_1)
	v_mul_i32_i24_e32 v49 /*v305*/, v48 /*v304*/, v49 /*v305*/
	v_add3_u32 v62 /*v318*/, v50 /*v306*/, v64 /*v320*/, v49 /*v305*/
	v_bfe_u32 v49 /*v305*/, v85 /*v341*/, 8, 4
	v_and_b32_e32 v50 /*v306*/, 15, v85 /*v341*/
	s_delay_alu instid0(VALU_DEP_2) | instskip(NEXT) | instid1(VALU_DEP_2)
	v_mul_i32_i24_e32 v64 /*v320*/, v52 /*v308*/, v49 /*v305*/
	v_mul_i32_i24_e32 v63 /*v319*/, v51 /*v307*/, v50 /*v306*/
	v_bfe_u32 v51 /*v307*/, v85 /*v341*/, 24, 4
	v_bfe_u32 v52 /*v308*/, v85 /*v341*/, 16, 4
	s_delay_alu instid0(VALU_DEP_3) | instskip(NEXT) | instid1(VALU_DEP_3)
	v_add3_u32 v62 /*v318*/, v62 /*v318*/, v64 /*v320*/, v63 /*v319*/
	v_mul_i32_i24_e32 v54 /*v310*/, v54 /*v310*/, v51 /*v307*/
	s_delay_alu instid0(VALU_DEP_3) | instskip(SKIP_1) | instid1(VALU_DEP_2)
	v_mul_i32_i24_e32 v53 /*v309*/, v53 /*v309*/, v52 /*v308*/
	v_bfe_u32 v64 /*v320*/, v189 /*v445*/, 16, 4
	v_add3_u32 v62 /*v318*/, v62 /*v318*/, v53 /*v309*/, v54 /*v310*/
	v_bfe_u32 v53 /*v309*/, v188 /*v444*/, 8, 4
	v_and_b32_e32 v54 /*v310*/, 15, v188 /*v444*/
	s_delay_alu instid0(VALU_DEP_4)
	v_mul_i32_i24_e32 v185 /*v441*/, v64 /*v320*/, v28 /*v284*/
	s_set_vgpr_msb 64                       ;  msbs: dst=1 src0=0 src1=0 src2=0
	v_and_b32_e32 v28 /*v284*/, 0xff, v108
	s_wait_dscnt 0x0
	s_set_vgpr_msb 0                        ;  msbs: dst=0 src0=0 src1=0 src2=0
	v_cvt_f32_ubyte0_e32 v108, v113
	s_set_vgpr_msb 0x55                     ;  msbs: dst=1 src0=1 src1=1 src2=1
	v_mul_i32_i24_e32 v63 /*v319*/, v57 /*v313*/, v53 /*v309*/
	v_mul_i32_i24_e32 v61 /*v317*/, v55 /*v311*/, v54 /*v310*/
	v_bfe_u32 v55 /*v311*/, v188 /*v444*/, 24, 4
	v_bfe_u32 v57 /*v313*/, v188 /*v444*/, 16, 4
	s_delay_alu instid0(VALU_DEP_3) | instskip(NEXT) | instid1(VALU_DEP_3)
	v_add3_u32 v61 /*v317*/, v62 /*v318*/, v63 /*v319*/, v61 /*v317*/
	v_mul_i32_i24_e32 v60 /*v316*/, v60 /*v316*/, v55 /*v311*/
	s_delay_alu instid0(VALU_DEP_3) | instskip(SKIP_2) | instid1(VALU_DEP_3)
	v_mul_i32_i24_e32 v59 /*v315*/, v59 /*v315*/, v57 /*v313*/
	v_bfe_u32 v63 /*v319*/, v189 /*v445*/, 8, 4
	v_lshrrev_b32_e32 v62 /*v318*/, 28, v68 /*v324*/
	v_add3_u32 v59 /*v315*/, v61 /*v317*/, v59 /*v315*/, v60 /*v316*/
	v_and_b32_e32 v61 /*v317*/, 15, v189 /*v445*/
	s_delay_alu instid0(VALU_DEP_4) | instskip(NEXT) | instid1(VALU_DEP_4)
	v_mul_i32_i24_e32 v56 /*v312*/, v63 /*v319*/, v56 /*v312*/
	v_mul_i32_i24_e32 v67 /*v323*/, v62 /*v318*/, v162 /*v418*/
	;; [unrolled: 1-line block ×3, first 2 shown]
	s_delay_alu instid0(VALU_DEP_4) | instskip(NEXT) | instid1(VALU_DEP_1)
	v_mul_i32_i24_e32 v58 /*v314*/, v61 /*v317*/, v58 /*v314*/
	v_add3_u32 v187 /*v443*/, v59 /*v315*/, v56 /*v312*/, v58 /*v314*/
	v_bfe_u32 v59 /*v315*/, v68 /*v324*/, 4, 4
	v_bfe_u32 v56 /*v312*/, v68 /*v324*/, 20, 4
	;; [unrolled: 1-line block ×4, first 2 shown]
	v_lshrrev_b32_e32 v76 /*v332*/, 28, v77 /*v333*/
	v_mul_i32_i24_e32 v60 /*v316*/, v59 /*v315*/, v134 /*v390*/
	v_mul_i32_i24_e32 v65 /*v321*/, v56 /*v312*/, v161 /*v417*/
	v_bfe_u32 v77 /*v333*/, v84 /*v340*/, 4, 4
	v_bfe_u32 v84 /*v340*/, v85 /*v341*/, 20, 4
	;; [unrolled: 1-line block ×3, first 2 shown]
	v_mad_i32_i24 v60 /*v316*/, v58 /*v314*/, v133 /*v389*/, v60 /*v316*/
	s_set_vgpr_msb 0x41                     ;  msbs: dst=1 src0=1 src1=0 src2=0
	v_mul_i32_i24_e32 v188 /*v444*/, v91 /*v347*/, v106
	s_set_vgpr_msb 0x55                     ;  msbs: dst=1 src0=1 src1=1 src2=1
	v_mul_i32_i24_e32 v198 /*v454*/, v68 /*v324*/, v157 /*v413*/
	v_mul_i32_i24_e32 v203 /*v459*/, v76 /*v332*/, v156 /*v412*/
	;; [unrolled: 1-line block ×3, first 2 shown]
	v_add3_u32 v191 /*v447*/, v60 /*v316*/, v65 /*v321*/, v67 /*v323*/
	v_bfe_u32 v65 /*v321*/, v69 /*v325*/, 4, 4
	v_bfe_u32 v67 /*v323*/, v69 /*v325*/, 12, 4
	;; [unrolled: 1-line block ×3, first 2 shown]
	v_lshrrev_b32_e32 v69 /*v325*/, 28, v69 /*v325*/
	v_mul_i32_i24_e32 v211 /*v467*/, v150 /*v406*/, v84 /*v340*/
	v_mul_i32_i24_e32 v192 /*v448*/, v65 /*v321*/, v135 /*v391*/
	;; [unrolled: 1-line block ×7, first 2 shown]
	s_set_vgpr_msb 21                       ;  msbs: dst=0 src0=1 src1=1 src2=1
	v_add3_u32 v106, v191 /*v447*/, v192 /*v448*/, v193 /*v449*/
	s_set_vgpr_msb 0x45                     ;  msbs: dst=1 src0=1 src1=1 src2=0
	v_mul_i32_i24_e32 v156 /*v412*/, v117 /*v373*/, v156 /*v412*/
	s_set_vgpr_msb 20                       ;  msbs: dst=0 src0=0 src1=1 src2=1
	s_delay_alu instid0(VALU_DEP_2) | instskip(NEXT) | instid1(VALU_DEP_1)
	v_add3_u32 v106, v106, v194 /*v450*/, v195 /*v451*/
	v_add3_u32 v106, v106, v196 /*v452*/, v197 /*v453*/
	s_delay_alu instid0(VALU_DEP_1) | instskip(NEXT) | instid1(VALU_DEP_1)
	v_add3_u32 v106, v106, v198 /*v454*/, v199 /*v455*/
	v_add3_u32 v106, v106, v200 /*v456*/, v201 /*v457*/
	s_delay_alu instid0(VALU_DEP_1) | instskip(NEXT) | instid1(VALU_DEP_1)
	;; [unrolled: 3-line block ×4, first 2 shown]
	v_add3_u32 v106, v106, v211 /*v467*/, v210 /*v466*/
	v_add3_u32 v106, v106, v213 /*v469*/, v212 /*v468*/
	s_delay_alu instid0(VALU_DEP_1) | instskip(SKIP_1) | instid1(VALU_DEP_1)
	v_add3_u32 v106, v106, v215 /*v471*/, v214 /*v470*/
	s_set_vgpr_msb 0x54                     ;  msbs: dst=1 src0=0 src1=1 src2=1
	v_add3_u32 v189 /*v445*/, v106, v27 /*v283*/, v216 /*v472*/
	s_set_vgpr_msb 0                        ;  msbs: dst=0 src0=0 src1=0 src2=0
	v_cvt_f32_ubyte1_e32 v106, v113
	v_or_b32_e32 v113, s13, v138
	s_set_vgpr_msb 0x44                     ;  msbs: dst=1 src0=0 src1=1 src2=0
	v_and_b32_e32 v27 /*v283*/, 0xffff, v190 /*v446*/
	s_set_vgpr_msb 0x41                     ;  msbs: dst=1 src0=1 src1=0 src2=0
	s_delay_alu instid0(VALU_DEP_2)
	v_lshlrev_b32_e32 v202 /*v458*/, 2, v113
	ds_load_b128 v[190:193] /*v[446:449]*/, v202 /*v458*/ offset:16896
	ds_load_b128 v[194:197] /*v[450:453]*/, v202 /*v458*/ offset:16912
	;; [unrolled: 1-line block ×4, first 2 shown]
	v_lshrrev_b32_e32 v206 /*v462*/, 1, v113
	s_wait_dscnt 0x3
	v_bfe_i32 v207 /*v463*/, v190 /*v446*/, 0, 8
	v_bfe_i32 v208 /*v464*/, v190 /*v446*/, 8, 8
	;; [unrolled: 1-line block ×3, first 2 shown]
	s_set_vgpr_msb 0x44                     ;  msbs: dst=1 src0=0 src1=1 src2=0
	v_ashrrev_i32_e32 v190 /*v446*/, 24, v190 /*v446*/
	s_set_vgpr_msb 0x41                     ;  msbs: dst=1 src0=1 src1=0 src2=0
	v_bfe_i32 v210 /*v466*/, v191 /*v447*/, 0, 8
	s_set_vgpr_msb 1                        ;  msbs: dst=0 src0=1 src1=0 src2=0
	v_mul_i32_i24_e32 v113, v207 /*v463*/, v119
	s_set_vgpr_msb 0x41                     ;  msbs: dst=1 src0=1 src1=0 src2=0
	v_bfe_i32 v211 /*v467*/, v191 /*v447*/, 8, 8
	v_bfe_i32 v212 /*v468*/, v191 /*v447*/, 16, 8
	s_set_vgpr_msb 0x45                     ;  msbs: dst=1 src0=1 src1=1 src2=0
	v_ashrrev_i32_e32 v191 /*v447*/, 24, v191 /*v447*/
	v_mul_i32_i24_e32 v231 /*v487*/, v209 /*v465*/, v92 /*v348*/
	v_mul_i32_i24_e32 v232 /*v488*/, v190 /*v446*/, v93 /*v349*/
	s_set_vgpr_msb 1                        ;  msbs: dst=0 src0=1 src1=0 src2=0
	v_mad_i32_i24 v113, v208 /*v464*/, v118, v113
	s_set_vgpr_msb 0x45                     ;  msbs: dst=1 src0=1 src1=1 src2=0
	v_bfe_i32 v213 /*v469*/, v192 /*v448*/, 0, 8
	v_bfe_i32 v214 /*v470*/, v192 /*v448*/, 8, 8
	v_mul_i32_i24_e32 v233 /*v489*/, v212 /*v468*/, v96 /*v352*/
	v_mul_i32_i24_e32 v234 /*v490*/, v191 /*v447*/, v97 /*v353*/
	s_set_vgpr_msb 20                       ;  msbs: dst=0 src0=0 src1=1 src2=1
	v_add3_u32 v113, v113, v231 /*v487*/, v232 /*v488*/
	s_set_vgpr_msb 0x45                     ;  msbs: dst=1 src0=1 src1=1 src2=0
	v_mul_i32_i24_e32 v231 /*v487*/, v210 /*v466*/, v94 /*v350*/
	v_mul_i32_i24_e32 v232 /*v488*/, v211 /*v467*/, v95 /*v351*/
	v_bfe_i32 v215 /*v471*/, v192 /*v448*/, 16, 8
	v_ashrrev_i32_e32 v192 /*v448*/, 24, v192 /*v448*/
	v_mul_i32_i24_e32 v235 /*v491*/, v213 /*v469*/, v98 /*v354*/
	v_mul_i32_i24_e32 v236 /*v492*/, v214 /*v470*/, v99 /*v355*/
	s_set_vgpr_msb 20                       ;  msbs: dst=0 src0=0 src1=1 src2=1
	v_add3_u32 v113, v113, v231 /*v487*/, v232 /*v488*/
	s_set_vgpr_msb 0x41                     ;  msbs: dst=1 src0=1 src1=0 src2=0
	v_bfe_i32 v216 /*v472*/, v193 /*v449*/, 0, 8
	v_bfe_i32 v217 /*v473*/, v193 /*v449*/, 8, 8
	v_bfe_i32 v218 /*v474*/, v193 /*v449*/, 16, 8
	s_set_vgpr_msb 0x44                     ;  msbs: dst=1 src0=0 src1=1 src2=0
	v_ashrrev_i32_e32 v193 /*v449*/, 24, v193 /*v449*/
	s_set_vgpr_msb 20                       ;  msbs: dst=0 src0=0 src1=1 src2=1
	v_add3_u32 v113, v113, v233 /*v489*/, v234 /*v490*/
	s_set_vgpr_msb 0x45                     ;  msbs: dst=1 src0=1 src1=1 src2=0
	v_mul_i32_i24_e32 v237 /*v493*/, v215 /*v471*/, v100 /*v356*/
	v_mul_i32_i24_e32 v238 /*v494*/, v192 /*v448*/, v101 /*v357*/
	v_mul_i32_i24_e32 v239 /*v495*/, v216 /*v472*/, v102 /*v358*/
	v_mul_i32_i24_e32 v240 /*v496*/, v217 /*v473*/, v103 /*v359*/
	s_set_vgpr_msb 20                       ;  msbs: dst=0 src0=0 src1=1 src2=1
	v_add3_u32 v113, v113, v235 /*v491*/, v236 /*v492*/
	s_wait_dscnt 0x2
	s_set_vgpr_msb 0x45                     ;  msbs: dst=1 src0=1 src1=1 src2=0
	v_bfe_i32 v219 /*v475*/, v194 /*v450*/, 0, 8
	v_bfe_i32 v220 /*v476*/, v194 /*v450*/, 8, 8
	v_mul_i32_i24_e32 v241 /*v497*/, v218 /*v474*/, v104 /*v360*/
	v_mul_i32_i24_e32 v242 /*v498*/, v193 /*v449*/, v105 /*v361*/
	s_set_vgpr_msb 20                       ;  msbs: dst=0 src0=0 src1=1 src2=1
	v_add3_u32 v113, v113, v237 /*v493*/, v238 /*v494*/
	s_set_vgpr_msb 0x41                     ;  msbs: dst=1 src0=1 src1=0 src2=0
	v_bfe_i32 v221 /*v477*/, v194 /*v450*/, 16, 8
	s_set_vgpr_msb 0x45                     ;  msbs: dst=1 src0=1 src1=1 src2=0
	v_ashrrev_i32_e32 v194 /*v450*/, 24, v194 /*v450*/
	v_mul_i32_i24_e32 v243 /*v499*/, v219 /*v475*/, v106 /*v362*/
	v_mul_i32_i24_e32 v244 /*v500*/, v220 /*v476*/, v107 /*v363*/
	s_set_vgpr_msb 20                       ;  msbs: dst=0 src0=0 src1=1 src2=1
	v_add3_u32 v113, v113, v239 /*v495*/, v240 /*v496*/
	s_set_vgpr_msb 0x41                     ;  msbs: dst=1 src0=1 src1=0 src2=0
	v_bfe_i32 v222 /*v478*/, v195 /*v451*/, 0, 8
	v_bfe_i32 v223 /*v479*/, v195 /*v451*/, 8, 8
	;; [unrolled: 1-line block ×3, first 2 shown]
	s_set_vgpr_msb 0x44                     ;  msbs: dst=1 src0=0 src1=1 src2=0
	v_ashrrev_i32_e32 v195 /*v451*/, 24, v195 /*v451*/
	s_set_vgpr_msb 20                       ;  msbs: dst=0 src0=0 src1=1 src2=1
	v_add3_u32 v113, v113, v241 /*v497*/, v242 /*v498*/
	s_set_vgpr_msb 0x45                     ;  msbs: dst=1 src0=1 src1=1 src2=0
	v_mul_i32_i24_e32 v245 /*v501*/, v221 /*v477*/, v108 /*v364*/
	v_mul_i32_i24_e32 v246 /*v502*/, v194 /*v450*/, v109 /*v365*/
	;; [unrolled: 1-line block ×4, first 2 shown]
	s_set_vgpr_msb 20                       ;  msbs: dst=0 src0=0 src1=1 src2=1
	v_add3_u32 v113, v113, v243 /*v499*/, v244 /*v500*/
	s_set_vgpr_msb 0x45                     ;  msbs: dst=1 src0=1 src1=1 src2=0
	v_bfe_i32 v225 /*v481*/, v196 /*v452*/, 0, 8
	v_bfe_i32 v226 /*v482*/, v196 /*v452*/, 8, 8
	v_mul_i32_i24_e32 v249 /*v505*/, v113 /*v369*/, v224 /*v480*/
	v_mul_i32_i24_e32 v250 /*v506*/, v112 /*v368*/, v195 /*v451*/
	s_set_vgpr_msb 20                       ;  msbs: dst=0 src0=0 src1=1 src2=1
	v_add3_u32 v113, v113, v245 /*v501*/, v246 /*v502*/
	s_set_vgpr_msb 0x41                     ;  msbs: dst=1 src0=1 src1=0 src2=0
	v_bfe_i32 v227 /*v483*/, v196 /*v452*/, 16, 8
	s_set_vgpr_msb 0x45                     ;  msbs: dst=1 src0=1 src1=1 src2=0
	v_ashrrev_i32_e32 v196 /*v452*/, 24, v196 /*v452*/
	v_mul_i32_i24_e32 v251 /*v507*/, v121 /*v377*/, v225 /*v481*/
	v_mul_i32_i24_e32 v252 /*v508*/, v114 /*v370*/, v226 /*v482*/
	s_set_vgpr_msb 20                       ;  msbs: dst=0 src0=0 src1=1 src2=1
	v_add3_u32 v113, v113, v247 /*v503*/, v248 /*v504*/
	s_set_vgpr_msb 0x41                     ;  msbs: dst=1 src0=1 src1=0 src2=0
	v_bfe_i32 v228 /*v484*/, v197 /*v453*/, 0, 8
	v_bfe_i32 v229 /*v485*/, v197 /*v453*/, 8, 8
	;; [unrolled: 1-line block ×3, first 2 shown]
	s_set_vgpr_msb 0x44                     ;  msbs: dst=1 src0=0 src1=1 src2=0
	v_ashrrev_i32_e32 v197 /*v453*/, 24, v197 /*v453*/
	s_set_vgpr_msb 20                       ;  msbs: dst=0 src0=0 src1=1 src2=1
	v_add3_u32 v113, v113, v249 /*v505*/, v250 /*v506*/
	s_set_vgpr_msb 0x45                     ;  msbs: dst=1 src0=1 src1=1 src2=0
	v_mul_i32_i24_e32 v253 /*v509*/, v125 /*v381*/, v227 /*v483*/
	v_mul_i32_i24_e32 v254 /*v510*/, v122 /*v378*/, v196 /*v452*/
	;; [unrolled: 1-line block ×3, first 2 shown]
	s_set_vgpr_msb 5                        ;  msbs: dst=0 src0=1 src1=1 src2=0
	v_mul_i32_i24_e32 v53, v229 /*v485*/, v129 /*v385*/
	s_set_vgpr_msb 20                       ;  msbs: dst=0 src0=0 src1=1 src2=1
	v_add3_u32 v113, v113, v251 /*v507*/, v252 /*v508*/
	s_set_vgpr_msb 5                        ;  msbs: dst=0 src0=1 src1=1 src2=0
	v_mul_i32_i24_e32 v55, v230 /*v486*/, v130 /*v386*/
	v_mul_i32_i24_e32 v61, v197 /*v453*/, v131 /*v387*/
	s_wait_dscnt 0x0
	v_bfe_i32 v82, v205 /*v461*/, 0, 8
	v_bfe_i32 v84, v205 /*v461*/, 8, 8
	s_set_vgpr_msb 20                       ;  msbs: dst=0 src0=0 src1=1 src2=1
	v_add3_u32 v113, v113, v253 /*v509*/, v254 /*v510*/
	s_set_vgpr_msb 1                        ;  msbs: dst=0 src0=1 src1=0 src2=0
	v_bfe_i32 v86, v205 /*v461*/, 16, 8
	s_set_vgpr_msb 0x44                     ;  msbs: dst=1 src0=0 src1=1 src2=0
	v_lshrrev_b16 v231 /*v487*/, 8, v200 /*v456*/
	v_lshrrev_b16 v232 /*v488*/, 8, v201 /*v457*/
	v_ashrrev_i32_e32 v234 /*v490*/, 24, v198 /*v454*/
	s_set_vgpr_msb 4                        ;  msbs: dst=0 src0=0 src1=1 src2=0
	v_add3_u32 v53, v113, v255 /*v511*/, v53
	v_and_b32_e32 v113, 0xffff, v132 /*v388*/
	s_set_vgpr_msb 64                       ;  msbs: dst=1 src0=0 src1=0 src2=0
	v_bfe_u32 v132 /*v388*/, v116, 20, 4
	s_set_vgpr_msb 0                        ;  msbs: dst=0 src0=0 src1=0 src2=0
	v_bfe_u32 v116, v116, 4, 4
	s_set_vgpr_msb 0x44                     ;  msbs: dst=1 src0=0 src1=1 src2=0
	v_dual_ashrrev_i32 v244 /*v500*/, 24, v200 /*v456*/ :: v_dual_ashrrev_i32 v250 /*v506*/, 24, v201 /*v457*/
	s_set_vgpr_msb 0                        ;  msbs: dst=0 src0=0 src1=0 src2=0
	v_add3_u32 v53, v53, v55, v61
	s_set_vgpr_msb 0x45                     ;  msbs: dst=1 src0=1 src1=1 src2=0
	v_mul_i32_i24_e32 v161 /*v417*/, v132 /*v388*/, v161 /*v417*/
	s_set_vgpr_msb 0x44                     ;  msbs: dst=1 src0=0 src1=1 src2=0
	v_mul_i32_i24_e32 v134 /*v390*/, v116, v134 /*v390*/
	s_set_vgpr_msb 21                       ;  msbs: dst=0 src0=1 src1=1 src2=1
	v_add3_u32 v55, v169 /*v425*/, v167 /*v423*/, v168 /*v424*/
	s_set_vgpr_msb 0x41                     ;  msbs: dst=1 src0=1 src1=0 src2=0
	v_bfe_i32 v235 /*v491*/, v198 /*v454*/, 16, 8
	s_set_vgpr_msb 0                        ;  msbs: dst=0 src0=0 src1=0 src2=0
	v_mul_lo_u32 v53, v53, v105
	s_set_vgpr_msb 0x41                     ;  msbs: dst=1 src0=1 src1=0 src2=0
	v_bfe_i32 v239 /*v495*/, v199 /*v455*/, 16, 8
	s_set_vgpr_msb 0x54                     ;  msbs: dst=1 src0=0 src1=1 src2=1
	v_mad_i32_i24 v133 /*v389*/, v113, v133 /*v389*/, v134 /*v390*/
	v_and_b32_e32 v134 /*v390*/, 0xffff, v174 /*v430*/
	s_set_vgpr_msb 0                        ;  msbs: dst=0 src0=0 src1=0 src2=0
	v_mul_lo_u32 v55, v55, v105
	s_set_vgpr_msb 0x55                     ;  msbs: dst=1 src0=1 src1=1 src2=1
	v_ashrrev_i32_e32 v174 /*v430*/, 24, v199 /*v455*/
	v_mul_i32_i24_e32 v238 /*v494*/, v234 /*v490*/, v123 /*v379*/
	v_add3_u32 v161 /*v417*/, v133 /*v389*/, v161 /*v417*/, v162 /*v418*/
	v_lshrrev_b16 v133 /*v389*/, 8, v198 /*v454*/
	v_mul_i32_i24_e32 v136 /*v392*/, v134 /*v390*/, v136 /*v392*/
	v_lshrrev_b16 v162 /*v418*/, 8, v199 /*v455*/
	v_bfe_i32 v198 /*v454*/, v198 /*v454*/, 0, 8
	v_bfe_i32 v199 /*v455*/, v199 /*v455*/, 0, 8
	;; [unrolled: 1-line block ×3, first 2 shown]
	s_set_vgpr_msb 64                       ;  msbs: dst=1 src0=0 src1=0 src2=0
	v_bfe_u32 v133 /*v389*/, v117, 20, 4
	s_set_vgpr_msb 0                        ;  msbs: dst=0 src0=0 src1=0 src2=0
	v_bfe_u32 v117, v117, 4, 4
	s_set_vgpr_msb 0x45                     ;  msbs: dst=1 src0=1 src1=1 src2=0
	v_bfe_i32 v162 /*v418*/, v162 /*v418*/, 0, 8
	v_mul_i32_i24_e32 v243 /*v499*/, v174 /*v430*/, v115 /*v371*/
	v_bfe_i32 v245 /*v501*/, v200 /*v456*/, 16, 8
	v_mul_i32_i24_e32 v159 /*v415*/, v133 /*v389*/, v159 /*v415*/
	s_set_vgpr_msb 0x44                     ;  msbs: dst=1 src0=0 src1=1 src2=0
	v_mul_i32_i24_e32 v135 /*v391*/, v117, v135 /*v391*/
	s_set_vgpr_msb 0x55                     ;  msbs: dst=1 src0=1 src1=1 src2=1
	v_mul_i32_i24_e32 v241 /*v497*/, v162 /*v418*/, v134 /*v390*/
	v_bfe_i32 v231 /*v487*/, v231 /*v487*/, 0, 8
	v_bfe_i32 v200 /*v456*/, v200 /*v456*/, 0, 8
	v_mul_i32_i24_e32 v249 /*v505*/, v244 /*v500*/, v116 /*v372*/
	v_add3_u32 v135 /*v391*/, v161 /*v417*/, v135 /*v391*/, v136 /*v392*/
	v_and_b32_e32 v136 /*v392*/, 0xffff, v173 /*v429*/
	v_bfe_i32 v232 /*v488*/, v232 /*v488*/, 0, 8
	s_set_vgpr_msb 4                        ;  msbs: dst=0 src0=0 src1=1 src2=0
	v_lshrrev_b16 v69, 8, v203 /*v459*/
	s_set_vgpr_msb 0x41                     ;  msbs: dst=1 src0=1 src1=0 src2=0
	v_mul_i32_i24_e32 v236 /*v492*/, v198 /*v454*/, v116
	s_set_vgpr_msb 0x55                     ;  msbs: dst=1 src0=1 src1=1 src2=1
	v_add3_u32 v159 /*v415*/, v135 /*v391*/, v159 /*v415*/, v160 /*v416*/
	s_set_vgpr_msb 64                       ;  msbs: dst=1 src0=0 src1=0 src2=0
	v_bfe_u32 v135 /*v391*/, v114, 20, 4
	s_set_vgpr_msb 0                        ;  msbs: dst=0 src0=0 src1=0 src2=0
	v_bfe_u32 v114, v114, 4, 4
	s_set_vgpr_msb 0x45                     ;  msbs: dst=1 src0=1 src1=1 src2=0
	v_mul_i32_i24_e32 v138 /*v394*/, v136 /*v392*/, v138 /*v394*/
	v_mul_i32_i24_e32 v237 /*v493*/, v235 /*v491*/, v132 /*v388*/
	s_set_vgpr_msb 0x41                     ;  msbs: dst=1 src0=1 src1=0 src2=0
	v_mul_i32_i24_e32 v240 /*v496*/, v199 /*v455*/, v117
	s_set_vgpr_msb 0x45                     ;  msbs: dst=1 src0=1 src1=1 src2=0
	v_mul_i32_i24_e32 v157 /*v413*/, v135 /*v391*/, v157 /*v413*/
	s_set_vgpr_msb 0x44                     ;  msbs: dst=1 src0=0 src1=1 src2=0
	v_mul_i32_i24_e32 v137 /*v393*/, v114, v137 /*v393*/
	s_set_vgpr_msb 0x45                     ;  msbs: dst=1 src0=1 src1=1 src2=0
	v_mul_i32_i24_e32 v242 /*v498*/, v239 /*v495*/, v133 /*v389*/
	s_set_vgpr_msb 0x41                     ;  msbs: dst=1 src0=1 src1=0 src2=0
	v_mul_i32_i24_e32 v246 /*v502*/, v200 /*v456*/, v114
	s_set_vgpr_msb 0x55                     ;  msbs: dst=1 src0=1 src1=1 src2=1
	v_mul_i32_i24_e32 v247 /*v503*/, v231 /*v487*/, v136 /*v392*/
	v_mul_i32_i24_e32 v248 /*v504*/, v245 /*v501*/, v135 /*v391*/
	v_add3_u32 v137 /*v393*/, v159 /*v415*/, v137 /*v393*/, v138 /*v394*/
	v_and_b32_e32 v138 /*v394*/, 0xffff, v172 /*v428*/
	v_bfe_i32 v251 /*v507*/, v201 /*v457*/, 16, 8
	v_bfe_i32 v201 /*v457*/, v201 /*v457*/, 0, 8
	s_set_vgpr_msb 5                        ;  msbs: dst=0 src0=1 src1=1 src2=0
	v_mul_i32_i24_e32 v67, v250 /*v506*/, v117 /*v373*/
	s_set_vgpr_msb 0x55                     ;  msbs: dst=1 src0=1 src1=1 src2=1
	v_add3_u32 v157 /*v413*/, v137 /*v393*/, v157 /*v413*/, v158 /*v414*/
	s_set_vgpr_msb 64                       ;  msbs: dst=1 src0=0 src1=0 src2=0
	v_bfe_u32 v137 /*v393*/, v115, 20, 4
	s_set_vgpr_msb 0                        ;  msbs: dst=0 src0=0 src1=0 src2=0
	v_bfe_u32 v115, v115, 4, 4
	s_set_vgpr_msb 0x45                     ;  msbs: dst=1 src0=1 src1=1 src2=0
	v_mul_i32_i24_e32 v154 /*v410*/, v138 /*v394*/, v154 /*v410*/
	v_mul_i32_i24_e32 v254 /*v510*/, v232 /*v488*/, v138 /*v394*/
	s_set_vgpr_msb 4                        ;  msbs: dst=0 src0=0 src1=1 src2=0
	v_lshrrev_b16 v71, 8, v204 /*v460*/
	s_set_vgpr_msb 0x45                     ;  msbs: dst=1 src0=1 src1=1 src2=0
	v_mul_i32_i24_e32 v155 /*v411*/, v137 /*v393*/, v155 /*v411*/
	s_set_vgpr_msb 0x44                     ;  msbs: dst=1 src0=0 src1=1 src2=0
	v_mul_i32_i24_e32 v140 /*v396*/, v115, v140 /*v396*/
	s_set_vgpr_msb 0                        ;  msbs: dst=0 src0=0 src1=0 src2=0
	v_bfe_i32 v69, v69, 0, 8
	s_set_vgpr_msb 0x51                     ;  msbs: dst=1 src0=1 src1=0 src2=1
	v_mad_i32_i24 v241 /*v497*/, v233 /*v489*/, v113, v241 /*v497*/
	s_set_vgpr_msb 0x55                     ;  msbs: dst=1 src0=1 src1=1 src2=1
	v_add3_u32 v238 /*v494*/, v238 /*v494*/, v243 /*v499*/, v249 /*v505*/
	s_set_vgpr_msb 0x41                     ;  msbs: dst=1 src0=1 src1=0 src2=0
	v_mul_i32_i24_e32 v253 /*v509*/, v201 /*v457*/, v115
	s_set_vgpr_msb 0x55                     ;  msbs: dst=1 src0=1 src1=1 src2=1
	v_add3_u32 v140 /*v396*/, v157 /*v413*/, v140 /*v396*/, v154 /*v410*/
	v_mul_i32_i24_e32 v255 /*v511*/, v251 /*v507*/, v137 /*v393*/
	s_set_vgpr_msb 1                        ;  msbs: dst=0 src0=1 src1=0 src2=0
	v_bfe_i32 v52, v204 /*v460*/, 16, 8
	s_set_vgpr_msb 0                        ;  msbs: dst=0 src0=0 src1=0 src2=0
	v_bfe_i32 v71, v71, 0, 8
	s_set_vgpr_msb 0x55                     ;  msbs: dst=1 src0=1 src1=1 src2=1
	v_add3_u32 v237 /*v493*/, v237 /*v493*/, v242 /*v498*/, v248 /*v504*/
	v_add3_u32 v252 /*v508*/, v140 /*v396*/, v155 /*v411*/, v156 /*v412*/
	ds_load_b64 v[154:155] /*v[410:411]*/, v139 /*v395*/ offset:27200
	ds_load_b64 v[156:157] /*v[412:413]*/, v206 /*v462*/ offset:27200
	v_ashrrev_i32_e32 v205 /*v461*/, 24, v205 /*v461*/
	v_lshrrev_b16 v206 /*v462*/, 8, v202 /*v458*/
	v_add3_u32 v236 /*v492*/, v236 /*v492*/, v240 /*v496*/, v246 /*v502*/
	v_add3_u32 v240 /*v496*/, v241 /*v497*/, v247 /*v503*/, v254 /*v510*/
	s_set_vgpr_msb 4                        ;  msbs: dst=0 src0=0 src1=1 src2=0
	v_mul_i32_i24_e32 v54, v86, v127 /*v383*/
	s_set_vgpr_msb 0x45                     ;  msbs: dst=1 src0=1 src1=1 src2=0
	v_mul_i32_i24_e32 v241 /*v497*/, v197 /*v453*/, v0 /*v256*/
	s_set_vgpr_msb 0x44                     ;  msbs: dst=1 src0=0 src1=1 src2=0
	v_mul_i32_i24_e32 v242 /*v498*/, v84, v24 /*v280*/
	v_mul_i32_i24_e32 v243 /*v499*/, v86, v25 /*v281*/
	s_wait_dscnt 0x0
	v_dual_lshrrev_b32 v139 /*v395*/, 16, v154 /*v410*/ :: v_dual_lshrrev_b32 v140 /*v396*/, 16, v156 /*v412*/
	s_set_vgpr_msb 0x41                     ;  msbs: dst=1 src0=1 src1=0 src2=0
	v_cvt_f32_f16_e64 v158 /*v414*/, v154 /*v410*/
	v_cvt_f32_f16_e64 v172 /*v428*/, v155 /*v411*/
	;; [unrolled: 1-line block ×5, first 2 shown]
	s_set_vgpr_msb 0x44                     ;  msbs: dst=1 src0=0 src1=1 src2=0
	v_dual_lshrrev_b32 v139 /*v395*/, 16, v155 /*v411*/ :: v_dual_lshrrev_b32 v140 /*v396*/, 16, v157 /*v413*/
	s_set_vgpr_msb 0x41                     ;  msbs: dst=1 src0=1 src1=0 src2=0
	v_cvt_f32_f16_e64 v173 /*v429*/, v157 /*v413*/
	s_set_vgpr_msb 64                       ;  msbs: dst=1 src0=0 src1=0 src2=0
	v_cvt_f32_i32_e32 v157 /*v413*/, v53
	v_cvt_f32_i32_e32 v156 /*v412*/, v55
	s_set_vgpr_msb 0x41                     ;  msbs: dst=1 src0=1 src1=0 src2=0
	v_cvt_f32_f16_e64 v154 /*v410*/, v139 /*v395*/
	v_cvt_f32_f16_e64 v155 /*v411*/, v140 /*v396*/
	s_set_vgpr_msb 0x44                     ;  msbs: dst=1 src0=0 src1=1 src2=0
	v_bfe_u32 v139 /*v395*/, v110, 20, 4
	v_and_b32_e32 v140 /*v396*/, 0xffff, v171 /*v427*/
	s_set_vgpr_msb 0                        ;  msbs: dst=0 src0=0 src1=0 src2=0
	v_bfe_u32 v110, v110, 4, 4
	s_set_vgpr_msb 1                        ;  msbs: dst=0 src0=1 src1=0 src2=0
	v_mul_i32_i24_e32 v58, v205 /*v461*/, v103
	s_set_vgpr_msb 0x44                     ;  msbs: dst=1 src0=0 src1=1 src2=0
	v_pk_fma_f32 v[168:169] /*v[424:425]*/, v[98:99], v[160:161] /*v[416:417]*/, 0 op_sel_hi:[0,1,0]
	s_set_vgpr_msb 5                        ;  msbs: dst=0 src0=1 src1=1 src2=0
	v_mul_i32_i24_e32 v61, v139 /*v395*/, v152 /*v408*/
	v_mul_i32_i24_e32 v55, v140 /*v396*/, v142 /*v398*/
	s_set_vgpr_msb 4                        ;  msbs: dst=0 src0=0 src1=1 src2=0
	v_mul_i32_i24_e32 v53, v110, v141 /*v397*/
	s_set_vgpr_msb 0x45                     ;  msbs: dst=1 src0=1 src1=1 src2=0
	v_mul_i32_i24_e32 v141 /*v397*/, v118 /*v374*/, v153 /*v409*/
	v_and_b32_e32 v142 /*v398*/, 0xffff, v170 /*v426*/
	v_bfe_i32 v152 /*v408*/, v206 /*v462*/, 0, 8
	v_bfe_i32 v153 /*v409*/, v202 /*v458*/, 0, 8
	s_set_vgpr_msb 1                        ;  msbs: dst=0 src0=1 src1=0 src2=0
	v_add3_u32 v53, v252 /*v508*/, v53, v55
	s_set_vgpr_msb 4                        ;  msbs: dst=0 src0=0 src1=1 src2=0
	v_ashrrev_i32_e32 v55, 24, v202 /*v458*/
	s_set_vgpr_msb 0x45                     ;  msbs: dst=1 src0=1 src1=1 src2=0
	v_mul_i32_i24_e32 v144 /*v400*/, v142 /*v398*/, v144 /*v400*/
	v_ashrrev_i32_e32 v170 /*v426*/, 24, v203 /*v459*/
	s_set_vgpr_msb 0x41                     ;  msbs: dst=1 src0=1 src1=0 src2=0
	v_mul_i32_i24_e32 v167 /*v423*/, v153 /*v409*/, v110
	s_set_vgpr_msb 16                       ;  msbs: dst=0 src0=0 src1=0 src2=1
	v_add3_u32 v53, v53, v61, v141 /*v397*/
	s_set_vgpr_msb 64                       ;  msbs: dst=1 src0=0 src1=0 src2=0
	v_bfe_u32 v141 /*v397*/, v111, 20, 4
	s_set_vgpr_msb 0                        ;  msbs: dst=0 src0=0 src1=0 src2=0
	v_bfe_u32 v111, v111, 4, 4
	s_set_vgpr_msb 1                        ;  msbs: dst=0 src0=1 src1=0 src2=0
	v_bfe_i32 v61, v202 /*v458*/, 16, 8
	s_set_vgpr_msb 0x44                     ;  msbs: dst=1 src0=0 src1=1 src2=0
	v_mul_i32_i24_e32 v206 /*v462*/, v55, v118 /*v374*/
	s_set_vgpr_msb 0x45                     ;  msbs: dst=1 src0=1 src1=1 src2=0
	v_mul_i32_i24_e32 v171 /*v427*/, v152 /*v408*/, v140 /*v396*/
	v_mul_i32_i24_e32 v150 /*v406*/, v141 /*v397*/, v150 /*v406*/
	s_set_vgpr_msb 0x44                     ;  msbs: dst=1 src0=0 src1=1 src2=0
	v_mul_i32_i24_e32 v143 /*v399*/, v111, v143 /*v399*/
	v_mul_i32_i24_e32 v202 /*v458*/, v61, v139 /*v395*/
	s_set_vgpr_msb 0x41                     ;  msbs: dst=1 src0=1 src1=0 src2=0
	v_bfe_i32 v252 /*v508*/, v203 /*v459*/, 16, 8
	v_bfe_i32 v203 /*v459*/, v203 /*v459*/, 0, 8
	s_set_vgpr_msb 5                        ;  msbs: dst=0 src0=1 src1=1 src2=0
	v_mul_i32_i24_e32 v40, v170 /*v426*/, v119 /*v375*/
	s_set_vgpr_msb 20                       ;  msbs: dst=0 src0=0 src1=1 src2=1
	v_add3_u32 v53, v53, v143 /*v399*/, v144 /*v400*/
	s_set_vgpr_msb 0x44                     ;  msbs: dst=1 src0=0 src1=1 src2=0
	v_bfe_u32 v143 /*v399*/, v112, 20, 4
	v_and_b32_e32 v144 /*v400*/, 0xffff, v166 /*v422*/
	s_set_vgpr_msb 0                        ;  msbs: dst=0 src0=0 src1=0 src2=0
	v_bfe_u32 v112, v112, 4, 4
	s_set_vgpr_msb 0x44                     ;  msbs: dst=1 src0=0 src1=1 src2=0
	v_ashrrev_i32_e32 v166 /*v422*/, 24, v204 /*v460*/
	s_set_vgpr_msb 20                       ;  msbs: dst=0 src0=0 src1=1 src2=1
	v_add3_u32 v53, v53, v150 /*v406*/, v151 /*v407*/
	s_set_vgpr_msb 0x45                     ;  msbs: dst=1 src0=1 src1=1 src2=0
	v_mul_i32_i24_e32 v148 /*v404*/, v143 /*v399*/, v148 /*v404*/
	v_mul_i32_i24_e32 v147 /*v403*/, v144 /*v400*/, v147 /*v403*/
	s_set_vgpr_msb 0x44                     ;  msbs: dst=1 src0=0 src1=1 src2=0
	v_mul_i32_i24_e32 v146 /*v402*/, v112, v146 /*v402*/
	v_mul_i32_i24_e32 v151 /*v407*/, v69, v142 /*v398*/
	s_set_vgpr_msb 0x41                     ;  msbs: dst=1 src0=1 src1=0 src2=0
	v_bfe_i32 v204 /*v460*/, v204 /*v460*/, 0, 8
	s_set_vgpr_msb 17                       ;  msbs: dst=0 src0=1 src1=0 src2=1
	v_add3_u32 v67, v238 /*v494*/, v67, v206 /*v462*/
	s_set_vgpr_msb 0x41                     ;  msbs: dst=1 src0=1 src1=0 src2=0
	v_mul_i32_i24_e32 v150 /*v406*/, v203 /*v459*/, v111
	s_set_vgpr_msb 20                       ;  msbs: dst=0 src0=0 src1=1 src2=1
	v_add3_u32 v53, v53, v146 /*v402*/, v147 /*v403*/
	s_set_vgpr_msb 5                        ;  msbs: dst=0 src0=1 src1=1 src2=0
	v_mul_i32_i24_e32 v92, v252 /*v508*/, v141 /*v397*/
	s_set_vgpr_msb 0x41                     ;  msbs: dst=1 src0=1 src1=0 src2=0
	v_mul_i32_i24_e32 v146 /*v402*/, v204 /*v460*/, v112
	s_set_vgpr_msb 0x44                     ;  msbs: dst=1 src0=0 src1=1 src2=0
	v_mul_i32_i24_e32 v147 /*v403*/, v71, v144 /*v400*/
	s_set_vgpr_msb 0x55                     ;  msbs: dst=1 src0=1 src1=1 src2=1
	v_add3_u32 v167 /*v423*/, v236 /*v492*/, v253 /*v509*/, v167 /*v423*/
	s_set_vgpr_msb 20                       ;  msbs: dst=0 src0=0 src1=1 src2=1
	v_add3_u32 v53, v53, v148 /*v404*/, v149 /*v405*/
	s_set_vgpr_msb 0x45                     ;  msbs: dst=1 src0=1 src1=1 src2=0
	v_mul_i32_i24_e32 v149 /*v405*/, v166 /*v422*/, v120 /*v376*/
	s_set_vgpr_msb 0x44                     ;  msbs: dst=1 src0=0 src1=1 src2=0
	v_mul_i32_i24_e32 v148 /*v404*/, v52, v143 /*v399*/
	s_set_vgpr_msb 0x55                     ;  msbs: dst=1 src0=1 src1=1 src2=1
	v_add3_u32 v202 /*v458*/, v237 /*v493*/, v255 /*v511*/, v202 /*v458*/
	v_add3_u32 v151 /*v407*/, v240 /*v496*/, v171 /*v427*/, v151 /*v407*/
	;; [unrolled: 1-line block ×3, first 2 shown]
	s_set_vgpr_msb 16                       ;  msbs: dst=0 src0=0 src1=0 src2=1
	v_add3_u32 v40, v67, v40, v149 /*v405*/
	s_set_vgpr_msb 20                       ;  msbs: dst=0 src0=0 src1=1 src2=1
	v_add3_u32 v53, v53, v164 /*v420*/, v165 /*v421*/
	s_set_vgpr_msb 17                       ;  msbs: dst=0 src0=1 src1=0 src2=1
	v_add3_u32 v92, v202 /*v458*/, v92, v148 /*v404*/
	s_set_vgpr_msb 0x44                     ;  msbs: dst=1 src0=0 src1=1 src2=0
	v_mul_i32_i24_e32 v164 /*v420*/, v82, v124 /*v380*/
	v_mul_i32_i24_e32 v165 /*v421*/, v84, v126 /*v382*/
	s_set_vgpr_msb 5                        ;  msbs: dst=0 src0=1 src1=1 src2=0
	v_add3_u32 v40, v151 /*v407*/, v147 /*v403*/, v40
	s_set_vgpr_msb 4                        ;  msbs: dst=0 src0=0 src1=1 src2=0
	v_add3_u32 v53, v53, v163 /*v419*/, v56
	s_set_vgpr_msb 0x45                     ;  msbs: dst=1 src0=1 src1=1 src2=0
	v_pk_fma_f32 v[156:157] /*v[412:413]*/, v[158:159] /*v[414:415]*/, v[156:157] /*v[412:413]*/, 0 op_sel_hi:[1,1,0]
	s_set_vgpr_msb 0x54                     ;  msbs: dst=1 src0=0 src1=1 src2=1
	v_pk_fma_f32 v[148:149] /*v[404:405]*/, v[100:101], v[154:155] /*v[410:411]*/, v[168:169] /*v[424:425]*/ op_sel_hi:[0,1,1]
	s_set_vgpr_msb 1                        ;  msbs: dst=0 src0=1 src1=0 src2=0
	v_mul_i32_i24_e32 v56, v212 /*v468*/, v225
	v_add3_u32 v40, v146 /*v402*/, v92, v40
	s_set_vgpr_msb 0                        ;  msbs: dst=0 src0=0 src1=0 src2=0
	v_mul_lo_u32 v53, v53, v101
	s_set_vgpr_msb 1                        ;  msbs: dst=0 src0=1 src1=0 src2=0
	v_mul_i32_i24_e32 v67, v213 /*v469*/, v227
	s_set_vgpr_msb 0x41                     ;  msbs: dst=1 src0=1 src1=0 src2=0
	v_pk_mul_f32 v[148:149] /*v[404:405]*/, v[148:149] /*v[404:405]*/, v[8:9]
	s_set_vgpr_msb 1                        ;  msbs: dst=0 src0=1 src1=0 src2=0
	v_mul_i32_i24_e32 v92, v214 /*v470*/, v228
	s_set_vgpr_msb 20                       ;  msbs: dst=0 src0=0 src1=1 src2=1
	v_add3_u32 v40, v40, v164 /*v420*/, v165 /*v421*/
	s_set_vgpr_msb 0x41                     ;  msbs: dst=1 src0=1 src1=0 src2=0
	v_mul_i32_i24_e32 v150 /*v406*/, v218 /*v474*/, v233
	v_mul_i32_i24_e32 v151 /*v407*/, v193 /*v449*/, v234
	;; [unrolled: 1-line block ×4, first 2 shown]
	s_set_vgpr_msb 0                        ;  msbs: dst=0 src0=0 src1=0 src2=0
	v_add3_u32 v40, v40, v54, v58
	s_set_vgpr_msb 1                        ;  msbs: dst=0 src0=1 src1=0 src2=0
	v_mul_i32_i24_e32 v54, v190 /*v446*/, v222
	s_set_vgpr_msb 64                       ;  msbs: dst=1 src0=0 src1=0 src2=0
	v_cvt_f32_i32_e32 v146 /*v402*/, v53
	s_set_vgpr_msb 1                        ;  msbs: dst=0 src0=1 src1=0 src2=0
	v_mul_i32_i24_e32 v53, v209 /*v465*/, v221
	v_mul_i32_i24_e32 v58, v191 /*v447*/, v226
	s_set_vgpr_msb 0                        ;  msbs: dst=0 src0=0 src1=0 src2=0
	v_mul_lo_u32 v40, v40, v101
	s_set_vgpr_msb 0x44                     ;  msbs: dst=1 src0=0 src1=1 src2=0
	v_mul_i32_i24_e32 v165 /*v421*/, v240, v222 /*v478*/
	v_mul_i32_i24_e32 v167 /*v423*/, v239, v223 /*v479*/
	;; [unrolled: 1-line block ×8, first 2 shown]
	s_set_vgpr_msb 0x41                     ;  msbs: dst=1 src0=1 src1=0 src2=0
	v_mul_i32_i24_e32 v237 /*v493*/, v228 /*v484*/, v251
	v_mul_i32_i24_e32 v238 /*v494*/, v229 /*v485*/, v253
	s_set_vgpr_msb 64                       ;  msbs: dst=1 src0=0 src1=0 src2=0
	v_cvt_f32_i32_e32 v147 /*v403*/, v40
	s_set_vgpr_msb 1                        ;  msbs: dst=0 src0=1 src1=0 src2=0
	v_mul_i32_i24_e32 v40, v207 /*v463*/, v220
	s_set_vgpr_msb 0x41                     ;  msbs: dst=1 src0=1 src1=0 src2=0
	v_mul_i32_i24_e32 v240 /*v496*/, v230 /*v486*/, v254
	s_set_vgpr_msb 0x55                     ;  msbs: dst=1 src0=1 src1=1 src2=1
	v_pk_fma_f32 v[146:147] /*v[402:403]*/, v[172:173] /*v[428:429]*/, v[146:147] /*v[402:403]*/, v[156:157] /*v[412:413]*/
	s_set_vgpr_msb 1                        ;  msbs: dst=0 src0=1 src1=0 src2=0
	v_mad_i32_i24 v40, v208 /*v464*/, v219, v40
	s_set_vgpr_msb 0x51                     ;  msbs: dst=1 src0=1 src1=0 src2=1
	v_mul_i32_i24_e32 v156 /*v412*/, v219 /*v475*/, v235
	v_mul_i32_i24_e32 v157 /*v413*/, v220 /*v476*/, v236
	v_pk_fma_f32 v[146:147] /*v[402:403]*/, v[146:147] /*v[402:403]*/, v[0:1], v[148:149] /*v[404:405]*/ neg_lo:[0,0,1] neg_hi:[0,0,1]
	s_set_vgpr_msb 0                        ;  msbs: dst=0 src0=0 src1=0 src2=0
	v_add3_u32 v40, v40, v53, v54
	s_set_vgpr_msb 1                        ;  msbs: dst=0 src0=1 src1=0 src2=0
	v_mul_i32_i24_e32 v53, v210 /*v466*/, v223
	v_mul_i32_i24_e32 v54, v211 /*v467*/, v224
	s_set_vgpr_msb 0x41                     ;  msbs: dst=1 src0=1 src1=0 src2=0
	v_mul_i32_i24_e32 v148 /*v404*/, v216 /*v472*/, v231
	s_set_vgpr_msb 4                        ;  msbs: dst=0 src0=0 src1=1 src2=0
	v_pk_add_f32 v[50:51], v[50:51], v[146:147] /*v[402:403]*/
	s_set_vgpr_msb 0x41                     ;  msbs: dst=1 src0=1 src1=0 src2=0
	v_mul_i32_i24_e32 v146 /*v402*/, v215 /*v471*/, v229
	v_mul_i32_i24_e32 v147 /*v403*/, v192 /*v448*/, v230
	s_set_vgpr_msb 0                        ;  msbs: dst=0 src0=0 src1=0 src2=0
	v_add3_u32 v40, v40, v53, v54
	s_set_vgpr_msb 1                        ;  msbs: dst=0 src0=1 src1=0 src2=0
	v_mul_i32_i24_e32 v53, v198 /*v454*/, v249
	v_mul_i32_i24_e32 v54, v235 /*v491*/, v246
	s_set_vgpr_msb 0x41                     ;  msbs: dst=1 src0=1 src1=0 src2=0
	v_mul_i32_i24_e32 v149 /*v405*/, v217 /*v473*/, v232
	s_set_vgpr_msb 0                        ;  msbs: dst=0 src0=0 src1=0 src2=0
	v_add3_u32 v40, v40, v56, v58
	s_set_vgpr_msb 1                        ;  msbs: dst=0 src0=1 src1=0 src2=0
	v_mul_i32_i24_e32 v56, v234 /*v490*/, v252
	v_mad_i32_i24 v53, v233 /*v489*/, v248, v53
	v_mul_i32_i24_e32 v58, v239 /*v495*/, v250
	s_set_vgpr_msb 0                        ;  msbs: dst=0 src0=0 src1=0 src2=0
	v_add3_u32 v40, v40, v67, v92
	s_set_vgpr_msb 5                        ;  msbs: dst=0 src0=1 src1=1 src2=0
	v_mul_i32_i24_e32 v67, v174 /*v430*/, v3 /*v259*/
	s_set_vgpr_msb 0                        ;  msbs: dst=0 src0=0 src1=0 src2=0
	v_add3_u32 v53, v53, v54, v56
	s_set_vgpr_msb 1                        ;  msbs: dst=0 src0=1 src1=0 src2=0
	v_mul_i32_i24_e32 v54, v199 /*v455*/, v255
	s_set_vgpr_msb 5                        ;  msbs: dst=0 src0=1 src1=1 src2=0
	v_mul_i32_i24_e32 v56, v162 /*v418*/, v1 /*v257*/
	s_set_vgpr_msb 20                       ;  msbs: dst=0 src0=0 src1=1 src2=1
	v_add3_u32 v40, v40, v146 /*v402*/, v147 /*v403*/
	s_set_vgpr_msb 5                        ;  msbs: dst=0 src0=1 src1=1 src2=0
	v_mul_i32_i24_e32 v92, v200 /*v456*/, v4 /*v260*/
	s_set_vgpr_msb 0x45                     ;  msbs: dst=1 src0=1 src1=1 src2=0
	v_mul_i32_i24_e32 v146 /*v402*/, v231 /*v487*/, v5 /*v261*/
	v_mul_i32_i24_e32 v147 /*v403*/, v245 /*v501*/, v2 /*v258*/
	s_set_vgpr_msb 0                        ;  msbs: dst=0 src0=0 src1=0 src2=0
	v_add3_u32 v53, v53, v54, v56
	s_set_vgpr_msb 20                       ;  msbs: dst=0 src0=0 src1=1 src2=1
	v_add3_u32 v40, v40, v148 /*v404*/, v149 /*v405*/
	s_set_vgpr_msb 0x45                     ;  msbs: dst=1 src0=1 src1=1 src2=0
	v_mul_i32_i24_e32 v148 /*v404*/, v244 /*v500*/, v7 /*v263*/
	v_mul_i32_i24_e32 v149 /*v405*/, v201 /*v457*/, v8 /*v264*/
	s_set_vgpr_msb 21                       ;  msbs: dst=0 src0=1 src1=1 src2=1
	v_add3_u32 v54, v177 /*v433*/, v175 /*v431*/, v176 /*v432*/
	s_set_vgpr_msb 0                        ;  msbs: dst=0 src0=0 src1=0 src2=0
	v_add3_u32 v53, v53, v58, v67
	s_set_vgpr_msb 20                       ;  msbs: dst=0 src0=0 src1=1 src2=1
	v_add3_u32 v40, v40, v150 /*v406*/, v151 /*v407*/
	s_set_vgpr_msb 0x45                     ;  msbs: dst=1 src0=1 src1=1 src2=0
	v_mul_i32_i24_e32 v150 /*v406*/, v232 /*v488*/, v9 /*v265*/
	v_mul_i32_i24_e32 v151 /*v407*/, v251 /*v507*/, v6 /*v262*/
	s_set_vgpr_msb 16                       ;  msbs: dst=0 src0=0 src1=0 src2=1
	v_mul_lo_u32 v54, v54, v218
	v_add3_u32 v53, v53, v92, v146 /*v402*/
	s_set_vgpr_msb 20                       ;  msbs: dst=0 src0=0 src1=1 src2=1
	v_add3_u32 v40, v40, v156 /*v412*/, v157 /*v413*/
	s_set_vgpr_msb 0x45                     ;  msbs: dst=1 src0=1 src1=1 src2=0
	v_mul_i32_i24_e32 v156 /*v412*/, v250 /*v506*/, v10 /*v266*/
	v_mul_i32_i24_e32 v157 /*v413*/, v153 /*v409*/, v11 /*v267*/
	s_set_vgpr_msb 1                        ;  msbs: dst=0 src0=1 src1=0 src2=0
	v_mul_i32_i24_e32 v56, v212 /*v468*/, v161
	s_set_vgpr_msb 20                       ;  msbs: dst=0 src0=0 src1=1 src2=1
	v_add3_u32 v53, v53, v147 /*v403*/, v148 /*v404*/
	v_add3_u32 v40, v40, v163 /*v419*/, v164 /*v420*/
	s_set_vgpr_msb 0x45                     ;  msbs: dst=1 src0=1 src1=1 src2=0
	v_mul_i32_i24_e32 v163 /*v419*/, v152 /*v408*/, v12 /*v268*/
	s_set_vgpr_msb 0x44                     ;  msbs: dst=1 src0=0 src1=1 src2=0
	v_mul_i32_i24_e32 v164 /*v420*/, v61, v14 /*v270*/
	s_set_vgpr_msb 1                        ;  msbs: dst=0 src0=1 src1=0 src2=0
	v_mul_i32_i24_e32 v58, v191 /*v447*/, v162
	s_set_vgpr_msb 20                       ;  msbs: dst=0 src0=0 src1=1 src2=1
	v_add3_u32 v53, v53, v149 /*v405*/, v150 /*v406*/
	v_add3_u32 v40, v40, v165 /*v421*/, v167 /*v423*/
	s_set_vgpr_msb 0x44                     ;  msbs: dst=1 src0=0 src1=1 src2=0
	v_mul_i32_i24_e32 v165 /*v421*/, v55, v13 /*v269*/
	s_set_vgpr_msb 0x45                     ;  msbs: dst=1 src0=1 src1=1 src2=0
	v_mul_i32_i24_e32 v167 /*v423*/, v203 /*v459*/, v15 /*v271*/
	s_set_vgpr_msb 64                       ;  msbs: dst=1 src0=0 src1=0 src2=0
	v_cvt_f32_i32_e32 v146 /*v402*/, v54
	s_set_vgpr_msb 20                       ;  msbs: dst=0 src0=0 src1=1 src2=1
	v_add3_u32 v53, v53, v151 /*v407*/, v156 /*v412*/
	v_add3_u32 v40, v40, v168 /*v424*/, v169 /*v425*/
	s_set_vgpr_msb 0x44                     ;  msbs: dst=1 src0=0 src1=1 src2=0
	v_mul_i32_i24_e32 v168 /*v424*/, v69, v16 /*v272*/
	s_set_vgpr_msb 0x45                     ;  msbs: dst=1 src0=1 src1=1 src2=0
	v_mul_i32_i24_e32 v169 /*v425*/, v252 /*v508*/, v18 /*v274*/
	s_set_vgpr_msb 1                        ;  msbs: dst=0 src0=1 src1=0 src2=0
	v_mul_i32_i24_e32 v54, v145 /*v401*/, v109
	s_set_vgpr_msb 20                       ;  msbs: dst=0 src0=0 src1=1 src2=1
	v_add3_u32 v53, v53, v157 /*v413*/, v163 /*v419*/
	v_add3_u32 v40, v40, v171 /*v427*/, v202 /*v458*/
	s_set_vgpr_msb 0x45                     ;  msbs: dst=1 src0=1 src1=1 src2=0
	v_mul_i32_i24_e32 v171 /*v427*/, v170 /*v426*/, v17 /*v273*/
	v_mul_i32_i24_e32 v202 /*v458*/, v204 /*v460*/, v19 /*v275*/
	s_set_vgpr_msb 5                        ;  msbs: dst=0 src0=1 src1=1 src2=0
	v_add3_u32 v54, v182 /*v438*/, v181 /*v437*/, v54
	s_set_vgpr_msb 20                       ;  msbs: dst=0 src0=0 src1=1 src2=1
	v_add3_u32 v53, v53, v164 /*v420*/, v165 /*v421*/
	v_add3_u32 v40, v40, v206 /*v462*/, v236 /*v492*/
	s_set_vgpr_msb 0x44                     ;  msbs: dst=1 src0=0 src1=1 src2=0
	v_mul_i32_i24_e32 v206 /*v462*/, v71, v20 /*v276*/
	v_mul_i32_i24_e32 v236 /*v492*/, v52, v22 /*v278*/
	v_pk_fma_f32 v[148:149] /*v[404:405]*/, v[102:103], v[160:161] /*v[416:417]*/, 0 op_sel_hi:[0,1,0]
	s_set_vgpr_msb 20                       ;  msbs: dst=0 src0=0 src1=1 src2=1
	v_add3_u32 v53, v53, v167 /*v423*/, v168 /*v424*/
	v_add3_u32 v40, v40, v237 /*v493*/, v238 /*v494*/
	s_set_vgpr_msb 0x45                     ;  msbs: dst=1 src0=1 src1=1 src2=0
	v_mul_i32_i24_e32 v237 /*v493*/, v166 /*v422*/, v21 /*v277*/
	s_set_vgpr_msb 0x54                     ;  msbs: dst=1 src0=0 src1=1 src2=1
	v_mul_i32_i24_e32 v238 /*v494*/, v82, v23 /*v279*/
	v_pk_fma_f32 v[148:149] /*v[404:405]*/, v[104:105], v[154:155] /*v[410:411]*/, v[148:149] /*v[404:405]*/ op_sel_hi:[0,1,1]
	s_set_vgpr_msb 20                       ;  msbs: dst=0 src0=0 src1=1 src2=1
	v_add3_u32 v53, v53, v169 /*v425*/, v171 /*v427*/
	v_add3_u32 v40, v40, v240 /*v496*/, v241 /*v497*/
	s_set_vgpr_msb 1                        ;  msbs: dst=0 src0=1 src1=0 src2=0
	v_mul_i32_i24_e32 v67, v213 /*v469*/, v163
	v_mul_i32_i24_e32 v92, v214 /*v470*/, v164
	s_set_vgpr_msb 0x41                     ;  msbs: dst=1 src0=1 src1=0 src2=0
	v_pk_mul_f32 v[148:149] /*v[404:405]*/, v[148:149] /*v[404:405]*/, v[10:11]
	s_set_vgpr_msb 20                       ;  msbs: dst=0 src0=0 src1=1 src2=1
	v_add3_u32 v53, v53, v202 /*v458*/, v206 /*v462*/
	s_set_vgpr_msb 0                        ;  msbs: dst=0 src0=0 src1=0 src2=0
	v_mul_lo_u32 v40, v40, v218
	s_set_vgpr_msb 0x41                     ;  msbs: dst=1 src0=1 src1=0 src2=0
	v_mul_i32_i24_e32 v156 /*v412*/, v219 /*v475*/, v171
	v_mul_i32_i24_e32 v157 /*v413*/, v220 /*v476*/, v172
	v_mul_i32_i24_e32 v163 /*v419*/, v221 /*v477*/, v173
	s_set_vgpr_msb 20                       ;  msbs: dst=0 src0=0 src1=1 src2=1
	v_add3_u32 v53, v53, v236 /*v492*/, v237 /*v493*/
	s_set_vgpr_msb 0x41                     ;  msbs: dst=1 src0=1 src1=0 src2=0
	v_mul_i32_i24_e32 v164 /*v420*/, v194 /*v450*/, v174
	s_set_vgpr_msb 0x44                     ;  msbs: dst=1 src0=0 src1=1 src2=0
	v_mul_i32_i24_e32 v165 /*v421*/, v176, v222 /*v478*/
	v_mul_i32_i24_e32 v167 /*v423*/, v175, v223 /*v479*/
	;; [unrolled: 1-line block ×3, first 2 shown]
	s_set_vgpr_msb 20                       ;  msbs: dst=0 src0=0 src1=1 src2=1
	v_add3_u32 v53, v53, v238 /*v494*/, v242 /*v498*/
	s_set_vgpr_msb 0x44                     ;  msbs: dst=1 src0=0 src1=1 src2=0
	v_mul_i32_i24_e32 v169 /*v425*/, v177, v195 /*v451*/
	v_cvt_f32_i32_e32 v147 /*v403*/, v40
	s_set_vgpr_msb 1                        ;  msbs: dst=0 src0=1 src1=0 src2=0
	v_mul_i32_i24_e32 v40, v205 /*v461*/, v109
	s_set_vgpr_msb 0x44                     ;  msbs: dst=1 src0=0 src1=1 src2=0
	v_mul_i32_i24_e32 v171 /*v427*/, v180, v225 /*v481*/
	v_mul_i32_i24_e32 v175 /*v431*/, v179, v226 /*v482*/
	;; [unrolled: 1-line block ×3, first 2 shown]
	s_set_vgpr_msb 0x45                     ;  msbs: dst=1 src0=1 src1=1 src2=0
	v_pk_fma_f32 v[146:147] /*v[402:403]*/, v[158:159] /*v[414:415]*/, v[146:147] /*v[402:403]*/, 0 op_sel_hi:[1,1,0]
	s_set_vgpr_msb 4                        ;  msbs: dst=0 src0=0 src1=1 src2=0
	v_add3_u32 v40, v53, v243 /*v499*/, v40
	s_set_vgpr_msb 0                        ;  msbs: dst=0 src0=0 src1=0 src2=0
	v_mul_lo_u32 v53, v54, v157
	s_set_vgpr_msb 1                        ;  msbs: dst=0 src0=1 src1=0 src2=0
	v_mul_i32_i24_e32 v54, v190 /*v446*/, v158
	s_set_vgpr_msb 0x44                     ;  msbs: dst=1 src0=0 src1=1 src2=0
	v_mul_i32_i24_e32 v177 /*v433*/, v181, v196 /*v452*/
	s_set_vgpr_msb 0x41                     ;  msbs: dst=1 src0=1 src1=0 src2=0
	v_mul_i32_i24_e32 v181 /*v437*/, v228 /*v484*/, v187
	s_set_vgpr_msb 0                        ;  msbs: dst=0 src0=0 src1=0 src2=0
	v_mul_lo_u32 v40, v40, v157
	s_set_vgpr_msb 0x41                     ;  msbs: dst=1 src0=1 src1=0 src2=0
	v_mul_i32_i24_e32 v182 /*v438*/, v229 /*v485*/, v189
	v_mul_i32_i24_e32 v202 /*v458*/, v230 /*v486*/, v190
	;; [unrolled: 1-line block ×3, first 2 shown]
	s_set_vgpr_msb 64                       ;  msbs: dst=1 src0=0 src1=0 src2=0
	v_mul_i32_i24_e32 v236 /*v492*/, v84, v216
	v_mul_i32_i24_e32 v237 /*v493*/, v86, v217
	s_set_vgpr_msb 4                        ;  msbs: dst=0 src0=0 src1=1 src2=0
	v_mul_i32_i24_e32 v84, v84, v90 /*v346*/
	s_set_vgpr_msb 64                       ;  msbs: dst=1 src0=0 src1=0 src2=0
	v_cvt_f32_i32_e32 v150 /*v406*/, v53
	s_set_vgpr_msb 1                        ;  msbs: dst=0 src0=1 src1=0 src2=0
	v_mul_i32_i24_e32 v53, v209 /*v465*/, v124
	s_set_vgpr_msb 4                        ;  msbs: dst=0 src0=0 src1=1 src2=0
	v_mul_i32_i24_e32 v86, v86, v91 /*v347*/
	s_set_vgpr_msb 64                       ;  msbs: dst=1 src0=0 src1=0 src2=0
	v_cvt_f32_i32_e32 v151 /*v407*/, v40
	s_set_vgpr_msb 1                        ;  msbs: dst=0 src0=1 src1=0 src2=0
	v_mul_i32_i24_e32 v40, v207 /*v463*/, v122
	s_set_vgpr_msb 0x55                     ;  msbs: dst=1 src0=1 src1=1 src2=1
	s_delay_alu instid0(VALU_DEP_2) | instskip(SKIP_1) | instid1(VALU_DEP_2)
	v_pk_fma_f32 v[146:147] /*v[402:403]*/, v[172:173] /*v[428:429]*/, v[150:151] /*v[406:407]*/, v[146:147] /*v[402:403]*/
	s_set_vgpr_msb 1                        ;  msbs: dst=0 src0=1 src1=0 src2=0
	v_mad_i32_i24 v40, v208 /*v464*/, v120, v40
	s_set_vgpr_msb 0x51                     ;  msbs: dst=1 src0=1 src1=0 src2=1
	v_mul_i32_i24_e32 v150 /*v406*/, v218 /*v474*/, v169
	v_mul_i32_i24_e32 v151 /*v407*/, v193 /*v449*/, v170
	v_pk_fma_f32 v[146:147] /*v[402:403]*/, v[146:147] /*v[402:403]*/, v[2:3], v[148:149] /*v[404:405]*/ neg_lo:[0,0,1] neg_hi:[0,0,1]
	s_set_vgpr_msb 0                        ;  msbs: dst=0 src0=0 src1=0 src2=0
	v_add3_u32 v40, v40, v53, v54
	s_set_vgpr_msb 1                        ;  msbs: dst=0 src0=1 src1=0 src2=0
	v_mul_i32_i24_e32 v53, v210 /*v466*/, v159
	v_mul_i32_i24_e32 v54, v211 /*v467*/, v160
	s_set_vgpr_msb 0x41                     ;  msbs: dst=1 src0=1 src1=0 src2=0
	v_mul_i32_i24_e32 v148 /*v404*/, v216 /*v472*/, v167
	s_set_vgpr_msb 4                        ;  msbs: dst=0 src0=0 src1=1 src2=0
	v_pk_add_f32 v[48:49], v[48:49], v[146:147] /*v[402:403]*/
	s_set_vgpr_msb 0x41                     ;  msbs: dst=1 src0=1 src1=0 src2=0
	v_mul_i32_i24_e32 v146 /*v402*/, v215 /*v471*/, v165
	v_mul_i32_i24_e32 v147 /*v403*/, v192 /*v448*/, v166
	s_set_vgpr_msb 0                        ;  msbs: dst=0 src0=0 src1=0 src2=0
	v_add3_u32 v40, v40, v53, v54
	s_set_vgpr_msb 1                        ;  msbs: dst=0 src0=1 src1=0 src2=0
	v_mul_i32_i24_e32 v53, v198 /*v454*/, v185
	v_mul_i32_i24_e32 v54, v235 /*v491*/, v182
	s_set_vgpr_msb 0x41                     ;  msbs: dst=1 src0=1 src1=0 src2=0
	v_mul_i32_i24_e32 v149 /*v405*/, v217 /*v473*/, v168
	s_set_vgpr_msb 0                        ;  msbs: dst=0 src0=0 src1=0 src2=0
	v_add3_u32 v40, v40, v56, v58
	s_set_vgpr_msb 1                        ;  msbs: dst=0 src0=1 src1=0 src2=0
	v_mul_i32_i24_e32 v56, v234 /*v490*/, v188
	v_mad_i32_i24 v53, v233 /*v489*/, v184, v53
	v_mul_i32_i24_e32 v58, v239 /*v495*/, v186
	s_set_vgpr_msb 0                        ;  msbs: dst=0 src0=0 src1=0 src2=0
	v_add3_u32 v40, v40, v67, v92
	s_set_vgpr_msb 1                        ;  msbs: dst=0 src0=1 src1=0 src2=0
	v_mul_i32_i24_e32 v67, v174 /*v430*/, v195
	s_set_vgpr_msb 0                        ;  msbs: dst=0 src0=0 src1=0 src2=0
	v_add3_u32 v53, v53, v54, v56
	s_set_vgpr_msb 1                        ;  msbs: dst=0 src0=1 src1=0 src2=0
	v_mul_i32_i24_e32 v54, v199 /*v455*/, v191
	v_mul_i32_i24_e32 v56, v162 /*v418*/, v193
	s_set_vgpr_msb 20                       ;  msbs: dst=0 src0=0 src1=1 src2=1
	v_add3_u32 v40, v40, v146 /*v402*/, v147 /*v403*/
	s_set_vgpr_msb 1                        ;  msbs: dst=0 src0=1 src1=0 src2=0
	v_mul_i32_i24_e32 v92, v200 /*v456*/, v196
	s_set_vgpr_msb 0x41                     ;  msbs: dst=1 src0=1 src1=0 src2=0
	v_mul_i32_i24_e32 v146 /*v402*/, v231 /*v487*/, v197
	v_mul_i32_i24_e32 v147 /*v403*/, v245 /*v501*/, v194
	s_set_vgpr_msb 0                        ;  msbs: dst=0 src0=0 src1=0 src2=0
	v_add3_u32 v53, v53, v54, v56
	s_set_vgpr_msb 20                       ;  msbs: dst=0 src0=0 src1=1 src2=1
	v_add3_u32 v40, v40, v148 /*v404*/, v149 /*v405*/
	s_set_vgpr_msb 0x41                     ;  msbs: dst=1 src0=1 src1=0 src2=0
	v_mul_i32_i24_e32 v148 /*v404*/, v244 /*v500*/, v199
	v_mul_i32_i24_e32 v149 /*v405*/, v201 /*v457*/, v200
	s_set_vgpr_msb 21                       ;  msbs: dst=0 src0=1 src1=1 src2=1
	v_add3_u32 v54, v180 /*v436*/, v178 /*v434*/, v179 /*v435*/
	s_set_vgpr_msb 0                        ;  msbs: dst=0 src0=0 src1=0 src2=0
	v_add3_u32 v53, v53, v58, v67
	s_set_vgpr_msb 20                       ;  msbs: dst=0 src0=0 src1=1 src2=1
	v_add3_u32 v40, v40, v150 /*v406*/, v151 /*v407*/
	s_set_vgpr_msb 0x41                     ;  msbs: dst=1 src0=1 src1=0 src2=0
	v_mul_i32_i24_e32 v150 /*v406*/, v232 /*v488*/, v201
	v_mul_i32_i24_e32 v151 /*v407*/, v251 /*v507*/, v198
	s_set_vgpr_msb 16                       ;  msbs: dst=0 src0=0 src1=0 src2=1
	v_mul_lo_u32 v54, v54, v107
	v_add3_u32 v53, v53, v92, v146 /*v402*/
	s_set_vgpr_msb 20                       ;  msbs: dst=0 src0=0 src1=1 src2=1
	v_add3_u32 v40, v40, v156 /*v412*/, v157 /*v413*/
	s_set_vgpr_msb 0x41                     ;  msbs: dst=1 src0=1 src1=0 src2=0
	v_mul_i32_i24_e32 v156 /*v412*/, v250 /*v506*/, v202
	v_mul_i32_i24_e32 v157 /*v413*/, v153 /*v409*/, v203
	s_set_vgpr_msb 5                        ;  msbs: dst=0 src0=1 src1=1 src2=0
	v_mul_i32_i24_e32 v56, v212 /*v468*/, v35 /*v291*/
	s_set_vgpr_msb 20                       ;  msbs: dst=0 src0=0 src1=1 src2=1
	v_add3_u32 v53, v53, v147 /*v403*/, v148 /*v404*/
	v_add3_u32 v40, v40, v163 /*v419*/, v164 /*v420*/
	s_set_vgpr_msb 0x41                     ;  msbs: dst=1 src0=1 src1=0 src2=0
	v_mul_i32_i24_e32 v163 /*v419*/, v152 /*v408*/, v204
	s_set_vgpr_msb 64                       ;  msbs: dst=1 src0=0 src1=0 src2=0
	v_mul_i32_i24_e32 v164 /*v420*/, v61, v206
	s_set_vgpr_msb 5                        ;  msbs: dst=0 src0=1 src1=1 src2=0
	v_mul_i32_i24_e32 v58, v191 /*v447*/, v36 /*v292*/
	s_set_vgpr_msb 20                       ;  msbs: dst=0 src0=0 src1=1 src2=1
	v_add3_u32 v53, v53, v149 /*v405*/, v150 /*v406*/
	v_add3_u32 v40, v40, v165 /*v421*/, v167 /*v423*/
	s_set_vgpr_msb 64                       ;  msbs: dst=1 src0=0 src1=0 src2=0
	v_mul_i32_i24_e32 v165 /*v421*/, v55, v205
	s_set_vgpr_msb 0x41                     ;  msbs: dst=1 src0=1 src1=0 src2=0
	v_mul_i32_i24_e32 v167 /*v423*/, v203 /*v459*/, v207
	s_set_vgpr_msb 64                       ;  msbs: dst=1 src0=0 src1=0 src2=0
	v_cvt_f32_i32_e32 v146 /*v402*/, v54
	s_set_vgpr_msb 20                       ;  msbs: dst=0 src0=0 src1=1 src2=1
	v_add3_u32 v53, v53, v151 /*v407*/, v156 /*v412*/
	v_add3_u32 v40, v40, v168 /*v424*/, v169 /*v425*/
	s_set_vgpr_msb 64                       ;  msbs: dst=1 src0=0 src1=0 src2=0
	v_mul_i32_i24_e32 v168 /*v424*/, v69, v208
	s_set_vgpr_msb 0x41                     ;  msbs: dst=1 src0=1 src1=0 src2=0
	v_mul_i32_i24_e32 v169 /*v425*/, v252 /*v508*/, v210
	s_set_vgpr_msb 1                        ;  msbs: dst=0 src0=1 src1=0 src2=0
	v_mul_i32_i24_e32 v54, v145 /*v401*/, v97
	s_set_vgpr_msb 20                       ;  msbs: dst=0 src0=0 src1=1 src2=1
	v_add3_u32 v53, v53, v157 /*v413*/, v163 /*v419*/
	v_add3_u32 v40, v40, v171 /*v427*/, v175 /*v431*/
	s_set_vgpr_msb 0x41                     ;  msbs: dst=1 src0=1 src1=0 src2=0
	v_mul_i32_i24_e32 v171 /*v427*/, v170 /*v426*/, v209
	v_mul_i32_i24_e32 v175 /*v431*/, v204 /*v460*/, v211
	s_set_vgpr_msb 5                        ;  msbs: dst=0 src0=1 src1=1 src2=0
	v_add3_u32 v54, v184 /*v440*/, v183 /*v439*/, v54
	s_set_vgpr_msb 20                       ;  msbs: dst=0 src0=0 src1=1 src2=1
	v_add3_u32 v53, v53, v164 /*v420*/, v165 /*v421*/
	v_add3_u32 v40, v40, v176 /*v432*/, v177 /*v433*/
	s_set_vgpr_msb 64                       ;  msbs: dst=1 src0=0 src1=0 src2=0
	v_mul_i32_i24_e32 v176 /*v432*/, v71, v212
	v_mul_i32_i24_e32 v177 /*v433*/, v52, v214
	s_set_vgpr_msb 0x44                     ;  msbs: dst=1 src0=0 src1=1 src2=0
	v_pk_fma_f32 v[148:149] /*v[404:405]*/, v[94:95], v[160:161] /*v[416:417]*/, 0 op_sel_hi:[0,1,0]
	s_set_vgpr_msb 20                       ;  msbs: dst=0 src0=0 src1=1 src2=1
	v_add3_u32 v53, v53, v167 /*v423*/, v168 /*v424*/
	v_add3_u32 v40, v40, v181 /*v437*/, v182 /*v438*/
	s_set_vgpr_msb 0x41                     ;  msbs: dst=1 src0=1 src1=0 src2=0
	v_mul_i32_i24_e32 v181 /*v437*/, v166 /*v422*/, v213
	s_set_vgpr_msb 64                       ;  msbs: dst=1 src0=0 src1=0 src2=0
	v_mul_i32_i24_e32 v182 /*v438*/, v82, v215
	s_set_vgpr_msb 0x54                     ;  msbs: dst=1 src0=0 src1=1 src2=1
	v_pk_fma_f32 v[148:149] /*v[404:405]*/, v[96:97], v[154:155] /*v[410:411]*/, v[148:149] /*v[404:405]*/ op_sel_hi:[0,1,1]
	s_set_vgpr_msb 20                       ;  msbs: dst=0 src0=0 src1=1 src2=1
	v_add3_u32 v53, v53, v169 /*v425*/, v171 /*v427*/
	v_add3_u32 v40, v40, v202 /*v458*/, v206 /*v462*/
	s_set_vgpr_msb 5                        ;  msbs: dst=0 src0=1 src1=1 src2=0
	v_mul_i32_i24_e32 v67, v213 /*v469*/, v37 /*v293*/
	v_mul_i32_i24_e32 v92, v214 /*v470*/, v38 /*v294*/
	s_set_vgpr_msb 0x41                     ;  msbs: dst=1 src0=1 src1=0 src2=0
	v_pk_mul_f32 v[148:149] /*v[404:405]*/, v[148:149] /*v[404:405]*/, v[12:13]
	s_set_vgpr_msb 20                       ;  msbs: dst=0 src0=0 src1=1 src2=1
	v_add3_u32 v53, v53, v175 /*v431*/, v176 /*v432*/
	s_set_vgpr_msb 0                        ;  msbs: dst=0 src0=0 src1=0 src2=0
	v_mul_lo_u32 v40, v40, v107
	s_set_vgpr_msb 0x45                     ;  msbs: dst=1 src0=1 src1=1 src2=0
	v_mul_i32_i24_e32 v156 /*v412*/, v219 /*v475*/, v45 /*v301*/
	v_mul_i32_i24_e32 v157 /*v413*/, v220 /*v476*/, v46 /*v302*/
	;; [unrolled: 1-line block ×3, first 2 shown]
	s_set_vgpr_msb 20                       ;  msbs: dst=0 src0=0 src1=1 src2=1
	v_add3_u32 v53, v53, v177 /*v433*/, v181 /*v437*/
	s_set_vgpr_msb 0x45                     ;  msbs: dst=1 src0=1 src1=1 src2=0
	v_mul_i32_i24_e32 v164 /*v420*/, v194 /*v450*/, v48 /*v304*/
	v_mul_i32_i24_e32 v165 /*v421*/, v50 /*v306*/, v222 /*v478*/
	;; [unrolled: 1-line block ×4, first 2 shown]
	s_set_vgpr_msb 20                       ;  msbs: dst=0 src0=0 src1=1 src2=1
	v_add3_u32 v53, v53, v182 /*v438*/, v236 /*v492*/
	s_set_vgpr_msb 0x45                     ;  msbs: dst=1 src0=1 src1=1 src2=0
	v_mul_i32_i24_e32 v152 /*v408*/, v152 /*v408*/, v78 /*v334*/
	s_set_vgpr_msb 64                       ;  msbs: dst=1 src0=0 src1=0 src2=0
	v_cvt_f32_i32_e32 v147 /*v403*/, v40
	s_set_vgpr_msb 1                        ;  msbs: dst=0 src0=1 src1=0 src2=0
	v_mul_i32_i24_e32 v40, v205 /*v461*/, v97
	s_set_vgpr_msb 0x45                     ;  msbs: dst=1 src0=1 src1=1 src2=0
	v_mul_i32_i24_e32 v168 /*v424*/, v52 /*v308*/, v224 /*v480*/
	v_mul_i32_i24_e32 v169 /*v425*/, v51 /*v307*/, v195 /*v451*/
	s_set_vgpr_msb 4                        ;  msbs: dst=0 src0=0 src1=1 src2=0
	v_mul_i32_i24_e32 v61, v61, v80 /*v336*/
	s_set_vgpr_msb 0x45                     ;  msbs: dst=1 src0=1 src1=1 src2=0
	v_pk_fma_f32 v[146:147] /*v[402:403]*/, v[158:159] /*v[414:415]*/, v[146:147] /*v[402:403]*/, 0 op_sel_hi:[1,1,0]
	s_set_vgpr_msb 4                        ;  msbs: dst=0 src0=0 src1=1 src2=0
	v_add3_u32 v40, v53, v237 /*v493*/, v40
	s_set_vgpr_msb 0                        ;  msbs: dst=0 src0=0 src1=0 src2=0
	v_mul_lo_u32 v53, v54, v99
	s_set_vgpr_msb 5                        ;  msbs: dst=0 src0=1 src1=1 src2=0
	v_mul_i32_i24_e32 v54, v190 /*v446*/, v32 /*v288*/
	s_set_vgpr_msb 4                        ;  msbs: dst=0 src0=0 src1=1 src2=0
	v_mul_i32_i24_e32 v55, v55, v79 /*v335*/
	s_set_vgpr_msb 0x45                     ;  msbs: dst=1 src0=1 src1=1 src2=0
	v_mul_i32_i24_e32 v171 /*v427*/, v54 /*v310*/, v225 /*v481*/
	s_set_vgpr_msb 0                        ;  msbs: dst=0 src0=0 src1=0 src2=0
	v_mul_lo_u32 v40, v40, v99
	s_set_vgpr_msb 0x45                     ;  msbs: dst=1 src0=1 src1=1 src2=0
	v_mul_i32_i24_e32 v175 /*v431*/, v53 /*v309*/, v226 /*v482*/
	s_set_vgpr_msb 4                        ;  msbs: dst=0 src0=0 src1=1 src2=0
	v_mul_i32_i24_e32 v69, v69, v82 /*v338*/
	s_set_vgpr_msb 0x45                     ;  msbs: dst=1 src0=1 src1=1 src2=0
	v_mul_i32_i24_e32 v176 /*v432*/, v57 /*v313*/, v227 /*v483*/
	v_mul_i32_i24_e32 v177 /*v433*/, v55 /*v311*/, v196 /*v452*/
	;; [unrolled: 1-line block ×4, first 2 shown]
	s_set_vgpr_msb 64                       ;  msbs: dst=1 src0=0 src1=0 src2=0
	v_cvt_f32_i32_e32 v150 /*v406*/, v53
	s_set_vgpr_msb 5                        ;  msbs: dst=0 src0=1 src1=1 src2=0
	v_mul_i32_i24_e32 v53, v209 /*v465*/, v31 /*v287*/
	s_set_vgpr_msb 4                        ;  msbs: dst=0 src0=0 src1=1 src2=0
	v_mul_i32_i24_e32 v71, v71, v86 /*v342*/
	s_set_vgpr_msb 0x45                     ;  msbs: dst=1 src0=1 src1=1 src2=0
	v_mul_i32_i24_e32 v180 /*v436*/, v230 /*v486*/, v64 /*v320*/
	s_set_vgpr_msb 64                       ;  msbs: dst=1 src0=0 src1=0 src2=0
	v_cvt_f32_i32_e32 v151 /*v407*/, v40
	s_set_vgpr_msb 5                        ;  msbs: dst=0 src0=1 src1=1 src2=0
	v_mul_i32_i24_e32 v40, v207 /*v463*/, v30 /*v286*/
	s_set_vgpr_msb 0x45                     ;  msbs: dst=1 src0=1 src1=1 src2=0
	v_mul_i32_i24_e32 v181 /*v437*/, v197 /*v453*/, v66 /*v322*/
	s_set_vgpr_msb 4                        ;  msbs: dst=0 src0=0 src1=1 src2=0
	v_mul_i32_i24_e32 v52, v52, v88 /*v344*/
	v_mul_i32_i24_e32 v82, v82, v89 /*v345*/
	s_set_vgpr_msb 0x55                     ;  msbs: dst=1 src0=1 src1=1 src2=1
	v_pk_fma_f32 v[146:147] /*v[402:403]*/, v[172:173] /*v[428:429]*/, v[150:151] /*v[406:407]*/, v[146:147] /*v[402:403]*/
	s_set_vgpr_msb 5                        ;  msbs: dst=0 src0=1 src1=1 src2=0
	v_mad_i32_i24 v40, v208 /*v464*/, v29 /*v285*/, v40
	s_set_vgpr_msb 0x45                     ;  msbs: dst=1 src0=1 src1=1 src2=0
	v_mul_i32_i24_e32 v150 /*v406*/, v218 /*v474*/, v43 /*v299*/
	v_mul_i32_i24_e32 v151 /*v407*/, v193 /*v449*/, v44 /*v300*/
	s_set_vgpr_msb 0x51                     ;  msbs: dst=1 src0=1 src1=0 src2=1
	v_pk_fma_f32 v[146:147] /*v[402:403]*/, v[146:147] /*v[402:403]*/, v[4:5], v[148:149] /*v[404:405]*/ neg_lo:[0,0,1] neg_hi:[0,0,1]
	s_set_vgpr_msb 0                        ;  msbs: dst=0 src0=0 src1=0 src2=0
	v_add3_u32 v40, v40, v53, v54
	s_set_vgpr_msb 5                        ;  msbs: dst=0 src0=1 src1=1 src2=0
	v_mul_i32_i24_e32 v53, v210 /*v466*/, v33 /*v289*/
	v_mul_i32_i24_e32 v54, v211 /*v467*/, v34 /*v290*/
	s_set_vgpr_msb 0x45                     ;  msbs: dst=1 src0=1 src1=1 src2=0
	v_mul_i32_i24_e32 v148 /*v404*/, v216 /*v472*/, v41 /*v297*/
	s_set_vgpr_msb 4                        ;  msbs: dst=0 src0=0 src1=1 src2=0
	v_pk_add_f32 v[46:47], v[46:47], v[146:147] /*v[402:403]*/
	s_set_vgpr_msb 0x45                     ;  msbs: dst=1 src0=1 src1=1 src2=0
	v_mul_i32_i24_e32 v146 /*v402*/, v215 /*v471*/, v39 /*v295*/
	v_mul_i32_i24_e32 v147 /*v403*/, v192 /*v448*/, v40 /*v296*/
	s_set_vgpr_msb 0                        ;  msbs: dst=0 src0=0 src1=0 src2=0
	v_add3_u32 v40, v40, v53, v54
	s_set_vgpr_msb 5                        ;  msbs: dst=0 src0=1 src1=1 src2=0
	v_mul_i32_i24_e32 v53, v198 /*v454*/, v59 /*v315*/
	v_mul_i32_i24_e32 v54, v235 /*v491*/, v56 /*v312*/
	s_set_vgpr_msb 0x45                     ;  msbs: dst=1 src0=1 src1=1 src2=0
	v_mul_i32_i24_e32 v149 /*v405*/, v217 /*v473*/, v42 /*v298*/
	s_set_vgpr_msb 0                        ;  msbs: dst=0 src0=0 src1=0 src2=0
	v_add3_u32 v40, v40, v56, v58
	s_set_vgpr_msb 5                        ;  msbs: dst=0 src0=1 src1=1 src2=0
	v_mul_i32_i24_e32 v56, v234 /*v490*/, v62 /*v318*/
	v_mad_i32_i24 v53, v233 /*v489*/, v58 /*v314*/, v53
	v_mul_i32_i24_e32 v58, v239 /*v495*/, v60 /*v316*/
	s_set_vgpr_msb 0                        ;  msbs: dst=0 src0=0 src1=0 src2=0
	v_add3_u32 v40, v40, v67, v92
	s_set_vgpr_msb 5                        ;  msbs: dst=0 src0=1 src1=1 src2=0
	v_mul_i32_i24_e32 v67, v174 /*v430*/, v69 /*v325*/
	s_set_vgpr_msb 0                        ;  msbs: dst=0 src0=0 src1=0 src2=0
	v_add3_u32 v53, v53, v54, v56
	s_set_vgpr_msb 5                        ;  msbs: dst=0 src0=1 src1=1 src2=0
	v_mul_i32_i24_e32 v54, v199 /*v455*/, v65 /*v321*/
	v_mul_i32_i24_e32 v56, v162 /*v418*/, v67 /*v323*/
	s_set_vgpr_msb 20                       ;  msbs: dst=0 src0=0 src1=1 src2=1
	v_add3_u32 v40, v40, v146 /*v402*/, v147 /*v403*/
	s_set_vgpr_msb 5                        ;  msbs: dst=0 src0=1 src1=1 src2=0
	v_mul_i32_i24_e32 v92, v200 /*v456*/, v70 /*v326*/
	s_set_vgpr_msb 0x45                     ;  msbs: dst=1 src0=1 src1=1 src2=0
	v_mul_i32_i24_e32 v146 /*v402*/, v231 /*v487*/, v71 /*v327*/
	v_mul_i32_i24_e32 v147 /*v403*/, v245 /*v501*/, v68 /*v324*/
	s_set_vgpr_msb 0                        ;  msbs: dst=0 src0=0 src1=0 src2=0
	v_add3_u32 v53, v53, v54, v56
	s_set_vgpr_msb 20                       ;  msbs: dst=0 src0=0 src1=1 src2=1
	v_add3_u32 v40, v40, v148 /*v404*/, v149 /*v405*/
	s_set_vgpr_msb 0x45                     ;  msbs: dst=1 src0=1 src1=1 src2=0
	v_mul_i32_i24_e32 v148 /*v404*/, v244 /*v500*/, v73 /*v329*/
	v_mul_i32_i24_e32 v149 /*v405*/, v201 /*v457*/, v74 /*v330*/
	;; [unrolled: 1-line block ×3, first 2 shown]
	s_set_vgpr_msb 0                        ;  msbs: dst=0 src0=0 src1=0 src2=0
	v_add3_u32 v53, v53, v58, v67
	s_set_vgpr_msb 20                       ;  msbs: dst=0 src0=0 src1=1 src2=1
	v_add3_u32 v40, v40, v150 /*v406*/, v151 /*v407*/
	s_set_vgpr_msb 0x45                     ;  msbs: dst=1 src0=1 src1=1 src2=0
	v_mul_i32_i24_e32 v150 /*v406*/, v232 /*v488*/, v75 /*v331*/
	v_mul_i32_i24_e32 v151 /*v407*/, v251 /*v507*/, v72 /*v328*/
	s_set_vgpr_msb 16                       ;  msbs: dst=0 src0=0 src1=0 src2=1
	v_add3_u32 v53, v53, v92, v146 /*v402*/
	s_set_vgpr_msb 20                       ;  msbs: dst=0 src0=0 src1=1 src2=1
	v_add3_u32 v40, v40, v156 /*v412*/, v157 /*v413*/
	s_set_vgpr_msb 0x45                     ;  msbs: dst=1 src0=1 src1=1 src2=0
	v_mul_i32_i24_e32 v156 /*v412*/, v250 /*v506*/, v76 /*v332*/
	v_mul_i32_i24_e32 v157 /*v413*/, v203 /*v459*/, v81 /*v337*/
	s_set_vgpr_msb 20                       ;  msbs: dst=0 src0=0 src1=1 src2=1
	v_add3_u32 v53, v53, v147 /*v403*/, v148 /*v404*/
	v_add3_u32 v40, v40, v163 /*v419*/, v164 /*v420*/
	s_set_vgpr_msb 0x45                     ;  msbs: dst=1 src0=1 src1=1 src2=0
	v_mul_i32_i24_e32 v163 /*v419*/, v170 /*v426*/, v83 /*v339*/
	v_mul_i32_i24_e32 v164 /*v420*/, v204 /*v460*/, v85 /*v341*/
	s_set_vgpr_msb 20                       ;  msbs: dst=0 src0=0 src1=1 src2=1
	v_add3_u32 v53, v53, v149 /*v405*/, v150 /*v406*/
	v_add3_u32 v40, v40, v165 /*v421*/, v167 /*v423*/
	s_set_vgpr_msb 0x45                     ;  msbs: dst=1 src0=1 src1=1 src2=0
	v_mul_i32_i24_e32 v165 /*v421*/, v166 /*v422*/, v87 /*v343*/
	s_set_vgpr_msb 0x44                     ;  msbs: dst=1 src0=0 src1=1 src2=0
	v_pk_fma_f32 v[148:149] /*v[404:405]*/, v[108:109], v[160:161] /*v[416:417]*/, 0 op_sel_hi:[0,1,0]
	s_set_vgpr_msb 20                       ;  msbs: dst=0 src0=0 src1=1 src2=1
	v_add3_u32 v53, v53, v151 /*v407*/, v156 /*v412*/
	v_add3_u32 v40, v40, v168 /*v424*/, v169 /*v425*/
	s_set_vgpr_msb 0x54                     ;  msbs: dst=1 src0=0 src1=1 src2=1
	v_pk_fma_f32 v[148:149] /*v[404:405]*/, v[106:107], v[154:155] /*v[410:411]*/, v[148:149] /*v[404:405]*/ op_sel_hi:[0,1,1]
	s_set_vgpr_msb 20                       ;  msbs: dst=0 src0=0 src1=1 src2=1
	v_add3_u32 v53, v53, v153 /*v409*/, v152 /*v408*/
	v_add3_u32 v40, v40, v171 /*v427*/, v175 /*v431*/
	s_set_vgpr_msb 0x41                     ;  msbs: dst=1 src0=1 src1=0 src2=0
	v_pk_mul_f32 v[148:149] /*v[404:405]*/, v[148:149] /*v[404:405]*/, v[14:15]
	s_set_vgpr_msb 0                        ;  msbs: dst=0 src0=0 src1=0 src2=0
	v_add3_u32 v53, v53, v61, v55
	s_set_vgpr_msb 20                       ;  msbs: dst=0 src0=0 src1=1 src2=1
	v_add3_u32 v40, v40, v176 /*v432*/, v177 /*v433*/
	s_set_vgpr_msb 4                        ;  msbs: dst=0 src0=0 src1=1 src2=0
	s_delay_alu instid0(VALU_DEP_2) | instskip(SKIP_1) | instid1(VALU_DEP_2)
	v_add3_u32 v53, v53, v157 /*v413*/, v69
	s_set_vgpr_msb 20                       ;  msbs: dst=0 src0=0 src1=1 src2=1
	v_add3_u32 v40, v40, v178 /*v434*/, v179 /*v435*/
	s_delay_alu instid0(VALU_DEP_2) | instskip(NEXT) | instid1(VALU_DEP_2)
	v_add3_u32 v53, v53, v162 /*v418*/, v163 /*v419*/
	v_add3_u32 v40, v40, v180 /*v436*/, v181 /*v437*/
	s_set_vgpr_msb 4                        ;  msbs: dst=0 src0=0 src1=1 src2=0
	s_delay_alu instid0(VALU_DEP_2) | instskip(NEXT) | instid1(VALU_DEP_2)
	v_add3_u32 v53, v53, v164 /*v420*/, v71
	v_mul_lo_u32 v40, v40, v28 /*v284*/
	s_set_vgpr_msb 16                       ;  msbs: dst=0 src0=0 src1=0 src2=1
	s_delay_alu instid0(VALU_DEP_2) | instskip(SKIP_3) | instid1(VALU_DEP_2)
	v_add3_u32 v52, v53, v52, v165 /*v421*/
	s_set_vgpr_msb 21                       ;  msbs: dst=0 src0=1 src1=1 src2=1
	v_add3_u32 v53, v187 /*v443*/, v185 /*v441*/, v186 /*v442*/
	s_set_vgpr_msb 0                        ;  msbs: dst=0 src0=0 src1=0 src2=0
	v_add3_u32 v52, v52, v82, v84
	s_set_vgpr_msb 4                        ;  msbs: dst=0 src0=0 src1=1 src2=0
	s_delay_alu instid0(VALU_DEP_2)
	v_mul_lo_u32 v53, v53, v28 /*v284*/
	s_set_vgpr_msb 64                       ;  msbs: dst=1 src0=0 src1=0 src2=0
	v_cvt_f32_i32_e32 v147 /*v403*/, v40
	s_set_vgpr_msb 5                        ;  msbs: dst=0 src0=1 src1=1 src2=0
	v_mul_i32_i24_e32 v40, v205 /*v461*/, v26 /*v282*/
	s_set_vgpr_msb 0                        ;  msbs: dst=0 src0=0 src1=0 src2=0
	s_delay_alu instid0(VALU_DEP_1) | instskip(SKIP_1) | instid1(VALU_DEP_4)
	v_add3_u32 v40, v52, v86, v40
	s_set_vgpr_msb 64                       ;  msbs: dst=1 src0=0 src1=0 src2=0
	v_cvt_f32_i32_e32 v146 /*v402*/, v53
	s_set_vgpr_msb 5                        ;  msbs: dst=0 src0=1 src1=1 src2=0
	v_mul_i32_i24_e32 v53, v145 /*v401*/, v26 /*v282*/
	s_set_vgpr_msb 4                        ;  msbs: dst=0 src0=0 src1=1 src2=0
	v_mul_lo_u32 v40, v40, v27 /*v283*/
	s_set_vgpr_msb 0x45                     ;  msbs: dst=1 src0=1 src1=1 src2=0
	v_pk_fma_f32 v[146:147] /*v[402:403]*/, v[158:159] /*v[414:415]*/, v[146:147] /*v[402:403]*/, 0 op_sel_hi:[1,1,0]
	s_set_vgpr_msb 5                        ;  msbs: dst=0 src0=1 src1=1 src2=0
	v_add3_u32 v53, v189 /*v445*/, v188 /*v444*/, v53
	s_set_vgpr_msb 4                        ;  msbs: dst=0 src0=0 src1=1 src2=0
	s_delay_alu instid0(VALU_DEP_1) | instskip(SKIP_1) | instid1(VALU_DEP_4)
	v_mul_lo_u32 v52, v53, v27 /*v283*/
	s_set_vgpr_msb 64                       ;  msbs: dst=1 src0=0 src1=0 src2=0
	v_cvt_f32_i32_e32 v151 /*v407*/, v40
	s_set_vgpr_msb 0                        ;  msbs: dst=0 src0=0 src1=0 src2=0
	v_or_b32_e32 v40, s13, v139
	s_set_vgpr_msb 64                       ;  msbs: dst=1 src0=0 src1=0 src2=0
	s_delay_alu instid0(VALU_DEP_3) | instskip(SKIP_1) | instid1(VALU_DEP_2)
	v_cvt_f32_i32_e32 v150 /*v406*/, v52
	s_set_vgpr_msb 0                        ;  msbs: dst=0 src0=0 src1=0 src2=0
	v_lshlrev_b32_e32 v52, 2, v40
	s_set_vgpr_msb 0x55                     ;  msbs: dst=1 src0=1 src1=1 src2=1
	s_delay_alu instid0(VALU_DEP_2) | instskip(SKIP_1) | instid1(VALU_DEP_1)
	v_pk_fma_f32 v[146:147] /*v[402:403]*/, v[172:173] /*v[428:429]*/, v[150:151] /*v[406:407]*/, v[146:147] /*v[402:403]*/
	s_set_vgpr_msb 0x51                     ;  msbs: dst=1 src0=1 src1=0 src2=1
	v_pk_fma_f32 v[146:147] /*v[402:403]*/, v[146:147] /*v[402:403]*/, v[6:7], v[148:149] /*v[404:405]*/ neg_lo:[0,0,1] neg_hi:[0,0,1]
	s_set_vgpr_msb 64                       ;  msbs: dst=1 src0=0 src1=0 src2=0
	ds_load_b128 v[148:151] /*v[404:407]*/, v52 offset:16896
	ds_load_b128 v[152:155] /*v[408:411]*/, v52 offset:16912
	;; [unrolled: 1-line block ×4, first 2 shown]
	s_set_vgpr_msb 4                        ;  msbs: dst=0 src0=0 src1=1 src2=0
	v_pk_add_f32 v[44:45], v[44:45], v[146:147] /*v[402:403]*/
	s_set_vgpr_msb 64                       ;  msbs: dst=1 src0=0 src1=0 src2=0
	v_lshrrev_b32_e32 v146 /*v402*/, 1, v40
	s_wait_dscnt 0x3
	s_set_vgpr_msb 1                        ;  msbs: dst=0 src0=1 src1=0 src2=0
	v_bfe_i32 v40, v148 /*v404*/, 0, 8
	v_bfe_i32 v52, v148 /*v404*/, 8, 8
	;; [unrolled: 1-line block ×3, first 2 shown]
	s_set_vgpr_msb 4                        ;  msbs: dst=0 src0=0 src1=1 src2=0
	v_dual_ashrrev_i32 v54, 24, v148 /*v404*/ :: v_dual_ashrrev_i32 v61, 24, v149 /*v405*/
	v_ashrrev_i32_e32 v82, 24, v150 /*v406*/
	s_set_vgpr_msb 1                        ;  msbs: dst=0 src0=1 src1=0 src2=0
	v_bfe_i32 v67, v150 /*v406*/, 0, 8
	v_bfe_i32 v69, v150 /*v406*/, 8, 8
	;; [unrolled: 1-line block ×3, first 2 shown]
	s_set_vgpr_msb 64                       ;  msbs: dst=1 src0=0 src1=0 src2=0
	v_mul_i32_i24_e32 v150 /*v406*/, v40, v119
	s_set_vgpr_msb 1                        ;  msbs: dst=0 src0=1 src1=0 src2=0
	v_bfe_i32 v55, v149 /*v405*/, 0, 8
	v_bfe_i32 v56, v149 /*v405*/, 8, 8
	;; [unrolled: 1-line block ×6, first 2 shown]
	s_set_vgpr_msb 0x44                     ;  msbs: dst=1 src0=0 src1=1 src2=0
	v_ashrrev_i32_e32 v147 /*v403*/, 24, v151 /*v407*/
	s_wait_dscnt 0x2
	s_set_vgpr_msb 0x41                     ;  msbs: dst=1 src0=1 src1=0 src2=0
	v_bfe_i32 v148 /*v404*/, v152 /*v408*/, 0, 8
	v_bfe_i32 v149 /*v405*/, v152 /*v408*/, 8, 8
	;; [unrolled: 1-line block ×3, first 2 shown]
	s_set_vgpr_msb 0x44                     ;  msbs: dst=1 src0=0 src1=1 src2=0
	v_ashrrev_i32_e32 v168 /*v424*/, 24, v152 /*v408*/
	v_mul_i32_i24_e32 v151 /*v407*/, v53, v92 /*v348*/
	v_mul_i32_i24_e32 v152 /*v408*/, v54, v93 /*v349*/
	s_set_vgpr_msb 0x50                     ;  msbs: dst=1 src0=0 src1=0 src2=1
	v_mad_i32_i24 v150 /*v406*/, v52, v118, v150 /*v406*/
	s_set_vgpr_msb 0x41                     ;  msbs: dst=1 src0=1 src1=0 src2=0
	v_bfe_i32 v172 /*v428*/, v154 /*v410*/, 0, 8
	v_bfe_i32 v173 /*v429*/, v154 /*v410*/, 8, 8
	;; [unrolled: 1-line block ×3, first 2 shown]
	s_set_vgpr_msb 0x55                     ;  msbs: dst=1 src0=1 src1=1 src2=1
	v_dual_ashrrev_i32 v175 /*v431*/, 24, v154 /*v410*/ :: v_dual_ashrrev_i32 v179 /*v435*/, 24, v155 /*v411*/
	v_add3_u32 v150 /*v406*/, v150 /*v406*/, v151 /*v407*/, v152 /*v408*/
	s_set_vgpr_msb 0x44                     ;  msbs: dst=1 src0=0 src1=1 src2=0
	v_mul_i32_i24_e32 v151 /*v407*/, v55, v94 /*v350*/
	v_mul_i32_i24_e32 v152 /*v408*/, v56, v95 /*v351*/
	s_set_vgpr_msb 0x41                     ;  msbs: dst=1 src0=1 src1=0 src2=0
	v_bfe_i32 v176 /*v432*/, v155 /*v411*/, 0, 8
	v_bfe_i32 v177 /*v433*/, v155 /*v411*/, 8, 8
	;; [unrolled: 1-line block ×3, first 2 shown]
	s_set_vgpr_msb 0x44                     ;  msbs: dst=1 src0=0 src1=1 src2=0
	v_mul_i32_i24_e32 v154 /*v410*/, v58, v96 /*v352*/
	v_mul_i32_i24_e32 v155 /*v411*/, v61, v97 /*v353*/
	s_set_vgpr_msb 0x55                     ;  msbs: dst=1 src0=1 src1=1 src2=1
	v_add3_u32 v150 /*v406*/, v150 /*v406*/, v151 /*v407*/, v152 /*v408*/
	s_wait_dscnt 0x1
	v_bfe_i32 v180 /*v436*/, v156 /*v412*/, 0, 8
	v_bfe_i32 v181 /*v437*/, v156 /*v412*/, 8, 8
	v_bfe_i32 v182 /*v438*/, v156 /*v412*/, 16, 8
	v_dual_ashrrev_i32 v156 /*v412*/, 24, v156 /*v412*/ :: v_dual_ashrrev_i32 v186 /*v442*/, 24, v157 /*v413*/
	v_bfe_i32 v183 /*v439*/, v157 /*v413*/, 0, 8
	v_bfe_i32 v184 /*v440*/, v157 /*v413*/, 8, 8
	;; [unrolled: 1-line block ×6, first 2 shown]
	v_dual_ashrrev_i32 v190 /*v446*/, 24, v158 /*v414*/ :: v_dual_ashrrev_i32 v194 /*v450*/, 24, v159 /*v415*/
	s_set_vgpr_msb 0x44                     ;  msbs: dst=1 src0=0 src1=1 src2=0
	v_mul_i32_i24_e32 v157 /*v413*/, v67, v98 /*v354*/
	v_mul_i32_i24_e32 v158 /*v414*/, v69, v99 /*v355*/
	s_set_vgpr_msb 0x55                     ;  msbs: dst=1 src0=1 src1=1 src2=1
	v_add3_u32 v150 /*v406*/, v150 /*v406*/, v154 /*v410*/, v155 /*v411*/
	s_wait_dscnt 0x0
	v_dual_ashrrev_i32 v198 /*v454*/, 24, v160 /*v416*/ :: v_dual_ashrrev_i32 v202 /*v458*/, 24, v161 /*v417*/
	v_bfe_i32 v199 /*v455*/, v161 /*v417*/, 0, 8
	v_bfe_i32 v200 /*v456*/, v161 /*v417*/, 8, 8
	;; [unrolled: 1-line block ×6, first 2 shown]
	v_dual_ashrrev_i32 v206 /*v462*/, 24, v162 /*v418*/ :: v_dual_ashrrev_i32 v145 /*v401*/, 24, v163 /*v419*/
	s_set_vgpr_msb 0x44                     ;  msbs: dst=1 src0=0 src1=1 src2=0
	v_mul_i32_i24_e32 v161 /*v417*/, v71, v100 /*v356*/
	v_mul_i32_i24_e32 v162 /*v418*/, v82, v101 /*v357*/
	s_set_vgpr_msb 0x55                     ;  msbs: dst=1 src0=1 src1=1 src2=1
	v_add3_u32 v150 /*v406*/, v150 /*v406*/, v157 /*v413*/, v158 /*v414*/
	v_bfe_i32 v207 /*v463*/, v163 /*v419*/, 0, 8
	v_bfe_i32 v208 /*v464*/, v163 /*v419*/, 8, 8
	;; [unrolled: 1-line block ×3, first 2 shown]
	s_set_vgpr_msb 0x44                     ;  msbs: dst=1 src0=0 src1=1 src2=0
	v_mul_i32_i24_e32 v163 /*v419*/, v84, v102 /*v358*/
	v_mul_i32_i24_e32 v164 /*v420*/, v86, v103 /*v359*/
	s_set_vgpr_msb 0x55                     ;  msbs: dst=1 src0=1 src1=1 src2=1
	v_add3_u32 v150 /*v406*/, v150 /*v406*/, v161 /*v417*/, v162 /*v418*/
	s_set_vgpr_msb 0x44                     ;  msbs: dst=1 src0=0 src1=1 src2=0
	v_mul_i32_i24_e32 v165 /*v421*/, v92, v104 /*v360*/
	s_set_vgpr_msb 0x55                     ;  msbs: dst=1 src0=1 src1=1 src2=1
	v_mul_i32_i24_e32 v166 /*v422*/, v147 /*v403*/, v105 /*v361*/
	v_mul_i32_i24_e32 v210 /*v466*/, v148 /*v404*/, v106 /*v362*/
	;; [unrolled: 1-line block ×3, first 2 shown]
	v_add3_u32 v150 /*v406*/, v150 /*v406*/, v163 /*v419*/, v164 /*v420*/
	v_bfe_i32 v169 /*v425*/, v153 /*v409*/, 0, 8
	v_bfe_i32 v170 /*v426*/, v153 /*v409*/, 8, 8
	;; [unrolled: 1-line block ×3, first 2 shown]
	v_ashrrev_i32_e32 v153 /*v409*/, 24, v153 /*v409*/
	v_add3_u32 v150 /*v406*/, v150 /*v406*/, v165 /*v421*/, v166 /*v422*/
	v_mul_i32_i24_e32 v212 /*v468*/, v167 /*v423*/, v108 /*v364*/
	v_mul_i32_i24_e32 v213 /*v469*/, v168 /*v424*/, v109 /*v365*/
	v_mul_i32_i24_e32 v214 /*v470*/, v111 /*v367*/, v169 /*v425*/
	v_mul_i32_i24_e32 v215 /*v471*/, v110 /*v366*/, v170 /*v426*/
	v_add3_u32 v150 /*v406*/, v150 /*v406*/, v210 /*v466*/, v211 /*v467*/
	v_mul_i32_i24_e32 v216 /*v472*/, v113 /*v369*/, v171 /*v427*/
	v_mul_i32_i24_e32 v217 /*v473*/, v112 /*v368*/, v153 /*v409*/
	v_mul_i32_i24_e32 v218 /*v474*/, v121 /*v377*/, v172 /*v428*/
	v_mul_i32_i24_e32 v219 /*v475*/, v114 /*v370*/, v173 /*v429*/
	;; [unrolled: 5-line block ×4, first 2 shown]
	v_add3_u32 v150 /*v406*/, v150 /*v406*/, v216 /*v472*/, v217 /*v473*/
	s_set_vgpr_msb 0x44                     ;  msbs: dst=1 src0=0 src1=1 src2=0
	v_mul_i32_i24_e32 v157 /*v413*/, v114, v187 /*v443*/
	s_set_vgpr_msb 0x55                     ;  msbs: dst=1 src0=1 src1=1 src2=1
	v_mul_i32_i24_e32 v158 /*v414*/, v136 /*v392*/, v188 /*v444*/
	v_bfe_i32 v191 /*v447*/, v159 /*v415*/, 0, 8
	v_bfe_i32 v192 /*v448*/, v159 /*v415*/, 8, 8
	v_add3_u32 v150 /*v406*/, v150 /*v406*/, v218 /*v474*/, v219 /*v475*/
	v_mul_i32_i24_e32 v161 /*v417*/, v135 /*v391*/, v189 /*v445*/
	v_mul_i32_i24_e32 v163 /*v419*/, v116 /*v372*/, v190 /*v446*/
	v_bfe_i32 v193 /*v449*/, v159 /*v415*/, 16, 8
	s_set_vgpr_msb 0x44                     ;  msbs: dst=1 src0=0 src1=1 src2=0
	v_mul_i32_i24_e32 v164 /*v420*/, v115, v191 /*v447*/
	s_set_vgpr_msb 0x55                     ;  msbs: dst=1 src0=1 src1=1 src2=1
	v_add3_u32 v150 /*v406*/, v150 /*v406*/, v220 /*v476*/, v221 /*v477*/
	v_mul_i32_i24_e32 v166 /*v422*/, v138 /*v394*/, v192 /*v448*/
	v_bfe_i32 v195 /*v451*/, v160 /*v416*/, 0, 8
	v_bfe_i32 v196 /*v452*/, v160 /*v416*/, 8, 8
	v_mul_i32_i24_e32 v210 /*v466*/, v137 /*v393*/, v193 /*v449*/
	v_add3_u32 v162 /*v418*/, v150 /*v406*/, v222 /*v478*/, v223 /*v479*/
	s_set_vgpr_msb 0x44                     ;  msbs: dst=1 src0=0 src1=1 src2=0
	v_mul_i32_i24_e32 v150 /*v406*/, v116, v180 /*v436*/
	s_set_vgpr_msb 0x45                     ;  msbs: dst=1 src0=1 src1=1 src2=0
	v_mul_i32_i24_e32 v211 /*v467*/, v117 /*v373*/, v194 /*v450*/
	v_bfe_i32 v197 /*v453*/, v160 /*v416*/, 16, 8
	s_set_vgpr_msb 0x44                     ;  msbs: dst=1 src0=0 src1=1 src2=0
	v_mul_i32_i24_e32 v212 /*v468*/, v110, v195 /*v451*/
	s_set_vgpr_msb 0x45                     ;  msbs: dst=1 src0=1 src1=1 src2=0
	v_mul_i32_i24_e32 v213 /*v469*/, v140 /*v396*/, v196 /*v452*/
	s_set_vgpr_msb 0x54                     ;  msbs: dst=1 src0=0 src1=1 src2=1
	v_mad_i32_i24 v150 /*v406*/, v113, v181 /*v437*/, v150 /*v406*/
	s_set_vgpr_msb 0x45                     ;  msbs: dst=1 src0=1 src1=1 src2=0
	v_mul_i32_i24_e32 v215 /*v471*/, v118 /*v374*/, v198 /*v454*/
	v_mul_i32_i24_e32 v214 /*v470*/, v139 /*v395*/, v197 /*v453*/
	s_set_vgpr_msb 0x44                     ;  msbs: dst=1 src0=0 src1=1 src2=0
	v_mul_i32_i24_e32 v216 /*v472*/, v111, v199 /*v455*/
	s_set_vgpr_msb 0x55                     ;  msbs: dst=1 src0=1 src1=1 src2=1
	v_mul_i32_i24_e32 v217 /*v473*/, v142 /*v398*/, v200 /*v456*/
	v_add3_u32 v150 /*v406*/, v150 /*v406*/, v151 /*v407*/, v152 /*v408*/
	s_set_vgpr_msb 0x44                     ;  msbs: dst=1 src0=0 src1=1 src2=0
	v_mul_i32_i24_e32 v151 /*v407*/, v117, v183 /*v439*/
	s_set_vgpr_msb 0x45                     ;  msbs: dst=1 src0=1 src1=1 src2=0
	v_mul_i32_i24_e32 v152 /*v408*/, v134 /*v390*/, v184 /*v440*/
	v_mul_i32_i24_e32 v218 /*v474*/, v141 /*v397*/, v201 /*v457*/
	;; [unrolled: 1-line block ×3, first 2 shown]
	s_set_vgpr_msb 0x44                     ;  msbs: dst=1 src0=0 src1=1 src2=0
	v_mul_i32_i24_e32 v220 /*v476*/, v112, v203 /*v459*/
	s_set_vgpr_msb 0x55                     ;  msbs: dst=1 src0=1 src1=1 src2=1
	v_mul_i32_i24_e32 v221 /*v477*/, v144 /*v400*/, v204 /*v460*/
	v_add3_u32 v150 /*v406*/, v150 /*v406*/, v151 /*v407*/, v152 /*v408*/
	v_mul_i32_i24_e32 v222 /*v478*/, v143 /*v399*/, v205 /*v461*/
	v_mul_i32_i24_e32 v223 /*v479*/, v120 /*v376*/, v206 /*v462*/
	;; [unrolled: 1-line block ×4, first 2 shown]
	v_add3_u32 v150 /*v406*/, v150 /*v406*/, v154 /*v410*/, v155 /*v411*/
	s_set_vgpr_msb 64                       ;  msbs: dst=1 src0=0 src1=0 src2=0
	v_mul_i32_i24_e32 v151 /*v407*/, v53, v221
	v_mul_i32_i24_e32 v152 /*v408*/, v54, v222
	s_set_vgpr_msb 0x44                     ;  msbs: dst=1 src0=0 src1=1 src2=0
	v_mul_i32_i24_e32 v226 /*v482*/, v245, v175 /*v431*/
	s_set_vgpr_msb 0x41                     ;  msbs: dst=1 src0=1 src1=0 src2=0
	v_mul_i32_i24_e32 v227 /*v483*/, v176 /*v432*/, v251
	s_set_vgpr_msb 0x55                     ;  msbs: dst=1 src0=1 src1=1 src2=1
	v_add3_u32 v150 /*v406*/, v150 /*v406*/, v157 /*v413*/, v158 /*v414*/
	s_set_vgpr_msb 64                       ;  msbs: dst=1 src0=0 src1=0 src2=0
	v_mul_i32_i24_e32 v157 /*v413*/, v58, v225
	v_mul_i32_i24_e32 v158 /*v414*/, v61, v226
	s_set_vgpr_msb 0x41                     ;  msbs: dst=1 src0=1 src1=0 src2=0
	v_mul_i32_i24_e32 v228 /*v484*/, v177 /*v433*/, v253
	s_set_vgpr_msb 0x55                     ;  msbs: dst=1 src0=1 src1=1 src2=1
	v_mul_i32_i24_e32 v229 /*v485*/, v207 /*v463*/, v23 /*v279*/
	v_add3_u32 v150 /*v406*/, v150 /*v406*/, v161 /*v417*/, v163 /*v419*/
	s_set_vgpr_msb 64                       ;  msbs: dst=1 src0=0 src1=0 src2=0
	v_mul_i32_i24_e32 v161 /*v417*/, v67, v227
	v_mul_i32_i24_e32 v163 /*v419*/, v69, v228
	s_set_vgpr_msb 0x45                     ;  msbs: dst=1 src0=1 src1=1 src2=0
	v_mul_i32_i24_e32 v230 /*v486*/, v208 /*v464*/, v24 /*v280*/
	s_set_vgpr_msb 0x44                     ;  msbs: dst=1 src0=0 src1=1 src2=0
	v_mul_i32_i24_e32 v231 /*v487*/, v181, v175 /*v431*/
	s_set_vgpr_msb 0x55                     ;  msbs: dst=1 src0=1 src1=1 src2=1
	v_add3_u32 v150 /*v406*/, v150 /*v406*/, v164 /*v420*/, v166 /*v422*/
	s_set_vgpr_msb 64                       ;  msbs: dst=1 src0=0 src1=0 src2=0
	v_mul_i32_i24_e32 v164 /*v420*/, v71, v229
	s_set_vgpr_msb 0x41                     ;  msbs: dst=1 src0=1 src1=0 src2=0
	v_mul_i32_i24_e32 v232 /*v488*/, v176 /*v432*/, v187
	v_mul_i32_i24_e32 v233 /*v489*/, v177 /*v433*/, v189
	s_set_vgpr_msb 0x55                     ;  msbs: dst=1 src0=1 src1=1 src2=1
	v_mul_i32_i24_e32 v159 /*v415*/, v178 /*v434*/, v130 /*v386*/
	v_add3_u32 v150 /*v406*/, v150 /*v406*/, v210 /*v466*/, v211 /*v467*/
	s_set_vgpr_msb 64                       ;  msbs: dst=1 src0=0 src1=0 src2=0
	v_mul_i32_i24_e32 v210 /*v466*/, v82, v230
	v_mul_i32_i24_e32 v211 /*v467*/, v84, v231
	s_set_vgpr_msb 0x45                     ;  msbs: dst=1 src0=1 src1=1 src2=0
	v_mul_i32_i24_e32 v160 /*v416*/, v179 /*v435*/, v131 /*v387*/
	s_set_vgpr_msb 0x41                     ;  msbs: dst=1 src0=1 src1=0 src2=0
	v_mul_i32_i24_e32 v154 /*v410*/, v178 /*v434*/, v254
	s_set_vgpr_msb 0x55                     ;  msbs: dst=1 src0=1 src1=1 src2=1
	v_add3_u32 v150 /*v406*/, v150 /*v406*/, v212 /*v468*/, v213 /*v469*/
	s_set_vgpr_msb 64                       ;  msbs: dst=1 src0=0 src1=0 src2=0
	v_mul_i32_i24_e32 v212 /*v468*/, v86, v232
	v_mul_i32_i24_e32 v213 /*v469*/, v92, v233
	s_set_vgpr_msb 0x45                     ;  msbs: dst=1 src0=1 src1=1 src2=0
	v_mul_i32_i24_e32 v155 /*v411*/, v179 /*v435*/, v0 /*v256*/
	s_set_vgpr_msb 0x41                     ;  msbs: dst=1 src0=1 src1=0 src2=0
	v_mul_i32_i24_e32 v234 /*v490*/, v207 /*v463*/, v215
	s_set_vgpr_msb 0x55                     ;  msbs: dst=1 src0=1 src1=1 src2=1
	v_add3_u32 v150 /*v406*/, v150 /*v406*/, v214 /*v470*/, v215 /*v471*/
	s_set_vgpr_msb 0x41                     ;  msbs: dst=1 src0=1 src1=0 src2=0
	v_mul_i32_i24_e32 v214 /*v470*/, v147 /*v403*/, v234
	v_mul_i32_i24_e32 v215 /*v471*/, v148 /*v404*/, v235
	s_set_vgpr_msb 0x45                     ;  msbs: dst=1 src0=1 src1=1 src2=0
	v_mul_i32_i24_e32 v165 /*v421*/, v209 /*v465*/, v127 /*v383*/
	s_set_vgpr_msb 0x41                     ;  msbs: dst=1 src0=1 src1=0 src2=0
	v_mul_i32_i24_e32 v235 /*v491*/, v208 /*v464*/, v216
	s_set_vgpr_msb 0x55                     ;  msbs: dst=1 src0=1 src1=1 src2=1
	v_add3_u32 v150 /*v406*/, v150 /*v406*/, v216 /*v472*/, v217 /*v473*/
	s_set_vgpr_msb 0x41                     ;  msbs: dst=1 src0=1 src1=0 src2=0
	v_mul_i32_i24_e32 v216 /*v472*/, v149 /*v405*/, v236
	v_mul_i32_i24_e32 v217 /*v473*/, v167 /*v423*/, v237
	s_set_vgpr_msb 0x55                     ;  msbs: dst=1 src0=1 src1=1 src2=1
	v_add3_u32 v150 /*v406*/, v150 /*v406*/, v218 /*v474*/, v219 /*v475*/
	s_set_vgpr_msb 0x41                     ;  msbs: dst=1 src0=1 src1=0 src2=0
	v_mul_i32_i24_e32 v218 /*v474*/, v168 /*v424*/, v238
	s_set_vgpr_msb 0x44                     ;  msbs: dst=1 src0=0 src1=1 src2=0
	v_mul_i32_i24_e32 v219 /*v475*/, v240, v169 /*v425*/
	s_set_vgpr_msb 0x55                     ;  msbs: dst=1 src0=1 src1=1 src2=1
	v_add3_u32 v150 /*v406*/, v150 /*v406*/, v220 /*v476*/, v221 /*v477*/
	s_set_vgpr_msb 0x44                     ;  msbs: dst=1 src0=0 src1=1 src2=0
	v_mul_i32_i24_e32 v220 /*v476*/, v239, v170 /*v426*/
	v_mul_i32_i24_e32 v221 /*v477*/, v242, v171 /*v427*/
	s_set_vgpr_msb 0x55                     ;  msbs: dst=1 src0=1 src1=1 src2=1
	v_add3_u32 v150 /*v406*/, v150 /*v406*/, v222 /*v478*/, v223 /*v479*/
	s_set_vgpr_msb 0x44                     ;  msbs: dst=1 src0=0 src1=1 src2=0
	v_mul_i32_i24_e32 v222 /*v478*/, v241, v153 /*v409*/
	v_mul_i32_i24_e32 v223 /*v479*/, v244, v172 /*v428*/
	s_set_vgpr_msb 0x55                     ;  msbs: dst=1 src0=1 src1=1 src2=1
	v_add3_u32 v166 /*v422*/, v150 /*v406*/, v224 /*v480*/, v225 /*v481*/
	s_set_vgpr_msb 64                       ;  msbs: dst=1 src0=0 src1=0 src2=0
	v_mul_i32_i24_e32 v150 /*v406*/, v40, v220
	s_set_vgpr_msb 0x44                     ;  msbs: dst=1 src0=0 src1=1 src2=0
	v_mul_i32_i24_e32 v224 /*v480*/, v243, v173 /*v429*/
	v_mul_i32_i24_e32 v225 /*v481*/, v247, v174 /*v430*/
	s_set_vgpr_msb 0x50                     ;  msbs: dst=1 src0=0 src1=0 src2=1
	v_mad_i32_i24 v150 /*v406*/, v52, v219, v150 /*v406*/
	s_set_vgpr_msb 0x55                     ;  msbs: dst=1 src0=1 src1=1 src2=1
	s_delay_alu instid0(VALU_DEP_1) | instskip(SKIP_4) | instid1(VALU_DEP_1)
	v_add3_u32 v150 /*v406*/, v150 /*v406*/, v151 /*v407*/, v152 /*v408*/
	s_set_vgpr_msb 64                       ;  msbs: dst=1 src0=0 src1=0 src2=0
	v_mul_i32_i24_e32 v151 /*v407*/, v55, v223
	v_mul_i32_i24_e32 v152 /*v408*/, v56, v224
	s_set_vgpr_msb 0x55                     ;  msbs: dst=1 src0=1 src1=1 src2=1
	v_add3_u32 v150 /*v406*/, v150 /*v406*/, v151 /*v407*/, v152 /*v408*/
	s_set_vgpr_msb 0x41                     ;  msbs: dst=1 src0=1 src1=0 src2=0
	v_mul_i32_i24_e32 v151 /*v407*/, v182 /*v438*/, v246
	v_mul_i32_i24_e32 v152 /*v408*/, v156 /*v412*/, v252
	s_set_vgpr_msb 0x55                     ;  msbs: dst=1 src0=1 src1=1 src2=1
	v_add3_u32 v150 /*v406*/, v150 /*v406*/, v157 /*v413*/, v158 /*v414*/
	s_set_vgpr_msb 0x41                     ;  msbs: dst=1 src0=1 src1=0 src2=0
	v_mul_i32_i24_e32 v158 /*v414*/, v185 /*v441*/, v250
	s_set_vgpr_msb 0x55                     ;  msbs: dst=1 src0=1 src1=1 src2=1
	s_delay_alu instid0(VALU_DEP_2) | instskip(SKIP_2) | instid1(VALU_DEP_3)
	v_add3_u32 v150 /*v406*/, v150 /*v406*/, v161 /*v417*/, v163 /*v419*/
	v_mul_i32_i24_e32 v161 /*v417*/, v186 /*v442*/, v3 /*v259*/
	v_mul_i32_i24_e32 v163 /*v419*/, v209 /*v465*/, v25 /*v281*/
	v_add3_u32 v150 /*v406*/, v150 /*v406*/, v164 /*v420*/, v210 /*v466*/
	v_mul_i32_i24_e32 v164 /*v420*/, v187 /*v443*/, v4 /*v260*/
	v_mul_i32_i24_e32 v210 /*v466*/, v188 /*v444*/, v5 /*v261*/
	s_delay_alu instid0(VALU_DEP_3) | instskip(SKIP_2) | instid1(VALU_DEP_3)
	v_add3_u32 v150 /*v406*/, v150 /*v406*/, v211 /*v467*/, v212 /*v468*/
	v_mul_i32_i24_e32 v211 /*v467*/, v189 /*v445*/, v2 /*v258*/
	v_mul_i32_i24_e32 v212 /*v468*/, v190 /*v446*/, v7 /*v263*/
	v_add3_u32 v150 /*v406*/, v150 /*v406*/, v213 /*v469*/, v214 /*v470*/
	v_mul_i32_i24_e32 v213 /*v469*/, v191 /*v447*/, v8 /*v264*/
	v_mul_i32_i24_e32 v214 /*v470*/, v192 /*v448*/, v9 /*v265*/
	s_delay_alu instid0(VALU_DEP_3) | instskip(SKIP_2) | instid1(VALU_DEP_3)
	;; [unrolled: 7-line block ×4, first 2 shown]
	v_add3_u32 v150 /*v406*/, v150 /*v406*/, v223 /*v479*/, v224 /*v480*/
	v_mul_i32_i24_e32 v223 /*v479*/, v18 /*v274*/, v201 /*v457*/
	v_mul_i32_i24_e32 v224 /*v480*/, v17 /*v273*/, v202 /*v458*/
	v_add3_u32 v150 /*v406*/, v150 /*v406*/, v225 /*v481*/, v226 /*v482*/
	v_mul_i32_i24_e32 v225 /*v481*/, v19 /*v275*/, v203 /*v459*/
	v_mul_i32_i24_e32 v226 /*v482*/, v20 /*v276*/, v204 /*v460*/
	s_delay_alu instid0(VALU_DEP_3)
	v_add3_u32 v157 /*v413*/, v150 /*v406*/, v227 /*v483*/, v228 /*v484*/
	s_set_vgpr_msb 0x41                     ;  msbs: dst=1 src0=1 src1=0 src2=0
	v_mul_i32_i24_e32 v150 /*v406*/, v180 /*v436*/, v249
	s_set_vgpr_msb 0x55                     ;  msbs: dst=1 src0=1 src1=1 src2=1
	v_mul_i32_i24_e32 v227 /*v483*/, v22 /*v278*/, v205 /*v461*/
	v_mul_i32_i24_e32 v228 /*v484*/, v21 /*v277*/, v206 /*v462*/
	v_add3_u32 v154 /*v410*/, v157 /*v413*/, v154 /*v410*/, v155 /*v411*/
	s_set_vgpr_msb 0x51                     ;  msbs: dst=1 src0=1 src1=0 src2=1
	v_mad_i32_i24 v150 /*v406*/, v181 /*v437*/, v248, v150 /*v406*/
	s_delay_alu instid0(VALU_DEP_2) | instskip(SKIP_1) | instid1(VALU_DEP_2)
	v_mul_lo_u32 v154 /*v410*/, v154 /*v410*/, v218
	s_set_vgpr_msb 0x55                     ;  msbs: dst=1 src0=1 src1=1 src2=1
	v_add3_u32 v150 /*v406*/, v150 /*v406*/, v151 /*v407*/, v152 /*v408*/
	s_set_vgpr_msb 0x41                     ;  msbs: dst=1 src0=1 src1=0 src2=0
	v_mul_i32_i24_e32 v151 /*v407*/, v183 /*v439*/, v255
	s_set_vgpr_msb 0x55                     ;  msbs: dst=1 src0=1 src1=1 src2=1
	v_mul_i32_i24_e32 v152 /*v408*/, v184 /*v440*/, v1 /*v257*/
	s_delay_alu instid0(VALU_DEP_1)
	v_add3_u32 v150 /*v406*/, v150 /*v406*/, v151 /*v407*/, v152 /*v408*/
	s_set_vgpr_msb 64                       ;  msbs: dst=1 src0=0 src1=0 src2=0
	v_mul_i32_i24_e32 v151 /*v407*/, v53, v124
	v_mul_i32_i24_e32 v152 /*v408*/, v54, v158
	s_set_vgpr_msb 4                        ;  msbs: dst=0 src0=0 src1=1 src2=0
	v_mul_i32_i24_e32 v53, v53, v31 /*v287*/
	v_mul_i32_i24_e32 v54, v54, v32 /*v288*/
	s_set_vgpr_msb 0x55                     ;  msbs: dst=1 src0=1 src1=1 src2=1
	v_add3_u32 v150 /*v406*/, v150 /*v406*/, v158 /*v414*/, v161 /*v417*/
	s_set_vgpr_msb 64                       ;  msbs: dst=1 src0=0 src1=0 src2=0
	v_mul_i32_i24_e32 v158 /*v414*/, v55, v159
	v_mul_i32_i24_e32 v161 /*v417*/, v56, v160
	s_set_vgpr_msb 0x55                     ;  msbs: dst=1 src0=1 src1=1 src2=1
	v_cvt_f32_i32_e32 v154 /*v410*/, v154 /*v410*/
	v_add3_u32 v150 /*v406*/, v150 /*v406*/, v164 /*v420*/, v210 /*v466*/
	s_set_vgpr_msb 64                       ;  msbs: dst=1 src0=0 src1=0 src2=0
	v_mul_i32_i24_e32 v210 /*v466*/, v58, v161
	s_set_vgpr_msb 0x55                     ;  msbs: dst=1 src0=1 src1=1 src2=1
	s_delay_alu instid0(VALU_DEP_2)
	v_add3_u32 v150 /*v406*/, v150 /*v406*/, v211 /*v467*/, v212 /*v468*/
	s_set_vgpr_msb 64                       ;  msbs: dst=1 src0=0 src1=0 src2=0
	v_mul_i32_i24_e32 v211 /*v467*/, v61, v162
	v_mul_i32_i24_e32 v212 /*v468*/, v67, v163
	s_set_vgpr_msb 0x55                     ;  msbs: dst=1 src0=1 src1=1 src2=1
	v_add3_u32 v150 /*v406*/, v150 /*v406*/, v213 /*v469*/, v214 /*v470*/
	s_set_vgpr_msb 64                       ;  msbs: dst=1 src0=0 src1=0 src2=0
	v_mul_i32_i24_e32 v213 /*v469*/, v69, v164
	v_mul_i32_i24_e32 v214 /*v470*/, v71, v165
	s_set_vgpr_msb 0x55                     ;  msbs: dst=1 src0=1 src1=1 src2=1
	;; [unrolled: 5-line block ×4, first 2 shown]
	v_add3_u32 v150 /*v406*/, v150 /*v406*/, v219 /*v475*/, v220 /*v476*/
	s_set_vgpr_msb 0x41                     ;  msbs: dst=1 src0=1 src1=0 src2=0
	v_mul_i32_i24_e32 v219 /*v475*/, v147 /*v403*/, v170
	v_mul_i32_i24_e32 v220 /*v476*/, v148 /*v404*/, v171
	s_set_vgpr_msb 0x55                     ;  msbs: dst=1 src0=1 src1=1 src2=1
	v_add3_u32 v150 /*v406*/, v150 /*v406*/, v221 /*v477*/, v222 /*v478*/
	s_set_vgpr_msb 0x41                     ;  msbs: dst=1 src0=1 src1=0 src2=0
	v_mul_i32_i24_e32 v221 /*v477*/, v149 /*v405*/, v172
	v_mul_i32_i24_e32 v222 /*v478*/, v167 /*v423*/, v173
	s_set_vgpr_msb 0x55                     ;  msbs: dst=1 src0=1 src1=1 src2=1
	v_add3_u32 v150 /*v406*/, v150 /*v406*/, v223 /*v479*/, v224 /*v480*/
	s_set_vgpr_msb 0x41                     ;  msbs: dst=1 src0=1 src1=0 src2=0
	v_mul_i32_i24_e32 v223 /*v479*/, v168 /*v424*/, v174
	s_set_vgpr_msb 0x44                     ;  msbs: dst=1 src0=0 src1=1 src2=0
	v_mul_i32_i24_e32 v224 /*v480*/, v176, v169 /*v425*/
	s_set_vgpr_msb 0x55                     ;  msbs: dst=1 src0=1 src1=1 src2=1
	v_add3_u32 v150 /*v406*/, v150 /*v406*/, v225 /*v481*/, v226 /*v482*/
	s_set_vgpr_msb 0x44                     ;  msbs: dst=1 src0=0 src1=1 src2=0
	v_mul_i32_i24_e32 v225 /*v481*/, v175, v170 /*v426*/
	v_mul_i32_i24_e32 v226 /*v482*/, v178, v171 /*v427*/
	s_set_vgpr_msb 0x55                     ;  msbs: dst=1 src0=1 src1=1 src2=1
	v_add3_u32 v150 /*v406*/, v150 /*v406*/, v227 /*v483*/, v228 /*v484*/
	s_set_vgpr_msb 0x44                     ;  msbs: dst=1 src0=0 src1=1 src2=0
	v_mul_i32_i24_e32 v227 /*v483*/, v177, v153 /*v409*/
	s_set_vgpr_msb 0x45                     ;  msbs: dst=1 src0=1 src1=1 src2=0
	v_mul_i32_i24_e32 v153 /*v409*/, v51 /*v307*/, v153 /*v409*/
	s_set_vgpr_msb 0x44                     ;  msbs: dst=1 src0=0 src1=1 src2=0
	v_mul_i32_i24_e32 v228 /*v484*/, v180, v172 /*v428*/
	s_set_vgpr_msb 0x55                     ;  msbs: dst=1 src0=1 src1=1 src2=1
	v_add3_u32 v164 /*v420*/, v150 /*v406*/, v229 /*v485*/, v230 /*v486*/
	s_set_vgpr_msb 64                       ;  msbs: dst=1 src0=0 src1=0 src2=0
	v_mul_i32_i24_e32 v150 /*v406*/, v40, v122
	s_set_vgpr_msb 4                        ;  msbs: dst=0 src0=0 src1=1 src2=0
	v_mul_i32_i24_e32 v40, v40, v30 /*v286*/
	s_set_vgpr_msb 0x44                     ;  msbs: dst=1 src0=0 src1=1 src2=0
	v_mul_i32_i24_e32 v229 /*v485*/, v179, v173 /*v429*/
	v_mul_i32_i24_e32 v230 /*v486*/, v183, v174 /*v430*/
	s_set_vgpr_msb 0x50                     ;  msbs: dst=1 src0=0 src1=0 src2=1
	v_mad_i32_i24 v150 /*v406*/, v52, v120, v150 /*v406*/
	s_set_vgpr_msb 4                        ;  msbs: dst=0 src0=0 src1=1 src2=0
	v_mad_i32_i24 v40, v52, v29 /*v285*/, v40
	v_mul_i32_i24_e32 v52, v55, v33 /*v289*/
	v_mul_i32_i24_e32 v55, v61, v36 /*v292*/
	;; [unrolled: 1-line block ×4, first 2 shown]
	s_set_vgpr_msb 0                        ;  msbs: dst=0 src0=0 src1=0 src2=0
	v_add3_u32 v40, v40, v53, v54
	s_set_vgpr_msb 4                        ;  msbs: dst=0 src0=0 src1=1 src2=0
	v_mul_i32_i24_e32 v53, v56, v34 /*v290*/
	v_mul_i32_i24_e32 v54, v58, v35 /*v291*/
	;; [unrolled: 1-line block ×5, first 2 shown]
	s_set_vgpr_msb 0                        ;  msbs: dst=0 src0=0 src1=0 src2=0
	v_add3_u32 v40, v40, v52, v53
	s_set_vgpr_msb 4                        ;  msbs: dst=0 src0=0 src1=1 src2=0
	v_mul_i32_i24_e32 v69, v84, v41 /*v297*/
	v_mul_i32_i24_e32 v82, v92, v43 /*v299*/
	s_set_vgpr_msb 5                        ;  msbs: dst=0 src0=1 src1=1 src2=0
	v_mul_i32_i24_e32 v84, v147 /*v403*/, v44 /*v300*/
	v_mul_i32_i24_e32 v86, v148 /*v404*/, v45 /*v301*/
	s_set_vgpr_msb 0                        ;  msbs: dst=0 src0=0 src1=0 src2=0
	v_add3_u32 v40, v40, v54, v55
	s_set_vgpr_msb 5                        ;  msbs: dst=0 src0=1 src1=1 src2=0
	v_mul_i32_i24_e32 v92, v149 /*v405*/, v46 /*v302*/
	s_set_vgpr_msb 0x45                     ;  msbs: dst=1 src0=1 src1=1 src2=0
	v_mul_i32_i24_e32 v149 /*v405*/, v167 /*v423*/, v47 /*v303*/
	v_mul_i32_i24_e32 v167 /*v423*/, v168 /*v424*/, v48 /*v304*/
	;; [unrolled: 1-line block ×3, first 2 shown]
	s_set_vgpr_msb 0                        ;  msbs: dst=0 src0=0 src1=0 src2=0
	v_add3_u32 v40, v40, v56, v58
	s_set_vgpr_msb 0x45                     ;  msbs: dst=1 src0=1 src1=1 src2=0
	v_mul_i32_i24_e32 v169 /*v425*/, v49 /*v305*/, v170 /*v426*/
	v_mul_i32_i24_e32 v170 /*v426*/, v52 /*v308*/, v171 /*v427*/
	;; [unrolled: 1-line block ×4, first 2 shown]
	s_set_vgpr_msb 0                        ;  msbs: dst=0 src0=0 src1=0 src2=0
	v_add3_u32 v40, v40, v61, v67
	s_set_vgpr_msb 0x45                     ;  msbs: dst=1 src0=1 src1=1 src2=0
	v_mul_i32_i24_e32 v173 /*v429*/, v57 /*v313*/, v174 /*v430*/
	v_mul_i32_i24_e32 v174 /*v430*/, v55 /*v311*/, v175 /*v431*/
	v_mul_i32_i24_e32 v175 /*v431*/, v176 /*v432*/, v61 /*v317*/
	v_mul_i32_i24_e32 v176 /*v432*/, v177 /*v433*/, v63 /*v319*/
	s_set_vgpr_msb 0                        ;  msbs: dst=0 src0=0 src1=0 src2=0
	v_add3_u32 v40, v40, v69, v71
	s_set_vgpr_msb 5                        ;  msbs: dst=0 src0=1 src1=1 src2=0
	v_mul_i32_i24_e32 v52, v182 /*v438*/, v56 /*v312*/
	v_mul_i32_i24_e32 v53, v156 /*v412*/, v62 /*v318*/
	;; [unrolled: 1-line block ×4, first 2 shown]
	s_set_vgpr_msb 0                        ;  msbs: dst=0 src0=0 src1=0 src2=0
	v_add3_u32 v40, v40, v82, v84
	s_set_vgpr_msb 5                        ;  msbs: dst=0 src0=1 src1=1 src2=0
	v_mul_i32_i24_e32 v56, v187 /*v443*/, v70 /*v326*/
	v_mul_i32_i24_e32 v58, v188 /*v444*/, v71 /*v327*/
	v_mul_i32_i24_e32 v61, v189 /*v445*/, v68 /*v324*/
	v_mul_i32_i24_e32 v67, v190 /*v446*/, v73 /*v329*/
	s_set_vgpr_msb 0                        ;  msbs: dst=0 src0=0 src1=0 src2=0
	v_add3_u32 v40, v40, v86, v92
	s_set_vgpr_msb 5                        ;  msbs: dst=0 src0=1 src1=1 src2=0
	v_mul_i32_i24_e32 v69, v191 /*v447*/, v74 /*v330*/
	v_mul_i32_i24_e32 v71, v192 /*v448*/, v75 /*v331*/
	s_set_vgpr_msb 0x55                     ;  msbs: dst=1 src0=1 src1=1 src2=1
	v_add3_u32 v152 /*v408*/, v150 /*v406*/, v151 /*v407*/, v152 /*v408*/
	s_set_vgpr_msb 5                        ;  msbs: dst=0 src0=1 src1=1 src2=0
	v_mul_i32_i24_e32 v82, v193 /*v449*/, v72 /*v328*/
	s_set_vgpr_msb 20                       ;  msbs: dst=0 src0=0 src1=1 src2=1
	v_add3_u32 v40, v40, v149 /*v405*/, v167 /*v423*/
	s_set_vgpr_msb 5                        ;  msbs: dst=0 src0=1 src1=1 src2=0
	v_mul_i32_i24_e32 v84, v194 /*v450*/, v76 /*v332*/
	v_mul_i32_i24_e32 v86, v195 /*v451*/, v77 /*v333*/
	s_set_vgpr_msb 0x55                     ;  msbs: dst=1 src0=1 src1=1 src2=1
	v_add3_u32 v152 /*v408*/, v152 /*v408*/, v158 /*v414*/, v161 /*v417*/
	s_set_vgpr_msb 5                        ;  msbs: dst=0 src0=1 src1=1 src2=0
	v_mul_i32_i24_e32 v92, v196 /*v452*/, v78 /*v334*/
	s_set_vgpr_msb 20                       ;  msbs: dst=0 src0=0 src1=1 src2=1
	v_add3_u32 v40, v40, v168 /*v424*/, v169 /*v425*/
	s_set_vgpr_msb 0x55                     ;  msbs: dst=1 src0=1 src1=1 src2=1
	v_mul_i32_i24_e32 v167 /*v423*/, v79 /*v335*/, v198 /*v454*/
	v_mul_i32_i24_e32 v168 /*v424*/, v81 /*v337*/, v199 /*v455*/
	v_add3_u32 v152 /*v408*/, v152 /*v408*/, v210 /*v466*/, v211 /*v467*/
	s_set_vgpr_msb 0x41                     ;  msbs: dst=1 src0=1 src1=0 src2=0
	v_mul_i32_i24_e32 v210 /*v466*/, v156 /*v412*/, v188
	s_set_vgpr_msb 20                       ;  msbs: dst=0 src0=0 src1=1 src2=1
	v_add3_u32 v40, v40, v170 /*v426*/, v153 /*v409*/
	s_set_vgpr_msb 0x45                     ;  msbs: dst=1 src0=1 src1=1 src2=0
	v_mul_i32_i24_e32 v156 /*v412*/, v80 /*v336*/, v197 /*v453*/
	v_mul_i32_i24_e32 v169 /*v425*/, v82 /*v338*/, v200 /*v456*/
	;; [unrolled: 1-line block ×4, first 2 shown]
	s_set_vgpr_msb 20                       ;  msbs: dst=0 src0=0 src1=1 src2=1
	v_add3_u32 v40, v40, v171 /*v427*/, v172 /*v428*/
	s_set_vgpr_msb 0x55                     ;  msbs: dst=1 src0=1 src1=1 src2=1
	v_mul_i32_i24_e32 v171 /*v427*/, v83 /*v339*/, v202 /*v458*/
	v_mul_i32_i24_e32 v172 /*v428*/, v85 /*v341*/, v203 /*v459*/
	v_add3_u32 v152 /*v408*/, v152 /*v408*/, v212 /*v468*/, v213 /*v469*/
	s_set_vgpr_msb 0x41                     ;  msbs: dst=1 src0=1 src1=0 src2=0
	v_mul_i32_i24_e32 v158 /*v414*/, v180 /*v436*/, v185
	s_set_vgpr_msb 20                       ;  msbs: dst=0 src0=0 src1=1 src2=1
	v_add3_u32 v40, v40, v173 /*v429*/, v174 /*v430*/
	s_set_vgpr_msb 0x55                     ;  msbs: dst=1 src0=1 src1=1 src2=1
	v_mul_i32_i24_e32 v173 /*v429*/, v86 /*v342*/, v204 /*v460*/
	v_mul_i32_i24_e32 v174 /*v430*/, v88 /*v344*/, v205 /*v461*/
	v_add3_u32 v152 /*v408*/, v152 /*v408*/, v214 /*v470*/, v215 /*v471*/
	s_set_vgpr_msb 0x41                     ;  msbs: dst=1 src0=1 src1=0 src2=0
	v_mul_i32_i24_e32 v161 /*v417*/, v182 /*v438*/, v182
	s_set_vgpr_msb 0x54                     ;  msbs: dst=1 src0=0 src1=1 src2=1
	v_add3_u32 v149 /*v405*/, v40, v175 /*v431*/, v176 /*v432*/
	s_set_vgpr_msb 5                        ;  msbs: dst=0 src0=1 src1=1 src2=0
	v_mul_i32_i24_e32 v40, v180 /*v436*/, v59 /*v315*/
	s_set_vgpr_msb 0x45                     ;  msbs: dst=1 src0=1 src1=1 src2=0
	v_mul_i32_i24_e32 v175 /*v431*/, v87 /*v343*/, v206 /*v462*/
	v_mul_i32_i24_e32 v176 /*v432*/, v207 /*v463*/, v89 /*v345*/
	s_set_vgpr_msb 0x51                     ;  msbs: dst=1 src0=1 src1=0 src2=1
	v_mad_i32_i24 v158 /*v414*/, v181 /*v437*/, v184, v158 /*v414*/
	s_set_vgpr_msb 0x55                     ;  msbs: dst=1 src0=1 src1=1 src2=1
	v_add3_u32 v152 /*v408*/, v152 /*v408*/, v216 /*v472*/, v217 /*v473*/
	s_set_vgpr_msb 5                        ;  msbs: dst=0 src0=1 src1=1 src2=0
	v_mad_i32_i24 v40, v181 /*v437*/, v58 /*v314*/, v40
	s_set_vgpr_msb 0x41                     ;  msbs: dst=1 src0=1 src1=0 src2=0
	v_mul_i32_i24_e32 v150 /*v406*/, v178 /*v434*/, v190
	v_mul_i32_i24_e32 v151 /*v407*/, v179 /*v435*/, v192
	s_set_vgpr_msb 0x55                     ;  msbs: dst=1 src0=1 src1=1 src2=1
	v_add3_u32 v161 /*v417*/, v158 /*v414*/, v161 /*v417*/, v210 /*v466*/
	s_set_vgpr_msb 0x41                     ;  msbs: dst=1 src0=1 src1=0 src2=0
	v_mul_i32_i24_e32 v210 /*v466*/, v183 /*v439*/, v191
	s_set_vgpr_msb 0                        ;  msbs: dst=0 src0=0 src1=0 src2=0
	v_add3_u32 v40, v40, v52, v53
	s_set_vgpr_msb 5                        ;  msbs: dst=0 src0=1 src1=1 src2=0
	v_mul_i32_i24_e32 v52, v183 /*v439*/, v65 /*v321*/
	v_mul_i32_i24_e32 v53, v184 /*v440*/, v67 /*v323*/
	s_set_vgpr_msb 0x55                     ;  msbs: dst=1 src0=1 src1=1 src2=1
	v_mul_i32_i24_e32 v147 /*v403*/, v178 /*v434*/, v64 /*v320*/
	v_mul_i32_i24_e32 v148 /*v404*/, v179 /*v435*/, v66 /*v322*/
	v_add3_u32 v152 /*v408*/, v152 /*v408*/, v218 /*v474*/, v219 /*v475*/
	s_set_vgpr_msb 0x41                     ;  msbs: dst=1 src0=1 src1=0 src2=0
	v_mul_i32_i24_e32 v211 /*v467*/, v184 /*v440*/, v193
	s_set_vgpr_msb 0                        ;  msbs: dst=0 src0=0 src1=0 src2=0
	v_add3_u32 v40, v40, v52, v53
	s_set_vgpr_msb 0x41                     ;  msbs: dst=1 src0=1 src1=0 src2=0
	v_mul_i32_i24_e32 v212 /*v468*/, v185 /*v441*/, v186
	v_mul_i32_i24_e32 v213 /*v469*/, v186 /*v442*/, v195
	s_set_vgpr_msb 0x55                     ;  msbs: dst=1 src0=1 src1=1 src2=1
	v_add3_u32 v152 /*v408*/, v152 /*v408*/, v220 /*v476*/, v221 /*v477*/
	v_add3_u32 v161 /*v417*/, v161 /*v417*/, v210 /*v466*/, v211 /*v467*/
	s_set_vgpr_msb 0                        ;  msbs: dst=0 src0=0 src1=0 src2=0
	v_add3_u32 v40, v40, v54, v55
	s_set_vgpr_msb 0x41                     ;  msbs: dst=1 src0=1 src1=0 src2=0
	v_mul_i32_i24_e32 v214 /*v470*/, v187 /*v443*/, v196
	v_mul_i32_i24_e32 v215 /*v471*/, v188 /*v444*/, v197
	s_set_vgpr_msb 0x55                     ;  msbs: dst=1 src0=1 src1=1 src2=1
	v_add3_u32 v152 /*v408*/, v152 /*v408*/, v222 /*v478*/, v223 /*v479*/
	v_add3_u32 v161 /*v417*/, v161 /*v417*/, v212 /*v468*/, v213 /*v469*/
	;; [unrolled: 8-line block ×4, first 2 shown]
	s_set_vgpr_msb 0                        ;  msbs: dst=0 src0=0 src1=0 src2=0
	v_add3_u32 v40, v40, v69, v71
	s_set_vgpr_msb 0x41                     ;  msbs: dst=1 src0=1 src1=0 src2=0
	v_mul_i32_i24_e32 v220 /*v476*/, v193 /*v449*/, v198
	v_mul_i32_i24_e32 v221 /*v477*/, v194 /*v450*/, v202
	s_set_vgpr_msb 0x55                     ;  msbs: dst=1 src0=1 src1=1 src2=1
	v_add3_u32 v152 /*v408*/, v152 /*v408*/, v228 /*v484*/, v229 /*v485*/
	s_set_vgpr_msb 0x44                     ;  msbs: dst=1 src0=0 src1=1 src2=0
	v_mul_i32_i24_e32 v229 /*v485*/, v209, v202 /*v458*/
	s_set_vgpr_msb 0                        ;  msbs: dst=0 src0=0 src1=0 src2=0
	v_add3_u32 v40, v40, v82, v84
	s_set_vgpr_msb 0x44                     ;  msbs: dst=1 src0=0 src1=1 src2=0
	v_mul_i32_i24_e32 v228 /*v484*/, v210, v201 /*v457*/
	s_set_vgpr_msb 0x55                     ;  msbs: dst=1 src0=1 src1=1 src2=1
	v_add3_u32 v161 /*v417*/, v161 /*v417*/, v218 /*v474*/, v219 /*v475*/
	v_add3_u32 v152 /*v408*/, v152 /*v408*/, v230 /*v486*/, v231 /*v487*/
	s_set_vgpr_msb 0x44                     ;  msbs: dst=1 src0=0 src1=1 src2=0
	v_mul_i32_i24_e32 v230 /*v486*/, v211, v203 /*v459*/
	s_set_vgpr_msb 0                        ;  msbs: dst=0 src0=0 src1=0 src2=0
	v_add3_u32 v40, v40, v86, v92
	s_set_vgpr_msb 0x44                     ;  msbs: dst=1 src0=0 src1=1 src2=0
	v_mul_i32_i24_e32 v231 /*v487*/, v212, v204 /*v460*/
	s_set_vgpr_msb 0x41                     ;  msbs: dst=1 src0=1 src1=0 src2=0
	v_mul_i32_i24_e32 v222 /*v478*/, v195 /*v451*/, v203
	s_set_vgpr_msb 0x55                     ;  msbs: dst=1 src0=1 src1=1 src2=1
	v_add3_u32 v152 /*v408*/, v152 /*v408*/, v232 /*v488*/, v233 /*v489*/
	s_set_vgpr_msb 0x44                     ;  msbs: dst=1 src0=0 src1=1 src2=0
	v_mul_i32_i24_e32 v232 /*v488*/, v214, v205 /*v461*/
	s_set_vgpr_msb 20                       ;  msbs: dst=0 src0=0 src1=1 src2=1
	v_add3_u32 v40, v40, v156 /*v412*/, v167 /*v423*/
	s_set_vgpr_msb 0x41                     ;  msbs: dst=1 src0=1 src1=0 src2=0
	v_mul_i32_i24_e32 v223 /*v479*/, v196 /*v452*/, v204
	s_set_vgpr_msb 0x44                     ;  msbs: dst=1 src0=0 src1=1 src2=0
	v_mul_i32_i24_e32 v233 /*v489*/, v213, v206 /*v462*/
	s_set_vgpr_msb 0x55                     ;  msbs: dst=1 src0=1 src1=1 src2=1
	v_add3_u32 v161 /*v417*/, v161 /*v417*/, v220 /*v476*/, v221 /*v477*/
	s_set_vgpr_msb 0x44                     ;  msbs: dst=1 src0=0 src1=1 src2=0
	v_mul_i32_i24_e32 v224 /*v480*/, v206, v197 /*v453*/
	s_set_vgpr_msb 20                       ;  msbs: dst=0 src0=0 src1=1 src2=1
	v_add3_u32 v40, v40, v168 /*v424*/, v169 /*v425*/
	s_set_vgpr_msb 0x44                     ;  msbs: dst=1 src0=0 src1=1 src2=0
	v_mul_i32_i24_e32 v225 /*v481*/, v205, v198 /*v454*/
	s_set_vgpr_msb 0x41                     ;  msbs: dst=1 src0=1 src1=0 src2=0
	v_mul_i32_i24_e32 v158 /*v414*/, v209 /*v465*/, v217
	s_set_vgpr_msb 0x55                     ;  msbs: dst=1 src0=1 src1=1 src2=1
	v_add3_u32 v161 /*v417*/, v161 /*v417*/, v222 /*v478*/, v223 /*v479*/
	v_mul_i32_i24_e32 v153 /*v409*/, v209 /*v465*/, v91 /*v347*/
	s_set_vgpr_msb 20                       ;  msbs: dst=0 src0=0 src1=1 src2=1
	v_add3_u32 v40, v40, v170 /*v426*/, v171 /*v427*/
	s_set_vgpr_msb 0x44                     ;  msbs: dst=1 src0=0 src1=1 src2=0
	v_mul_i32_i24_e32 v226 /*v482*/, v207, v199 /*v455*/
	v_mul_i32_i24_e32 v227 /*v483*/, v208, v200 /*v456*/
	s_set_vgpr_msb 0x55                     ;  msbs: dst=1 src0=1 src1=1 src2=1
	v_add3_u32 v161 /*v417*/, v161 /*v417*/, v224 /*v480*/, v225 /*v481*/
	v_add3_u32 v150 /*v406*/, v152 /*v408*/, v150 /*v406*/, v151 /*v407*/
	s_set_vgpr_msb 20                       ;  msbs: dst=0 src0=0 src1=1 src2=1
	v_add3_u32 v40, v40, v172 /*v428*/, v173 /*v429*/
	s_set_vgpr_msb 0x55                     ;  msbs: dst=1 src0=1 src1=1 src2=1
	v_add3_u32 v161 /*v417*/, v161 /*v417*/, v226 /*v482*/, v227 /*v483*/
	s_set_vgpr_msb 0x41                     ;  msbs: dst=1 src0=1 src1=0 src2=0
	v_mul_lo_u32 v150 /*v406*/, v150 /*v406*/, v107
	s_set_vgpr_msb 20                       ;  msbs: dst=0 src0=0 src1=1 src2=1
	v_add3_u32 v40, v40, v174 /*v430*/, v175 /*v431*/
	s_set_vgpr_msb 0x55                     ;  msbs: dst=1 src0=1 src1=1 src2=1
	v_add3_u32 v161 /*v417*/, v161 /*v417*/, v228 /*v484*/, v229 /*v485*/
	s_set_vgpr_msb 0x54                     ;  msbs: dst=1 src0=0 src1=1 src2=1
	s_delay_alu instid0(VALU_DEP_2)
	v_add3_u32 v156 /*v412*/, v40, v176 /*v432*/, v177 /*v433*/
	s_set_vgpr_msb 0                        ;  msbs: dst=0 src0=0 src1=0 src2=0
	v_or_b32_e32 v40, s13, v140
	s_set_vgpr_msb 0x55                     ;  msbs: dst=1 src0=1 src1=1 src2=1
	v_add3_u32 v161 /*v417*/, v161 /*v417*/, v230 /*v486*/, v231 /*v487*/
	v_cvt_f32_i32_e32 v150 /*v406*/, v150 /*v406*/
	s_set_vgpr_msb 0                        ;  msbs: dst=0 src0=0 src1=0 src2=0
	v_lshlrev_b32_e32 v52, 2, v40
	s_set_vgpr_msb 64                       ;  msbs: dst=1 src0=0 src1=0 src2=0
	ds_load_b128 v[168:171] /*v[424:427]*/, v52 offset:16896
	ds_load_b128 v[172:175] /*v[428:431]*/, v52 offset:16912
	;; [unrolled: 1-line block ×4, first 2 shown]
	s_set_vgpr_msb 0x55                     ;  msbs: dst=1 src0=1 src1=1 src2=1
	v_add3_u32 v161 /*v417*/, v161 /*v417*/, v232 /*v488*/, v233 /*v489*/
	s_set_vgpr_msb 0                        ;  msbs: dst=0 src0=0 src1=0 src2=0
	v_lshrrev_b32_e32 v40, 1, v40
	s_set_vgpr_msb 0x55                     ;  msbs: dst=1 src0=1 src1=1 src2=1
	s_delay_alu instid0(VALU_DEP_2)
	v_add3_u32 v161 /*v417*/, v161 /*v417*/, v234 /*v490*/, v235 /*v491*/
	s_wait_dscnt 0x3
	s_set_vgpr_msb 1                        ;  msbs: dst=0 src0=1 src1=0 src2=0
	v_bfe_i32 v52, v168 /*v424*/, 0, 8
	v_bfe_i32 v53, v168 /*v424*/, 8, 8
	;; [unrolled: 1-line block ×3, first 2 shown]
	s_set_vgpr_msb 4                        ;  msbs: dst=0 src0=0 src1=1 src2=0
	v_dual_ashrrev_i32 v55, 24, v168 /*v424*/ :: v_dual_ashrrev_i32 v67, 24, v169 /*v425*/
	s_set_vgpr_msb 64                       ;  msbs: dst=1 src0=0 src1=0 src2=0
	v_mul_i32_i24_e32 v167 /*v423*/, v52, v119
	s_set_vgpr_msb 1                        ;  msbs: dst=0 src0=1 src1=0 src2=0
	v_bfe_i32 v56, v169 /*v425*/, 0, 8
	v_bfe_i32 v58, v169 /*v425*/, 8, 8
	v_bfe_i32 v61, v169 /*v425*/, 16, 8
	s_set_vgpr_msb 0x44                     ;  msbs: dst=1 src0=0 src1=1 src2=0
	v_mul_i32_i24_e32 v168 /*v424*/, v54, v92 /*v348*/
	v_mul_i32_i24_e32 v169 /*v425*/, v55, v93 /*v349*/
	s_set_vgpr_msb 0x50                     ;  msbs: dst=1 src0=0 src1=0 src2=1
	v_mad_i32_i24 v167 /*v423*/, v53, v118, v167 /*v423*/
	s_wait_dscnt 0x1
	s_set_vgpr_msb 0x41                     ;  msbs: dst=1 src0=1 src1=0 src2=0
	v_bfe_i32 v202 /*v458*/, v176 /*v432*/, 0, 8
	s_set_vgpr_msb 1                        ;  msbs: dst=0 src0=1 src1=0 src2=0
	v_bfe_i32 v69, v170 /*v426*/, 0, 8
	v_bfe_i32 v71, v170 /*v426*/, 8, 8
	;; [unrolled: 1-line block ×3, first 2 shown]
	s_set_vgpr_msb 0x55                     ;  msbs: dst=1 src0=1 src1=1 src2=1
	v_add3_u32 v167 /*v423*/, v167 /*v423*/, v168 /*v424*/, v169 /*v425*/
	s_set_vgpr_msb 0x44                     ;  msbs: dst=1 src0=0 src1=1 src2=0
	v_mul_i32_i24_e32 v168 /*v424*/, v56, v94 /*v350*/
	v_mul_i32_i24_e32 v169 /*v425*/, v58, v95 /*v351*/
	s_set_vgpr_msb 4                        ;  msbs: dst=0 src0=0 src1=1 src2=0
	v_ashrrev_i32_e32 v84, 24, v170 /*v426*/
	s_set_vgpr_msb 1                        ;  msbs: dst=0 src0=1 src1=0 src2=0
	v_bfe_i32 v86, v171 /*v427*/, 0, 8
	v_bfe_i32 v92, v171 /*v427*/, 8, 8
	s_set_vgpr_msb 0x41                     ;  msbs: dst=1 src0=1 src1=0 src2=0
	v_bfe_i32 v184 /*v440*/, v171 /*v427*/, 16, 8
	s_set_vgpr_msb 0x44                     ;  msbs: dst=1 src0=0 src1=1 src2=0
	v_dual_ashrrev_i32 v185 /*v441*/, 24, v171 /*v427*/ :: v_dual_ashrrev_i32 v189 /*v445*/, 24, v172 /*v428*/
	v_dual_ashrrev_i32 v201 /*v457*/, 24, v175 /*v431*/ :: v_dual_ashrrev_i32 v205 /*v461*/, 24, v176 /*v432*/
	s_set_vgpr_msb 0x41                     ;  msbs: dst=1 src0=1 src1=0 src2=0
	v_bfe_i32 v203 /*v459*/, v176 /*v432*/, 8, 8
	v_bfe_i32 v204 /*v460*/, v176 /*v432*/, 16, 8
	s_set_vgpr_msb 0x44                     ;  msbs: dst=1 src0=0 src1=1 src2=0
	v_mul_i32_i24_e32 v170 /*v426*/, v61, v96 /*v352*/
	v_mul_i32_i24_e32 v171 /*v427*/, v67, v97 /*v353*/
	s_set_vgpr_msb 0x55                     ;  msbs: dst=1 src0=1 src1=1 src2=1
	v_add3_u32 v167 /*v423*/, v167 /*v423*/, v168 /*v424*/, v169 /*v425*/
	s_set_vgpr_msb 0x44                     ;  msbs: dst=1 src0=0 src1=1 src2=0
	v_mul_i32_i24_e32 v168 /*v424*/, v116, v202 /*v458*/
	s_set_vgpr_msb 0x55                     ;  msbs: dst=1 src0=1 src1=1 src2=1
	v_bfe_i32 v206 /*v462*/, v177 /*v433*/, 0, 8
	v_bfe_i32 v207 /*v463*/, v177 /*v433*/, 8, 8
	v_mul_i32_i24_e32 v169 /*v425*/, v132 /*v388*/, v204 /*v460*/
	v_add3_u32 v167 /*v423*/, v167 /*v423*/, v170 /*v426*/, v171 /*v427*/
	v_mul_i32_i24_e32 v170 /*v426*/, v123 /*v379*/, v205 /*v461*/
	s_set_vgpr_msb 0x54                     ;  msbs: dst=1 src0=0 src1=1 src2=1
	v_mad_i32_i24 v168 /*v424*/, v113, v203 /*v459*/, v168 /*v424*/
	s_set_vgpr_msb 0x41                     ;  msbs: dst=1 src0=1 src1=0 src2=0
	v_bfe_i32 v186 /*v442*/, v172 /*v428*/, 0, 8
	v_bfe_i32 v187 /*v443*/, v172 /*v428*/, 8, 8
	;; [unrolled: 1-line block ×6, first 2 shown]
	s_set_vgpr_msb 0x44                     ;  msbs: dst=1 src0=0 src1=1 src2=0
	v_dual_ashrrev_i32 v193 /*v449*/, 24, v173 /*v429*/ :: v_dual_ashrrev_i32 v197 /*v453*/, 24, v174 /*v430*/
	s_set_vgpr_msb 0x41                     ;  msbs: dst=1 src0=1 src1=0 src2=0
	v_bfe_i32 v208 /*v464*/, v177 /*v433*/, 16, 8
	s_set_vgpr_msb 0x44                     ;  msbs: dst=1 src0=0 src1=1 src2=0
	v_dual_ashrrev_i32 v209 /*v465*/, 24, v177 /*v433*/ :: v_dual_ashrrev_i32 v213 /*v469*/, 24, v178 /*v434*/
	v_mul_i32_i24_e32 v172 /*v428*/, v69, v98 /*v354*/
	v_mul_i32_i24_e32 v173 /*v429*/, v71, v99 /*v355*/
	s_set_vgpr_msb 0x55                     ;  msbs: dst=1 src0=1 src1=1 src2=1
	v_add3_u32 v168 /*v424*/, v168 /*v424*/, v169 /*v425*/, v170 /*v426*/
	s_set_vgpr_msb 0x44                     ;  msbs: dst=1 src0=0 src1=1 src2=0
	v_mul_i32_i24_e32 v169 /*v425*/, v117, v206 /*v462*/
	s_set_vgpr_msb 0x45                     ;  msbs: dst=1 src0=1 src1=1 src2=0
	v_mul_i32_i24_e32 v170 /*v426*/, v134 /*v390*/, v207 /*v463*/
	v_bfe_i32 v194 /*v450*/, v174 /*v430*/, 0, 8
	v_bfe_i32 v195 /*v451*/, v174 /*v430*/, 8, 8
	;; [unrolled: 1-line block ×8, first 2 shown]
	s_set_vgpr_msb 0x44                     ;  msbs: dst=1 src0=0 src1=1 src2=0
	v_mul_i32_i24_e32 v174 /*v430*/, v82, v100 /*v356*/
	v_mul_i32_i24_e32 v175 /*v431*/, v84, v101 /*v357*/
	s_set_vgpr_msb 0x55                     ;  msbs: dst=1 src0=1 src1=1 src2=1
	v_add3_u32 v167 /*v423*/, v167 /*v423*/, v172 /*v428*/, v173 /*v429*/
	v_mul_i32_i24_e32 v171 /*v427*/, v133 /*v389*/, v208 /*v464*/
	v_mul_i32_i24_e32 v172 /*v428*/, v115 /*v371*/, v209 /*v465*/
	v_add3_u32 v168 /*v424*/, v168 /*v424*/, v169 /*v425*/, v170 /*v426*/
	v_bfe_i32 v212 /*v468*/, v178 /*v434*/, 16, 8
	s_set_vgpr_msb 0x44                     ;  msbs: dst=1 src0=0 src1=1 src2=0
	v_mul_i32_i24_e32 v176 /*v432*/, v86, v102 /*v358*/
	v_mul_i32_i24_e32 v177 /*v433*/, v92, v103 /*v359*/
	s_set_vgpr_msb 0x55                     ;  msbs: dst=1 src0=1 src1=1 src2=1
	v_add3_u32 v167 /*v423*/, v167 /*v423*/, v174 /*v430*/, v175 /*v431*/
	s_set_vgpr_msb 0x44                     ;  msbs: dst=1 src0=0 src1=1 src2=0
	v_mul_i32_i24_e32 v173 /*v429*/, v114, v210 /*v466*/
	s_set_vgpr_msb 0x55                     ;  msbs: dst=1 src0=1 src1=1 src2=1
	v_mul_i32_i24_e32 v174 /*v430*/, v136 /*v392*/, v211 /*v467*/
	v_add3_u32 v168 /*v424*/, v168 /*v424*/, v171 /*v427*/, v172 /*v428*/
	v_bfe_i32 v214 /*v470*/, v179 /*v435*/, 0, 8
	v_bfe_i32 v215 /*v471*/, v179 /*v435*/, 8, 8
	;; [unrolled: 1-line block ×3, first 2 shown]
	v_ashrrev_i32_e32 v217 /*v473*/, 24, v179 /*v435*/
	v_mul_i32_i24_e32 v178 /*v434*/, v184 /*v440*/, v104 /*v360*/
	v_mul_i32_i24_e32 v179 /*v435*/, v185 /*v441*/, v105 /*v361*/
	v_add3_u32 v167 /*v423*/, v167 /*v423*/, v176 /*v432*/, v177 /*v433*/
	v_mul_i32_i24_e32 v175 /*v431*/, v135 /*v391*/, v212 /*v468*/
	v_mul_i32_i24_e32 v176 /*v432*/, v116 /*v372*/, v213 /*v469*/
	v_add3_u32 v168 /*v424*/, v168 /*v424*/, v173 /*v429*/, v174 /*v430*/
	;; [unrolled: 3-line block ×3, first 2 shown]
	s_set_vgpr_msb 0x44                     ;  msbs: dst=1 src0=0 src1=1 src2=0
	v_mul_i32_i24_e32 v177 /*v433*/, v115, v214 /*v470*/
	s_set_vgpr_msb 0x55                     ;  msbs: dst=1 src0=1 src1=1 src2=1
	v_mul_i32_i24_e32 v178 /*v434*/, v138 /*v394*/, v215 /*v471*/
	v_add3_u32 v168 /*v424*/, v168 /*v424*/, v175 /*v431*/, v176 /*v432*/
	s_wait_dscnt 0x0
	v_bfe_i32 v218 /*v474*/, v180 /*v436*/, 0, 8
	v_bfe_i32 v219 /*v475*/, v180 /*v436*/, 8, 8
	;; [unrolled: 1-line block ×3, first 2 shown]
	v_ashrrev_i32_e32 v180 /*v436*/, 24, v180 /*v436*/
	v_mul_i32_i24_e32 v232 /*v488*/, v188 /*v444*/, v108 /*v364*/
	v_mul_i32_i24_e32 v233 /*v489*/, v189 /*v445*/, v109 /*v365*/
	v_add3_u32 v167 /*v423*/, v167 /*v423*/, v230 /*v486*/, v231 /*v487*/
	v_mul_i32_i24_e32 v179 /*v435*/, v137 /*v393*/, v216 /*v472*/
	v_mul_i32_i24_e32 v230 /*v486*/, v117 /*v373*/, v217 /*v473*/
	v_add3_u32 v168 /*v424*/, v168 /*v424*/, v177 /*v433*/, v178 /*v434*/
	;; [unrolled: 3-line block ×3, first 2 shown]
	s_set_vgpr_msb 0x44                     ;  msbs: dst=1 src0=0 src1=1 src2=0
	v_mul_i32_i24_e32 v231 /*v487*/, v110, v218 /*v474*/
	s_set_vgpr_msb 0x55                     ;  msbs: dst=1 src0=1 src1=1 src2=1
	v_mul_i32_i24_e32 v232 /*v488*/, v140 /*v396*/, v219 /*v475*/
	v_add3_u32 v168 /*v424*/, v168 /*v424*/, v179 /*v435*/, v230 /*v486*/
	v_bfe_i32 v221 /*v477*/, v181 /*v437*/, 0, 8
	v_bfe_i32 v222 /*v478*/, v181 /*v437*/, 8, 8
	v_mul_i32_i24_e32 v236 /*v492*/, v113 /*v369*/, v192 /*v448*/
	v_mul_i32_i24_e32 v237 /*v493*/, v112 /*v368*/, v193 /*v449*/
	v_add3_u32 v167 /*v423*/, v167 /*v423*/, v234 /*v490*/, v235 /*v491*/
	v_mul_i32_i24_e32 v233 /*v489*/, v139 /*v395*/, v220 /*v476*/
	v_mul_i32_i24_e32 v234 /*v490*/, v118 /*v374*/, v180 /*v436*/
	v_add3_u32 v168 /*v424*/, v168 /*v424*/, v231 /*v487*/, v232 /*v488*/
	v_bfe_i32 v223 /*v479*/, v181 /*v437*/, 16, 8
	v_ashrrev_i32_e32 v181 /*v437*/, 24, v181 /*v437*/
	v_mul_i32_i24_e32 v238 /*v494*/, v121 /*v377*/, v194 /*v450*/
	v_mul_i32_i24_e32 v239 /*v495*/, v114 /*v370*/, v195 /*v451*/
	v_add3_u32 v167 /*v423*/, v167 /*v423*/, v236 /*v492*/, v237 /*v493*/
	s_set_vgpr_msb 0x44                     ;  msbs: dst=1 src0=0 src1=1 src2=0
	v_mul_i32_i24_e32 v235 /*v491*/, v111, v221 /*v477*/
	s_set_vgpr_msb 0x55                     ;  msbs: dst=1 src0=1 src1=1 src2=1
	v_mul_i32_i24_e32 v236 /*v492*/, v142 /*v398*/, v222 /*v478*/
	v_add3_u32 v168 /*v424*/, v168 /*v424*/, v233 /*v489*/, v234 /*v490*/
	v_bfe_i32 v224 /*v480*/, v182 /*v438*/, 0, 8
	v_bfe_i32 v225 /*v481*/, v182 /*v438*/, 8, 8
	;; [unrolled: 1-line block ×3, first 2 shown]
	v_ashrrev_i32_e32 v182 /*v438*/, 24, v182 /*v438*/
	v_mul_i32_i24_e32 v240 /*v496*/, v125 /*v381*/, v196 /*v452*/
	v_mul_i32_i24_e32 v241 /*v497*/, v122 /*v378*/, v197 /*v453*/
	v_add3_u32 v167 /*v423*/, v167 /*v423*/, v238 /*v494*/, v239 /*v495*/
	v_mul_i32_i24_e32 v237 /*v493*/, v141 /*v397*/, v223 /*v479*/
	v_mul_i32_i24_e32 v238 /*v494*/, v119 /*v375*/, v181 /*v437*/
	v_add3_u32 v168 /*v424*/, v168 /*v424*/, v235 /*v491*/, v236 /*v492*/
	;; [unrolled: 3-line block ×3, first 2 shown]
	s_set_vgpr_msb 0x44                     ;  msbs: dst=1 src0=0 src1=1 src2=0
	v_mul_i32_i24_e32 v239 /*v495*/, v112, v224 /*v480*/
	s_set_vgpr_msb 0x55                     ;  msbs: dst=1 src0=1 src1=1 src2=1
	v_mul_i32_i24_e32 v240 /*v496*/, v144 /*v400*/, v225 /*v481*/
	v_add3_u32 v168 /*v424*/, v168 /*v424*/, v237 /*v493*/, v238 /*v494*/
	v_bfe_i32 v227 /*v483*/, v183 /*v439*/, 0, 8
	v_bfe_i32 v228 /*v484*/, v183 /*v439*/, 8, 8
	v_add3_u32 v167 /*v423*/, v167 /*v423*/, v242 /*v498*/, v243 /*v499*/
	v_mul_i32_i24_e32 v241 /*v497*/, v143 /*v399*/, v226 /*v482*/
	v_mul_i32_i24_e32 v242 /*v498*/, v120 /*v376*/, v182 /*v438*/
	v_add3_u32 v168 /*v424*/, v168 /*v424*/, v239 /*v495*/, v240 /*v496*/
	v_mul_i32_i24_e32 v243 /*v499*/, v227 /*v483*/, v124 /*v380*/
	v_mul_i32_i24_e32 v246 /*v502*/, v228 /*v484*/, v126 /*v382*/
	s_set_vgpr_msb 64                       ;  msbs: dst=1 src0=0 src1=0 src2=0
	ds_load_b64 v[170:171] /*v[426:427]*/, v40 offset:27200
	s_set_vgpr_msb 0x55                     ;  msbs: dst=1 src0=1 src1=1 src2=1
	v_bfe_i32 v229 /*v485*/, v183 /*v439*/, 16, 8
	v_add3_u32 v168 /*v424*/, v168 /*v424*/, v241 /*v497*/, v242 /*v498*/
	v_mul_i32_i24_e32 v244 /*v500*/, v200 /*v456*/, v130 /*v386*/
	v_mul_i32_i24_e32 v245 /*v501*/, v201 /*v457*/, v131 /*v387*/
	s_set_vgpr_msb 0x41                     ;  msbs: dst=1 src0=1 src1=0 src2=0
	v_mul_i32_i24_e32 v231 /*v487*/, v186 /*v442*/, v235
	s_set_vgpr_msb 0x55                     ;  msbs: dst=1 src0=1 src1=1 src2=1
	v_mul_i32_i24_e32 v247 /*v503*/, v229 /*v485*/, v127 /*v383*/
	v_add3_u32 v230 /*v486*/, v168 /*v424*/, v243 /*v499*/, v246 /*v502*/
	ds_load_b64 v[168:169] /*v[424:425]*/, v146 /*v402*/ offset:27200
	v_ashrrev_i32_e32 v183 /*v439*/, 24, v183 /*v439*/
	s_set_vgpr_msb 0x41                     ;  msbs: dst=1 src0=1 src1=0 src2=0
	v_mul_i32_i24_e32 v232 /*v488*/, v187 /*v443*/, v236
	v_mul_i32_i24_e32 v233 /*v489*/, v188 /*v444*/, v237
	;; [unrolled: 1-line block ×3, first 2 shown]
	s_set_vgpr_msb 0x44                     ;  msbs: dst=1 src0=0 src1=1 src2=0
	v_mul_i32_i24_e32 v235 /*v491*/, v240, v190 /*v446*/
	v_mul_i32_i24_e32 v236 /*v492*/, v239, v191 /*v447*/
	;; [unrolled: 1-line block ×7, first 2 shown]
	s_wait_dscnt 0x1
	s_set_vgpr_msb 4                        ;  msbs: dst=0 src0=0 src1=1 src2=0
	v_lshrrev_b32_e32 v40, 16, v170 /*v426*/
	s_set_vgpr_msb 0x41                     ;  msbs: dst=1 src0=1 src1=0 src2=0
	v_cvt_f32_f16_e64 v173 /*v429*/, v170 /*v426*/
	v_cvt_f32_f16_e64 v177 /*v433*/, v171 /*v427*/
	s_set_vgpr_msb 0x44                     ;  msbs: dst=1 src0=0 src1=1 src2=0
	v_mul_i32_i24_e32 v242 /*v498*/, v245, v197 /*v453*/
	s_set_vgpr_msb 0x41                     ;  msbs: dst=1 src0=1 src1=0 src2=0
	v_mul_i32_i24_e32 v243 /*v499*/, v198 /*v454*/, v251
	s_set_vgpr_msb 64                       ;  msbs: dst=1 src0=0 src1=0 src2=0
	v_cvt_f32_f16_e64 v175 /*v431*/, v40
	s_set_vgpr_msb 0x45                     ;  msbs: dst=1 src0=1 src1=1 src2=0
	v_mul_i32_i24_e32 v246 /*v502*/, v201 /*v457*/, v0 /*v256*/
	v_mul_i32_i24_e32 v248 /*v504*/, v229 /*v485*/, v25 /*v281*/
	s_wait_dscnt 0x0
	v_lshrrev_b32_e32 v146 /*v402*/, 16, v168 /*v424*/
	s_set_vgpr_msb 4                        ;  msbs: dst=0 src0=0 src1=1 src2=0
	v_lshrrev_b32_e32 v40, 16, v169 /*v425*/
	s_set_vgpr_msb 0x41                     ;  msbs: dst=1 src0=1 src1=0 src2=0
	v_cvt_f32_f16_e64 v172 /*v428*/, v168 /*v424*/
	v_cvt_f32_f16_e64 v176 /*v432*/, v169 /*v425*/
	v_mul_i32_i24_e32 v157 /*v413*/, v183 /*v439*/, v109
	v_cvt_f32_f16_e64 v174 /*v430*/, v146 /*v402*/
	s_set_vgpr_msb 0x44                     ;  msbs: dst=1 src0=0 src1=1 src2=0
	v_lshrrev_b32_e32 v146 /*v402*/, 16, v171 /*v427*/
	v_cvt_f32_f16_e64 v168 /*v424*/, v40
	s_set_vgpr_msb 21                       ;  msbs: dst=0 src0=1 src1=1 src2=1
	v_add3_u32 v40, v167 /*v423*/, v244 /*v500*/, v245 /*v501*/
	s_set_vgpr_msb 0x41                     ;  msbs: dst=1 src0=1 src1=0 src2=0
	v_mul_i32_i24_e32 v244 /*v500*/, v199 /*v455*/, v253
	s_set_vgpr_msb 0x44                     ;  msbs: dst=1 src0=0 src1=1 src2=0
	v_pk_fma_f32 v[178:179] /*v[434:435]*/, v[98:99], v[174:175] /*v[430:431]*/, 0 op_sel_hi:[0,1,0]
	s_set_vgpr_msb 0x55                     ;  msbs: dst=1 src0=1 src1=1 src2=1
	v_cvt_f32_f16_e64 v169 /*v425*/, v146 /*v402*/
	v_add3_u32 v146 /*v402*/, v162 /*v418*/, v159 /*v415*/, v160 /*v416*/
	s_set_vgpr_msb 0                        ;  msbs: dst=0 src0=0 src1=0 src2=0
	v_mul_lo_u32 v40, v40, v105
	s_set_vgpr_msb 64                       ;  msbs: dst=1 src0=0 src1=0 src2=0
	v_mul_i32_i24_e32 v159 /*v415*/, v55, v222
	v_mul_i32_i24_e32 v160 /*v416*/, v61, v225
	;; [unrolled: 1-line block ×3, first 2 shown]
	s_set_vgpr_msb 0x41                     ;  msbs: dst=1 src0=1 src1=0 src2=0
	v_mul_lo_u32 v146 /*v402*/, v146 /*v402*/, v105
	v_mul_i32_i24_e32 v245 /*v501*/, v200 /*v456*/, v254
	v_mul_i32_i24_e32 v152 /*v408*/, v183 /*v439*/, v97
	s_set_vgpr_msb 64                       ;  msbs: dst=1 src0=0 src1=0 src2=0
	v_cvt_f32_i32_e32 v171 /*v427*/, v40
	s_set_vgpr_msb 1                        ;  msbs: dst=0 src0=1 src1=0 src2=0
	v_mul_i32_i24_e32 v40, v145 /*v401*/, v103
	s_set_vgpr_msb 0x41                     ;  msbs: dst=1 src0=1 src1=0 src2=0
	v_cvt_f32_i32_e32 v170 /*v426*/, v146 /*v402*/
	v_mul_i32_i24_e32 v146 /*v402*/, v183 /*v439*/, v103
	s_set_vgpr_msb 5                        ;  msbs: dst=0 src0=1 src1=1 src2=0
	v_add3_u32 v40, v166 /*v422*/, v165 /*v421*/, v40
	s_set_vgpr_msb 64                       ;  msbs: dst=1 src0=0 src1=0 src2=0
	v_mul_i32_i24_e32 v165 /*v421*/, v69, v227
	s_set_vgpr_msb 0x55                     ;  msbs: dst=1 src0=1 src1=1 src2=1
	v_pk_fma_f32 v[170:171] /*v[426:427]*/, v[172:173] /*v[428:429]*/, v[170:171] /*v[426:427]*/, 0 op_sel_hi:[1,1,0]
	v_add3_u32 v146 /*v402*/, v230 /*v486*/, v247 /*v503*/, v146 /*v402*/
	s_set_vgpr_msb 0                        ;  msbs: dst=0 src0=0 src1=0 src2=0
	v_mul_lo_u32 v40, v40, v101
	s_set_vgpr_msb 0x41                     ;  msbs: dst=1 src0=1 src1=0 src2=0
	v_mul_i32_i24_e32 v230 /*v486*/, v185 /*v441*/, v234
	s_set_vgpr_msb 0x45                     ;  msbs: dst=1 src0=1 src1=1 src2=0
	v_mul_i32_i24_e32 v247 /*v503*/, v228 /*v484*/, v24 /*v280*/
	s_set_vgpr_msb 0x41                     ;  msbs: dst=1 src0=1 src1=0 src2=0
	v_mul_lo_u32 v146 /*v402*/, v146 /*v402*/, v101
	s_set_vgpr_msb 64                       ;  msbs: dst=1 src0=0 src1=0 src2=0
	s_delay_alu instid0(VALU_DEP_4) | instskip(SKIP_3) | instid1(VALU_DEP_3)
	v_cvt_f32_i32_e32 v166 /*v422*/, v40
	s_set_vgpr_msb 0                        ;  msbs: dst=0 src0=0 src1=0 src2=0
	v_mul_i32_i24_e32 v40, v52, v220
	s_set_vgpr_msb 0x41                     ;  msbs: dst=1 src0=1 src1=0 src2=0
	v_cvt_f32_i32_e32 v167 /*v423*/, v146 /*v402*/
	s_set_vgpr_msb 64                       ;  msbs: dst=1 src0=0 src1=0 src2=0
	v_mul_i32_i24_e32 v146 /*v402*/, v54, v221
	s_set_vgpr_msb 0                        ;  msbs: dst=0 src0=0 src1=0 src2=0
	v_mad_i32_i24 v40, v53, v219, v40
	s_set_vgpr_msb 0x55                     ;  msbs: dst=1 src0=1 src1=1 src2=1
	v_pk_fma_f32 v[166:167] /*v[422:423]*/, v[176:177] /*v[432:433]*/, v[166:167] /*v[422:423]*/, v[170:171] /*v[426:427]*/
	s_set_vgpr_msb 0x54                     ;  msbs: dst=1 src0=0 src1=1 src2=1
	v_pk_fma_f32 v[170:171] /*v[426:427]*/, v[100:101], v[168:169] /*v[424:425]*/, v[178:179] /*v[434:435]*/ op_sel_hi:[0,1,1]
	s_set_vgpr_msb 20                       ;  msbs: dst=0 src0=0 src1=1 src2=1
	v_add3_u32 v40, v40, v146 /*v402*/, v159 /*v415*/
	s_set_vgpr_msb 64                       ;  msbs: dst=1 src0=0 src1=0 src2=0
	v_mul_i32_i24_e32 v146 /*v402*/, v56, v223
	v_mul_i32_i24_e32 v159 /*v415*/, v58, v224
	;; [unrolled: 1-line block ×3, first 2 shown]
	s_set_vgpr_msb 0x41                     ;  msbs: dst=1 src0=1 src1=0 src2=0
	v_pk_mul_f32 v[170:171] /*v[426:427]*/, v[170:171] /*v[426:427]*/, v[8:9]
	v_mul_i32_i24_e32 v179 /*v435*/, v184 /*v440*/, v233
	s_set_vgpr_msb 20                       ;  msbs: dst=0 src0=0 src1=1 src2=1
	v_add3_u32 v40, v40, v146 /*v402*/, v159 /*v415*/
	s_set_vgpr_msb 0x51                     ;  msbs: dst=1 src0=1 src1=0 src2=1
	v_mul_i32_i24_e32 v146 /*v402*/, v202 /*v458*/, v249
	v_pk_fma_f32 v[166:167] /*v[422:423]*/, v[166:167] /*v[422:423]*/, v[0:1], v[170:171] /*v[426:427]*/ neg_lo:[0,0,1] neg_hi:[0,0,1]
	s_set_vgpr_msb 64                       ;  msbs: dst=1 src0=0 src1=0 src2=0
	v_mul_i32_i24_e32 v170 /*v426*/, v84, v230
	s_set_vgpr_msb 0x41                     ;  msbs: dst=1 src0=1 src1=0 src2=0
	v_mul_i32_i24_e32 v159 /*v415*/, v204 /*v460*/, v246
	s_set_vgpr_msb 20                       ;  msbs: dst=0 src0=0 src1=1 src2=1
	v_add3_u32 v40, v40, v160 /*v416*/, v162 /*v418*/
	s_set_vgpr_msb 0x41                     ;  msbs: dst=1 src0=1 src1=0 src2=0
	v_mul_i32_i24_e32 v160 /*v416*/, v205 /*v461*/, v252
	s_set_vgpr_msb 4                        ;  msbs: dst=0 src0=0 src1=1 src2=0
	v_pk_add_f32 v[38:39], v[38:39], v[166:167] /*v[422:423]*/
	s_set_vgpr_msb 64                       ;  msbs: dst=1 src0=0 src1=0 src2=0
	v_mul_i32_i24_e32 v166 /*v422*/, v71, v228
	v_mul_i32_i24_e32 v167 /*v423*/, v82, v229
	s_set_vgpr_msb 0x51                     ;  msbs: dst=1 src0=1 src1=0 src2=1
	v_mad_i32_i24 v146 /*v402*/, v203 /*v459*/, v248, v146 /*v402*/
	s_set_vgpr_msb 64                       ;  msbs: dst=1 src0=0 src1=0 src2=0
	v_mul_i32_i24_e32 v171 /*v427*/, v86, v231
	s_set_vgpr_msb 0x41                     ;  msbs: dst=1 src0=1 src1=0 src2=0
	v_mul_i32_i24_e32 v162 /*v418*/, v208 /*v464*/, v250
	s_set_vgpr_msb 20                       ;  msbs: dst=0 src0=0 src1=1 src2=1
	v_add3_u32 v40, v40, v165 /*v421*/, v166 /*v422*/
	s_set_vgpr_msb 0x55                     ;  msbs: dst=1 src0=1 src1=1 src2=1
	v_mul_i32_i24_e32 v165 /*v421*/, v209 /*v465*/, v3 /*v259*/
	v_add3_u32 v146 /*v402*/, v146 /*v402*/, v159 /*v415*/, v160 /*v416*/
	s_set_vgpr_msb 0x41                     ;  msbs: dst=1 src0=1 src1=0 src2=0
	v_mul_i32_i24_e32 v159 /*v415*/, v206 /*v462*/, v255
	s_set_vgpr_msb 0x45                     ;  msbs: dst=1 src0=1 src1=1 src2=0
	v_mul_i32_i24_e32 v160 /*v416*/, v207 /*v463*/, v1 /*v257*/
	s_set_vgpr_msb 20                       ;  msbs: dst=0 src0=0 src1=1 src2=1
	v_add3_u32 v40, v40, v167 /*v423*/, v170 /*v426*/
	s_set_vgpr_msb 0x55                     ;  msbs: dst=1 src0=1 src1=1 src2=1
	v_mul_i32_i24_e32 v166 /*v422*/, v210 /*v466*/, v4 /*v260*/
	v_mul_i32_i24_e32 v167 /*v423*/, v211 /*v467*/, v5 /*v261*/
	;; [unrolled: 1-line block ×3, first 2 shown]
	v_add3_u32 v146 /*v402*/, v146 /*v402*/, v159 /*v415*/, v160 /*v416*/
	s_set_vgpr_msb 20                       ;  msbs: dst=0 src0=0 src1=1 src2=1
	v_add3_u32 v40, v40, v171 /*v427*/, v178 /*v434*/
	s_set_vgpr_msb 0x45                     ;  msbs: dst=1 src0=1 src1=1 src2=0
	v_mul_i32_i24_e32 v171 /*v427*/, v213 /*v469*/, v7 /*v263*/
	v_mul_i32_i24_e32 v178 /*v434*/, v214 /*v470*/, v8 /*v264*/
	s_set_vgpr_msb 64                       ;  msbs: dst=1 src0=0 src1=0 src2=0
	v_mul_i32_i24_e32 v159 /*v415*/, v69, v163
	s_set_vgpr_msb 0x55                     ;  msbs: dst=1 src0=1 src1=1 src2=1
	v_add3_u32 v146 /*v402*/, v146 /*v402*/, v162 /*v418*/, v165 /*v421*/
	s_set_vgpr_msb 20                       ;  msbs: dst=0 src0=0 src1=1 src2=1
	v_add3_u32 v40, v40, v179 /*v435*/, v230 /*v486*/
	s_set_vgpr_msb 0x45                     ;  msbs: dst=1 src0=1 src1=1 src2=0
	v_mul_i32_i24_e32 v179 /*v435*/, v215 /*v471*/, v9 /*v265*/
	v_mul_i32_i24_e32 v230 /*v486*/, v216 /*v472*/, v6 /*v262*/
	s_set_vgpr_msb 64                       ;  msbs: dst=1 src0=0 src1=0 src2=0
	v_mul_i32_i24_e32 v160 /*v416*/, v71, v164
	s_set_vgpr_msb 0x55                     ;  msbs: dst=1 src0=1 src1=1 src2=1
	v_add3_u32 v146 /*v402*/, v146 /*v402*/, v166 /*v422*/, v167 /*v423*/
	s_set_vgpr_msb 20                       ;  msbs: dst=0 src0=0 src1=1 src2=1
	v_add3_u32 v40, v40, v231 /*v487*/, v232 /*v488*/
	s_set_vgpr_msb 0x45                     ;  msbs: dst=1 src0=1 src1=1 src2=0
	v_mul_i32_i24_e32 v231 /*v487*/, v217 /*v473*/, v10 /*v266*/
	v_mul_i32_i24_e32 v232 /*v488*/, v218 /*v474*/, v11 /*v267*/
	s_set_vgpr_msb 0x44                     ;  msbs: dst=1 src0=0 src1=1 src2=0
	v_pk_fma_f32 v[166:167] /*v[422:423]*/, v[102:103], v[174:175] /*v[430:431]*/, 0 op_sel_hi:[0,1,0]
	s_set_vgpr_msb 0x55                     ;  msbs: dst=1 src0=1 src1=1 src2=1
	v_add3_u32 v146 /*v402*/, v146 /*v402*/, v170 /*v426*/, v171 /*v427*/
	s_set_vgpr_msb 20                       ;  msbs: dst=0 src0=0 src1=1 src2=1
	v_add3_u32 v40, v40, v233 /*v489*/, v234 /*v490*/
	s_set_vgpr_msb 0x45                     ;  msbs: dst=1 src0=1 src1=1 src2=0
	v_mul_i32_i24_e32 v233 /*v489*/, v219 /*v475*/, v12 /*v268*/
	v_mul_i32_i24_e32 v234 /*v490*/, v14 /*v270*/, v220 /*v476*/
	s_set_vgpr_msb 64                       ;  msbs: dst=1 src0=0 src1=0 src2=0
	v_mul_i32_i24_e32 v165 /*v421*/, v92, v168
	s_set_vgpr_msb 0x55                     ;  msbs: dst=1 src0=1 src1=1 src2=1
	v_add3_u32 v146 /*v402*/, v146 /*v402*/, v178 /*v434*/, v179 /*v435*/
	s_set_vgpr_msb 20                       ;  msbs: dst=0 src0=0 src1=1 src2=1
	v_add3_u32 v40, v40, v235 /*v491*/, v236 /*v492*/
	s_set_vgpr_msb 0x45                     ;  msbs: dst=1 src0=1 src1=1 src2=0
	v_mul_i32_i24_e32 v235 /*v491*/, v13 /*v269*/, v180 /*v436*/
	v_mul_i32_i24_e32 v236 /*v492*/, v15 /*v271*/, v221 /*v477*/
	s_set_vgpr_msb 0x41                     ;  msbs: dst=1 src0=1 src1=0 src2=0
	v_mul_i32_i24_e32 v170 /*v426*/, v186 /*v442*/, v171
	s_set_vgpr_msb 0x55                     ;  msbs: dst=1 src0=1 src1=1 src2=1
	v_add3_u32 v146 /*v402*/, v146 /*v402*/, v230 /*v486*/, v231 /*v487*/
	s_set_vgpr_msb 20                       ;  msbs: dst=0 src0=0 src1=1 src2=1
	v_add3_u32 v40, v40, v237 /*v493*/, v238 /*v494*/
	s_set_vgpr_msb 0x45                     ;  msbs: dst=1 src0=1 src1=1 src2=0
	v_mul_i32_i24_e32 v237 /*v493*/, v16 /*v272*/, v222 /*v478*/
	v_mul_i32_i24_e32 v238 /*v494*/, v18 /*v274*/, v223 /*v479*/
	s_set_vgpr_msb 0x41                     ;  msbs: dst=1 src0=1 src1=0 src2=0
	v_mul_i32_i24_e32 v171 /*v427*/, v187 /*v443*/, v172
	;; [unrolled: 9-line block ×4, first 2 shown]
	s_set_vgpr_msb 0x55                     ;  msbs: dst=1 src0=1 src1=1 src2=1
	v_add3_u32 v146 /*v402*/, v146 /*v402*/, v236 /*v492*/, v237 /*v493*/
	s_set_vgpr_msb 20                       ;  msbs: dst=0 src0=0 src1=1 src2=1
	v_add3_u32 v40, v40, v243 /*v499*/, v244 /*v500*/
	s_set_vgpr_msb 0x45                     ;  msbs: dst=1 src0=1 src1=1 src2=0
	v_mul_i32_i24_e32 v243 /*v499*/, v21 /*v277*/, v182 /*v438*/
	v_mul_i32_i24_e32 v244 /*v500*/, v227 /*v483*/, v23 /*v279*/
	s_set_vgpr_msb 0x44                     ;  msbs: dst=1 src0=0 src1=1 src2=0
	v_mul_i32_i24_e32 v230 /*v486*/, v176, v190 /*v446*/
	s_set_vgpr_msb 0x55                     ;  msbs: dst=1 src0=1 src1=1 src2=1
	v_add3_u32 v146 /*v402*/, v146 /*v402*/, v238 /*v494*/, v239 /*v495*/
	s_set_vgpr_msb 20                       ;  msbs: dst=0 src0=0 src1=1 src2=1
	v_add3_u32 v40, v40, v245 /*v501*/, v246 /*v502*/
	s_set_vgpr_msb 0x44                     ;  msbs: dst=1 src0=0 src1=1 src2=0
	v_mul_i32_i24_e32 v231 /*v487*/, v175, v191 /*v447*/
	v_mul_i32_i24_e32 v232 /*v488*/, v178, v192 /*v448*/
	;; [unrolled: 1-line block ×3, first 2 shown]
	s_set_vgpr_msb 0x55                     ;  msbs: dst=1 src0=1 src1=1 src2=1
	v_add3_u32 v146 /*v402*/, v146 /*v402*/, v240 /*v496*/, v241 /*v497*/
	s_set_vgpr_msb 0                        ;  msbs: dst=0 src0=0 src1=0 src2=0
	v_mul_lo_u32 v40, v40, v218
	s_set_vgpr_msb 0x44                     ;  msbs: dst=1 src0=0 src1=1 src2=0
	v_mul_i32_i24_e32 v234 /*v490*/, v180, v194 /*v450*/
	v_mul_i32_i24_e32 v235 /*v491*/, v179, v195 /*v451*/
	;; [unrolled: 1-line block ×3, first 2 shown]
	s_set_vgpr_msb 0x55                     ;  msbs: dst=1 src0=1 src1=1 src2=1
	v_add3_u32 v146 /*v402*/, v146 /*v402*/, v242 /*v498*/, v243 /*v499*/
	s_set_vgpr_msb 0x44                     ;  msbs: dst=1 src0=0 src1=1 src2=0
	v_mul_i32_i24_e32 v237 /*v493*/, v181, v197 /*v453*/
	s_set_vgpr_msb 0x41                     ;  msbs: dst=1 src0=1 src1=0 src2=0
	v_mul_i32_i24_e32 v238 /*v494*/, v198 /*v454*/, v187
	v_mul_i32_i24_e32 v239 /*v495*/, v199 /*v455*/, v189
	;; [unrolled: 1-line block ×3, first 2 shown]
	s_set_vgpr_msb 0x55                     ;  msbs: dst=1 src0=1 src1=1 src2=1
	v_add3_u32 v146 /*v402*/, v146 /*v402*/, v244 /*v500*/, v247 /*v503*/
	s_set_vgpr_msb 0x41                     ;  msbs: dst=1 src0=1 src1=0 src2=0
	v_mul_i32_i24_e32 v241 /*v497*/, v201 /*v457*/, v192
	s_set_vgpr_msb 64                       ;  msbs: dst=1 src0=0 src1=0 src2=0
	v_cvt_f32_i32_e32 v155 /*v411*/, v40
	s_set_vgpr_msb 1                        ;  msbs: dst=0 src0=1 src1=0 src2=0
	v_mul_i32_i24_e32 v40, v145 /*v401*/, v109
	s_set_vgpr_msb 0x41                     ;  msbs: dst=1 src0=1 src1=0 src2=0
	v_mul_i32_i24_e32 v242 /*v498*/, v228 /*v484*/, v216
	s_set_vgpr_msb 0x55                     ;  msbs: dst=1 src0=1 src1=1 src2=1
	v_add3_u32 v146 /*v402*/, v146 /*v402*/, v248 /*v504*/, v157 /*v413*/
	s_set_vgpr_msb 64                       ;  msbs: dst=1 src0=0 src1=0 src2=0
	v_mul_i32_i24_e32 v157 /*v413*/, v67, v162
	s_set_vgpr_msb 0x45                     ;  msbs: dst=1 src0=1 src1=1 src2=0
	v_pk_fma_f32 v[154:155] /*v[410:411]*/, v[172:173] /*v[428:429]*/, v[154:155] /*v[410:411]*/, 0 op_sel_hi:[1,1,0]
	s_set_vgpr_msb 5                        ;  msbs: dst=0 src0=1 src1=1 src2=0
	v_add3_u32 v40, v164 /*v420*/, v163 /*v419*/, v40
	s_set_vgpr_msb 64                       ;  msbs: dst=1 src0=0 src1=0 src2=0
	v_mul_i32_i24_e32 v164 /*v420*/, v86, v167
	s_set_vgpr_msb 0x41                     ;  msbs: dst=1 src0=1 src1=0 src2=0
	v_mul_lo_u32 v146 /*v402*/, v146 /*v402*/, v157
	v_mul_i32_i24_e32 v243 /*v499*/, v229 /*v485*/, v217
	s_set_vgpr_msb 0                        ;  msbs: dst=0 src0=0 src1=0 src2=0
	v_mul_lo_u32 v40, v40, v157
	s_set_vgpr_msb 0x41                     ;  msbs: dst=1 src0=1 src1=0 src2=0
	s_delay_alu instid0(VALU_DEP_3) | instskip(SKIP_2) | instid1(VALU_DEP_3)
	v_cvt_f32_i32_e32 v163 /*v419*/, v146 /*v402*/
	s_set_vgpr_msb 64                       ;  msbs: dst=1 src0=0 src1=0 src2=0
	v_mul_i32_i24_e32 v146 /*v402*/, v54, v124
	v_cvt_f32_i32_e32 v162 /*v418*/, v40
	s_set_vgpr_msb 0                        ;  msbs: dst=0 src0=0 src1=0 src2=0
	v_mul_i32_i24_e32 v40, v52, v122
	s_set_vgpr_msb 0x55                     ;  msbs: dst=1 src0=1 src1=1 src2=1
	s_delay_alu instid0(VALU_DEP_2)
	v_pk_fma_f32 v[154:155] /*v[410:411]*/, v[176:177] /*v[432:433]*/, v[162:163] /*v[418:419]*/, v[154:155] /*v[410:411]*/
	s_set_vgpr_msb 0x54                     ;  msbs: dst=1 src0=0 src1=1 src2=1
	v_pk_fma_f32 v[162:163] /*v[418:419]*/, v[104:105], v[168:169] /*v[424:425]*/, v[166:167] /*v[422:423]*/ op_sel_hi:[0,1,1]
	s_set_vgpr_msb 0                        ;  msbs: dst=0 src0=0 src1=0 src2=0
	v_mad_i32_i24 v40, v53, v120, v40
	s_set_vgpr_msb 0x51                     ;  msbs: dst=1 src0=1 src1=0 src2=1
	v_mul_i32_i24_e32 v166 /*v422*/, v184 /*v440*/, v169
	v_mul_i32_i24_e32 v167 /*v423*/, v185 /*v441*/, v170
	v_pk_mul_f32 v[162:163] /*v[418:419]*/, v[162:163] /*v[418:419]*/, v[10:11]
	s_delay_alu instid0(VALU_DEP_1)
	v_pk_fma_f32 v[154:155] /*v[410:411]*/, v[154:155] /*v[410:411]*/, v[2:3], v[162:163] /*v[418:419]*/ neg_lo:[0,0,1] neg_hi:[0,0,1]
	s_set_vgpr_msb 64                       ;  msbs: dst=1 src0=0 src1=0 src2=0
	v_mul_i32_i24_e32 v162 /*v418*/, v82, v165
	v_mul_i32_i24_e32 v163 /*v419*/, v84, v166
	s_set_vgpr_msb 4                        ;  msbs: dst=0 src0=0 src1=1 src2=0
	v_pk_add_f32 v[36:37], v[36:37], v[154:155] /*v[410:411]*/
	s_set_vgpr_msb 64                       ;  msbs: dst=1 src0=0 src1=0 src2=0
	v_mul_i32_i24_e32 v154 /*v410*/, v55, v158
	v_mul_i32_i24_e32 v155 /*v411*/, v61, v161
	s_set_vgpr_msb 20                       ;  msbs: dst=0 src0=0 src1=1 src2=1
	s_delay_alu instid0(VALU_DEP_2) | instskip(SKIP_4) | instid1(VALU_DEP_1)
	v_add3_u32 v40, v40, v146 /*v402*/, v154 /*v410*/
	s_set_vgpr_msb 64                       ;  msbs: dst=1 src0=0 src1=0 src2=0
	v_mul_i32_i24_e32 v146 /*v402*/, v56, v159
	v_mul_i32_i24_e32 v154 /*v410*/, v58, v160
	s_set_vgpr_msb 20                       ;  msbs: dst=0 src0=0 src1=1 src2=1
	v_add3_u32 v40, v40, v146 /*v402*/, v154 /*v410*/
	s_set_vgpr_msb 0x41                     ;  msbs: dst=1 src0=1 src1=0 src2=0
	v_mul_i32_i24_e32 v146 /*v402*/, v202 /*v458*/, v185
	v_mul_i32_i24_e32 v154 /*v410*/, v204 /*v460*/, v182
	s_set_vgpr_msb 20                       ;  msbs: dst=0 src0=0 src1=1 src2=1
	v_add3_u32 v40, v40, v155 /*v411*/, v157 /*v413*/
	s_set_vgpr_msb 0x51                     ;  msbs: dst=1 src0=1 src1=0 src2=1
	v_mul_i32_i24_e32 v155 /*v411*/, v205 /*v461*/, v188
	v_mad_i32_i24 v146 /*v402*/, v203 /*v459*/, v184, v146 /*v402*/
	v_mul_i32_i24_e32 v157 /*v413*/, v208 /*v464*/, v186
	s_set_vgpr_msb 20                       ;  msbs: dst=0 src0=0 src1=1 src2=1
	v_add3_u32 v40, v40, v159 /*v415*/, v160 /*v416*/
	s_set_vgpr_msb 0x41                     ;  msbs: dst=1 src0=1 src1=0 src2=0
	v_mul_i32_i24_e32 v159 /*v415*/, v209 /*v465*/, v195
	s_set_vgpr_msb 0x55                     ;  msbs: dst=1 src0=1 src1=1 src2=1
	v_add3_u32 v146 /*v402*/, v146 /*v402*/, v154 /*v410*/, v155 /*v411*/
	s_set_vgpr_msb 0x41                     ;  msbs: dst=1 src0=1 src1=0 src2=0
	v_mul_i32_i24_e32 v154 /*v410*/, v206 /*v462*/, v191
	v_mul_i32_i24_e32 v155 /*v411*/, v207 /*v463*/, v193
	s_set_vgpr_msb 20                       ;  msbs: dst=0 src0=0 src1=1 src2=1
	v_add3_u32 v40, v40, v162 /*v418*/, v163 /*v419*/
	s_set_vgpr_msb 0x41                     ;  msbs: dst=1 src0=1 src1=0 src2=0
	v_mul_i32_i24_e32 v160 /*v416*/, v210 /*v466*/, v196
	v_mul_i32_i24_e32 v162 /*v418*/, v211 /*v467*/, v197
	;; [unrolled: 1-line block ×3, first 2 shown]
	s_set_vgpr_msb 0x55                     ;  msbs: dst=1 src0=1 src1=1 src2=1
	v_add3_u32 v146 /*v402*/, v146 /*v402*/, v154 /*v410*/, v155 /*v411*/
	s_set_vgpr_msb 20                       ;  msbs: dst=0 src0=0 src1=1 src2=1
	v_add3_u32 v40, v40, v164 /*v420*/, v165 /*v421*/
	s_set_vgpr_msb 0x41                     ;  msbs: dst=1 src0=1 src1=0 src2=0
	v_mul_i32_i24_e32 v164 /*v420*/, v213 /*v469*/, v199
	v_mul_i32_i24_e32 v165 /*v421*/, v214 /*v470*/, v200
	s_set_vgpr_msb 0x44                     ;  msbs: dst=1 src0=0 src1=1 src2=0
	v_pk_fma_f32 v[154:155] /*v[410:411]*/, v[94:95], v[174:175] /*v[430:431]*/, 0 op_sel_hi:[0,1,0]
	s_set_vgpr_msb 0x55                     ;  msbs: dst=1 src0=1 src1=1 src2=1
	v_add3_u32 v146 /*v402*/, v146 /*v402*/, v157 /*v413*/, v159 /*v415*/
	s_set_vgpr_msb 20                       ;  msbs: dst=0 src0=0 src1=1 src2=1
	v_add3_u32 v40, v40, v166 /*v422*/, v167 /*v423*/
	s_set_vgpr_msb 0x41                     ;  msbs: dst=1 src0=1 src1=0 src2=0
	v_mul_i32_i24_e32 v166 /*v422*/, v215 /*v471*/, v201
	v_mul_i32_i24_e32 v167 /*v423*/, v216 /*v472*/, v198
	s_set_vgpr_msb 0x54                     ;  msbs: dst=1 src0=0 src1=1 src2=1
	v_pk_fma_f32 v[154:155] /*v[410:411]*/, v[96:97], v[168:169] /*v[424:425]*/, v[154:155] /*v[410:411]*/ op_sel_hi:[0,1,1]
	s_set_vgpr_msb 0x55                     ;  msbs: dst=1 src0=1 src1=1 src2=1
	v_add3_u32 v146 /*v402*/, v146 /*v402*/, v160 /*v416*/, v162 /*v418*/
	s_set_vgpr_msb 20                       ;  msbs: dst=0 src0=0 src1=1 src2=1
	v_add3_u32 v40, v40, v170 /*v426*/, v171 /*v427*/
	s_set_vgpr_msb 0x41                     ;  msbs: dst=1 src0=1 src1=0 src2=0
	v_mul_i32_i24_e32 v170 /*v426*/, v217 /*v473*/, v202
	v_mul_i32_i24_e32 v171 /*v427*/, v218 /*v474*/, v203
	v_pk_mul_f32 v[154:155] /*v[410:411]*/, v[154:155] /*v[410:411]*/, v[12:13]
	s_set_vgpr_msb 0x55                     ;  msbs: dst=1 src0=1 src1=1 src2=1
	v_add3_u32 v146 /*v402*/, v146 /*v402*/, v163 /*v419*/, v164 /*v420*/
	s_set_vgpr_msb 20                       ;  msbs: dst=0 src0=0 src1=1 src2=1
	v_add3_u32 v40, v40, v178 /*v434*/, v179 /*v435*/
	s_set_vgpr_msb 0x41                     ;  msbs: dst=1 src0=1 src1=0 src2=0
	v_mul_i32_i24_e32 v178 /*v434*/, v219 /*v475*/, v204
	s_set_vgpr_msb 0x44                     ;  msbs: dst=1 src0=0 src1=1 src2=0
	v_mul_i32_i24_e32 v179 /*v435*/, v206, v220 /*v476*/
	s_set_vgpr_msb 0x55                     ;  msbs: dst=1 src0=1 src1=1 src2=1
	v_mul_i32_i24_e32 v157 /*v413*/, v54 /*v310*/, v194 /*v450*/
	v_add3_u32 v146 /*v402*/, v146 /*v402*/, v165 /*v421*/, v166 /*v422*/
	s_set_vgpr_msb 20                       ;  msbs: dst=0 src0=0 src1=1 src2=1
	v_add3_u32 v40, v40, v230 /*v486*/, v231 /*v487*/
	s_set_vgpr_msb 0x44                     ;  msbs: dst=1 src0=0 src1=1 src2=0
	v_mul_i32_i24_e32 v230 /*v486*/, v205, v180 /*v436*/
	v_mul_i32_i24_e32 v231 /*v487*/, v207, v221 /*v477*/
	s_set_vgpr_msb 0x55                     ;  msbs: dst=1 src0=1 src1=1 src2=1
	v_mul_i32_i24_e32 v160 /*v416*/, v55 /*v311*/, v197 /*v453*/
	v_add3_u32 v146 /*v402*/, v146 /*v402*/, v167 /*v423*/, v170 /*v426*/
	s_set_vgpr_msb 20                       ;  msbs: dst=0 src0=0 src1=1 src2=1
	v_add3_u32 v40, v40, v232 /*v488*/, v233 /*v489*/
	s_set_vgpr_msb 0x44                     ;  msbs: dst=1 src0=0 src1=1 src2=0
	v_mul_i32_i24_e32 v232 /*v488*/, v208, v222 /*v478*/
	;; [unrolled: 8-line block ×5, first 2 shown]
	s_set_vgpr_msb 0x41                     ;  msbs: dst=1 src0=1 src1=0 src2=0
	v_mul_i32_i24_e32 v239 /*v495*/, v227 /*v483*/, v215
	s_set_vgpr_msb 0x55                     ;  msbs: dst=1 src0=1 src1=1 src2=1
	v_mul_i32_i24_e32 v165 /*v421*/, v228 /*v484*/, v90 /*v346*/
	v_add3_u32 v146 /*v402*/, v146 /*v402*/, v233 /*v489*/, v234 /*v490*/
	s_set_vgpr_msb 20                       ;  msbs: dst=0 src0=0 src1=1 src2=1
	v_add3_u32 v40, v40, v240 /*v496*/, v241 /*v497*/
	s_set_vgpr_msb 0x55                     ;  msbs: dst=1 src0=1 src1=1 src2=1
	v_mul_i32_i24_e32 v166 /*v422*/, v229 /*v485*/, v91 /*v347*/
	v_add3_u32 v146 /*v402*/, v146 /*v402*/, v235 /*v491*/, v236 /*v492*/
	s_set_vgpr_msb 0                        ;  msbs: dst=0 src0=0 src1=0 src2=0
	v_mul_lo_u32 v40, v40, v107
	s_set_vgpr_msb 0x55                     ;  msbs: dst=1 src0=1 src1=1 src2=1
	s_delay_alu instid0(VALU_DEP_2) | instskip(NEXT) | instid1(VALU_DEP_1)
	v_add3_u32 v146 /*v402*/, v146 /*v402*/, v237 /*v493*/, v238 /*v494*/
	v_add3_u32 v146 /*v402*/, v146 /*v402*/, v239 /*v495*/, v242 /*v498*/
	s_set_vgpr_msb 64                       ;  msbs: dst=1 src0=0 src1=0 src2=0
	s_delay_alu instid0(VALU_DEP_3)
	v_cvt_f32_i32_e32 v151 /*v407*/, v40
	s_set_vgpr_msb 1                        ;  msbs: dst=0 src0=1 src1=0 src2=0
	v_mul_i32_i24_e32 v40, v145 /*v401*/, v97
	s_set_vgpr_msb 0x55                     ;  msbs: dst=1 src0=1 src1=1 src2=1
	v_add3_u32 v146 /*v402*/, v146 /*v402*/, v243 /*v499*/, v152 /*v408*/
	v_mul_i32_i24_e32 v152 /*v408*/, v49 /*v305*/, v191 /*v447*/
	v_pk_fma_f32 v[150:151] /*v[406:407]*/, v[172:173] /*v[428:429]*/, v[150:151] /*v[406:407]*/, 0 op_sel_hi:[1,1,0]
	s_set_vgpr_msb 5                        ;  msbs: dst=0 src0=1 src1=1 src2=0
	v_add3_u32 v40, v161 /*v417*/, v158 /*v414*/, v40
	s_set_vgpr_msb 0x45                     ;  msbs: dst=1 src0=1 src1=1 src2=0
	v_mul_i32_i24_e32 v161 /*v417*/, v198 /*v454*/, v61 /*v317*/
	s_set_vgpr_msb 0x41                     ;  msbs: dst=1 src0=1 src1=0 src2=0
	v_mul_lo_u32 v146 /*v402*/, v146 /*v402*/, v99
	s_set_vgpr_msb 0                        ;  msbs: dst=0 src0=0 src1=0 src2=0
	v_mul_lo_u32 v40, v40, v99
	s_set_vgpr_msb 0x45                     ;  msbs: dst=1 src0=1 src1=1 src2=0
	s_delay_alu instid0(VALU_DEP_2) | instskip(SKIP_2) | instid1(VALU_DEP_3)
	v_cvt_f32_i32_e32 v159 /*v415*/, v146 /*v402*/
	v_mul_i32_i24_e32 v146 /*v402*/, v188 /*v444*/, v47 /*v303*/
	s_set_vgpr_msb 64                       ;  msbs: dst=1 src0=0 src1=0 src2=0
	v_cvt_f32_i32_e32 v158 /*v414*/, v40
	s_set_vgpr_msb 4                        ;  msbs: dst=0 src0=0 src1=1 src2=0
	v_mul_i32_i24_e32 v40, v52, v30 /*v286*/
	v_mul_i32_i24_e32 v52, v54, v31 /*v287*/
	;; [unrolled: 1-line block ×5, first 2 shown]
	v_mad_i32_i24 v40, v53, v29 /*v285*/, v40
	v_mul_i32_i24_e32 v53, v58, v34 /*v290*/
	v_mul_i32_i24_e32 v58, v71, v38 /*v294*/
	;; [unrolled: 1-line block ×3, first 2 shown]
	s_set_vgpr_msb 0x55                     ;  msbs: dst=1 src0=1 src1=1 src2=1
	v_pk_fma_f32 v[150:151] /*v[406:407]*/, v[176:177] /*v[432:433]*/, v[158:159] /*v[414:415]*/, v[150:151] /*v[406:407]*/
	s_set_vgpr_msb 0                        ;  msbs: dst=0 src0=0 src1=0 src2=0
	v_add3_u32 v40, v40, v52, v54
	s_set_vgpr_msb 4                        ;  msbs: dst=0 src0=0 src1=1 src2=0
	v_mul_i32_i24_e32 v52, v56, v33 /*v289*/
	v_mul_i32_i24_e32 v54, v61, v35 /*v291*/
	;; [unrolled: 1-line block ×5, first 2 shown]
	s_set_vgpr_msb 0                        ;  msbs: dst=0 src0=0 src1=0 src2=0
	v_add3_u32 v40, v40, v52, v53
	s_set_vgpr_msb 5                        ;  msbs: dst=0 src0=1 src1=1 src2=0
	v_mul_i32_i24_e32 v52, v202 /*v458*/, v59 /*v315*/
	v_mul_i32_i24_e32 v53, v204 /*v460*/, v56 /*v312*/
	;; [unrolled: 1-line block ×4, first 2 shown]
	s_set_vgpr_msb 0                        ;  msbs: dst=0 src0=0 src1=0 src2=0
	v_add3_u32 v40, v40, v54, v55
	s_set_vgpr_msb 5                        ;  msbs: dst=0 src0=1 src1=1 src2=0
	v_mul_i32_i24_e32 v54, v205 /*v461*/, v62 /*v318*/
	v_mad_i32_i24 v52, v203 /*v459*/, v58 /*v314*/, v52
	v_mul_i32_i24_e32 v55, v208 /*v464*/, v60 /*v316*/
	s_set_vgpr_msb 0x51                     ;  msbs: dst=1 src0=1 src1=0 src2=1
	v_pk_fma_f32 v[150:151] /*v[406:407]*/, v[150:151] /*v[406:407]*/, v[4:5], v[154:155] /*v[410:411]*/ neg_lo:[0,0,1] neg_hi:[0,0,1]
	s_set_vgpr_msb 0                        ;  msbs: dst=0 src0=0 src1=0 src2=0
	v_add3_u32 v40, v40, v56, v58
	s_set_vgpr_msb 5                        ;  msbs: dst=0 src0=1 src1=1 src2=0
	v_mul_i32_i24_e32 v56, v209 /*v465*/, v69 /*v325*/
	s_set_vgpr_msb 0                        ;  msbs: dst=0 src0=0 src1=0 src2=0
	v_add3_u32 v52, v52, v53, v54
	s_set_vgpr_msb 5                        ;  msbs: dst=0 src0=1 src1=1 src2=0
	v_mul_i32_i24_e32 v53, v206 /*v462*/, v65 /*v321*/
	v_mul_i32_i24_e32 v54, v207 /*v463*/, v67 /*v323*/
	s_set_vgpr_msb 0                        ;  msbs: dst=0 src0=0 src1=0 src2=0
	v_add3_u32 v40, v40, v61, v67
	s_set_vgpr_msb 5                        ;  msbs: dst=0 src0=1 src1=1 src2=0
	v_mul_i32_i24_e32 v86, v186 /*v442*/, v45 /*v301*/
	v_mul_i32_i24_e32 v92, v187 /*v443*/, v46 /*v302*/
	;; [unrolled: 1-line block ×3, first 2 shown]
	s_set_vgpr_msb 0                        ;  msbs: dst=0 src0=0 src1=0 src2=0
	v_add3_u32 v52, v52, v53, v54
	v_add3_u32 v40, v40, v69, v71
	s_set_vgpr_msb 5                        ;  msbs: dst=0 src0=1 src1=1 src2=0
	v_mul_i32_i24_e32 v61, v211 /*v467*/, v71 /*v327*/
	s_set_vgpr_msb 4                        ;  msbs: dst=0 src0=0 src1=1 src2=0
	v_pk_add_f32 v[34:35], v[34:35], v[150:151] /*v[406:407]*/
	s_set_vgpr_msb 0x45                     ;  msbs: dst=1 src0=1 src1=1 src2=0
	v_mul_i32_i24_e32 v150 /*v406*/, v189 /*v445*/, v48 /*v304*/
	s_set_vgpr_msb 0                        ;  msbs: dst=0 src0=0 src1=0 src2=0
	v_add3_u32 v52, v52, v55, v56
	v_add3_u32 v40, v40, v82, v84
	s_set_vgpr_msb 5                        ;  msbs: dst=0 src0=1 src1=1 src2=0
	v_mul_i32_i24_e32 v67, v212 /*v468*/, v68 /*v324*/
	v_mul_i32_i24_e32 v69, v213 /*v469*/, v73 /*v329*/
	s_set_vgpr_msb 0x45                     ;  msbs: dst=1 src0=1 src1=1 src2=0
	v_mul_i32_i24_e32 v151 /*v407*/, v50 /*v306*/, v190 /*v446*/
	s_set_vgpr_msb 0                        ;  msbs: dst=0 src0=0 src1=0 src2=0
	v_add3_u32 v52, v52, v58, v61
	v_add3_u32 v40, v40, v86, v92
	s_set_vgpr_msb 5                        ;  msbs: dst=0 src0=1 src1=1 src2=0
	v_mul_i32_i24_e32 v71, v214 /*v470*/, v74 /*v330*/
	v_mul_i32_i24_e32 v82, v215 /*v471*/, v75 /*v331*/
	s_set_vgpr_msb 0x45                     ;  msbs: dst=1 src0=1 src1=1 src2=0
	v_mul_i32_i24_e32 v154 /*v410*/, v52 /*v308*/, v192 /*v448*/
	s_set_vgpr_msb 0                        ;  msbs: dst=0 src0=0 src1=0 src2=0
	v_add3_u32 v52, v52, v67, v69
	s_set_vgpr_msb 20                       ;  msbs: dst=0 src0=0 src1=1 src2=1
	v_add3_u32 v40, v40, v146 /*v402*/, v150 /*v406*/
	s_set_vgpr_msb 0x45                     ;  msbs: dst=1 src0=1 src1=1 src2=0
	v_mul_i32_i24_e32 v155 /*v411*/, v51 /*v307*/, v193 /*v449*/
	s_set_vgpr_msb 5                        ;  msbs: dst=0 src0=1 src1=1 src2=0
	v_mul_i32_i24_e32 v84, v216 /*v472*/, v72 /*v328*/
	v_mul_i32_i24_e32 v86, v217 /*v473*/, v76 /*v332*/
	s_set_vgpr_msb 0                        ;  msbs: dst=0 src0=0 src1=0 src2=0
	v_add3_u32 v52, v52, v71, v82
	s_set_vgpr_msb 20                       ;  msbs: dst=0 src0=0 src1=1 src2=1
	v_add3_u32 v40, v40, v151 /*v407*/, v152 /*v408*/
	s_set_vgpr_msb 0x45                     ;  msbs: dst=1 src0=1 src1=1 src2=0
	v_mul_i32_i24_e32 v158 /*v414*/, v53 /*v309*/, v195 /*v451*/
	s_set_vgpr_msb 5                        ;  msbs: dst=0 src0=1 src1=1 src2=0
	v_mul_i32_i24_e32 v92, v218 /*v474*/, v77 /*v333*/
	s_set_vgpr_msb 0x45                     ;  msbs: dst=1 src0=1 src1=1 src2=0
	v_mul_i32_i24_e32 v146 /*v402*/, v219 /*v475*/, v78 /*v334*/
	s_set_vgpr_msb 0                        ;  msbs: dst=0 src0=0 src1=0 src2=0
	v_add3_u32 v52, v52, v84, v86
	s_set_vgpr_msb 20                       ;  msbs: dst=0 src0=0 src1=1 src2=1
	v_add3_u32 v40, v40, v154 /*v410*/, v155 /*v411*/
	s_set_vgpr_msb 0x45                     ;  msbs: dst=1 src0=1 src1=1 src2=0
	v_mul_i32_i24_e32 v159 /*v415*/, v57 /*v313*/, v196 /*v452*/
	v_mul_i32_i24_e32 v150 /*v406*/, v80 /*v336*/, v220 /*v476*/
	;; [unrolled: 1-line block ×3, first 2 shown]
	s_set_vgpr_msb 16                       ;  msbs: dst=0 src0=0 src1=0 src2=1
	v_add3_u32 v52, v52, v92, v146 /*v402*/
	s_set_vgpr_msb 20                       ;  msbs: dst=0 src0=0 src1=1 src2=1
	v_add3_u32 v40, v40, v157 /*v413*/, v158 /*v414*/
	s_set_vgpr_msb 0x45                     ;  msbs: dst=1 src0=1 src1=1 src2=0
	v_mul_i32_i24_e32 v152 /*v408*/, v81 /*v337*/, v221 /*v477*/
	v_mul_i32_i24_e32 v154 /*v410*/, v82 /*v338*/, v222 /*v478*/
	;; [unrolled: 1-line block ×3, first 2 shown]
	s_set_vgpr_msb 20                       ;  msbs: dst=0 src0=0 src1=1 src2=1
	v_add3_u32 v52, v52, v150 /*v406*/, v151 /*v407*/
	v_add3_u32 v40, v40, v159 /*v415*/, v160 /*v416*/
	s_set_vgpr_msb 0x45                     ;  msbs: dst=1 src0=1 src1=1 src2=0
	v_mul_i32_i24_e32 v157 /*v413*/, v83 /*v339*/, v181 /*v437*/
	s_set_vgpr_msb 21                       ;  msbs: dst=0 src0=1 src1=1 src2=1
	v_add3_u32 v53, v149 /*v405*/, v147 /*v403*/, v148 /*v404*/
	s_set_vgpr_msb 0x45                     ;  msbs: dst=1 src0=1 src1=1 src2=0
	v_mul_i32_i24_e32 v158 /*v414*/, v85 /*v341*/, v224 /*v480*/
	s_set_vgpr_msb 20                       ;  msbs: dst=0 src0=0 src1=1 src2=1
	v_add3_u32 v52, v52, v152 /*v408*/, v154 /*v410*/
	v_add3_u32 v40, v40, v161 /*v417*/, v162 /*v418*/
	s_set_vgpr_msb 0x45                     ;  msbs: dst=1 src0=1 src1=1 src2=0
	v_mul_i32_i24_e32 v159 /*v415*/, v86 /*v342*/, v225 /*v481*/
	s_set_vgpr_msb 4                        ;  msbs: dst=0 src0=0 src1=1 src2=0
	v_mul_lo_u32 v53, v53, v28 /*v284*/
	s_set_vgpr_msb 0x45                     ;  msbs: dst=1 src0=1 src1=1 src2=0
	v_mul_i32_i24_e32 v160 /*v416*/, v88 /*v344*/, v226 /*v482*/
	s_set_vgpr_msb 20                       ;  msbs: dst=0 src0=0 src1=1 src2=1
	v_add3_u32 v52, v52, v155 /*v411*/, v157 /*v413*/
	v_add3_u32 v40, v40, v163 /*v419*/, v164 /*v420*/
	s_set_vgpr_msb 0x45                     ;  msbs: dst=1 src0=1 src1=1 src2=0
	v_mul_i32_i24_e32 v161 /*v417*/, v87 /*v343*/, v182 /*v438*/
	v_mul_i32_i24_e32 v162 /*v418*/, v227 /*v483*/, v89 /*v345*/
	s_set_vgpr_msb 0x44                     ;  msbs: dst=1 src0=0 src1=1 src2=0
	v_pk_fma_f32 v[148:149] /*v[404:405]*/, v[108:109], v[174:175] /*v[430:431]*/, 0 op_sel_hi:[0,1,0]
	s_set_vgpr_msb 20                       ;  msbs: dst=0 src0=0 src1=1 src2=1
	v_add3_u32 v52, v52, v158 /*v414*/, v159 /*v415*/
	v_mul_lo_u32 v40, v40, v28 /*v284*/
	s_set_vgpr_msb 64                       ;  msbs: dst=1 src0=0 src1=0 src2=0
	v_cvt_f32_i32_e32 v146 /*v402*/, v53
	s_set_vgpr_msb 20                       ;  msbs: dst=0 src0=0 src1=1 src2=1
	v_add3_u32 v52, v52, v160 /*v416*/, v161 /*v417*/
	s_set_vgpr_msb 5                        ;  msbs: dst=0 src0=1 src1=1 src2=0
	v_mul_i32_i24_e32 v53, v183 /*v439*/, v26 /*v282*/
	s_set_vgpr_msb 0x54                     ;  msbs: dst=1 src0=0 src1=1 src2=1
	v_pk_fma_f32 v[148:149] /*v[404:405]*/, v[106:107], v[168:169] /*v[424:425]*/, v[148:149] /*v[404:405]*/ op_sel_hi:[0,1,1]
	s_set_vgpr_msb 20                       ;  msbs: dst=0 src0=0 src1=1 src2=1
	v_add3_u32 v52, v52, v162 /*v418*/, v165 /*v421*/
	s_set_vgpr_msb 64                       ;  msbs: dst=1 src0=0 src1=0 src2=0
	v_cvt_f32_i32_e32 v147 /*v403*/, v40
	s_set_vgpr_msb 5                        ;  msbs: dst=0 src0=1 src1=1 src2=0
	v_mul_i32_i24_e32 v40, v145 /*v401*/, v26 /*v282*/
	s_set_vgpr_msb 0x41                     ;  msbs: dst=1 src0=1 src1=0 src2=0
	v_pk_mul_f32 v[148:149] /*v[404:405]*/, v[148:149] /*v[404:405]*/, v[14:15]
	s_set_vgpr_msb 4                        ;  msbs: dst=0 src0=0 src1=1 src2=0
	v_add3_u32 v52, v52, v166 /*v422*/, v53
	s_set_vgpr_msb 0x45                     ;  msbs: dst=1 src0=1 src1=1 src2=0
	v_pk_fma_f32 v[146:147] /*v[402:403]*/, v[172:173] /*v[428:429]*/, v[146:147] /*v[402:403]*/, 0 op_sel_hi:[1,1,0]
	s_set_vgpr_msb 5                        ;  msbs: dst=0 src0=1 src1=1 src2=0
	v_add3_u32 v40, v156 /*v412*/, v153 /*v409*/, v40
	s_set_vgpr_msb 4                        ;  msbs: dst=0 src0=0 src1=1 src2=0
	v_mul_lo_u32 v52, v52, v27 /*v283*/
	s_delay_alu instid0(VALU_DEP_2) | instskip(SKIP_1) | instid1(VALU_DEP_2)
	v_mul_lo_u32 v40, v40, v27 /*v283*/
	s_set_vgpr_msb 64                       ;  msbs: dst=1 src0=0 src1=0 src2=0
	v_cvt_f32_i32_e32 v151 /*v407*/, v52
	s_delay_alu instid0(VALU_DEP_2) | instskip(SKIP_3) | instid1(VALU_DEP_2)
	v_cvt_f32_i32_e32 v150 /*v406*/, v40
	s_set_vgpr_msb 0                        ;  msbs: dst=0 src0=0 src1=0 src2=0
	v_or_b32_e32 v40, s13, v141
	s_set_vgpr_msb 0x55                     ;  msbs: dst=1 src0=1 src1=1 src2=1
	v_pk_fma_f32 v[146:147] /*v[402:403]*/, v[176:177] /*v[432:433]*/, v[150:151] /*v[406:407]*/, v[146:147] /*v[402:403]*/
	s_set_vgpr_msb 0                        ;  msbs: dst=0 src0=0 src1=0 src2=0
	s_delay_alu instid0(VALU_DEP_2) | instskip(SKIP_1) | instid1(VALU_DEP_2)
	v_lshlrev_b32_e32 v52, 2, v40
	s_set_vgpr_msb 0x51                     ;  msbs: dst=1 src0=1 src1=0 src2=1
	v_pk_fma_f32 v[146:147] /*v[402:403]*/, v[146:147] /*v[402:403]*/, v[6:7], v[148:149] /*v[404:405]*/ neg_lo:[0,0,1] neg_hi:[0,0,1]
	s_set_vgpr_msb 64                       ;  msbs: dst=1 src0=0 src1=0 src2=0
	ds_load_b128 v[148:151] /*v[404:407]*/, v52 offset:16896
	ds_load_b128 v[152:155] /*v[408:411]*/, v52 offset:16912
	;; [unrolled: 1-line block ×4, first 2 shown]
	s_set_vgpr_msb 4                        ;  msbs: dst=0 src0=0 src1=1 src2=0
	v_pk_add_f32 v[32:33], v[32:33], v[146:147] /*v[402:403]*/
	s_set_vgpr_msb 64                       ;  msbs: dst=1 src0=0 src1=0 src2=0
	v_lshrrev_b32_e32 v146 /*v402*/, 1, v40
	s_wait_dscnt 0x3
	s_set_vgpr_msb 1                        ;  msbs: dst=0 src0=1 src1=0 src2=0
	v_bfe_i32 v40, v148 /*v404*/, 0, 8
	v_bfe_i32 v52, v148 /*v404*/, 8, 8
	;; [unrolled: 1-line block ×3, first 2 shown]
	s_set_vgpr_msb 4                        ;  msbs: dst=0 src0=0 src1=1 src2=0
	v_dual_ashrrev_i32 v54, 24, v148 /*v404*/ :: v_dual_ashrrev_i32 v61, 24, v149 /*v405*/
	v_ashrrev_i32_e32 v82, 24, v150 /*v406*/
	s_set_vgpr_msb 1                        ;  msbs: dst=0 src0=1 src1=0 src2=0
	v_bfe_i32 v67, v150 /*v406*/, 0, 8
	v_bfe_i32 v69, v150 /*v406*/, 8, 8
	;; [unrolled: 1-line block ×3, first 2 shown]
	s_set_vgpr_msb 64                       ;  msbs: dst=1 src0=0 src1=0 src2=0
	v_mul_i32_i24_e32 v150 /*v406*/, v40, v119
	s_set_vgpr_msb 1                        ;  msbs: dst=0 src0=1 src1=0 src2=0
	v_bfe_i32 v55, v149 /*v405*/, 0, 8
	v_bfe_i32 v56, v149 /*v405*/, 8, 8
	;; [unrolled: 1-line block ×6, first 2 shown]
	s_set_vgpr_msb 0x44                     ;  msbs: dst=1 src0=0 src1=1 src2=0
	v_ashrrev_i32_e32 v147 /*v403*/, 24, v151 /*v407*/
	s_wait_dscnt 0x2
	s_set_vgpr_msb 0x41                     ;  msbs: dst=1 src0=1 src1=0 src2=0
	v_bfe_i32 v148 /*v404*/, v152 /*v408*/, 0, 8
	v_bfe_i32 v149 /*v405*/, v152 /*v408*/, 8, 8
	;; [unrolled: 1-line block ×3, first 2 shown]
	s_set_vgpr_msb 0x44                     ;  msbs: dst=1 src0=0 src1=1 src2=0
	v_ashrrev_i32_e32 v168 /*v424*/, 24, v152 /*v408*/
	v_mul_i32_i24_e32 v151 /*v407*/, v53, v92 /*v348*/
	v_mul_i32_i24_e32 v152 /*v408*/, v54, v93 /*v349*/
	s_set_vgpr_msb 0x50                     ;  msbs: dst=1 src0=0 src1=0 src2=1
	v_mad_i32_i24 v150 /*v406*/, v52, v118, v150 /*v406*/
	s_set_vgpr_msb 0x41                     ;  msbs: dst=1 src0=1 src1=0 src2=0
	v_bfe_i32 v172 /*v428*/, v154 /*v410*/, 0, 8
	v_bfe_i32 v173 /*v429*/, v154 /*v410*/, 8, 8
	;; [unrolled: 1-line block ×3, first 2 shown]
	s_set_vgpr_msb 0x55                     ;  msbs: dst=1 src0=1 src1=1 src2=1
	v_dual_ashrrev_i32 v175 /*v431*/, 24, v154 /*v410*/ :: v_dual_ashrrev_i32 v179 /*v435*/, 24, v155 /*v411*/
	v_add3_u32 v150 /*v406*/, v150 /*v406*/, v151 /*v407*/, v152 /*v408*/
	s_set_vgpr_msb 0x44                     ;  msbs: dst=1 src0=0 src1=1 src2=0
	v_mul_i32_i24_e32 v151 /*v407*/, v55, v94 /*v350*/
	v_mul_i32_i24_e32 v152 /*v408*/, v56, v95 /*v351*/
	s_set_vgpr_msb 0x41                     ;  msbs: dst=1 src0=1 src1=0 src2=0
	v_bfe_i32 v176 /*v432*/, v155 /*v411*/, 0, 8
	v_bfe_i32 v177 /*v433*/, v155 /*v411*/, 8, 8
	;; [unrolled: 1-line block ×3, first 2 shown]
	s_set_vgpr_msb 0x44                     ;  msbs: dst=1 src0=0 src1=1 src2=0
	v_mul_i32_i24_e32 v154 /*v410*/, v58, v96 /*v352*/
	v_mul_i32_i24_e32 v155 /*v411*/, v61, v97 /*v353*/
	s_set_vgpr_msb 0x55                     ;  msbs: dst=1 src0=1 src1=1 src2=1
	v_add3_u32 v150 /*v406*/, v150 /*v406*/, v151 /*v407*/, v152 /*v408*/
	s_wait_dscnt 0x1
	v_bfe_i32 v180 /*v436*/, v156 /*v412*/, 0, 8
	v_bfe_i32 v181 /*v437*/, v156 /*v412*/, 8, 8
	;; [unrolled: 1-line block ×3, first 2 shown]
	v_dual_ashrrev_i32 v156 /*v412*/, 24, v156 /*v412*/ :: v_dual_ashrrev_i32 v186 /*v442*/, 24, v157 /*v413*/
	v_bfe_i32 v183 /*v439*/, v157 /*v413*/, 0, 8
	v_bfe_i32 v184 /*v440*/, v157 /*v413*/, 8, 8
	;; [unrolled: 1-line block ×6, first 2 shown]
	v_dual_ashrrev_i32 v190 /*v446*/, 24, v158 /*v414*/ :: v_dual_ashrrev_i32 v194 /*v450*/, 24, v159 /*v415*/
	s_set_vgpr_msb 0x44                     ;  msbs: dst=1 src0=0 src1=1 src2=0
	v_mul_i32_i24_e32 v157 /*v413*/, v67, v98 /*v354*/
	v_mul_i32_i24_e32 v158 /*v414*/, v69, v99 /*v355*/
	s_set_vgpr_msb 0x55                     ;  msbs: dst=1 src0=1 src1=1 src2=1
	v_add3_u32 v150 /*v406*/, v150 /*v406*/, v154 /*v410*/, v155 /*v411*/
	s_wait_dscnt 0x0
	v_dual_ashrrev_i32 v198 /*v454*/, 24, v160 /*v416*/ :: v_dual_ashrrev_i32 v202 /*v458*/, 24, v161 /*v417*/
	v_bfe_i32 v199 /*v455*/, v161 /*v417*/, 0, 8
	v_bfe_i32 v200 /*v456*/, v161 /*v417*/, 8, 8
	;; [unrolled: 1-line block ×6, first 2 shown]
	v_dual_ashrrev_i32 v206 /*v462*/, 24, v162 /*v418*/ :: v_dual_ashrrev_i32 v145 /*v401*/, 24, v163 /*v419*/
	s_set_vgpr_msb 0x44                     ;  msbs: dst=1 src0=0 src1=1 src2=0
	v_mul_i32_i24_e32 v161 /*v417*/, v71, v100 /*v356*/
	v_mul_i32_i24_e32 v162 /*v418*/, v82, v101 /*v357*/
	s_set_vgpr_msb 0x55                     ;  msbs: dst=1 src0=1 src1=1 src2=1
	v_add3_u32 v150 /*v406*/, v150 /*v406*/, v157 /*v413*/, v158 /*v414*/
	v_bfe_i32 v207 /*v463*/, v163 /*v419*/, 0, 8
	v_bfe_i32 v208 /*v464*/, v163 /*v419*/, 8, 8
	;; [unrolled: 1-line block ×3, first 2 shown]
	s_set_vgpr_msb 0x44                     ;  msbs: dst=1 src0=0 src1=1 src2=0
	v_mul_i32_i24_e32 v163 /*v419*/, v84, v102 /*v358*/
	v_mul_i32_i24_e32 v164 /*v420*/, v86, v103 /*v359*/
	s_set_vgpr_msb 0x55                     ;  msbs: dst=1 src0=1 src1=1 src2=1
	v_add3_u32 v150 /*v406*/, v150 /*v406*/, v161 /*v417*/, v162 /*v418*/
	v_bfe_i32 v169 /*v425*/, v153 /*v409*/, 0, 8
	v_bfe_i32 v170 /*v426*/, v153 /*v409*/, 8, 8
	v_bfe_i32 v171 /*v427*/, v153 /*v409*/, 16, 8
	v_ashrrev_i32_e32 v153 /*v409*/, 24, v153 /*v409*/
	s_set_vgpr_msb 0x44                     ;  msbs: dst=1 src0=0 src1=1 src2=0
	v_mul_i32_i24_e32 v165 /*v421*/, v92, v104 /*v360*/
	s_set_vgpr_msb 0x55                     ;  msbs: dst=1 src0=1 src1=1 src2=1
	v_mul_i32_i24_e32 v166 /*v422*/, v147 /*v403*/, v105 /*v361*/
	v_add3_u32 v150 /*v406*/, v150 /*v406*/, v163 /*v419*/, v164 /*v420*/
	v_mul_i32_i24_e32 v210 /*v466*/, v148 /*v404*/, v106 /*v362*/
	v_mul_i32_i24_e32 v211 /*v467*/, v149 /*v405*/, v107 /*v363*/
	v_mul_i32_i24_e32 v212 /*v468*/, v167 /*v423*/, v108 /*v364*/
	v_mul_i32_i24_e32 v213 /*v469*/, v168 /*v424*/, v109 /*v365*/
	v_add3_u32 v150 /*v406*/, v150 /*v406*/, v165 /*v421*/, v166 /*v422*/
	v_mul_i32_i24_e32 v214 /*v470*/, v111 /*v367*/, v169 /*v425*/
	v_mul_i32_i24_e32 v215 /*v471*/, v110 /*v366*/, v170 /*v426*/
	v_mul_i32_i24_e32 v216 /*v472*/, v113 /*v369*/, v171 /*v427*/
	;; [unrolled: 5-line block ×4, first 2 shown]
	v_mul_i32_i24_e32 v152 /*v408*/, v123 /*v379*/, v156 /*v412*/
	v_add3_u32 v150 /*v406*/, v150 /*v406*/, v214 /*v470*/, v215 /*v471*/
	v_mul_i32_i24_e32 v154 /*v410*/, v133 /*v389*/, v185 /*v441*/
	v_mul_i32_i24_e32 v155 /*v411*/, v115 /*v371*/, v186 /*v442*/
	s_set_vgpr_msb 0x44                     ;  msbs: dst=1 src0=0 src1=1 src2=0
	v_mul_i32_i24_e32 v157 /*v413*/, v114, v187 /*v443*/
	s_set_vgpr_msb 0x55                     ;  msbs: dst=1 src0=1 src1=1 src2=1
	v_mul_i32_i24_e32 v158 /*v414*/, v136 /*v392*/, v188 /*v444*/
	v_add3_u32 v150 /*v406*/, v150 /*v406*/, v216 /*v472*/, v217 /*v473*/
	v_bfe_i32 v191 /*v447*/, v159 /*v415*/, 0, 8
	v_bfe_i32 v192 /*v448*/, v159 /*v415*/, 8, 8
	v_mul_i32_i24_e32 v161 /*v417*/, v135 /*v391*/, v189 /*v445*/
	v_mul_i32_i24_e32 v163 /*v419*/, v116 /*v372*/, v190 /*v446*/
	v_add3_u32 v150 /*v406*/, v150 /*v406*/, v218 /*v474*/, v219 /*v475*/
	v_bfe_i32 v193 /*v449*/, v159 /*v415*/, 16, 8
	s_set_vgpr_msb 0x44                     ;  msbs: dst=1 src0=0 src1=1 src2=0
	v_mul_i32_i24_e32 v164 /*v420*/, v115, v191 /*v447*/
	s_set_vgpr_msb 0x55                     ;  msbs: dst=1 src0=1 src1=1 src2=1
	v_mul_i32_i24_e32 v166 /*v422*/, v138 /*v394*/, v192 /*v448*/
	v_bfe_i32 v195 /*v451*/, v160 /*v416*/, 0, 8
	v_add3_u32 v150 /*v406*/, v150 /*v406*/, v220 /*v476*/, v221 /*v477*/
	v_bfe_i32 v196 /*v452*/, v160 /*v416*/, 8, 8
	v_mul_i32_i24_e32 v210 /*v466*/, v137 /*v393*/, v193 /*v449*/
	v_mul_i32_i24_e32 v211 /*v467*/, v117 /*v373*/, v194 /*v450*/
	v_bfe_i32 v197 /*v453*/, v160 /*v416*/, 16, 8
	v_add3_u32 v162 /*v418*/, v150 /*v406*/, v222 /*v478*/, v223 /*v479*/
	s_set_vgpr_msb 0x44                     ;  msbs: dst=1 src0=0 src1=1 src2=0
	v_mul_i32_i24_e32 v150 /*v406*/, v116, v180 /*v436*/
	v_mul_i32_i24_e32 v212 /*v468*/, v110, v195 /*v451*/
	s_set_vgpr_msb 0x45                     ;  msbs: dst=1 src0=1 src1=1 src2=0
	v_mul_i32_i24_e32 v213 /*v469*/, v140 /*v396*/, v196 /*v452*/
	v_mul_i32_i24_e32 v214 /*v470*/, v139 /*v395*/, v197 /*v453*/
	;; [unrolled: 1-line block ×3, first 2 shown]
	s_set_vgpr_msb 0x54                     ;  msbs: dst=1 src0=0 src1=1 src2=1
	v_mad_i32_i24 v150 /*v406*/, v113, v181 /*v437*/, v150 /*v406*/
	v_mul_i32_i24_e32 v216 /*v472*/, v111, v199 /*v455*/
	s_set_vgpr_msb 0x55                     ;  msbs: dst=1 src0=1 src1=1 src2=1
	v_mul_i32_i24_e32 v217 /*v473*/, v142 /*v398*/, v200 /*v456*/
	v_mul_i32_i24_e32 v218 /*v474*/, v141 /*v397*/, v201 /*v457*/
	;; [unrolled: 1-line block ×3, first 2 shown]
	v_add3_u32 v150 /*v406*/, v150 /*v406*/, v151 /*v407*/, v152 /*v408*/
	s_set_vgpr_msb 0x44                     ;  msbs: dst=1 src0=0 src1=1 src2=0
	v_mul_i32_i24_e32 v151 /*v407*/, v117, v183 /*v439*/
	s_set_vgpr_msb 0x45                     ;  msbs: dst=1 src0=1 src1=1 src2=0
	v_mul_i32_i24_e32 v152 /*v408*/, v134 /*v390*/, v184 /*v440*/
	s_set_vgpr_msb 0x44                     ;  msbs: dst=1 src0=0 src1=1 src2=0
	v_mul_i32_i24_e32 v220 /*v476*/, v112, v203 /*v459*/
	s_set_vgpr_msb 0x55                     ;  msbs: dst=1 src0=1 src1=1 src2=1
	v_mul_i32_i24_e32 v221 /*v477*/, v144 /*v400*/, v204 /*v460*/
	v_mul_i32_i24_e32 v222 /*v478*/, v143 /*v399*/, v205 /*v461*/
	;; [unrolled: 1-line block ×3, first 2 shown]
	v_add3_u32 v150 /*v406*/, v150 /*v406*/, v151 /*v407*/, v152 /*v408*/
	v_mul_i32_i24_e32 v224 /*v480*/, v207 /*v463*/, v124 /*v380*/
	v_mul_i32_i24_e32 v225 /*v481*/, v208 /*v464*/, v126 /*v382*/
	s_set_vgpr_msb 64                       ;  msbs: dst=1 src0=0 src1=0 src2=0
	v_mul_i32_i24_e32 v151 /*v407*/, v53, v221
	v_mul_i32_i24_e32 v152 /*v408*/, v54, v222
	s_set_vgpr_msb 0x55                     ;  msbs: dst=1 src0=1 src1=1 src2=1
	v_add3_u32 v150 /*v406*/, v150 /*v406*/, v154 /*v410*/, v155 /*v411*/
	s_set_vgpr_msb 0x44                     ;  msbs: dst=1 src0=0 src1=1 src2=0
	v_mul_i32_i24_e32 v226 /*v482*/, v245, v175 /*v431*/
	s_set_vgpr_msb 0x41                     ;  msbs: dst=1 src0=1 src1=0 src2=0
	v_mul_i32_i24_e32 v227 /*v483*/, v176 /*v432*/, v251
	v_mul_i32_i24_e32 v228 /*v484*/, v177 /*v433*/, v253
	s_set_vgpr_msb 0x55                     ;  msbs: dst=1 src0=1 src1=1 src2=1
	v_mul_i32_i24_e32 v229 /*v485*/, v207 /*v463*/, v23 /*v279*/
	v_add3_u32 v150 /*v406*/, v150 /*v406*/, v157 /*v413*/, v158 /*v414*/
	s_set_vgpr_msb 64                       ;  msbs: dst=1 src0=0 src1=0 src2=0
	v_mul_i32_i24_e32 v157 /*v413*/, v58, v225
	v_mul_i32_i24_e32 v158 /*v414*/, v61, v226
	s_set_vgpr_msb 0x45                     ;  msbs: dst=1 src0=1 src1=1 src2=0
	v_mul_i32_i24_e32 v230 /*v486*/, v208 /*v464*/, v24 /*v280*/
	s_set_vgpr_msb 0x44                     ;  msbs: dst=1 src0=0 src1=1 src2=0
	v_mul_i32_i24_e32 v231 /*v487*/, v181, v175 /*v431*/
	s_set_vgpr_msb 0x55                     ;  msbs: dst=1 src0=1 src1=1 src2=1
	v_add3_u32 v150 /*v406*/, v150 /*v406*/, v161 /*v417*/, v163 /*v419*/
	s_set_vgpr_msb 64                       ;  msbs: dst=1 src0=0 src1=0 src2=0
	v_mul_i32_i24_e32 v161 /*v417*/, v67, v227
	v_mul_i32_i24_e32 v163 /*v419*/, v69, v228
	s_set_vgpr_msb 0x41                     ;  msbs: dst=1 src0=1 src1=0 src2=0
	v_mul_i32_i24_e32 v232 /*v488*/, v176 /*v432*/, v187
	v_mul_i32_i24_e32 v233 /*v489*/, v177 /*v433*/, v189
	s_set_vgpr_msb 0x55                     ;  msbs: dst=1 src0=1 src1=1 src2=1
	v_add3_u32 v150 /*v406*/, v150 /*v406*/, v164 /*v420*/, v166 /*v422*/
	s_set_vgpr_msb 64                       ;  msbs: dst=1 src0=0 src1=0 src2=0
	v_mul_i32_i24_e32 v164 /*v420*/, v71, v229
	s_set_vgpr_msb 0x45                     ;  msbs: dst=1 src0=1 src1=1 src2=0
	v_mul_i32_i24_e32 v159 /*v415*/, v178 /*v434*/, v130 /*v386*/
	v_mul_i32_i24_e32 v160 /*v416*/, v179 /*v435*/, v131 /*v387*/
	s_set_vgpr_msb 0x41                     ;  msbs: dst=1 src0=1 src1=0 src2=0
	v_mul_i32_i24_e32 v154 /*v410*/, v178 /*v434*/, v254
	s_set_vgpr_msb 0x55                     ;  msbs: dst=1 src0=1 src1=1 src2=1
	v_add3_u32 v150 /*v406*/, v150 /*v406*/, v210 /*v466*/, v211 /*v467*/
	s_set_vgpr_msb 64                       ;  msbs: dst=1 src0=0 src1=0 src2=0
	v_mul_i32_i24_e32 v210 /*v466*/, v82, v230
	v_mul_i32_i24_e32 v211 /*v467*/, v84, v231
	s_set_vgpr_msb 0x45                     ;  msbs: dst=1 src0=1 src1=1 src2=0
	v_mul_i32_i24_e32 v155 /*v411*/, v179 /*v435*/, v0 /*v256*/
	s_set_vgpr_msb 0x41                     ;  msbs: dst=1 src0=1 src1=0 src2=0
	v_mul_i32_i24_e32 v234 /*v490*/, v207 /*v463*/, v215
	s_set_vgpr_msb 0x55                     ;  msbs: dst=1 src0=1 src1=1 src2=1
	v_add3_u32 v150 /*v406*/, v150 /*v406*/, v212 /*v468*/, v213 /*v469*/
	s_set_vgpr_msb 64                       ;  msbs: dst=1 src0=0 src1=0 src2=0
	v_mul_i32_i24_e32 v212 /*v468*/, v86, v232
	v_mul_i32_i24_e32 v213 /*v469*/, v92, v233
	s_set_vgpr_msb 0x45                     ;  msbs: dst=1 src0=1 src1=1 src2=0
	v_mul_i32_i24_e32 v165 /*v421*/, v209 /*v465*/, v127 /*v383*/
	s_set_vgpr_msb 0x41                     ;  msbs: dst=1 src0=1 src1=0 src2=0
	v_mul_i32_i24_e32 v235 /*v491*/, v208 /*v464*/, v216
	s_set_vgpr_msb 0x55                     ;  msbs: dst=1 src0=1 src1=1 src2=1
	v_add3_u32 v150 /*v406*/, v150 /*v406*/, v214 /*v470*/, v215 /*v471*/
	s_set_vgpr_msb 0x41                     ;  msbs: dst=1 src0=1 src1=0 src2=0
	v_mul_i32_i24_e32 v214 /*v470*/, v147 /*v403*/, v234
	v_mul_i32_i24_e32 v215 /*v471*/, v148 /*v404*/, v235
	s_set_vgpr_msb 0x55                     ;  msbs: dst=1 src0=1 src1=1 src2=1
	v_add3_u32 v150 /*v406*/, v150 /*v406*/, v216 /*v472*/, v217 /*v473*/
	s_set_vgpr_msb 0x41                     ;  msbs: dst=1 src0=1 src1=0 src2=0
	v_mul_i32_i24_e32 v216 /*v472*/, v149 /*v405*/, v236
	;; [unrolled: 5-line block ×3, first 2 shown]
	s_set_vgpr_msb 0x44                     ;  msbs: dst=1 src0=0 src1=1 src2=0
	v_mul_i32_i24_e32 v219 /*v475*/, v240, v169 /*v425*/
	s_set_vgpr_msb 0x55                     ;  msbs: dst=1 src0=1 src1=1 src2=1
	v_add3_u32 v150 /*v406*/, v150 /*v406*/, v220 /*v476*/, v221 /*v477*/
	s_set_vgpr_msb 0x44                     ;  msbs: dst=1 src0=0 src1=1 src2=0
	v_mul_i32_i24_e32 v220 /*v476*/, v239, v170 /*v426*/
	v_mul_i32_i24_e32 v221 /*v477*/, v242, v171 /*v427*/
	s_set_vgpr_msb 0x55                     ;  msbs: dst=1 src0=1 src1=1 src2=1
	v_add3_u32 v150 /*v406*/, v150 /*v406*/, v222 /*v478*/, v223 /*v479*/
	s_set_vgpr_msb 0x44                     ;  msbs: dst=1 src0=0 src1=1 src2=0
	v_mul_i32_i24_e32 v222 /*v478*/, v241, v153 /*v409*/
	v_mul_i32_i24_e32 v223 /*v479*/, v244, v172 /*v428*/
	s_set_vgpr_msb 0x55                     ;  msbs: dst=1 src0=1 src1=1 src2=1
	v_add3_u32 v166 /*v422*/, v150 /*v406*/, v224 /*v480*/, v225 /*v481*/
	s_set_vgpr_msb 64                       ;  msbs: dst=1 src0=0 src1=0 src2=0
	v_mul_i32_i24_e32 v150 /*v406*/, v40, v220
	s_set_vgpr_msb 0x44                     ;  msbs: dst=1 src0=0 src1=1 src2=0
	v_mul_i32_i24_e32 v224 /*v480*/, v243, v173 /*v429*/
	v_mul_i32_i24_e32 v225 /*v481*/, v247, v174 /*v430*/
	s_set_vgpr_msb 0x50                     ;  msbs: dst=1 src0=0 src1=0 src2=1
	v_mad_i32_i24 v150 /*v406*/, v52, v219, v150 /*v406*/
	s_set_vgpr_msb 0x55                     ;  msbs: dst=1 src0=1 src1=1 src2=1
	s_delay_alu instid0(VALU_DEP_1) | instskip(SKIP_4) | instid1(VALU_DEP_1)
	v_add3_u32 v150 /*v406*/, v150 /*v406*/, v151 /*v407*/, v152 /*v408*/
	s_set_vgpr_msb 64                       ;  msbs: dst=1 src0=0 src1=0 src2=0
	v_mul_i32_i24_e32 v151 /*v407*/, v55, v223
	v_mul_i32_i24_e32 v152 /*v408*/, v56, v224
	s_set_vgpr_msb 0x55                     ;  msbs: dst=1 src0=1 src1=1 src2=1
	v_add3_u32 v150 /*v406*/, v150 /*v406*/, v151 /*v407*/, v152 /*v408*/
	s_set_vgpr_msb 0x41                     ;  msbs: dst=1 src0=1 src1=0 src2=0
	v_mul_i32_i24_e32 v151 /*v407*/, v182 /*v438*/, v246
	v_mul_i32_i24_e32 v152 /*v408*/, v156 /*v412*/, v252
	s_set_vgpr_msb 0x55                     ;  msbs: dst=1 src0=1 src1=1 src2=1
	v_add3_u32 v150 /*v406*/, v150 /*v406*/, v157 /*v413*/, v158 /*v414*/
	s_set_vgpr_msb 0x41                     ;  msbs: dst=1 src0=1 src1=0 src2=0
	v_mul_i32_i24_e32 v158 /*v414*/, v185 /*v441*/, v250
	s_set_vgpr_msb 0x55                     ;  msbs: dst=1 src0=1 src1=1 src2=1
	s_delay_alu instid0(VALU_DEP_2) | instskip(SKIP_2) | instid1(VALU_DEP_3)
	v_add3_u32 v150 /*v406*/, v150 /*v406*/, v161 /*v417*/, v163 /*v419*/
	v_mul_i32_i24_e32 v161 /*v417*/, v186 /*v442*/, v3 /*v259*/
	v_mul_i32_i24_e32 v163 /*v419*/, v209 /*v465*/, v25 /*v281*/
	v_add3_u32 v150 /*v406*/, v150 /*v406*/, v164 /*v420*/, v210 /*v466*/
	v_mul_i32_i24_e32 v164 /*v420*/, v187 /*v443*/, v4 /*v260*/
	v_mul_i32_i24_e32 v210 /*v466*/, v188 /*v444*/, v5 /*v261*/
	s_delay_alu instid0(VALU_DEP_3) | instskip(SKIP_2) | instid1(VALU_DEP_3)
	v_add3_u32 v150 /*v406*/, v150 /*v406*/, v211 /*v467*/, v212 /*v468*/
	v_mul_i32_i24_e32 v211 /*v467*/, v189 /*v445*/, v2 /*v258*/
	v_mul_i32_i24_e32 v212 /*v468*/, v190 /*v446*/, v7 /*v263*/
	v_add3_u32 v150 /*v406*/, v150 /*v406*/, v213 /*v469*/, v214 /*v470*/
	v_mul_i32_i24_e32 v213 /*v469*/, v191 /*v447*/, v8 /*v264*/
	v_mul_i32_i24_e32 v214 /*v470*/, v192 /*v448*/, v9 /*v265*/
	s_delay_alu instid0(VALU_DEP_3) | instskip(SKIP_2) | instid1(VALU_DEP_3)
	;; [unrolled: 7-line block ×4, first 2 shown]
	v_add3_u32 v150 /*v406*/, v150 /*v406*/, v223 /*v479*/, v224 /*v480*/
	v_mul_i32_i24_e32 v223 /*v479*/, v18 /*v274*/, v201 /*v457*/
	v_mul_i32_i24_e32 v224 /*v480*/, v17 /*v273*/, v202 /*v458*/
	v_add3_u32 v150 /*v406*/, v150 /*v406*/, v225 /*v481*/, v226 /*v482*/
	v_mul_i32_i24_e32 v225 /*v481*/, v19 /*v275*/, v203 /*v459*/
	v_mul_i32_i24_e32 v226 /*v482*/, v20 /*v276*/, v204 /*v460*/
	s_delay_alu instid0(VALU_DEP_3)
	v_add3_u32 v157 /*v413*/, v150 /*v406*/, v227 /*v483*/, v228 /*v484*/
	s_set_vgpr_msb 0x41                     ;  msbs: dst=1 src0=1 src1=0 src2=0
	v_mul_i32_i24_e32 v150 /*v406*/, v180 /*v436*/, v249
	s_set_vgpr_msb 0x55                     ;  msbs: dst=1 src0=1 src1=1 src2=1
	v_mul_i32_i24_e32 v227 /*v483*/, v22 /*v278*/, v205 /*v461*/
	v_mul_i32_i24_e32 v228 /*v484*/, v21 /*v277*/, v206 /*v462*/
	v_add3_u32 v154 /*v410*/, v157 /*v413*/, v154 /*v410*/, v155 /*v411*/
	s_set_vgpr_msb 0x51                     ;  msbs: dst=1 src0=1 src1=0 src2=1
	v_mad_i32_i24 v150 /*v406*/, v181 /*v437*/, v248, v150 /*v406*/
	s_delay_alu instid0(VALU_DEP_2) | instskip(SKIP_1) | instid1(VALU_DEP_2)
	v_mul_lo_u32 v154 /*v410*/, v154 /*v410*/, v218
	s_set_vgpr_msb 0x55                     ;  msbs: dst=1 src0=1 src1=1 src2=1
	v_add3_u32 v150 /*v406*/, v150 /*v406*/, v151 /*v407*/, v152 /*v408*/
	s_set_vgpr_msb 0x41                     ;  msbs: dst=1 src0=1 src1=0 src2=0
	v_mul_i32_i24_e32 v151 /*v407*/, v183 /*v439*/, v255
	s_set_vgpr_msb 0x55                     ;  msbs: dst=1 src0=1 src1=1 src2=1
	v_mul_i32_i24_e32 v152 /*v408*/, v184 /*v440*/, v1 /*v257*/
	s_delay_alu instid0(VALU_DEP_1)
	v_add3_u32 v150 /*v406*/, v150 /*v406*/, v151 /*v407*/, v152 /*v408*/
	s_set_vgpr_msb 64                       ;  msbs: dst=1 src0=0 src1=0 src2=0
	v_mul_i32_i24_e32 v151 /*v407*/, v53, v124
	v_mul_i32_i24_e32 v152 /*v408*/, v54, v158
	s_set_vgpr_msb 4                        ;  msbs: dst=0 src0=0 src1=1 src2=0
	v_mul_i32_i24_e32 v53, v53, v31 /*v287*/
	v_mul_i32_i24_e32 v54, v54, v32 /*v288*/
	s_set_vgpr_msb 0x55                     ;  msbs: dst=1 src0=1 src1=1 src2=1
	v_add3_u32 v150 /*v406*/, v150 /*v406*/, v158 /*v414*/, v161 /*v417*/
	s_set_vgpr_msb 64                       ;  msbs: dst=1 src0=0 src1=0 src2=0
	v_mul_i32_i24_e32 v158 /*v414*/, v55, v159
	v_mul_i32_i24_e32 v161 /*v417*/, v56, v160
	s_set_vgpr_msb 0x55                     ;  msbs: dst=1 src0=1 src1=1 src2=1
	v_cvt_f32_i32_e32 v154 /*v410*/, v154 /*v410*/
	v_add3_u32 v150 /*v406*/, v150 /*v406*/, v164 /*v420*/, v210 /*v466*/
	s_set_vgpr_msb 64                       ;  msbs: dst=1 src0=0 src1=0 src2=0
	v_mul_i32_i24_e32 v210 /*v466*/, v58, v161
	s_set_vgpr_msb 0x55                     ;  msbs: dst=1 src0=1 src1=1 src2=1
	s_delay_alu instid0(VALU_DEP_2)
	v_add3_u32 v150 /*v406*/, v150 /*v406*/, v211 /*v467*/, v212 /*v468*/
	s_set_vgpr_msb 64                       ;  msbs: dst=1 src0=0 src1=0 src2=0
	v_mul_i32_i24_e32 v211 /*v467*/, v61, v162
	v_mul_i32_i24_e32 v212 /*v468*/, v67, v163
	s_set_vgpr_msb 0x55                     ;  msbs: dst=1 src0=1 src1=1 src2=1
	v_add3_u32 v150 /*v406*/, v150 /*v406*/, v213 /*v469*/, v214 /*v470*/
	s_set_vgpr_msb 64                       ;  msbs: dst=1 src0=0 src1=0 src2=0
	v_mul_i32_i24_e32 v213 /*v469*/, v69, v164
	v_mul_i32_i24_e32 v214 /*v470*/, v71, v165
	s_set_vgpr_msb 0x55                     ;  msbs: dst=1 src0=1 src1=1 src2=1
	;; [unrolled: 5-line block ×4, first 2 shown]
	v_add3_u32 v150 /*v406*/, v150 /*v406*/, v219 /*v475*/, v220 /*v476*/
	s_set_vgpr_msb 0x41                     ;  msbs: dst=1 src0=1 src1=0 src2=0
	v_mul_i32_i24_e32 v219 /*v475*/, v147 /*v403*/, v170
	v_mul_i32_i24_e32 v220 /*v476*/, v148 /*v404*/, v171
	s_set_vgpr_msb 0x55                     ;  msbs: dst=1 src0=1 src1=1 src2=1
	v_add3_u32 v150 /*v406*/, v150 /*v406*/, v221 /*v477*/, v222 /*v478*/
	s_set_vgpr_msb 0x41                     ;  msbs: dst=1 src0=1 src1=0 src2=0
	v_mul_i32_i24_e32 v221 /*v477*/, v149 /*v405*/, v172
	v_mul_i32_i24_e32 v222 /*v478*/, v167 /*v423*/, v173
	s_set_vgpr_msb 0x55                     ;  msbs: dst=1 src0=1 src1=1 src2=1
	v_add3_u32 v150 /*v406*/, v150 /*v406*/, v223 /*v479*/, v224 /*v480*/
	s_set_vgpr_msb 0x41                     ;  msbs: dst=1 src0=1 src1=0 src2=0
	v_mul_i32_i24_e32 v223 /*v479*/, v168 /*v424*/, v174
	s_set_vgpr_msb 0x44                     ;  msbs: dst=1 src0=0 src1=1 src2=0
	v_mul_i32_i24_e32 v224 /*v480*/, v176, v169 /*v425*/
	s_set_vgpr_msb 0x55                     ;  msbs: dst=1 src0=1 src1=1 src2=1
	v_add3_u32 v150 /*v406*/, v150 /*v406*/, v225 /*v481*/, v226 /*v482*/
	s_set_vgpr_msb 0x44                     ;  msbs: dst=1 src0=0 src1=1 src2=0
	v_mul_i32_i24_e32 v225 /*v481*/, v175, v170 /*v426*/
	v_mul_i32_i24_e32 v226 /*v482*/, v178, v171 /*v427*/
	s_set_vgpr_msb 0x55                     ;  msbs: dst=1 src0=1 src1=1 src2=1
	v_add3_u32 v150 /*v406*/, v150 /*v406*/, v227 /*v483*/, v228 /*v484*/
	s_set_vgpr_msb 0x44                     ;  msbs: dst=1 src0=0 src1=1 src2=0
	v_mul_i32_i24_e32 v227 /*v483*/, v177, v153 /*v409*/
	s_set_vgpr_msb 0x45                     ;  msbs: dst=1 src0=1 src1=1 src2=0
	v_mul_i32_i24_e32 v153 /*v409*/, v51 /*v307*/, v153 /*v409*/
	s_set_vgpr_msb 0x44                     ;  msbs: dst=1 src0=0 src1=1 src2=0
	v_mul_i32_i24_e32 v228 /*v484*/, v180, v172 /*v428*/
	s_set_vgpr_msb 0x55                     ;  msbs: dst=1 src0=1 src1=1 src2=1
	v_add3_u32 v164 /*v420*/, v150 /*v406*/, v229 /*v485*/, v230 /*v486*/
	s_set_vgpr_msb 64                       ;  msbs: dst=1 src0=0 src1=0 src2=0
	v_mul_i32_i24_e32 v150 /*v406*/, v40, v122
	s_set_vgpr_msb 4                        ;  msbs: dst=0 src0=0 src1=1 src2=0
	v_mul_i32_i24_e32 v40, v40, v30 /*v286*/
	s_set_vgpr_msb 0x44                     ;  msbs: dst=1 src0=0 src1=1 src2=0
	v_mul_i32_i24_e32 v229 /*v485*/, v179, v173 /*v429*/
	v_mul_i32_i24_e32 v230 /*v486*/, v183, v174 /*v430*/
	s_set_vgpr_msb 0x50                     ;  msbs: dst=1 src0=0 src1=0 src2=1
	v_mad_i32_i24 v150 /*v406*/, v52, v120, v150 /*v406*/
	s_set_vgpr_msb 4                        ;  msbs: dst=0 src0=0 src1=1 src2=0
	v_mad_i32_i24 v40, v52, v29 /*v285*/, v40
	v_mul_i32_i24_e32 v52, v55, v33 /*v289*/
	v_mul_i32_i24_e32 v55, v61, v36 /*v292*/
	;; [unrolled: 1-line block ×4, first 2 shown]
	s_set_vgpr_msb 0                        ;  msbs: dst=0 src0=0 src1=0 src2=0
	v_add3_u32 v40, v40, v53, v54
	s_set_vgpr_msb 4                        ;  msbs: dst=0 src0=0 src1=1 src2=0
	v_mul_i32_i24_e32 v53, v56, v34 /*v290*/
	v_mul_i32_i24_e32 v54, v58, v35 /*v291*/
	;; [unrolled: 1-line block ×5, first 2 shown]
	s_set_vgpr_msb 0                        ;  msbs: dst=0 src0=0 src1=0 src2=0
	v_add3_u32 v40, v40, v52, v53
	s_set_vgpr_msb 4                        ;  msbs: dst=0 src0=0 src1=1 src2=0
	v_mul_i32_i24_e32 v69, v84, v41 /*v297*/
	v_mul_i32_i24_e32 v82, v92, v43 /*v299*/
	s_set_vgpr_msb 5                        ;  msbs: dst=0 src0=1 src1=1 src2=0
	v_mul_i32_i24_e32 v84, v147 /*v403*/, v44 /*v300*/
	v_mul_i32_i24_e32 v86, v148 /*v404*/, v45 /*v301*/
	s_set_vgpr_msb 0                        ;  msbs: dst=0 src0=0 src1=0 src2=0
	v_add3_u32 v40, v40, v54, v55
	s_set_vgpr_msb 5                        ;  msbs: dst=0 src0=1 src1=1 src2=0
	v_mul_i32_i24_e32 v92, v149 /*v405*/, v46 /*v302*/
	s_set_vgpr_msb 0x45                     ;  msbs: dst=1 src0=1 src1=1 src2=0
	v_mul_i32_i24_e32 v149 /*v405*/, v167 /*v423*/, v47 /*v303*/
	v_mul_i32_i24_e32 v167 /*v423*/, v168 /*v424*/, v48 /*v304*/
	;; [unrolled: 1-line block ×3, first 2 shown]
	s_set_vgpr_msb 0                        ;  msbs: dst=0 src0=0 src1=0 src2=0
	v_add3_u32 v40, v40, v56, v58
	s_set_vgpr_msb 0x45                     ;  msbs: dst=1 src0=1 src1=1 src2=0
	v_mul_i32_i24_e32 v169 /*v425*/, v49 /*v305*/, v170 /*v426*/
	v_mul_i32_i24_e32 v170 /*v426*/, v52 /*v308*/, v171 /*v427*/
	;; [unrolled: 1-line block ×4, first 2 shown]
	s_set_vgpr_msb 0                        ;  msbs: dst=0 src0=0 src1=0 src2=0
	v_add3_u32 v40, v40, v61, v67
	s_set_vgpr_msb 0x45                     ;  msbs: dst=1 src0=1 src1=1 src2=0
	v_mul_i32_i24_e32 v173 /*v429*/, v57 /*v313*/, v174 /*v430*/
	v_mul_i32_i24_e32 v174 /*v430*/, v55 /*v311*/, v175 /*v431*/
	;; [unrolled: 1-line block ×4, first 2 shown]
	s_set_vgpr_msb 0                        ;  msbs: dst=0 src0=0 src1=0 src2=0
	v_add3_u32 v40, v40, v69, v71
	s_set_vgpr_msb 5                        ;  msbs: dst=0 src0=1 src1=1 src2=0
	v_mul_i32_i24_e32 v52, v182 /*v438*/, v56 /*v312*/
	v_mul_i32_i24_e32 v53, v156 /*v412*/, v62 /*v318*/
	;; [unrolled: 1-line block ×4, first 2 shown]
	s_set_vgpr_msb 0                        ;  msbs: dst=0 src0=0 src1=0 src2=0
	v_add3_u32 v40, v40, v82, v84
	s_set_vgpr_msb 5                        ;  msbs: dst=0 src0=1 src1=1 src2=0
	v_mul_i32_i24_e32 v56, v187 /*v443*/, v70 /*v326*/
	v_mul_i32_i24_e32 v58, v188 /*v444*/, v71 /*v327*/
	;; [unrolled: 1-line block ×4, first 2 shown]
	s_set_vgpr_msb 0                        ;  msbs: dst=0 src0=0 src1=0 src2=0
	v_add3_u32 v40, v40, v86, v92
	s_set_vgpr_msb 5                        ;  msbs: dst=0 src0=1 src1=1 src2=0
	v_mul_i32_i24_e32 v69, v191 /*v447*/, v74 /*v330*/
	v_mul_i32_i24_e32 v71, v192 /*v448*/, v75 /*v331*/
	s_set_vgpr_msb 0x55                     ;  msbs: dst=1 src0=1 src1=1 src2=1
	v_add3_u32 v152 /*v408*/, v150 /*v406*/, v151 /*v407*/, v152 /*v408*/
	s_set_vgpr_msb 5                        ;  msbs: dst=0 src0=1 src1=1 src2=0
	v_mul_i32_i24_e32 v82, v193 /*v449*/, v72 /*v328*/
	s_set_vgpr_msb 20                       ;  msbs: dst=0 src0=0 src1=1 src2=1
	v_add3_u32 v40, v40, v149 /*v405*/, v167 /*v423*/
	s_set_vgpr_msb 5                        ;  msbs: dst=0 src0=1 src1=1 src2=0
	v_mul_i32_i24_e32 v84, v194 /*v450*/, v76 /*v332*/
	v_mul_i32_i24_e32 v86, v195 /*v451*/, v77 /*v333*/
	s_set_vgpr_msb 0x55                     ;  msbs: dst=1 src0=1 src1=1 src2=1
	v_add3_u32 v152 /*v408*/, v152 /*v408*/, v158 /*v414*/, v161 /*v417*/
	s_set_vgpr_msb 5                        ;  msbs: dst=0 src0=1 src1=1 src2=0
	v_mul_i32_i24_e32 v92, v196 /*v452*/, v78 /*v334*/
	s_set_vgpr_msb 20                       ;  msbs: dst=0 src0=0 src1=1 src2=1
	v_add3_u32 v40, v40, v168 /*v424*/, v169 /*v425*/
	s_set_vgpr_msb 0x55                     ;  msbs: dst=1 src0=1 src1=1 src2=1
	v_mul_i32_i24_e32 v167 /*v423*/, v79 /*v335*/, v198 /*v454*/
	v_mul_i32_i24_e32 v168 /*v424*/, v81 /*v337*/, v199 /*v455*/
	v_add3_u32 v152 /*v408*/, v152 /*v408*/, v210 /*v466*/, v211 /*v467*/
	s_set_vgpr_msb 0x41                     ;  msbs: dst=1 src0=1 src1=0 src2=0
	v_mul_i32_i24_e32 v210 /*v466*/, v156 /*v412*/, v188
	s_set_vgpr_msb 20                       ;  msbs: dst=0 src0=0 src1=1 src2=1
	v_add3_u32 v40, v40, v170 /*v426*/, v153 /*v409*/
	s_set_vgpr_msb 0x45                     ;  msbs: dst=1 src0=1 src1=1 src2=0
	v_mul_i32_i24_e32 v156 /*v412*/, v80 /*v336*/, v197 /*v453*/
	v_mul_i32_i24_e32 v169 /*v425*/, v82 /*v338*/, v200 /*v456*/
	;; [unrolled: 1-line block ×4, first 2 shown]
	s_set_vgpr_msb 20                       ;  msbs: dst=0 src0=0 src1=1 src2=1
	v_add3_u32 v40, v40, v171 /*v427*/, v172 /*v428*/
	s_set_vgpr_msb 0x55                     ;  msbs: dst=1 src0=1 src1=1 src2=1
	v_mul_i32_i24_e32 v171 /*v427*/, v83 /*v339*/, v202 /*v458*/
	v_mul_i32_i24_e32 v172 /*v428*/, v85 /*v341*/, v203 /*v459*/
	v_add3_u32 v152 /*v408*/, v152 /*v408*/, v212 /*v468*/, v213 /*v469*/
	s_set_vgpr_msb 0x41                     ;  msbs: dst=1 src0=1 src1=0 src2=0
	v_mul_i32_i24_e32 v158 /*v414*/, v180 /*v436*/, v185
	s_set_vgpr_msb 20                       ;  msbs: dst=0 src0=0 src1=1 src2=1
	v_add3_u32 v40, v40, v173 /*v429*/, v174 /*v430*/
	s_set_vgpr_msb 0x55                     ;  msbs: dst=1 src0=1 src1=1 src2=1
	v_mul_i32_i24_e32 v173 /*v429*/, v86 /*v342*/, v204 /*v460*/
	v_mul_i32_i24_e32 v174 /*v430*/, v88 /*v344*/, v205 /*v461*/
	v_add3_u32 v152 /*v408*/, v152 /*v408*/, v214 /*v470*/, v215 /*v471*/
	s_set_vgpr_msb 0x41                     ;  msbs: dst=1 src0=1 src1=0 src2=0
	v_mul_i32_i24_e32 v161 /*v417*/, v182 /*v438*/, v182
	s_set_vgpr_msb 0x54                     ;  msbs: dst=1 src0=0 src1=1 src2=1
	v_add3_u32 v149 /*v405*/, v40, v175 /*v431*/, v176 /*v432*/
	s_set_vgpr_msb 5                        ;  msbs: dst=0 src0=1 src1=1 src2=0
	v_mul_i32_i24_e32 v40, v180 /*v436*/, v59 /*v315*/
	s_set_vgpr_msb 0x45                     ;  msbs: dst=1 src0=1 src1=1 src2=0
	v_mul_i32_i24_e32 v175 /*v431*/, v87 /*v343*/, v206 /*v462*/
	v_mul_i32_i24_e32 v176 /*v432*/, v207 /*v463*/, v89 /*v345*/
	s_set_vgpr_msb 0x51                     ;  msbs: dst=1 src0=1 src1=0 src2=1
	v_mad_i32_i24 v158 /*v414*/, v181 /*v437*/, v184, v158 /*v414*/
	s_set_vgpr_msb 0x55                     ;  msbs: dst=1 src0=1 src1=1 src2=1
	v_add3_u32 v152 /*v408*/, v152 /*v408*/, v216 /*v472*/, v217 /*v473*/
	s_set_vgpr_msb 5                        ;  msbs: dst=0 src0=1 src1=1 src2=0
	v_mad_i32_i24 v40, v181 /*v437*/, v58 /*v314*/, v40
	s_set_vgpr_msb 0x41                     ;  msbs: dst=1 src0=1 src1=0 src2=0
	v_mul_i32_i24_e32 v150 /*v406*/, v178 /*v434*/, v190
	v_mul_i32_i24_e32 v151 /*v407*/, v179 /*v435*/, v192
	s_set_vgpr_msb 0x55                     ;  msbs: dst=1 src0=1 src1=1 src2=1
	v_add3_u32 v161 /*v417*/, v158 /*v414*/, v161 /*v417*/, v210 /*v466*/
	s_set_vgpr_msb 0x41                     ;  msbs: dst=1 src0=1 src1=0 src2=0
	v_mul_i32_i24_e32 v210 /*v466*/, v183 /*v439*/, v191
	s_set_vgpr_msb 0                        ;  msbs: dst=0 src0=0 src1=0 src2=0
	v_add3_u32 v40, v40, v52, v53
	s_set_vgpr_msb 5                        ;  msbs: dst=0 src0=1 src1=1 src2=0
	v_mul_i32_i24_e32 v52, v183 /*v439*/, v65 /*v321*/
	v_mul_i32_i24_e32 v53, v184 /*v440*/, v67 /*v323*/
	s_set_vgpr_msb 0x55                     ;  msbs: dst=1 src0=1 src1=1 src2=1
	v_mul_i32_i24_e32 v147 /*v403*/, v178 /*v434*/, v64 /*v320*/
	v_mul_i32_i24_e32 v148 /*v404*/, v179 /*v435*/, v66 /*v322*/
	v_add3_u32 v152 /*v408*/, v152 /*v408*/, v218 /*v474*/, v219 /*v475*/
	s_set_vgpr_msb 0x41                     ;  msbs: dst=1 src0=1 src1=0 src2=0
	v_mul_i32_i24_e32 v211 /*v467*/, v184 /*v440*/, v193
	s_set_vgpr_msb 0                        ;  msbs: dst=0 src0=0 src1=0 src2=0
	v_add3_u32 v40, v40, v52, v53
	s_set_vgpr_msb 0x41                     ;  msbs: dst=1 src0=1 src1=0 src2=0
	v_mul_i32_i24_e32 v212 /*v468*/, v185 /*v441*/, v186
	v_mul_i32_i24_e32 v213 /*v469*/, v186 /*v442*/, v195
	s_set_vgpr_msb 0x55                     ;  msbs: dst=1 src0=1 src1=1 src2=1
	v_add3_u32 v152 /*v408*/, v152 /*v408*/, v220 /*v476*/, v221 /*v477*/
	v_add3_u32 v161 /*v417*/, v161 /*v417*/, v210 /*v466*/, v211 /*v467*/
	s_set_vgpr_msb 0                        ;  msbs: dst=0 src0=0 src1=0 src2=0
	v_add3_u32 v40, v40, v54, v55
	s_set_vgpr_msb 0x41                     ;  msbs: dst=1 src0=1 src1=0 src2=0
	v_mul_i32_i24_e32 v214 /*v470*/, v187 /*v443*/, v196
	v_mul_i32_i24_e32 v215 /*v471*/, v188 /*v444*/, v197
	s_set_vgpr_msb 0x55                     ;  msbs: dst=1 src0=1 src1=1 src2=1
	v_add3_u32 v152 /*v408*/, v152 /*v408*/, v222 /*v478*/, v223 /*v479*/
	v_add3_u32 v161 /*v417*/, v161 /*v417*/, v212 /*v468*/, v213 /*v469*/
	;; [unrolled: 8-line block ×4, first 2 shown]
	s_set_vgpr_msb 0                        ;  msbs: dst=0 src0=0 src1=0 src2=0
	v_add3_u32 v40, v40, v69, v71
	s_set_vgpr_msb 0x41                     ;  msbs: dst=1 src0=1 src1=0 src2=0
	v_mul_i32_i24_e32 v220 /*v476*/, v193 /*v449*/, v198
	v_mul_i32_i24_e32 v221 /*v477*/, v194 /*v450*/, v202
	s_set_vgpr_msb 0x55                     ;  msbs: dst=1 src0=1 src1=1 src2=1
	v_add3_u32 v152 /*v408*/, v152 /*v408*/, v228 /*v484*/, v229 /*v485*/
	s_set_vgpr_msb 0x44                     ;  msbs: dst=1 src0=0 src1=1 src2=0
	v_mul_i32_i24_e32 v229 /*v485*/, v209, v202 /*v458*/
	s_set_vgpr_msb 0                        ;  msbs: dst=0 src0=0 src1=0 src2=0
	v_add3_u32 v40, v40, v82, v84
	s_set_vgpr_msb 0x44                     ;  msbs: dst=1 src0=0 src1=1 src2=0
	v_mul_i32_i24_e32 v228 /*v484*/, v210, v201 /*v457*/
	s_set_vgpr_msb 0x55                     ;  msbs: dst=1 src0=1 src1=1 src2=1
	v_add3_u32 v161 /*v417*/, v161 /*v417*/, v218 /*v474*/, v219 /*v475*/
	v_add3_u32 v152 /*v408*/, v152 /*v408*/, v230 /*v486*/, v231 /*v487*/
	s_set_vgpr_msb 0x44                     ;  msbs: dst=1 src0=0 src1=1 src2=0
	v_mul_i32_i24_e32 v230 /*v486*/, v211, v203 /*v459*/
	s_set_vgpr_msb 0                        ;  msbs: dst=0 src0=0 src1=0 src2=0
	v_add3_u32 v40, v40, v86, v92
	s_set_vgpr_msb 0x44                     ;  msbs: dst=1 src0=0 src1=1 src2=0
	v_mul_i32_i24_e32 v231 /*v487*/, v212, v204 /*v460*/
	s_set_vgpr_msb 0x41                     ;  msbs: dst=1 src0=1 src1=0 src2=0
	v_mul_i32_i24_e32 v222 /*v478*/, v195 /*v451*/, v203
	s_set_vgpr_msb 0x55                     ;  msbs: dst=1 src0=1 src1=1 src2=1
	v_add3_u32 v152 /*v408*/, v152 /*v408*/, v232 /*v488*/, v233 /*v489*/
	s_set_vgpr_msb 0x44                     ;  msbs: dst=1 src0=0 src1=1 src2=0
	v_mul_i32_i24_e32 v232 /*v488*/, v214, v205 /*v461*/
	s_set_vgpr_msb 20                       ;  msbs: dst=0 src0=0 src1=1 src2=1
	v_add3_u32 v40, v40, v156 /*v412*/, v167 /*v423*/
	s_set_vgpr_msb 0x41                     ;  msbs: dst=1 src0=1 src1=0 src2=0
	v_mul_i32_i24_e32 v223 /*v479*/, v196 /*v452*/, v204
	s_set_vgpr_msb 0x44                     ;  msbs: dst=1 src0=0 src1=1 src2=0
	v_mul_i32_i24_e32 v233 /*v489*/, v213, v206 /*v462*/
	s_set_vgpr_msb 0x55                     ;  msbs: dst=1 src0=1 src1=1 src2=1
	v_add3_u32 v161 /*v417*/, v161 /*v417*/, v220 /*v476*/, v221 /*v477*/
	s_set_vgpr_msb 0x44                     ;  msbs: dst=1 src0=0 src1=1 src2=0
	v_mul_i32_i24_e32 v224 /*v480*/, v206, v197 /*v453*/
	s_set_vgpr_msb 20                       ;  msbs: dst=0 src0=0 src1=1 src2=1
	v_add3_u32 v40, v40, v168 /*v424*/, v169 /*v425*/
	s_set_vgpr_msb 0x44                     ;  msbs: dst=1 src0=0 src1=1 src2=0
	v_mul_i32_i24_e32 v225 /*v481*/, v205, v198 /*v454*/
	s_set_vgpr_msb 0x41                     ;  msbs: dst=1 src0=1 src1=0 src2=0
	v_mul_i32_i24_e32 v158 /*v414*/, v209 /*v465*/, v217
	s_set_vgpr_msb 0x55                     ;  msbs: dst=1 src0=1 src1=1 src2=1
	v_add3_u32 v161 /*v417*/, v161 /*v417*/, v222 /*v478*/, v223 /*v479*/
	v_mul_i32_i24_e32 v153 /*v409*/, v209 /*v465*/, v91 /*v347*/
	s_set_vgpr_msb 20                       ;  msbs: dst=0 src0=0 src1=1 src2=1
	v_add3_u32 v40, v40, v170 /*v426*/, v171 /*v427*/
	s_set_vgpr_msb 0x44                     ;  msbs: dst=1 src0=0 src1=1 src2=0
	v_mul_i32_i24_e32 v226 /*v482*/, v207, v199 /*v455*/
	v_mul_i32_i24_e32 v227 /*v483*/, v208, v200 /*v456*/
	s_set_vgpr_msb 0x55                     ;  msbs: dst=1 src0=1 src1=1 src2=1
	v_add3_u32 v161 /*v417*/, v161 /*v417*/, v224 /*v480*/, v225 /*v481*/
	v_add3_u32 v150 /*v406*/, v152 /*v408*/, v150 /*v406*/, v151 /*v407*/
	s_set_vgpr_msb 20                       ;  msbs: dst=0 src0=0 src1=1 src2=1
	v_add3_u32 v40, v40, v172 /*v428*/, v173 /*v429*/
	s_set_vgpr_msb 0x55                     ;  msbs: dst=1 src0=1 src1=1 src2=1
	v_add3_u32 v161 /*v417*/, v161 /*v417*/, v226 /*v482*/, v227 /*v483*/
	s_set_vgpr_msb 0x41                     ;  msbs: dst=1 src0=1 src1=0 src2=0
	v_mul_lo_u32 v150 /*v406*/, v150 /*v406*/, v107
	s_set_vgpr_msb 20                       ;  msbs: dst=0 src0=0 src1=1 src2=1
	v_add3_u32 v40, v40, v174 /*v430*/, v175 /*v431*/
	s_set_vgpr_msb 0x55                     ;  msbs: dst=1 src0=1 src1=1 src2=1
	v_add3_u32 v161 /*v417*/, v161 /*v417*/, v228 /*v484*/, v229 /*v485*/
	s_set_vgpr_msb 0x54                     ;  msbs: dst=1 src0=0 src1=1 src2=1
	s_delay_alu instid0(VALU_DEP_2)
	v_add3_u32 v156 /*v412*/, v40, v176 /*v432*/, v177 /*v433*/
	s_set_vgpr_msb 0                        ;  msbs: dst=0 src0=0 src1=0 src2=0
	v_or_b32_e32 v40, s13, v142
	s_set_vgpr_msb 0x55                     ;  msbs: dst=1 src0=1 src1=1 src2=1
	v_add3_u32 v161 /*v417*/, v161 /*v417*/, v230 /*v486*/, v231 /*v487*/
	v_cvt_f32_i32_e32 v150 /*v406*/, v150 /*v406*/
	s_set_vgpr_msb 0                        ;  msbs: dst=0 src0=0 src1=0 src2=0
	v_dual_lshlrev_b32 v52, 2, v40 :: v_dual_lshrrev_b32 v40, 1, v40
	s_set_vgpr_msb 64                       ;  msbs: dst=1 src0=0 src1=0 src2=0
	ds_load_b128 v[168:171] /*v[424:427]*/, v52 offset:16896
	ds_load_b128 v[172:175] /*v[428:431]*/, v52 offset:16912
	;; [unrolled: 1-line block ×4, first 2 shown]
	s_set_vgpr_msb 0x55                     ;  msbs: dst=1 src0=1 src1=1 src2=1
	v_add3_u32 v161 /*v417*/, v161 /*v417*/, v232 /*v488*/, v233 /*v489*/
	s_delay_alu instid0(VALU_DEP_1)
	v_add3_u32 v161 /*v417*/, v161 /*v417*/, v234 /*v490*/, v235 /*v491*/
	s_wait_dscnt 0x3
	s_set_vgpr_msb 1                        ;  msbs: dst=0 src0=1 src1=0 src2=0
	v_bfe_i32 v52, v168 /*v424*/, 0, 8
	v_bfe_i32 v53, v168 /*v424*/, 8, 8
	;; [unrolled: 1-line block ×3, first 2 shown]
	s_set_vgpr_msb 4                        ;  msbs: dst=0 src0=0 src1=1 src2=0
	v_dual_ashrrev_i32 v55, 24, v168 /*v424*/ :: v_dual_ashrrev_i32 v67, 24, v169 /*v425*/
	s_set_vgpr_msb 64                       ;  msbs: dst=1 src0=0 src1=0 src2=0
	v_mul_i32_i24_e32 v167 /*v423*/, v52, v119
	s_set_vgpr_msb 1                        ;  msbs: dst=0 src0=1 src1=0 src2=0
	v_bfe_i32 v56, v169 /*v425*/, 0, 8
	v_bfe_i32 v58, v169 /*v425*/, 8, 8
	;; [unrolled: 1-line block ×3, first 2 shown]
	s_set_vgpr_msb 0x44                     ;  msbs: dst=1 src0=0 src1=1 src2=0
	v_mul_i32_i24_e32 v168 /*v424*/, v54, v92 /*v348*/
	v_mul_i32_i24_e32 v169 /*v425*/, v55, v93 /*v349*/
	s_set_vgpr_msb 0x50                     ;  msbs: dst=1 src0=0 src1=0 src2=1
	v_mad_i32_i24 v167 /*v423*/, v53, v118, v167 /*v423*/
	s_wait_dscnt 0x1
	s_set_vgpr_msb 0x41                     ;  msbs: dst=1 src0=1 src1=0 src2=0
	v_bfe_i32 v202 /*v458*/, v176 /*v432*/, 0, 8
	s_set_vgpr_msb 1                        ;  msbs: dst=0 src0=1 src1=0 src2=0
	v_bfe_i32 v69, v170 /*v426*/, 0, 8
	v_bfe_i32 v71, v170 /*v426*/, 8, 8
	v_bfe_i32 v82, v170 /*v426*/, 16, 8
	s_set_vgpr_msb 0x55                     ;  msbs: dst=1 src0=1 src1=1 src2=1
	v_add3_u32 v167 /*v423*/, v167 /*v423*/, v168 /*v424*/, v169 /*v425*/
	s_set_vgpr_msb 0x44                     ;  msbs: dst=1 src0=0 src1=1 src2=0
	v_mul_i32_i24_e32 v168 /*v424*/, v56, v94 /*v350*/
	v_mul_i32_i24_e32 v169 /*v425*/, v58, v95 /*v351*/
	s_set_vgpr_msb 4                        ;  msbs: dst=0 src0=0 src1=1 src2=0
	v_ashrrev_i32_e32 v84, 24, v170 /*v426*/
	s_set_vgpr_msb 1                        ;  msbs: dst=0 src0=1 src1=0 src2=0
	v_bfe_i32 v86, v171 /*v427*/, 0, 8
	v_bfe_i32 v92, v171 /*v427*/, 8, 8
	s_set_vgpr_msb 0x41                     ;  msbs: dst=1 src0=1 src1=0 src2=0
	v_bfe_i32 v184 /*v440*/, v171 /*v427*/, 16, 8
	s_set_vgpr_msb 0x44                     ;  msbs: dst=1 src0=0 src1=1 src2=0
	v_dual_ashrrev_i32 v185 /*v441*/, 24, v171 /*v427*/ :: v_dual_ashrrev_i32 v189 /*v445*/, 24, v172 /*v428*/
	v_dual_ashrrev_i32 v201 /*v457*/, 24, v175 /*v431*/ :: v_dual_ashrrev_i32 v205 /*v461*/, 24, v176 /*v432*/
	s_set_vgpr_msb 0x41                     ;  msbs: dst=1 src0=1 src1=0 src2=0
	v_bfe_i32 v203 /*v459*/, v176 /*v432*/, 8, 8
	v_bfe_i32 v204 /*v460*/, v176 /*v432*/, 16, 8
	s_set_vgpr_msb 0x44                     ;  msbs: dst=1 src0=0 src1=1 src2=0
	v_mul_i32_i24_e32 v170 /*v426*/, v61, v96 /*v352*/
	v_mul_i32_i24_e32 v171 /*v427*/, v67, v97 /*v353*/
	s_set_vgpr_msb 0x55                     ;  msbs: dst=1 src0=1 src1=1 src2=1
	v_add3_u32 v167 /*v423*/, v167 /*v423*/, v168 /*v424*/, v169 /*v425*/
	s_set_vgpr_msb 0x44                     ;  msbs: dst=1 src0=0 src1=1 src2=0
	v_mul_i32_i24_e32 v168 /*v424*/, v116, v202 /*v458*/
	s_set_vgpr_msb 0x55                     ;  msbs: dst=1 src0=1 src1=1 src2=1
	v_bfe_i32 v206 /*v462*/, v177 /*v433*/, 0, 8
	v_bfe_i32 v207 /*v463*/, v177 /*v433*/, 8, 8
	v_mul_i32_i24_e32 v169 /*v425*/, v132 /*v388*/, v204 /*v460*/
	v_add3_u32 v167 /*v423*/, v167 /*v423*/, v170 /*v426*/, v171 /*v427*/
	v_mul_i32_i24_e32 v170 /*v426*/, v123 /*v379*/, v205 /*v461*/
	s_set_vgpr_msb 0x54                     ;  msbs: dst=1 src0=0 src1=1 src2=1
	v_mad_i32_i24 v168 /*v424*/, v113, v203 /*v459*/, v168 /*v424*/
	s_set_vgpr_msb 0x41                     ;  msbs: dst=1 src0=1 src1=0 src2=0
	v_bfe_i32 v186 /*v442*/, v172 /*v428*/, 0, 8
	v_bfe_i32 v187 /*v443*/, v172 /*v428*/, 8, 8
	;; [unrolled: 1-line block ×6, first 2 shown]
	s_set_vgpr_msb 0x44                     ;  msbs: dst=1 src0=0 src1=1 src2=0
	v_dual_ashrrev_i32 v193 /*v449*/, 24, v173 /*v429*/ :: v_dual_ashrrev_i32 v197 /*v453*/, 24, v174 /*v430*/
	s_set_vgpr_msb 0x41                     ;  msbs: dst=1 src0=1 src1=0 src2=0
	v_bfe_i32 v208 /*v464*/, v177 /*v433*/, 16, 8
	s_set_vgpr_msb 0x44                     ;  msbs: dst=1 src0=0 src1=1 src2=0
	v_dual_ashrrev_i32 v209 /*v465*/, 24, v177 /*v433*/ :: v_dual_ashrrev_i32 v213 /*v469*/, 24, v178 /*v434*/
	v_mul_i32_i24_e32 v172 /*v428*/, v69, v98 /*v354*/
	v_mul_i32_i24_e32 v173 /*v429*/, v71, v99 /*v355*/
	s_set_vgpr_msb 0x55                     ;  msbs: dst=1 src0=1 src1=1 src2=1
	v_add3_u32 v168 /*v424*/, v168 /*v424*/, v169 /*v425*/, v170 /*v426*/
	s_set_vgpr_msb 0x44                     ;  msbs: dst=1 src0=0 src1=1 src2=0
	v_mul_i32_i24_e32 v169 /*v425*/, v117, v206 /*v462*/
	s_set_vgpr_msb 0x45                     ;  msbs: dst=1 src0=1 src1=1 src2=0
	v_mul_i32_i24_e32 v170 /*v426*/, v134 /*v390*/, v207 /*v463*/
	v_bfe_i32 v194 /*v450*/, v174 /*v430*/, 0, 8
	v_bfe_i32 v195 /*v451*/, v174 /*v430*/, 8, 8
	;; [unrolled: 1-line block ×8, first 2 shown]
	s_set_vgpr_msb 0x44                     ;  msbs: dst=1 src0=0 src1=1 src2=0
	v_mul_i32_i24_e32 v174 /*v430*/, v82, v100 /*v356*/
	v_mul_i32_i24_e32 v175 /*v431*/, v84, v101 /*v357*/
	s_set_vgpr_msb 0x55                     ;  msbs: dst=1 src0=1 src1=1 src2=1
	v_add3_u32 v167 /*v423*/, v167 /*v423*/, v172 /*v428*/, v173 /*v429*/
	v_mul_i32_i24_e32 v171 /*v427*/, v133 /*v389*/, v208 /*v464*/
	v_mul_i32_i24_e32 v172 /*v428*/, v115 /*v371*/, v209 /*v465*/
	v_add3_u32 v168 /*v424*/, v168 /*v424*/, v169 /*v425*/, v170 /*v426*/
	v_bfe_i32 v212 /*v468*/, v178 /*v434*/, 16, 8
	s_set_vgpr_msb 0x44                     ;  msbs: dst=1 src0=0 src1=1 src2=0
	v_mul_i32_i24_e32 v176 /*v432*/, v86, v102 /*v358*/
	v_mul_i32_i24_e32 v177 /*v433*/, v92, v103 /*v359*/
	s_set_vgpr_msb 0x55                     ;  msbs: dst=1 src0=1 src1=1 src2=1
	v_add3_u32 v167 /*v423*/, v167 /*v423*/, v174 /*v430*/, v175 /*v431*/
	s_set_vgpr_msb 0x44                     ;  msbs: dst=1 src0=0 src1=1 src2=0
	v_mul_i32_i24_e32 v173 /*v429*/, v114, v210 /*v466*/
	s_set_vgpr_msb 0x55                     ;  msbs: dst=1 src0=1 src1=1 src2=1
	v_mul_i32_i24_e32 v174 /*v430*/, v136 /*v392*/, v211 /*v467*/
	v_add3_u32 v168 /*v424*/, v168 /*v424*/, v171 /*v427*/, v172 /*v428*/
	v_bfe_i32 v214 /*v470*/, v179 /*v435*/, 0, 8
	v_bfe_i32 v215 /*v471*/, v179 /*v435*/, 8, 8
	v_bfe_i32 v216 /*v472*/, v179 /*v435*/, 16, 8
	v_ashrrev_i32_e32 v217 /*v473*/, 24, v179 /*v435*/
	v_mul_i32_i24_e32 v178 /*v434*/, v184 /*v440*/, v104 /*v360*/
	v_mul_i32_i24_e32 v179 /*v435*/, v185 /*v441*/, v105 /*v361*/
	v_add3_u32 v167 /*v423*/, v167 /*v423*/, v176 /*v432*/, v177 /*v433*/
	v_mul_i32_i24_e32 v175 /*v431*/, v135 /*v391*/, v212 /*v468*/
	v_mul_i32_i24_e32 v176 /*v432*/, v116 /*v372*/, v213 /*v469*/
	v_add3_u32 v168 /*v424*/, v168 /*v424*/, v173 /*v429*/, v174 /*v430*/
	;; [unrolled: 3-line block ×3, first 2 shown]
	s_set_vgpr_msb 0x44                     ;  msbs: dst=1 src0=0 src1=1 src2=0
	v_mul_i32_i24_e32 v177 /*v433*/, v115, v214 /*v470*/
	s_set_vgpr_msb 0x55                     ;  msbs: dst=1 src0=1 src1=1 src2=1
	v_mul_i32_i24_e32 v178 /*v434*/, v138 /*v394*/, v215 /*v471*/
	v_add3_u32 v168 /*v424*/, v168 /*v424*/, v175 /*v431*/, v176 /*v432*/
	s_wait_dscnt 0x0
	v_bfe_i32 v218 /*v474*/, v180 /*v436*/, 0, 8
	v_bfe_i32 v219 /*v475*/, v180 /*v436*/, 8, 8
	;; [unrolled: 1-line block ×3, first 2 shown]
	v_ashrrev_i32_e32 v180 /*v436*/, 24, v180 /*v436*/
	v_mul_i32_i24_e32 v232 /*v488*/, v188 /*v444*/, v108 /*v364*/
	v_mul_i32_i24_e32 v233 /*v489*/, v189 /*v445*/, v109 /*v365*/
	v_add3_u32 v167 /*v423*/, v167 /*v423*/, v230 /*v486*/, v231 /*v487*/
	v_mul_i32_i24_e32 v179 /*v435*/, v137 /*v393*/, v216 /*v472*/
	v_mul_i32_i24_e32 v230 /*v486*/, v117 /*v373*/, v217 /*v473*/
	v_add3_u32 v168 /*v424*/, v168 /*v424*/, v177 /*v433*/, v178 /*v434*/
	;; [unrolled: 3-line block ×3, first 2 shown]
	s_set_vgpr_msb 0x44                     ;  msbs: dst=1 src0=0 src1=1 src2=0
	v_mul_i32_i24_e32 v231 /*v487*/, v110, v218 /*v474*/
	s_set_vgpr_msb 0x55                     ;  msbs: dst=1 src0=1 src1=1 src2=1
	v_mul_i32_i24_e32 v232 /*v488*/, v140 /*v396*/, v219 /*v475*/
	v_add3_u32 v168 /*v424*/, v168 /*v424*/, v179 /*v435*/, v230 /*v486*/
	v_bfe_i32 v221 /*v477*/, v181 /*v437*/, 0, 8
	v_bfe_i32 v222 /*v478*/, v181 /*v437*/, 8, 8
	v_mul_i32_i24_e32 v236 /*v492*/, v113 /*v369*/, v192 /*v448*/
	v_mul_i32_i24_e32 v237 /*v493*/, v112 /*v368*/, v193 /*v449*/
	v_add3_u32 v167 /*v423*/, v167 /*v423*/, v234 /*v490*/, v235 /*v491*/
	v_mul_i32_i24_e32 v233 /*v489*/, v139 /*v395*/, v220 /*v476*/
	v_mul_i32_i24_e32 v234 /*v490*/, v118 /*v374*/, v180 /*v436*/
	v_add3_u32 v168 /*v424*/, v168 /*v424*/, v231 /*v487*/, v232 /*v488*/
	v_bfe_i32 v223 /*v479*/, v181 /*v437*/, 16, 8
	v_ashrrev_i32_e32 v181 /*v437*/, 24, v181 /*v437*/
	v_mul_i32_i24_e32 v238 /*v494*/, v121 /*v377*/, v194 /*v450*/
	v_mul_i32_i24_e32 v239 /*v495*/, v114 /*v370*/, v195 /*v451*/
	v_add3_u32 v167 /*v423*/, v167 /*v423*/, v236 /*v492*/, v237 /*v493*/
	s_set_vgpr_msb 0x44                     ;  msbs: dst=1 src0=0 src1=1 src2=0
	v_mul_i32_i24_e32 v235 /*v491*/, v111, v221 /*v477*/
	s_set_vgpr_msb 0x55                     ;  msbs: dst=1 src0=1 src1=1 src2=1
	v_mul_i32_i24_e32 v236 /*v492*/, v142 /*v398*/, v222 /*v478*/
	v_add3_u32 v168 /*v424*/, v168 /*v424*/, v233 /*v489*/, v234 /*v490*/
	v_bfe_i32 v224 /*v480*/, v182 /*v438*/, 0, 8
	v_bfe_i32 v225 /*v481*/, v182 /*v438*/, 8, 8
	;; [unrolled: 1-line block ×3, first 2 shown]
	v_ashrrev_i32_e32 v182 /*v438*/, 24, v182 /*v438*/
	v_mul_i32_i24_e32 v240 /*v496*/, v125 /*v381*/, v196 /*v452*/
	v_mul_i32_i24_e32 v241 /*v497*/, v122 /*v378*/, v197 /*v453*/
	v_add3_u32 v167 /*v423*/, v167 /*v423*/, v238 /*v494*/, v239 /*v495*/
	v_mul_i32_i24_e32 v237 /*v493*/, v141 /*v397*/, v223 /*v479*/
	v_mul_i32_i24_e32 v238 /*v494*/, v119 /*v375*/, v181 /*v437*/
	v_add3_u32 v168 /*v424*/, v168 /*v424*/, v235 /*v491*/, v236 /*v492*/
	;; [unrolled: 3-line block ×3, first 2 shown]
	s_set_vgpr_msb 0x44                     ;  msbs: dst=1 src0=0 src1=1 src2=0
	v_mul_i32_i24_e32 v239 /*v495*/, v112, v224 /*v480*/
	s_set_vgpr_msb 0x55                     ;  msbs: dst=1 src0=1 src1=1 src2=1
	v_mul_i32_i24_e32 v240 /*v496*/, v144 /*v400*/, v225 /*v481*/
	v_add3_u32 v168 /*v424*/, v168 /*v424*/, v237 /*v493*/, v238 /*v494*/
	v_bfe_i32 v227 /*v483*/, v183 /*v439*/, 0, 8
	v_bfe_i32 v228 /*v484*/, v183 /*v439*/, 8, 8
	v_add3_u32 v167 /*v423*/, v167 /*v423*/, v242 /*v498*/, v243 /*v499*/
	v_mul_i32_i24_e32 v241 /*v497*/, v143 /*v399*/, v226 /*v482*/
	v_mul_i32_i24_e32 v242 /*v498*/, v120 /*v376*/, v182 /*v438*/
	v_add3_u32 v168 /*v424*/, v168 /*v424*/, v239 /*v495*/, v240 /*v496*/
	v_mul_i32_i24_e32 v243 /*v499*/, v227 /*v483*/, v124 /*v380*/
	v_mul_i32_i24_e32 v246 /*v502*/, v228 /*v484*/, v126 /*v382*/
	s_set_vgpr_msb 64                       ;  msbs: dst=1 src0=0 src1=0 src2=0
	ds_load_b64 v[170:171] /*v[426:427]*/, v40 offset:27200
	s_set_vgpr_msb 0x55                     ;  msbs: dst=1 src0=1 src1=1 src2=1
	v_bfe_i32 v229 /*v485*/, v183 /*v439*/, 16, 8
	v_add3_u32 v168 /*v424*/, v168 /*v424*/, v241 /*v497*/, v242 /*v498*/
	v_mul_i32_i24_e32 v244 /*v500*/, v200 /*v456*/, v130 /*v386*/
	v_mul_i32_i24_e32 v245 /*v501*/, v201 /*v457*/, v131 /*v387*/
	s_set_vgpr_msb 0x41                     ;  msbs: dst=1 src0=1 src1=0 src2=0
	v_mul_i32_i24_e32 v231 /*v487*/, v186 /*v442*/, v235
	s_set_vgpr_msb 0x55                     ;  msbs: dst=1 src0=1 src1=1 src2=1
	v_mul_i32_i24_e32 v247 /*v503*/, v229 /*v485*/, v127 /*v383*/
	v_add3_u32 v230 /*v486*/, v168 /*v424*/, v243 /*v499*/, v246 /*v502*/
	ds_load_b64 v[168:169] /*v[424:425]*/, v146 /*v402*/ offset:27200
	v_ashrrev_i32_e32 v183 /*v439*/, 24, v183 /*v439*/
	s_set_vgpr_msb 0x41                     ;  msbs: dst=1 src0=1 src1=0 src2=0
	v_mul_i32_i24_e32 v232 /*v488*/, v187 /*v443*/, v236
	v_mul_i32_i24_e32 v233 /*v489*/, v188 /*v444*/, v237
	;; [unrolled: 1-line block ×3, first 2 shown]
	s_set_vgpr_msb 0x44                     ;  msbs: dst=1 src0=0 src1=1 src2=0
	v_mul_i32_i24_e32 v235 /*v491*/, v240, v190 /*v446*/
	v_mul_i32_i24_e32 v236 /*v492*/, v239, v191 /*v447*/
	;; [unrolled: 1-line block ×7, first 2 shown]
	s_wait_dscnt 0x1
	s_set_vgpr_msb 4                        ;  msbs: dst=0 src0=0 src1=1 src2=0
	v_lshrrev_b32_e32 v40, 16, v170 /*v426*/
	s_set_vgpr_msb 0x41                     ;  msbs: dst=1 src0=1 src1=0 src2=0
	v_cvt_f32_f16_e64 v173 /*v429*/, v170 /*v426*/
	v_cvt_f32_f16_e64 v177 /*v433*/, v171 /*v427*/
	s_set_vgpr_msb 0x44                     ;  msbs: dst=1 src0=0 src1=1 src2=0
	v_mul_i32_i24_e32 v242 /*v498*/, v245, v197 /*v453*/
	s_set_vgpr_msb 0x41                     ;  msbs: dst=1 src0=1 src1=0 src2=0
	v_mul_i32_i24_e32 v243 /*v499*/, v198 /*v454*/, v251
	s_set_vgpr_msb 64                       ;  msbs: dst=1 src0=0 src1=0 src2=0
	v_cvt_f32_f16_e64 v175 /*v431*/, v40
	s_set_vgpr_msb 0x45                     ;  msbs: dst=1 src0=1 src1=1 src2=0
	v_mul_i32_i24_e32 v246 /*v502*/, v201 /*v457*/, v0 /*v256*/
	v_mul_i32_i24_e32 v248 /*v504*/, v229 /*v485*/, v25 /*v281*/
	s_wait_dscnt 0x0
	v_lshrrev_b32_e32 v146 /*v402*/, 16, v168 /*v424*/
	s_set_vgpr_msb 4                        ;  msbs: dst=0 src0=0 src1=1 src2=0
	v_lshrrev_b32_e32 v40, 16, v169 /*v425*/
	s_set_vgpr_msb 0x41                     ;  msbs: dst=1 src0=1 src1=0 src2=0
	v_cvt_f32_f16_e64 v172 /*v428*/, v168 /*v424*/
	v_cvt_f32_f16_e64 v176 /*v432*/, v169 /*v425*/
	v_mul_i32_i24_e32 v157 /*v413*/, v183 /*v439*/, v109
	v_cvt_f32_f16_e64 v174 /*v430*/, v146 /*v402*/
	s_set_vgpr_msb 0x44                     ;  msbs: dst=1 src0=0 src1=1 src2=0
	v_lshrrev_b32_e32 v146 /*v402*/, 16, v171 /*v427*/
	v_cvt_f32_f16_e64 v168 /*v424*/, v40
	s_set_vgpr_msb 21                       ;  msbs: dst=0 src0=1 src1=1 src2=1
	v_add3_u32 v40, v167 /*v423*/, v244 /*v500*/, v245 /*v501*/
	s_set_vgpr_msb 0x41                     ;  msbs: dst=1 src0=1 src1=0 src2=0
	v_mul_i32_i24_e32 v244 /*v500*/, v199 /*v455*/, v253
	s_set_vgpr_msb 0x44                     ;  msbs: dst=1 src0=0 src1=1 src2=0
	v_pk_fma_f32 v[178:179] /*v[434:435]*/, v[98:99], v[174:175] /*v[430:431]*/, 0 op_sel_hi:[0,1,0]
	s_set_vgpr_msb 0x55                     ;  msbs: dst=1 src0=1 src1=1 src2=1
	v_cvt_f32_f16_e64 v169 /*v425*/, v146 /*v402*/
	v_add3_u32 v146 /*v402*/, v162 /*v418*/, v159 /*v415*/, v160 /*v416*/
	s_set_vgpr_msb 0                        ;  msbs: dst=0 src0=0 src1=0 src2=0
	v_mul_lo_u32 v40, v40, v105
	s_set_vgpr_msb 64                       ;  msbs: dst=1 src0=0 src1=0 src2=0
	v_mul_i32_i24_e32 v159 /*v415*/, v55, v222
	v_mul_i32_i24_e32 v160 /*v416*/, v61, v225
	;; [unrolled: 1-line block ×3, first 2 shown]
	s_set_vgpr_msb 0x41                     ;  msbs: dst=1 src0=1 src1=0 src2=0
	v_mul_lo_u32 v146 /*v402*/, v146 /*v402*/, v105
	v_mul_i32_i24_e32 v245 /*v501*/, v200 /*v456*/, v254
	v_mul_i32_i24_e32 v152 /*v408*/, v183 /*v439*/, v97
	s_set_vgpr_msb 64                       ;  msbs: dst=1 src0=0 src1=0 src2=0
	v_cvt_f32_i32_e32 v171 /*v427*/, v40
	s_set_vgpr_msb 1                        ;  msbs: dst=0 src0=1 src1=0 src2=0
	v_mul_i32_i24_e32 v40, v145 /*v401*/, v103
	s_set_vgpr_msb 0x41                     ;  msbs: dst=1 src0=1 src1=0 src2=0
	v_cvt_f32_i32_e32 v170 /*v426*/, v146 /*v402*/
	v_mul_i32_i24_e32 v146 /*v402*/, v183 /*v439*/, v103
	s_set_vgpr_msb 5                        ;  msbs: dst=0 src0=1 src1=1 src2=0
	v_add3_u32 v40, v166 /*v422*/, v165 /*v421*/, v40
	s_set_vgpr_msb 64                       ;  msbs: dst=1 src0=0 src1=0 src2=0
	v_mul_i32_i24_e32 v165 /*v421*/, v69, v227
	s_set_vgpr_msb 0x55                     ;  msbs: dst=1 src0=1 src1=1 src2=1
	v_pk_fma_f32 v[170:171] /*v[426:427]*/, v[172:173] /*v[428:429]*/, v[170:171] /*v[426:427]*/, 0 op_sel_hi:[1,1,0]
	v_add3_u32 v146 /*v402*/, v230 /*v486*/, v247 /*v503*/, v146 /*v402*/
	s_set_vgpr_msb 0                        ;  msbs: dst=0 src0=0 src1=0 src2=0
	v_mul_lo_u32 v40, v40, v101
	s_set_vgpr_msb 0x41                     ;  msbs: dst=1 src0=1 src1=0 src2=0
	v_mul_i32_i24_e32 v230 /*v486*/, v185 /*v441*/, v234
	s_set_vgpr_msb 0x45                     ;  msbs: dst=1 src0=1 src1=1 src2=0
	v_mul_i32_i24_e32 v247 /*v503*/, v228 /*v484*/, v24 /*v280*/
	s_set_vgpr_msb 0x41                     ;  msbs: dst=1 src0=1 src1=0 src2=0
	v_mul_lo_u32 v146 /*v402*/, v146 /*v402*/, v101
	s_set_vgpr_msb 64                       ;  msbs: dst=1 src0=0 src1=0 src2=0
	s_delay_alu instid0(VALU_DEP_4) | instskip(SKIP_3) | instid1(VALU_DEP_3)
	v_cvt_f32_i32_e32 v166 /*v422*/, v40
	s_set_vgpr_msb 0                        ;  msbs: dst=0 src0=0 src1=0 src2=0
	v_mul_i32_i24_e32 v40, v52, v220
	s_set_vgpr_msb 0x41                     ;  msbs: dst=1 src0=1 src1=0 src2=0
	v_cvt_f32_i32_e32 v167 /*v423*/, v146 /*v402*/
	s_set_vgpr_msb 64                       ;  msbs: dst=1 src0=0 src1=0 src2=0
	v_mul_i32_i24_e32 v146 /*v402*/, v54, v221
	s_set_vgpr_msb 0                        ;  msbs: dst=0 src0=0 src1=0 src2=0
	v_mad_i32_i24 v40, v53, v219, v40
	s_set_vgpr_msb 0x55                     ;  msbs: dst=1 src0=1 src1=1 src2=1
	v_pk_fma_f32 v[166:167] /*v[422:423]*/, v[176:177] /*v[432:433]*/, v[166:167] /*v[422:423]*/, v[170:171] /*v[426:427]*/
	s_set_vgpr_msb 0x54                     ;  msbs: dst=1 src0=0 src1=1 src2=1
	v_pk_fma_f32 v[170:171] /*v[426:427]*/, v[100:101], v[168:169] /*v[424:425]*/, v[178:179] /*v[434:435]*/ op_sel_hi:[0,1,1]
	s_set_vgpr_msb 20                       ;  msbs: dst=0 src0=0 src1=1 src2=1
	v_add3_u32 v40, v40, v146 /*v402*/, v159 /*v415*/
	s_set_vgpr_msb 64                       ;  msbs: dst=1 src0=0 src1=0 src2=0
	v_mul_i32_i24_e32 v146 /*v402*/, v56, v223
	v_mul_i32_i24_e32 v159 /*v415*/, v58, v224
	;; [unrolled: 1-line block ×3, first 2 shown]
	s_set_vgpr_msb 0x41                     ;  msbs: dst=1 src0=1 src1=0 src2=0
	v_pk_mul_f32 v[170:171] /*v[426:427]*/, v[170:171] /*v[426:427]*/, v[8:9]
	v_mul_i32_i24_e32 v179 /*v435*/, v184 /*v440*/, v233
	s_set_vgpr_msb 20                       ;  msbs: dst=0 src0=0 src1=1 src2=1
	v_add3_u32 v40, v40, v146 /*v402*/, v159 /*v415*/
	s_set_vgpr_msb 0x51                     ;  msbs: dst=1 src0=1 src1=0 src2=1
	v_mul_i32_i24_e32 v146 /*v402*/, v202 /*v458*/, v249
	v_pk_fma_f32 v[166:167] /*v[422:423]*/, v[166:167] /*v[422:423]*/, v[0:1], v[170:171] /*v[426:427]*/ neg_lo:[0,0,1] neg_hi:[0,0,1]
	s_set_vgpr_msb 64                       ;  msbs: dst=1 src0=0 src1=0 src2=0
	v_mul_i32_i24_e32 v170 /*v426*/, v84, v230
	s_set_vgpr_msb 0x41                     ;  msbs: dst=1 src0=1 src1=0 src2=0
	v_mul_i32_i24_e32 v159 /*v415*/, v204 /*v460*/, v246
	s_set_vgpr_msb 20                       ;  msbs: dst=0 src0=0 src1=1 src2=1
	v_add3_u32 v40, v40, v160 /*v416*/, v162 /*v418*/
	s_set_vgpr_msb 0x41                     ;  msbs: dst=1 src0=1 src1=0 src2=0
	v_mul_i32_i24_e32 v160 /*v416*/, v205 /*v461*/, v252
	s_set_vgpr_msb 4                        ;  msbs: dst=0 src0=0 src1=1 src2=0
	v_pk_add_f32 v[30:31], v[30:31], v[166:167] /*v[422:423]*/
	s_set_vgpr_msb 64                       ;  msbs: dst=1 src0=0 src1=0 src2=0
	v_mul_i32_i24_e32 v166 /*v422*/, v71, v228
	v_mul_i32_i24_e32 v167 /*v423*/, v82, v229
	s_set_vgpr_msb 0x51                     ;  msbs: dst=1 src0=1 src1=0 src2=1
	v_mad_i32_i24 v146 /*v402*/, v203 /*v459*/, v248, v146 /*v402*/
	s_set_vgpr_msb 64                       ;  msbs: dst=1 src0=0 src1=0 src2=0
	v_mul_i32_i24_e32 v171 /*v427*/, v86, v231
	s_set_vgpr_msb 0x41                     ;  msbs: dst=1 src0=1 src1=0 src2=0
	v_mul_i32_i24_e32 v162 /*v418*/, v208 /*v464*/, v250
	s_set_vgpr_msb 20                       ;  msbs: dst=0 src0=0 src1=1 src2=1
	v_add3_u32 v40, v40, v165 /*v421*/, v166 /*v422*/
	s_set_vgpr_msb 0x55                     ;  msbs: dst=1 src0=1 src1=1 src2=1
	v_mul_i32_i24_e32 v165 /*v421*/, v209 /*v465*/, v3 /*v259*/
	v_add3_u32 v146 /*v402*/, v146 /*v402*/, v159 /*v415*/, v160 /*v416*/
	s_set_vgpr_msb 0x41                     ;  msbs: dst=1 src0=1 src1=0 src2=0
	v_mul_i32_i24_e32 v159 /*v415*/, v206 /*v462*/, v255
	s_set_vgpr_msb 0x45                     ;  msbs: dst=1 src0=1 src1=1 src2=0
	v_mul_i32_i24_e32 v160 /*v416*/, v207 /*v463*/, v1 /*v257*/
	s_set_vgpr_msb 20                       ;  msbs: dst=0 src0=0 src1=1 src2=1
	v_add3_u32 v40, v40, v167 /*v423*/, v170 /*v426*/
	s_set_vgpr_msb 0x55                     ;  msbs: dst=1 src0=1 src1=1 src2=1
	v_mul_i32_i24_e32 v166 /*v422*/, v210 /*v466*/, v4 /*v260*/
	v_mul_i32_i24_e32 v167 /*v423*/, v211 /*v467*/, v5 /*v261*/
	;; [unrolled: 1-line block ×3, first 2 shown]
	v_add3_u32 v146 /*v402*/, v146 /*v402*/, v159 /*v415*/, v160 /*v416*/
	s_set_vgpr_msb 20                       ;  msbs: dst=0 src0=0 src1=1 src2=1
	v_add3_u32 v40, v40, v171 /*v427*/, v178 /*v434*/
	s_set_vgpr_msb 0x45                     ;  msbs: dst=1 src0=1 src1=1 src2=0
	v_mul_i32_i24_e32 v171 /*v427*/, v213 /*v469*/, v7 /*v263*/
	v_mul_i32_i24_e32 v178 /*v434*/, v214 /*v470*/, v8 /*v264*/
	s_set_vgpr_msb 64                       ;  msbs: dst=1 src0=0 src1=0 src2=0
	v_mul_i32_i24_e32 v159 /*v415*/, v69, v163
	s_set_vgpr_msb 0x55                     ;  msbs: dst=1 src0=1 src1=1 src2=1
	v_add3_u32 v146 /*v402*/, v146 /*v402*/, v162 /*v418*/, v165 /*v421*/
	s_set_vgpr_msb 20                       ;  msbs: dst=0 src0=0 src1=1 src2=1
	v_add3_u32 v40, v40, v179 /*v435*/, v230 /*v486*/
	s_set_vgpr_msb 0x45                     ;  msbs: dst=1 src0=1 src1=1 src2=0
	v_mul_i32_i24_e32 v179 /*v435*/, v215 /*v471*/, v9 /*v265*/
	v_mul_i32_i24_e32 v230 /*v486*/, v216 /*v472*/, v6 /*v262*/
	s_set_vgpr_msb 64                       ;  msbs: dst=1 src0=0 src1=0 src2=0
	v_mul_i32_i24_e32 v160 /*v416*/, v71, v164
	s_set_vgpr_msb 0x55                     ;  msbs: dst=1 src0=1 src1=1 src2=1
	v_add3_u32 v146 /*v402*/, v146 /*v402*/, v166 /*v422*/, v167 /*v423*/
	s_set_vgpr_msb 20                       ;  msbs: dst=0 src0=0 src1=1 src2=1
	v_add3_u32 v40, v40, v231 /*v487*/, v232 /*v488*/
	s_set_vgpr_msb 0x45                     ;  msbs: dst=1 src0=1 src1=1 src2=0
	v_mul_i32_i24_e32 v231 /*v487*/, v217 /*v473*/, v10 /*v266*/
	v_mul_i32_i24_e32 v232 /*v488*/, v218 /*v474*/, v11 /*v267*/
	s_set_vgpr_msb 0x44                     ;  msbs: dst=1 src0=0 src1=1 src2=0
	v_pk_fma_f32 v[166:167] /*v[422:423]*/, v[102:103], v[174:175] /*v[430:431]*/, 0 op_sel_hi:[0,1,0]
	s_set_vgpr_msb 0x55                     ;  msbs: dst=1 src0=1 src1=1 src2=1
	v_add3_u32 v146 /*v402*/, v146 /*v402*/, v170 /*v426*/, v171 /*v427*/
	s_set_vgpr_msb 20                       ;  msbs: dst=0 src0=0 src1=1 src2=1
	v_add3_u32 v40, v40, v233 /*v489*/, v234 /*v490*/
	s_set_vgpr_msb 0x45                     ;  msbs: dst=1 src0=1 src1=1 src2=0
	v_mul_i32_i24_e32 v233 /*v489*/, v219 /*v475*/, v12 /*v268*/
	v_mul_i32_i24_e32 v234 /*v490*/, v14 /*v270*/, v220 /*v476*/
	s_set_vgpr_msb 64                       ;  msbs: dst=1 src0=0 src1=0 src2=0
	v_mul_i32_i24_e32 v165 /*v421*/, v92, v168
	s_set_vgpr_msb 0x55                     ;  msbs: dst=1 src0=1 src1=1 src2=1
	v_add3_u32 v146 /*v402*/, v146 /*v402*/, v178 /*v434*/, v179 /*v435*/
	s_set_vgpr_msb 20                       ;  msbs: dst=0 src0=0 src1=1 src2=1
	v_add3_u32 v40, v40, v235 /*v491*/, v236 /*v492*/
	s_set_vgpr_msb 0x45                     ;  msbs: dst=1 src0=1 src1=1 src2=0
	v_mul_i32_i24_e32 v235 /*v491*/, v13 /*v269*/, v180 /*v436*/
	v_mul_i32_i24_e32 v236 /*v492*/, v15 /*v271*/, v221 /*v477*/
	s_set_vgpr_msb 0x41                     ;  msbs: dst=1 src0=1 src1=0 src2=0
	v_mul_i32_i24_e32 v170 /*v426*/, v186 /*v442*/, v171
	s_set_vgpr_msb 0x55                     ;  msbs: dst=1 src0=1 src1=1 src2=1
	v_add3_u32 v146 /*v402*/, v146 /*v402*/, v230 /*v486*/, v231 /*v487*/
	s_set_vgpr_msb 20                       ;  msbs: dst=0 src0=0 src1=1 src2=1
	v_add3_u32 v40, v40, v237 /*v493*/, v238 /*v494*/
	s_set_vgpr_msb 0x45                     ;  msbs: dst=1 src0=1 src1=1 src2=0
	v_mul_i32_i24_e32 v237 /*v493*/, v16 /*v272*/, v222 /*v478*/
	v_mul_i32_i24_e32 v238 /*v494*/, v18 /*v274*/, v223 /*v479*/
	s_set_vgpr_msb 0x41                     ;  msbs: dst=1 src0=1 src1=0 src2=0
	v_mul_i32_i24_e32 v171 /*v427*/, v187 /*v443*/, v172
	;; [unrolled: 9-line block ×4, first 2 shown]
	s_set_vgpr_msb 0x55                     ;  msbs: dst=1 src0=1 src1=1 src2=1
	v_add3_u32 v146 /*v402*/, v146 /*v402*/, v236 /*v492*/, v237 /*v493*/
	s_set_vgpr_msb 20                       ;  msbs: dst=0 src0=0 src1=1 src2=1
	v_add3_u32 v40, v40, v243 /*v499*/, v244 /*v500*/
	s_set_vgpr_msb 0x45                     ;  msbs: dst=1 src0=1 src1=1 src2=0
	v_mul_i32_i24_e32 v243 /*v499*/, v21 /*v277*/, v182 /*v438*/
	v_mul_i32_i24_e32 v244 /*v500*/, v227 /*v483*/, v23 /*v279*/
	s_set_vgpr_msb 0x44                     ;  msbs: dst=1 src0=0 src1=1 src2=0
	v_mul_i32_i24_e32 v230 /*v486*/, v176, v190 /*v446*/
	s_set_vgpr_msb 0x55                     ;  msbs: dst=1 src0=1 src1=1 src2=1
	v_add3_u32 v146 /*v402*/, v146 /*v402*/, v238 /*v494*/, v239 /*v495*/
	s_set_vgpr_msb 20                       ;  msbs: dst=0 src0=0 src1=1 src2=1
	v_add3_u32 v40, v40, v245 /*v501*/, v246 /*v502*/
	s_set_vgpr_msb 0x44                     ;  msbs: dst=1 src0=0 src1=1 src2=0
	v_mul_i32_i24_e32 v231 /*v487*/, v175, v191 /*v447*/
	v_mul_i32_i24_e32 v232 /*v488*/, v178, v192 /*v448*/
	;; [unrolled: 1-line block ×3, first 2 shown]
	s_set_vgpr_msb 0x55                     ;  msbs: dst=1 src0=1 src1=1 src2=1
	v_add3_u32 v146 /*v402*/, v146 /*v402*/, v240 /*v496*/, v241 /*v497*/
	s_set_vgpr_msb 0                        ;  msbs: dst=0 src0=0 src1=0 src2=0
	v_mul_lo_u32 v40, v40, v218
	s_set_vgpr_msb 0x44                     ;  msbs: dst=1 src0=0 src1=1 src2=0
	v_mul_i32_i24_e32 v234 /*v490*/, v180, v194 /*v450*/
	v_mul_i32_i24_e32 v235 /*v491*/, v179, v195 /*v451*/
	;; [unrolled: 1-line block ×3, first 2 shown]
	s_set_vgpr_msb 0x55                     ;  msbs: dst=1 src0=1 src1=1 src2=1
	v_add3_u32 v146 /*v402*/, v146 /*v402*/, v242 /*v498*/, v243 /*v499*/
	s_set_vgpr_msb 0x44                     ;  msbs: dst=1 src0=0 src1=1 src2=0
	v_mul_i32_i24_e32 v237 /*v493*/, v181, v197 /*v453*/
	s_set_vgpr_msb 0x41                     ;  msbs: dst=1 src0=1 src1=0 src2=0
	v_mul_i32_i24_e32 v238 /*v494*/, v198 /*v454*/, v187
	v_mul_i32_i24_e32 v239 /*v495*/, v199 /*v455*/, v189
	v_mul_i32_i24_e32 v240 /*v496*/, v200 /*v456*/, v190
	s_set_vgpr_msb 0x55                     ;  msbs: dst=1 src0=1 src1=1 src2=1
	v_add3_u32 v146 /*v402*/, v146 /*v402*/, v244 /*v500*/, v247 /*v503*/
	s_set_vgpr_msb 0x41                     ;  msbs: dst=1 src0=1 src1=0 src2=0
	v_mul_i32_i24_e32 v241 /*v497*/, v201 /*v457*/, v192
	s_set_vgpr_msb 64                       ;  msbs: dst=1 src0=0 src1=0 src2=0
	v_cvt_f32_i32_e32 v155 /*v411*/, v40
	s_set_vgpr_msb 1                        ;  msbs: dst=0 src0=1 src1=0 src2=0
	v_mul_i32_i24_e32 v40, v145 /*v401*/, v109
	s_set_vgpr_msb 0x41                     ;  msbs: dst=1 src0=1 src1=0 src2=0
	v_mul_i32_i24_e32 v242 /*v498*/, v228 /*v484*/, v216
	s_set_vgpr_msb 0x55                     ;  msbs: dst=1 src0=1 src1=1 src2=1
	v_add3_u32 v146 /*v402*/, v146 /*v402*/, v248 /*v504*/, v157 /*v413*/
	s_set_vgpr_msb 64                       ;  msbs: dst=1 src0=0 src1=0 src2=0
	v_mul_i32_i24_e32 v157 /*v413*/, v67, v162
	s_set_vgpr_msb 0x45                     ;  msbs: dst=1 src0=1 src1=1 src2=0
	v_pk_fma_f32 v[154:155] /*v[410:411]*/, v[172:173] /*v[428:429]*/, v[154:155] /*v[410:411]*/, 0 op_sel_hi:[1,1,0]
	s_set_vgpr_msb 5                        ;  msbs: dst=0 src0=1 src1=1 src2=0
	v_add3_u32 v40, v164 /*v420*/, v163 /*v419*/, v40
	s_set_vgpr_msb 64                       ;  msbs: dst=1 src0=0 src1=0 src2=0
	v_mul_i32_i24_e32 v164 /*v420*/, v86, v167
	s_set_vgpr_msb 0x41                     ;  msbs: dst=1 src0=1 src1=0 src2=0
	v_mul_lo_u32 v146 /*v402*/, v146 /*v402*/, v157
	v_mul_i32_i24_e32 v243 /*v499*/, v229 /*v485*/, v217
	s_set_vgpr_msb 0                        ;  msbs: dst=0 src0=0 src1=0 src2=0
	v_mul_lo_u32 v40, v40, v157
	s_set_vgpr_msb 0x41                     ;  msbs: dst=1 src0=1 src1=0 src2=0
	s_delay_alu instid0(VALU_DEP_3) | instskip(SKIP_2) | instid1(VALU_DEP_3)
	v_cvt_f32_i32_e32 v163 /*v419*/, v146 /*v402*/
	s_set_vgpr_msb 64                       ;  msbs: dst=1 src0=0 src1=0 src2=0
	v_mul_i32_i24_e32 v146 /*v402*/, v54, v124
	v_cvt_f32_i32_e32 v162 /*v418*/, v40
	s_set_vgpr_msb 0                        ;  msbs: dst=0 src0=0 src1=0 src2=0
	v_mul_i32_i24_e32 v40, v52, v122
	s_set_vgpr_msb 0x55                     ;  msbs: dst=1 src0=1 src1=1 src2=1
	s_delay_alu instid0(VALU_DEP_2)
	v_pk_fma_f32 v[154:155] /*v[410:411]*/, v[176:177] /*v[432:433]*/, v[162:163] /*v[418:419]*/, v[154:155] /*v[410:411]*/
	s_set_vgpr_msb 0x54                     ;  msbs: dst=1 src0=0 src1=1 src2=1
	v_pk_fma_f32 v[162:163] /*v[418:419]*/, v[104:105], v[168:169] /*v[424:425]*/, v[166:167] /*v[422:423]*/ op_sel_hi:[0,1,1]
	s_set_vgpr_msb 0                        ;  msbs: dst=0 src0=0 src1=0 src2=0
	v_mad_i32_i24 v40, v53, v120, v40
	s_set_vgpr_msb 0x51                     ;  msbs: dst=1 src0=1 src1=0 src2=1
	v_mul_i32_i24_e32 v166 /*v422*/, v184 /*v440*/, v169
	v_mul_i32_i24_e32 v167 /*v423*/, v185 /*v441*/, v170
	v_pk_mul_f32 v[162:163] /*v[418:419]*/, v[162:163] /*v[418:419]*/, v[10:11]
	s_delay_alu instid0(VALU_DEP_1)
	v_pk_fma_f32 v[154:155] /*v[410:411]*/, v[154:155] /*v[410:411]*/, v[2:3], v[162:163] /*v[418:419]*/ neg_lo:[0,0,1] neg_hi:[0,0,1]
	s_set_vgpr_msb 64                       ;  msbs: dst=1 src0=0 src1=0 src2=0
	v_mul_i32_i24_e32 v162 /*v418*/, v82, v165
	v_mul_i32_i24_e32 v163 /*v419*/, v84, v166
	s_set_vgpr_msb 4                        ;  msbs: dst=0 src0=0 src1=1 src2=0
	v_pk_add_f32 v[28:29], v[28:29], v[154:155] /*v[410:411]*/
	s_set_vgpr_msb 64                       ;  msbs: dst=1 src0=0 src1=0 src2=0
	v_mul_i32_i24_e32 v154 /*v410*/, v55, v158
	v_mul_i32_i24_e32 v155 /*v411*/, v61, v161
	s_set_vgpr_msb 20                       ;  msbs: dst=0 src0=0 src1=1 src2=1
	s_delay_alu instid0(VALU_DEP_2) | instskip(SKIP_4) | instid1(VALU_DEP_1)
	v_add3_u32 v40, v40, v146 /*v402*/, v154 /*v410*/
	s_set_vgpr_msb 64                       ;  msbs: dst=1 src0=0 src1=0 src2=0
	v_mul_i32_i24_e32 v146 /*v402*/, v56, v159
	v_mul_i32_i24_e32 v154 /*v410*/, v58, v160
	s_set_vgpr_msb 20                       ;  msbs: dst=0 src0=0 src1=1 src2=1
	v_add3_u32 v40, v40, v146 /*v402*/, v154 /*v410*/
	s_set_vgpr_msb 0x41                     ;  msbs: dst=1 src0=1 src1=0 src2=0
	v_mul_i32_i24_e32 v146 /*v402*/, v202 /*v458*/, v185
	v_mul_i32_i24_e32 v154 /*v410*/, v204 /*v460*/, v182
	s_set_vgpr_msb 20                       ;  msbs: dst=0 src0=0 src1=1 src2=1
	v_add3_u32 v40, v40, v155 /*v411*/, v157 /*v413*/
	s_set_vgpr_msb 0x51                     ;  msbs: dst=1 src0=1 src1=0 src2=1
	v_mul_i32_i24_e32 v155 /*v411*/, v205 /*v461*/, v188
	v_mad_i32_i24 v146 /*v402*/, v203 /*v459*/, v184, v146 /*v402*/
	v_mul_i32_i24_e32 v157 /*v413*/, v208 /*v464*/, v186
	s_set_vgpr_msb 20                       ;  msbs: dst=0 src0=0 src1=1 src2=1
	v_add3_u32 v40, v40, v159 /*v415*/, v160 /*v416*/
	s_set_vgpr_msb 0x41                     ;  msbs: dst=1 src0=1 src1=0 src2=0
	v_mul_i32_i24_e32 v159 /*v415*/, v209 /*v465*/, v195
	s_set_vgpr_msb 0x55                     ;  msbs: dst=1 src0=1 src1=1 src2=1
	v_add3_u32 v146 /*v402*/, v146 /*v402*/, v154 /*v410*/, v155 /*v411*/
	s_set_vgpr_msb 0x41                     ;  msbs: dst=1 src0=1 src1=0 src2=0
	v_mul_i32_i24_e32 v154 /*v410*/, v206 /*v462*/, v191
	v_mul_i32_i24_e32 v155 /*v411*/, v207 /*v463*/, v193
	s_set_vgpr_msb 20                       ;  msbs: dst=0 src0=0 src1=1 src2=1
	v_add3_u32 v40, v40, v162 /*v418*/, v163 /*v419*/
	s_set_vgpr_msb 0x41                     ;  msbs: dst=1 src0=1 src1=0 src2=0
	v_mul_i32_i24_e32 v160 /*v416*/, v210 /*v466*/, v196
	v_mul_i32_i24_e32 v162 /*v418*/, v211 /*v467*/, v197
	;; [unrolled: 1-line block ×3, first 2 shown]
	s_set_vgpr_msb 0x55                     ;  msbs: dst=1 src0=1 src1=1 src2=1
	v_add3_u32 v146 /*v402*/, v146 /*v402*/, v154 /*v410*/, v155 /*v411*/
	s_set_vgpr_msb 20                       ;  msbs: dst=0 src0=0 src1=1 src2=1
	v_add3_u32 v40, v40, v164 /*v420*/, v165 /*v421*/
	s_set_vgpr_msb 0x41                     ;  msbs: dst=1 src0=1 src1=0 src2=0
	v_mul_i32_i24_e32 v164 /*v420*/, v213 /*v469*/, v199
	v_mul_i32_i24_e32 v165 /*v421*/, v214 /*v470*/, v200
	s_set_vgpr_msb 0x44                     ;  msbs: dst=1 src0=0 src1=1 src2=0
	v_pk_fma_f32 v[154:155] /*v[410:411]*/, v[94:95], v[174:175] /*v[430:431]*/, 0 op_sel_hi:[0,1,0]
	s_set_vgpr_msb 0x55                     ;  msbs: dst=1 src0=1 src1=1 src2=1
	v_add3_u32 v146 /*v402*/, v146 /*v402*/, v157 /*v413*/, v159 /*v415*/
	s_set_vgpr_msb 20                       ;  msbs: dst=0 src0=0 src1=1 src2=1
	v_add3_u32 v40, v40, v166 /*v422*/, v167 /*v423*/
	s_set_vgpr_msb 0x41                     ;  msbs: dst=1 src0=1 src1=0 src2=0
	v_mul_i32_i24_e32 v166 /*v422*/, v215 /*v471*/, v201
	v_mul_i32_i24_e32 v167 /*v423*/, v216 /*v472*/, v198
	s_set_vgpr_msb 0x54                     ;  msbs: dst=1 src0=0 src1=1 src2=1
	v_pk_fma_f32 v[154:155] /*v[410:411]*/, v[96:97], v[168:169] /*v[424:425]*/, v[154:155] /*v[410:411]*/ op_sel_hi:[0,1,1]
	s_set_vgpr_msb 0x55                     ;  msbs: dst=1 src0=1 src1=1 src2=1
	v_add3_u32 v146 /*v402*/, v146 /*v402*/, v160 /*v416*/, v162 /*v418*/
	s_set_vgpr_msb 20                       ;  msbs: dst=0 src0=0 src1=1 src2=1
	v_add3_u32 v40, v40, v170 /*v426*/, v171 /*v427*/
	s_set_vgpr_msb 0x41                     ;  msbs: dst=1 src0=1 src1=0 src2=0
	v_mul_i32_i24_e32 v170 /*v426*/, v217 /*v473*/, v202
	v_mul_i32_i24_e32 v171 /*v427*/, v218 /*v474*/, v203
	v_pk_mul_f32 v[154:155] /*v[410:411]*/, v[154:155] /*v[410:411]*/, v[12:13]
	s_set_vgpr_msb 0x55                     ;  msbs: dst=1 src0=1 src1=1 src2=1
	v_add3_u32 v146 /*v402*/, v146 /*v402*/, v163 /*v419*/, v164 /*v420*/
	s_set_vgpr_msb 20                       ;  msbs: dst=0 src0=0 src1=1 src2=1
	v_add3_u32 v40, v40, v178 /*v434*/, v179 /*v435*/
	s_set_vgpr_msb 0x41                     ;  msbs: dst=1 src0=1 src1=0 src2=0
	v_mul_i32_i24_e32 v178 /*v434*/, v219 /*v475*/, v204
	s_set_vgpr_msb 0x44                     ;  msbs: dst=1 src0=0 src1=1 src2=0
	v_mul_i32_i24_e32 v179 /*v435*/, v206, v220 /*v476*/
	s_set_vgpr_msb 0x55                     ;  msbs: dst=1 src0=1 src1=1 src2=1
	v_mul_i32_i24_e32 v157 /*v413*/, v54 /*v310*/, v194 /*v450*/
	v_add3_u32 v146 /*v402*/, v146 /*v402*/, v165 /*v421*/, v166 /*v422*/
	s_set_vgpr_msb 20                       ;  msbs: dst=0 src0=0 src1=1 src2=1
	v_add3_u32 v40, v40, v230 /*v486*/, v231 /*v487*/
	s_set_vgpr_msb 0x44                     ;  msbs: dst=1 src0=0 src1=1 src2=0
	v_mul_i32_i24_e32 v230 /*v486*/, v205, v180 /*v436*/
	v_mul_i32_i24_e32 v231 /*v487*/, v207, v221 /*v477*/
	s_set_vgpr_msb 0x55                     ;  msbs: dst=1 src0=1 src1=1 src2=1
	v_mul_i32_i24_e32 v160 /*v416*/, v55 /*v311*/, v197 /*v453*/
	v_add3_u32 v146 /*v402*/, v146 /*v402*/, v167 /*v423*/, v170 /*v426*/
	s_set_vgpr_msb 20                       ;  msbs: dst=0 src0=0 src1=1 src2=1
	v_add3_u32 v40, v40, v232 /*v488*/, v233 /*v489*/
	s_set_vgpr_msb 0x44                     ;  msbs: dst=1 src0=0 src1=1 src2=0
	v_mul_i32_i24_e32 v232 /*v488*/, v208, v222 /*v478*/
	;; [unrolled: 8-line block ×5, first 2 shown]
	s_set_vgpr_msb 0x41                     ;  msbs: dst=1 src0=1 src1=0 src2=0
	v_mul_i32_i24_e32 v239 /*v495*/, v227 /*v483*/, v215
	s_set_vgpr_msb 0x55                     ;  msbs: dst=1 src0=1 src1=1 src2=1
	v_mul_i32_i24_e32 v165 /*v421*/, v228 /*v484*/, v90 /*v346*/
	v_add3_u32 v146 /*v402*/, v146 /*v402*/, v233 /*v489*/, v234 /*v490*/
	s_set_vgpr_msb 20                       ;  msbs: dst=0 src0=0 src1=1 src2=1
	v_add3_u32 v40, v40, v240 /*v496*/, v241 /*v497*/
	s_set_vgpr_msb 0x55                     ;  msbs: dst=1 src0=1 src1=1 src2=1
	v_mul_i32_i24_e32 v166 /*v422*/, v229 /*v485*/, v91 /*v347*/
	v_add3_u32 v146 /*v402*/, v146 /*v402*/, v235 /*v491*/, v236 /*v492*/
	s_set_vgpr_msb 0                        ;  msbs: dst=0 src0=0 src1=0 src2=0
	v_mul_lo_u32 v40, v40, v107
	s_set_vgpr_msb 0x55                     ;  msbs: dst=1 src0=1 src1=1 src2=1
	s_delay_alu instid0(VALU_DEP_2) | instskip(NEXT) | instid1(VALU_DEP_1)
	v_add3_u32 v146 /*v402*/, v146 /*v402*/, v237 /*v493*/, v238 /*v494*/
	v_add3_u32 v146 /*v402*/, v146 /*v402*/, v239 /*v495*/, v242 /*v498*/
	s_set_vgpr_msb 64                       ;  msbs: dst=1 src0=0 src1=0 src2=0
	s_delay_alu instid0(VALU_DEP_3)
	v_cvt_f32_i32_e32 v151 /*v407*/, v40
	s_set_vgpr_msb 1                        ;  msbs: dst=0 src0=1 src1=0 src2=0
	v_mul_i32_i24_e32 v40, v145 /*v401*/, v97
	s_set_vgpr_msb 0x55                     ;  msbs: dst=1 src0=1 src1=1 src2=1
	v_add3_u32 v146 /*v402*/, v146 /*v402*/, v243 /*v499*/, v152 /*v408*/
	v_mul_i32_i24_e32 v152 /*v408*/, v49 /*v305*/, v191 /*v447*/
	v_pk_fma_f32 v[150:151] /*v[406:407]*/, v[172:173] /*v[428:429]*/, v[150:151] /*v[406:407]*/, 0 op_sel_hi:[1,1,0]
	s_set_vgpr_msb 5                        ;  msbs: dst=0 src0=1 src1=1 src2=0
	v_add3_u32 v40, v161 /*v417*/, v158 /*v414*/, v40
	s_set_vgpr_msb 0x45                     ;  msbs: dst=1 src0=1 src1=1 src2=0
	v_mul_i32_i24_e32 v161 /*v417*/, v198 /*v454*/, v61 /*v317*/
	s_set_vgpr_msb 0x41                     ;  msbs: dst=1 src0=1 src1=0 src2=0
	v_mul_lo_u32 v146 /*v402*/, v146 /*v402*/, v99
	s_set_vgpr_msb 0                        ;  msbs: dst=0 src0=0 src1=0 src2=0
	v_mul_lo_u32 v40, v40, v99
	s_set_vgpr_msb 0x45                     ;  msbs: dst=1 src0=1 src1=1 src2=0
	s_delay_alu instid0(VALU_DEP_2) | instskip(SKIP_2) | instid1(VALU_DEP_3)
	v_cvt_f32_i32_e32 v159 /*v415*/, v146 /*v402*/
	v_mul_i32_i24_e32 v146 /*v402*/, v188 /*v444*/, v47 /*v303*/
	s_set_vgpr_msb 64                       ;  msbs: dst=1 src0=0 src1=0 src2=0
	v_cvt_f32_i32_e32 v158 /*v414*/, v40
	s_set_vgpr_msb 4                        ;  msbs: dst=0 src0=0 src1=1 src2=0
	v_mul_i32_i24_e32 v40, v52, v30 /*v286*/
	v_mul_i32_i24_e32 v52, v54, v31 /*v287*/
	;; [unrolled: 1-line block ×5, first 2 shown]
	v_mad_i32_i24 v40, v53, v29 /*v285*/, v40
	v_mul_i32_i24_e32 v53, v58, v34 /*v290*/
	v_mul_i32_i24_e32 v58, v71, v38 /*v294*/
	;; [unrolled: 1-line block ×3, first 2 shown]
	s_set_vgpr_msb 0x55                     ;  msbs: dst=1 src0=1 src1=1 src2=1
	v_pk_fma_f32 v[150:151] /*v[406:407]*/, v[176:177] /*v[432:433]*/, v[158:159] /*v[414:415]*/, v[150:151] /*v[406:407]*/
	s_set_vgpr_msb 0                        ;  msbs: dst=0 src0=0 src1=0 src2=0
	v_add3_u32 v40, v40, v52, v54
	s_set_vgpr_msb 4                        ;  msbs: dst=0 src0=0 src1=1 src2=0
	v_mul_i32_i24_e32 v52, v56, v33 /*v289*/
	v_mul_i32_i24_e32 v54, v61, v35 /*v291*/
	;; [unrolled: 1-line block ×5, first 2 shown]
	s_set_vgpr_msb 0                        ;  msbs: dst=0 src0=0 src1=0 src2=0
	v_add3_u32 v40, v40, v52, v53
	s_set_vgpr_msb 5                        ;  msbs: dst=0 src0=1 src1=1 src2=0
	v_mul_i32_i24_e32 v52, v202 /*v458*/, v59 /*v315*/
	v_mul_i32_i24_e32 v53, v204 /*v460*/, v56 /*v312*/
	;; [unrolled: 1-line block ×4, first 2 shown]
	s_set_vgpr_msb 0                        ;  msbs: dst=0 src0=0 src1=0 src2=0
	v_add3_u32 v40, v40, v54, v55
	s_set_vgpr_msb 5                        ;  msbs: dst=0 src0=1 src1=1 src2=0
	v_mul_i32_i24_e32 v54, v205 /*v461*/, v62 /*v318*/
	v_mad_i32_i24 v52, v203 /*v459*/, v58 /*v314*/, v52
	v_mul_i32_i24_e32 v55, v208 /*v464*/, v60 /*v316*/
	s_set_vgpr_msb 0x51                     ;  msbs: dst=1 src0=1 src1=0 src2=1
	v_pk_fma_f32 v[150:151] /*v[406:407]*/, v[150:151] /*v[406:407]*/, v[4:5], v[154:155] /*v[410:411]*/ neg_lo:[0,0,1] neg_hi:[0,0,1]
	s_set_vgpr_msb 0                        ;  msbs: dst=0 src0=0 src1=0 src2=0
	v_add3_u32 v40, v40, v56, v58
	s_set_vgpr_msb 5                        ;  msbs: dst=0 src0=1 src1=1 src2=0
	v_mul_i32_i24_e32 v56, v209 /*v465*/, v69 /*v325*/
	s_set_vgpr_msb 0                        ;  msbs: dst=0 src0=0 src1=0 src2=0
	v_add3_u32 v52, v52, v53, v54
	s_set_vgpr_msb 5                        ;  msbs: dst=0 src0=1 src1=1 src2=0
	v_mul_i32_i24_e32 v53, v206 /*v462*/, v65 /*v321*/
	v_mul_i32_i24_e32 v54, v207 /*v463*/, v67 /*v323*/
	s_set_vgpr_msb 0                        ;  msbs: dst=0 src0=0 src1=0 src2=0
	v_add3_u32 v40, v40, v61, v67
	s_set_vgpr_msb 5                        ;  msbs: dst=0 src0=1 src1=1 src2=0
	v_mul_i32_i24_e32 v86, v186 /*v442*/, v45 /*v301*/
	v_mul_i32_i24_e32 v92, v187 /*v443*/, v46 /*v302*/
	;; [unrolled: 1-line block ×3, first 2 shown]
	s_set_vgpr_msb 0                        ;  msbs: dst=0 src0=0 src1=0 src2=0
	v_add3_u32 v52, v52, v53, v54
	v_add3_u32 v40, v40, v69, v71
	s_set_vgpr_msb 5                        ;  msbs: dst=0 src0=1 src1=1 src2=0
	v_mul_i32_i24_e32 v61, v211 /*v467*/, v71 /*v327*/
	s_set_vgpr_msb 4                        ;  msbs: dst=0 src0=0 src1=1 src2=0
	v_pk_add_f32 v[26:27], v[26:27], v[150:151] /*v[406:407]*/
	s_set_vgpr_msb 0x45                     ;  msbs: dst=1 src0=1 src1=1 src2=0
	v_mul_i32_i24_e32 v150 /*v406*/, v189 /*v445*/, v48 /*v304*/
	s_set_vgpr_msb 0                        ;  msbs: dst=0 src0=0 src1=0 src2=0
	v_add3_u32 v52, v52, v55, v56
	v_add3_u32 v40, v40, v82, v84
	s_set_vgpr_msb 5                        ;  msbs: dst=0 src0=1 src1=1 src2=0
	v_mul_i32_i24_e32 v67, v212 /*v468*/, v68 /*v324*/
	v_mul_i32_i24_e32 v69, v213 /*v469*/, v73 /*v329*/
	s_set_vgpr_msb 0x45                     ;  msbs: dst=1 src0=1 src1=1 src2=0
	v_mul_i32_i24_e32 v151 /*v407*/, v50 /*v306*/, v190 /*v446*/
	s_set_vgpr_msb 0                        ;  msbs: dst=0 src0=0 src1=0 src2=0
	v_add3_u32 v52, v52, v58, v61
	v_add3_u32 v40, v40, v86, v92
	s_set_vgpr_msb 5                        ;  msbs: dst=0 src0=1 src1=1 src2=0
	v_mul_i32_i24_e32 v71, v214 /*v470*/, v74 /*v330*/
	v_mul_i32_i24_e32 v82, v215 /*v471*/, v75 /*v331*/
	s_set_vgpr_msb 0x45                     ;  msbs: dst=1 src0=1 src1=1 src2=0
	v_mul_i32_i24_e32 v154 /*v410*/, v52 /*v308*/, v192 /*v448*/
	s_set_vgpr_msb 0                        ;  msbs: dst=0 src0=0 src1=0 src2=0
	v_add3_u32 v52, v52, v67, v69
	s_set_vgpr_msb 20                       ;  msbs: dst=0 src0=0 src1=1 src2=1
	v_add3_u32 v40, v40, v146 /*v402*/, v150 /*v406*/
	s_set_vgpr_msb 0x45                     ;  msbs: dst=1 src0=1 src1=1 src2=0
	v_mul_i32_i24_e32 v155 /*v411*/, v51 /*v307*/, v193 /*v449*/
	s_set_vgpr_msb 5                        ;  msbs: dst=0 src0=1 src1=1 src2=0
	v_mul_i32_i24_e32 v84, v216 /*v472*/, v72 /*v328*/
	v_mul_i32_i24_e32 v86, v217 /*v473*/, v76 /*v332*/
	s_set_vgpr_msb 0                        ;  msbs: dst=0 src0=0 src1=0 src2=0
	v_add3_u32 v52, v52, v71, v82
	s_set_vgpr_msb 20                       ;  msbs: dst=0 src0=0 src1=1 src2=1
	v_add3_u32 v40, v40, v151 /*v407*/, v152 /*v408*/
	s_set_vgpr_msb 0x45                     ;  msbs: dst=1 src0=1 src1=1 src2=0
	v_mul_i32_i24_e32 v158 /*v414*/, v53 /*v309*/, v195 /*v451*/
	s_set_vgpr_msb 5                        ;  msbs: dst=0 src0=1 src1=1 src2=0
	v_mul_i32_i24_e32 v92, v218 /*v474*/, v77 /*v333*/
	s_set_vgpr_msb 0x45                     ;  msbs: dst=1 src0=1 src1=1 src2=0
	v_mul_i32_i24_e32 v146 /*v402*/, v219 /*v475*/, v78 /*v334*/
	s_set_vgpr_msb 0                        ;  msbs: dst=0 src0=0 src1=0 src2=0
	v_add3_u32 v52, v52, v84, v86
	s_set_vgpr_msb 20                       ;  msbs: dst=0 src0=0 src1=1 src2=1
	v_add3_u32 v40, v40, v154 /*v410*/, v155 /*v411*/
	s_set_vgpr_msb 0x45                     ;  msbs: dst=1 src0=1 src1=1 src2=0
	v_mul_i32_i24_e32 v159 /*v415*/, v57 /*v313*/, v196 /*v452*/
	v_mul_i32_i24_e32 v150 /*v406*/, v80 /*v336*/, v220 /*v476*/
	;; [unrolled: 1-line block ×3, first 2 shown]
	s_set_vgpr_msb 16                       ;  msbs: dst=0 src0=0 src1=0 src2=1
	v_add3_u32 v52, v52, v92, v146 /*v402*/
	s_set_vgpr_msb 20                       ;  msbs: dst=0 src0=0 src1=1 src2=1
	v_add3_u32 v40, v40, v157 /*v413*/, v158 /*v414*/
	s_set_vgpr_msb 0x45                     ;  msbs: dst=1 src0=1 src1=1 src2=0
	v_mul_i32_i24_e32 v152 /*v408*/, v81 /*v337*/, v221 /*v477*/
	v_mul_i32_i24_e32 v154 /*v410*/, v82 /*v338*/, v222 /*v478*/
	;; [unrolled: 1-line block ×3, first 2 shown]
	s_set_vgpr_msb 20                       ;  msbs: dst=0 src0=0 src1=1 src2=1
	v_add3_u32 v52, v52, v150 /*v406*/, v151 /*v407*/
	v_add3_u32 v40, v40, v159 /*v415*/, v160 /*v416*/
	s_set_vgpr_msb 0x45                     ;  msbs: dst=1 src0=1 src1=1 src2=0
	v_mul_i32_i24_e32 v157 /*v413*/, v83 /*v339*/, v181 /*v437*/
	s_set_vgpr_msb 21                       ;  msbs: dst=0 src0=1 src1=1 src2=1
	v_add3_u32 v53, v149 /*v405*/, v147 /*v403*/, v148 /*v404*/
	s_set_vgpr_msb 0x45                     ;  msbs: dst=1 src0=1 src1=1 src2=0
	v_mul_i32_i24_e32 v158 /*v414*/, v85 /*v341*/, v224 /*v480*/
	s_set_vgpr_msb 20                       ;  msbs: dst=0 src0=0 src1=1 src2=1
	v_add3_u32 v52, v52, v152 /*v408*/, v154 /*v410*/
	v_add3_u32 v40, v40, v161 /*v417*/, v162 /*v418*/
	s_set_vgpr_msb 0x45                     ;  msbs: dst=1 src0=1 src1=1 src2=0
	v_mul_i32_i24_e32 v159 /*v415*/, v86 /*v342*/, v225 /*v481*/
	s_set_vgpr_msb 4                        ;  msbs: dst=0 src0=0 src1=1 src2=0
	v_mul_lo_u32 v53, v53, v28 /*v284*/
	s_set_vgpr_msb 0x45                     ;  msbs: dst=1 src0=1 src1=1 src2=0
	v_mul_i32_i24_e32 v160 /*v416*/, v88 /*v344*/, v226 /*v482*/
	s_set_vgpr_msb 20                       ;  msbs: dst=0 src0=0 src1=1 src2=1
	v_add3_u32 v52, v52, v155 /*v411*/, v157 /*v413*/
	v_add3_u32 v40, v40, v163 /*v419*/, v164 /*v420*/
	s_set_vgpr_msb 0x45                     ;  msbs: dst=1 src0=1 src1=1 src2=0
	v_mul_i32_i24_e32 v161 /*v417*/, v87 /*v343*/, v182 /*v438*/
	v_mul_i32_i24_e32 v162 /*v418*/, v227 /*v483*/, v89 /*v345*/
	s_set_vgpr_msb 0x44                     ;  msbs: dst=1 src0=0 src1=1 src2=0
	v_pk_fma_f32 v[148:149] /*v[404:405]*/, v[108:109], v[174:175] /*v[430:431]*/, 0 op_sel_hi:[0,1,0]
	s_set_vgpr_msb 20                       ;  msbs: dst=0 src0=0 src1=1 src2=1
	v_add3_u32 v52, v52, v158 /*v414*/, v159 /*v415*/
	v_mul_lo_u32 v40, v40, v28 /*v284*/
	s_set_vgpr_msb 64                       ;  msbs: dst=1 src0=0 src1=0 src2=0
	v_cvt_f32_i32_e32 v146 /*v402*/, v53
	s_set_vgpr_msb 20                       ;  msbs: dst=0 src0=0 src1=1 src2=1
	v_add3_u32 v52, v52, v160 /*v416*/, v161 /*v417*/
	s_set_vgpr_msb 5                        ;  msbs: dst=0 src0=1 src1=1 src2=0
	v_mul_i32_i24_e32 v53, v183 /*v439*/, v26 /*v282*/
	s_set_vgpr_msb 0x54                     ;  msbs: dst=1 src0=0 src1=1 src2=1
	v_pk_fma_f32 v[148:149] /*v[404:405]*/, v[106:107], v[168:169] /*v[424:425]*/, v[148:149] /*v[404:405]*/ op_sel_hi:[0,1,1]
	s_set_vgpr_msb 20                       ;  msbs: dst=0 src0=0 src1=1 src2=1
	v_add3_u32 v52, v52, v162 /*v418*/, v165 /*v421*/
	s_set_vgpr_msb 64                       ;  msbs: dst=1 src0=0 src1=0 src2=0
	v_cvt_f32_i32_e32 v147 /*v403*/, v40
	s_set_vgpr_msb 5                        ;  msbs: dst=0 src0=1 src1=1 src2=0
	v_mul_i32_i24_e32 v40, v145 /*v401*/, v26 /*v282*/
	s_set_vgpr_msb 0x41                     ;  msbs: dst=1 src0=1 src1=0 src2=0
	v_pk_mul_f32 v[148:149] /*v[404:405]*/, v[148:149] /*v[404:405]*/, v[14:15]
	s_set_vgpr_msb 4                        ;  msbs: dst=0 src0=0 src1=1 src2=0
	v_add3_u32 v52, v52, v166 /*v422*/, v53
	s_set_vgpr_msb 0x45                     ;  msbs: dst=1 src0=1 src1=1 src2=0
	v_pk_fma_f32 v[146:147] /*v[402:403]*/, v[172:173] /*v[428:429]*/, v[146:147] /*v[402:403]*/, 0 op_sel_hi:[1,1,0]
	s_set_vgpr_msb 5                        ;  msbs: dst=0 src0=1 src1=1 src2=0
	v_add3_u32 v40, v156 /*v412*/, v153 /*v409*/, v40
	s_set_vgpr_msb 4                        ;  msbs: dst=0 src0=0 src1=1 src2=0
	v_mul_lo_u32 v52, v52, v27 /*v283*/
	s_delay_alu instid0(VALU_DEP_2) | instskip(SKIP_1) | instid1(VALU_DEP_2)
	v_mul_lo_u32 v40, v40, v27 /*v283*/
	s_set_vgpr_msb 64                       ;  msbs: dst=1 src0=0 src1=0 src2=0
	v_cvt_f32_i32_e32 v151 /*v407*/, v52
	s_delay_alu instid0(VALU_DEP_2) | instskip(SKIP_3) | instid1(VALU_DEP_2)
	v_cvt_f32_i32_e32 v150 /*v406*/, v40
	s_set_vgpr_msb 0                        ;  msbs: dst=0 src0=0 src1=0 src2=0
	v_or_b32_e32 v40, s13, v143
	s_set_vgpr_msb 0x55                     ;  msbs: dst=1 src0=1 src1=1 src2=1
	v_pk_fma_f32 v[146:147] /*v[402:403]*/, v[176:177] /*v[432:433]*/, v[150:151] /*v[406:407]*/, v[146:147] /*v[402:403]*/
	s_set_vgpr_msb 0                        ;  msbs: dst=0 src0=0 src1=0 src2=0
	s_delay_alu instid0(VALU_DEP_2) | instskip(SKIP_4) | instid1(VALU_DEP_1)
	v_lshlrev_b32_e32 v52, 2, v40
	s_set_vgpr_msb 0x51                     ;  msbs: dst=1 src0=1 src1=0 src2=1
	v_lshrrev_b32_e32 v167 /*v423*/, 1, v40
	v_pk_fma_f32 v[146:147] /*v[402:403]*/, v[146:147] /*v[402:403]*/, v[6:7], v[148:149] /*v[404:405]*/ neg_lo:[0,0,1] neg_hi:[0,0,1]
	s_set_vgpr_msb 4                        ;  msbs: dst=0 src0=0 src1=1 src2=0
	v_pk_add_f32 v[24:25], v[24:25], v[146:147] /*v[402:403]*/
	s_set_vgpr_msb 64                       ;  msbs: dst=1 src0=0 src1=0 src2=0
	ds_load_b128 v[146:149] /*v[402:405]*/, v52 offset:16896
	ds_load_b128 v[150:153] /*v[406:409]*/, v52 offset:16912
	;; [unrolled: 1-line block ×4, first 2 shown]
	s_wait_dscnt 0x3
	s_set_vgpr_msb 1                        ;  msbs: dst=0 src0=1 src1=0 src2=0
	v_bfe_i32 v40, v146 /*v402*/, 0, 8
	v_bfe_i32 v52, v146 /*v402*/, 8, 8
	;; [unrolled: 1-line block ×3, first 2 shown]
	s_set_vgpr_msb 4                        ;  msbs: dst=0 src0=0 src1=1 src2=0
	v_ashrrev_i32_e32 v54, 24, v146 /*v402*/
	s_wait_dscnt 0x2
	s_set_vgpr_msb 0x44                     ;  msbs: dst=1 src0=0 src1=1 src2=0
	v_dual_ashrrev_i32 v146 /*v402*/, 24, v149 /*v405*/ :: v_dual_ashrrev_i32 v170 /*v426*/, 24, v151 /*v407*/
	s_set_vgpr_msb 0x41                     ;  msbs: dst=1 src0=1 src1=0 src2=0
	v_bfe_i32 v166 /*v422*/, v151 /*v407*/, 0, 8
	v_bfe_i32 v168 /*v424*/, v151 /*v407*/, 8, 8
	;; [unrolled: 1-line block ×3, first 2 shown]
	s_set_vgpr_msb 64                       ;  msbs: dst=1 src0=0 src1=0 src2=0
	v_mul_i32_i24_e32 v151 /*v407*/, v40, v119
	s_set_vgpr_msb 1                        ;  msbs: dst=0 src0=1 src1=0 src2=0
	v_bfe_i32 v55, v147 /*v403*/, 0, 8
	v_bfe_i32 v56, v147 /*v403*/, 8, 8
	s_set_vgpr_msb 0x41                     ;  msbs: dst=1 src0=1 src1=0 src2=0
	v_bfe_i32 v171 /*v427*/, v152 /*v408*/, 0, 8
	v_bfe_i32 v172 /*v428*/, v152 /*v408*/, 8, 8
	;; [unrolled: 1-line block ×3, first 2 shown]
	s_set_vgpr_msb 0x44                     ;  msbs: dst=1 src0=0 src1=1 src2=0
	v_dual_ashrrev_i32 v174 /*v430*/, 24, v152 /*v408*/ :: v_dual_ashrrev_i32 v178 /*v434*/, 24, v153 /*v409*/
	s_set_vgpr_msb 0x41                     ;  msbs: dst=1 src0=1 src1=0 src2=0
	v_bfe_i32 v175 /*v431*/, v153 /*v409*/, 0, 8
	v_bfe_i32 v176 /*v432*/, v153 /*v409*/, 8, 8
	;; [unrolled: 1-line block ×3, first 2 shown]
	s_set_vgpr_msb 0x44                     ;  msbs: dst=1 src0=0 src1=1 src2=0
	v_mul_i32_i24_e32 v152 /*v408*/, v53, v92 /*v348*/
	v_mul_i32_i24_e32 v153 /*v409*/, v54, v93 /*v349*/
	s_set_vgpr_msb 0x50                     ;  msbs: dst=1 src0=0 src1=0 src2=1
	v_mad_i32_i24 v151 /*v407*/, v52, v118, v151 /*v407*/
	s_set_vgpr_msb 1                        ;  msbs: dst=0 src0=1 src1=0 src2=0
	v_bfe_i32 v58, v147 /*v403*/, 16, 8
	s_set_vgpr_msb 4                        ;  msbs: dst=0 src0=0 src1=1 src2=0
	v_dual_ashrrev_i32 v61, 24, v147 /*v403*/ :: v_dual_ashrrev_i32 v82, 24, v148 /*v404*/
	s_set_vgpr_msb 1                        ;  msbs: dst=0 src0=1 src1=0 src2=0
	v_bfe_i32 v67, v148 /*v404*/, 0, 8
	s_set_vgpr_msb 0x55                     ;  msbs: dst=1 src0=1 src1=1 src2=1
	v_add3_u32 v151 /*v407*/, v151 /*v407*/, v152 /*v408*/, v153 /*v409*/
	s_set_vgpr_msb 0x44                     ;  msbs: dst=1 src0=0 src1=1 src2=0
	v_mul_i32_i24_e32 v152 /*v408*/, v55, v94 /*v350*/
	v_mul_i32_i24_e32 v153 /*v409*/, v56, v95 /*v351*/
	s_set_vgpr_msb 1                        ;  msbs: dst=0 src0=1 src1=0 src2=0
	v_bfe_i32 v69, v148 /*v404*/, 8, 8
	s_wait_dscnt 0x1
	s_set_vgpr_msb 0x41                     ;  msbs: dst=1 src0=1 src1=0 src2=0
	v_bfe_i32 v179 /*v435*/, v154 /*v410*/, 0, 8
	v_bfe_i32 v180 /*v436*/, v154 /*v410*/, 8, 8
	;; [unrolled: 1-line block ×3, first 2 shown]
	s_set_vgpr_msb 0x44                     ;  msbs: dst=1 src0=0 src1=1 src2=0
	v_dual_ashrrev_i32 v182 /*v438*/, 24, v154 /*v410*/ :: v_dual_ashrrev_i32 v186 /*v442*/, 24, v155 /*v411*/
	s_set_vgpr_msb 0x41                     ;  msbs: dst=1 src0=1 src1=0 src2=0
	v_bfe_i32 v183 /*v439*/, v155 /*v411*/, 0, 8
	v_bfe_i32 v184 /*v440*/, v155 /*v411*/, 8, 8
	;; [unrolled: 1-line block ×3, first 2 shown]
	s_set_vgpr_msb 0x44                     ;  msbs: dst=1 src0=0 src1=1 src2=0
	v_mul_i32_i24_e32 v154 /*v410*/, v58, v96 /*v352*/
	v_mul_i32_i24_e32 v155 /*v411*/, v61, v97 /*v353*/
	s_set_vgpr_msb 0x55                     ;  msbs: dst=1 src0=1 src1=1 src2=1
	v_add3_u32 v151 /*v407*/, v151 /*v407*/, v152 /*v408*/, v153 /*v409*/
	s_set_vgpr_msb 1                        ;  msbs: dst=0 src0=1 src1=0 src2=0
	v_bfe_i32 v71, v148 /*v404*/, 16, 8
	s_set_vgpr_msb 0x41                     ;  msbs: dst=1 src0=1 src1=0 src2=0
	v_bfe_i32 v187 /*v443*/, v156 /*v412*/, 0, 8
	v_bfe_i32 v188 /*v444*/, v156 /*v412*/, 8, 8
	;; [unrolled: 1-line block ×3, first 2 shown]
	s_set_vgpr_msb 0x44                     ;  msbs: dst=1 src0=0 src1=1 src2=0
	v_dual_ashrrev_i32 v190 /*v446*/, 24, v156 /*v412*/ :: v_dual_ashrrev_i32 v194 /*v450*/, 24, v157 /*v413*/
	s_set_vgpr_msb 0x41                     ;  msbs: dst=1 src0=1 src1=0 src2=0
	v_bfe_i32 v191 /*v447*/, v157 /*v413*/, 0, 8
	v_bfe_i32 v192 /*v448*/, v157 /*v413*/, 8, 8
	;; [unrolled: 1-line block ×3, first 2 shown]
	s_set_vgpr_msb 0x44                     ;  msbs: dst=1 src0=0 src1=1 src2=0
	v_mul_i32_i24_e32 v156 /*v412*/, v67, v98 /*v354*/
	v_mul_i32_i24_e32 v157 /*v413*/, v69, v99 /*v355*/
	s_set_vgpr_msb 0x55                     ;  msbs: dst=1 src0=1 src1=1 src2=1
	v_add3_u32 v151 /*v407*/, v151 /*v407*/, v154 /*v410*/, v155 /*v411*/
	s_set_vgpr_msb 1                        ;  msbs: dst=0 src0=1 src1=0 src2=0
	v_bfe_i32 v84, v149 /*v405*/, 0, 8
	v_bfe_i32 v86, v149 /*v405*/, 8, 8
	s_wait_dscnt 0x0
	s_set_vgpr_msb 0x41                     ;  msbs: dst=1 src0=1 src1=0 src2=0
	v_bfe_i32 v195 /*v451*/, v158 /*v414*/, 0, 8
	v_bfe_i32 v196 /*v452*/, v158 /*v414*/, 8, 8
	;; [unrolled: 1-line block ×3, first 2 shown]
	s_set_vgpr_msb 0x44                     ;  msbs: dst=1 src0=0 src1=1 src2=0
	v_dual_ashrrev_i32 v198 /*v454*/, 24, v158 /*v414*/ :: v_dual_ashrrev_i32 v202 /*v458*/, 24, v159 /*v415*/
	s_set_vgpr_msb 0x41                     ;  msbs: dst=1 src0=1 src1=0 src2=0
	v_bfe_i32 v199 /*v455*/, v159 /*v415*/, 0, 8
	v_bfe_i32 v200 /*v456*/, v159 /*v415*/, 8, 8
	;; [unrolled: 1-line block ×3, first 2 shown]
	s_set_vgpr_msb 0x44                     ;  msbs: dst=1 src0=0 src1=1 src2=0
	v_mul_i32_i24_e32 v158 /*v414*/, v71, v100 /*v356*/
	v_mul_i32_i24_e32 v159 /*v415*/, v82, v101 /*v357*/
	s_set_vgpr_msb 0x55                     ;  msbs: dst=1 src0=1 src1=1 src2=1
	v_add3_u32 v151 /*v407*/, v151 /*v407*/, v156 /*v412*/, v157 /*v413*/
	s_set_vgpr_msb 1                        ;  msbs: dst=0 src0=1 src1=0 src2=0
	v_bfe_i32 v92, v149 /*v405*/, 16, 8
	s_set_vgpr_msb 0x41                     ;  msbs: dst=1 src0=1 src1=0 src2=0
	v_bfe_i32 v203 /*v459*/, v160 /*v416*/, 0, 8
	v_bfe_i32 v204 /*v460*/, v160 /*v416*/, 8, 8
	;; [unrolled: 1-line block ×3, first 2 shown]
	s_set_vgpr_msb 0x44                     ;  msbs: dst=1 src0=0 src1=1 src2=0
	v_dual_ashrrev_i32 v206 /*v462*/, 24, v160 /*v416*/ :: v_dual_ashrrev_i32 v145 /*v401*/, 24, v161 /*v417*/
	s_set_vgpr_msb 0x41                     ;  msbs: dst=1 src0=1 src1=0 src2=0
	v_bfe_i32 v207 /*v463*/, v161 /*v417*/, 0, 8
	v_bfe_i32 v208 /*v464*/, v161 /*v417*/, 8, 8
	;; [unrolled: 1-line block ×3, first 2 shown]
	s_set_vgpr_msb 0x44                     ;  msbs: dst=1 src0=0 src1=1 src2=0
	v_mul_i32_i24_e32 v160 /*v416*/, v84, v102 /*v358*/
	v_mul_i32_i24_e32 v161 /*v417*/, v86, v103 /*v359*/
	s_set_vgpr_msb 0x55                     ;  msbs: dst=1 src0=1 src1=1 src2=1
	v_add3_u32 v151 /*v407*/, v151 /*v407*/, v158 /*v414*/, v159 /*v415*/
	v_bfe_i32 v147 /*v403*/, v150 /*v406*/, 0, 8
	v_bfe_i32 v148 /*v404*/, v150 /*v406*/, 8, 8
	s_set_vgpr_msb 0x44                     ;  msbs: dst=1 src0=0 src1=1 src2=0
	v_mul_i32_i24_e32 v162 /*v418*/, v92, v104 /*v360*/
	s_set_vgpr_msb 0x55                     ;  msbs: dst=1 src0=1 src1=1 src2=1
	v_mul_i32_i24_e32 v165 /*v421*/, v146 /*v402*/, v105 /*v361*/
	v_add3_u32 v151 /*v407*/, v151 /*v407*/, v160 /*v416*/, v161 /*v417*/
	v_bfe_i32 v149 /*v405*/, v150 /*v406*/, 16, 8
	v_ashrrev_i32_e32 v150 /*v406*/, 24, v150 /*v406*/
	v_mul_i32_i24_e32 v210 /*v466*/, v147 /*v403*/, v106 /*v362*/
	v_mul_i32_i24_e32 v211 /*v467*/, v148 /*v404*/, v107 /*v363*/
	v_add3_u32 v151 /*v407*/, v151 /*v407*/, v162 /*v418*/, v165 /*v421*/
	v_mul_i32_i24_e32 v212 /*v468*/, v149 /*v405*/, v108 /*v364*/
	v_mul_i32_i24_e32 v213 /*v469*/, v150 /*v406*/, v109 /*v365*/
	v_mul_i32_i24_e32 v214 /*v470*/, v111 /*v367*/, v166 /*v422*/
	v_mul_i32_i24_e32 v215 /*v471*/, v110 /*v366*/, v168 /*v424*/
	v_add3_u32 v151 /*v407*/, v151 /*v407*/, v210 /*v466*/, v211 /*v467*/
	v_mul_i32_i24_e32 v216 /*v472*/, v113 /*v369*/, v169 /*v425*/
	v_mul_i32_i24_e32 v217 /*v473*/, v112 /*v368*/, v170 /*v426*/
	;; [unrolled: 5-line block ×4, first 2 shown]
	v_mul_i32_i24_e32 v154 /*v410*/, v133 /*v389*/, v185 /*v441*/
	v_mul_i32_i24_e32 v155 /*v411*/, v115 /*v371*/, v186 /*v442*/
	v_add3_u32 v151 /*v407*/, v151 /*v407*/, v216 /*v472*/, v217 /*v473*/
	s_set_vgpr_msb 0x44                     ;  msbs: dst=1 src0=0 src1=1 src2=0
	v_mul_i32_i24_e32 v156 /*v412*/, v114, v187 /*v443*/
	s_set_vgpr_msb 0x55                     ;  msbs: dst=1 src0=1 src1=1 src2=1
	v_mul_i32_i24_e32 v157 /*v413*/, v136 /*v392*/, v188 /*v444*/
	v_mul_i32_i24_e32 v158 /*v414*/, v135 /*v391*/, v189 /*v445*/
	v_mul_i32_i24_e32 v159 /*v415*/, v116 /*v372*/, v190 /*v446*/
	v_add3_u32 v151 /*v407*/, v151 /*v407*/, v218 /*v474*/, v219 /*v475*/
	s_set_vgpr_msb 0x44                     ;  msbs: dst=1 src0=0 src1=1 src2=0
	v_mul_i32_i24_e32 v160 /*v416*/, v115, v191 /*v447*/
	s_set_vgpr_msb 0x55                     ;  msbs: dst=1 src0=1 src1=1 src2=1
	v_mul_i32_i24_e32 v162 /*v418*/, v138 /*v394*/, v192 /*v448*/
	;; [unrolled: 7-line block ×3, first 2 shown]
	v_mul_i32_i24_e32 v214 /*v470*/, v139 /*v395*/, v197 /*v453*/
	v_mul_i32_i24_e32 v215 /*v471*/, v118 /*v374*/, v198 /*v454*/
	v_add3_u32 v165 /*v421*/, v151 /*v407*/, v222 /*v478*/, v223 /*v479*/
	s_set_vgpr_msb 0x44                     ;  msbs: dst=1 src0=0 src1=1 src2=0
	v_mul_i32_i24_e32 v151 /*v407*/, v116, v179 /*v435*/
	v_mul_i32_i24_e32 v216 /*v472*/, v111, v199 /*v455*/
	s_set_vgpr_msb 0x45                     ;  msbs: dst=1 src0=1 src1=1 src2=0
	v_mul_i32_i24_e32 v217 /*v473*/, v142 /*v398*/, v200 /*v456*/
	v_mul_i32_i24_e32 v218 /*v474*/, v141 /*v397*/, v201 /*v457*/
	;; [unrolled: 1-line block ×3, first 2 shown]
	s_set_vgpr_msb 0x54                     ;  msbs: dst=1 src0=0 src1=1 src2=1
	v_mad_i32_i24 v151 /*v407*/, v113, v180 /*v436*/, v151 /*v407*/
	v_mul_i32_i24_e32 v220 /*v476*/, v112, v203 /*v459*/
	s_set_vgpr_msb 0x55                     ;  msbs: dst=1 src0=1 src1=1 src2=1
	v_mul_i32_i24_e32 v221 /*v477*/, v144 /*v400*/, v204 /*v460*/
	v_mul_i32_i24_e32 v222 /*v478*/, v143 /*v399*/, v205 /*v461*/
	;; [unrolled: 1-line block ×3, first 2 shown]
	v_add3_u32 v151 /*v407*/, v151 /*v407*/, v152 /*v408*/, v153 /*v409*/
	s_set_vgpr_msb 0x44                     ;  msbs: dst=1 src0=0 src1=1 src2=0
	v_mul_i32_i24_e32 v152 /*v408*/, v117, v183 /*v439*/
	s_set_vgpr_msb 0x45                     ;  msbs: dst=1 src0=1 src1=1 src2=0
	v_mul_i32_i24_e32 v153 /*v409*/, v134 /*v390*/, v184 /*v440*/
	v_mul_i32_i24_e32 v224 /*v480*/, v207 /*v463*/, v124 /*v380*/
	;; [unrolled: 1-line block ×3, first 2 shown]
	s_set_vgpr_msb 0x44                     ;  msbs: dst=1 src0=0 src1=1 src2=0
	v_mul_i32_i24_e32 v226 /*v482*/, v245, v174 /*v430*/
	s_set_vgpr_msb 0x41                     ;  msbs: dst=1 src0=1 src1=0 src2=0
	v_mul_i32_i24_e32 v227 /*v483*/, v175 /*v431*/, v251
	s_set_vgpr_msb 0x55                     ;  msbs: dst=1 src0=1 src1=1 src2=1
	v_add3_u32 v151 /*v407*/, v151 /*v407*/, v152 /*v408*/, v153 /*v409*/
	s_set_vgpr_msb 64                       ;  msbs: dst=1 src0=0 src1=0 src2=0
	v_mul_i32_i24_e32 v152 /*v408*/, v53, v221
	v_mul_i32_i24_e32 v153 /*v409*/, v54, v222
	s_set_vgpr_msb 0x41                     ;  msbs: dst=1 src0=1 src1=0 src2=0
	v_mul_i32_i24_e32 v228 /*v484*/, v176 /*v432*/, v253
	s_set_vgpr_msb 0x55                     ;  msbs: dst=1 src0=1 src1=1 src2=1
	v_mul_i32_i24_e32 v229 /*v485*/, v207 /*v463*/, v23 /*v279*/
	v_add3_u32 v151 /*v407*/, v151 /*v407*/, v154 /*v410*/, v155 /*v411*/
	s_set_vgpr_msb 64                       ;  msbs: dst=1 src0=0 src1=0 src2=0
	v_mul_i32_i24_e32 v154 /*v410*/, v58, v225
	v_mul_i32_i24_e32 v155 /*v411*/, v61, v226
	s_set_vgpr_msb 0x45                     ;  msbs: dst=1 src0=1 src1=1 src2=0
	v_mul_i32_i24_e32 v230 /*v486*/, v208 /*v464*/, v24 /*v280*/
	s_set_vgpr_msb 0x44                     ;  msbs: dst=1 src0=0 src1=1 src2=0
	v_mul_i32_i24_e32 v231 /*v487*/, v181, v174 /*v430*/
	s_set_vgpr_msb 0x55                     ;  msbs: dst=1 src0=1 src1=1 src2=1
	v_add3_u32 v151 /*v407*/, v151 /*v407*/, v156 /*v412*/, v157 /*v413*/
	s_set_vgpr_msb 64                       ;  msbs: dst=1 src0=0 src1=0 src2=0
	v_mul_i32_i24_e32 v156 /*v412*/, v67, v227
	v_mul_i32_i24_e32 v157 /*v413*/, v69, v228
	s_set_vgpr_msb 0x41                     ;  msbs: dst=1 src0=1 src1=0 src2=0
	v_mul_i32_i24_e32 v232 /*v488*/, v175 /*v431*/, v187
	v_mul_i32_i24_e32 v233 /*v489*/, v176 /*v432*/, v189
	s_set_vgpr_msb 0x55                     ;  msbs: dst=1 src0=1 src1=1 src2=1
	v_add3_u32 v151 /*v407*/, v151 /*v407*/, v158 /*v414*/, v159 /*v415*/
	v_mul_i32_i24_e32 v163 /*v419*/, v177 /*v433*/, v130 /*v386*/
	s_set_vgpr_msb 0x41                     ;  msbs: dst=1 src0=1 src1=0 src2=0
	v_mul_i32_i24_e32 v158 /*v414*/, v177 /*v433*/, v254
	v_mul_i32_i24_e32 v234 /*v490*/, v207 /*v463*/, v215
	;; [unrolled: 1-line block ×3, first 2 shown]
	s_set_vgpr_msb 0x55                     ;  msbs: dst=1 src0=1 src1=1 src2=1
	v_add3_u32 v151 /*v407*/, v151 /*v407*/, v160 /*v416*/, v162 /*v418*/
	s_set_vgpr_msb 64                       ;  msbs: dst=1 src0=0 src1=0 src2=0
	v_mul_i32_i24_e32 v160 /*v416*/, v71, v229
	s_set_vgpr_msb 0x55                     ;  msbs: dst=1 src0=1 src1=1 src2=1
	v_mul_i32_i24_e32 v164 /*v420*/, v178 /*v434*/, v131 /*v387*/
	v_mul_i32_i24_e32 v159 /*v415*/, v178 /*v434*/, v0 /*v256*/
	;; [unrolled: 1-line block ×3, first 2 shown]
	v_add3_u32 v151 /*v407*/, v151 /*v407*/, v210 /*v466*/, v211 /*v467*/
	s_set_vgpr_msb 64                       ;  msbs: dst=1 src0=0 src1=0 src2=0
	v_mul_i32_i24_e32 v210 /*v466*/, v82, v230
	v_mul_i32_i24_e32 v211 /*v467*/, v84, v231
	s_set_vgpr_msb 0x55                     ;  msbs: dst=1 src0=1 src1=1 src2=1
	v_add3_u32 v151 /*v407*/, v151 /*v407*/, v212 /*v468*/, v213 /*v469*/
	s_set_vgpr_msb 64                       ;  msbs: dst=1 src0=0 src1=0 src2=0
	v_mul_i32_i24_e32 v212 /*v468*/, v86, v232
	v_mul_i32_i24_e32 v213 /*v469*/, v92, v233
	s_set_vgpr_msb 0x55                     ;  msbs: dst=1 src0=1 src1=1 src2=1
	v_add3_u32 v151 /*v407*/, v151 /*v407*/, v214 /*v470*/, v215 /*v471*/
	s_set_vgpr_msb 0x41                     ;  msbs: dst=1 src0=1 src1=0 src2=0
	v_mul_i32_i24_e32 v214 /*v470*/, v146 /*v402*/, v234
	v_mul_i32_i24_e32 v215 /*v471*/, v147 /*v403*/, v235
	s_set_vgpr_msb 0x55                     ;  msbs: dst=1 src0=1 src1=1 src2=1
	v_add3_u32 v151 /*v407*/, v151 /*v407*/, v216 /*v472*/, v217 /*v473*/
	s_set_vgpr_msb 0x41                     ;  msbs: dst=1 src0=1 src1=0 src2=0
	v_mul_i32_i24_e32 v216 /*v472*/, v148 /*v404*/, v236
	v_mul_i32_i24_e32 v217 /*v473*/, v149 /*v405*/, v237
	s_set_vgpr_msb 0x55                     ;  msbs: dst=1 src0=1 src1=1 src2=1
	v_add3_u32 v151 /*v407*/, v151 /*v407*/, v218 /*v474*/, v219 /*v475*/
	s_set_vgpr_msb 0x41                     ;  msbs: dst=1 src0=1 src1=0 src2=0
	v_mul_i32_i24_e32 v218 /*v474*/, v150 /*v406*/, v238
	s_set_vgpr_msb 0x44                     ;  msbs: dst=1 src0=0 src1=1 src2=0
	v_mul_i32_i24_e32 v219 /*v475*/, v240, v166 /*v422*/
	s_set_vgpr_msb 0x55                     ;  msbs: dst=1 src0=1 src1=1 src2=1
	v_add3_u32 v151 /*v407*/, v151 /*v407*/, v220 /*v476*/, v221 /*v477*/
	s_set_vgpr_msb 0x44                     ;  msbs: dst=1 src0=0 src1=1 src2=0
	v_mul_i32_i24_e32 v220 /*v476*/, v239, v168 /*v424*/
	v_mul_i32_i24_e32 v221 /*v477*/, v242, v169 /*v425*/
	s_set_vgpr_msb 0x55                     ;  msbs: dst=1 src0=1 src1=1 src2=1
	v_add3_u32 v151 /*v407*/, v151 /*v407*/, v222 /*v478*/, v223 /*v479*/
	s_set_vgpr_msb 0x44                     ;  msbs: dst=1 src0=0 src1=1 src2=0
	v_mul_i32_i24_e32 v222 /*v478*/, v241, v170 /*v426*/
	v_mul_i32_i24_e32 v223 /*v479*/, v244, v171 /*v427*/
	s_set_vgpr_msb 0x55                     ;  msbs: dst=1 src0=1 src1=1 src2=1
	v_add3_u32 v162 /*v418*/, v151 /*v407*/, v224 /*v480*/, v225 /*v481*/
	s_set_vgpr_msb 64                       ;  msbs: dst=1 src0=0 src1=0 src2=0
	v_mul_i32_i24_e32 v151 /*v407*/, v40, v220
	s_set_vgpr_msb 0x44                     ;  msbs: dst=1 src0=0 src1=1 src2=0
	v_mul_i32_i24_e32 v224 /*v480*/, v243, v172 /*v428*/
	v_mul_i32_i24_e32 v225 /*v481*/, v247, v173 /*v429*/
	s_set_vgpr_msb 0x50                     ;  msbs: dst=1 src0=0 src1=0 src2=1
	v_mad_i32_i24 v151 /*v407*/, v52, v219, v151 /*v407*/
	s_set_vgpr_msb 0x55                     ;  msbs: dst=1 src0=1 src1=1 src2=1
	s_delay_alu instid0(VALU_DEP_1) | instskip(SKIP_4) | instid1(VALU_DEP_1)
	v_add3_u32 v151 /*v407*/, v151 /*v407*/, v152 /*v408*/, v153 /*v409*/
	s_set_vgpr_msb 64                       ;  msbs: dst=1 src0=0 src1=0 src2=0
	v_mul_i32_i24_e32 v152 /*v408*/, v55, v223
	v_mul_i32_i24_e32 v153 /*v409*/, v56, v224
	s_set_vgpr_msb 0x55                     ;  msbs: dst=1 src0=1 src1=1 src2=1
	v_add3_u32 v151 /*v407*/, v151 /*v407*/, v152 /*v408*/, v153 /*v409*/
	s_set_vgpr_msb 0x41                     ;  msbs: dst=1 src0=1 src1=0 src2=0
	v_mul_i32_i24_e32 v152 /*v408*/, v181 /*v437*/, v246
	v_mul_i32_i24_e32 v153 /*v409*/, v182 /*v438*/, v252
	s_set_vgpr_msb 0x55                     ;  msbs: dst=1 src0=1 src1=1 src2=1
	v_add3_u32 v151 /*v407*/, v151 /*v407*/, v154 /*v410*/, v155 /*v411*/
	s_set_vgpr_msb 0x41                     ;  msbs: dst=1 src0=1 src1=0 src2=0
	v_mul_i32_i24_e32 v154 /*v410*/, v185 /*v441*/, v250
	s_set_vgpr_msb 0x55                     ;  msbs: dst=1 src0=1 src1=1 src2=1
	v_mul_i32_i24_e32 v155 /*v411*/, v186 /*v442*/, v3 /*v259*/
	v_add3_u32 v151 /*v407*/, v151 /*v407*/, v156 /*v412*/, v157 /*v413*/
	v_mul_i32_i24_e32 v157 /*v413*/, v187 /*v443*/, v4 /*v260*/
	v_mul_i32_i24_e32 v156 /*v412*/, v209 /*v465*/, v25 /*v281*/
	s_delay_alu instid0(VALU_DEP_3) | instskip(SKIP_1) | instid1(VALU_DEP_2)
	v_add3_u32 v151 /*v407*/, v151 /*v407*/, v160 /*v416*/, v210 /*v466*/
	v_mul_i32_i24_e32 v210 /*v466*/, v188 /*v444*/, v5 /*v261*/
	v_add3_u32 v151 /*v407*/, v151 /*v407*/, v211 /*v467*/, v212 /*v468*/
	v_mul_i32_i24_e32 v211 /*v467*/, v189 /*v445*/, v2 /*v258*/
	v_mul_i32_i24_e32 v212 /*v468*/, v190 /*v446*/, v7 /*v263*/
	s_delay_alu instid0(VALU_DEP_3) | instskip(SKIP_2) | instid1(VALU_DEP_3)
	v_add3_u32 v151 /*v407*/, v151 /*v407*/, v213 /*v469*/, v214 /*v470*/
	v_mul_i32_i24_e32 v213 /*v469*/, v191 /*v447*/, v8 /*v264*/
	v_mul_i32_i24_e32 v214 /*v470*/, v192 /*v448*/, v9 /*v265*/
	v_add3_u32 v151 /*v407*/, v151 /*v407*/, v215 /*v471*/, v216 /*v472*/
	v_mul_i32_i24_e32 v215 /*v471*/, v193 /*v449*/, v6 /*v262*/
	v_mul_i32_i24_e32 v216 /*v472*/, v194 /*v450*/, v10 /*v266*/
	s_delay_alu instid0(VALU_DEP_3) | instskip(SKIP_2) | instid1(VALU_DEP_3)
	v_add3_u32 v151 /*v407*/, v151 /*v407*/, v217 /*v473*/, v218 /*v474*/
	v_mul_i32_i24_e32 v217 /*v473*/, v195 /*v451*/, v11 /*v267*/
	;; [unrolled: 7-line block ×4, first 2 shown]
	v_mul_i32_i24_e32 v226 /*v482*/, v20 /*v276*/, v204 /*v460*/
	v_add3_u32 v160 /*v416*/, v151 /*v407*/, v227 /*v483*/, v228 /*v484*/
	s_set_vgpr_msb 0x41                     ;  msbs: dst=1 src0=1 src1=0 src2=0
	v_mul_i32_i24_e32 v151 /*v407*/, v179 /*v435*/, v249
	s_set_vgpr_msb 0x45                     ;  msbs: dst=1 src0=1 src1=1 src2=0
	v_mul_i32_i24_e32 v227 /*v483*/, v22 /*v278*/, v205 /*v461*/
	v_mul_i32_i24_e32 v228 /*v484*/, v21 /*v277*/, v206 /*v462*/
	s_set_vgpr_msb 0x51                     ;  msbs: dst=1 src0=1 src1=0 src2=1
	v_mad_i32_i24 v151 /*v407*/, v180 /*v436*/, v248, v151 /*v407*/
	s_set_vgpr_msb 0x55                     ;  msbs: dst=1 src0=1 src1=1 src2=1
	s_delay_alu instid0(VALU_DEP_1) | instskip(SKIP_4) | instid1(VALU_DEP_1)
	v_add3_u32 v151 /*v407*/, v151 /*v407*/, v152 /*v408*/, v153 /*v409*/
	s_set_vgpr_msb 0x41                     ;  msbs: dst=1 src0=1 src1=0 src2=0
	v_mul_i32_i24_e32 v152 /*v408*/, v183 /*v439*/, v255
	s_set_vgpr_msb 0x55                     ;  msbs: dst=1 src0=1 src1=1 src2=1
	v_mul_i32_i24_e32 v153 /*v409*/, v184 /*v440*/, v1 /*v257*/
	v_add3_u32 v151 /*v407*/, v151 /*v407*/, v152 /*v408*/, v153 /*v409*/
	s_set_vgpr_msb 64                       ;  msbs: dst=1 src0=0 src1=0 src2=0
	v_mul_i32_i24_e32 v152 /*v408*/, v53, v124
	v_mul_i32_i24_e32 v153 /*v409*/, v54, v158
	s_set_vgpr_msb 4                        ;  msbs: dst=0 src0=0 src1=1 src2=0
	v_mul_i32_i24_e32 v53, v53, v31 /*v287*/
	v_mul_i32_i24_e32 v54, v54, v32 /*v288*/
	s_set_vgpr_msb 0x55                     ;  msbs: dst=1 src0=1 src1=1 src2=1
	v_add3_u32 v151 /*v407*/, v151 /*v407*/, v154 /*v410*/, v155 /*v411*/
	s_set_vgpr_msb 64                       ;  msbs: dst=1 src0=0 src1=0 src2=0
	v_mul_i32_i24_e32 v155 /*v411*/, v56, v160
	s_set_vgpr_msb 0x41                     ;  msbs: dst=1 src0=1 src1=0 src2=0
	v_mul_i32_i24_e32 v154 /*v410*/, v178 /*v434*/, v192
	s_set_vgpr_msb 0x55                     ;  msbs: dst=1 src0=1 src1=1 src2=1
	v_add3_u32 v151 /*v407*/, v151 /*v407*/, v157 /*v413*/, v210 /*v466*/
	s_set_vgpr_msb 64                       ;  msbs: dst=1 src0=0 src1=0 src2=0
	v_mul_i32_i24_e32 v210 /*v466*/, v58, v161
	s_set_vgpr_msb 0x55                     ;  msbs: dst=1 src0=1 src1=1 src2=1
	s_delay_alu instid0(VALU_DEP_2)
	v_add3_u32 v151 /*v407*/, v151 /*v407*/, v211 /*v467*/, v212 /*v468*/
	s_set_vgpr_msb 64                       ;  msbs: dst=1 src0=0 src1=0 src2=0
	v_mul_i32_i24_e32 v211 /*v467*/, v61, v162
	v_mul_i32_i24_e32 v212 /*v468*/, v67, v163
	s_set_vgpr_msb 0x55                     ;  msbs: dst=1 src0=1 src1=1 src2=1
	v_add3_u32 v151 /*v407*/, v151 /*v407*/, v213 /*v469*/, v214 /*v470*/
	s_set_vgpr_msb 64                       ;  msbs: dst=1 src0=0 src1=0 src2=0
	v_mul_i32_i24_e32 v213 /*v469*/, v69, v164
	v_mul_i32_i24_e32 v214 /*v470*/, v71, v165
	s_set_vgpr_msb 0x55                     ;  msbs: dst=1 src0=1 src1=1 src2=1
	v_add3_u32 v151 /*v407*/, v151 /*v407*/, v215 /*v471*/, v216 /*v472*/
	s_set_vgpr_msb 64                       ;  msbs: dst=1 src0=0 src1=0 src2=0
	v_mul_i32_i24_e32 v215 /*v471*/, v82, v166
	v_mul_i32_i24_e32 v216 /*v472*/, v84, v167
	s_set_vgpr_msb 0x55                     ;  msbs: dst=1 src0=1 src1=1 src2=1
	v_add3_u32 v151 /*v407*/, v151 /*v407*/, v217 /*v473*/, v218 /*v474*/
	s_set_vgpr_msb 64                       ;  msbs: dst=1 src0=0 src1=0 src2=0
	v_mul_i32_i24_e32 v217 /*v473*/, v86, v168
	v_mul_i32_i24_e32 v218 /*v474*/, v92, v169
	s_set_vgpr_msb 0x55                     ;  msbs: dst=1 src0=1 src1=1 src2=1
	v_add3_u32 v151 /*v407*/, v151 /*v407*/, v219 /*v475*/, v220 /*v476*/
	s_set_vgpr_msb 0x41                     ;  msbs: dst=1 src0=1 src1=0 src2=0
	v_mul_i32_i24_e32 v219 /*v475*/, v146 /*v402*/, v170
	v_mul_i32_i24_e32 v220 /*v476*/, v147 /*v403*/, v171
	s_set_vgpr_msb 0x55                     ;  msbs: dst=1 src0=1 src1=1 src2=1
	v_add3_u32 v151 /*v407*/, v151 /*v407*/, v221 /*v477*/, v222 /*v478*/
	s_set_vgpr_msb 0x41                     ;  msbs: dst=1 src0=1 src1=0 src2=0
	v_mul_i32_i24_e32 v221 /*v477*/, v148 /*v404*/, v172
	v_mul_i32_i24_e32 v222 /*v478*/, v149 /*v405*/, v173
	s_set_vgpr_msb 0x55                     ;  msbs: dst=1 src0=1 src1=1 src2=1
	v_add3_u32 v151 /*v407*/, v151 /*v407*/, v223 /*v479*/, v224 /*v480*/
	s_set_vgpr_msb 0x41                     ;  msbs: dst=1 src0=1 src1=0 src2=0
	v_mul_i32_i24_e32 v223 /*v479*/, v150 /*v406*/, v174
	s_set_vgpr_msb 0x44                     ;  msbs: dst=1 src0=0 src1=1 src2=0
	v_mul_i32_i24_e32 v224 /*v480*/, v176, v166 /*v422*/
	s_set_vgpr_msb 0x55                     ;  msbs: dst=1 src0=1 src1=1 src2=1
	v_add3_u32 v151 /*v407*/, v151 /*v407*/, v225 /*v481*/, v226 /*v482*/
	s_set_vgpr_msb 0x44                     ;  msbs: dst=1 src0=0 src1=1 src2=0
	v_mul_i32_i24_e32 v225 /*v481*/, v175, v168 /*v424*/
	v_mul_i32_i24_e32 v226 /*v482*/, v178, v169 /*v425*/
	s_set_vgpr_msb 0x55                     ;  msbs: dst=1 src0=1 src1=1 src2=1
	v_add3_u32 v151 /*v407*/, v151 /*v407*/, v227 /*v483*/, v228 /*v484*/
	s_set_vgpr_msb 0x44                     ;  msbs: dst=1 src0=0 src1=1 src2=0
	v_mul_i32_i24_e32 v227 /*v483*/, v177, v170 /*v426*/
	v_mul_i32_i24_e32 v228 /*v484*/, v180, v171 /*v427*/
	s_set_vgpr_msb 0x55                     ;  msbs: dst=1 src0=1 src1=1 src2=1
	v_add3_u32 v157 /*v413*/, v151 /*v407*/, v229 /*v485*/, v230 /*v486*/
	s_set_vgpr_msb 64                       ;  msbs: dst=1 src0=0 src1=0 src2=0
	v_mul_i32_i24_e32 v151 /*v407*/, v40, v122
	s_set_vgpr_msb 4                        ;  msbs: dst=0 src0=0 src1=1 src2=0
	v_mul_i32_i24_e32 v40, v40, v30 /*v286*/
	s_set_vgpr_msb 0x44                     ;  msbs: dst=1 src0=0 src1=1 src2=0
	v_mul_i32_i24_e32 v229 /*v485*/, v179, v172 /*v428*/
	v_mul_i32_i24_e32 v230 /*v486*/, v183, v173 /*v429*/
	s_set_vgpr_msb 0x50                     ;  msbs: dst=1 src0=0 src1=0 src2=1
	v_mad_i32_i24 v151 /*v407*/, v52, v120, v151 /*v407*/
	s_set_vgpr_msb 4                        ;  msbs: dst=0 src0=0 src1=1 src2=0
	v_mad_i32_i24 v40, v52, v29 /*v285*/, v40
	v_mul_i32_i24_e32 v52, v55, v33 /*v289*/
	s_set_vgpr_msb 0x55                     ;  msbs: dst=1 src0=1 src1=1 src2=1
	v_add3_u32 v151 /*v407*/, v151 /*v407*/, v152 /*v408*/, v153 /*v409*/
	s_set_vgpr_msb 0                        ;  msbs: dst=0 src0=0 src1=0 src2=0
	v_add3_u32 v40, v40, v53, v54
	s_set_vgpr_msb 4                        ;  msbs: dst=0 src0=0 src1=1 src2=0
	v_mul_i32_i24_e32 v53, v56, v34 /*v290*/
	s_set_vgpr_msb 64                       ;  msbs: dst=1 src0=0 src1=0 src2=0
	v_mul_i32_i24_e32 v152 /*v408*/, v55, v159
	s_set_vgpr_msb 4                        ;  msbs: dst=0 src0=0 src1=1 src2=0
	v_mul_i32_i24_e32 v54, v58, v35 /*v291*/
	v_mul_i32_i24_e32 v55, v61, v36 /*v292*/
	;; [unrolled: 1-line block ×3, first 2 shown]
	s_set_vgpr_msb 0                        ;  msbs: dst=0 src0=0 src1=0 src2=0
	v_add3_u32 v40, v40, v52, v53
	s_set_vgpr_msb 4                        ;  msbs: dst=0 src0=0 src1=1 src2=0
	v_mul_i32_i24_e32 v58, v69, v38 /*v294*/
	s_set_vgpr_msb 0x55                     ;  msbs: dst=1 src0=1 src1=1 src2=1
	v_add3_u32 v151 /*v407*/, v151 /*v407*/, v152 /*v408*/, v155 /*v411*/
	s_set_vgpr_msb 4                        ;  msbs: dst=0 src0=0 src1=1 src2=0
	v_mul_i32_i24_e32 v61, v71, v39 /*v295*/
	v_mul_i32_i24_e32 v67, v82, v40 /*v296*/
	s_set_vgpr_msb 0                        ;  msbs: dst=0 src0=0 src1=0 src2=0
	v_add3_u32 v40, v40, v54, v55
	s_set_vgpr_msb 4                        ;  msbs: dst=0 src0=0 src1=1 src2=0
	v_mul_i32_i24_e32 v69, v84, v41 /*v297*/
	s_set_vgpr_msb 0x55                     ;  msbs: dst=1 src0=1 src1=1 src2=1
	v_add3_u32 v151 /*v407*/, v151 /*v407*/, v210 /*v466*/, v211 /*v467*/
	s_set_vgpr_msb 4                        ;  msbs: dst=0 src0=0 src1=1 src2=0
	v_mul_i32_i24_e32 v71, v86, v42 /*v298*/
	v_mul_i32_i24_e32 v82, v92, v43 /*v299*/
	s_set_vgpr_msb 0                        ;  msbs: dst=0 src0=0 src1=0 src2=0
	v_add3_u32 v40, v40, v56, v58
	s_set_vgpr_msb 5                        ;  msbs: dst=0 src0=1 src1=1 src2=0
	v_mul_i32_i24_e32 v84, v146 /*v402*/, v44 /*v300*/
	s_set_vgpr_msb 0x55                     ;  msbs: dst=1 src0=1 src1=1 src2=1
	v_add3_u32 v151 /*v407*/, v151 /*v407*/, v212 /*v468*/, v213 /*v469*/
	s_set_vgpr_msb 5                        ;  msbs: dst=0 src0=1 src1=1 src2=0
	v_mul_i32_i24_e32 v86, v147 /*v403*/, v45 /*v301*/
	v_mul_i32_i24_e32 v92, v148 /*v404*/, v46 /*v302*/
	s_set_vgpr_msb 0                        ;  msbs: dst=0 src0=0 src1=0 src2=0
	v_add3_u32 v40, v40, v61, v67
	s_set_vgpr_msb 0x55                     ;  msbs: dst=1 src0=1 src1=1 src2=1
	v_mul_i32_i24_e32 v146 /*v402*/, v149 /*v405*/, v47 /*v303*/
	v_add3_u32 v151 /*v407*/, v151 /*v407*/, v214 /*v470*/, v215 /*v471*/
	v_mul_i32_i24_e32 v147 /*v403*/, v150 /*v406*/, v48 /*v304*/
	v_mul_i32_i24_e32 v150 /*v406*/, v50 /*v306*/, v166 /*v422*/
	s_set_vgpr_msb 0                        ;  msbs: dst=0 src0=0 src1=0 src2=0
	v_add3_u32 v40, v40, v69, v71
	s_set_vgpr_msb 0x55                     ;  msbs: dst=1 src0=1 src1=1 src2=1
	v_mul_i32_i24_e32 v166 /*v422*/, v49 /*v305*/, v168 /*v424*/
	v_add3_u32 v151 /*v407*/, v151 /*v407*/, v216 /*v472*/, v217 /*v473*/
	v_mul_i32_i24_e32 v168 /*v424*/, v52 /*v308*/, v169 /*v425*/
	v_mul_i32_i24_e32 v169 /*v425*/, v51 /*v307*/, v170 /*v426*/
	;; [unrolled: 7-line block ×4, first 2 shown]
	s_set_vgpr_msb 20                       ;  msbs: dst=0 src0=0 src1=1 src2=1
	v_add3_u32 v40, v40, v146 /*v402*/, v147 /*v403*/
	s_set_vgpr_msb 5                        ;  msbs: dst=0 src0=1 src1=1 src2=0
	v_mul_i32_i24_e32 v52, v181 /*v437*/, v56 /*v312*/
	s_set_vgpr_msb 0x55                     ;  msbs: dst=1 src0=1 src1=1 src2=1
	v_add3_u32 v151 /*v407*/, v151 /*v407*/, v222 /*v478*/, v223 /*v479*/
	s_set_vgpr_msb 5                        ;  msbs: dst=0 src0=1 src1=1 src2=0
	v_mul_i32_i24_e32 v53, v182 /*v438*/, v62 /*v318*/
	s_set_vgpr_msb 0x41                     ;  msbs: dst=1 src0=1 src1=0 src2=0
	v_mul_i32_i24_e32 v152 /*v408*/, v181 /*v437*/, v182
	s_set_vgpr_msb 20                       ;  msbs: dst=0 src0=0 src1=1 src2=1
	v_add3_u32 v40, v40, v150 /*v406*/, v166 /*v422*/
	s_set_vgpr_msb 0x41                     ;  msbs: dst=1 src0=1 src1=0 src2=0
	v_mul_i32_i24_e32 v210 /*v466*/, v182 /*v438*/, v188
	s_set_vgpr_msb 0x55                     ;  msbs: dst=1 src0=1 src1=1 src2=1
	v_add3_u32 v151 /*v407*/, v151 /*v407*/, v224 /*v480*/, v225 /*v481*/
	s_set_vgpr_msb 5                        ;  msbs: dst=0 src0=1 src1=1 src2=0
	v_mul_i32_i24_e32 v54, v185 /*v441*/, v60 /*v316*/
	v_mul_i32_i24_e32 v55, v186 /*v442*/, v69 /*v325*/
	s_set_vgpr_msb 20                       ;  msbs: dst=0 src0=0 src1=1 src2=1
	v_add3_u32 v40, v40, v168 /*v424*/, v169 /*v425*/
	s_set_vgpr_msb 0x41                     ;  msbs: dst=1 src0=1 src1=0 src2=0
	v_mul_i32_i24_e32 v211 /*v467*/, v184 /*v440*/, v193
	s_set_vgpr_msb 0x55                     ;  msbs: dst=1 src0=1 src1=1 src2=1
	v_add3_u32 v151 /*v407*/, v151 /*v407*/, v226 /*v482*/, v227 /*v483*/
	s_set_vgpr_msb 5                        ;  msbs: dst=0 src0=1 src1=1 src2=0
	v_mul_i32_i24_e32 v56, v187 /*v443*/, v70 /*v326*/
	v_mul_i32_i24_e32 v58, v188 /*v444*/, v71 /*v327*/
	s_set_vgpr_msb 20                       ;  msbs: dst=0 src0=0 src1=1 src2=1
	v_add3_u32 v40, v40, v170 /*v426*/, v171 /*v427*/
	s_set_vgpr_msb 0x41                     ;  msbs: dst=1 src0=1 src1=0 src2=0
	v_mul_i32_i24_e32 v212 /*v468*/, v185 /*v441*/, v186
	s_set_vgpr_msb 0x55                     ;  msbs: dst=1 src0=1 src1=1 src2=1
	v_add3_u32 v151 /*v407*/, v151 /*v407*/, v228 /*v484*/, v229 /*v485*/
	s_set_vgpr_msb 0x41                     ;  msbs: dst=1 src0=1 src1=0 src2=0
	v_mul_i32_i24_e32 v213 /*v469*/, v186 /*v442*/, v195
	s_set_vgpr_msb 5                        ;  msbs: dst=0 src0=1 src1=1 src2=0
	v_mul_i32_i24_e32 v61, v189 /*v445*/, v68 /*v324*/
	s_set_vgpr_msb 20                       ;  msbs: dst=0 src0=0 src1=1 src2=1
	v_add3_u32 v40, v40, v172 /*v428*/, v173 /*v429*/
	s_set_vgpr_msb 5                        ;  msbs: dst=0 src0=1 src1=1 src2=0
	v_mul_i32_i24_e32 v67, v190 /*v446*/, v73 /*v329*/
	s_set_vgpr_msb 0x55                     ;  msbs: dst=1 src0=1 src1=1 src2=1
	v_add3_u32 v151 /*v407*/, v151 /*v407*/, v230 /*v486*/, v231 /*v487*/
	s_set_vgpr_msb 0x41                     ;  msbs: dst=1 src0=1 src1=0 src2=0
	v_mul_i32_i24_e32 v214 /*v470*/, v187 /*v443*/, v196
	v_mul_i32_i24_e32 v215 /*v471*/, v188 /*v444*/, v197
	s_set_vgpr_msb 0x54                     ;  msbs: dst=1 src0=0 src1=1 src2=1
	v_add3_u32 v150 /*v406*/, v40, v174 /*v430*/, v175 /*v431*/
	s_set_vgpr_msb 5                        ;  msbs: dst=0 src0=1 src1=1 src2=0
	v_mul_i32_i24_e32 v40, v179 /*v435*/, v59 /*v315*/
	s_set_vgpr_msb 0x55                     ;  msbs: dst=1 src0=1 src1=1 src2=1
	v_add3_u32 v155 /*v411*/, v151 /*v407*/, v232 /*v488*/, v233 /*v489*/
	s_set_vgpr_msb 0x41                     ;  msbs: dst=1 src0=1 src1=0 src2=0
	v_mul_i32_i24_e32 v151 /*v407*/, v179 /*v435*/, v185
	s_set_vgpr_msb 5                        ;  msbs: dst=0 src0=1 src1=1 src2=0
	v_mul_i32_i24_e32 v69, v191 /*v447*/, v74 /*v330*/
	v_mul_i32_i24_e32 v71, v192 /*v448*/, v75 /*v331*/
	v_mad_i32_i24 v40, v180 /*v436*/, v58 /*v314*/, v40
	s_set_vgpr_msb 0x51                     ;  msbs: dst=1 src0=1 src1=0 src2=1
	v_mul_i32_i24_e32 v216 /*v472*/, v189 /*v445*/, v194
	v_mad_i32_i24 v151 /*v407*/, v180 /*v436*/, v184, v151 /*v407*/
	v_mul_i32_i24_e32 v217 /*v473*/, v190 /*v446*/, v199
	s_set_vgpr_msb 5                        ;  msbs: dst=0 src0=1 src1=1 src2=0
	v_mul_i32_i24_e32 v82, v193 /*v449*/, v72 /*v328*/
	s_set_vgpr_msb 0                        ;  msbs: dst=0 src0=0 src1=0 src2=0
	v_add3_u32 v40, v40, v52, v53
	s_set_vgpr_msb 5                        ;  msbs: dst=0 src0=1 src1=1 src2=0
	v_mul_i32_i24_e32 v52, v183 /*v439*/, v65 /*v321*/
	v_mul_i32_i24_e32 v53, v184 /*v440*/, v67 /*v323*/
	s_set_vgpr_msb 0x55                     ;  msbs: dst=1 src0=1 src1=1 src2=1
	v_add3_u32 v152 /*v408*/, v151 /*v407*/, v152 /*v408*/, v210 /*v466*/
	s_set_vgpr_msb 0x41                     ;  msbs: dst=1 src0=1 src1=0 src2=0
	v_mul_i32_i24_e32 v210 /*v466*/, v183 /*v439*/, v191
	s_set_vgpr_msb 5                        ;  msbs: dst=0 src0=1 src1=1 src2=0
	v_mul_i32_i24_e32 v84, v194 /*v450*/, v76 /*v332*/
	s_set_vgpr_msb 0x41                     ;  msbs: dst=1 src0=1 src1=0 src2=0
	v_mul_i32_i24_e32 v218 /*v474*/, v191 /*v447*/, v200
	s_set_vgpr_msb 0                        ;  msbs: dst=0 src0=0 src1=0 src2=0
	v_add3_u32 v40, v40, v52, v53
	s_set_vgpr_msb 0x41                     ;  msbs: dst=1 src0=1 src1=0 src2=0
	v_mul_i32_i24_e32 v219 /*v475*/, v192 /*v448*/, v201
	s_set_vgpr_msb 0x55                     ;  msbs: dst=1 src0=1 src1=1 src2=1
	v_add3_u32 v152 /*v408*/, v152 /*v408*/, v210 /*v466*/, v211 /*v467*/
	s_set_vgpr_msb 5                        ;  msbs: dst=0 src0=1 src1=1 src2=0
	v_mul_i32_i24_e32 v86, v195 /*v451*/, v77 /*v333*/
	v_mul_i32_i24_e32 v92, v196 /*v452*/, v78 /*v334*/
	s_set_vgpr_msb 0                        ;  msbs: dst=0 src0=0 src1=0 src2=0
	v_add3_u32 v40, v40, v54, v55
	s_set_vgpr_msb 0x41                     ;  msbs: dst=1 src0=1 src1=0 src2=0
	v_mul_i32_i24_e32 v220 /*v476*/, v193 /*v449*/, v198
	s_set_vgpr_msb 0x55                     ;  msbs: dst=1 src0=1 src1=1 src2=1
	v_add3_u32 v152 /*v408*/, v152 /*v408*/, v212 /*v468*/, v213 /*v469*/
	s_set_vgpr_msb 0x41                     ;  msbs: dst=1 src0=1 src1=0 src2=0
	v_mul_i32_i24_e32 v221 /*v477*/, v194 /*v450*/, v202
	s_set_vgpr_msb 0x45                     ;  msbs: dst=1 src0=1 src1=1 src2=0
	v_mul_i32_i24_e32 v147 /*v403*/, v80 /*v336*/, v197 /*v453*/
	s_set_vgpr_msb 0                        ;  msbs: dst=0 src0=0 src1=0 src2=0
	v_add3_u32 v40, v40, v56, v58
	s_set_vgpr_msb 0x55                     ;  msbs: dst=1 src0=1 src1=1 src2=1
	v_mul_i32_i24_e32 v166 /*v422*/, v79 /*v335*/, v198 /*v454*/
	v_add3_u32 v152 /*v408*/, v152 /*v408*/, v214 /*v470*/, v215 /*v471*/
	s_set_vgpr_msb 0x41                     ;  msbs: dst=1 src0=1 src1=0 src2=0
	v_mul_i32_i24_e32 v222 /*v478*/, v195 /*v451*/, v203
	v_mul_i32_i24_e32 v223 /*v479*/, v196 /*v452*/, v204
	s_set_vgpr_msb 0                        ;  msbs: dst=0 src0=0 src1=0 src2=0
	v_add3_u32 v40, v40, v61, v67
	s_set_vgpr_msb 0x55                     ;  msbs: dst=1 src0=1 src1=1 src2=1
	v_mul_i32_i24_e32 v168 /*v424*/, v81 /*v337*/, v199 /*v455*/
	v_add3_u32 v152 /*v408*/, v152 /*v408*/, v216 /*v472*/, v217 /*v473*/
	v_mul_i32_i24_e32 v169 /*v425*/, v82 /*v338*/, v200 /*v456*/
	s_set_vgpr_msb 0x44                     ;  msbs: dst=1 src0=0 src1=1 src2=0
	v_mul_i32_i24_e32 v224 /*v480*/, v206, v197 /*v453*/
	s_set_vgpr_msb 0                        ;  msbs: dst=0 src0=0 src1=0 src2=0
	v_add3_u32 v40, v40, v69, v71
	s_set_vgpr_msb 0x44                     ;  msbs: dst=1 src0=0 src1=1 src2=0
	v_mul_i32_i24_e32 v225 /*v481*/, v205, v198 /*v454*/
	s_set_vgpr_msb 0x55                     ;  msbs: dst=1 src0=1 src1=1 src2=1
	v_add3_u32 v152 /*v408*/, v152 /*v408*/, v218 /*v474*/, v219 /*v475*/
	v_mul_i32_i24_e32 v170 /*v426*/, v84 /*v340*/, v201 /*v457*/
	v_mul_i32_i24_e32 v171 /*v427*/, v83 /*v339*/, v202 /*v458*/
	s_set_vgpr_msb 0                        ;  msbs: dst=0 src0=0 src1=0 src2=0
	v_add3_u32 v40, v40, v82, v84
	s_set_vgpr_msb 0x44                     ;  msbs: dst=1 src0=0 src1=1 src2=0
	v_mul_i32_i24_e32 v226 /*v482*/, v207, v199 /*v455*/
	s_set_vgpr_msb 0x55                     ;  msbs: dst=1 src0=1 src1=1 src2=1
	v_add3_u32 v152 /*v408*/, v152 /*v408*/, v220 /*v476*/, v221 /*v477*/
	s_set_vgpr_msb 0x44                     ;  msbs: dst=1 src0=0 src1=1 src2=0
	v_mul_i32_i24_e32 v227 /*v483*/, v208, v200 /*v456*/
	s_set_vgpr_msb 0x45                     ;  msbs: dst=1 src0=1 src1=1 src2=0
	v_mul_i32_i24_e32 v172 /*v428*/, v85 /*v341*/, v203 /*v459*/
	s_set_vgpr_msb 0                        ;  msbs: dst=0 src0=0 src1=0 src2=0
	v_add3_u32 v40, v40, v86, v92
	s_set_vgpr_msb 0x55                     ;  msbs: dst=1 src0=1 src1=1 src2=1
	v_mul_i32_i24_e32 v173 /*v429*/, v86 /*v342*/, v204 /*v460*/
	v_add3_u32 v152 /*v408*/, v152 /*v408*/, v222 /*v478*/, v223 /*v479*/
	s_set_vgpr_msb 0x44                     ;  msbs: dst=1 src0=0 src1=1 src2=0
	v_mul_i32_i24_e32 v228 /*v484*/, v210, v201 /*v457*/
	v_mul_i32_i24_e32 v229 /*v485*/, v209, v202 /*v458*/
	s_set_vgpr_msb 20                       ;  msbs: dst=0 src0=0 src1=1 src2=1
	v_add3_u32 v40, v40, v147 /*v403*/, v166 /*v422*/
	s_set_vgpr_msb 0x55                     ;  msbs: dst=1 src0=1 src1=1 src2=1
	v_mul_i32_i24_e32 v174 /*v430*/, v88 /*v344*/, v205 /*v461*/
	v_add3_u32 v152 /*v408*/, v152 /*v408*/, v224 /*v480*/, v225 /*v481*/
	v_mul_i32_i24_e32 v175 /*v431*/, v87 /*v343*/, v206 /*v462*/
	s_set_vgpr_msb 0x41                     ;  msbs: dst=1 src0=1 src1=0 src2=0
	v_mul_i32_i24_e32 v153 /*v409*/, v177 /*v433*/, v190
	s_set_vgpr_msb 20                       ;  msbs: dst=0 src0=0 src1=1 src2=1
	v_add3_u32 v40, v40, v168 /*v424*/, v169 /*v425*/
	s_set_vgpr_msb 0x44                     ;  msbs: dst=1 src0=0 src1=1 src2=0
	v_mul_i32_i24_e32 v230 /*v486*/, v211, v203 /*v459*/
	s_set_vgpr_msb 0x55                     ;  msbs: dst=1 src0=1 src1=1 src2=1
	v_add3_u32 v152 /*v408*/, v152 /*v408*/, v226 /*v482*/, v227 /*v483*/
	s_set_vgpr_msb 0x44                     ;  msbs: dst=1 src0=0 src1=1 src2=0
	v_mul_i32_i24_e32 v231 /*v487*/, v212, v204 /*v460*/
	s_set_vgpr_msb 0x45                     ;  msbs: dst=1 src0=1 src1=1 src2=0
	v_mul_i32_i24_e32 v148 /*v404*/, v177 /*v433*/, v64 /*v320*/
	s_set_vgpr_msb 20                       ;  msbs: dst=0 src0=0 src1=1 src2=1
	v_add3_u32 v40, v40, v170 /*v426*/, v171 /*v427*/
	s_set_vgpr_msb 0x55                     ;  msbs: dst=1 src0=1 src1=1 src2=1
	v_mul_i32_i24_e32 v176 /*v432*/, v207 /*v463*/, v89 /*v345*/
	v_add3_u32 v152 /*v408*/, v152 /*v408*/, v228 /*v484*/, v229 /*v485*/
	v_mul_i32_i24_e32 v177 /*v433*/, v208 /*v464*/, v90 /*v346*/
	s_set_vgpr_msb 0x44                     ;  msbs: dst=1 src0=0 src1=1 src2=0
	v_mul_i32_i24_e32 v232 /*v488*/, v214, v205 /*v461*/
	s_set_vgpr_msb 20                       ;  msbs: dst=0 src0=0 src1=1 src2=1
	v_add3_u32 v40, v40, v172 /*v428*/, v173 /*v429*/
	s_set_vgpr_msb 0x44                     ;  msbs: dst=1 src0=0 src1=1 src2=0
	v_mul_i32_i24_e32 v233 /*v489*/, v213, v206 /*v462*/
	s_set_vgpr_msb 0x55                     ;  msbs: dst=1 src0=1 src1=1 src2=1
	v_add3_u32 v152 /*v408*/, v152 /*v408*/, v230 /*v486*/, v231 /*v487*/
	v_mul_i32_i24_e32 v149 /*v405*/, v178 /*v434*/, v66 /*v322*/
	s_set_vgpr_msb 0x41                     ;  msbs: dst=1 src0=1 src1=0 src2=0
	v_mul_i32_i24_e32 v151 /*v407*/, v209 /*v465*/, v217
	s_set_vgpr_msb 20                       ;  msbs: dst=0 src0=0 src1=1 src2=1
	v_add3_u32 v40, v40, v174 /*v430*/, v175 /*v431*/
	s_set_vgpr_msb 0x55                     ;  msbs: dst=1 src0=1 src1=1 src2=1
	v_mul_i32_i24_e32 v146 /*v402*/, v209 /*v465*/, v91 /*v347*/
	v_add3_u32 v152 /*v408*/, v152 /*v408*/, v232 /*v488*/, v233 /*v489*/
	s_set_vgpr_msb 0x54                     ;  msbs: dst=1 src0=0 src1=1 src2=1
	v_add3_u32 v147 /*v403*/, v40, v176 /*v432*/, v177 /*v433*/
	s_set_vgpr_msb 0                        ;  msbs: dst=0 src0=0 src1=0 src2=0
	v_or_b32_e32 v40, s13, v144
	s_set_vgpr_msb 0x55                     ;  msbs: dst=1 src0=1 src1=1 src2=1
	v_add3_u32 v152 /*v408*/, v152 /*v408*/, v234 /*v490*/, v235 /*v491*/
	s_set_vgpr_msb 0                        ;  msbs: dst=0 src0=0 src1=0 src2=0
	s_delay_alu instid0(VALU_DEP_2)
	v_lshlrev_b32_e32 v52, 2, v40
	s_set_vgpr_msb 64                       ;  msbs: dst=1 src0=0 src1=0 src2=0
	ds_load_b128 v[168:171] /*v[424:427]*/, v52 offset:16896
	ds_load_b128 v[172:175] /*v[428:431]*/, v52 offset:16912
	;; [unrolled: 1-line block ×4, first 2 shown]
	s_set_vgpr_msb 0                        ;  msbs: dst=0 src0=0 src1=0 src2=0
	v_lshrrev_b32_e32 v40, 1, v40
	s_wait_dscnt 0x3
	s_set_vgpr_msb 0x41                     ;  msbs: dst=1 src0=1 src1=0 src2=0
	v_bfe_i32 v228 /*v484*/, v168 /*v424*/, 0, 8
	v_bfe_i32 v199 /*v455*/, v168 /*v424*/, 8, 8
	;; [unrolled: 1-line block ×3, first 2 shown]
	s_set_vgpr_msb 0x44                     ;  msbs: dst=1 src0=0 src1=1 src2=0
	v_dual_ashrrev_i32 v230 /*v486*/, 24, v168 /*v424*/ :: v_dual_ashrrev_i32 v203 /*v459*/, 24, v169 /*v425*/
	s_set_vgpr_msb 1                        ;  msbs: dst=0 src0=1 src1=0 src2=0
	v_mul_i32_i24_e32 v52, v228 /*v484*/, v119
	s_set_vgpr_msb 0x41                     ;  msbs: dst=1 src0=1 src1=0 src2=0
	v_bfe_i32 v200 /*v456*/, v169 /*v425*/, 0, 8
	v_bfe_i32 v201 /*v457*/, v169 /*v425*/, 8, 8
	s_set_vgpr_msb 5                        ;  msbs: dst=0 src0=1 src1=1 src2=0
	v_mul_i32_i24_e32 v53, v229 /*v485*/, v92 /*v348*/
	v_mul_i32_i24_e32 v54, v230 /*v486*/, v93 /*v349*/
	s_set_vgpr_msb 1                        ;  msbs: dst=0 src0=1 src1=0 src2=0
	v_mad_i32_i24 v52, v199 /*v455*/, v118, v52
	s_set_vgpr_msb 0x41                     ;  msbs: dst=1 src0=1 src1=0 src2=0
	v_bfe_i32 v202 /*v458*/, v169 /*v425*/, 16, 8
	v_bfe_i32 v204 /*v460*/, v170 /*v426*/, 0, 8
	;; [unrolled: 1-line block ×3, first 2 shown]
	s_set_vgpr_msb 5                        ;  msbs: dst=0 src0=1 src1=1 src2=0
	v_mul_i32_i24_e32 v56, v203 /*v459*/, v97 /*v353*/
	s_set_vgpr_msb 0                        ;  msbs: dst=0 src0=0 src1=0 src2=0
	v_add3_u32 v52, v52, v53, v54
	s_set_vgpr_msb 5                        ;  msbs: dst=0 src0=1 src1=1 src2=0
	v_mul_i32_i24_e32 v53, v200 /*v456*/, v94 /*v350*/
	v_mul_i32_i24_e32 v54, v201 /*v457*/, v95 /*v351*/
	v_mul_i32_i24_e32 v55, v202 /*v458*/, v96 /*v352*/
	s_set_vgpr_msb 0x41                     ;  msbs: dst=1 src0=1 src1=0 src2=0
	v_bfe_i32 v206 /*v462*/, v170 /*v426*/, 16, 8
	s_set_vgpr_msb 0x44                     ;  msbs: dst=1 src0=0 src1=1 src2=0
	v_dual_ashrrev_i32 v207 /*v463*/, 24, v170 /*v426*/ :: v_dual_ashrrev_i32 v211 /*v467*/, 24, v171 /*v427*/
	s_set_vgpr_msb 0                        ;  msbs: dst=0 src0=0 src1=0 src2=0
	v_add3_u32 v52, v52, v53, v54
	s_set_vgpr_msb 5                        ;  msbs: dst=0 src0=1 src1=1 src2=0
	v_mul_i32_i24_e32 v58, v204 /*v460*/, v98 /*v354*/
	v_mul_i32_i24_e32 v61, v205 /*v461*/, v99 /*v355*/
	s_set_vgpr_msb 0x41                     ;  msbs: dst=1 src0=1 src1=0 src2=0
	v_bfe_i32 v208 /*v464*/, v171 /*v427*/, 0, 8
	v_bfe_i32 v209 /*v465*/, v171 /*v427*/, 8, 8
	s_set_vgpr_msb 0                        ;  msbs: dst=0 src0=0 src1=0 src2=0
	v_add3_u32 v52, v52, v55, v56
	s_set_vgpr_msb 5                        ;  msbs: dst=0 src0=1 src1=1 src2=0
	v_mul_i32_i24_e32 v67, v206 /*v462*/, v100 /*v356*/
	v_mul_i32_i24_e32 v69, v207 /*v463*/, v101 /*v357*/
	s_set_vgpr_msb 0x41                     ;  msbs: dst=1 src0=1 src1=0 src2=0
	v_bfe_i32 v210 /*v466*/, v171 /*v427*/, 16, 8
	s_set_vgpr_msb 5                        ;  msbs: dst=0 src0=1 src1=1 src2=0
	v_mul_i32_i24_e32 v71, v208 /*v464*/, v102 /*v358*/
	s_set_vgpr_msb 0                        ;  msbs: dst=0 src0=0 src1=0 src2=0
	v_add3_u32 v52, v52, v58, v61
	s_set_vgpr_msb 5                        ;  msbs: dst=0 src0=1 src1=1 src2=0
	v_mul_i32_i24_e32 v82, v209 /*v465*/, v103 /*v359*/
	s_wait_dscnt 0x2
	s_set_vgpr_msb 0x41                     ;  msbs: dst=1 src0=1 src1=0 src2=0
	v_bfe_i32 v212 /*v468*/, v172 /*v428*/, 0, 8
	v_bfe_i32 v213 /*v469*/, v172 /*v428*/, 8, 8
	s_set_vgpr_msb 5                        ;  msbs: dst=0 src0=1 src1=1 src2=0
	v_mul_i32_i24_e32 v84, v210 /*v466*/, v104 /*v360*/
	s_set_vgpr_msb 0                        ;  msbs: dst=0 src0=0 src1=0 src2=0
	v_add3_u32 v52, v52, v67, v69
	s_set_vgpr_msb 5                        ;  msbs: dst=0 src0=1 src1=1 src2=0
	v_mul_i32_i24_e32 v86, v211 /*v467*/, v105 /*v361*/
	s_set_vgpr_msb 0x41                     ;  msbs: dst=1 src0=1 src1=0 src2=0
	v_bfe_i32 v214 /*v470*/, v172 /*v428*/, 16, 8
	s_set_vgpr_msb 0x44                     ;  msbs: dst=1 src0=0 src1=1 src2=0
	v_dual_ashrrev_i32 v215 /*v471*/, 24, v172 /*v428*/ :: v_dual_ashrrev_i32 v219 /*v475*/, 24, v173 /*v429*/
	s_set_vgpr_msb 0                        ;  msbs: dst=0 src0=0 src1=0 src2=0
	v_add3_u32 v52, v52, v71, v82
	s_set_vgpr_msb 5                        ;  msbs: dst=0 src0=1 src1=1 src2=0
	v_mul_i32_i24_e32 v92, v212 /*v468*/, v106 /*v362*/
	v_mul_i32_i24_e32 v118, v213 /*v469*/, v107 /*v363*/
	s_set_vgpr_msb 0x41                     ;  msbs: dst=1 src0=1 src1=0 src2=0
	v_bfe_i32 v216 /*v472*/, v173 /*v429*/, 0, 8
	v_bfe_i32 v217 /*v473*/, v173 /*v429*/, 8, 8
	s_set_vgpr_msb 0                        ;  msbs: dst=0 src0=0 src1=0 src2=0
	v_add3_u32 v52, v52, v84, v86
	s_set_vgpr_msb 5                        ;  msbs: dst=0 src0=1 src1=1 src2=0
	v_mul_i32_i24_e32 v119, v214 /*v470*/, v108 /*v364*/
	s_set_vgpr_msb 0x45                     ;  msbs: dst=1 src0=1 src1=1 src2=0
	v_mul_i32_i24_e32 v92 /*v348*/, v215 /*v471*/, v109 /*v365*/
	v_bfe_i32 v218 /*v474*/, v173 /*v429*/, 16, 8
	v_mul_i32_i24_e32 v93 /*v349*/, v111 /*v367*/, v216 /*v472*/
	s_set_vgpr_msb 0                        ;  msbs: dst=0 src0=0 src1=0 src2=0
	v_add3_u32 v52, v52, v92, v118
	s_set_vgpr_msb 0x45                     ;  msbs: dst=1 src0=1 src1=1 src2=0
	v_mul_i32_i24_e32 v96 /*v352*/, v110 /*v366*/, v217 /*v473*/
	v_bfe_i32 v220 /*v476*/, v174 /*v430*/, 0, 8
	v_bfe_i32 v221 /*v477*/, v174 /*v430*/, 8, 8
	v_mul_i32_i24_e32 v97 /*v353*/, v113 /*v369*/, v218 /*v474*/
	s_set_vgpr_msb 16                       ;  msbs: dst=0 src0=0 src1=0 src2=1
	v_add3_u32 v52, v52, v119, v92 /*v348*/
	s_set_vgpr_msb 0x45                     ;  msbs: dst=1 src0=1 src1=1 src2=0
	v_mul_i32_i24_e32 v98 /*v354*/, v112 /*v368*/, v219 /*v475*/
	v_bfe_i32 v222 /*v478*/, v174 /*v430*/, 16, 8
	v_dual_ashrrev_i32 v223 /*v479*/, 24, v174 /*v430*/ :: v_dual_ashrrev_i32 v227 /*v483*/, 24, v175 /*v431*/
	s_set_vgpr_msb 20                       ;  msbs: dst=0 src0=0 src1=1 src2=1
	v_add3_u32 v52, v52, v93 /*v349*/, v96 /*v352*/
	s_set_vgpr_msb 0x45                     ;  msbs: dst=1 src0=1 src1=1 src2=0
	v_mul_i32_i24_e32 v99 /*v355*/, v121 /*v377*/, v220 /*v476*/
	v_mul_i32_i24_e32 v100 /*v356*/, v114 /*v370*/, v221 /*v477*/
	v_bfe_i32 v224 /*v480*/, v175 /*v431*/, 0, 8
	v_bfe_i32 v225 /*v481*/, v175 /*v431*/, 8, 8
	s_set_vgpr_msb 20                       ;  msbs: dst=0 src0=0 src1=1 src2=1
	v_add3_u32 v52, v52, v97 /*v353*/, v98 /*v354*/
	s_set_vgpr_msb 0x45                     ;  msbs: dst=1 src0=1 src1=1 src2=0
	v_mul_i32_i24_e32 v101 /*v357*/, v125 /*v381*/, v222 /*v478*/
	v_mul_i32_i24_e32 v102 /*v358*/, v122 /*v378*/, v223 /*v479*/
	s_wait_dscnt 0x1
	v_bfe_i32 v196 /*v452*/, v178 /*v434*/, 0, 8
	v_mul_i32_i24_e32 v103 /*v359*/, v224 /*v480*/, v128 /*v384*/
	s_set_vgpr_msb 20                       ;  msbs: dst=0 src0=0 src1=1 src2=1
	v_add3_u32 v52, v52, v99 /*v355*/, v100 /*v356*/
	s_set_vgpr_msb 0x45                     ;  msbs: dst=1 src0=1 src1=1 src2=0
	v_mul_i32_i24_e32 v104 /*v360*/, v225 /*v481*/, v129 /*v385*/
	v_bfe_i32 v168 /*v424*/, v178 /*v434*/, 8, 8
	v_bfe_i32 v197 /*v453*/, v178 /*v434*/, 16, 8
	v_dual_ashrrev_i32 v198 /*v454*/, 24, v178 /*v434*/ :: v_dual_ashrrev_i32 v172 /*v428*/, 24, v179 /*v435*/
	s_set_vgpr_msb 20                       ;  msbs: dst=0 src0=0 src1=1 src2=1
	v_add3_u32 v52, v52, v101 /*v357*/, v102 /*v358*/
	s_set_vgpr_msb 0x41                     ;  msbs: dst=1 src0=1 src1=0 src2=0
	v_bfe_i32 v169 /*v425*/, v179 /*v435*/, 0, 8
	v_bfe_i32 v170 /*v426*/, v179 /*v435*/, 8, 8
	s_set_vgpr_msb 5                        ;  msbs: dst=0 src0=1 src1=1 src2=0
	v_mul_i32_i24_e32 v53, v132 /*v388*/, v197 /*v453*/
	v_mul_i32_i24_e32 v54, v123 /*v379*/, v198 /*v454*/
	s_set_vgpr_msb 0x54                     ;  msbs: dst=1 src0=0 src1=1 src2=1
	v_add3_u32 v96 /*v352*/, v52, v103 /*v359*/, v104 /*v360*/
	s_set_vgpr_msb 4                        ;  msbs: dst=0 src0=0 src1=1 src2=0
	v_mul_i32_i24_e32 v52, v116, v196 /*v452*/
	s_set_vgpr_msb 0x41                     ;  msbs: dst=1 src0=1 src1=0 src2=0
	v_bfe_i32 v171 /*v427*/, v179 /*v435*/, 16, 8
	v_bfe_i32 v173 /*v429*/, v180 /*v436*/, 0, 8
	;; [unrolled: 1-line block ×3, first 2 shown]
	s_set_vgpr_msb 5                        ;  msbs: dst=0 src0=1 src1=1 src2=0
	v_mul_i32_i24_e32 v56, v115 /*v371*/, v172 /*v428*/
	s_set_vgpr_msb 4                        ;  msbs: dst=0 src0=0 src1=1 src2=0
	v_mad_i32_i24 v52, v113, v168 /*v424*/, v52
	s_set_vgpr_msb 5                        ;  msbs: dst=0 src0=1 src1=1 src2=0
	v_mul_i32_i24_e32 v55, v133 /*v389*/, v171 /*v427*/
	s_set_vgpr_msb 0x41                     ;  msbs: dst=1 src0=1 src1=0 src2=0
	v_bfe_i32 v226 /*v482*/, v175 /*v431*/, 16, 8
	v_bfe_i32 v175 /*v431*/, v180 /*v436*/, 16, 8
	s_set_vgpr_msb 0x44                     ;  msbs: dst=1 src0=0 src1=1 src2=0
	v_dual_ashrrev_i32 v176 /*v432*/, 24, v180 /*v436*/ :: v_dual_ashrrev_i32 v180 /*v436*/, 24, v181 /*v437*/
	s_set_vgpr_msb 0                        ;  msbs: dst=0 src0=0 src1=0 src2=0
	v_add3_u32 v52, v52, v53, v54
	s_set_vgpr_msb 4                        ;  msbs: dst=0 src0=0 src1=1 src2=0
	v_mul_i32_i24_e32 v53, v117, v169 /*v425*/
	s_set_vgpr_msb 5                        ;  msbs: dst=0 src0=1 src1=1 src2=0
	v_mul_i32_i24_e32 v54, v134 /*v390*/, v170 /*v426*/
	s_set_vgpr_msb 4                        ;  msbs: dst=0 src0=0 src1=1 src2=0
	v_mul_i32_i24_e32 v58, v114, v173 /*v429*/
	s_set_vgpr_msb 5                        ;  msbs: dst=0 src0=1 src1=1 src2=0
	v_mul_i32_i24_e32 v61, v136 /*v392*/, v174 /*v430*/
	s_set_vgpr_msb 0x41                     ;  msbs: dst=1 src0=1 src1=0 src2=0
	v_bfe_i32 v177 /*v433*/, v181 /*v437*/, 0, 8
	v_bfe_i32 v178 /*v434*/, v181 /*v437*/, 8, 8
	s_set_vgpr_msb 0                        ;  msbs: dst=0 src0=0 src1=0 src2=0
	v_add3_u32 v52, v52, v53, v54
	s_set_vgpr_msb 5                        ;  msbs: dst=0 src0=1 src1=1 src2=0
	v_mul_i32_i24_e32 v67, v135 /*v391*/, v175 /*v431*/
	v_mul_i32_i24_e32 v69, v116 /*v372*/, v176 /*v432*/
	s_set_vgpr_msb 0x41                     ;  msbs: dst=1 src0=1 src1=0 src2=0
	v_bfe_i32 v179 /*v435*/, v181 /*v437*/, 16, 8
	s_set_vgpr_msb 4                        ;  msbs: dst=0 src0=0 src1=1 src2=0
	v_mul_i32_i24_e32 v71, v115, v177 /*v433*/
	s_set_vgpr_msb 0                        ;  msbs: dst=0 src0=0 src1=0 src2=0
	v_add3_u32 v52, v52, v55, v56
	s_set_vgpr_msb 5                        ;  msbs: dst=0 src0=1 src1=1 src2=0
	v_mul_i32_i24_e32 v82, v138 /*v394*/, v178 /*v434*/
	s_wait_dscnt 0x0
	s_set_vgpr_msb 0x41                     ;  msbs: dst=1 src0=1 src1=0 src2=0
	v_bfe_i32 v181 /*v437*/, v232 /*v488*/, 0, 8
	v_bfe_i32 v182 /*v438*/, v232 /*v488*/, 8, 8
	s_set_vgpr_msb 5                        ;  msbs: dst=0 src0=1 src1=1 src2=0
	v_mul_i32_i24_e32 v84, v137 /*v393*/, v179 /*v435*/
	s_set_vgpr_msb 0                        ;  msbs: dst=0 src0=0 src1=0 src2=0
	v_add3_u32 v52, v52, v58, v61
	s_set_vgpr_msb 5                        ;  msbs: dst=0 src0=1 src1=1 src2=0
	v_mul_i32_i24_e32 v86, v117 /*v373*/, v180 /*v436*/
	s_set_vgpr_msb 0x41                     ;  msbs: dst=1 src0=1 src1=0 src2=0
	v_bfe_i32 v183 /*v439*/, v232 /*v488*/, 16, 8
	s_set_vgpr_msb 0x44                     ;  msbs: dst=1 src0=0 src1=1 src2=0
	v_dual_ashrrev_i32 v184 /*v440*/, 24, v232 /*v488*/ :: v_dual_ashrrev_i32 v188 /*v444*/, 24, v233 /*v489*/
	s_set_vgpr_msb 0                        ;  msbs: dst=0 src0=0 src1=0 src2=0
	v_add3_u32 v52, v52, v67, v69
	s_set_vgpr_msb 4                        ;  msbs: dst=0 src0=0 src1=1 src2=0
	v_mul_i32_i24_e32 v92, v110, v181 /*v437*/
	s_set_vgpr_msb 5                        ;  msbs: dst=0 src0=1 src1=1 src2=0
	v_mul_i32_i24_e32 v110, v140 /*v396*/, v182 /*v438*/
	s_set_vgpr_msb 0x41                     ;  msbs: dst=1 src0=1 src1=0 src2=0
	v_bfe_i32 v185 /*v441*/, v233 /*v489*/, 0, 8
	v_bfe_i32 v186 /*v442*/, v233 /*v489*/, 8, 8
	s_set_vgpr_msb 0                        ;  msbs: dst=0 src0=0 src1=0 src2=0
	v_add3_u32 v52, v52, v71, v82
	s_set_vgpr_msb 5                        ;  msbs: dst=0 src0=1 src1=1 src2=0
	v_mul_i32_i24_e32 v113, v139 /*v395*/, v183 /*v439*/
	v_mul_i32_i24_e32 v114, v118 /*v374*/, v184 /*v440*/
	s_set_vgpr_msb 0x41                     ;  msbs: dst=1 src0=1 src1=0 src2=0
	v_bfe_i32 v187 /*v443*/, v233 /*v489*/, 16, 8
	s_set_vgpr_msb 4                        ;  msbs: dst=0 src0=0 src1=1 src2=0
	v_mul_i32_i24_e32 v111, v111, v185 /*v441*/
	s_set_vgpr_msb 0                        ;  msbs: dst=0 src0=0 src1=0 src2=0
	v_add3_u32 v52, v52, v84, v86
	s_set_vgpr_msb 5                        ;  msbs: dst=0 src0=1 src1=1 src2=0
	v_mul_i32_i24_e32 v115, v142 /*v398*/, v186 /*v442*/
	s_set_vgpr_msb 0x41                     ;  msbs: dst=1 src0=1 src1=0 src2=0
	v_bfe_i32 v189 /*v445*/, v234 /*v490*/, 0, 8
	v_bfe_i32 v190 /*v446*/, v234 /*v490*/, 8, 8
	s_set_vgpr_msb 5                        ;  msbs: dst=0 src0=1 src1=1 src2=0
	v_mul_i32_i24_e32 v116, v141 /*v397*/, v187 /*v443*/
	s_set_vgpr_msb 0                        ;  msbs: dst=0 src0=0 src1=0 src2=0
	v_add3_u32 v52, v52, v92, v110
	s_set_vgpr_msb 5                        ;  msbs: dst=0 src0=1 src1=1 src2=0
	v_mul_i32_i24_e32 v117, v119 /*v375*/, v188 /*v444*/
	s_set_vgpr_msb 0x41                     ;  msbs: dst=1 src0=1 src1=0 src2=0
	v_bfe_i32 v191 /*v447*/, v234 /*v490*/, 16, 8
	s_set_vgpr_msb 0x44                     ;  msbs: dst=1 src0=0 src1=1 src2=0
	v_dual_ashrrev_i32 v192 /*v448*/, 24, v234 /*v490*/ :: v_dual_ashrrev_i32 v166 /*v422*/, 24, v235 /*v491*/
	s_set_vgpr_msb 0                        ;  msbs: dst=0 src0=0 src1=0 src2=0
	v_add3_u32 v52, v52, v113, v114
	s_set_vgpr_msb 4                        ;  msbs: dst=0 src0=0 src1=1 src2=0
	v_mul_i32_i24_e32 v112, v112, v189 /*v445*/
	s_set_vgpr_msb 5                        ;  msbs: dst=0 src0=1 src1=1 src2=0
	v_mul_i32_i24_e32 v118, v144 /*v400*/, v190 /*v446*/
	v_mul_i32_i24_e32 v119, v143 /*v399*/, v191 /*v447*/
	s_set_vgpr_msb 0x45                     ;  msbs: dst=1 src0=1 src1=1 src2=0
	v_mul_i32_i24_e32 v93 /*v349*/, v120 /*v376*/, v192 /*v448*/
	s_set_vgpr_msb 0                        ;  msbs: dst=0 src0=0 src1=0 src2=0
	v_add3_u32 v52, v52, v111, v115
	s_set_vgpr_msb 0x45                     ;  msbs: dst=1 src0=1 src1=1 src2=0
	v_bfe_i32 v193 /*v449*/, v235 /*v491*/, 0, 8
	v_bfe_i32 v194 /*v450*/, v235 /*v491*/, 8, 8
	v_mul_i32_i24_e32 v94 /*v350*/, v226 /*v482*/, v130 /*v386*/
	v_mul_i32_i24_e32 v95 /*v351*/, v227 /*v483*/, v131 /*v387*/
	s_set_vgpr_msb 0                        ;  msbs: dst=0 src0=0 src1=0 src2=0
	v_add3_u32 v52, v52, v116, v117
	s_set_vgpr_msb 1                        ;  msbs: dst=0 src0=1 src1=0 src2=0
	ds_load_b64 v[116:117], v167 /*v423*/ offset:27200
	s_set_vgpr_msb 0x45                     ;  msbs: dst=1 src0=1 src1=1 src2=0
	v_mul_i32_i24_e32 v97 /*v353*/, v193 /*v449*/, v124 /*v380*/
	v_mul_i32_i24_e32 v98 /*v354*/, v194 /*v450*/, v126 /*v382*/
	v_bfe_i32 v195 /*v451*/, v235 /*v491*/, 16, 8
	s_set_vgpr_msb 0                        ;  msbs: dst=0 src0=0 src1=0 src2=0
	v_add3_u32 v52, v52, v112, v118
	s_set_vgpr_msb 1                        ;  msbs: dst=0 src0=1 src1=0 src2=0
	v_mul_i32_i24_e32 v53, v230 /*v486*/, v222
	v_mul_i32_i24_e32 v54, v202 /*v458*/, v225
	;; [unrolled: 1-line block ×3, first 2 shown]
	s_set_vgpr_msb 0x45                     ;  msbs: dst=1 src0=1 src1=1 src2=0
	v_mul_i32_i24_e32 v92 /*v348*/, v195 /*v451*/, v127 /*v383*/
	s_set_vgpr_msb 16                       ;  msbs: dst=0 src0=0 src1=0 src2=1
	v_add3_u32 v52, v52, v119, v93 /*v349*/
	ds_load_b64 v[118:119], v40 offset:27200
	s_set_vgpr_msb 1                        ;  msbs: dst=0 src0=1 src1=0 src2=0
	v_mul_i32_i24_e32 v56, v204 /*v460*/, v227
	v_mul_i32_i24_e32 v58, v205 /*v461*/, v228
	;; [unrolled: 1-line block ×3, first 2 shown]
	s_set_vgpr_msb 0x54                     ;  msbs: dst=1 src0=0 src1=1 src2=1
	v_add3_u32 v93 /*v349*/, v52, v97 /*v353*/, v98 /*v354*/
	s_set_vgpr_msb 1                        ;  msbs: dst=0 src0=1 src1=0 src2=0
	v_mul_i32_i24_e32 v67, v207 /*v463*/, v230
	v_mul_i32_i24_e32 v69, v208 /*v464*/, v231
	;; [unrolled: 1-line block ×5, first 2 shown]
	s_wait_dscnt 0x1
	v_lshrrev_b32_e32 v52, 16, v116
	s_set_vgpr_msb 0                        ;  msbs: dst=0 src0=0 src1=0 src2=0
	v_cvt_f32_f16_e32 v114, v116
	v_cvt_f32_f16_e32 v110, v117
	s_set_vgpr_msb 1                        ;  msbs: dst=0 src0=1 src1=0 src2=0
	v_mul_i32_i24_e32 v86, v212 /*v468*/, v235
	v_mul_i32_i24_e32 v92, v213 /*v469*/, v236
	s_set_vgpr_msb 0                        ;  msbs: dst=0 src0=0 src1=0 src2=0
	v_cvt_f32_f16_e32 v112, v52
	s_set_vgpr_msb 1                        ;  msbs: dst=0 src0=1 src1=0 src2=0
	v_mul_i32_i24_e32 v222, v224 /*v480*/, v251
	s_set_vgpr_msb 5                        ;  msbs: dst=0 src0=1 src1=1 src2=0
	v_mul_i32_i24_e32 v225, v227 /*v483*/, v0 /*v256*/
	v_mul_i32_i24_e32 v226, v194 /*v450*/, v24 /*v280*/
	;; [unrolled: 1-line block ×3, first 2 shown]
	s_wait_dscnt 0x0
	s_set_vgpr_msb 0                        ;  msbs: dst=0 src0=0 src1=0 src2=0
	v_dual_lshrrev_b32 v40, 16, v118 :: v_dual_lshrrev_b32 v52, 16, v119
	v_cvt_f32_f16_e32 v111, v119
	v_cvt_f32_f16_e32 v115, v118
	s_delay_alu instid0(VALU_DEP_3)
	v_cvt_f32_f16_e32 v113, v40
	v_lshrrev_b32_e32 v40, 16, v117
	v_cvt_f32_f16_e32 v117, v52
	s_set_vgpr_msb 21                       ;  msbs: dst=0 src0=1 src1=1 src2=1
	v_add3_u32 v52, v165 /*v421*/, v163 /*v419*/, v164 /*v420*/
	s_set_vgpr_msb 0                        ;  msbs: dst=0 src0=0 src1=0 src2=0
	v_cvt_f32_f16_e32 v116, v40
	s_set_vgpr_msb 21                       ;  msbs: dst=0 src0=1 src1=1 src2=1
	v_add3_u32 v40, v96 /*v352*/, v94 /*v350*/, v95 /*v351*/
	s_set_vgpr_msb 0                        ;  msbs: dst=0 src0=0 src1=0 src2=0
	v_mul_lo_u32 v52, v52, v105
	s_set_vgpr_msb 64                       ;  msbs: dst=1 src0=0 src1=0 src2=0
	v_pk_fma_f32 v[94:95] /*v[350:351]*/, v[98:99], v[112:113], 0 op_sel_hi:[0,1,0]
	s_set_vgpr_msb 1                        ;  msbs: dst=0 src0=1 src1=0 src2=0
	v_mul_i32_i24_e32 v98, v214 /*v470*/, v237
	s_set_vgpr_msb 0                        ;  msbs: dst=0 src0=0 src1=0 src2=0
	v_mul_lo_u32 v40, v40, v105
	s_set_vgpr_msb 4                        ;  msbs: dst=0 src0=0 src1=1 src2=0
	v_mul_i32_i24_e32 v105, v242, v218 /*v474*/
	v_cvt_f32_i32_e32 v118, v52
	s_set_vgpr_msb 1                        ;  msbs: dst=0 src0=1 src1=0 src2=0
	v_mul_i32_i24_e32 v52, v166 /*v422*/, v103
	s_set_vgpr_msb 0                        ;  msbs: dst=0 src0=0 src1=0 src2=0
	s_delay_alu instid0(VALU_DEP_4)
	v_cvt_f32_i32_e32 v119, v40
	s_set_vgpr_msb 1                        ;  msbs: dst=0 src0=1 src1=0 src2=0
	v_mul_i32_i24_e32 v40, v145 /*v401*/, v103
	s_set_vgpr_msb 5                        ;  msbs: dst=0 src0=1 src1=1 src2=0
	v_add3_u32 v52, v93 /*v349*/, v92 /*v348*/, v52
	s_set_vgpr_msb 4                        ;  msbs: dst=0 src0=0 src1=1 src2=0
	v_mul_i32_i24_e32 v103, v239, v217 /*v473*/
	s_set_vgpr_msb 0                        ;  msbs: dst=0 src0=0 src1=0 src2=0
	v_pk_fma_f32 v[118:119], v[114:115], v[118:119], 0 op_sel_hi:[1,1,0]
	s_set_vgpr_msb 5                        ;  msbs: dst=0 src0=1 src1=1 src2=0
	v_add3_u32 v40, v162 /*v418*/, v161 /*v417*/, v40
	s_set_vgpr_msb 16                       ;  msbs: dst=0 src0=0 src1=0 src2=1
	v_mul_lo_u32 v52, v52, v101
	s_delay_alu instid0(VALU_DEP_2) | instskip(SKIP_1) | instid1(VALU_DEP_1)
	v_mul_lo_u32 v40, v40, v101
	v_pk_fma_f32 v[100:101], v[100:101], v[116:117], v[94:95] /*v[350:351]*/ op_sel_hi:[0,1,1]
	v_pk_mul_f32 v[100:101], v[100:101], v[8:9]
	s_set_vgpr_msb 64                       ;  msbs: dst=1 src0=0 src1=0 src2=0
	s_delay_alu instid0(VALU_DEP_4)
	v_cvt_f32_i32_e32 v93 /*v349*/, v52
	s_set_vgpr_msb 1                        ;  msbs: dst=0 src0=1 src1=0 src2=0
	v_mul_i32_i24_e32 v52, v229 /*v485*/, v221
	s_set_vgpr_msb 4                        ;  msbs: dst=0 src0=0 src1=1 src2=0
	v_mul_i32_i24_e32 v221, v245, v223 /*v479*/
	s_set_vgpr_msb 64                       ;  msbs: dst=1 src0=0 src1=0 src2=0
	v_cvt_f32_i32_e32 v92 /*v348*/, v40
	s_set_vgpr_msb 1                        ;  msbs: dst=0 src0=1 src1=0 src2=0
	v_mul_i32_i24_e32 v40, v228 /*v484*/, v220
	s_set_vgpr_msb 4                        ;  msbs: dst=0 src0=0 src1=1 src2=0
	v_mul_i32_i24_e32 v220, v247, v222 /*v478*/
	v_pk_fma_f32 v[118:119], v[110:111], v[92:93] /*v[348:349]*/, v[118:119]
	s_set_vgpr_msb 1                        ;  msbs: dst=0 src0=1 src1=0 src2=0
	v_mad_i32_i24 v40, v199 /*v455*/, v219, v40
	s_set_vgpr_msb 4                        ;  msbs: dst=0 src0=0 src1=1 src2=0
	v_mul_i32_i24_e32 v219, v243, v221 /*v477*/
	s_set_vgpr_msb 0                        ;  msbs: dst=0 src0=0 src1=0 src2=0
	v_pk_fma_f32 v[100:101], v[118:119], v[0:1], v[100:101] neg_lo:[0,0,1] neg_hi:[0,0,1]
	v_add3_u32 v40, v40, v52, v53
	s_set_vgpr_msb 1                        ;  msbs: dst=0 src0=1 src1=0 src2=0
	v_mul_i32_i24_e32 v52, v200 /*v456*/, v223
	v_mul_i32_i24_e32 v53, v201 /*v457*/, v224
	s_set_vgpr_msb 4                        ;  msbs: dst=0 src0=0 src1=1 src2=0
	v_mul_i32_i24_e32 v118, v241, v219 /*v475*/
	s_set_vgpr_msb 0                        ;  msbs: dst=0 src0=0 src1=0 src2=0
	v_pk_add_f32 v[22:23], v[22:23], v[100:101]
	s_set_vgpr_msb 1                        ;  msbs: dst=0 src0=1 src1=0 src2=0
	v_mul_i32_i24_e32 v100, v215 /*v471*/, v238
	s_set_vgpr_msb 4                        ;  msbs: dst=0 src0=0 src1=1 src2=0
	v_mul_i32_i24_e32 v101, v240, v216 /*v472*/
	s_set_vgpr_msb 0                        ;  msbs: dst=0 src0=0 src1=0 src2=0
	v_add3_u32 v40, v40, v52, v53
	s_set_vgpr_msb 1                        ;  msbs: dst=0 src0=1 src1=0 src2=0
	v_mul_i32_i24_e32 v52, v196 /*v452*/, v249
	v_mul_i32_i24_e32 v53, v197 /*v453*/, v246
	s_set_vgpr_msb 4                        ;  msbs: dst=0 src0=0 src1=1 src2=0
	v_mul_i32_i24_e32 v119, v244, v220 /*v476*/
	s_set_vgpr_msb 1                        ;  msbs: dst=0 src0=1 src1=0 src2=0
	v_mul_i32_i24_e32 v223, v225 /*v481*/, v253
	s_set_vgpr_msb 0                        ;  msbs: dst=0 src0=0 src1=0 src2=0
	v_add3_u32 v40, v40, v54, v55
	s_set_vgpr_msb 1                        ;  msbs: dst=0 src0=1 src1=0 src2=0
	v_mul_i32_i24_e32 v54, v198 /*v454*/, v252
	v_mad_i32_i24 v52, v168 /*v424*/, v248, v52
	v_mul_i32_i24_e32 v55, v171 /*v427*/, v250
	v_mul_i32_i24_e32 v224, v226 /*v482*/, v254
	s_set_vgpr_msb 0                        ;  msbs: dst=0 src0=0 src1=0 src2=0
	v_add3_u32 v40, v40, v56, v58
	s_set_vgpr_msb 5                        ;  msbs: dst=0 src0=1 src1=1 src2=0
	v_mul_i32_i24_e32 v56, v172 /*v428*/, v3 /*v259*/
	s_set_vgpr_msb 0                        ;  msbs: dst=0 src0=0 src1=0 src2=0
	v_add3_u32 v52, v52, v53, v54
	s_set_vgpr_msb 1                        ;  msbs: dst=0 src0=1 src1=0 src2=0
	v_mul_i32_i24_e32 v53, v169 /*v425*/, v255
	s_set_vgpr_msb 5                        ;  msbs: dst=0 src0=1 src1=1 src2=0
	v_mul_i32_i24_e32 v54, v170 /*v426*/, v1 /*v257*/
	s_set_vgpr_msb 0                        ;  msbs: dst=0 src0=0 src1=0 src2=0
	v_add3_u32 v40, v40, v61, v67
	s_set_vgpr_msb 5                        ;  msbs: dst=0 src0=1 src1=1 src2=0
	v_mul_i32_i24_e32 v58, v173 /*v429*/, v4 /*v260*/
	v_mul_i32_i24_e32 v61, v174 /*v430*/, v5 /*v261*/
	;; [unrolled: 1-line block ×3, first 2 shown]
	s_set_vgpr_msb 0                        ;  msbs: dst=0 src0=0 src1=0 src2=0
	v_add3_u32 v52, v52, v53, v54
	v_add3_u32 v40, v40, v69, v71
	s_set_vgpr_msb 21                       ;  msbs: dst=0 src0=1 src1=1 src2=1
	v_mul_i32_i24_e32 v69, v176 /*v432*/, v7 /*v263*/
	v_mul_i32_i24_e32 v71, v177 /*v433*/, v8 /*v264*/
	v_add3_u32 v53, v160 /*v416*/, v158 /*v414*/, v159 /*v415*/
	s_set_vgpr_msb 0                        ;  msbs: dst=0 src0=0 src1=0 src2=0
	v_add3_u32 v52, v52, v55, v56
	v_add3_u32 v40, v40, v82, v84
	s_set_vgpr_msb 5                        ;  msbs: dst=0 src0=1 src1=1 src2=0
	v_mul_i32_i24_e32 v82, v178 /*v434*/, v9 /*v265*/
	v_mul_i32_i24_e32 v84, v179 /*v435*/, v6 /*v262*/
	s_set_vgpr_msb 0                        ;  msbs: dst=0 src0=0 src1=0 src2=0
	v_mul_lo_u32 v53, v53, v218
	v_add3_u32 v52, v52, v58, v61
	v_add3_u32 v40, v40, v86, v92
	s_set_vgpr_msb 5                        ;  msbs: dst=0 src0=1 src1=1 src2=0
	v_mul_i32_i24_e32 v86, v180 /*v436*/, v10 /*v266*/
	v_mul_i32_i24_e32 v92, v181 /*v437*/, v11 /*v267*/
	s_set_vgpr_msb 1                        ;  msbs: dst=0 src0=1 src1=0 src2=0
	v_mul_i32_i24_e32 v54, v202 /*v458*/, v161
	s_set_vgpr_msb 0                        ;  msbs: dst=0 src0=0 src1=0 src2=0
	v_add3_u32 v52, v52, v67, v69
	v_add3_u32 v40, v40, v98, v100
	s_set_vgpr_msb 5                        ;  msbs: dst=0 src0=1 src1=1 src2=0
	v_mul_i32_i24_e32 v98, v182 /*v438*/, v12 /*v268*/
	v_mul_i32_i24_e32 v100, v14 /*v270*/, v183 /*v439*/
	s_set_vgpr_msb 1                        ;  msbs: dst=0 src0=1 src1=0 src2=0
	v_mul_i32_i24_e32 v55, v203 /*v459*/, v162
	s_set_vgpr_msb 0                        ;  msbs: dst=0 src0=0 src1=0 src2=0
	;; [unrolled: 8-line block ×5, first 2 shown]
	v_add3_u32 v52, v52, v100, v101
	v_add3_u32 v40, v40, v220, v221
	s_set_vgpr_msb 5                        ;  msbs: dst=0 src0=1 src1=1 src2=0
	v_mul_i32_i24_e32 v220, v20 /*v276*/, v190 /*v446*/
	v_mul_i32_i24_e32 v221, v22 /*v278*/, v191 /*v447*/
	s_set_vgpr_msb 0                        ;  msbs: dst=0 src0=0 src1=0 src2=0
	v_cvt_f32_i32_e32 v100, v53
	v_add3_u32 v52, v52, v103, v105
	v_add3_u32 v40, v40, v222, v223
	s_set_vgpr_msb 5                        ;  msbs: dst=0 src0=1 src1=1 src2=0
	v_mul_i32_i24_e32 v222, v21 /*v277*/, v192 /*v448*/
	v_mul_i32_i24_e32 v223, v193 /*v449*/, v23 /*v279*/
	s_set_vgpr_msb 1                        ;  msbs: dst=0 src0=1 src1=0 src2=0
	v_mul_i32_i24_e32 v53, v166 /*v422*/, v109
	s_set_vgpr_msb 0                        ;  msbs: dst=0 src0=0 src1=0 src2=0
	v_add3_u32 v52, v52, v118, v119
	v_add3_u32 v40, v40, v224, v225
	v_pk_fma_f32 v[102:103], v[102:103], v[112:113], 0 op_sel_hi:[0,1,0]
	s_set_vgpr_msb 1                        ;  msbs: dst=0 src0=1 src1=0 src2=0
	v_mul_i32_i24_e32 v67, v207 /*v463*/, v166
	v_mul_i32_i24_e32 v69, v208 /*v464*/, v167
	s_set_vgpr_msb 0                        ;  msbs: dst=0 src0=0 src1=0 src2=0
	v_add3_u32 v52, v52, v219, v220
	v_mul_lo_u32 v40, v40, v218
	v_pk_fma_f32 v[102:103], v[104:105], v[116:117], v[102:103] op_sel_hi:[0,1,1]
	s_set_vgpr_msb 1                        ;  msbs: dst=0 src0=1 src1=0 src2=0
	v_mul_i32_i24_e32 v71, v209 /*v465*/, v168
	v_mul_i32_i24_e32 v82, v210 /*v466*/, v169
	s_set_vgpr_msb 0                        ;  msbs: dst=0 src0=0 src1=0 src2=0
	v_add3_u32 v52, v52, v221, v222
	s_set_vgpr_msb 1                        ;  msbs: dst=0 src0=1 src1=0 src2=0
	v_mul_i32_i24_e32 v84, v211 /*v467*/, v170
	s_set_vgpr_msb 0                        ;  msbs: dst=0 src0=0 src1=0 src2=0
	v_pk_mul_f32 v[102:103], v[102:103], v[10:11]
	s_set_vgpr_msb 1                        ;  msbs: dst=0 src0=1 src1=0 src2=0
	v_mul_i32_i24_e32 v86, v212 /*v468*/, v171
	v_mul_i32_i24_e32 v92, v213 /*v469*/, v172
	s_set_vgpr_msb 0                        ;  msbs: dst=0 src0=0 src1=0 src2=0
	v_add3_u32 v52, v52, v223, v226
	s_set_vgpr_msb 1                        ;  msbs: dst=0 src0=1 src1=0 src2=0
	v_mul_i32_i24_e32 v98, v214 /*v470*/, v173
	s_set_vgpr_msb 0                        ;  msbs: dst=0 src0=0 src1=0 src2=0
	v_cvt_f32_i32_e32 v101, v40
	s_set_vgpr_msb 1                        ;  msbs: dst=0 src0=1 src1=0 src2=0
	v_mul_i32_i24_e32 v40, v145 /*v401*/, v109
	s_set_vgpr_msb 4                        ;  msbs: dst=0 src0=0 src1=1 src2=0
	v_mul_i32_i24_e32 v104, v177, v219 /*v475*/
	s_set_vgpr_msb 0                        ;  msbs: dst=0 src0=0 src1=0 src2=0
	v_add3_u32 v52, v52, v227, v53
	s_set_vgpr_msb 1                        ;  msbs: dst=0 src0=1 src1=0 src2=0
	v_mul_i32_i24_e32 v53, v230 /*v486*/, v158
	s_set_vgpr_msb 0                        ;  msbs: dst=0 src0=0 src1=0 src2=0
	v_pk_fma_f32 v[100:101], v[114:115], v[100:101], 0 op_sel_hi:[1,1,0]
	s_set_vgpr_msb 5                        ;  msbs: dst=0 src0=1 src1=1 src2=0
	v_add3_u32 v40, v157 /*v413*/, v156 /*v412*/, v40
	s_set_vgpr_msb 4                        ;  msbs: dst=0 src0=0 src1=1 src2=0
	v_mul_i32_i24_e32 v105, v180, v220 /*v476*/
	s_set_vgpr_msb 0                        ;  msbs: dst=0 src0=0 src1=0 src2=0
	v_mul_lo_u32 v52, v52, v157
	s_set_vgpr_msb 4                        ;  msbs: dst=0 src0=0 src1=1 src2=0
	v_mul_i32_i24_e32 v109, v179, v221 /*v477*/
	s_set_vgpr_msb 1                        ;  msbs: dst=0 src0=1 src1=0 src2=0
	v_mul_i32_i24_e32 v158, v194 /*v450*/, v216
	s_set_vgpr_msb 0                        ;  msbs: dst=0 src0=0 src1=0 src2=0
	v_mul_lo_u32 v40, v40, v157
	s_set_vgpr_msb 1                        ;  msbs: dst=0 src0=1 src1=0 src2=0
	v_mul_i32_i24_e32 v157, v227 /*v483*/, v192
	s_set_vgpr_msb 0                        ;  msbs: dst=0 src0=0 src1=0 src2=0
	v_cvt_f32_i32_e32 v119, v52
	s_set_vgpr_msb 1                        ;  msbs: dst=0 src0=1 src1=0 src2=0
	v_mul_i32_i24_e32 v52, v229 /*v485*/, v124
	v_mul_i32_i24_e32 v124, v226 /*v482*/, v190
	s_set_vgpr_msb 0                        ;  msbs: dst=0 src0=0 src1=0 src2=0
	v_cvt_f32_i32_e32 v118, v40
	s_set_vgpr_msb 1                        ;  msbs: dst=0 src0=1 src1=0 src2=0
	v_mul_i32_i24_e32 v40, v228 /*v484*/, v122
	v_mul_i32_i24_e32 v122, v225 /*v481*/, v189
	s_set_vgpr_msb 0                        ;  msbs: dst=0 src0=0 src1=0 src2=0
	v_pk_fma_f32 v[100:101], v[110:111], v[118:119], v[100:101]
	s_set_vgpr_msb 1                        ;  msbs: dst=0 src0=1 src1=0 src2=0
	v_mad_i32_i24 v40, v199 /*v455*/, v120, v40
	s_set_vgpr_msb 4                        ;  msbs: dst=0 src0=0 src1=1 src2=0
	v_mul_i32_i24_e32 v118, v183, v222 /*v478*/
	v_mul_i32_i24_e32 v119, v181, v223 /*v479*/
	s_set_vgpr_msb 1                        ;  msbs: dst=0 src0=1 src1=0 src2=0
	v_mul_i32_i24_e32 v120, v224 /*v480*/, v187
	s_set_vgpr_msb 0                        ;  msbs: dst=0 src0=0 src1=0 src2=0
	v_pk_fma_f32 v[100:101], v[100:101], v[2:3], v[102:103] neg_lo:[0,0,1] neg_hi:[0,0,1]
	v_add3_u32 v40, v40, v52, v53
	s_set_vgpr_msb 1                        ;  msbs: dst=0 src0=1 src1=0 src2=0
	v_mul_i32_i24_e32 v52, v200 /*v456*/, v159
	v_mul_i32_i24_e32 v53, v201 /*v457*/, v160
	s_set_vgpr_msb 4                        ;  msbs: dst=0 src0=0 src1=1 src2=0
	v_mul_i32_i24_e32 v102, v175, v217 /*v473*/
	s_set_vgpr_msb 0                        ;  msbs: dst=0 src0=0 src1=0 src2=0
	v_pk_add_f32 v[20:21], v[20:21], v[100:101]
	s_set_vgpr_msb 1                        ;  msbs: dst=0 src0=1 src1=0 src2=0
	v_mul_i32_i24_e32 v100, v215 /*v471*/, v174
	s_set_vgpr_msb 4                        ;  msbs: dst=0 src0=0 src1=1 src2=0
	v_mul_i32_i24_e32 v101, v176, v216 /*v472*/
	s_set_vgpr_msb 0                        ;  msbs: dst=0 src0=0 src1=0 src2=0
	v_add3_u32 v40, v40, v52, v53
	s_set_vgpr_msb 1                        ;  msbs: dst=0 src0=1 src1=0 src2=0
	v_mul_i32_i24_e32 v52, v196 /*v452*/, v185
	v_mul_i32_i24_e32 v53, v197 /*v453*/, v182
	s_set_vgpr_msb 4                        ;  msbs: dst=0 src0=0 src1=1 src2=0
	v_mul_i32_i24_e32 v103, v178, v218 /*v474*/
	s_set_vgpr_msb 1                        ;  msbs: dst=0 src0=1 src1=0 src2=0
	v_mul_i32_i24_e32 v159, v195 /*v451*/, v217
	s_set_vgpr_msb 0                        ;  msbs: dst=0 src0=0 src1=0 src2=0
	v_add3_u32 v40, v40, v54, v55
	s_set_vgpr_msb 1                        ;  msbs: dst=0 src0=1 src1=0 src2=0
	v_mul_i32_i24_e32 v54, v198 /*v454*/, v188
	v_mad_i32_i24 v52, v168 /*v424*/, v184, v52
	v_mul_i32_i24_e32 v55, v171 /*v427*/, v186
	s_set_vgpr_msb 0                        ;  msbs: dst=0 src0=0 src1=0 src2=0
	v_add3_u32 v40, v40, v56, v58
	s_set_vgpr_msb 1                        ;  msbs: dst=0 src0=1 src1=0 src2=0
	v_mul_i32_i24_e32 v56, v172 /*v428*/, v195
	s_set_vgpr_msb 0                        ;  msbs: dst=0 src0=0 src1=0 src2=0
	v_add3_u32 v52, v52, v53, v54
	s_set_vgpr_msb 1                        ;  msbs: dst=0 src0=1 src1=0 src2=0
	v_mul_i32_i24_e32 v53, v169 /*v425*/, v191
	v_mul_i32_i24_e32 v54, v170 /*v426*/, v193
	s_set_vgpr_msb 0                        ;  msbs: dst=0 src0=0 src1=0 src2=0
	v_add3_u32 v40, v40, v61, v67
	s_set_vgpr_msb 1                        ;  msbs: dst=0 src0=1 src1=0 src2=0
	v_mul_i32_i24_e32 v58, v173 /*v429*/, v196
	v_mul_i32_i24_e32 v61, v174 /*v430*/, v197
	;; [unrolled: 1-line block ×3, first 2 shown]
	s_set_vgpr_msb 0                        ;  msbs: dst=0 src0=0 src1=0 src2=0
	v_add3_u32 v52, v52, v53, v54
	v_add3_u32 v40, v40, v69, v71
	s_set_vgpr_msb 1                        ;  msbs: dst=0 src0=1 src1=0 src2=0
	v_mul_i32_i24_e32 v69, v176 /*v432*/, v199
	v_mul_i32_i24_e32 v71, v177 /*v433*/, v200
	s_set_vgpr_msb 21                       ;  msbs: dst=0 src0=1 src1=1 src2=1
	v_add3_u32 v53, v155 /*v411*/, v153 /*v409*/, v154 /*v410*/
	s_set_vgpr_msb 0                        ;  msbs: dst=0 src0=0 src1=0 src2=0
	v_add3_u32 v52, v52, v55, v56
	v_add3_u32 v40, v40, v82, v84
	s_set_vgpr_msb 1                        ;  msbs: dst=0 src0=1 src1=0 src2=0
	v_mul_i32_i24_e32 v82, v178 /*v434*/, v201
	v_mul_i32_i24_e32 v84, v179 /*v435*/, v198
	s_set_vgpr_msb 0                        ;  msbs: dst=0 src0=0 src1=0 src2=0
	v_mul_lo_u32 v53, v53, v107
	v_add3_u32 v52, v52, v58, v61
	v_add3_u32 v40, v40, v86, v92
	s_set_vgpr_msb 1                        ;  msbs: dst=0 src0=1 src1=0 src2=0
	v_mul_i32_i24_e32 v86, v180 /*v436*/, v202
	v_mul_i32_i24_e32 v92, v181 /*v437*/, v203
	s_set_vgpr_msb 5                        ;  msbs: dst=0 src0=1 src1=1 src2=0
	v_mul_i32_i24_e32 v54, v202 /*v458*/, v35 /*v291*/
	s_set_vgpr_msb 0                        ;  msbs: dst=0 src0=0 src1=0 src2=0
	v_add3_u32 v52, v52, v67, v69
	v_add3_u32 v40, v40, v98, v100
	s_set_vgpr_msb 1                        ;  msbs: dst=0 src0=1 src1=0 src2=0
	v_mul_i32_i24_e32 v98, v182 /*v438*/, v204
	s_set_vgpr_msb 4                        ;  msbs: dst=0 src0=0 src1=1 src2=0
	v_mul_i32_i24_e32 v100, v206, v183 /*v439*/
	s_set_vgpr_msb 5                        ;  msbs: dst=0 src0=1 src1=1 src2=0
	v_mul_i32_i24_e32 v55, v203 /*v459*/, v36 /*v292*/
	s_set_vgpr_msb 0                        ;  msbs: dst=0 src0=0 src1=0 src2=0
	v_add3_u32 v52, v52, v71, v82
	v_add3_u32 v40, v40, v101, v102
	s_set_vgpr_msb 4                        ;  msbs: dst=0 src0=0 src1=1 src2=0
	v_mul_i32_i24_e32 v101, v205, v184 /*v440*/
	v_mul_i32_i24_e32 v102, v207, v185 /*v441*/
	s_set_vgpr_msb 5                        ;  msbs: dst=0 src0=1 src1=1 src2=0
	v_mul_i32_i24_e32 v56, v204 /*v460*/, v37 /*v293*/
	s_set_vgpr_msb 0                        ;  msbs: dst=0 src0=0 src1=0 src2=0
	v_add3_u32 v52, v52, v84, v86
	v_add3_u32 v40, v40, v103, v104
	s_set_vgpr_msb 4                        ;  msbs: dst=0 src0=0 src1=1 src2=0
	v_mul_i32_i24_e32 v103, v208, v186 /*v442*/
	;; [unrolled: 8-line block ×4, first 2 shown]
	v_mul_i32_i24_e32 v119, v214, v191 /*v447*/
	v_cvt_f32_i32_e32 v100, v53
	s_set_vgpr_msb 0                        ;  msbs: dst=0 src0=0 src1=0 src2=0
	v_add3_u32 v52, v52, v102, v103
	v_add3_u32 v40, v40, v120, v122
	s_set_vgpr_msb 4                        ;  msbs: dst=0 src0=0 src1=1 src2=0
	v_mul_i32_i24_e32 v120, v213, v192 /*v448*/
	s_set_vgpr_msb 1                        ;  msbs: dst=0 src0=1 src1=0 src2=0
	v_mul_i32_i24_e32 v122, v193 /*v449*/, v215
	v_mul_i32_i24_e32 v53, v166 /*v422*/, v97
	s_set_vgpr_msb 0                        ;  msbs: dst=0 src0=0 src1=0 src2=0
	v_add3_u32 v52, v52, v104, v105
	v_add3_u32 v40, v40, v124, v157
	v_pk_fma_f32 v[102:103], v[94:95], v[112:113], 0 op_sel_hi:[0,1,0]
	s_set_vgpr_msb 5                        ;  msbs: dst=0 src0=1 src1=1 src2=0
	v_mul_i32_i24_e32 v67, v207 /*v463*/, v40 /*v296*/
	v_mul_i32_i24_e32 v69, v208 /*v464*/, v41 /*v297*/
	s_set_vgpr_msb 0                        ;  msbs: dst=0 src0=0 src1=0 src2=0
	v_add3_u32 v52, v52, v109, v118
	v_mul_lo_u32 v40, v40, v107
	s_set_vgpr_msb 5                        ;  msbs: dst=0 src0=1 src1=1 src2=0
	v_mul_i32_i24_e32 v71, v209 /*v465*/, v42 /*v298*/
	v_mul_i32_i24_e32 v82, v210 /*v466*/, v43 /*v299*/
	;; [unrolled: 1-line block ×3, first 2 shown]
	s_set_vgpr_msb 0                        ;  msbs: dst=0 src0=0 src1=0 src2=0
	v_add3_u32 v52, v52, v119, v120
	s_set_vgpr_msb 5                        ;  msbs: dst=0 src0=1 src1=1 src2=0
	v_mul_i32_i24_e32 v86, v212 /*v468*/, v45 /*v301*/
	v_mul_i32_i24_e32 v92, v213 /*v469*/, v46 /*v302*/
	;; [unrolled: 1-line block ×4, first 2 shown]
	s_set_vgpr_msb 0                        ;  msbs: dst=0 src0=0 src1=0 src2=0
	v_add3_u32 v52, v52, v122, v158
	s_set_vgpr_msb 5                        ;  msbs: dst=0 src0=1 src1=1 src2=0
	v_mul_i32_i24_e32 v105, v224 /*v480*/, v61 /*v317*/
	s_set_vgpr_msb 0                        ;  msbs: dst=0 src0=0 src1=0 src2=0
	v_cvt_f32_i32_e32 v101, v40
	s_set_vgpr_msb 1                        ;  msbs: dst=0 src0=1 src1=0 src2=0
	v_mul_i32_i24_e32 v40, v145 /*v401*/, v97
	s_set_vgpr_msb 0                        ;  msbs: dst=0 src0=0 src1=0 src2=0
	v_pk_fma_f32 v[96:97], v[96:97], v[116:117], v[102:103] op_sel_hi:[0,1,1]
	v_add3_u32 v52, v52, v159, v53
	s_set_vgpr_msb 5                        ;  msbs: dst=0 src0=1 src1=1 src2=0
	v_mul_i32_i24_e32 v53, v230 /*v486*/, v32 /*v288*/
	s_set_vgpr_msb 0                        ;  msbs: dst=0 src0=0 src1=0 src2=0
	v_pk_fma_f32 v[100:101], v[114:115], v[100:101], 0 op_sel_hi:[1,1,0]
	s_set_vgpr_msb 5                        ;  msbs: dst=0 src0=1 src1=1 src2=0
	v_add3_u32 v40, v152 /*v408*/, v151 /*v407*/, v40
	s_set_vgpr_msb 0                        ;  msbs: dst=0 src0=0 src1=0 src2=0
	v_pk_mul_f32 v[96:97], v[96:97], v[12:13]
	v_mul_lo_u32 v52, v52, v99
	s_set_vgpr_msb 5                        ;  msbs: dst=0 src0=1 src1=1 src2=0
	v_mul_i32_i24_e32 v102, v53 /*v309*/, v221 /*v477*/
	v_mul_i32_i24_e32 v103, v57 /*v313*/, v222 /*v478*/
	s_set_vgpr_msb 0                        ;  msbs: dst=0 src0=0 src1=0 src2=0
	v_mul_lo_u32 v40, v40, v99
	s_set_vgpr_msb 5                        ;  msbs: dst=0 src0=1 src1=1 src2=0
	v_mul_i32_i24_e32 v107, v225 /*v481*/, v63 /*v319*/
	v_mul_i32_i24_e32 v109, v226 /*v482*/, v64 /*v320*/
	;; [unrolled: 1-line block ×5, first 2 shown]
	s_set_vgpr_msb 0                        ;  msbs: dst=0 src0=0 src1=0 src2=0
	v_cvt_f32_i32_e32 v99, v52
	s_set_vgpr_msb 5                        ;  msbs: dst=0 src0=1 src1=1 src2=0
	v_mul_i32_i24_e32 v52, v229 /*v485*/, v31 /*v287*/
	s_set_vgpr_msb 0                        ;  msbs: dst=0 src0=0 src1=0 src2=0
	v_cvt_f32_i32_e32 v98, v40
	s_set_vgpr_msb 5                        ;  msbs: dst=0 src0=1 src1=1 src2=0
	v_mul_i32_i24_e32 v40, v228 /*v484*/, v30 /*v286*/
	s_set_vgpr_msb 0                        ;  msbs: dst=0 src0=0 src1=0 src2=0
	s_delay_alu instid0(VALU_DEP_2) | instskip(SKIP_1) | instid1(VALU_DEP_2)
	v_pk_fma_f32 v[98:99], v[110:111], v[98:99], v[100:101]
	s_set_vgpr_msb 5                        ;  msbs: dst=0 src0=1 src1=1 src2=0
	v_mad_i32_i24 v40, v199 /*v455*/, v29 /*v285*/, v40
	v_mul_i32_i24_e32 v100, v51 /*v307*/, v219 /*v475*/
	v_mul_i32_i24_e32 v101, v54 /*v310*/, v220 /*v476*/
	s_set_vgpr_msb 0                        ;  msbs: dst=0 src0=0 src1=0 src2=0
	v_pk_fma_f32 v[96:97], v[98:99], v[4:5], v[96:97] neg_lo:[0,0,1] neg_hi:[0,0,1]
	v_add3_u32 v40, v40, v52, v53
	s_set_vgpr_msb 5                        ;  msbs: dst=0 src0=1 src1=1 src2=0
	v_mul_i32_i24_e32 v52, v200 /*v456*/, v33 /*v289*/
	v_mul_i32_i24_e32 v53, v201 /*v457*/, v34 /*v290*/
	;; [unrolled: 1-line block ×3, first 2 shown]
	s_set_vgpr_msb 0                        ;  msbs: dst=0 src0=0 src1=0 src2=0
	v_pk_add_f32 v[18:19], v[18:19], v[96:97]
	s_set_vgpr_msb 5                        ;  msbs: dst=0 src0=1 src1=1 src2=0
	v_mul_i32_i24_e32 v96, v215 /*v471*/, v48 /*v304*/
	v_mul_i32_i24_e32 v97, v50 /*v306*/, v216 /*v472*/
	s_set_vgpr_msb 0                        ;  msbs: dst=0 src0=0 src1=0 src2=0
	v_add3_u32 v40, v40, v52, v53
	s_set_vgpr_msb 5                        ;  msbs: dst=0 src0=1 src1=1 src2=0
	v_mul_i32_i24_e32 v52, v196 /*v452*/, v59 /*v315*/
	v_mul_i32_i24_e32 v53, v197 /*v453*/, v56 /*v312*/
	;; [unrolled: 1-line block ×3, first 2 shown]
	s_set_vgpr_msb 0                        ;  msbs: dst=0 src0=0 src1=0 src2=0
	v_add3_u32 v40, v40, v54, v55
	s_set_vgpr_msb 5                        ;  msbs: dst=0 src0=1 src1=1 src2=0
	v_mul_i32_i24_e32 v54, v198 /*v454*/, v62 /*v318*/
	v_mad_i32_i24 v52, v168 /*v424*/, v58 /*v314*/, v52
	v_mul_i32_i24_e32 v55, v171 /*v427*/, v60 /*v316*/
	s_set_vgpr_msb 0                        ;  msbs: dst=0 src0=0 src1=0 src2=0
	v_add3_u32 v40, v40, v56, v58
	s_set_vgpr_msb 5                        ;  msbs: dst=0 src0=1 src1=1 src2=0
	v_mul_i32_i24_e32 v56, v172 /*v428*/, v69 /*v325*/
	s_set_vgpr_msb 0                        ;  msbs: dst=0 src0=0 src1=0 src2=0
	v_add3_u32 v52, v52, v53, v54
	s_set_vgpr_msb 5                        ;  msbs: dst=0 src0=1 src1=1 src2=0
	v_mul_i32_i24_e32 v53, v169 /*v425*/, v65 /*v321*/
	v_mul_i32_i24_e32 v54, v170 /*v426*/, v67 /*v323*/
	s_set_vgpr_msb 0                        ;  msbs: dst=0 src0=0 src1=0 src2=0
	v_add3_u32 v40, v40, v61, v67
	s_set_vgpr_msb 5                        ;  msbs: dst=0 src0=1 src1=1 src2=0
	v_mul_i32_i24_e32 v58, v173 /*v429*/, v70 /*v326*/
	v_mul_i32_i24_e32 v61, v174 /*v430*/, v71 /*v327*/
	;; [unrolled: 1-line block ×3, first 2 shown]
	s_set_vgpr_msb 0                        ;  msbs: dst=0 src0=0 src1=0 src2=0
	v_add3_u32 v52, v52, v53, v54
	v_add3_u32 v40, v40, v69, v71
	s_set_vgpr_msb 21                       ;  msbs: dst=0 src0=1 src1=1 src2=1
	v_mul_i32_i24_e32 v69, v176 /*v432*/, v73 /*v329*/
	v_mul_i32_i24_e32 v71, v177 /*v433*/, v74 /*v330*/
	v_add3_u32 v53, v150 /*v406*/, v148 /*v404*/, v149 /*v405*/
	s_set_vgpr_msb 0                        ;  msbs: dst=0 src0=0 src1=0 src2=0
	v_add3_u32 v52, v52, v55, v56
	v_add3_u32 v40, v40, v82, v84
	s_set_vgpr_msb 5                        ;  msbs: dst=0 src0=1 src1=1 src2=0
	v_mul_i32_i24_e32 v82, v178 /*v434*/, v75 /*v331*/
	v_mul_i32_i24_e32 v84, v179 /*v435*/, v72 /*v328*/
	s_set_vgpr_msb 4                        ;  msbs: dst=0 src0=0 src1=1 src2=0
	v_mul_lo_u32 v53, v53, v28 /*v284*/
	s_set_vgpr_msb 0                        ;  msbs: dst=0 src0=0 src1=0 src2=0
	v_add3_u32 v52, v52, v58, v61
	v_add3_u32 v40, v40, v86, v92
	s_set_vgpr_msb 5                        ;  msbs: dst=0 src0=1 src1=1 src2=0
	v_mul_i32_i24_e32 v86, v180 /*v436*/, v76 /*v332*/
	v_mul_i32_i24_e32 v92, v181 /*v437*/, v77 /*v333*/
	s_set_vgpr_msb 0                        ;  msbs: dst=0 src0=0 src1=0 src2=0
	v_add3_u32 v52, v52, v67, v69
	v_add3_u32 v40, v40, v94, v96
	s_set_vgpr_msb 5                        ;  msbs: dst=0 src0=1 src1=1 src2=0
	v_mul_i32_i24_e32 v94, v182 /*v438*/, v78 /*v334*/
	v_mul_i32_i24_e32 v96, v80 /*v336*/, v183 /*v439*/
	;; [unrolled: 6-line block ×6, first 2 shown]
	s_set_vgpr_msb 0                        ;  msbs: dst=0 src0=0 src1=0 src2=0
	v_cvt_f32_i32_e32 v96, v53
	v_add3_u32 v52, v52, v98, v99
	v_add3_u32 v40, v40, v105, v107
	s_set_vgpr_msb 5                        ;  msbs: dst=0 src0=1 src1=1 src2=0
	v_mul_i32_i24_e32 v105, v87 /*v343*/, v192 /*v448*/
	v_mul_i32_i24_e32 v107, v193 /*v449*/, v89 /*v345*/
	v_mul_i32_i24_e32 v53, v166 /*v422*/, v26 /*v282*/
	s_set_vgpr_msb 0                        ;  msbs: dst=0 src0=0 src1=0 src2=0
	v_add3_u32 v52, v52, v100, v101
	v_add3_u32 v40, v40, v109, v118
	v_pk_fma_f32 v[98:99], v[108:109], v[112:113], 0 op_sel_hi:[0,1,0]
	s_delay_alu instid0(VALU_DEP_3) | instskip(SKIP_1) | instid1(VALU_DEP_3)
	v_add3_u32 v52, v52, v102, v103
	s_set_vgpr_msb 4                        ;  msbs: dst=0 src0=0 src1=1 src2=0
	v_mul_lo_u32 v40, v40, v28 /*v284*/
	s_set_vgpr_msb 0                        ;  msbs: dst=0 src0=0 src1=0 src2=0
	v_pk_fma_f32 v[98:99], v[106:107], v[116:117], v[98:99] op_sel_hi:[0,1,1]
	v_add3_u32 v52, v52, v104, v105
	s_delay_alu instid0(VALU_DEP_2) | instskip(NEXT) | instid1(VALU_DEP_2)
	v_pk_mul_f32 v[98:99], v[98:99], v[14:15]
	v_add3_u32 v52, v52, v107, v119
	v_cvt_f32_i32_e32 v97, v40
	s_set_vgpr_msb 5                        ;  msbs: dst=0 src0=1 src1=1 src2=0
	v_mul_i32_i24_e32 v40, v145 /*v401*/, v26 /*v282*/
	s_set_vgpr_msb 0                        ;  msbs: dst=0 src0=0 src1=0 src2=0
	v_add3_u32 v52, v52, v120, v53
	v_pk_fma_f32 v[96:97], v[114:115], v[96:97], 0 op_sel_hi:[1,1,0]
	s_set_vgpr_msb 5                        ;  msbs: dst=0 src0=1 src1=1 src2=0
	v_add3_u32 v40, v147 /*v403*/, v146 /*v402*/, v40
	s_set_vgpr_msb 4                        ;  msbs: dst=0 src0=0 src1=1 src2=0
	v_mul_lo_u32 v52, v52, v27 /*v283*/
	s_delay_alu instid0(VALU_DEP_2) | instskip(NEXT) | instid1(VALU_DEP_2)
	v_mul_lo_u32 v40, v40, v27 /*v283*/
	v_cvt_f32_i32_e32 v101, v52
	s_delay_alu instid0(VALU_DEP_2) | instskip(SKIP_1) | instid1(VALU_DEP_1)
	v_cvt_f32_i32_e32 v100, v40
	s_set_vgpr_msb 0                        ;  msbs: dst=0 src0=0 src1=0 src2=0
	v_pk_fma_f32 v[96:97], v[110:111], v[100:101], v[96:97]
	s_delay_alu instid0(VALU_DEP_1) | instskip(NEXT) | instid1(VALU_DEP_1)
	v_pk_fma_f32 v[96:97], v[96:97], v[6:7], v[98:99] neg_lo:[0,0,1] neg_hi:[0,0,1]
	v_pk_add_f32 v[16:17], v[16:17], v[96:97]
	s_cbranch_vccnz .LBB171_6
; %bb.7:                                ;   in Loop: Header=BB171_5 Depth=1
	v_add_nc_u32_e32 v8, s5, v123
	s_barrier_signal -1
	s_barrier_wait -1
	s_delay_alu instid0(VALU_DEP_1) | instskip(SKIP_3) | instid1(VALU_DEP_4)
	v_dual_add_nc_u32 v6, v8, v121 :: v_dual_add_nc_u32 v12, v8, v91
	v_dual_add_nc_u32 v0, v8, v81 :: v_dual_add_nc_u32 v2, v8, v83
	;; [unrolled: 1-line block ×4, first 2 shown]
	v_mad_nc_i64_i32 v[6:7], v6, 36, v[72:73]
	s_delay_alu instid0(VALU_DEP_4)
	v_mad_nc_i64_i32 v[0:1], v0, 36, v[72:73]
	v_mad_nc_i64_i32 v[2:3], v2, 36, v[72:73]
	v_add_nc_u32_e32 v14, v8, v93
	v_mad_nc_i64_i32 v[4:5], v4, 36, v[72:73]
	v_mad_nc_i64_i32 v[8:9], v9, 36, v[72:73]
	;; [unrolled: 1-line block ×5, first 2 shown]
	v_mad_nc_u64_u32 v[94:95], v40, 36, s[2:3]
	s_clause 0x8
	global_load_b32 v40, v[6:7], off offset:4
	global_load_b32 v52, v[0:1], off offset:4
	;; [unrolled: 1-line block ×8, first 2 shown]
	global_load_b32 v67, v[94:95], off
	s_mov_b32 s5, 16
	s_wait_loadcnt 0x8
	ds_store_b32 v132, v40
	s_wait_loadcnt 0x7
	ds_store_b32 v125, v52
	;; [unrolled: 2-line block ×9, first 2 shown]
	s_wait_dscnt 0x0
	s_barrier_signal -1
	s_barrier_wait -1
	ds_load_b32 v0, v134
	ds_load_b32 v1, v135 offset:128
	ds_load_b32 v2, v136 offset:256
	;; [unrolled: 1-line block ×3, first 2 shown]
	s_wait_dscnt 0x3
	v_cvt_f32_f16_e32 v94, v0
	v_lshrrev_b32_e32 v0, 16, v0
	s_wait_dscnt 0x2
	v_cvt_f32_f16_e32 v96, v1
	s_wait_dscnt 0x0
	v_dual_lshrrev_b32 v1, 16, v1 :: v_dual_lshrrev_b32 v4, 16, v3
	v_cvt_f32_f16_e32 v98, v2
	v_lshrrev_b32_e32 v2, 16, v2
	v_cvt_f32_f16_e32 v100, v3
	v_cvt_f32_f16_e32 v102, v0
	;; [unrolled: 1-line block ×5, first 2 shown]
	v_dual_mov_b32 v95, v94 :: v_dual_mov_b32 v97, v96
	v_dual_mov_b32 v99, v98 :: v_dual_mov_b32 v101, v100
	;; [unrolled: 1-line block ×3, first 2 shown]
	s_delay_alu instid0(VALU_DEP_4)
	v_dual_mov_b32 v107, v106 :: v_dual_mov_b32 v109, v108
.LBB171_8:                              ;   Parent Loop BB171_5 Depth=1
                                        ; =>  This Inner Loop Header: Depth=2
	s_lshr_b32 s12, s5, 2
	s_lshl_b32 s13, s5, 2
	s_and_b32 s16, s12, 0x3ffffffe
	s_lshl_b32 s12, s5, 1
	s_addk_co_i32 s16, 0x6200
	s_and_b32 s12, s12, 16
	v_add3_u32 v40, s16, v155, v148
	v_or_b32_e32 v0, s12, v59
	s_delay_alu instid0(VALU_DEP_1)
	v_lshlrev_b32_e32 v1, 2, v0
	s_set_vgpr_msb 64                       ;  msbs: dst=1 src0=0 src1=0 src2=0
	v_lshrrev_b32_e32 v151 /*v407*/, 1, v0
	s_set_vgpr_msb 0                        ;  msbs: dst=0 src0=0 src1=0 src2=0
	ds_load_b128 v[8:11], v1 offset:16896
	ds_load_b128 v[4:7], v1 offset:16912
	;; [unrolled: 1-line block ×4, first 2 shown]
	s_wait_dscnt 0x3
	v_bfe_i32 v176, v10, 0, 8
	s_wait_dscnt 0x2
	v_bfe_i32 v184, v4, 0, 8
	v_bfe_i32 v185, v4, 8, 8
	;; [unrolled: 1-line block ×3, first 2 shown]
	v_dual_ashrrev_i32 v188, 24, v4 :: v_dual_ashrrev_i32 v166, 24, v5
	v_dual_ashrrev_i32 v162, 24, v6 :: v_dual_add_nc_u32 v4, s13, v151
	v_bfe_i32 v177, v10, 8, 8
	v_bfe_i32 v178, v10, 16, 8
	v_dual_ashrrev_i32 v179, 24, v10 :: v_dual_ashrrev_i32 v183, 24, v11
	v_bfe_i32 v180, v11, 0, 8
	v_bfe_i32 v181, v11, 8, 8
	v_bfe_i32 v182, v11, 16, 8
	ds_load_2addr_b32 v[10:11], v4 offset1:1
	v_bfe_i32 v167, v8, 0, 8
	s_wait_dscnt 0x1
	s_set_vgpr_msb 64                       ;  msbs: dst=1 src0=0 src1=0 src2=0
	v_ashrrev_i32_e32 v160 /*v416*/, 24, v1
	s_set_vgpr_msb 0                        ;  msbs: dst=0 src0=0 src1=0 src2=0
	v_bfe_i32 v171, v8, 8, 8
	v_bfe_i32 v170, v8, 16, 8
	v_ashrrev_i32_e32 v186, 24, v8
	s_set_vgpr_msb 64                       ;  msbs: dst=1 src0=0 src1=0 src2=0
	v_dual_ashrrev_i32 v163 /*v419*/, 24, v15 :: v_dual_ashrrev_i32 v161 /*v417*/, 24, v0
	v_bfe_i32 v154 /*v410*/, v0, 0, 8
	v_bfe_i32 v155 /*v411*/, v0, 8, 8
	;; [unrolled: 1-line block ×3, first 2 shown]
	s_set_vgpr_msb 0                        ;  msbs: dst=0 src0=0 src1=0 src2=0
	v_bfe_i32 v172, v9, 0, 8
	v_bfe_i32 v173, v9, 8, 8
	;; [unrolled: 1-line block ×5, first 2 shown]
	s_set_vgpr_msb 64                       ;  msbs: dst=1 src0=0 src1=0 src2=0
	v_bfe_i32 v157 /*v413*/, v1, 0, 8
	v_bfe_i32 v158 /*v414*/, v1, 8, 8
	;; [unrolled: 1-line block ×3, first 2 shown]
	s_set_vgpr_msb 0                        ;  msbs: dst=0 src0=0 src1=0 src2=0
	v_bfe_i32 v174, v9, 16, 8
	s_wait_dscnt 0x0
	s_set_vgpr_msb 64                       ;  msbs: dst=1 src0=0 src1=0 src2=0
	v_and_b32_e32 v102 /*v358*/, 15, v10
	v_bfe_u32 v101 /*v357*/, v10, 8, 4
	v_bfe_u32 v103 /*v359*/, v10, 16, 4
	;; [unrolled: 1-line block ×3, first 2 shown]
	v_dual_lshrrev_b32 v134 /*v390*/, 28, v10 :: v_dual_bitop2_b32 v105 /*v361*/, 15, v11 bitop3:0x40
	s_set_vgpr_msb 1                        ;  msbs: dst=0 src0=1 src1=0 src2=0
	v_mul_i32_i24_e32 v0, v102 /*v358*/, v167
	v_mul_i32_i24_e32 v1, v103 /*v359*/, v170
	;; [unrolled: 1-line block ×3, first 2 shown]
	s_set_vgpr_msb 64                       ;  msbs: dst=1 src0=0 src1=0 src2=0
	v_bfe_u32 v106 /*v362*/, v11, 8, 4
	s_set_vgpr_msb 1                        ;  msbs: dst=0 src0=1 src1=0 src2=0
	v_ashrrev_i32_e32 v175, 24, v9
	v_mad_i32_i24 v0, v101 /*v357*/, v171, v0
	s_set_vgpr_msb 64                       ;  msbs: dst=1 src0=0 src1=0 src2=0
	v_bfe_u32 v107 /*v363*/, v11, 16, 4
	v_bfe_u32 v108 /*v364*/, v11, 24, 4
	s_set_vgpr_msb 0                        ;  msbs: dst=0 src0=0 src1=0 src2=0
	v_bfe_i32 v163, v6, 0, 8
	v_bfe_i32 v164, v6, 8, 8
	v_add3_u32 v0, v0, v1, v5
	s_set_vgpr_msb 1                        ;  msbs: dst=0 src0=1 src1=0 src2=0
	v_mul_i32_i24_e32 v1, v105 /*v361*/, v172
	v_mul_i32_i24_e32 v5, v106 /*v362*/, v173
	;; [unrolled: 1-line block ×4, first 2 shown]
	s_set_vgpr_msb 0                        ;  msbs: dst=0 src0=0 src1=0 src2=0
	v_bfe_i32 v161, v6, 16, 8
	s_set_vgpr_msb 64                       ;  msbs: dst=1 src0=0 src1=0 src2=0
	v_bfe_i32 v152 /*v408*/, v15, 0, 8
	s_set_vgpr_msb 0                        ;  msbs: dst=0 src0=0 src1=0 src2=0
	v_add3_u32 v0, v0, v5, v1
	s_set_vgpr_msb 64                       ;  msbs: dst=1 src0=0 src1=0 src2=0
	v_bfe_i32 v153 /*v409*/, v15, 8, 8
	v_bfe_i32 v162 /*v418*/, v15, 16, 8
	s_set_vgpr_msb 0                        ;  msbs: dst=0 src0=0 src1=0 src2=0
	v_ashrrev_i32_e32 v15, 24, v2
	s_set_vgpr_msb 64                       ;  msbs: dst=1 src0=0 src1=0 src2=0
	v_bfe_i32 v143 /*v399*/, v12, 0, 8
	s_set_vgpr_msb 0                        ;  msbs: dst=0 src0=0 src1=0 src2=0
	v_add3_u32 v0, v0, v8, v9
	ds_load_2addr_b32 v[8:9], v4 offset0:2 offset1:3
	s_set_vgpr_msb 64                       ;  msbs: dst=1 src0=0 src1=0 src2=0
	v_bfe_i32 v142 /*v398*/, v12, 8, 8
	v_bfe_i32 v144 /*v400*/, v12, 16, 8
	v_dual_ashrrev_i32 v166 /*v422*/, 24, v12 :: v_dual_ashrrev_i32 v164 /*v420*/, 24, v14
	v_bfe_i32 v145 /*v401*/, v13, 0, 8
	v_lshrrev_b32_e32 v126 /*v382*/, 28, v11
	v_bfe_i32 v146 /*v402*/, v13, 8, 8
	v_bfe_i32 v147 /*v403*/, v13, 16, 8
	v_ashrrev_i32_e32 v165 /*v421*/, 24, v13
	v_bfe_i32 v148 /*v404*/, v14, 0, 8
	v_bfe_i32 v149 /*v405*/, v14, 8, 8
	;; [unrolled: 1-line block ×3, first 2 shown]
	s_set_vgpr_msb 0                        ;  msbs: dst=0 src0=0 src1=0 src2=0
	v_bfe_i32 v12, v2, 0, 8
	v_bfe_i32 v13, v2, 8, 8
	;; [unrolled: 1-line block ×7, first 2 shown]
	s_wait_dscnt 0x0
	s_set_vgpr_msb 64                       ;  msbs: dst=1 src0=0 src1=0 src2=0
	v_and_b32_e32 v109 /*v365*/, 15, v8
	v_bfe_u32 v110 /*v366*/, v8, 8, 4
	v_bfe_u32 v111 /*v367*/, v8, 16, 4
	;; [unrolled: 1-line block ×3, first 2 shown]
	v_dual_lshrrev_b32 v127 /*v383*/, 28, v8 :: v_dual_bitop2_b32 v113 /*v369*/, 15, v9 bitop3:0x40
	s_set_vgpr_msb 1                        ;  msbs: dst=0 src0=1 src1=0 src2=0
	v_mul_i32_i24_e32 v1, v109 /*v365*/, v176
	v_mul_i32_i24_e32 v5, v110 /*v366*/, v177
	;; [unrolled: 1-line block ×4, first 2 shown]
	s_set_vgpr_msb 64                       ;  msbs: dst=1 src0=0 src1=0 src2=0
	v_bfe_u32 v114 /*v370*/, v9, 8, 4
	v_bfe_u32 v115 /*v371*/, v9, 16, 4
	s_set_vgpr_msb 0                        ;  msbs: dst=0 src0=0 src1=0 src2=0
	v_add3_u32 v0, v0, v5, v1
	s_set_vgpr_msb 1                        ;  msbs: dst=0 src0=1 src1=0 src2=0
	v_mul_i32_i24_e32 v1, v113 /*v369*/, v180
	s_set_vgpr_msb 64                       ;  msbs: dst=1 src0=0 src1=0 src2=0
	v_bfe_u32 v116 /*v372*/, v9, 24, 4
	s_set_vgpr_msb 1                        ;  msbs: dst=0 src0=1 src1=0 src2=0
	v_mul_i32_i24_e32 v5, v114 /*v370*/, v181
	s_set_vgpr_msb 0                        ;  msbs: dst=0 src0=0 src1=0 src2=0
	v_bfe_i32 v2, v3, 8, 8
	v_add3_u32 v0, v0, v52, v53
	s_set_vgpr_msb 1                        ;  msbs: dst=0 src0=1 src1=0 src2=0
	v_mul_i32_i24_e32 v52, v115 /*v371*/, v182
	v_mul_i32_i24_e32 v53, v116 /*v372*/, v183
	s_set_vgpr_msb 64                       ;  msbs: dst=1 src0=0 src1=0 src2=0
	v_bfe_i32 v251 /*v507*/, v3, 16, 8
	v_lshrrev_b32_e32 v128 /*v384*/, 28, v9
	s_set_vgpr_msb 0                        ;  msbs: dst=0 src0=0 src1=0 src2=0
	v_add3_u32 v0, v0, v5, v1
	v_ashrrev_i32_e32 v7, 24, v7
	s_delay_alu instid0(VALU_DEP_2)
	v_add3_u32 v5, v0, v52, v53
	ds_load_2addr_b32 v[0:1], v4 offset0:4 offset1:5
	s_wait_dscnt 0x0
	s_set_vgpr_msb 64                       ;  msbs: dst=1 src0=0 src1=0 src2=0
	v_and_b32_e32 v117 /*v373*/, 15, v0
	v_bfe_u32 v118 /*v374*/, v0, 8, 4
	v_bfe_u32 v119 /*v375*/, v0, 24, 4
	;; [unrolled: 1-line block ×4, first 2 shown]
	s_set_vgpr_msb 1                        ;  msbs: dst=0 src0=1 src1=0 src2=0
	v_mul_i32_i24_e32 v52, v117 /*v373*/, v184
	v_mul_i32_i24_e32 v53, v118 /*v374*/, v185
	s_set_vgpr_msb 4                        ;  msbs: dst=0 src0=0 src1=1 src2=0
	v_mul_i32_i24_e32 v54, v188, v119 /*v375*/
	v_mul_i32_i24_e32 v55, v187, v120 /*v376*/
	s_set_vgpr_msb 64                       ;  msbs: dst=1 src0=0 src1=0 src2=0
	v_dual_lshrrev_b32 v129 /*v385*/, 28, v0 :: v_dual_bitop2_b32 v122 /*v378*/, 15, v1 bitop3:0x40
	s_set_vgpr_msb 0                        ;  msbs: dst=0 src0=0 src1=0 src2=0
	v_add3_u32 v5, v5, v53, v52
	s_set_vgpr_msb 4                        ;  msbs: dst=0 src0=0 src1=1 src2=0
	v_mul_i32_i24_e32 v53, v190, v121 /*v377*/
	s_set_vgpr_msb 64                       ;  msbs: dst=1 src0=0 src1=0 src2=0
	v_bfe_u32 v123 /*v379*/, v1, 24, 4
	s_set_vgpr_msb 4                        ;  msbs: dst=0 src0=0 src1=1 src2=0
	v_mul_i32_i24_e32 v52, v189, v122 /*v378*/
	s_set_vgpr_msb 64                       ;  msbs: dst=1 src0=0 src1=0 src2=0
	v_bfe_u32 v124 /*v380*/, v1, 16, 4
	s_set_vgpr_msb 0                        ;  msbs: dst=0 src0=0 src1=0 src2=0
	v_add3_u32 v5, v5, v55, v54
	s_set_vgpr_msb 64                       ;  msbs: dst=1 src0=0 src1=0 src2=0
	v_lshrrev_b32_e32 v130 /*v386*/, 28, v1
	s_set_vgpr_msb 4                        ;  msbs: dst=0 src0=0 src1=1 src2=0
	v_mul_i32_i24_e32 v54, v166, v123 /*v379*/
	v_mul_i32_i24_e32 v55, v165, v124 /*v380*/
	s_set_vgpr_msb 0                        ;  msbs: dst=0 src0=0 src1=0 src2=0
	v_add3_u32 v5, v5, v53, v52
	s_delay_alu instid0(VALU_DEP_1)
	v_add3_u32 v52, v5, v55, v54
	ds_load_2addr_b32 v[4:5], v4 offset0:6 offset1:7
	s_wait_dscnt 0x0
	s_set_vgpr_msb 64                       ;  msbs: dst=1 src0=0 src1=0 src2=0
	v_bfe_u32 v125 /*v381*/, v4, 8, 4
	v_and_b32_e32 v132 /*v388*/, 15, v4
	v_bfe_u32 v133 /*v389*/, v4, 24, 4
	v_bfe_u32 v136 /*v392*/, v4, 16, 4
	v_dual_lshrrev_b32 v131 /*v387*/, 28, v4 :: v_dual_bitop2_b32 v137 /*v393*/, 15, v5 bitop3:0x40
	s_set_vgpr_msb 4                        ;  msbs: dst=0 src0=0 src1=1 src2=0
	v_mul_i32_i24_e32 v53, v163, v132 /*v388*/
	v_mul_i32_i24_e32 v54, v164, v125 /*v381*/
	v_mul_i32_i24_e32 v55, v162, v133 /*v389*/
	v_mul_i32_i24_e32 v56, v161, v136 /*v392*/
	s_set_vgpr_msb 64                       ;  msbs: dst=1 src0=0 src1=0 src2=0
	v_bfe_u32 v138 /*v394*/, v5, 8, 4
	v_bfe_u32 v34 /*v290*/, v5, 16, 4
	s_set_vgpr_msb 0                        ;  msbs: dst=0 src0=0 src1=0 src2=0
	v_add3_u32 v52, v52, v54, v53
	s_set_vgpr_msb 64                       ;  msbs: dst=1 src0=0 src1=0 src2=0
	v_bfe_u32 v33 /*v289*/, v5, 24, 4
	v_bfe_u32 v135 /*v391*/, v5, 4, 4
	;; [unrolled: 1-line block ×4, first 2 shown]
	v_add3_u32 v169 /*v425*/, v52, v56, v55
	s_set_vgpr_msb 0                        ;  msbs: dst=0 src0=0 src1=0 src2=0
	ds_load_u16 v52, v40
	ds_load_u16 v40, v40 offset:8
	s_set_vgpr_msb 64                       ;  msbs: dst=1 src0=0 src1=0 src2=0
	v_lshrrev_b32_e32 v36 /*v292*/, 28, v5
	s_set_vgpr_msb 0                        ;  msbs: dst=0 src0=0 src1=0 src2=0
	v_add_nc_u32_e32 v5, s13, v152
	s_set_vgpr_msb 0x41                     ;  msbs: dst=1 src0=1 src1=0 src2=0
	v_mul_i32_i24_e32 v171 /*v427*/, v138 /*v394*/, v116
	v_mul_i32_i24_e32 v167 /*v423*/, v135 /*v391*/, v114
	v_mul_i32_i24_e32 v170 /*v426*/, v137 /*v393*/, v160
	s_set_vgpr_msb 0x44                     ;  msbs: dst=1 src0=0 src1=1 src2=0
	v_mul_i32_i24_e32 v255 /*v511*/, v2, v38 /*v294*/
	s_set_vgpr_msb 0                        ;  msbs: dst=0 src0=0 src1=0 src2=0
	ds_load_2addr_b32 v[110:111], v5 offset1:1
	ds_load_2addr_b32 v[112:113], v5 offset0:2 offset1:3
	ds_load_2addr_b32 v[118:119], v5 offset0:4 offset1:5
	;; [unrolled: 1-line block ×3, first 2 shown]
	s_set_vgpr_msb 5                        ;  msbs: dst=0 src0=1 src1=1 src2=0
	v_mul_i32_i24_e32 v62, v37 /*v293*/, v251 /*v507*/
	s_wait_dscnt 0x5
	s_set_vgpr_msb 0                        ;  msbs: dst=0 src0=0 src1=0 src2=0
	v_lshrrev_b16 v53, 8, v52
	s_set_vgpr_msb 64                       ;  msbs: dst=1 src0=0 src1=0 src2=0
	v_and_b32_e32 v32 /*v288*/, 0xff, v52
	s_set_vgpr_msb 0                        ;  msbs: dst=0 src0=0 src1=0 src2=0
	v_lshrrev_b32_e32 v52, 4, v10
	s_wait_dscnt 0x4
	v_cvt_f32_ubyte0_e32 v120, v40
	v_cvt_f32_ubyte1_e32 v122, v40
	s_set_vgpr_msb 64                       ;  msbs: dst=1 src0=0 src1=0 src2=0
	v_and_b32_e32 v35 /*v291*/, 0xffff, v53
	s_set_vgpr_msb 0                        ;  msbs: dst=0 src0=0 src1=0 src2=0
	v_add3_u32 v40, s16, v156, v145
	v_lshrrev_b16 v52, 8, v52
	s_wait_dscnt 0x3
	s_set_vgpr_msb 64                       ;  msbs: dst=1 src0=0 src1=0 src2=0
	v_and_b32_e32 v43 /*v299*/, 15, v110
	s_wait_dscnt 0x1
	v_dual_lshrrev_b32 v94 /*v350*/, 28, v119 :: v_dual_bitop2_b32 v50 /*v306*/, 15, v112 bitop3:0x40
	v_bfe_u32 v62 /*v318*/, v119, 8, 4
	v_dual_lshrrev_b32 v75 /*v331*/, 28, v110 :: v_dual_bitop2_b32 v139 /*v395*/, 15, v52 bitop3:0x40
	s_set_vgpr_msb 0                        ;  msbs: dst=0 src0=0 src1=0 src2=0
	v_lshrrev_b32_e32 v52, 4, v11
	s_set_vgpr_msb 64                       ;  msbs: dst=1 src0=0 src1=0 src2=0
	v_and_b32_e32 v63 /*v319*/, 15, v119
	v_bfe_u32 v64 /*v320*/, v119, 24, 4
	v_bfe_u32 v65 /*v321*/, v119, 16, 4
	;; [unrolled: 1-line block ×3, first 2 shown]
	s_set_vgpr_msb 0                        ;  msbs: dst=0 src0=0 src1=0 src2=0
	v_lshrrev_b16 v52, 8, v52
	s_set_vgpr_msb 64                       ;  msbs: dst=1 src0=0 src1=0 src2=0
	v_bfe_u32 v93 /*v349*/, v119, 12, 4
	v_bfe_u32 v95 /*v351*/, v119, 20, 4
	s_wait_dscnt 0x0
	s_set_vgpr_msb 0                        ;  msbs: dst=0 src0=0 src1=0 src2=0
	v_lshrrev_b32_e32 v119, 28, v159
	s_set_vgpr_msb 64                       ;  msbs: dst=1 src0=0 src1=0 src2=0
	v_bfe_u32 v42 /*v298*/, v110, 8, 4
	v_dual_lshrrev_b32 v80 /*v336*/, 28, v111 :: v_dual_bitop2_b32 v176 /*v432*/, 15, v52 bitop3:0x40
	s_set_vgpr_msb 0                        ;  msbs: dst=0 src0=0 src1=0 src2=0
	v_lshrrev_b32_e32 v52, 4, v8
	s_set_vgpr_msb 64                       ;  msbs: dst=1 src0=0 src1=0 src2=0
	v_bfe_u32 v44 /*v300*/, v110, 16, 4
	v_bfe_u32 v45 /*v301*/, v110, 24, 4
	v_dual_lshrrev_b32 v84 /*v340*/, 28, v112 :: v_dual_bitop2_b32 v46 /*v302*/, 15, v111 bitop3:0x40
	s_set_vgpr_msb 1                        ;  msbs: dst=0 src0=1 src1=0 src2=0
	v_lshrrev_b16 v52, 8, v52
	v_mul_i32_i24_e32 v53, v44 /*v300*/, v170
	v_mul_i32_i24_e32 v54, v45 /*v301*/, v186
	s_set_vgpr_msb 64                       ;  msbs: dst=1 src0=0 src1=0 src2=0
	v_bfe_u32 v47 /*v303*/, v111, 8, 4
	v_bfe_u32 v48 /*v304*/, v111, 16, 4
	v_dual_lshrrev_b32 v87 /*v343*/, 28, v113 :: v_dual_bitop2_b32 v175 /*v431*/, 15, v52 bitop3:0x40
	s_set_vgpr_msb 0                        ;  msbs: dst=0 src0=0 src1=0 src2=0
	v_lshrrev_b32_e32 v52, 4, v9
	s_set_vgpr_msb 64                       ;  msbs: dst=1 src0=0 src1=0 src2=0
	v_bfe_u32 v49 /*v305*/, v111, 24, 4
	s_set_vgpr_msb 1                        ;  msbs: dst=0 src0=1 src1=0 src2=0
	v_mul_i32_i24_e32 v55, v48 /*v304*/, v174
	s_set_vgpr_msb 64                       ;  msbs: dst=1 src0=0 src1=0 src2=0
	v_bfe_u32 v51 /*v307*/, v112, 8, 4
	v_bfe_u32 v52 /*v308*/, v112, 16, 4
	s_set_vgpr_msb 1                        ;  msbs: dst=0 src0=1 src1=0 src2=0
	v_lshrrev_b16 v52, 8, v52
	v_mul_i32_i24_e32 v56, v49 /*v305*/, v175
	s_set_vgpr_msb 64                       ;  msbs: dst=1 src0=0 src1=0 src2=0
	v_bfe_u32 v53 /*v309*/, v112, 24, 4
	v_and_b32_e32 v54 /*v310*/, 15, v113
	v_bfe_u32 v55 /*v311*/, v113, 8, 4
	v_dual_lshrrev_b32 v90 /*v346*/, 28, v118 :: v_dual_bitop2_b32 v174 /*v430*/, 15, v52 bitop3:0x40
	s_set_vgpr_msb 0                        ;  msbs: dst=0 src0=0 src1=0 src2=0
	v_lshrrev_b32_e32 v52, 4, v0
	s_set_vgpr_msb 64                       ;  msbs: dst=1 src0=0 src1=0 src2=0
	v_bfe_u32 v56 /*v312*/, v113, 16, 4
	v_bfe_u32 v57 /*v313*/, v113, 24, 4
	v_and_b32_e32 v58 /*v314*/, 15, v118
	v_bfe_u32 v59 /*v315*/, v118, 8, 4
	s_set_vgpr_msb 0                        ;  msbs: dst=0 src0=0 src1=0 src2=0
	v_lshrrev_b16 v52, 8, v52
	s_set_vgpr_msb 64                       ;  msbs: dst=1 src0=0 src1=0 src2=0
	v_bfe_u32 v60 /*v316*/, v118, 24, 4
	v_bfe_u32 v61 /*v317*/, v118, 16, 4
	;; [unrolled: 1-line block ×3, first 2 shown]
	v_and_b32_e32 v67 /*v323*/, 15, v158
	v_dual_lshrrev_b32 v98 /*v354*/, 28, v158 :: v_dual_bitop2_b32 v173 /*v429*/, 15, v52 bitop3:0x40
	s_set_vgpr_msb 0                        ;  msbs: dst=0 src0=0 src1=0 src2=0
	v_lshrrev_b32_e32 v52, 4, v1
	s_set_vgpr_msb 64                       ;  msbs: dst=1 src0=0 src1=0 src2=0
	v_bfe_u32 v68 /*v324*/, v158, 24, 4
	s_set_vgpr_msb 4                        ;  msbs: dst=0 src0=0 src1=1 src2=0
	v_mul_i32_i24_e32 v5, v163, v67 /*v323*/
	s_set_vgpr_msb 64                       ;  msbs: dst=1 src0=0 src1=0 src2=0
	v_bfe_u32 v70 /*v326*/, v158, 16, 4
	v_bfe_u32 v72 /*v328*/, v110, 4, 4
	s_set_vgpr_msb 0                        ;  msbs: dst=0 src0=0 src1=0 src2=0
	v_lshrrev_b16 v52, 8, v52
	s_set_vgpr_msb 64                       ;  msbs: dst=1 src0=0 src1=0 src2=0
	v_bfe_u32 v69 /*v325*/, v110, 20, 4
	v_bfe_u32 v71 /*v327*/, v110, 12, 4
	;; [unrolled: 1-line block ×4, first 2 shown]
	v_and_b32_e32 v172 /*v428*/, 15, v52
	s_set_vgpr_msb 0                        ;  msbs: dst=0 src0=0 src1=0 src2=0
	v_lshrrev_b32_e32 v52, 4, v4
	s_set_vgpr_msb 64                       ;  msbs: dst=1 src0=0 src1=0 src2=0
	v_bfe_u32 v73 /*v329*/, v111, 20, 4
	s_set_vgpr_msb 5                        ;  msbs: dst=0 src0=1 src1=1 src2=0
	v_mul_i32_i24_e32 v58, v80 /*v336*/, v165 /*v421*/
	s_set_vgpr_msb 64                       ;  msbs: dst=1 src0=0 src1=0 src2=0
	v_bfe_u32 v81 /*v337*/, v112, 4, 4
	v_bfe_u32 v82 /*v338*/, v112, 12, 4
	s_set_vgpr_msb 0                        ;  msbs: dst=0 src0=0 src1=0 src2=0
	v_lshrrev_b16 v52, 8, v52
	s_set_vgpr_msb 64                       ;  msbs: dst=1 src0=0 src1=0 src2=0
	v_bfe_u32 v79 /*v335*/, v112, 20, 4
	s_set_vgpr_msb 5                        ;  msbs: dst=0 src0=1 src1=1 src2=0
	v_mul_i32_i24_e32 v71, v84 /*v340*/, v164 /*v420*/
	v_mul_i32_i24_e32 v61, v81 /*v337*/, v148 /*v404*/
	v_mul_i32_i24_e32 v67, v82 /*v338*/, v149 /*v405*/
	s_set_vgpr_msb 64                       ;  msbs: dst=1 src0=0 src1=0 src2=0
	v_and_b32_e32 v168 /*v424*/, 15, v52
	s_set_vgpr_msb 1                        ;  msbs: dst=0 src0=1 src1=0 src2=0
	v_mul_i32_i24_e32 v52, v43 /*v299*/, v167
	s_set_vgpr_msb 5                        ;  msbs: dst=0 src0=1 src1=1 src2=0
	v_mul_i32_i24_e32 v69, v79 /*v335*/, v150 /*v406*/
	s_set_vgpr_msb 64                       ;  msbs: dst=1 src0=0 src1=0 src2=0
	v_bfe_u32 v85 /*v341*/, v113, 4, 4
	v_bfe_u32 v86 /*v342*/, v113, 12, 4
	;; [unrolled: 1-line block ×3, first 2 shown]
	s_set_vgpr_msb 1                        ;  msbs: dst=0 src0=1 src1=0 src2=0
	v_mad_i32_i24 v52, v42 /*v298*/, v171, v52
	s_set_vgpr_msb 5                        ;  msbs: dst=0 src0=1 src1=1 src2=0
	v_mul_i32_i24_e32 v92, v87 /*v343*/, v163 /*v419*/
	v_mul_i32_i24_e32 v82, v85 /*v341*/, v152 /*v408*/
	;; [unrolled: 1-line block ×4, first 2 shown]
	s_set_vgpr_msb 0                        ;  msbs: dst=0 src0=0 src1=0 src2=0
	v_add3_u32 v52, v52, v53, v54
	s_set_vgpr_msb 1                        ;  msbs: dst=0 src0=1 src1=0 src2=0
	v_mul_i32_i24_e32 v53, v46 /*v302*/, v172
	v_mul_i32_i24_e32 v54, v47 /*v303*/, v173
	s_set_vgpr_msb 64                       ;  msbs: dst=1 src0=0 src1=0 src2=0
	v_bfe_u32 v88 /*v344*/, v118, 4, 4
	v_bfe_u32 v89 /*v345*/, v118, 12, 4
	;; [unrolled: 1-line block ×3, first 2 shown]
	s_set_vgpr_msb 5                        ;  msbs: dst=0 src0=1 src1=1 src2=0
	v_mul_i32_i24_e32 v112, v161 /*v417*/, v90 /*v346*/
	s_set_vgpr_msb 0                        ;  msbs: dst=0 src0=0 src1=0 src2=0
	v_add3_u32 v52, v52, v54, v53
	s_set_vgpr_msb 1                        ;  msbs: dst=0 src0=1 src1=0 src2=0
	v_mul_i32_i24_e32 v53, v50 /*v306*/, v176
	v_mul_i32_i24_e32 v54, v51 /*v307*/, v177
	s_set_vgpr_msb 5                        ;  msbs: dst=0 src0=1 src1=1 src2=0
	v_mul_i32_i24_e32 v110, v155 /*v411*/, v89 /*v345*/
	v_mul_i32_i24_e32 v111, v154 /*v410*/, v88 /*v344*/
	s_set_vgpr_msb 0                        ;  msbs: dst=0 src0=0 src1=0 src2=0
	v_add3_u32 v52, v52, v55, v56
	s_set_vgpr_msb 1                        ;  msbs: dst=0 src0=1 src1=0 src2=0
	v_mul_i32_i24_e32 v55, v52 /*v308*/, v178
	v_mul_i32_i24_e32 v56, v53 /*v309*/, v179
	s_set_vgpr_msb 5                        ;  msbs: dst=0 src0=1 src1=1 src2=0
	v_mul_i32_i24_e32 v113, v156 /*v412*/, v91 /*v347*/
	;; [unrolled: 8-line block ×4, first 2 shown]
	s_set_vgpr_msb 64                       ;  msbs: dst=1 src0=0 src1=0 src2=0
	v_bfe_u32 v96 /*v352*/, v158, 4, 4
	s_set_vgpr_msb 0                        ;  msbs: dst=0 src0=0 src1=0 src2=0
	v_add3_u32 v52, v52, v54, v53
	s_set_vgpr_msb 1                        ;  msbs: dst=0 src0=1 src1=0 src2=0
	v_mul_i32_i24_e32 v53, v58 /*v314*/, v184
	v_mul_i32_i24_e32 v54, v59 /*v315*/, v185
	s_set_vgpr_msb 64                       ;  msbs: dst=1 src0=0 src1=0 src2=0
	v_bfe_u32 v97 /*v353*/, v158, 12, 4
	s_set_vgpr_msb 4                        ;  msbs: dst=0 src0=0 src1=1 src2=0
	v_mul_i32_i24_e32 v191, v12, v96 /*v352*/
	s_set_vgpr_msb 0                        ;  msbs: dst=0 src0=0 src1=0 src2=0
	v_add3_u32 v52, v52, v55, v56
	s_set_vgpr_msb 4                        ;  msbs: dst=0 src0=0 src1=1 src2=0
	v_mul_i32_i24_e32 v55, v188, v60 /*v316*/
	v_mul_i32_i24_e32 v56, v187, v61 /*v317*/
	v_mul_i32_i24_e32 v169, v13, v97 /*v353*/
	s_set_vgpr_msb 64                       ;  msbs: dst=1 src0=0 src1=0 src2=0
	v_bfe_u32 v99 /*v355*/, v158, 20, 4
	s_set_vgpr_msb 0                        ;  msbs: dst=0 src0=0 src1=0 src2=0
	v_add3_u32 v52, v52, v54, v53
	s_set_vgpr_msb 4                        ;  msbs: dst=0 src0=0 src1=1 src2=0
	v_mul_i32_i24_e32 v53, v189, v63 /*v319*/
	v_mul_i32_i24_e32 v54, v190, v62 /*v318*/
	;; [unrolled: 1-line block ×4, first 2 shown]
	s_set_vgpr_msb 0                        ;  msbs: dst=0 src0=0 src1=0 src2=0
	v_add3_u32 v52, v52, v56, v55
	s_set_vgpr_msb 4                        ;  msbs: dst=0 src0=0 src1=1 src2=0
	v_mul_i32_i24_e32 v55, v166, v64 /*v320*/
	v_mul_i32_i24_e32 v56, v165, v65 /*v321*/
	s_set_vgpr_msb 64                       ;  msbs: dst=1 src0=0 src1=0 src2=0
	v_bfe_u32 v76 /*v332*/, v159, 8, 4
	v_bfe_u32 v41 /*v297*/, v159, 16, 4
	s_set_vgpr_msb 0                        ;  msbs: dst=0 src0=0 src1=0 src2=0
	v_add3_u32 v52, v52, v54, v53
	s_set_vgpr_msb 4                        ;  msbs: dst=0 src0=0 src1=1 src2=0
	v_mul_i32_i24_e32 v53, v164, v66 /*v322*/
	v_mul_i32_i24_e32 v54, v162, v68 /*v324*/
	s_set_vgpr_msb 64                       ;  msbs: dst=1 src0=0 src1=0 src2=0
	v_bfe_u32 v40 /*v296*/, v159, 24, 4
	v_bfe_u32 v100 /*v356*/, v159, 4, 4
	s_set_vgpr_msb 0                        ;  msbs: dst=0 src0=0 src1=0 src2=0
	v_add3_u32 v52, v52, v56, v55
	s_set_vgpr_msb 4                        ;  msbs: dst=0 src0=0 src1=1 src2=0
	v_mul_i32_i24_e32 v55, v161, v70 /*v326*/
	s_set_vgpr_msb 5                        ;  msbs: dst=0 src0=1 src1=1 src2=0
	v_mul_i32_i24_e32 v56, v73 /*v329*/, v147 /*v403*/
	s_set_vgpr_msb 0                        ;  msbs: dst=0 src0=0 src1=0 src2=0
	v_bfe_u32 v158, v159, 12, 4
	v_bfe_u32 v157, v159, 20, 4
	v_add3_u32 v5, v52, v53, v5
	ds_load_u16 v52, v40
	ds_load_u16 v40, v40 offset:8
	s_set_vgpr_msb 0x41                     ;  msbs: dst=1 src0=1 src1=0 src2=0
	v_mul_i32_i24_e32 v178 /*v434*/, v76 /*v332*/, v116
	v_mul_i32_i24_e32 v179 /*v435*/, v100 /*v356*/, v114
	s_set_vgpr_msb 0x44                     ;  msbs: dst=1 src0=0 src1=1 src2=0
	v_and_b32_e32 v139 /*v395*/, 0xffff, v139 /*v395*/
	s_set_vgpr_msb 0                        ;  msbs: dst=0 src0=0 src1=0 src2=0
	v_add3_u32 v5, v5, v55, v54
	s_set_vgpr_msb 5                        ;  msbs: dst=0 src0=1 src1=1 src2=0
	v_mul_i32_i24_e32 v54, v69 /*v325*/, v144 /*v400*/
	v_mul_i32_i24_e32 v55, v75 /*v331*/, v166 /*v422*/
	s_wait_dscnt 0x1
	s_set_vgpr_msb 0                        ;  msbs: dst=0 src0=0 src1=0 src2=0
	v_lshrrev_b16 v53, 8, v52
	s_set_vgpr_msb 64                       ;  msbs: dst=1 src0=0 src1=0 src2=0
	v_and_b32_e32 v39 /*v295*/, 0xff, v52
	s_set_vgpr_msb 5                        ;  msbs: dst=0 src0=1 src1=1 src2=0
	v_mul_i32_i24_e32 v52, v72 /*v328*/, v143 /*v399*/
	s_wait_dscnt 0x0
	s_set_vgpr_msb 0                        ;  msbs: dst=0 src0=0 src1=0 src2=0
	v_cvt_f32_ubyte0_e32 v124, v40
	s_set_vgpr_msb 5                        ;  msbs: dst=0 src0=1 src1=1 src2=0
	v_mad_i32_i24 v52, v71 /*v327*/, v142 /*v398*/, v52
	s_set_vgpr_msb 0                        ;  msbs: dst=0 src0=0 src1=0 src2=0
	s_delay_alu instid0(VALU_DEP_1) | instskip(SKIP_4) | instid1(VALU_DEP_1)
	v_add3_u32 v52, v52, v54, v55
	s_set_vgpr_msb 5                        ;  msbs: dst=0 src0=1 src1=1 src2=0
	v_mul_i32_i24_e32 v54, v77 /*v333*/, v145 /*v401*/
	v_mul_i32_i24_e32 v55, v78 /*v334*/, v146 /*v402*/
	s_set_vgpr_msb 0                        ;  msbs: dst=0 src0=0 src1=0 src2=0
	v_add3_u32 v52, v52, v54, v55
	s_delay_alu instid0(VALU_DEP_1) | instskip(NEXT) | instid1(VALU_DEP_1)
	v_add3_u32 v52, v52, v56, v58
	v_add3_u32 v52, v52, v61, v67
	s_delay_alu instid0(VALU_DEP_1) | instskip(NEXT) | instid1(VALU_DEP_1)
	v_add3_u32 v52, v52, v69, v71
	;; [unrolled: 3-line block ×4, first 2 shown]
	v_add3_u32 v52, v52, v117, v115
	s_delay_alu instid0(VALU_DEP_1) | instskip(SKIP_2) | instid1(VALU_DEP_3)
	v_add3_u32 v52, v52, v168, v118
	v_cvt_f32_ubyte1_e32 v118, v40
	v_add3_u32 v40, s16, v149, v146
	v_add3_u32 v52, v52, v191, v169
	s_set_vgpr_msb 64                       ;  msbs: dst=1 src0=0 src1=0 src2=0
	s_delay_alu instid0(VALU_DEP_1)
	v_add3_u32 v180 /*v436*/, v52, v193, v192
	s_set_vgpr_msb 0                        ;  msbs: dst=0 src0=0 src1=0 src2=0
	v_add_nc_u32_e32 v52, s13, v153
	ds_load_2addr_b32 v[112:113], v52 offset1:1
	ds_load_2addr_b32 v[168:169], v52 offset0:2 offset1:3
	ds_load_2addr_b32 v[192:193], v52 offset0:4 offset1:5
	;; [unrolled: 1-line block ×3, first 2 shown]
	s_set_vgpr_msb 64                       ;  msbs: dst=1 src0=0 src1=0 src2=0
	v_and_b32_e32 v74 /*v330*/, 15, v159
	s_set_vgpr_msb 0                        ;  msbs: dst=0 src0=0 src1=0 src2=0
	v_and_b32_e32 v159, 0xffff, v53
	s_wait_dscnt 0x3
	v_and_b32_e32 v230, 15, v112
	v_bfe_u32 v229, v112, 8, 4
	v_bfe_u32 v231, v112, 16, 4
	;; [unrolled: 1-line block ×3, first 2 shown]
	v_and_b32_e32 v233, 15, v113
	v_mul_i32_i24_e32 v53, v230, v167
	v_bfe_u32 v234, v113, 8, 4
	v_mul_i32_i24_e32 v54, v231, v170
	v_mul_i32_i24_e32 v55, v232, v186
	v_bfe_u32 v235, v113, 16, 4
	v_mad_i32_i24 v53, v229, v171, v53
	v_bfe_u32 v236, v113, 24, 4
	s_wait_dscnt 0x2
	v_and_b32_e32 v237, 15, v168
	v_bfe_u32 v238, v168, 8, 4
	v_mul_i32_i24_e32 v56, v235, v174
	v_add3_u32 v53, v53, v54, v55
	v_mul_i32_i24_e32 v54, v233, v172
	v_mul_i32_i24_e32 v55, v234, v173
	;; [unrolled: 1-line block ×3, first 2 shown]
	v_bfe_u32 v239, v168, 16, 4
	v_bfe_u32 v240, v168, 24, 4
	v_and_b32_e32 v241, 15, v169
	v_add3_u32 v53, v53, v55, v54
	v_mul_i32_i24_e32 v54, v237, v176
	v_mul_i32_i24_e32 v55, v238, v177
	v_bfe_u32 v242, v169, 8, 4
	v_bfe_u32 v243, v169, 16, 4
	v_add3_u32 v53, v53, v56, v58
	v_mul_i32_i24_e32 v56, v239, v178
	v_mul_i32_i24_e32 v58, v240, v179
	v_bfe_u32 v244, v169, 24, 4
	s_wait_dscnt 0x1
	v_and_b32_e32 v245, 15, v192
	v_add3_u32 v53, v53, v55, v54
	v_mul_i32_i24_e32 v54, v241, v180
	v_mul_i32_i24_e32 v55, v242, v181
	v_bfe_u32 v246, v192, 8, 4
	v_bfe_u32 v247, v192, 24, 4
	v_add3_u32 v53, v53, v56, v58
	v_mul_i32_i24_e32 v56, v243, v182
	v_mul_i32_i24_e32 v58, v244, v183
	v_bfe_u32 v248, v192, 16, 4
	v_bfe_u32 v249, v193, 8, 4
	v_add3_u32 v53, v53, v55, v54
	v_mul_i32_i24_e32 v54, v245, v184
	v_mul_i32_i24_e32 v55, v246, v185
	s_wait_dscnt 0x0
	v_dual_lshrrev_b32 v111, 28, v195 :: v_dual_bitop2_b32 v250, 15, v193 bitop3:0x40
	v_add3_u32 v53, v53, v56, v58
	v_mul_i32_i24_e32 v56, v188, v247
	v_mul_i32_i24_e32 v58, v187, v248
	v_bfe_u32 v251, v193, 24, 4
	v_bfe_u32 v252, v193, 16, 4
	v_add3_u32 v53, v53, v55, v54
	v_mul_i32_i24_e32 v54, v189, v250
	v_mul_i32_i24_e32 v55, v190, v249
	v_bfe_u32 v253, v194, 8, 4
	v_and_b32_e32 v254, 15, v194
	v_add3_u32 v53, v53, v58, v56
	v_mul_i32_i24_e32 v56, v166, v251
	v_mul_i32_i24_e32 v58, v165, v252
	v_bfe_u32 v255, v194, 24, 4
	v_mul_i32_i24_e32 v52, v163, v254
	v_add3_u32 v53, v53, v55, v54
	v_mul_i32_i24_e32 v54, v164, v253
	s_set_vgpr_msb 64                       ;  msbs: dst=1 src0=0 src1=0 src2=0
	v_bfe_u32 v1 /*v257*/, v194, 16, 4
	s_set_vgpr_msb 0                        ;  msbs: dst=0 src0=0 src1=0 src2=0
	v_mul_i32_i24_e32 v55, v162, v255
	s_set_vgpr_msb 64                       ;  msbs: dst=1 src0=0 src1=0 src2=0
	v_bfe_u32 v3 /*v259*/, v112, 4, 4
	s_set_vgpr_msb 0                        ;  msbs: dst=0 src0=0 src1=0 src2=0
	v_add3_u32 v53, v53, v58, v56
	s_set_vgpr_msb 64                       ;  msbs: dst=1 src0=0 src1=0 src2=0
	v_bfe_u32 v0 /*v256*/, v112, 20, 4
	s_set_vgpr_msb 4                        ;  msbs: dst=0 src0=0 src1=1 src2=0
	v_mul_i32_i24_e32 v56, v161, v1 /*v257*/
	s_set_vgpr_msb 64                       ;  msbs: dst=1 src0=0 src1=0 src2=0
	v_bfe_u32 v2 /*v258*/, v112, 12, 4
	v_lshrrev_b32_e32 v6 /*v262*/, 28, v112
	s_set_vgpr_msb 0                        ;  msbs: dst=0 src0=0 src1=0 src2=0
	v_add3_u32 v52, v53, v54, v52
	s_set_vgpr_msb 5                        ;  msbs: dst=0 src0=1 src1=1 src2=0
	v_mul_i32_i24_e32 v54, v0 /*v256*/, v144 /*v400*/
	s_set_vgpr_msb 64                       ;  msbs: dst=1 src0=0 src1=0 src2=0
	v_bfe_u32 v8 /*v264*/, v113, 4, 4
	v_bfe_u32 v9 /*v265*/, v113, 12, 4
	v_bfe_u32 v4 /*v260*/, v113, 20, 4
	v_add3_u32 v181 /*v437*/, v52, v56, v55
	s_set_vgpr_msb 0                        ;  msbs: dst=0 src0=0 src1=0 src2=0
	ds_load_u16 v52, v40
	ds_load_u16 v40, v40 offset:8
	s_set_vgpr_msb 5                        ;  msbs: dst=0 src0=1 src1=1 src2=0
	v_mul_i32_i24_e32 v55, v6 /*v262*/, v166 /*v422*/
	s_set_vgpr_msb 64                       ;  msbs: dst=1 src0=0 src1=0 src2=0
	v_lshrrev_b32_e32 v11 /*v267*/, 28, v113
	s_set_vgpr_msb 5                        ;  msbs: dst=0 src0=1 src1=1 src2=0
	v_mul_i32_i24_e32 v56, v4 /*v260*/, v147 /*v403*/
	s_set_vgpr_msb 64                       ;  msbs: dst=1 src0=0 src1=0 src2=0
	v_bfe_u32 v12 /*v268*/, v168, 4, 4
	v_bfe_u32 v13 /*v269*/, v168, 12, 4
	;; [unrolled: 1-line block ×3, first 2 shown]
	s_set_vgpr_msb 5                        ;  msbs: dst=0 src0=1 src1=1 src2=0
	v_mul_i32_i24_e32 v58, v11 /*v267*/, v165 /*v421*/
	s_set_vgpr_msb 64                       ;  msbs: dst=1 src0=0 src1=0 src2=0
	v_lshrrev_b32_e32 v15 /*v271*/, 28, v168
	s_set_vgpr_msb 5                        ;  msbs: dst=0 src0=1 src1=1 src2=0
	v_mul_i32_i24_e32 v61, v12 /*v268*/, v148 /*v404*/
	v_mul_i32_i24_e32 v67, v13 /*v269*/, v149 /*v405*/
	;; [unrolled: 1-line block ×3, first 2 shown]
	s_set_vgpr_msb 64                       ;  msbs: dst=1 src0=0 src1=0 src2=0
	v_bfe_u32 v16 /*v272*/, v169, 4, 4
	s_set_vgpr_msb 5                        ;  msbs: dst=0 src0=1 src1=1 src2=0
	v_mul_i32_i24_e32 v71, v15 /*v271*/, v164 /*v420*/
	s_set_vgpr_msb 64                       ;  msbs: dst=1 src0=0 src1=0 src2=0
	v_bfe_u32 v17 /*v273*/, v169, 12, 4
	v_bfe_u32 v14 /*v270*/, v169, 20, 4
	v_lshrrev_b32_e32 v18 /*v274*/, 28, v169
	s_set_vgpr_msb 5                        ;  msbs: dst=0 src0=1 src1=1 src2=0
	v_mul_i32_i24_e32 v82, v16 /*v272*/, v152 /*v408*/
	s_set_vgpr_msb 64                       ;  msbs: dst=1 src0=0 src1=0 src2=0
	v_bfe_u32 v19 /*v275*/, v192, 4, 4
	s_wait_dscnt 0x1
	s_set_vgpr_msb 0                        ;  msbs: dst=0 src0=0 src1=0 src2=0
	v_lshrrev_b16 v53, 8, v52
	v_and_b32_e32 v226, 0xff, v52
	s_set_vgpr_msb 5                        ;  msbs: dst=0 src0=1 src1=1 src2=0
	v_mul_i32_i24_e32 v52, v3 /*v259*/, v143 /*v399*/
	v_mul_i32_i24_e32 v84, v17 /*v273*/, v153 /*v409*/
	;; [unrolled: 1-line block ×4, first 2 shown]
	s_set_vgpr_msb 64                       ;  msbs: dst=1 src0=0 src1=0 src2=0
	v_bfe_u32 v20 /*v276*/, v192, 12, 4
	s_set_vgpr_msb 5                        ;  msbs: dst=0 src0=1 src1=1 src2=0
	v_mad_i32_i24 v52, v2 /*v258*/, v142 /*v398*/, v52
	v_mul_i32_i24_e32 v117, v154 /*v410*/, v19 /*v275*/
	s_set_vgpr_msb 64                       ;  msbs: dst=1 src0=0 src1=0 src2=0
	v_lshrrev_b32_e32 v21 /*v277*/, 28, v192
	v_bfe_u32 v22 /*v278*/, v192, 20, 4
	s_set_vgpr_msb 5                        ;  msbs: dst=0 src0=1 src1=1 src2=0
	v_mul_i32_i24_e32 v112, v155 /*v411*/, v20 /*v276*/
	s_set_vgpr_msb 0                        ;  msbs: dst=0 src0=0 src1=0 src2=0
	v_add3_u32 v52, v52, v54, v55
	s_set_vgpr_msb 5                        ;  msbs: dst=0 src0=1 src1=1 src2=0
	v_mul_i32_i24_e32 v54, v8 /*v264*/, v145 /*v401*/
	v_mul_i32_i24_e32 v55, v9 /*v265*/, v146 /*v402*/
	;; [unrolled: 1-line block ×4, first 2 shown]
	s_set_vgpr_msb 64                       ;  msbs: dst=1 src0=0 src1=0 src2=0
	v_bfe_u32 v23 /*v279*/, v193, 4, 4
	v_bfe_u32 v24 /*v280*/, v193, 12, 4
	s_set_vgpr_msb 0                        ;  msbs: dst=0 src0=0 src1=0 src2=0
	v_add3_u32 v52, v52, v54, v55
	s_set_vgpr_msb 64                       ;  msbs: dst=1 src0=0 src1=0 src2=0
	v_lshrrev_b32_e32 v25 /*v281*/, 28, v193
	v_bfe_u32 v26 /*v282*/, v193, 20, 4
	s_set_vgpr_msb 5                        ;  msbs: dst=0 src0=1 src1=1 src2=0
	v_mul_i32_i24_e32 v192, v157 /*v413*/, v23 /*v279*/
	v_mul_i32_i24_e32 v191, v158 /*v414*/, v24 /*v280*/
	s_set_vgpr_msb 0                        ;  msbs: dst=0 src0=0 src1=0 src2=0
	v_add3_u32 v52, v52, v56, v58
	s_set_vgpr_msb 5                        ;  msbs: dst=0 src0=1 src1=1 src2=0
	v_mul_i32_i24_e32 v193, v160 /*v416*/, v25 /*v281*/
	v_mul_i32_i24_e32 v196, v159 /*v415*/, v26 /*v282*/
	s_set_vgpr_msb 64                       ;  msbs: dst=1 src0=0 src1=0 src2=0
	v_bfe_u32 v27 /*v283*/, v194, 4, 4
	v_bfe_u32 v28 /*v284*/, v194, 12, 4
	s_set_vgpr_msb 0                        ;  msbs: dst=0 src0=0 src1=0 src2=0
	v_add3_u32 v52, v52, v61, v67
	s_set_vgpr_msb 64                       ;  msbs: dst=1 src0=0 src1=0 src2=0
	v_lshrrev_b32_e32 v29 /*v285*/, 28, v194
	v_bfe_u32 v30 /*v286*/, v194, 20, 4
	s_set_vgpr_msb 4                        ;  msbs: dst=0 src0=0 src1=1 src2=0
	v_mul_i32_i24_e32 v198, v12, v27 /*v283*/
	v_mul_i32_i24_e32 v197, v13, v28 /*v284*/
	s_set_vgpr_msb 0                        ;  msbs: dst=0 src0=0 src1=0 src2=0
	v_add3_u32 v52, v52, v69, v71
	s_set_vgpr_msb 4                        ;  msbs: dst=0 src0=0 src1=1 src2=0
	v_mul_i32_i24_e32 v194, v15, v29 /*v285*/
	v_mul_i32_i24_e32 v199, v14, v30 /*v286*/
	s_set_vgpr_msb 64                       ;  msbs: dst=1 src0=0 src1=0 src2=0
	v_and_b32_e32 v5 /*v261*/, 15, v195
	v_bfe_u32 v7 /*v263*/, v195, 8, 4
	s_set_vgpr_msb 0                        ;  msbs: dst=0 src0=0 src1=0 src2=0
	v_add3_u32 v52, v52, v82, v84
	v_bfe_u32 v228, v195, 16, 4
	v_bfe_u32 v227, v195, 24, 4
	s_set_vgpr_msb 64                       ;  msbs: dst=1 src0=0 src1=0 src2=0
	v_bfe_u32 v31 /*v287*/, v195, 4, 4
	s_set_vgpr_msb 0                        ;  msbs: dst=0 src0=0 src1=0 src2=0
	v_bfe_u32 v115, v195, 12, 4
	v_add3_u32 v52, v52, v86, v92
	v_bfe_u32 v113, v195, 20, 4
	s_wait_dscnt 0x0
	v_cvt_f32_ubyte0_e32 v110, v40
	s_set_vgpr_msb 0x41                     ;  msbs: dst=1 src0=1 src1=0 src2=0
	v_mul_i32_i24_e32 v183 /*v439*/, v7 /*v263*/, v116
	v_mul_i32_i24_e32 v184 /*v440*/, v31 /*v287*/, v114
	s_set_vgpr_msb 0                        ;  msbs: dst=0 src0=0 src1=0 src2=0
	v_add3_u32 v52, v52, v117, v112
	v_and_b32_e32 v117, 0xffff, v53
	v_cvt_f32_ubyte1_e32 v112, v40
	v_add3_u32 v40, s16, v150, v147
	s_set_vgpr_msb 0x41                     ;  msbs: dst=1 src0=1 src1=0 src2=0
	v_mul_i32_i24_e32 v177 /*v433*/, v74 /*v330*/, v160
	s_set_vgpr_msb 0                        ;  msbs: dst=0 src0=0 src1=0 src2=0
	v_add3_u32 v52, v52, v169, v168
	s_set_vgpr_msb 0x41                     ;  msbs: dst=1 src0=1 src1=0 src2=0
	v_mul_i32_i24_e32 v182 /*v438*/, v5 /*v261*/, v160
	s_set_vgpr_msb 20                       ;  msbs: dst=0 src0=0 src1=1 src2=1
	v_add3_u32 v5, v5, v178 /*v434*/, v177 /*v433*/
	s_set_vgpr_msb 0                        ;  msbs: dst=0 src0=0 src1=0 src2=0
	v_add3_u32 v52, v52, v192, v191
	s_delay_alu instid0(VALU_DEP_1) | instskip(NEXT) | instid1(VALU_DEP_1)
	v_add3_u32 v52, v52, v196, v193
	v_add3_u32 v52, v52, v198, v197
	s_set_vgpr_msb 64                       ;  msbs: dst=1 src0=0 src1=0 src2=0
	s_delay_alu instid0(VALU_DEP_1)
	v_add3_u32 v185 /*v441*/, v52, v199, v194
	s_set_vgpr_msb 0                        ;  msbs: dst=0 src0=0 src1=0 src2=0
	v_add_nc_u32_e32 v52, s13, v154
	ds_load_2addr_b32 v[204:205], v52 offset1:1
	ds_load_2addr_b32 v[212:213], v52 offset0:2 offset1:3
	ds_load_2addr_b32 v[220:221], v52 offset0:4 offset1:5
	s_set_vgpr_msb 64                       ;  msbs: dst=1 src0=0 src1=0 src2=0
	ds_load_2addr_b32 v[140:141] /*v[396:397]*/, v52 offset0:6 offset1:7
	s_wait_dscnt 0x3
	s_set_vgpr_msb 0                        ;  msbs: dst=0 src0=0 src1=0 src2=0
	v_and_b32_e32 v168, 15, v204
	v_bfe_u32 v169, v204, 16, 4
	s_wait_dscnt 0x2
	v_lshrrev_b32_e32 v209, 28, v212
	v_bfe_u32 v194, v204, 20, 4
	v_bfe_u32 v197, v204, 4, 4
	v_mul_i32_i24_e32 v53, v168, v167
	v_bfe_u32 v167, v204, 8, 4
	v_mul_i32_i24_e32 v54, v169, v170
	v_bfe_u32 v170, v204, 24, 4
	v_bfe_u32 v196, v204, 12, 4
	v_lshrrev_b32_e32 v200, 28, v204
	v_mad_i32_i24 v53, v167, v171, v53
	v_and_b32_e32 v171, 15, v205
	v_mul_i32_i24_e32 v55, v170, v186
	v_bfe_u32 v204, v212, 20, 4
	v_bfe_u32 v206, v212, 4, 4
	;; [unrolled: 1-line block ×3, first 2 shown]
	s_wait_dscnt 0x1
	v_lshrrev_b32_e32 v215, 28, v220
	v_add3_u32 v53, v53, v54, v55
	v_mul_i32_i24_e32 v54, v171, v172
	v_bfe_u32 v172, v205, 8, 4
	v_bfe_u32 v186, v220, 16, 4
	v_lshrrev_b32_e32 v219, 28, v221
	s_wait_dscnt 0x0
	s_set_vgpr_msb 1                        ;  msbs: dst=0 src0=1 src1=0 src2=0
	v_bfe_u32 v191, v140 /*v396*/, 8, 4
	s_set_vgpr_msb 4                        ;  msbs: dst=0 src0=0 src1=1 src2=0
	v_dual_lshrrev_b32 v223, 28, v140 /*v396*/ :: v_dual_bitop2_b32 v192, 15, v140 /*v396*/ bitop3:0x40
	s_set_vgpr_msb 0                        ;  msbs: dst=0 src0=0 src1=0 src2=0
	v_mul_i32_i24_e32 v55, v172, v173
	v_bfe_u32 v173, v205, 16, 4
	s_set_vgpr_msb 1                        ;  msbs: dst=0 src0=1 src1=0 src2=0
	v_bfe_u32 v193, v140 /*v396*/, 24, 4
	s_set_vgpr_msb 0                        ;  msbs: dst=0 src0=0 src1=0 src2=0
	v_mul_i32_i24_e32 v52, v163, v192
	s_set_vgpr_msb 1                        ;  msbs: dst=0 src0=1 src1=0 src2=0
	v_bfe_u32 v195, v140 /*v396*/, 16, 4
	s_set_vgpr_msb 0                        ;  msbs: dst=0 src0=0 src1=0 src2=0
	v_add3_u32 v53, v53, v55, v54
	v_mul_i32_i24_e32 v56, v173, v174
	v_bfe_u32 v174, v205, 24, 4
	v_bfe_u32 v202, v205, 4, 4
	;; [unrolled: 1-line block ×4, first 2 shown]
	v_lshrrev_b32_e32 v205, 28, v205
	v_mul_i32_i24_e32 v58, v174, v175
	v_and_b32_e32 v175, 15, v212
	s_set_vgpr_msb 4                        ;  msbs: dst=0 src0=0 src1=1 src2=0
	v_mul_i32_i24_e32 v61, v206, v148 /*v404*/
	v_mul_i32_i24_e32 v67, v207, v149 /*v405*/
	;; [unrolled: 1-line block ×3, first 2 shown]
	s_set_vgpr_msb 0                        ;  msbs: dst=0 src0=0 src1=0 src2=0
	v_add3_u32 v53, v53, v56, v58
	v_mul_i32_i24_e32 v54, v175, v176
	v_bfe_u32 v176, v212, 8, 4
	s_set_vgpr_msb 4                        ;  msbs: dst=0 src0=0 src1=1 src2=0
	v_mul_i32_i24_e32 v71, v209, v164 /*v420*/
	v_bfe_u32 v210, v213, 4, 4
	v_bfe_u32 v211, v213, 12, 4
	;; [unrolled: 1-line block ×3, first 2 shown]
	s_set_vgpr_msb 0                        ;  msbs: dst=0 src0=0 src1=0 src2=0
	v_mul_i32_i24_e32 v55, v176, v177
	v_bfe_u32 v177, v212, 16, 4
	s_set_vgpr_msb 4                        ;  msbs: dst=0 src0=0 src1=1 src2=0
	v_mul_i32_i24_e32 v82, v210, v152 /*v408*/
	v_mul_i32_i24_e32 v84, v211, v153 /*v409*/
	;; [unrolled: 1-line block ×3, first 2 shown]
	s_set_vgpr_msb 0                        ;  msbs: dst=0 src0=0 src1=0 src2=0
	v_add3_u32 v53, v53, v55, v54
	v_mul_i32_i24_e32 v56, v177, v178
	v_bfe_u32 v178, v212, 24, 4
	v_lshrrev_b32_e32 v212, 28, v213
	v_bfe_u32 v214, v220, 12, 4
	v_bfe_u32 v216, v220, 20, 4
	s_set_vgpr_msb 0x41                     ;  msbs: dst=1 src0=1 src1=0 src2=0
	v_mul_i32_i24_e32 v191 /*v447*/, v161 /*v417*/, v215
	s_set_vgpr_msb 0                        ;  msbs: dst=0 src0=0 src1=0 src2=0
	v_mul_i32_i24_e32 v58, v178, v179
	v_and_b32_e32 v179, 15, v213
	s_set_vgpr_msb 4                        ;  msbs: dst=0 src0=0 src1=1 src2=0
	v_mul_i32_i24_e32 v92, v212, v163 /*v419*/
	s_set_vgpr_msb 1                        ;  msbs: dst=0 src0=1 src1=0 src2=0
	v_mul_i32_i24_e32 v163, v155 /*v411*/, v214
	s_set_vgpr_msb 0x41                     ;  msbs: dst=1 src0=1 src1=0 src2=0
	v_mul_i32_i24_e32 v192 /*v448*/, v156 /*v412*/, v216
	s_set_vgpr_msb 0                        ;  msbs: dst=0 src0=0 src1=0 src2=0
	v_add3_u32 v53, v53, v56, v58
	v_mul_i32_i24_e32 v54, v179, v180
	v_bfe_u32 v180, v213, 8, 4
	v_bfe_u32 v217, v221, 4, 4
	;; [unrolled: 1-line block ×3, first 2 shown]
	s_set_vgpr_msb 0x41                     ;  msbs: dst=1 src0=1 src1=0 src2=0
	v_mul_i32_i24_e32 v195 /*v451*/, v160 /*v416*/, v219
	s_set_vgpr_msb 1                        ;  msbs: dst=0 src0=1 src1=0 src2=0
	v_bfe_u32 v222, v140 /*v396*/, 12, 4
	s_set_vgpr_msb 0                        ;  msbs: dst=0 src0=0 src1=0 src2=0
	v_mul_i32_i24_e32 v55, v180, v181
	v_bfe_u32 v181, v213, 16, 4
	s_set_vgpr_msb 0x41                     ;  msbs: dst=1 src0=1 src1=0 src2=0
	v_mul_i32_i24_e32 v193 /*v449*/, v158 /*v414*/, v218
	v_mul_i32_i24_e32 v194 /*v450*/, v157 /*v413*/, v217
	s_set_vgpr_msb 1                        ;  msbs: dst=0 src0=1 src1=0 src2=0
	v_bfe_u32 v201, v141 /*v397*/, 8, 4
	s_set_vgpr_msb 0                        ;  msbs: dst=0 src0=0 src1=0 src2=0
	v_add3_u32 v53, v53, v55, v54
	v_mul_i32_i24_e32 v56, v181, v182
	v_bfe_u32 v182, v213, 24, 4
	v_bfe_u32 v213, v220, 4, 4
	s_set_vgpr_msb 64                       ;  msbs: dst=1 src0=0 src1=0 src2=0
	v_mul_i32_i24_e32 v197 /*v453*/, v13, v222
	s_set_vgpr_msb 1                        ;  msbs: dst=0 src0=1 src1=0 src2=0
	v_bfe_u32 v224, v140 /*v396*/, 20, 4
	v_bfe_u32 v225, v141 /*v397*/, 4, 4
	s_set_vgpr_msb 0                        ;  msbs: dst=0 src0=0 src1=0 src2=0
	v_mul_i32_i24_e32 v58, v182, v183
	v_and_b32_e32 v183, 15, v220
	s_set_vgpr_msb 0x41                     ;  msbs: dst=1 src0=1 src1=0 src2=0
	v_mul_i32_i24_e32 v190 /*v446*/, v154 /*v410*/, v213
	s_set_vgpr_msb 64                       ;  msbs: dst=1 src0=0 src1=0 src2=0
	v_mul_i32_i24_e32 v188 /*v444*/, v201, v116
	v_mul_i32_i24_e32 v199 /*v455*/, v14, v224
	s_set_vgpr_msb 0                        ;  msbs: dst=0 src0=0 src1=0 src2=0
	v_add3_u32 v53, v53, v56, v58
	v_mul_i32_i24_e32 v54, v183, v184
	v_bfe_u32 v184, v220, 8, 4
	v_mul_i32_i24_e32 v58, v187, v186
	v_bfe_u32 v187, v221, 8, 4
	s_set_vgpr_msb 64                       ;  msbs: dst=1 src0=0 src1=0 src2=0
	v_mul_i32_i24_e32 v189 /*v445*/, v225, v114
	s_set_vgpr_msb 4                        ;  msbs: dst=0 src0=0 src1=1 src2=0
	v_and_b32_e32 v199, 15, v141 /*v397*/
	s_set_vgpr_msb 0                        ;  msbs: dst=0 src0=0 src1=0 src2=0
	v_mul_i32_i24_e32 v55, v184, v185
	v_bfe_u32 v185, v220, 24, 4
	v_bfe_u32 v220, v221, 20, 4
	s_set_vgpr_msb 64                       ;  msbs: dst=1 src0=0 src1=0 src2=0
	v_mul_i32_i24_e32 v187 /*v443*/, v199, v160
	s_set_vgpr_msb 0                        ;  msbs: dst=0 src0=0 src1=0 src2=0
	v_add3_u32 v53, v53, v55, v54
	v_mul_i32_i24_e32 v56, v188, v185
	v_and_b32_e32 v188, 15, v221
	v_mul_i32_i24_e32 v55, v190, v187
	v_bfe_u32 v190, v221, 16, 4
	s_set_vgpr_msb 0x41                     ;  msbs: dst=1 src0=1 src1=0 src2=0
	v_mul_i32_i24_e32 v196 /*v452*/, v159 /*v415*/, v220
	s_set_vgpr_msb 0                        ;  msbs: dst=0 src0=0 src1=0 src2=0
	v_add3_u32 v53, v53, v58, v56
	v_mul_i32_i24_e32 v54, v189, v188
	v_bfe_u32 v189, v221, 24, 4
	v_mul_i32_i24_e32 v58, v165, v190
	s_set_vgpr_msb 1                        ;  msbs: dst=0 src0=1 src1=0 src2=0
	v_bfe_u32 v221, v140 /*v396*/, 4, 4
	s_set_vgpr_msb 64                       ;  msbs: dst=1 src0=0 src1=0 src2=0
	v_mul_i32_i24_e32 v140 /*v396*/, v15, v223
	s_set_vgpr_msb 0                        ;  msbs: dst=0 src0=0 src1=0 src2=0
	v_add3_u32 v53, v53, v55, v54
	v_mul_i32_i24_e32 v56, v166, v189
	v_mul_i32_i24_e32 v54, v164, v191
	v_mul_i32_i24_e32 v55, v162, v193
	s_set_vgpr_msb 64                       ;  msbs: dst=1 src0=0 src1=0 src2=0
	v_mul_i32_i24_e32 v198 /*v454*/, v12, v221
	s_set_vgpr_msb 1                        ;  msbs: dst=0 src0=1 src1=0 src2=0
	v_bfe_u32 v166, v141 /*v397*/, 16, 4
	s_set_vgpr_msb 0                        ;  msbs: dst=0 src0=0 src1=0 src2=0
	v_add3_u32 v53, v53, v58, v56
	v_mul_i32_i24_e32 v56, v161, v195
	s_set_vgpr_msb 4                        ;  msbs: dst=0 src0=0 src1=1 src2=0
	v_mul_i32_i24_e32 v58, v205, v165 /*v421*/
	s_set_vgpr_msb 1                        ;  msbs: dst=0 src0=1 src1=0 src2=0
	v_bfe_u32 v165, v141 /*v397*/, 24, 4
	v_bfe_u32 v162, v141 /*v397*/, 12, 4
	s_set_vgpr_msb 0                        ;  msbs: dst=0 src0=0 src1=0 src2=0
	v_add3_u32 v52, v53, v54, v52
	s_set_vgpr_msb 4                        ;  msbs: dst=0 src0=0 src1=1 src2=0
	v_mul_i32_i24_e32 v54, v194, v144 /*v400*/
	s_set_vgpr_msb 1                        ;  msbs: dst=0 src0=1 src1=0 src2=0
	v_bfe_u32 v161, v141 /*v397*/, 20, 4
	s_set_vgpr_msb 4                        ;  msbs: dst=0 src0=0 src1=1 src2=0
	v_lshrrev_b32_e32 v160, 28, v141 /*v397*/
	s_set_vgpr_msb 64                       ;  msbs: dst=1 src0=0 src1=0 src2=0
	v_add3_u32 v186 /*v442*/, v52, v56, v55
	s_set_vgpr_msb 4                        ;  msbs: dst=0 src0=0 src1=1 src2=0
	ds_load_u16 v52, v40
	ds_load_u16 v40, v40 offset:8
	v_mul_i32_i24_e32 v55, v200, v166 /*v422*/
	v_mul_i32_i24_e32 v56, v198, v147 /*v403*/
	s_wait_dscnt 0x1
	s_set_vgpr_msb 0                        ;  msbs: dst=0 src0=0 src1=0 src2=0
	v_lshrrev_b16 v53, 8, v52
	v_and_b32_e32 v164, 0xff, v52
	s_set_vgpr_msb 4                        ;  msbs: dst=0 src0=0 src1=1 src2=0
	v_mul_i32_i24_e32 v52, v197, v143 /*v399*/
	s_wait_dscnt 0x0
	v_cvt_f32_ubyte0_e32 v116, v40
	v_cvt_f32_ubyte1_e32 v114, v40
	s_set_vgpr_msb 0                        ;  msbs: dst=0 src0=0 src1=0 src2=0
	v_or_b32_e32 v40, s12, v138
	s_set_vgpr_msb 4                        ;  msbs: dst=0 src0=0 src1=1 src2=0
	v_mad_i32_i24 v52, v196, v142 /*v398*/, v52
	s_set_vgpr_msb 0                        ;  msbs: dst=0 src0=0 src1=0 src2=0
	s_delay_alu instid0(VALU_DEP_1) | instskip(SKIP_4) | instid1(VALU_DEP_1)
	v_add3_u32 v52, v52, v54, v55
	s_set_vgpr_msb 4                        ;  msbs: dst=0 src0=0 src1=1 src2=0
	v_mul_i32_i24_e32 v54, v202, v145 /*v401*/
	v_mul_i32_i24_e32 v55, v203, v146 /*v402*/
	s_set_vgpr_msb 0                        ;  msbs: dst=0 src0=0 src1=0 src2=0
	v_add3_u32 v52, v52, v54, v55
	s_delay_alu instid0(VALU_DEP_1) | instskip(NEXT) | instid1(VALU_DEP_1)
	v_add3_u32 v52, v52, v56, v58
	v_add3_u32 v52, v52, v61, v67
	s_delay_alu instid0(VALU_DEP_1) | instskip(NEXT) | instid1(VALU_DEP_1)
	v_add3_u32 v52, v52, v69, v71
	v_add3_u32 v52, v52, v82, v84
	s_delay_alu instid0(VALU_DEP_1) | instskip(SKIP_1) | instid1(VALU_DEP_1)
	v_add3_u32 v52, v52, v86, v92
	s_set_vgpr_msb 4                        ;  msbs: dst=0 src0=0 src1=1 src2=0
	v_add3_u32 v52, v52, v190 /*v446*/, v163
	s_set_vgpr_msb 0                        ;  msbs: dst=0 src0=0 src1=0 src2=0
	v_and_b32_e32 v163, 0xffff, v53
	s_set_vgpr_msb 20                       ;  msbs: dst=0 src0=0 src1=1 src2=1
	s_delay_alu instid0(VALU_DEP_2) | instskip(NEXT) | instid1(VALU_DEP_1)
	v_add3_u32 v52, v52, v192 /*v448*/, v191 /*v447*/
	v_add3_u32 v52, v52, v194 /*v450*/, v193 /*v449*/
	s_delay_alu instid0(VALU_DEP_1) | instskip(NEXT) | instid1(VALU_DEP_1)
	v_add3_u32 v52, v52, v196 /*v452*/, v195 /*v451*/
	v_add3_u32 v52, v52, v198 /*v454*/, v197 /*v453*/
	s_set_vgpr_msb 0x54                     ;  msbs: dst=1 src0=0 src1=1 src2=1
	s_delay_alu instid0(VALU_DEP_1)
	v_add3_u32 v190 /*v446*/, v52, v199 /*v455*/, v140 /*v396*/
	s_set_vgpr_msb 0                        ;  msbs: dst=0 src0=0 src1=0 src2=0
	v_dual_lshlrev_b32 v52, 2, v40 :: v_dual_lshrrev_b32 v40, 1, v40
	s_set_vgpr_msb 64                       ;  msbs: dst=1 src0=0 src1=0 src2=0
	ds_load_b128 v[192:195] /*v[448:451]*/, v52 offset:16896
	ds_load_b128 v[196:199] /*v[452:455]*/, v52 offset:16912
	;; [unrolled: 1-line block ×4, first 2 shown]
	s_wait_dscnt 0x3
	s_set_vgpr_msb 1                        ;  msbs: dst=0 src0=1 src1=0 src2=0
	v_bfe_i32 v52, v192 /*v448*/, 0, 8
	v_bfe_i32 v53, v192 /*v448*/, 8, 8
	;; [unrolled: 1-line block ×3, first 2 shown]
	s_set_vgpr_msb 4                        ;  msbs: dst=0 src0=0 src1=1 src2=0
	v_dual_ashrrev_i32 v55, 24, v192 /*v448*/ :: v_dual_ashrrev_i32 v67, 24, v193 /*v449*/
	s_set_vgpr_msb 0x44                     ;  msbs: dst=1 src0=0 src1=1 src2=0
	v_mul_i32_i24_e32 v140 /*v396*/, v52, v102 /*v358*/
	s_set_vgpr_msb 1                        ;  msbs: dst=0 src0=1 src1=0 src2=0
	v_bfe_i32 v56, v193 /*v449*/, 0, 8
	v_bfe_i32 v58, v193 /*v449*/, 8, 8
	s_set_vgpr_msb 0x54                     ;  msbs: dst=1 src0=0 src1=1 src2=1
	v_mul_i32_i24_e32 v141 /*v397*/, v54, v103 /*v359*/
	v_mul_i32_i24_e32 v217 /*v473*/, v55, v104 /*v360*/
	v_mad_i32_i24 v140 /*v396*/, v53, v101 /*v357*/, v140 /*v396*/
	s_set_vgpr_msb 1                        ;  msbs: dst=0 src0=1 src1=0 src2=0
	v_bfe_i32 v61, v193 /*v449*/, 16, 8
	v_bfe_i32 v69, v194 /*v450*/, 0, 8
	v_bfe_i32 v71, v194 /*v450*/, 8, 8
	s_set_vgpr_msb 0x44                     ;  msbs: dst=1 src0=0 src1=1 src2=0
	v_mul_i32_i24_e32 v219 /*v475*/, v67, v108 /*v364*/
	s_set_vgpr_msb 0x55                     ;  msbs: dst=1 src0=1 src1=1 src2=1
	v_add3_u32 v140 /*v396*/, v140 /*v396*/, v141 /*v397*/, v217 /*v473*/
	s_set_vgpr_msb 0x44                     ;  msbs: dst=1 src0=0 src1=1 src2=0
	v_mul_i32_i24_e32 v141 /*v397*/, v56, v105 /*v361*/
	v_mul_i32_i24_e32 v217 /*v473*/, v58, v106 /*v362*/
	;; [unrolled: 1-line block ×3, first 2 shown]
	s_set_vgpr_msb 1                        ;  msbs: dst=0 src0=1 src1=0 src2=0
	v_bfe_i32 v82, v194 /*v450*/, 16, 8
	s_set_vgpr_msb 4                        ;  msbs: dst=0 src0=0 src1=1 src2=0
	v_ashrrev_i32_e32 v84, 24, v194 /*v450*/
	s_set_vgpr_msb 0x44                     ;  msbs: dst=1 src0=0 src1=1 src2=0
	v_mul_i32_i24_e32 v220 /*v476*/, v69, v109 /*v365*/
	s_set_vgpr_msb 0x55                     ;  msbs: dst=1 src0=1 src1=1 src2=1
	v_add3_u32 v140 /*v396*/, v140 /*v396*/, v141 /*v397*/, v217 /*v473*/
	s_set_vgpr_msb 0x44                     ;  msbs: dst=1 src0=0 src1=1 src2=0
	v_mul_i32_i24_e32 v221 /*v477*/, v71, v110 /*v366*/
	s_set_vgpr_msb 1                        ;  msbs: dst=0 src0=1 src1=0 src2=0
	v_bfe_i32 v86, v195 /*v451*/, 0, 8
	v_bfe_i32 v92, v195 /*v451*/, 8, 8
	s_set_vgpr_msb 0x44                     ;  msbs: dst=1 src0=0 src1=1 src2=0
	v_mul_i32_i24_e32 v222 /*v478*/, v82, v111 /*v367*/
	s_set_vgpr_msb 0x55                     ;  msbs: dst=1 src0=1 src1=1 src2=1
	v_add3_u32 v140 /*v396*/, v140 /*v396*/, v218 /*v474*/, v219 /*v475*/
	s_set_vgpr_msb 0x44                     ;  msbs: dst=1 src0=0 src1=1 src2=0
	v_mul_i32_i24_e32 v223 /*v479*/, v84, v112 /*v368*/
	s_set_vgpr_msb 0x41                     ;  msbs: dst=1 src0=1 src1=0 src2=0
	v_bfe_i32 v191 /*v447*/, v195 /*v451*/, 16, 8
	s_set_vgpr_msb 0x44                     ;  msbs: dst=1 src0=0 src1=1 src2=0
	v_ashrrev_i32_e32 v192 /*v448*/, 24, v195 /*v451*/
	v_mul_i32_i24_e32 v224 /*v480*/, v86, v113 /*v369*/
	s_set_vgpr_msb 0x55                     ;  msbs: dst=1 src0=1 src1=1 src2=1
	v_add3_u32 v140 /*v396*/, v140 /*v396*/, v220 /*v476*/, v221 /*v477*/
	s_set_vgpr_msb 0x44                     ;  msbs: dst=1 src0=0 src1=1 src2=0
	v_mul_i32_i24_e32 v225 /*v481*/, v92, v114 /*v370*/
	s_wait_dscnt 0x2
	s_set_vgpr_msb 0x55                     ;  msbs: dst=1 src0=1 src1=1 src2=1
	v_bfe_i32 v193 /*v449*/, v196 /*v452*/, 0, 8
	v_bfe_i32 v194 /*v450*/, v196 /*v452*/, 8, 8
	;; [unrolled: 1-line block ×3, first 2 shown]
	v_add3_u32 v140 /*v396*/, v140 /*v396*/, v222 /*v478*/, v223 /*v479*/
	v_ashrrev_i32_e32 v196 /*v452*/, 24, v196 /*v452*/
	v_mul_i32_i24_e32 v226 /*v482*/, v191 /*v447*/, v115 /*v371*/
	v_mul_i32_i24_e32 v227 /*v483*/, v192 /*v448*/, v116 /*v372*/
	;; [unrolled: 1-line block ×3, first 2 shown]
	v_add3_u32 v140 /*v396*/, v140 /*v396*/, v224 /*v480*/, v225 /*v481*/
	v_mul_i32_i24_e32 v229 /*v485*/, v194 /*v450*/, v118 /*v374*/
	v_bfe_i32 v208 /*v464*/, v197 /*v453*/, 0, 8
	v_bfe_i32 v209 /*v465*/, v197 /*v453*/, 8, 8
	v_mul_i32_i24_e32 v230 /*v486*/, v120 /*v376*/, v195 /*v451*/
	v_add3_u32 v140 /*v396*/, v140 /*v396*/, v226 /*v482*/, v227 /*v483*/
	v_mul_i32_i24_e32 v231 /*v487*/, v119 /*v375*/, v196 /*v452*/
	v_bfe_i32 v210 /*v466*/, v197 /*v453*/, 16, 8
	v_ashrrev_i32_e32 v197 /*v453*/, 24, v197 /*v453*/
	v_mul_i32_i24_e32 v232 /*v488*/, v122 /*v378*/, v208 /*v464*/
	v_add3_u32 v140 /*v396*/, v140 /*v396*/, v228 /*v484*/, v229 /*v485*/
	v_mul_i32_i24_e32 v233 /*v489*/, v121 /*v377*/, v209 /*v465*/
	v_bfe_i32 v211 /*v467*/, v198 /*v454*/, 0, 8
	v_bfe_i32 v212 /*v468*/, v198 /*v454*/, 8, 8
	v_bfe_i32 v213 /*v469*/, v198 /*v454*/, 16, 8
	v_add3_u32 v140 /*v396*/, v140 /*v396*/, v230 /*v486*/, v231 /*v487*/
	v_ashrrev_i32_e32 v198 /*v454*/, 24, v198 /*v454*/
	v_mul_i32_i24_e32 v234 /*v490*/, v124 /*v380*/, v210 /*v466*/
	v_mul_i32_i24_e32 v235 /*v491*/, v123 /*v379*/, v197 /*v453*/
	;; [unrolled: 1-line block ×3, first 2 shown]
	v_add3_u32 v140 /*v396*/, v140 /*v396*/, v232 /*v488*/, v233 /*v489*/
	v_mul_i32_i24_e32 v237 /*v493*/, v125 /*v381*/, v212 /*v468*/
	v_mul_i32_i24_e32 v238 /*v494*/, v136 /*v392*/, v213 /*v469*/
	;; [unrolled: 1-line block ×3, first 2 shown]
	s_set_vgpr_msb 64                       ;  msbs: dst=1 src0=0 src1=0 src2=0
	v_bfe_u32 v141 /*v397*/, v10, 4, 4
	s_set_vgpr_msb 0x55                     ;  msbs: dst=1 src0=1 src1=1 src2=1
	v_add3_u32 v140 /*v396*/, v140 /*v396*/, v234 /*v490*/, v235 /*v491*/
	v_bfe_i32 v214 /*v470*/, v199 /*v455*/, 0, 8
	v_bfe_i32 v215 /*v471*/, v199 /*v455*/, 8, 8
	;; [unrolled: 1-line block ×3, first 2 shown]
	v_ashrrev_i32_e32 v199 /*v455*/, 24, v199 /*v455*/
	v_add3_u32 v140 /*v396*/, v140 /*v396*/, v236 /*v492*/, v237 /*v493*/
	v_mul_i32_i24_e32 v240 /*v496*/, v214 /*v470*/, v137 /*v393*/
	v_mul_i32_i24_e32 v241 /*v497*/, v215 /*v471*/, v138 /*v394*/
	s_wait_dscnt 0x1
	v_lshrrev_b16 v218 /*v474*/, 8, v202 /*v458*/
	v_lshrrev_b16 v219 /*v475*/, 8, v203 /*v459*/
	v_add3_u32 v217 /*v473*/, v140 /*v396*/, v238 /*v494*/, v239 /*v495*/
	s_set_vgpr_msb 64                       ;  msbs: dst=1 src0=0 src1=0 src2=0
	v_bfe_u32 v140 /*v396*/, v10, 20, 4
	s_set_vgpr_msb 5                        ;  msbs: dst=0 src0=1 src1=1 src2=0
	v_mul_i32_i24_e32 v10, v141 /*v397*/, v143 /*v399*/
	s_set_vgpr_msb 0x44                     ;  msbs: dst=1 src0=0 src1=1 src2=0
	v_ashrrev_i32_e32 v221 /*v477*/, 24, v200 /*v456*/
	s_set_vgpr_msb 0x45                     ;  msbs: dst=1 src0=1 src1=1 src2=0
	v_bfe_i32 v222 /*v478*/, v200 /*v456*/, 16, 8
	v_bfe_i32 v226 /*v482*/, v201 /*v457*/, 16, 8
	v_mul_i32_i24_e32 v143 /*v399*/, v140 /*v396*/, v144 /*v400*/
	v_mul_i32_i24_e32 v144 /*v400*/, v134 /*v390*/, v166 /*v422*/
	s_set_vgpr_msb 5                        ;  msbs: dst=0 src0=1 src1=1 src2=0
	v_mad_i32_i24 v10, v139 /*v395*/, v142 /*v398*/, v10
	s_set_vgpr_msb 0x44                     ;  msbs: dst=1 src0=0 src1=1 src2=0
	v_lshrrev_b16 v142 /*v398*/, 8, v200 /*v456*/
	v_lshrrev_b16 v166 /*v422*/, 8, v201 /*v457*/
	s_set_vgpr_msb 0x41                     ;  msbs: dst=1 src0=1 src1=0 src2=0
	v_bfe_i32 v200 /*v456*/, v200 /*v456*/, 0, 8
	s_set_vgpr_msb 0x44                     ;  msbs: dst=1 src0=0 src1=1 src2=0
	v_dual_ashrrev_i32 v231 /*v487*/, 24, v202 /*v458*/ :: v_dual_ashrrev_i32 v237 /*v493*/, 24, v203 /*v459*/
	s_set_vgpr_msb 20                       ;  msbs: dst=0 src0=0 src1=1 src2=1
	v_add3_u32 v10, v10, v143 /*v399*/, v144 /*v400*/
	s_set_vgpr_msb 0x44                     ;  msbs: dst=1 src0=0 src1=1 src2=0
	v_and_b32_e32 v143 /*v399*/, 0xffff, v176 /*v432*/
	v_bfe_u32 v144 /*v400*/, v11, 4, 4
	s_set_vgpr_msb 0x41                     ;  msbs: dst=1 src0=1 src1=0 src2=0
	v_bfe_i32 v220 /*v476*/, v142 /*v398*/, 0, 8
	s_set_vgpr_msb 0x44                     ;  msbs: dst=1 src0=0 src1=1 src2=0
	v_bfe_u32 v142 /*v398*/, v11, 20, 4
	v_ashrrev_i32_e32 v176 /*v432*/, 24, v201 /*v457*/
	s_set_vgpr_msb 0x41                     ;  msbs: dst=1 src0=1 src1=0 src2=0
	v_bfe_i32 v166 /*v422*/, v166 /*v422*/, 0, 8
	s_set_vgpr_msb 5                        ;  msbs: dst=0 src0=1 src1=1 src2=0
	v_mul_i32_i24_e32 v11, v144 /*v400*/, v145 /*v401*/
	s_set_vgpr_msb 0x45                     ;  msbs: dst=1 src0=1 src1=1 src2=0
	v_mul_i32_i24_e32 v145 /*v401*/, v143 /*v399*/, v146 /*v402*/
	v_mul_i32_i24_e32 v146 /*v402*/, v142 /*v398*/, v147 /*v403*/
	;; [unrolled: 1-line block ×3, first 2 shown]
	v_bfe_i32 v201 /*v457*/, v201 /*v457*/, 0, 8
	v_bfe_i32 v232 /*v488*/, v202 /*v458*/, 16, 8
	s_set_vgpr_msb 16                       ;  msbs: dst=0 src0=0 src1=0 src2=1
	v_add3_u32 v10, v10, v11, v145 /*v401*/
	s_set_vgpr_msb 64                       ;  msbs: dst=1 src0=0 src1=0 src2=0
	v_bfe_u32 v145 /*v401*/, v8, 20, 4
	s_set_vgpr_msb 0x45                     ;  msbs: dst=1 src0=1 src1=1 src2=0
	v_bfe_i32 v202 /*v458*/, v202 /*v458*/, 0, 8
	v_mul_i32_i24_e32 v223 /*v479*/, v200 /*v456*/, v141 /*v397*/
	v_mul_i32_i24_e32 v225 /*v481*/, v221 /*v477*/, v134 /*v390*/
	s_set_vgpr_msb 20                       ;  msbs: dst=0 src0=0 src1=1 src2=1
	v_add3_u32 v10, v10, v146 /*v402*/, v147 /*v403*/
	s_set_vgpr_msb 0x44                     ;  msbs: dst=1 src0=0 src1=1 src2=0
	v_and_b32_e32 v146 /*v402*/, 0xffff, v175 /*v431*/
	v_bfe_u32 v147 /*v403*/, v8, 4, 4
	s_set_vgpr_msb 0x45                     ;  msbs: dst=1 src0=1 src1=1 src2=0
	v_mul_i32_i24_e32 v227 /*v483*/, v201 /*v457*/, v144 /*v400*/
	v_mul_i32_i24_e32 v228 /*v484*/, v166 /*v422*/, v143 /*v399*/
	v_mul_i32_i24_e32 v230 /*v486*/, v176 /*v432*/, v126 /*v382*/
	s_set_vgpr_msb 5                        ;  msbs: dst=0 src0=1 src1=1 src2=0
	v_mul_i32_i24_e32 v11, v146 /*v402*/, v149 /*v405*/
	v_mul_i32_i24_e32 v8, v147 /*v403*/, v148 /*v404*/
	s_set_vgpr_msb 0x45                     ;  msbs: dst=1 src0=1 src1=1 src2=0
	v_mul_i32_i24_e32 v148 /*v404*/, v145 /*v401*/, v150 /*v406*/
	v_mul_i32_i24_e32 v149 /*v405*/, v127 /*v383*/, v164 /*v420*/
	s_set_vgpr_msb 64                       ;  msbs: dst=1 src0=0 src1=0 src2=0
	v_bfe_u32 v150 /*v406*/, v9, 4, 4
	s_set_vgpr_msb 0x41                     ;  msbs: dst=1 src0=1 src1=0 src2=0
	v_bfe_i32 v218 /*v474*/, v218 /*v474*/, 0, 8
	s_set_vgpr_msb 0                        ;  msbs: dst=0 src0=0 src1=0 src2=0
	v_add3_u32 v8, v10, v8, v11
	s_set_vgpr_msb 0x45                     ;  msbs: dst=1 src0=1 src1=1 src2=0
	v_mul_i32_i24_e32 v233 /*v489*/, v202 /*v458*/, v147 /*v403*/
	v_mul_i32_i24_e32 v236 /*v492*/, v231 /*v487*/, v127 /*v383*/
	v_bfe_i32 v238 /*v494*/, v203 /*v459*/, 16, 8
	v_bfe_i32 v219 /*v475*/, v219 /*v475*/, 0, 8
	s_set_vgpr_msb 20                       ;  msbs: dst=0 src0=0 src1=1 src2=1
	v_add3_u32 v8, v8, v148 /*v404*/, v149 /*v405*/
	s_set_vgpr_msb 0x44                     ;  msbs: dst=1 src0=0 src1=1 src2=0
	v_and_b32_e32 v149 /*v405*/, 0xffff, v174 /*v430*/
	v_bfe_u32 v148 /*v404*/, v9, 20, 4
	s_set_vgpr_msb 5                        ;  msbs: dst=0 src0=1 src1=1 src2=0
	v_mul_i32_i24_e32 v9, v150 /*v406*/, v152 /*v408*/
	s_set_vgpr_msb 0x45                     ;  msbs: dst=1 src0=1 src1=1 src2=0
	v_mul_i32_i24_e32 v152 /*v408*/, v128 /*v384*/, v163 /*v419*/
	v_bfe_i32 v203 /*v459*/, v203 /*v459*/, 0, 8
	s_set_vgpr_msb 5                        ;  msbs: dst=0 src0=1 src1=1 src2=0
	v_mul_i32_i24_e32 v10, v149 /*v405*/, v153 /*v409*/
	v_mul_i32_i24_e32 v11, v148 /*v404*/, v162 /*v418*/
	s_set_vgpr_msb 0x55                     ;  msbs: dst=1 src0=1 src1=1 src2=1
	v_add3_u32 v153 /*v409*/, v169 /*v425*/, v171 /*v427*/, v170 /*v426*/
	v_add3_u32 v169 /*v425*/, v217 /*v473*/, v240 /*v496*/, v241 /*v497*/
	s_wait_dscnt 0x0
	v_lshrrev_b16 v246 /*v502*/, 8, v205 /*v461*/
	s_set_vgpr_msb 0                        ;  msbs: dst=0 src0=0 src1=0 src2=0
	v_add3_u32 v8, v8, v9, v10
	s_set_vgpr_msb 0x45                     ;  msbs: dst=1 src0=1 src1=1 src2=0
	v_mul_i32_i24_e32 v224 /*v480*/, v222 /*v478*/, v140 /*v396*/
	v_mul_i32_i24_e32 v229 /*v485*/, v226 /*v482*/, v142 /*v398*/
	;; [unrolled: 1-line block ×4, first 2 shown]
	s_set_vgpr_msb 0x50                     ;  msbs: dst=1 src0=0 src1=0 src2=1
	v_add3_u32 v239 /*v495*/, v8, v11, v152 /*v408*/
	s_set_vgpr_msb 1                        ;  msbs: dst=0 src0=1 src1=0 src2=0
	ds_load_b64 v[8:9], v151 /*v407*/ offset:27200
	s_set_vgpr_msb 0                        ;  msbs: dst=0 src0=0 src1=0 src2=0
	ds_load_b64 v[10:11], v40 offset:27200
	v_ashrrev_i32_e32 v3, 24, v3
	s_set_vgpr_msb 0x41                     ;  msbs: dst=1 src0=1 src1=0 src2=0
	v_mul_i32_i24_e32 v151 /*v407*/, v33 /*v289*/, v7
	s_set_vgpr_msb 0x45                     ;  msbs: dst=1 src0=1 src1=1 src2=0
	v_mul_i32_i24_e32 v152 /*v408*/, v33 /*v289*/, v199 /*v455*/
	s_set_vgpr_msb 4                        ;  msbs: dst=0 src0=0 src1=1 src2=0
	v_lshrrev_b16 v40, 8, v204 /*v460*/
	s_set_vgpr_msb 0x45                     ;  msbs: dst=1 src0=1 src1=1 src2=0
	v_mul_i32_i24_e32 v242 /*v498*/, v203 /*v459*/, v150 /*v406*/
	v_mul_i32_i24_e32 v243 /*v499*/, v219 /*v475*/, v149 /*v405*/
	;; [unrolled: 1-line block ×3, first 2 shown]
	v_lshrrev_b16 v247 /*v503*/, 8, v206 /*v462*/
	v_bfe_i32 v248 /*v504*/, v207 /*v463*/, 0, 8
	v_bfe_i32 v249 /*v505*/, v207 /*v463*/, 8, 8
	;; [unrolled: 1-line block ×3, first 2 shown]
	v_ashrrev_i32_e32 v207 /*v463*/, 24, v207 /*v463*/
	s_set_vgpr_msb 0                        ;  msbs: dst=0 src0=0 src1=0 src2=0
	v_bfe_i32 v40, v40, 0, 8
	s_set_vgpr_msb 0x55                     ;  msbs: dst=1 src0=1 src1=1 src2=1
	v_bfe_i32 v241 /*v497*/, v246 /*v502*/, 0, 8
	v_mad_i32_i24 v228 /*v484*/, v220 /*v476*/, v139 /*v395*/, v228 /*v484*/
	v_add3_u32 v223 /*v479*/, v223 /*v479*/, v227 /*v483*/, v233 /*v489*/
	v_add3_u32 v225 /*v481*/, v225 /*v481*/, v230 /*v486*/, v236 /*v492*/
	v_mul_i32_i24_e32 v244 /*v500*/, v238 /*v494*/, v148 /*v404*/
	s_wait_dscnt 0x1
	s_set_vgpr_msb 64                       ;  msbs: dst=1 src0=0 src1=0 src2=0
	v_cvt_f32_f16_e64 v162 /*v418*/, v8
	s_wait_dscnt 0x0
	v_cvt_f32_f16_e64 v163 /*v419*/, v10
	s_set_vgpr_msb 0                        ;  msbs: dst=0 src0=0 src1=0 src2=0
	v_dual_lshrrev_b32 v8, 16, v8 :: v_dual_lshrrev_b32 v10, 16, v10
	s_set_vgpr_msb 64                       ;  msbs: dst=1 src0=0 src1=0 src2=0
	v_cvt_f32_f16_e64 v175 /*v431*/, v11
	v_cvt_f32_f16_e64 v174 /*v430*/, v9
	s_set_vgpr_msb 0x41                     ;  msbs: dst=1 src0=1 src1=0 src2=0
	v_bfe_i32 v247 /*v503*/, v247 /*v503*/, 0, 8
	s_set_vgpr_msb 64                       ;  msbs: dst=1 src0=0 src1=0 src2=0
	v_cvt_f32_f16_e64 v164 /*v420*/, v8
	v_cvt_f32_f16_e64 v165 /*v421*/, v10
	s_set_vgpr_msb 0                        ;  msbs: dst=0 src0=0 src1=0 src2=0
	v_dual_lshrrev_b32 v8, 16, v9 :: v_dual_lshrrev_b32 v9, 16, v11
	s_set_vgpr_msb 4                        ;  msbs: dst=0 src0=0 src1=1 src2=0
	v_mul_i32_i24_e32 v10, v6, v34 /*v290*/
	s_set_vgpr_msb 5                        ;  msbs: dst=0 src0=1 src1=1 src2=0
	v_mul_i32_i24_e32 v11, v216 /*v472*/, v34 /*v290*/
	s_set_vgpr_msb 0x55                     ;  msbs: dst=1 src0=1 src1=1 src2=1
	v_add3_u32 v224 /*v480*/, v224 /*v480*/, v229 /*v485*/, v235 /*v491*/
	v_add3_u32 v227 /*v483*/, v228 /*v484*/, v234 /*v490*/, v243 /*v499*/
	v_mul_i32_i24_e32 v254 /*v510*/, v248 /*v504*/, v135 /*v391*/
	s_set_vgpr_msb 17                       ;  msbs: dst=0 src0=1 src1=0 src2=1
	v_add3_u32 v10, v153 /*v409*/, v10, v151 /*v407*/
	v_add3_u32 v11, v169 /*v425*/, v11, v152 /*v408*/
	s_set_vgpr_msb 0x44                     ;  msbs: dst=1 src0=0 src1=1 src2=0
	v_and_b32_e32 v152 /*v408*/, 0xffff, v173 /*v429*/
	v_bfe_u32 v153 /*v409*/, v0, 4, 4
	v_bfe_u32 v151 /*v407*/, v0, 20, 4
	s_set_vgpr_msb 0x41                     ;  msbs: dst=1 src0=1 src1=0 src2=0
	v_bfe_i32 v173 /*v429*/, v204 /*v460*/, 0, 8
	v_bfe_i32 v169 /*v425*/, v204 /*v460*/, 16, 8
	s_set_vgpr_msb 0x44                     ;  msbs: dst=1 src0=0 src1=1 src2=0
	v_mul_i32_i24_e32 v217 /*v473*/, v40, v152 /*v408*/
	s_set_vgpr_msb 5                        ;  msbs: dst=0 src0=1 src1=1 src2=0
	v_mul_i32_i24_e32 v0, v153 /*v409*/, v154 /*v410*/
	s_set_vgpr_msb 0x45                     ;  msbs: dst=1 src0=1 src1=1 src2=0
	v_mul_i32_i24_e32 v154 /*v410*/, v152 /*v408*/, v155 /*v411*/
	v_mul_i32_i24_e32 v155 /*v411*/, v151 /*v407*/, v156 /*v412*/
	;; [unrolled: 1-line block ×3, first 2 shown]
	v_ashrrev_i32_e32 v161 /*v417*/, 24, v204 /*v460*/
	v_mul_i32_i24_e32 v204 /*v460*/, v173 /*v429*/, v153 /*v409*/
	s_set_vgpr_msb 17                       ;  msbs: dst=0 src0=1 src1=0 src2=1
	v_add3_u32 v0, v239 /*v495*/, v0, v154 /*v410*/
	s_set_vgpr_msb 64                       ;  msbs: dst=1 src0=0 src1=0 src2=0
	v_bfe_u32 v154 /*v410*/, v1, 20, 4
	s_set_vgpr_msb 0x55                     ;  msbs: dst=1 src0=1 src1=1 src2=1
	v_mul_i32_i24_e32 v239 /*v495*/, v169 /*v425*/, v151 /*v407*/
	v_mul_i32_i24_e32 v240 /*v496*/, v161 /*v417*/, v129 /*v385*/
	v_add3_u32 v204 /*v460*/, v223 /*v479*/, v242 /*v498*/, v204 /*v460*/
	s_set_vgpr_msb 20                       ;  msbs: dst=0 src0=0 src1=1 src2=1
	v_add3_u32 v0, v0, v155 /*v411*/, v156 /*v412*/
	s_set_vgpr_msb 0x44                     ;  msbs: dst=1 src0=0 src1=1 src2=0
	v_and_b32_e32 v155 /*v411*/, 0xffff, v172 /*v428*/
	v_bfe_u32 v156 /*v412*/, v1, 4, 4
	s_set_vgpr_msb 0x55                     ;  msbs: dst=1 src0=1 src1=1 src2=1
	v_bfe_i32 v172 /*v428*/, v205 /*v461*/, 16, 8
	v_add3_u32 v225 /*v481*/, v225 /*v481*/, v245 /*v501*/, v240 /*v496*/
	v_add3_u32 v223 /*v479*/, v224 /*v480*/, v244 /*v500*/, v239 /*v495*/
	v_mul_i32_i24_e32 v246 /*v502*/, v241 /*v497*/, v155 /*v411*/
	s_set_vgpr_msb 5                        ;  msbs: dst=0 src0=1 src1=1 src2=0
	v_mul_i32_i24_e32 v1, v156 /*v412*/, v157 /*v413*/
	s_set_vgpr_msb 0x45                     ;  msbs: dst=1 src0=1 src1=1 src2=0
	v_mul_i32_i24_e32 v157 /*v413*/, v155 /*v411*/, v158 /*v414*/
	v_mul_i32_i24_e32 v158 /*v414*/, v154 /*v410*/, v159 /*v415*/
	;; [unrolled: 1-line block ×3, first 2 shown]
	v_ashrrev_i32_e32 v160 /*v416*/, 24, v205 /*v461*/
	v_bfe_i32 v205 /*v461*/, v205 /*v461*/, 0, 8
	s_set_vgpr_msb 16                       ;  msbs: dst=0 src0=0 src1=0 src2=1
	v_add3_u32 v0, v0, v1, v157 /*v413*/
	s_set_vgpr_msb 64                       ;  msbs: dst=1 src0=0 src1=0 src2=0
	v_bfe_u32 v157 /*v413*/, v4, 20, 4
	s_set_vgpr_msb 0x45                     ;  msbs: dst=1 src0=1 src1=1 src2=0
	v_mul_i32_i24_e32 v252 /*v508*/, v172 /*v428*/, v154 /*v410*/
	v_mul_i32_i24_e32 v253 /*v509*/, v160 /*v416*/, v130 /*v386*/
	s_set_vgpr_msb 5                        ;  msbs: dst=0 src0=1 src1=1 src2=0
	v_mul_i32_i24_e32 v1, v205 /*v461*/, v156 /*v412*/
	s_set_vgpr_msb 20                       ;  msbs: dst=0 src0=0 src1=1 src2=1
	v_add3_u32 v0, v0, v158 /*v414*/, v159 /*v415*/
	s_set_vgpr_msb 0x44                     ;  msbs: dst=1 src0=0 src1=1 src2=0
	v_and_b32_e32 v158 /*v414*/, 0xffff, v168 /*v424*/
	v_bfe_u32 v159 /*v415*/, v4, 4, 4
	s_set_vgpr_msb 0x55                     ;  msbs: dst=1 src0=1 src1=1 src2=1
	v_bfe_i32 v168 /*v424*/, v206 /*v462*/, 16, 8
	v_add3_u32 v217 /*v473*/, v227 /*v483*/, v217 /*v473*/, v246 /*v502*/
	s_set_vgpr_msb 5                        ;  msbs: dst=0 src0=1 src1=1 src2=0
	v_mul_i32_i24_e32 v60, v249 /*v505*/, v38 /*v294*/
	v_mul_i32_i24_e32 v133, v37 /*v293*/, v250 /*v506*/
	s_set_vgpr_msb 1                        ;  msbs: dst=0 src0=1 src1=0 src2=0
	v_mul_i32_i24_e32 v4, v159 /*v415*/, v12
	v_mul_i32_i24_e32 v12, v158 /*v414*/, v13
	;; [unrolled: 1-line block ×4, first 2 shown]
	s_set_vgpr_msb 4                        ;  msbs: dst=0 src0=0 src1=1 src2=0
	v_ashrrev_i32_e32 v15, 24, v206 /*v462*/
	s_set_vgpr_msb 0x41                     ;  msbs: dst=1 src0=1 src1=0 src2=0
	v_bfe_i32 v206 /*v462*/, v206 /*v462*/, 0, 8
	s_set_vgpr_msb 0                        ;  msbs: dst=0 src0=0 src1=0 src2=0
	v_add3_u32 v0, v0, v4, v12
	s_set_vgpr_msb 5                        ;  msbs: dst=0 src0=1 src1=1 src2=0
	v_mul_i32_i24_e32 v12, v247 /*v503*/, v158 /*v414*/
	s_set_vgpr_msb 1                        ;  msbs: dst=0 src0=1 src1=0 src2=0
	v_mul_i32_i24_e32 v64, v36 /*v292*/, v3
	s_set_vgpr_msb 5                        ;  msbs: dst=0 src0=1 src1=1 src2=0
	v_mul_i32_i24_e32 v66, v36 /*v292*/, v207 /*v463*/
	v_mul_i32_i24_e32 v4, v206 /*v462*/, v159 /*v415*/
	s_set_vgpr_msb 0                        ;  msbs: dst=0 src0=0 src1=0 src2=0
	v_add3_u32 v0, v0, v13, v14
	s_set_vgpr_msb 4                        ;  msbs: dst=0 src0=0 src1=1 src2=0
	v_mul_i32_i24_e32 v14, v15, v131 /*v387*/
	s_set_vgpr_msb 5                        ;  msbs: dst=0 src0=1 src1=1 src2=0
	v_mul_i32_i24_e32 v13, v168 /*v424*/, v157 /*v413*/
	s_set_vgpr_msb 4                        ;  msbs: dst=0 src0=0 src1=1 src2=0
	v_mul_lo_u32 v10, v10, v32 /*v288*/
	s_set_vgpr_msb 1                        ;  msbs: dst=0 src0=1 src1=0 src2=0
	v_add3_u32 v1, v204 /*v460*/, v1, v4
	s_set_vgpr_msb 20                       ;  msbs: dst=0 src0=0 src1=1 src2=1
	v_add3_u32 v0, v0, v167 /*v423*/, v255 /*v511*/
	s_set_vgpr_msb 5                        ;  msbs: dst=0 src0=1 src1=1 src2=0
	v_add3_u32 v4, v225 /*v481*/, v253 /*v509*/, v14
	v_add3_u32 v13, v223 /*v479*/, v252 /*v508*/, v13
	s_set_vgpr_msb 4                        ;  msbs: dst=0 src0=0 src1=1 src2=0
	v_mul_lo_u32 v11, v11, v32 /*v288*/
	v_cvt_f32_f16_e32 v9, v9
	s_set_vgpr_msb 0                        ;  msbs: dst=0 src0=0 src1=0 src2=0
	v_add3_u32 v0, v0, v62, v64
	s_set_vgpr_msb 1                        ;  msbs: dst=0 src0=1 src1=0 src2=0
	v_add3_u32 v4, v217 /*v473*/, v12, v4
	s_set_vgpr_msb 0                        ;  msbs: dst=0 src0=0 src1=0 src2=0
	v_cvt_f32_f16_e32 v8, v8
	s_set_vgpr_msb 0x44                     ;  msbs: dst=1 src0=0 src1=1 src2=0
	v_pk_fma_f32 v[170:171] /*v[426:427]*/, v[120:121], v[164:165] /*v[420:421]*/, 0 op_sel_hi:[0,1,0]
	s_set_vgpr_msb 4                        ;  msbs: dst=0 src0=0 src1=1 src2=0
	v_cvt_f32_i32_e32 v10, v10
	v_mul_lo_u32 v0, v0, v35 /*v291*/
	s_set_vgpr_msb 0                        ;  msbs: dst=0 src0=0 src1=0 src2=0
	v_add3_u32 v1, v1, v13, v4
	s_set_vgpr_msb 4                        ;  msbs: dst=0 src0=0 src1=1 src2=0
	v_mul_i32_i24_e32 v4, v55, v45 /*v301*/
	v_mul_i32_i24_e32 v12, v69, v50 /*v306*/
	v_cvt_f32_i32_e32 v11, v11
	v_mul_i32_i24_e32 v13, v71, v51 /*v307*/
	v_add3_u32 v1, v1, v254 /*v510*/, v60
	v_mul_i32_i24_e32 v14, v82, v52 /*v308*/
	v_mul_i32_i24_e32 v60, v84, v53 /*v309*/
	s_set_vgpr_msb 1                        ;  msbs: dst=0 src0=1 src1=0 src2=0
	v_pk_fma_f32 v[10:11], v[162:163] /*v[418:419]*/, v[10:11], 0 op_sel_hi:[1,1,0]
	s_set_vgpr_msb 4                        ;  msbs: dst=0 src0=0 src1=1 src2=0
	v_mul_i32_i24_e32 v62, v86, v54 /*v310*/
	s_set_vgpr_msb 0                        ;  msbs: dst=0 src0=0 src1=0 src2=0
	v_add3_u32 v1, v1, v133, v66
	v_cvt_f32_i32_e32 v0, v0
	s_set_vgpr_msb 4                        ;  msbs: dst=0 src0=0 src1=1 src2=0
	v_mul_i32_i24_e32 v64, v92, v55 /*v311*/
	s_set_vgpr_msb 5                        ;  msbs: dst=0 src0=1 src1=1 src2=0
	v_mul_i32_i24_e32 v66, v191 /*v447*/, v56 /*v312*/
	v_mul_i32_i24_e32 v133, v192 /*v448*/, v57 /*v313*/
	s_set_vgpr_msb 4                        ;  msbs: dst=0 src0=0 src1=1 src2=0
	v_mul_lo_u32 v1, v1, v35 /*v291*/
	s_set_vgpr_msb 0x45                     ;  msbs: dst=1 src0=1 src1=1 src2=0
	v_mul_i32_i24_e32 v167 /*v423*/, v193 /*v449*/, v58 /*v314*/
	v_mul_i32_i24_e32 v204 /*v460*/, v60 /*v316*/, v196 /*v452*/
	;; [unrolled: 1-line block ×10, first 2 shown]
	s_set_vgpr_msb 0                        ;  msbs: dst=0 src0=0 src1=0 src2=0
	v_cvt_f32_i32_e32 v1, v1
	s_set_vgpr_msb 0x45                     ;  msbs: dst=1 src0=1 src1=1 src2=0
	v_mul_i32_i24_e32 v233 /*v489*/, v214 /*v470*/, v74 /*v330*/
	v_mul_i32_i24_e32 v234 /*v490*/, v215 /*v471*/, v76 /*v332*/
	s_set_vgpr_msb 0x44                     ;  msbs: dst=1 src0=0 src1=1 src2=0
	v_mul_i32_i24_e32 v235 /*v491*/, v15, v98 /*v354*/
	s_set_vgpr_msb 0x45                     ;  msbs: dst=1 src0=1 src1=1 src2=0
	v_mul_i32_i24_e32 v236 /*v492*/, v248 /*v504*/, v100 /*v356*/
	s_set_vgpr_msb 1                        ;  msbs: dst=0 src0=1 src1=0 src2=0
	v_pk_fma_f32 v[0:1], v[174:175] /*v[430:431]*/, v[0:1], v[10:11]
	s_set_vgpr_msb 16                       ;  msbs: dst=0 src0=0 src1=0 src2=1
	v_pk_fma_f32 v[10:11], v[122:123], v[8:9], v[170:171] /*v[426:427]*/ op_sel_hi:[0,1,1]
	s_set_vgpr_msb 0x45                     ;  msbs: dst=1 src0=1 src1=1 src2=0
	v_mul_i32_i24_e32 v170 /*v426*/, v194 /*v450*/, v59 /*v315*/
	v_mul_i32_i24_e32 v171 /*v427*/, v61 /*v317*/, v195 /*v451*/
	s_set_vgpr_msb 0x44                     ;  msbs: dst=1 src0=0 src1=1 src2=0
	v_mul_i32_i24_e32 v177 /*v433*/, v250, v208 /*v464*/
	v_mul_i32_i24_e32 v178 /*v434*/, v249, v209 /*v465*/
	s_set_vgpr_msb 0                        ;  msbs: dst=0 src0=0 src1=0 src2=0
	v_pk_mul_f32 v[10:11], v[10:11], v[102:103]
	s_delay_alu instid0(VALU_DEP_1)
	v_pk_fma_f32 v[0:1], v[0:1], v[94:95], v[10:11] neg_lo:[0,0,1] neg_hi:[0,0,1]
	s_set_vgpr_msb 4                        ;  msbs: dst=0 src0=0 src1=1 src2=0
	v_mul_i32_i24_e32 v10, v61, v48 /*v304*/
	v_mul_i32_i24_e32 v11, v67, v49 /*v305*/
	s_set_vgpr_msb 0                        ;  msbs: dst=0 src0=0 src1=0 src2=0
	v_pk_add_f32 v[50:51], v[50:51], v[0:1]
	s_set_vgpr_msb 4                        ;  msbs: dst=0 src0=0 src1=1 src2=0
	v_mul_i32_i24_e32 v0, v52, v43 /*v299*/
	v_mul_i32_i24_e32 v1, v54, v44 /*v300*/
	s_delay_alu instid0(VALU_DEP_2) | instskip(SKIP_1) | instid1(VALU_DEP_1)
	v_mad_i32_i24 v0, v53, v42 /*v298*/, v0
	s_set_vgpr_msb 0                        ;  msbs: dst=0 src0=0 src1=0 src2=0
	v_add3_u32 v0, v0, v1, v4
	s_set_vgpr_msb 4                        ;  msbs: dst=0 src0=0 src1=1 src2=0
	v_mul_i32_i24_e32 v1, v56, v46 /*v302*/
	v_mul_i32_i24_e32 v4, v58, v47 /*v303*/
	s_set_vgpr_msb 0                        ;  msbs: dst=0 src0=0 src1=0 src2=0
	s_delay_alu instid0(VALU_DEP_1)
	v_add3_u32 v0, v0, v1, v4
	s_set_vgpr_msb 5                        ;  msbs: dst=0 src0=1 src1=1 src2=0
	v_mul_i32_i24_e32 v1, v200 /*v456*/, v72 /*v328*/
	v_mul_i32_i24_e32 v4, v222 /*v478*/, v69 /*v325*/
	s_set_vgpr_msb 0                        ;  msbs: dst=0 src0=0 src1=0 src2=0
	v_add3_u32 v0, v0, v10, v11
	s_set_vgpr_msb 5                        ;  msbs: dst=0 src0=1 src1=1 src2=0
	v_mul_i32_i24_e32 v10, v221 /*v477*/, v75 /*v331*/
	v_mad_i32_i24 v1, v220 /*v476*/, v71 /*v327*/, v1
	v_mul_i32_i24_e32 v11, v226 /*v482*/, v73 /*v329*/
	s_set_vgpr_msb 0                        ;  msbs: dst=0 src0=0 src1=0 src2=0
	v_add3_u32 v0, v0, v12, v13
	s_set_vgpr_msb 5                        ;  msbs: dst=0 src0=1 src1=1 src2=0
	v_mul_i32_i24_e32 v12, v176 /*v432*/, v80 /*v336*/
	s_set_vgpr_msb 0                        ;  msbs: dst=0 src0=0 src1=0 src2=0
	v_add3_u32 v1, v1, v4, v10
	s_set_vgpr_msb 5                        ;  msbs: dst=0 src0=1 src1=1 src2=0
	v_mul_i32_i24_e32 v4, v201 /*v457*/, v77 /*v333*/
	v_mul_i32_i24_e32 v10, v166 /*v422*/, v78 /*v334*/
	s_set_vgpr_msb 0                        ;  msbs: dst=0 src0=0 src1=0 src2=0
	v_add3_u32 v0, v0, v14, v60
	s_set_vgpr_msb 5                        ;  msbs: dst=0 src0=1 src1=1 src2=0
	v_mul_i32_i24_e32 v13, v202 /*v458*/, v81 /*v337*/
	v_mul_i32_i24_e32 v14, v218 /*v474*/, v82 /*v338*/
	;; [unrolled: 1-line block ×3, first 2 shown]
	s_set_vgpr_msb 0                        ;  msbs: dst=0 src0=0 src1=0 src2=0
	v_add3_u32 v1, v1, v4, v10
	v_add3_u32 v0, v0, v62, v64
	s_set_vgpr_msb 5                        ;  msbs: dst=0 src0=1 src1=1 src2=0
	v_mul_i32_i24_e32 v62, v231 /*v487*/, v84 /*v340*/
	v_mul_i32_i24_e32 v64, v203 /*v459*/, v85 /*v341*/
	;; [unrolled: 1-line block ×3, first 2 shown]
	s_set_vgpr_msb 0                        ;  msbs: dst=0 src0=0 src1=0 src2=0
	v_add3_u32 v1, v1, v11, v12
	v_add3_u32 v0, v0, v66, v133
	s_set_vgpr_msb 5                        ;  msbs: dst=0 src0=1 src1=1 src2=0
	v_mul_i32_i24_e32 v66, v219 /*v475*/, v86 /*v342*/
	v_mul_i32_i24_e32 v133, v238 /*v494*/, v83 /*v339*/
	s_set_vgpr_msb 1                        ;  msbs: dst=0 src0=1 src1=0 src2=0
	v_mul_i32_i24_e32 v11, v40 /*v296*/, v7
	s_set_vgpr_msb 0                        ;  msbs: dst=0 src0=0 src1=0 src2=0
	v_add3_u32 v1, v1, v13, v14
	s_set_vgpr_msb 20                       ;  msbs: dst=0 src0=0 src1=1 src2=1
	v_add3_u32 v0, v0, v167 /*v423*/, v170 /*v426*/
	s_set_vgpr_msb 0x45                     ;  msbs: dst=1 src0=1 src1=1 src2=0
	v_mul_i32_i24_e32 v167 /*v423*/, v237 /*v493*/, v87 /*v343*/
	v_mul_i32_i24_e32 v170 /*v426*/, v173 /*v429*/, v88 /*v344*/
	s_set_vgpr_msb 5                        ;  msbs: dst=0 src0=1 src1=1 src2=0
	v_mul_i32_i24_e32 v12, v40 /*v296*/, v199 /*v455*/
	s_set_vgpr_msb 0                        ;  msbs: dst=0 src0=0 src1=0 src2=0
	v_add3_u32 v1, v1, v60, v62
	s_set_vgpr_msb 20                       ;  msbs: dst=0 src0=0 src1=1 src2=1
	v_add3_u32 v0, v0, v171 /*v427*/, v204 /*v460*/
	s_set_vgpr_msb 0x44                     ;  msbs: dst=1 src0=0 src1=1 src2=0
	v_mul_i32_i24_e32 v171 /*v427*/, v40, v89 /*v345*/
	s_set_vgpr_msb 0x45                     ;  msbs: dst=1 src0=1 src1=1 src2=0
	v_mul_i32_i24_e32 v204 /*v460*/, v169 /*v425*/, v91 /*v347*/
	s_set_vgpr_msb 4                        ;  msbs: dst=0 src0=0 src1=1 src2=0
	v_mul_i32_i24_e32 v13, v157, v250 /*v506*/
	s_set_vgpr_msb 0                        ;  msbs: dst=0 src0=0 src1=0 src2=0
	v_add3_u32 v1, v1, v64, v66
	s_set_vgpr_msb 20                       ;  msbs: dst=0 src0=0 src1=1 src2=1
	v_add3_u32 v0, v0, v217 /*v473*/, v223 /*v479*/
	s_set_vgpr_msb 0x45                     ;  msbs: dst=1 src0=1 src1=1 src2=0
	v_mul_i32_i24_e32 v217 /*v473*/, v161 /*v417*/, v90 /*v346*/
	v_mul_i32_i24_e32 v223 /*v479*/, v205 /*v461*/, v92 /*v348*/
	s_set_vgpr_msb 4                        ;  msbs: dst=0 src0=0 src1=1 src2=0
	v_mul_i32_i24_e32 v14, v157, v251 /*v507*/
	s_set_vgpr_msb 16                       ;  msbs: dst=0 src0=0 src1=0 src2=1
	v_add3_u32 v1, v1, v133, v167 /*v423*/
	s_set_vgpr_msb 20                       ;  msbs: dst=0 src0=0 src1=1 src2=1
	v_add3_u32 v0, v0, v224 /*v480*/, v225 /*v481*/
	s_set_vgpr_msb 0x45                     ;  msbs: dst=1 src0=1 src1=1 src2=0
	v_mul_i32_i24_e32 v224 /*v480*/, v241 /*v497*/, v93 /*v349*/
	v_mul_i32_i24_e32 v225 /*v481*/, v172 /*v428*/, v95 /*v351*/
	s_set_vgpr_msb 20                       ;  msbs: dst=0 src0=0 src1=1 src2=1
	v_mul_i32_i24_e32 v60, v119, v207 /*v463*/
	v_add3_u32 v1, v1, v170 /*v426*/, v171 /*v427*/
	v_add3_u32 v0, v0, v227 /*v483*/, v228 /*v484*/
	s_set_vgpr_msb 0x45                     ;  msbs: dst=1 src0=1 src1=1 src2=0
	v_mul_i32_i24_e32 v227 /*v483*/, v160 /*v416*/, v94 /*v350*/
	v_mul_i32_i24_e32 v228 /*v484*/, v206 /*v462*/, v96 /*v352*/
	s_set_vgpr_msb 0                        ;  msbs: dst=0 src0=0 src1=0 src2=0
	v_mul_i32_i24_e32 v62, v119, v3
	s_set_vgpr_msb 20                       ;  msbs: dst=0 src0=0 src1=1 src2=1
	v_add3_u32 v1, v1, v204 /*v460*/, v217 /*v473*/
	v_add3_u32 v0, v0, v229 /*v485*/, v230 /*v486*/
	s_set_vgpr_msb 0x45                     ;  msbs: dst=1 src0=1 src1=1 src2=0
	v_mul_i32_i24_e32 v229 /*v485*/, v247 /*v503*/, v97 /*v353*/
	v_mul_i32_i24_e32 v230 /*v486*/, v168 /*v424*/, v99 /*v355*/
	s_set_vgpr_msb 1                        ;  msbs: dst=0 src0=1 src1=0 src2=0
	v_mul_i32_i24_e32 v64, v191 /*v447*/, v243
	s_set_vgpr_msb 20                       ;  msbs: dst=0 src0=0 src1=1 src2=1
	v_add3_u32 v1, v1, v223 /*v479*/, v224 /*v480*/
	v_add3_u32 v0, v0, v233 /*v489*/, v234 /*v490*/
	s_set_vgpr_msb 1                        ;  msbs: dst=0 src0=1 src1=0 src2=0
	v_mul_i32_i24_e32 v66, v192 /*v448*/, v244
	v_mul_i32_i24_e32 v133, v193 /*v449*/, v245
	s_set_vgpr_msb 0x41                     ;  msbs: dst=1 src0=1 src1=0 src2=0
	v_mul_i32_i24_e32 v167 /*v423*/, v194 /*v450*/, v246
	s_set_vgpr_msb 20                       ;  msbs: dst=0 src0=0 src1=1 src2=1
	v_add3_u32 v1, v1, v225 /*v481*/, v227 /*v483*/
	s_set_vgpr_msb 0                        ;  msbs: dst=0 src0=0 src1=0 src2=0
	v_add3_u32 v0, v0, v4, v12
	s_set_vgpr_msb 1                        ;  msbs: dst=0 src0=1 src1=0 src2=0
	v_mul_i32_i24_e32 v12, v249 /*v505*/, v158
	s_set_vgpr_msb 0x44                     ;  msbs: dst=1 src0=0 src1=1 src2=0
	v_mul_i32_i24_e32 v170 /*v426*/, v248, v195 /*v451*/
	v_mul_i32_i24_e32 v171 /*v427*/, v247, v196 /*v452*/
	s_set_vgpr_msb 20                       ;  msbs: dst=0 src0=0 src1=1 src2=1
	v_add3_u32 v1, v1, v228 /*v484*/, v229 /*v485*/
	v_mul_lo_u32 v0, v0, v39 /*v295*/
	s_set_vgpr_msb 0x44                     ;  msbs: dst=1 src0=0 src1=1 src2=0
	v_mul_i32_i24_e32 v204 /*v460*/, v254, v211 /*v467*/
	v_mul_i32_i24_e32 v217 /*v473*/, v253, v212 /*v468*/
	s_set_vgpr_msb 0x45                     ;  msbs: dst=1 src0=1 src1=1 src2=0
	v_mul_i32_i24_e32 v223 /*v479*/, v1 /*v257*/, v213 /*v469*/
	s_set_vgpr_msb 20                       ;  msbs: dst=0 src0=0 src1=1 src2=1
	v_add3_u32 v10, v1, v230 /*v486*/, v235 /*v491*/
	v_mul_i32_i24_e32 v1, v6, v41 /*v297*/
	s_set_vgpr_msb 0x44                     ;  msbs: dst=1 src0=0 src1=1 src2=0
	v_mul_i32_i24_e32 v224 /*v480*/, v255, v198 /*v454*/
	s_set_vgpr_msb 0x45                     ;  msbs: dst=1 src0=1 src1=1 src2=0
	v_mul_i32_i24_e32 v225 /*v481*/, v214 /*v470*/, v5 /*v261*/
	v_mul_i32_i24_e32 v227 /*v483*/, v215 /*v471*/, v7 /*v263*/
	s_set_vgpr_msb 4                        ;  msbs: dst=0 src0=0 src1=1 src2=0
	v_add3_u32 v10, v10, v236 /*v492*/, v12
	s_set_vgpr_msb 0                        ;  msbs: dst=0 src0=0 src1=0 src2=0
	v_add3_u32 v1, v5, v1, v11
	v_mul_i32_i24_e32 v11, v2, v158
	s_set_vgpr_msb 0x44                     ;  msbs: dst=1 src0=0 src1=1 src2=0
	v_mul_i32_i24_e32 v228 /*v484*/, v15, v29 /*v285*/
	s_set_vgpr_msb 0x45                     ;  msbs: dst=1 src0=1 src1=1 src2=0
	v_mul_i32_i24_e32 v229 /*v485*/, v248 /*v504*/, v31 /*v287*/
	s_set_vgpr_msb 0                        ;  msbs: dst=0 src0=0 src1=0 src2=0
	v_add3_u32 v10, v10, v13, v60
	s_set_vgpr_msb 4                        ;  msbs: dst=0 src0=0 src1=1 src2=0
	v_mul_lo_u32 v4, v1, v39 /*v295*/
	s_set_vgpr_msb 5                        ;  msbs: dst=0 src0=1 src1=1 src2=0
	v_add3_u32 v11, v180 /*v436*/, v179 /*v435*/, v11
	s_set_vgpr_msb 0                        ;  msbs: dst=0 src0=0 src1=0 src2=0
	v_cvt_f32_i32_e32 v1, v0
	v_mul_i32_i24_e32 v13, v82, v239
	v_mul_lo_u32 v12, v10, v159
	v_mul_i32_i24_e32 v60, v86, v241
	v_add3_u32 v11, v11, v14, v62
	v_mul_i32_i24_e32 v14, v84, v240
	v_mul_i32_i24_e32 v62, v92, v242
	s_set_vgpr_msb 0x44                     ;  msbs: dst=1 src0=0 src1=1 src2=0
	v_mul_i32_i24_e32 v179 /*v435*/, v252, v210 /*v466*/
	v_mul_i32_i24_e32 v180 /*v436*/, v251, v197 /*v453*/
	s_set_vgpr_msb 0                        ;  msbs: dst=0 src0=0 src1=0 src2=0
	v_mul_lo_u32 v10, v11, v159
	v_cvt_f32_i32_e32 v0, v4
	s_set_vgpr_msb 4                        ;  msbs: dst=0 src0=0 src1=1 src2=0
	v_pk_fma_f32 v[4:5], v[124:125], v[164:165] /*v[420:421]*/, 0 op_sel_hi:[0,1,0]
	s_set_vgpr_msb 0                        ;  msbs: dst=0 src0=0 src1=0 src2=0
	v_mul_i32_i24_e32 v15, v15, v223
	v_cvt_f32_i32_e32 v11, v12
	v_mul_i32_i24_e32 v12, v71, v238
	s_set_vgpr_msb 1                        ;  msbs: dst=0 src0=1 src1=0 src2=0
	v_pk_fma_f32 v[0:1], v[162:163] /*v[418:419]*/, v[0:1], 0 op_sel_hi:[1,1,0]
	s_set_vgpr_msb 0                        ;  msbs: dst=0 src0=0 src1=0 src2=0
	v_pk_fma_f32 v[4:5], v[118:119], v[8:9], v[4:5] op_sel_hi:[0,1,1]
	v_cvt_f32_i32_e32 v10, v10
	s_delay_alu instid0(VALU_DEP_2) | instskip(SKIP_1) | instid1(VALU_DEP_2)
	v_pk_mul_f32 v[4:5], v[4:5], v[104:105]
	s_set_vgpr_msb 1                        ;  msbs: dst=0 src0=1 src1=0 src2=0
	v_pk_fma_f32 v[0:1], v[174:175] /*v[430:431]*/, v[10:11], v[0:1]
	s_set_vgpr_msb 0                        ;  msbs: dst=0 src0=0 src1=0 src2=0
	v_mul_i32_i24_e32 v10, v67, v236
	v_mul_i32_i24_e32 v11, v69, v237
	s_delay_alu instid0(VALU_DEP_3) | instskip(SKIP_2) | instid1(VALU_DEP_3)
	v_pk_fma_f32 v[0:1], v[0:1], v[96:97], v[4:5] neg_lo:[0,0,1] neg_hi:[0,0,1]
	v_mul_i32_i24_e32 v4, v55, v232
	v_mul_i32_i24_e32 v5, v61, v235
	v_pk_add_f32 v[48:49], v[48:49], v[0:1]
	v_mul_i32_i24_e32 v0, v52, v230
	v_mul_i32_i24_e32 v1, v54, v231
	s_delay_alu instid0(VALU_DEP_2) | instskip(NEXT) | instid1(VALU_DEP_1)
	v_mad_i32_i24 v0, v53, v229, v0
	v_add3_u32 v0, v0, v1, v4
	v_mul_i32_i24_e32 v1, v56, v233
	v_mul_i32_i24_e32 v4, v58, v234
	s_delay_alu instid0(VALU_DEP_1)
	v_add3_u32 v0, v0, v1, v4
	s_set_vgpr_msb 5                        ;  msbs: dst=0 src0=1 src1=1 src2=0
	v_mul_i32_i24_e32 v1, v200 /*v456*/, v3 /*v259*/
	v_mul_i32_i24_e32 v4, v222 /*v478*/, v0 /*v256*/
	s_set_vgpr_msb 0                        ;  msbs: dst=0 src0=0 src1=0 src2=0
	v_add3_u32 v0, v0, v5, v10
	s_set_vgpr_msb 5                        ;  msbs: dst=0 src0=1 src1=1 src2=0
	v_mul_i32_i24_e32 v5, v221 /*v477*/, v6 /*v262*/
	v_mad_i32_i24 v1, v220 /*v476*/, v2 /*v258*/, v1
	v_mul_i32_i24_e32 v10, v226 /*v482*/, v4 /*v260*/
	s_set_vgpr_msb 0                        ;  msbs: dst=0 src0=0 src1=0 src2=0
	v_add3_u32 v0, v0, v11, v12
	s_set_vgpr_msb 5                        ;  msbs: dst=0 src0=1 src1=1 src2=0
	v_mul_i32_i24_e32 v11, v176 /*v432*/, v11 /*v267*/
	s_set_vgpr_msb 0                        ;  msbs: dst=0 src0=0 src1=0 src2=0
	v_add3_u32 v1, v1, v4, v5
	s_set_vgpr_msb 5                        ;  msbs: dst=0 src0=1 src1=1 src2=0
	v_mul_i32_i24_e32 v4, v201 /*v457*/, v8 /*v264*/
	v_mul_i32_i24_e32 v5, v166 /*v422*/, v9 /*v265*/
	s_set_vgpr_msb 0                        ;  msbs: dst=0 src0=0 src1=0 src2=0
	v_add3_u32 v0, v0, v13, v14
	s_set_vgpr_msb 5                        ;  msbs: dst=0 src0=1 src1=1 src2=0
	v_mul_i32_i24_e32 v12, v202 /*v458*/, v12 /*v268*/
	v_mul_i32_i24_e32 v13, v218 /*v474*/, v13 /*v269*/
	;; [unrolled: 1-line block ×3, first 2 shown]
	s_set_vgpr_msb 0                        ;  msbs: dst=0 src0=0 src1=0 src2=0
	v_add3_u32 v1, v1, v4, v5
	v_add3_u32 v0, v0, v60, v62
	s_set_vgpr_msb 5                        ;  msbs: dst=0 src0=1 src1=1 src2=0
	v_mul_i32_i24_e32 v60, v231 /*v487*/, v15 /*v271*/
	v_mul_i32_i24_e32 v62, v203 /*v459*/, v16 /*v272*/
	s_set_vgpr_msb 1                        ;  msbs: dst=0 src0=1 src1=0 src2=0
	v_mul_i32_i24_e32 v4, v216 /*v472*/, v228
	s_set_vgpr_msb 0                        ;  msbs: dst=0 src0=0 src1=0 src2=0
	v_add3_u32 v1, v1, v10, v11
	v_add3_u32 v0, v0, v64, v66
	s_set_vgpr_msb 5                        ;  msbs: dst=0 src0=1 src1=1 src2=0
	v_mul_i32_i24_e32 v64, v219 /*v475*/, v17 /*v273*/
	v_mul_i32_i24_e32 v66, v238 /*v494*/, v14 /*v270*/
	s_set_vgpr_msb 0                        ;  msbs: dst=0 src0=0 src1=0 src2=0
	v_mul_i32_i24_e32 v5, v227, v7
	v_add3_u32 v1, v1, v12, v13
	s_set_vgpr_msb 16                       ;  msbs: dst=0 src0=0 src1=0 src2=1
	v_add3_u32 v0, v0, v133, v167 /*v423*/
	s_set_vgpr_msb 5                        ;  msbs: dst=0 src0=1 src1=1 src2=0
	v_mul_i32_i24_e32 v133, v237 /*v493*/, v18 /*v274*/
	s_set_vgpr_msb 0x45                     ;  msbs: dst=1 src0=1 src1=1 src2=0
	v_mul_i32_i24_e32 v167 /*v423*/, v173 /*v429*/, v19 /*v275*/
	s_set_vgpr_msb 4                        ;  msbs: dst=0 src0=0 src1=1 src2=0
	v_mul_i32_i24_e32 v11, v227, v199 /*v455*/
	s_set_vgpr_msb 0                        ;  msbs: dst=0 src0=0 src1=0 src2=0
	v_add3_u32 v1, v1, v14, v60
	s_set_vgpr_msb 20                       ;  msbs: dst=0 src0=0 src1=1 src2=1
	v_add3_u32 v0, v0, v170 /*v426*/, v171 /*v427*/
	s_set_vgpr_msb 0x44                     ;  msbs: dst=1 src0=0 src1=1 src2=0
	v_mul_i32_i24_e32 v170 /*v426*/, v40, v20 /*v276*/
	s_set_vgpr_msb 0x45                     ;  msbs: dst=1 src0=1 src1=1 src2=0
	v_mul_i32_i24_e32 v171 /*v427*/, v169 /*v425*/, v22 /*v278*/
	s_set_vgpr_msb 21                       ;  msbs: dst=0 src0=1 src1=1 src2=1
	v_add3_u32 v12, v181 /*v437*/, v183 /*v439*/, v182 /*v438*/
	s_set_vgpr_msb 0                        ;  msbs: dst=0 src0=0 src1=0 src2=0
	v_add3_u32 v1, v1, v62, v64
	s_set_vgpr_msb 20                       ;  msbs: dst=0 src0=0 src1=1 src2=1
	v_add3_u32 v0, v0, v177 /*v433*/, v178 /*v434*/
	s_set_vgpr_msb 0x45                     ;  msbs: dst=1 src0=1 src1=1 src2=0
	v_mul_i32_i24_e32 v177 /*v433*/, v161 /*v417*/, v21 /*v277*/
	v_mul_i32_i24_e32 v178 /*v434*/, v205 /*v461*/, v23 /*v279*/
	s_set_vgpr_msb 4                        ;  msbs: dst=0 src0=0 src1=1 src2=0
	v_mul_i32_i24_e32 v13, v113, v250 /*v506*/
	s_set_vgpr_msb 0                        ;  msbs: dst=0 src0=0 src1=0 src2=0
	v_add3_u32 v1, v1, v66, v133
	s_set_vgpr_msb 20                       ;  msbs: dst=0 src0=0 src1=1 src2=1
	v_add3_u32 v0, v0, v179 /*v435*/, v180 /*v436*/
	s_set_vgpr_msb 0x45                     ;  msbs: dst=1 src0=1 src1=1 src2=0
	v_mul_i32_i24_e32 v179 /*v435*/, v241 /*v497*/, v24 /*v280*/
	v_mul_i32_i24_e32 v180 /*v436*/, v172 /*v428*/, v26 /*v282*/
	s_set_vgpr_msb 20                       ;  msbs: dst=0 src0=0 src1=1 src2=1
	v_mul_i32_i24_e32 v14, v113, v251 /*v507*/
	v_add3_u32 v1, v1, v167 /*v423*/, v170 /*v426*/
	v_add3_u32 v0, v0, v204 /*v460*/, v217 /*v473*/
	s_set_vgpr_msb 0x45                     ;  msbs: dst=1 src0=1 src1=1 src2=0
	v_mul_i32_i24_e32 v204 /*v460*/, v160 /*v416*/, v25 /*v281*/
	v_mul_i32_i24_e32 v217 /*v473*/, v206 /*v462*/, v27 /*v283*/
	s_set_vgpr_msb 20                       ;  msbs: dst=0 src0=0 src1=1 src2=1
	v_mul_i32_i24_e32 v60, v111, v207 /*v463*/
	v_add3_u32 v1, v1, v171 /*v427*/, v177 /*v433*/
	v_add3_u32 v0, v0, v223 /*v479*/, v224 /*v480*/
	s_set_vgpr_msb 0x45                     ;  msbs: dst=1 src0=1 src1=1 src2=0
	v_mul_i32_i24_e32 v223 /*v479*/, v247 /*v503*/, v28 /*v284*/
	v_mul_i32_i24_e32 v224 /*v480*/, v168 /*v424*/, v30 /*v286*/
	s_set_vgpr_msb 0                        ;  msbs: dst=0 src0=0 src1=0 src2=0
	v_mul_i32_i24_e32 v62, v111, v3
	s_set_vgpr_msb 20                       ;  msbs: dst=0 src0=0 src1=1 src2=1
	v_add3_u32 v1, v1, v178 /*v434*/, v179 /*v435*/
	v_add3_u32 v0, v0, v225 /*v481*/, v227 /*v483*/
	s_set_vgpr_msb 0                        ;  msbs: dst=0 src0=0 src1=0 src2=0
	v_mul_i32_i24_e32 v40, v40, v214
	s_set_vgpr_msb 20                       ;  msbs: dst=0 src0=0 src1=1 src2=1
	v_mul_i32_i24_e32 v64, v187, v209 /*v465*/
	v_mul_i32_i24_e32 v66, v190, v210 /*v466*/
	v_add3_u32 v1, v1, v180 /*v436*/, v204 /*v460*/
	s_set_vgpr_msb 0                        ;  msbs: dst=0 src0=0 src1=0 src2=0
	v_add3_u32 v0, v0, v4, v11
	v_mul_i32_i24_e32 v11, v2, v115
	v_mul_i32_i24_e32 v2, v2, v162
	;; [unrolled: 1-line block ×3, first 2 shown]
	s_set_vgpr_msb 20                       ;  msbs: dst=0 src0=0 src1=1 src2=1
	v_add3_u32 v1, v1, v217 /*v473*/, v223 /*v479*/
	s_set_vgpr_msb 0                        ;  msbs: dst=0 src0=0 src1=0 src2=0
	v_mul_lo_u32 v0, v0, v226
	s_set_vgpr_msb 5                        ;  msbs: dst=0 src0=1 src1=1 src2=0
	v_add3_u32 v11, v185 /*v441*/, v184 /*v440*/, v11
	v_add3_u32 v2, v190 /*v446*/, v189 /*v445*/, v2
	s_set_vgpr_msb 20                       ;  msbs: dst=0 src0=0 src1=1 src2=1
	v_add3_u32 v10, v1, v224 /*v480*/, v228 /*v484*/
	s_set_vgpr_msb 0                        ;  msbs: dst=0 src0=0 src1=0 src2=0
	v_mul_i32_i24_e32 v1, v6, v228
	v_add3_u32 v11, v11, v14, v62
	v_mul_i32_i24_e32 v14, v84, v178
	s_set_vgpr_msb 4                        ;  msbs: dst=0 src0=0 src1=1 src2=0
	v_mul_i32_i24_e32 v62, v188, v208 /*v464*/
	v_mul_i32_i24_e32 v84, v193, v198 /*v454*/
	s_set_vgpr_msb 0                        ;  msbs: dst=0 src0=0 src1=0 src2=0
	v_add3_u32 v1, v12, v1, v5
	s_set_vgpr_msb 1                        ;  msbs: dst=0 src0=1 src1=0 src2=0
	v_mul_i32_i24_e32 v12, v249 /*v505*/, v115
	s_set_vgpr_msb 0                        ;  msbs: dst=0 src0=0 src1=0 src2=0
	s_delay_alu instid0(VALU_DEP_2) | instskip(SKIP_1) | instid1(VALU_DEP_2)
	v_mul_lo_u32 v4, v1, v226
	s_set_vgpr_msb 4                        ;  msbs: dst=0 src0=0 src1=1 src2=0
	v_add3_u32 v10, v10, v229 /*v485*/, v12
	v_cvt_f32_i32_e32 v1, v0
	s_set_vgpr_msb 0                        ;  msbs: dst=0 src0=0 src1=0 src2=0
	s_delay_alu instid0(VALU_DEP_2)
	v_add3_u32 v10, v10, v13, v60
	v_mul_i32_i24_e32 v13, v82, v177
	s_set_vgpr_msb 4                        ;  msbs: dst=0 src0=0 src1=1 src2=0
	v_mul_i32_i24_e32 v60, v186, v195 /*v451*/
	v_mul_i32_i24_e32 v82, v195, v213 /*v469*/
	s_set_vgpr_msb 0                        ;  msbs: dst=0 src0=0 src1=0 src2=0
	v_mul_lo_u32 v12, v10, v117
	v_mul_lo_u32 v10, v11, v117
	v_cvt_f32_i32_e32 v0, v4
	s_set_vgpr_msb 4                        ;  msbs: dst=0 src0=0 src1=1 src2=0
	v_pk_fma_f32 v[4:5], v[110:111], v[164:165] /*v[420:421]*/, 0 op_sel_hi:[0,1,0]
	s_set_vgpr_msb 1                        ;  msbs: dst=0 src0=1 src1=0 src2=0
	s_delay_alu instid0(VALU_DEP_2) | instskip(SKIP_1) | instid1(VALU_DEP_2)
	v_pk_fma_f32 v[0:1], v[162:163] /*v[418:419]*/, v[0:1], 0 op_sel_hi:[1,1,0]
	s_set_vgpr_msb 0                        ;  msbs: dst=0 src0=0 src1=0 src2=0
	v_pk_fma_f32 v[4:5], v[112:113], v[8:9], v[4:5] op_sel_hi:[0,1,1]
	v_cvt_f32_i32_e32 v11, v12
	v_cvt_f32_i32_e32 v10, v10
	s_delay_alu instid0(VALU_DEP_3)
	v_pk_mul_f32 v[4:5], v[4:5], v[106:107]
	v_mul_i32_i24_e32 v12, v71, v176
	s_set_vgpr_msb 4                        ;  msbs: dst=0 src0=0 src1=1 src2=0
	v_mul_i32_i24_e32 v71, v191, v212 /*v468*/
	s_set_vgpr_msb 1                        ;  msbs: dst=0 src0=1 src1=0 src2=0
	v_pk_fma_f32 v[0:1], v[174:175] /*v[430:431]*/, v[10:11], v[0:1]
	s_set_vgpr_msb 0                        ;  msbs: dst=0 src0=0 src1=0 src2=0
	v_mul_i32_i24_e32 v10, v67, v174
	v_mul_i32_i24_e32 v11, v69, v175
	s_set_vgpr_msb 4                        ;  msbs: dst=0 src0=0 src1=1 src2=0
	v_mul_i32_i24_e32 v67, v189, v197 /*v453*/
	v_mul_i32_i24_e32 v69, v192, v211 /*v467*/
	s_set_vgpr_msb 0                        ;  msbs: dst=0 src0=0 src1=0 src2=0
	v_pk_fma_f32 v[0:1], v[0:1], v[98:99], v[4:5] neg_lo:[0,0,1] neg_hi:[0,0,1]
	v_mul_i32_i24_e32 v4, v55, v170
	v_mul_i32_i24_e32 v5, v61, v173
	s_set_vgpr_msb 1                        ;  msbs: dst=0 src0=1 src1=0 src2=0
	v_mul_i32_i24_e32 v55, v192 /*v448*/, v182
	s_set_vgpr_msb 4                        ;  msbs: dst=0 src0=0 src1=1 src2=0
	v_mul_i32_i24_e32 v61, v185, v196 /*v452*/
	s_set_vgpr_msb 0                        ;  msbs: dst=0 src0=0 src1=0 src2=0
	v_pk_add_f32 v[46:47], v[46:47], v[0:1]
	v_mul_i32_i24_e32 v0, v52, v168
	v_mul_i32_i24_e32 v1, v54, v169
	;; [unrolled: 1-line block ×3, first 2 shown]
	s_set_vgpr_msb 1                        ;  msbs: dst=0 src0=1 src1=0 src2=0
	v_mul_i32_i24_e32 v54, v191 /*v447*/, v181
	v_mul_i32_i24_e32 v86, v214 /*v470*/, v199
	s_set_vgpr_msb 0                        ;  msbs: dst=0 src0=0 src1=0 src2=0
	v_mad_i32_i24 v0, v53, v167, v0
	v_mul_i32_i24_e32 v53, v92, v180
	s_set_vgpr_msb 1                        ;  msbs: dst=0 src0=1 src1=0 src2=0
	v_mul_i32_i24_e32 v92, v215 /*v471*/, v201
	s_set_vgpr_msb 0                        ;  msbs: dst=0 src0=0 src1=0 src2=0
	v_add3_u32 v0, v0, v1, v4
	v_mul_i32_i24_e32 v1, v56, v171
	v_mul_i32_i24_e32 v4, v58, v172
	s_set_vgpr_msb 1                        ;  msbs: dst=0 src0=1 src1=0 src2=0
	v_mul_i32_i24_e32 v56, v193 /*v449*/, v183
	v_mul_i32_i24_e32 v58, v194 /*v450*/, v184
	s_set_vgpr_msb 0                        ;  msbs: dst=0 src0=0 src1=0 src2=0
	v_add3_u32 v0, v0, v1, v4
	s_set_vgpr_msb 1                        ;  msbs: dst=0 src0=1 src1=0 src2=0
	v_mul_i32_i24_e32 v1, v200 /*v456*/, v197
	v_mul_i32_i24_e32 v4, v222 /*v478*/, v194
	s_set_vgpr_msb 0                        ;  msbs: dst=0 src0=0 src1=0 src2=0
	v_add3_u32 v0, v0, v5, v10
	s_set_vgpr_msb 1                        ;  msbs: dst=0 src0=1 src1=0 src2=0
	v_mul_i32_i24_e32 v5, v221 /*v477*/, v200
	v_mad_i32_i24 v1, v220 /*v476*/, v196, v1
	v_mul_i32_i24_e32 v10, v226 /*v482*/, v198
	s_set_vgpr_msb 0                        ;  msbs: dst=0 src0=0 src1=0 src2=0
	v_add3_u32 v0, v0, v11, v12
	s_set_vgpr_msb 1                        ;  msbs: dst=0 src0=1 src1=0 src2=0
	v_mul_i32_i24_e32 v11, v176 /*v432*/, v205
	s_set_vgpr_msb 0                        ;  msbs: dst=0 src0=0 src1=0 src2=0
	v_add3_u32 v1, v1, v4, v5
	s_set_vgpr_msb 1                        ;  msbs: dst=0 src0=1 src1=0 src2=0
	v_mul_i32_i24_e32 v4, v201 /*v457*/, v202
	v_mul_i32_i24_e32 v5, v166 /*v422*/, v203
	s_set_vgpr_msb 0                        ;  msbs: dst=0 src0=0 src1=0 src2=0
	v_add3_u32 v0, v0, v13, v14
	s_set_vgpr_msb 1                        ;  msbs: dst=0 src0=1 src1=0 src2=0
	v_mul_i32_i24_e32 v12, v202 /*v458*/, v206
	v_mul_i32_i24_e32 v13, v218 /*v474*/, v207
	v_mul_i32_i24_e32 v14, v232 /*v488*/, v204
	s_set_vgpr_msb 0                        ;  msbs: dst=0 src0=0 src1=0 src2=0
	v_add3_u32 v1, v1, v4, v5
	v_add3_u32 v0, v0, v52, v53
	s_set_vgpr_msb 1                        ;  msbs: dst=0 src0=1 src1=0 src2=0
	v_mul_i32_i24_e32 v52, v231 /*v487*/, v209
	v_mul_i32_i24_e32 v53, v203 /*v459*/, v210
	;; [unrolled: 1-line block ×3, first 2 shown]
	s_set_vgpr_msb 0                        ;  msbs: dst=0 src0=0 src1=0 src2=0
	v_add3_u32 v1, v1, v10, v11
	v_add3_u32 v0, v0, v54, v55
	s_set_vgpr_msb 1                        ;  msbs: dst=0 src0=1 src1=0 src2=0
	v_mul_i32_i24_e32 v54, v219 /*v475*/, v211
	v_mul_i32_i24_e32 v55, v238 /*v494*/, v208
	s_set_vgpr_msb 0                        ;  msbs: dst=0 src0=0 src1=0 src2=0
	v_mul_i32_i24_e32 v5, v165, v7
	v_add3_u32 v1, v1, v12, v13
	v_add3_u32 v0, v0, v56, v58
	s_set_vgpr_msb 1                        ;  msbs: dst=0 src0=1 src1=0 src2=0
	v_mul_i32_i24_e32 v56, v237 /*v493*/, v212
	v_mul_i32_i24_e32 v58, v173 /*v429*/, v213
	s_set_vgpr_msb 21                       ;  msbs: dst=0 src0=1 src1=1 src2=1
	v_add3_u32 v7, v186 /*v442*/, v188 /*v444*/, v187 /*v443*/
	s_set_vgpr_msb 0                        ;  msbs: dst=0 src0=0 src1=0 src2=0
	v_add3_u32 v1, v1, v14, v52
	v_add3_u32 v0, v0, v60, v61
	s_set_vgpr_msb 1                        ;  msbs: dst=0 src0=1 src1=0 src2=0
	v_mul_i32_i24_e32 v60, v169 /*v425*/, v216
	v_mul_i32_i24_e32 v61, v161 /*v417*/, v215
	s_set_vgpr_msb 4                        ;  msbs: dst=0 src0=0 src1=1 src2=0
	v_mul_i32_i24_e32 v11, v161, v251 /*v507*/
	s_set_vgpr_msb 0                        ;  msbs: dst=0 src0=0 src1=0 src2=0
	v_add3_u32 v1, v1, v53, v54
	v_add3_u32 v0, v0, v62, v64
	s_set_vgpr_msb 1                        ;  msbs: dst=0 src0=1 src1=0 src2=0
	v_mul_i32_i24_e32 v62, v205 /*v461*/, v217
	v_mul_i32_i24_e32 v64, v241 /*v497*/, v218
	s_set_vgpr_msb 4                        ;  msbs: dst=0 src0=0 src1=1 src2=0
	v_mul_i32_i24_e32 v12, v160, v207 /*v463*/
	s_set_vgpr_msb 0                        ;  msbs: dst=0 src0=0 src1=0 src2=0
	v_add3_u32 v1, v1, v55, v56
	v_add3_u32 v0, v0, v66, v67
	s_set_vgpr_msb 1                        ;  msbs: dst=0 src0=1 src1=0 src2=0
	v_mul_i32_i24_e32 v66, v172 /*v428*/, v220
	v_mul_i32_i24_e32 v67, v160 /*v416*/, v219
	s_set_vgpr_msb 0                        ;  msbs: dst=0 src0=0 src1=0 src2=0
	v_add3_u32 v2, v2, v11, v3
	v_add3_u32 v1, v1, v58, v40
	;; [unrolled: 1-line block ×3, first 2 shown]
	s_set_vgpr_msb 1                        ;  msbs: dst=0 src0=1 src1=0 src2=0
	v_mul_i32_i24_e32 v69, v206 /*v462*/, v221
	v_mul_i32_i24_e32 v71, v247 /*v503*/, v222
	s_set_vgpr_msb 0                        ;  msbs: dst=0 src0=0 src1=0 src2=0
	v_mul_lo_u32 v2, v2, v163
	v_add3_u32 v1, v1, v60, v61
	v_add3_u32 v0, v0, v82, v84
	s_set_vgpr_msb 1                        ;  msbs: dst=0 src0=1 src1=0 src2=0
	v_mul_i32_i24_e32 v82, v168 /*v424*/, v224
	v_mul_i32_i24_e32 v84, v248 /*v504*/, v225
	s_set_vgpr_msb 0                        ;  msbs: dst=0 src0=0 src1=0 src2=0
	v_add3_u32 v1, v1, v62, v64
	v_add3_u32 v0, v0, v86, v92
	s_delay_alu instid0(VALU_DEP_2) | instskip(SKIP_1) | instid1(VALU_DEP_2)
	v_add3_u32 v1, v1, v66, v67
	v_cvt_f32_i32_e32 v2, v2
	v_add3_u32 v1, v1, v69, v71
	s_delay_alu instid0(VALU_DEP_1) | instskip(SKIP_4) | instid1(VALU_DEP_2)
	v_add3_u32 v10, v1, v82, v15
	v_mul_i32_i24_e32 v1, v6, v166
	s_set_vgpr_msb 4                        ;  msbs: dst=0 src0=0 src1=1 src2=0
	v_mul_i32_i24_e32 v6, v165, v199 /*v455*/
	s_set_vgpr_msb 0                        ;  msbs: dst=0 src0=0 src1=0 src2=0
	v_add3_u32 v1, v7, v1, v5
	s_delay_alu instid0(VALU_DEP_2)
	v_add3_u32 v0, v0, v4, v6
	s_set_vgpr_msb 1                        ;  msbs: dst=0 src0=1 src1=0 src2=0
	v_mul_i32_i24_e32 v6, v249 /*v505*/, v162
	s_set_vgpr_msb 4                        ;  msbs: dst=0 src0=0 src1=1 src2=0
	v_mul_i32_i24_e32 v7, v161, v250 /*v506*/
	s_set_vgpr_msb 0                        ;  msbs: dst=0 src0=0 src1=0 src2=0
	v_mul_lo_u32 v4, v1, v164
	v_mul_lo_u32 v0, v0, v164
	v_add3_u32 v6, v10, v84, v6
	s_delay_alu instid0(VALU_DEP_1) | instskip(NEXT) | instid1(VALU_DEP_1)
	v_add3_u32 v3, v6, v7, v12
	v_mul_lo_u32 v3, v3, v163
	s_delay_alu instid0(VALU_DEP_4) | instskip(SKIP_4) | instid1(VALU_DEP_2)
	v_cvt_f32_i32_e32 v1, v0
	v_cvt_f32_i32_e32 v0, v4
	s_set_vgpr_msb 4                        ;  msbs: dst=0 src0=0 src1=1 src2=0
	v_pk_fma_f32 v[4:5], v[116:117], v[164:165] /*v[420:421]*/, 0 op_sel_hi:[0,1,0]
	s_set_vgpr_msb 1                        ;  msbs: dst=0 src0=1 src1=0 src2=0
	v_pk_fma_f32 v[0:1], v[162:163] /*v[418:419]*/, v[0:1], 0 op_sel_hi:[1,1,0]
	s_set_vgpr_msb 0                        ;  msbs: dst=0 src0=0 src1=0 src2=0
	v_cvt_f32_i32_e32 v3, v3
	s_set_vgpr_msb 1                        ;  msbs: dst=0 src0=1 src1=0 src2=0
	s_delay_alu instid0(VALU_DEP_1) | instskip(SKIP_2) | instid1(VALU_DEP_1)
	v_pk_fma_f32 v[0:1], v[174:175] /*v[430:431]*/, v[2:3], v[0:1]
	s_set_vgpr_msb 0                        ;  msbs: dst=0 src0=0 src1=0 src2=0
	v_pk_fma_f32 v[2:3], v[114:115], v[8:9], v[4:5] op_sel_hi:[0,1,1]
	v_pk_mul_f32 v[2:3], v[2:3], v[108:109]
	s_delay_alu instid0(VALU_DEP_1) | instskip(NEXT) | instid1(VALU_DEP_1)
	v_pk_fma_f32 v[0:1], v[0:1], v[100:101], v[2:3] neg_lo:[0,0,1] neg_hi:[0,0,1]
	v_pk_add_f32 v[44:45], v[44:45], v[0:1]
	v_or_b32_e32 v0, s12, v139
	s_delay_alu instid0(VALU_DEP_1)
	v_dual_lshlrev_b32 v1, 2, v0 :: v_dual_lshrrev_b32 v8, 1, v0
	ds_load_b128 v[10:13], v1 offset:16896
	ds_load_b128 v[4:7], v1 offset:16912
	s_set_vgpr_msb 64                       ;  msbs: dst=1 src0=0 src1=0 src2=0
	ds_load_b128 v[160:163] /*v[416:419]*/, v1 offset:16928
	s_set_vgpr_msb 0                        ;  msbs: dst=0 src0=0 src1=0 src2=0
	ds_load_b128 v[0:3], v1 offset:16944
	s_wait_dscnt 0x3
	v_bfe_i32 v40, v10, 0, 8
	v_bfe_i32 v52, v10, 8, 8
	;; [unrolled: 1-line block ×3, first 2 shown]
	v_ashrrev_i32_e32 v54, 24, v10
	s_wait_dscnt 0x0
	s_set_vgpr_msb 64                       ;  msbs: dst=1 src0=0 src1=0 src2=0
	v_bfe_i32 v196 /*v452*/, v1, 0, 8
	v_bfe_i32 v197 /*v453*/, v1, 8, 8
	;; [unrolled: 1-line block ×3, first 2 shown]
	v_dual_ashrrev_i32 v199 /*v455*/, 24, v1 :: v_dual_ashrrev_i32 v203 /*v459*/, 24, v2
	s_set_vgpr_msb 4                        ;  msbs: dst=0 src0=0 src1=1 src2=0
	v_mul_i32_i24_e32 v1, v40, v102 /*v358*/
	v_bfe_i32 v55, v11, 0, 8
	v_bfe_i32 v56, v11, 8, 8
	s_set_vgpr_msb 64                       ;  msbs: dst=1 src0=0 src1=0 src2=0
	v_bfe_i32 v200 /*v456*/, v2, 0, 8
	v_bfe_i32 v201 /*v457*/, v2, 8, 8
	;; [unrolled: 1-line block ×3, first 2 shown]
	s_set_vgpr_msb 4                        ;  msbs: dst=0 src0=0 src1=1 src2=0
	v_mul_i32_i24_e32 v2, v53, v103 /*v359*/
	v_mul_i32_i24_e32 v9, v54, v104 /*v360*/
	v_mad_i32_i24 v1, v52, v101 /*v357*/, v1
	v_bfe_i32 v58, v11, 16, 8
	s_set_vgpr_msb 0                        ;  msbs: dst=0 src0=0 src1=0 src2=0
	v_ashrrev_i32_e32 v11, 24, v11
	v_bfe_i32 v60, v12, 0, 8
	v_bfe_i32 v61, v12, 8, 8
	v_add3_u32 v1, v1, v2, v9
	s_set_vgpr_msb 4                        ;  msbs: dst=0 src0=0 src1=1 src2=0
	v_mul_i32_i24_e32 v2, v55, v105 /*v361*/
	v_mul_i32_i24_e32 v9, v56, v106 /*v362*/
	v_bfe_i32 v62, v12, 16, 8
	s_set_vgpr_msb 0                        ;  msbs: dst=0 src0=0 src1=0 src2=0
	v_dual_ashrrev_i32 v64, 24, v12 :: v_dual_ashrrev_i32 v71, 24, v13
	s_set_vgpr_msb 4                        ;  msbs: dst=0 src0=0 src1=1 src2=0
	v_mul_i32_i24_e32 v10, v58, v107 /*v363*/
	v_mul_i32_i24_e32 v12, v11, v108 /*v364*/
	s_set_vgpr_msb 0                        ;  msbs: dst=0 src0=0 src1=0 src2=0
	v_add3_u32 v1, v1, v2, v9
	v_bfe_i32 v66, v13, 0, 8
	v_bfe_i32 v67, v13, 8, 8
	;; [unrolled: 1-line block ×3, first 2 shown]
	s_set_vgpr_msb 4                        ;  msbs: dst=0 src0=0 src1=1 src2=0
	v_mul_i32_i24_e32 v13, v60, v109 /*v365*/
	v_mul_i32_i24_e32 v14, v61, v110 /*v366*/
	s_set_vgpr_msb 0                        ;  msbs: dst=0 src0=0 src1=0 src2=0
	v_add3_u32 v1, v1, v10, v12
	s_set_vgpr_msb 0x41                     ;  msbs: dst=1 src0=1 src1=0 src2=0
	v_bfe_i32 v176 /*v432*/, v160 /*v416*/, 0, 8
	v_bfe_i32 v177 /*v433*/, v160 /*v416*/, 8, 8
	;; [unrolled: 1-line block ×3, first 2 shown]
	s_set_vgpr_msb 0x44                     ;  msbs: dst=1 src0=0 src1=1 src2=0
	v_dual_ashrrev_i32 v179 /*v435*/, 24, v160 /*v416*/ :: v_dual_ashrrev_i32 v183 /*v439*/, 24, v161 /*v417*/
	s_set_vgpr_msb 4                        ;  msbs: dst=0 src0=0 src1=1 src2=0
	v_mul_i32_i24_e32 v15, v62, v111 /*v367*/
	s_set_vgpr_msb 0x44                     ;  msbs: dst=1 src0=0 src1=1 src2=0
	v_mul_i32_i24_e32 v160 /*v416*/, v64, v112 /*v368*/
	s_set_vgpr_msb 0                        ;  msbs: dst=0 src0=0 src1=0 src2=0
	v_add3_u32 v1, v1, v13, v14
	s_set_vgpr_msb 0x41                     ;  msbs: dst=1 src0=1 src1=0 src2=0
	v_bfe_i32 v180 /*v436*/, v161 /*v417*/, 0, 8
	v_bfe_i32 v181 /*v437*/, v161 /*v417*/, 8, 8
	;; [unrolled: 1-line block ×6, first 2 shown]
	s_set_vgpr_msb 0x44                     ;  msbs: dst=1 src0=0 src1=1 src2=0
	v_dual_ashrrev_i32 v187 /*v443*/, 24, v162 /*v418*/ :: v_dual_ashrrev_i32 v191 /*v447*/, 24, v163 /*v419*/
	v_mul_i32_i24_e32 v161 /*v417*/, v66, v113 /*v369*/
	v_mul_i32_i24_e32 v162 /*v418*/, v67, v114 /*v370*/
	s_set_vgpr_msb 16                       ;  msbs: dst=0 src0=0 src1=0 src2=1
	v_add3_u32 v1, v1, v15, v160 /*v416*/
	v_bfe_i32 v82, v4, 0, 8
	v_bfe_i32 v84, v4, 8, 8
	s_set_vgpr_msb 0x44                     ;  msbs: dst=1 src0=0 src1=1 src2=0
	v_mul_i32_i24_e32 v165 /*v421*/, v69, v115 /*v371*/
	v_mul_i32_i24_e32 v166 /*v422*/, v71, v116 /*v372*/
	s_set_vgpr_msb 20                       ;  msbs: dst=0 src0=0 src1=1 src2=1
	v_add3_u32 v1, v1, v161 /*v417*/, v162 /*v418*/
	v_bfe_i32 v86, v4, 16, 8
	s_set_vgpr_msb 0                        ;  msbs: dst=0 src0=0 src1=0 src2=0
	v_ashrrev_i32_e32 v92, 24, v4
	s_set_vgpr_msb 0x44                     ;  msbs: dst=1 src0=0 src1=1 src2=0
	v_mul_i32_i24_e32 v167 /*v423*/, v82, v117 /*v373*/
	v_mul_i32_i24_e32 v168 /*v424*/, v84, v118 /*v374*/
	s_set_vgpr_msb 20                       ;  msbs: dst=0 src0=0 src1=1 src2=1
	v_add3_u32 v1, v1, v165 /*v421*/, v166 /*v422*/
	v_bfe_i32 v133, v5, 0, 8
	s_set_vgpr_msb 64                       ;  msbs: dst=1 src0=0 src1=0 src2=0
	v_bfe_i32 v169 /*v425*/, v5, 8, 8
	v_bfe_i32 v170 /*v426*/, v5, 16, 8
	s_set_vgpr_msb 0                        ;  msbs: dst=0 src0=0 src1=0 src2=0
	v_ashrrev_i32_e32 v5, 24, v5
	s_set_vgpr_msb 0x41                     ;  msbs: dst=1 src0=1 src1=0 src2=0
	v_mul_i32_i24_e32 v205 /*v461*/, v120 /*v376*/, v86
	v_mul_i32_i24_e32 v206 /*v462*/, v119 /*v375*/, v92
	s_set_vgpr_msb 20                       ;  msbs: dst=0 src0=0 src1=1 src2=1
	v_add3_u32 v1, v1, v167 /*v423*/, v168 /*v424*/
	s_set_vgpr_msb 0x41                     ;  msbs: dst=1 src0=1 src1=0 src2=0
	v_mul_i32_i24_e32 v207 /*v463*/, v122 /*v378*/, v133
	s_set_vgpr_msb 0x45                     ;  msbs: dst=1 src0=1 src1=1 src2=0
	v_mul_i32_i24_e32 v208 /*v464*/, v121 /*v377*/, v169 /*v425*/
	s_set_vgpr_msb 64                       ;  msbs: dst=1 src0=0 src1=0 src2=0
	v_bfe_i32 v171 /*v427*/, v6, 0, 8
	v_bfe_i32 v172 /*v428*/, v6, 8, 8
	s_set_vgpr_msb 20                       ;  msbs: dst=0 src0=0 src1=1 src2=1
	v_add3_u32 v1, v1, v205 /*v461*/, v206 /*v462*/
	s_set_vgpr_msb 0x45                     ;  msbs: dst=1 src0=1 src1=1 src2=0
	v_mul_i32_i24_e32 v209 /*v465*/, v124 /*v380*/, v170 /*v426*/
	s_set_vgpr_msb 0x41                     ;  msbs: dst=1 src0=1 src1=0 src2=0
	v_mul_i32_i24_e32 v210 /*v466*/, v123 /*v379*/, v5
	s_set_vgpr_msb 64                       ;  msbs: dst=1 src0=0 src1=0 src2=0
	v_bfe_i32 v173 /*v429*/, v6, 16, 8
	s_set_vgpr_msb 0                        ;  msbs: dst=0 src0=0 src1=0 src2=0
	v_ashrrev_i32_e32 v6, 24, v6
	s_set_vgpr_msb 20                       ;  msbs: dst=0 src0=0 src1=1 src2=1
	v_add3_u32 v1, v1, v207 /*v463*/, v208 /*v464*/
	s_set_vgpr_msb 0x45                     ;  msbs: dst=1 src0=1 src1=1 src2=0
	v_mul_i32_i24_e32 v211 /*v467*/, v132 /*v388*/, v171 /*v427*/
	v_mul_i32_i24_e32 v212 /*v468*/, v125 /*v381*/, v172 /*v428*/
	;; [unrolled: 1-line block ×3, first 2 shown]
	s_set_vgpr_msb 0x41                     ;  msbs: dst=1 src0=1 src1=0 src2=0
	v_mul_i32_i24_e32 v214 /*v470*/, v133 /*v389*/, v6
	s_set_vgpr_msb 20                       ;  msbs: dst=0 src0=0 src1=1 src2=1
	v_add3_u32 v1, v1, v209 /*v465*/, v210 /*v466*/
	s_set_vgpr_msb 5                        ;  msbs: dst=0 src0=1 src1=1 src2=0
	v_mul_i32_i24_e32 v2, v140 /*v396*/, v178 /*v434*/
	v_mul_i32_i24_e32 v9, v134 /*v390*/, v179 /*v435*/
	;; [unrolled: 1-line block ×4, first 2 shown]
	s_set_vgpr_msb 20                       ;  msbs: dst=0 src0=0 src1=1 src2=1
	v_add3_u32 v1, v1, v211 /*v467*/, v212 /*v468*/
	s_set_vgpr_msb 5                        ;  msbs: dst=0 src0=1 src1=1 src2=0
	v_mul_i32_i24_e32 v13, v147 /*v403*/, v184 /*v440*/
	v_mul_i32_i24_e32 v14, v146 /*v402*/, v185 /*v441*/
	s_set_vgpr_msb 0x41                     ;  msbs: dst=1 src0=1 src1=0 src2=0
	v_bfe_i32 v188 /*v444*/, v163 /*v419*/, 0, 8
	v_bfe_i32 v189 /*v445*/, v163 /*v419*/, 8, 8
	s_set_vgpr_msb 0x54                     ;  msbs: dst=1 src0=0 src1=1 src2=1
	v_add3_u32 v166 /*v422*/, v1, v213 /*v469*/, v214 /*v470*/
	s_set_vgpr_msb 5                        ;  msbs: dst=0 src0=1 src1=1 src2=0
	v_mul_i32_i24_e32 v1, v141 /*v397*/, v176 /*v432*/
	v_mul_i32_i24_e32 v15, v145 /*v401*/, v186 /*v442*/
	s_set_vgpr_msb 0x45                     ;  msbs: dst=1 src0=1 src1=1 src2=0
	v_mul_i32_i24_e32 v160 /*v416*/, v127 /*v383*/, v187 /*v443*/
	v_bfe_i32 v190 /*v446*/, v163 /*v419*/, 16, 8
	v_mul_i32_i24_e32 v161 /*v417*/, v150 /*v406*/, v188 /*v444*/
	s_set_vgpr_msb 5                        ;  msbs: dst=0 src0=1 src1=1 src2=0
	v_mad_i32_i24 v1, v139 /*v395*/, v177 /*v433*/, v1
	s_set_vgpr_msb 0x45                     ;  msbs: dst=1 src0=1 src1=1 src2=0
	v_mul_i32_i24_e32 v162 /*v418*/, v149 /*v405*/, v189 /*v445*/
	s_set_vgpr_msb 64                       ;  msbs: dst=1 src0=0 src1=0 src2=0
	v_bfe_i32 v192 /*v448*/, v0, 0, 8
	v_bfe_i32 v193 /*v449*/, v0, 8, 8
	s_set_vgpr_msb 0x45                     ;  msbs: dst=1 src0=1 src1=1 src2=0
	v_mul_i32_i24_e32 v165 /*v421*/, v148 /*v404*/, v190 /*v446*/
	s_set_vgpr_msb 0                        ;  msbs: dst=0 src0=0 src1=0 src2=0
	v_add3_u32 v1, v1, v2, v9
	s_set_vgpr_msb 5                        ;  msbs: dst=0 src0=1 src1=1 src2=0
	v_mul_i32_i24_e32 v2, v144 /*v400*/, v180 /*v436*/
	v_mul_i32_i24_e32 v9, v143 /*v399*/, v181 /*v437*/
	s_set_vgpr_msb 0x45                     ;  msbs: dst=1 src0=1 src1=1 src2=0
	v_mul_i32_i24_e32 v168 /*v424*/, v128 /*v384*/, v191 /*v447*/
	s_set_vgpr_msb 64                       ;  msbs: dst=1 src0=0 src1=0 src2=0
	v_bfe_i32 v194 /*v450*/, v0, 16, 8
	v_ashrrev_i32_e32 v195 /*v451*/, 24, v0
	s_set_vgpr_msb 0x45                     ;  msbs: dst=1 src0=1 src1=1 src2=0
	v_mul_i32_i24_e32 v205 /*v461*/, v153 /*v409*/, v192 /*v448*/
	s_set_vgpr_msb 0                        ;  msbs: dst=0 src0=0 src1=0 src2=0
	v_add3_u32 v1, v1, v2, v9
	s_set_vgpr_msb 0x45                     ;  msbs: dst=1 src0=1 src1=1 src2=0
	v_mul_i32_i24_e32 v206 /*v462*/, v152 /*v408*/, v193 /*v449*/
	v_mul_i32_i24_e32 v207 /*v463*/, v151 /*v407*/, v194 /*v450*/
	v_mul_i32_i24_e32 v208 /*v464*/, v129 /*v385*/, v195 /*v451*/
	v_mul_i32_i24_e32 v209 /*v465*/, v156 /*v412*/, v196 /*v452*/
	s_set_vgpr_msb 0                        ;  msbs: dst=0 src0=0 src1=0 src2=0
	v_add3_u32 v1, v1, v10, v12
	s_set_vgpr_msb 0x45                     ;  msbs: dst=1 src0=1 src1=1 src2=0
	v_mul_i32_i24_e32 v210 /*v466*/, v155 /*v411*/, v197 /*v453*/
	v_mul_i32_i24_e32 v211 /*v467*/, v154 /*v410*/, v198 /*v454*/
	v_mul_i32_i24_e32 v212 /*v468*/, v130 /*v386*/, v199 /*v455*/
	v_mul_i32_i24_e32 v213 /*v469*/, v159 /*v415*/, v200 /*v456*/
	s_set_vgpr_msb 0                        ;  msbs: dst=0 src0=0 src1=0 src2=0
	v_add3_u32 v1, v1, v13, v14
	s_set_vgpr_msb 0x45                     ;  msbs: dst=1 src0=1 src1=1 src2=0
	v_mul_i32_i24_e32 v214 /*v470*/, v158 /*v414*/, v201 /*v457*/
	v_mul_i32_i24_e32 v215 /*v471*/, v157 /*v413*/, v202 /*v458*/
	v_mul_i32_i24_e32 v216 /*v472*/, v131 /*v387*/, v203 /*v459*/
	s_set_vgpr_msb 4                        ;  msbs: dst=0 src0=0 src1=1 src2=0
	v_mul_i32_i24_e32 v2, v53, v44 /*v300*/
	s_set_vgpr_msb 16                       ;  msbs: dst=0 src0=0 src1=0 src2=1
	v_add3_u32 v1, v1, v15, v160 /*v416*/
	s_set_vgpr_msb 20                       ;  msbs: dst=0 src0=0 src1=1 src2=1
	v_mul_i32_i24_e32 v9, v54, v45 /*v301*/
	v_mul_i32_i24_e32 v10, v58, v48 /*v304*/
	;; [unrolled: 1-line block ×4, first 2 shown]
	v_add3_u32 v1, v1, v161 /*v417*/, v162 /*v418*/
	s_set_vgpr_msb 0x44                     ;  msbs: dst=1 src0=0 src1=1 src2=0
	v_mul_i32_i24_e32 v160 /*v416*/, v61, v51 /*v307*/
	v_mul_i32_i24_e32 v161 /*v417*/, v62, v52 /*v308*/
	v_mul_i32_i24_e32 v162 /*v418*/, v64, v53 /*v309*/
	s_set_vgpr_msb 0x45                     ;  msbs: dst=1 src0=1 src1=1 src2=0
	v_mul_i32_i24_e32 v217 /*v473*/, v66 /*v322*/, v172 /*v428*/
	s_set_vgpr_msb 20                       ;  msbs: dst=0 src0=0 src1=1 src2=1
	v_add3_u32 v1, v1, v165 /*v421*/, v168 /*v424*/
	s_set_vgpr_msb 0x44                     ;  msbs: dst=1 src0=0 src1=1 src2=0
	v_mul_i32_i24_e32 v165 /*v421*/, v66, v54 /*v310*/
	s_set_vgpr_msb 0x45                     ;  msbs: dst=1 src0=1 src1=1 src2=0
	v_mul_i32_i24_e32 v218 /*v474*/, v70 /*v326*/, v173 /*v429*/
	s_set_vgpr_msb 0x41                     ;  msbs: dst=1 src0=1 src1=0 src2=0
	v_mul_i32_i24_e32 v219 /*v475*/, v68 /*v324*/, v6
	s_set_vgpr_msb 0x45                     ;  msbs: dst=1 src0=1 src1=1 src2=0
	v_mul_i32_i24_e32 v220 /*v476*/, v99 /*v355*/, v202 /*v458*/
	s_set_vgpr_msb 20                       ;  msbs: dst=0 src0=0 src1=1 src2=1
	v_add3_u32 v1, v1, v205 /*v461*/, v206 /*v462*/
	s_set_vgpr_msb 0x44                     ;  msbs: dst=1 src0=0 src1=1 src2=0
	v_mul_i32_i24_e32 v205 /*v461*/, v67, v55 /*v311*/
	v_mul_i32_i24_e32 v206 /*v462*/, v69, v56 /*v312*/
	s_set_vgpr_msb 0x45                     ;  msbs: dst=1 src0=1 src1=1 src2=0
	v_mul_i32_i24_e32 v221 /*v477*/, v98 /*v354*/, v203 /*v459*/
	s_set_vgpr_msb 0x44                     ;  msbs: dst=1 src0=0 src1=1 src2=0
	v_mul_i32_i24_e32 v222 /*v478*/, v253, v172 /*v428*/
	s_set_vgpr_msb 20                       ;  msbs: dst=0 src0=0 src1=1 src2=1
	v_add3_u32 v1, v1, v207 /*v463*/, v208 /*v464*/
	s_set_vgpr_msb 0x44                     ;  msbs: dst=1 src0=0 src1=1 src2=0
	v_mul_i32_i24_e32 v207 /*v463*/, v71, v57 /*v313*/
	v_mul_i32_i24_e32 v208 /*v464*/, v82, v58 /*v314*/
	s_set_vgpr_msb 0x45                     ;  msbs: dst=1 src0=1 src1=1 src2=0
	v_mul_i32_i24_e32 v223 /*v479*/, v1 /*v257*/, v173 /*v429*/
	s_set_vgpr_msb 64                       ;  msbs: dst=1 src0=0 src1=0 src2=0
	v_mul_i32_i24_e32 v224 /*v480*/, v255, v6
	s_set_vgpr_msb 20                       ;  msbs: dst=0 src0=0 src1=1 src2=1
	v_add3_u32 v1, v1, v209 /*v465*/, v210 /*v466*/
	s_set_vgpr_msb 0x44                     ;  msbs: dst=1 src0=0 src1=1 src2=0
	v_mul_i32_i24_e32 v209 /*v465*/, v84, v59 /*v315*/
	s_set_vgpr_msb 0x41                     ;  msbs: dst=1 src0=1 src1=0 src2=0
	v_mul_i32_i24_e32 v210 /*v466*/, v61 /*v317*/, v86
	s_set_vgpr_msb 0x45                     ;  msbs: dst=1 src0=1 src1=1 src2=0
	v_mul_i32_i24_e32 v225 /*v481*/, v30 /*v286*/, v202 /*v458*/
	v_mul_i32_i24_e32 v226 /*v482*/, v29 /*v285*/, v203 /*v459*/
	s_set_vgpr_msb 20                       ;  msbs: dst=0 src0=0 src1=1 src2=1
	v_add3_u32 v1, v1, v211 /*v467*/, v212 /*v468*/
	s_set_vgpr_msb 0x41                     ;  msbs: dst=1 src0=1 src1=0 src2=0
	v_mul_i32_i24_e32 v211 /*v467*/, v60 /*v316*/, v92
	v_mul_i32_i24_e32 v212 /*v468*/, v63 /*v319*/, v133
	s_set_vgpr_msb 0                        ;  msbs: dst=0 src0=0 src1=0 src2=0
	v_mul_i32_i24_e32 v6, v193, v6
	s_set_vgpr_msb 64                       ;  msbs: dst=1 src0=0 src1=0 src2=0
	v_bfe_i32 v174 /*v430*/, v7, 0, 8
	s_set_vgpr_msb 20                       ;  msbs: dst=0 src0=0 src1=1 src2=1
	v_add3_u32 v1, v1, v213 /*v469*/, v214 /*v470*/
	s_set_vgpr_msb 0x45                     ;  msbs: dst=1 src0=1 src1=1 src2=0
	v_mul_i32_i24_e32 v213 /*v469*/, v62 /*v318*/, v169 /*v425*/
	v_mul_i32_i24_e32 v214 /*v470*/, v65 /*v321*/, v170 /*v426*/
	s_set_vgpr_msb 64                       ;  msbs: dst=1 src0=0 src1=0 src2=0
	v_bfe_i32 v175 /*v431*/, v7, 8, 8
	s_set_vgpr_msb 0x45                     ;  msbs: dst=1 src0=1 src1=1 src2=0
	v_mul_i32_i24_e32 v163 /*v419*/, v174 /*v430*/, v137 /*v393*/
	s_set_vgpr_msb 0x54                     ;  msbs: dst=1 src0=0 src1=1 src2=1
	v_add3_u32 v168 /*v424*/, v1, v215 /*v471*/, v216 /*v472*/
	s_set_vgpr_msb 4                        ;  msbs: dst=0 src0=0 src1=1 src2=0
	v_mul_i32_i24_e32 v1, v40, v43 /*v299*/
	s_set_vgpr_msb 0x41                     ;  msbs: dst=1 src0=1 src1=0 src2=0
	v_mul_i32_i24_e32 v215 /*v471*/, v64 /*v320*/, v5
	s_set_vgpr_msb 0x45                     ;  msbs: dst=1 src0=1 src1=1 src2=0
	v_mul_i32_i24_e32 v216 /*v472*/, v67 /*v323*/, v171 /*v427*/
	v_mul_i32_i24_e32 v164 /*v420*/, v175 /*v431*/, v138 /*v394*/
	s_set_vgpr_msb 5                        ;  msbs: dst=0 src0=1 src1=1 src2=0
	v_mul_i32_i24_e32 v14, v174 /*v430*/, v74 /*v330*/
	s_set_vgpr_msb 4                        ;  msbs: dst=0 src0=0 src1=1 src2=0
	v_mad_i32_i24 v1, v52, v42 /*v298*/, v1
	s_set_vgpr_msb 5                        ;  msbs: dst=0 src0=1 src1=1 src2=0
	v_mul_i32_i24_e32 v15, v175 /*v431*/, v76 /*v332*/
	s_set_vgpr_msb 64                       ;  msbs: dst=1 src0=0 src1=0 src2=0
	v_bfe_i32 v204 /*v460*/, v3, 0, 8
	s_set_vgpr_msb 0                        ;  msbs: dst=0 src0=0 src1=0 src2=0
	v_bfe_i32 v4, v7, 16, 8
	v_bfe_i32 v0, v3, 8, 8
	v_add3_u32 v1, v1, v2, v9
	s_set_vgpr_msb 4                        ;  msbs: dst=0 src0=0 src1=1 src2=0
	v_mul_i32_i24_e32 v2, v55, v46 /*v302*/
	v_mul_i32_i24_e32 v9, v56, v47 /*v303*/
	s_set_vgpr_msb 0x45                     ;  msbs: dst=1 src0=1 src1=1 src2=0
	v_mul_i32_i24_e32 v167 /*v423*/, v204 /*v460*/, v135 /*v391*/
	s_set_vgpr_msb 0                        ;  msbs: dst=0 src0=0 src1=0 src2=0
	v_ashrrev_i32_e32 v7, 24, v7
	s_set_vgpr_msb 0x55                     ;  msbs: dst=1 src0=1 src1=1 src2=1
	v_add3_u32 v163 /*v419*/, v166 /*v422*/, v163 /*v419*/, v164 /*v420*/
	s_set_vgpr_msb 0                        ;  msbs: dst=0 src0=0 src1=0 src2=0
	v_add3_u32 v1, v1, v2, v9
	s_set_vgpr_msb 5                        ;  msbs: dst=0 src0=1 src1=1 src2=0
	v_mul_i32_i24_e32 v2, v178 /*v434*/, v69 /*v325*/
	v_mul_i32_i24_e32 v9, v179 /*v435*/, v75 /*v331*/
	s_set_vgpr_msb 0                        ;  msbs: dst=0 src0=0 src1=0 src2=0
	v_add3_u32 v1, v1, v10, v12
	s_set_vgpr_msb 5                        ;  msbs: dst=0 src0=1 src1=1 src2=0
	v_mul_i32_i24_e32 v10, v182 /*v438*/, v73 /*v329*/
	v_mul_i32_i24_e32 v12, v183 /*v439*/, v80 /*v336*/
	s_set_vgpr_msb 16                       ;  msbs: dst=0 src0=0 src1=0 src2=1
	v_add3_u32 v1, v1, v13, v160 /*v416*/
	s_set_vgpr_msb 5                        ;  msbs: dst=0 src0=1 src1=1 src2=0
	v_mul_i32_i24_e32 v13, v184 /*v440*/, v81 /*v337*/
	s_set_vgpr_msb 0x45                     ;  msbs: dst=1 src0=1 src1=1 src2=0
	v_mul_i32_i24_e32 v160 /*v416*/, v185 /*v441*/, v82 /*v338*/
	s_set_vgpr_msb 20                       ;  msbs: dst=0 src0=0 src1=1 src2=1
	v_add3_u32 v1, v1, v161 /*v417*/, v162 /*v418*/
	s_set_vgpr_msb 0x45                     ;  msbs: dst=1 src0=1 src1=1 src2=0
	v_mul_i32_i24_e32 v162 /*v418*/, v204 /*v460*/, v100 /*v356*/
	s_set_vgpr_msb 20                       ;  msbs: dst=0 src0=0 src1=1 src2=1
	s_delay_alu instid0(VALU_DEP_2)
	v_add3_u32 v1, v1, v165 /*v421*/, v205 /*v461*/
	s_set_vgpr_msb 0x45                     ;  msbs: dst=1 src0=1 src1=1 src2=0
	v_mul_i32_i24_e32 v165 /*v421*/, v186 /*v442*/, v79 /*v335*/
	v_mul_i32_i24_e32 v205 /*v461*/, v187 /*v443*/, v84 /*v340*/
	s_set_vgpr_msb 20                       ;  msbs: dst=0 src0=0 src1=1 src2=1
	v_add3_u32 v1, v1, v206 /*v462*/, v207 /*v463*/
	s_set_vgpr_msb 0x45                     ;  msbs: dst=1 src0=1 src1=1 src2=0
	v_mul_i32_i24_e32 v206 /*v462*/, v188 /*v444*/, v85 /*v341*/
	v_mul_i32_i24_e32 v207 /*v463*/, v189 /*v445*/, v86 /*v342*/
	s_set_vgpr_msb 20                       ;  msbs: dst=0 src0=0 src1=1 src2=1
	;; [unrolled: 5-line block ×6, first 2 shown]
	v_add3_u32 v1, v1, v216 /*v472*/, v217 /*v473*/
	s_set_vgpr_msb 0x45                     ;  msbs: dst=1 src0=1 src1=1 src2=0
	v_mul_i32_i24_e32 v216 /*v472*/, v95 /*v351*/, v198 /*v454*/
	v_mul_i32_i24_e32 v217 /*v473*/, v94 /*v350*/, v199 /*v455*/
	s_set_vgpr_msb 0x54                     ;  msbs: dst=1 src0=0 src1=1 src2=1
	v_add3_u32 v161 /*v417*/, v1, v218 /*v474*/, v219 /*v475*/
	s_set_vgpr_msb 5                        ;  msbs: dst=0 src0=1 src1=1 src2=0
	v_mul_i32_i24_e32 v1, v176 /*v432*/, v72 /*v328*/
	s_set_vgpr_msb 0x45                     ;  msbs: dst=1 src0=1 src1=1 src2=0
	v_mul_i32_i24_e32 v218 /*v474*/, v96 /*v352*/, v200 /*v456*/
	v_mul_i32_i24_e32 v219 /*v475*/, v97 /*v353*/, v201 /*v457*/
	s_set_vgpr_msb 1                        ;  msbs: dst=0 src0=1 src1=0 src2=0
	v_add3_u32 v14, v161 /*v417*/, v14, v15
	s_set_vgpr_msb 5                        ;  msbs: dst=0 src0=1 src1=1 src2=0
	v_mad_i32_i24 v1, v177 /*v433*/, v71 /*v327*/, v1
	s_set_vgpr_msb 64                       ;  msbs: dst=1 src0=0 src1=0 src2=0
	v_mul_i32_i24_e32 v161 /*v417*/, v0, v158
	s_set_vgpr_msb 0                        ;  msbs: dst=0 src0=0 src1=0 src2=0
	s_delay_alu instid0(VALU_DEP_2) | instskip(SKIP_4) | instid1(VALU_DEP_1)
	v_add3_u32 v1, v1, v2, v9
	s_set_vgpr_msb 5                        ;  msbs: dst=0 src0=1 src1=1 src2=0
	v_mul_i32_i24_e32 v2, v180 /*v436*/, v77 /*v333*/
	v_mul_i32_i24_e32 v9, v181 /*v437*/, v78 /*v334*/
	s_set_vgpr_msb 0                        ;  msbs: dst=0 src0=0 src1=0 src2=0
	v_add3_u32 v1, v1, v2, v9
	v_mul_i32_i24_e32 v2, v53, v231
	v_mul_i32_i24_e32 v9, v54, v232
	s_delay_alu instid0(VALU_DEP_3)
	v_add3_u32 v1, v1, v10, v12
	v_mul_i32_i24_e32 v12, v56, v234
	s_set_vgpr_msb 5                        ;  msbs: dst=0 src0=1 src1=1 src2=0
	v_mul_i32_i24_e32 v10, v175 /*v431*/, v7 /*v263*/
	s_set_vgpr_msb 16                       ;  msbs: dst=0 src0=0 src1=0 src2=1
	v_add3_u32 v1, v1, v13, v160 /*v416*/
	v_mul_i32_i24_e32 v13, v58, v235
	s_set_vgpr_msb 64                       ;  msbs: dst=1 src0=0 src1=0 src2=0
	v_mul_i32_i24_e32 v160 /*v416*/, v11, v236
	s_set_vgpr_msb 0                        ;  msbs: dst=0 src0=0 src1=0 src2=0
	v_mul_i32_i24_e32 v11, v11, v174
	s_set_vgpr_msb 20                       ;  msbs: dst=0 src0=0 src1=1 src2=1
	v_add3_u32 v1, v1, v165 /*v421*/, v205 /*v461*/
	s_set_vgpr_msb 64                       ;  msbs: dst=1 src0=0 src1=0 src2=0
	v_mul_i32_i24_e32 v205 /*v461*/, v60, v237
	s_set_vgpr_msb 20                       ;  msbs: dst=0 src0=0 src1=1 src2=1
	s_delay_alu instid0(VALU_DEP_2)
	v_add3_u32 v1, v1, v206 /*v462*/, v207 /*v463*/
	s_set_vgpr_msb 64                       ;  msbs: dst=1 src0=0 src1=0 src2=0
	v_mul_i32_i24_e32 v206 /*v462*/, v61, v238
	v_mul_i32_i24_e32 v207 /*v463*/, v62, v239
	s_set_vgpr_msb 20                       ;  msbs: dst=0 src0=0 src1=1 src2=1
	v_add3_u32 v1, v1, v208 /*v464*/, v209 /*v465*/
	s_set_vgpr_msb 64                       ;  msbs: dst=1 src0=0 src1=0 src2=0
	v_mul_i32_i24_e32 v208 /*v464*/, v64, v240
	v_mul_i32_i24_e32 v209 /*v465*/, v66, v241
	s_set_vgpr_msb 20                       ;  msbs: dst=0 src0=0 src1=1 src2=1
	;; [unrolled: 5-line block ×6, first 2 shown]
	v_add3_u32 v1, v1, v218 /*v474*/, v219 /*v475*/
	s_set_vgpr_msb 0x54                     ;  msbs: dst=1 src0=0 src1=1 src2=1
	v_mul_i32_i24_e32 v218 /*v474*/, v249, v169 /*v425*/
	v_mul_i32_i24_e32 v219 /*v475*/, v252, v170 /*v426*/
	s_delay_alu instid0(VALU_DEP_3)
	v_add3_u32 v165 /*v421*/, v1, v220 /*v476*/, v221 /*v477*/
	s_set_vgpr_msb 0                        ;  msbs: dst=0 src0=0 src1=0 src2=0
	v_mul_i32_i24_e32 v1, v40, v230
	s_set_vgpr_msb 64                       ;  msbs: dst=1 src0=0 src1=0 src2=0
	v_mul_i32_i24_e32 v220 /*v476*/, v251, v5
	s_set_vgpr_msb 0x44                     ;  msbs: dst=1 src0=0 src1=1 src2=0
	v_mul_i32_i24_e32 v221 /*v477*/, v254, v171 /*v427*/
	s_set_vgpr_msb 0                        ;  msbs: dst=0 src0=0 src1=0 src2=0
	v_mul_i32_i24_e32 v5, v189, v5
	s_set_vgpr_msb 0x55                     ;  msbs: dst=1 src0=1 src1=1 src2=1
	v_add3_u32 v161 /*v417*/, v165 /*v421*/, v162 /*v418*/, v161 /*v417*/
	s_set_vgpr_msb 0                        ;  msbs: dst=0 src0=0 src1=0 src2=0
	v_mad_i32_i24 v1, v52, v229, v1
	s_delay_alu instid0(VALU_DEP_1) | instskip(SKIP_4) | instid1(VALU_DEP_2)
	v_add3_u32 v1, v1, v2, v9
	v_mul_i32_i24_e32 v2, v55, v233
	s_set_vgpr_msb 5                        ;  msbs: dst=0 src0=1 src1=1 src2=0
	v_mul_i32_i24_e32 v9, v174 /*v430*/, v5 /*v261*/
	s_set_vgpr_msb 0                        ;  msbs: dst=0 src0=0 src1=0 src2=0
	v_add3_u32 v1, v1, v2, v12
	s_set_vgpr_msb 5                        ;  msbs: dst=0 src0=1 src1=1 src2=0
	v_mul_i32_i24_e32 v2, v178 /*v434*/, v0 /*v256*/
	s_set_vgpr_msb 16                       ;  msbs: dst=0 src0=0 src1=0 src2=1
	s_delay_alu instid0(VALU_DEP_2)
	v_add3_u32 v1, v1, v13, v160 /*v416*/
	s_set_vgpr_msb 5                        ;  msbs: dst=0 src0=1 src1=1 src2=0
	v_mul_i32_i24_e32 v13, v179 /*v435*/, v6 /*v262*/
	s_set_vgpr_msb 0x45                     ;  msbs: dst=1 src0=1 src1=1 src2=0
	v_mul_i32_i24_e32 v160 /*v416*/, v181 /*v437*/, v9 /*v265*/
	s_set_vgpr_msb 20                       ;  msbs: dst=0 src0=0 src1=1 src2=1
	v_add3_u32 v1, v1, v205 /*v461*/, v206 /*v462*/
	s_set_vgpr_msb 0x45                     ;  msbs: dst=1 src0=1 src1=1 src2=0
	v_mul_i32_i24_e32 v205 /*v461*/, v182 /*v438*/, v4 /*v260*/
	v_mul_i32_i24_e32 v206 /*v462*/, v183 /*v439*/, v11 /*v267*/
	s_set_vgpr_msb 20                       ;  msbs: dst=0 src0=0 src1=1 src2=1
	v_add3_u32 v1, v1, v207 /*v463*/, v208 /*v464*/
	s_set_vgpr_msb 0x45                     ;  msbs: dst=1 src0=1 src1=1 src2=0
	v_mul_i32_i24_e32 v207 /*v463*/, v184 /*v440*/, v12 /*v268*/
	;; [unrolled: 5-line block ×9, first 2 shown]
	v_mul_i32_i24_e32 v222 /*v478*/, v25 /*v281*/, v199 /*v455*/
	s_set_vgpr_msb 20                       ;  msbs: dst=0 src0=0 src1=1 src2=1
	v_add3_u32 v12, v1, v223 /*v479*/, v224 /*v480*/
	s_set_vgpr_msb 5                        ;  msbs: dst=0 src0=1 src1=1 src2=0
	v_mul_i32_i24_e32 v1, v176 /*v432*/, v3 /*v259*/
	s_set_vgpr_msb 0x45                     ;  msbs: dst=1 src0=1 src1=1 src2=0
	v_mul_i32_i24_e32 v223 /*v479*/, v27 /*v283*/, v200 /*v456*/
	v_mul_i32_i24_e32 v224 /*v480*/, v28 /*v284*/, v201 /*v457*/
	s_set_vgpr_msb 0                        ;  msbs: dst=0 src0=0 src1=0 src2=0
	v_add3_u32 v9, v12, v9, v10
	s_set_vgpr_msb 5                        ;  msbs: dst=0 src0=1 src1=1 src2=0
	v_mad_i32_i24 v1, v177 /*v433*/, v2 /*v258*/, v1
	s_set_vgpr_msb 0                        ;  msbs: dst=0 src0=0 src1=0 src2=0
	v_mul_i32_i24_e32 v10, v0, v115
	s_delay_alu instid0(VALU_DEP_2) | instskip(SKIP_4) | instid1(VALU_DEP_2)
	v_add3_u32 v1, v1, v2, v13
	s_set_vgpr_msb 5                        ;  msbs: dst=0 src0=1 src1=1 src2=0
	v_mul_i32_i24_e32 v2, v180 /*v436*/, v8 /*v264*/
	v_mul_i32_i24_e32 v13, v204 /*v460*/, v31 /*v287*/
	s_set_vgpr_msb 16                       ;  msbs: dst=0 src0=0 src1=0 src2=1
	v_add3_u32 v1, v1, v2, v160 /*v416*/
	v_mul_i32_i24_e32 v2, v53, v169
	v_mul_i32_i24_e32 v53, v56, v172
	;; [unrolled: 1-line block ×4, first 2 shown]
	s_set_vgpr_msb 20                       ;  msbs: dst=0 src0=0 src1=1 src2=1
	v_add3_u32 v1, v1, v205 /*v461*/, v206 /*v462*/
	s_set_vgpr_msb 0                        ;  msbs: dst=0 src0=0 src1=0 src2=0
	v_mul_i32_i24_e32 v66, v71, v182
	v_mul_i32_i24_e32 v71, v186, v86
	s_set_vgpr_msb 4                        ;  msbs: dst=0 src0=0 src1=1 src2=0
	v_mul_i32_i24_e32 v86, v187, v169 /*v425*/
	s_set_vgpr_msb 0x44                     ;  msbs: dst=1 src0=0 src1=1 src2=0
	v_mul_i32_i24_e32 v169 /*v425*/, v191, v172 /*v428*/
	s_set_vgpr_msb 20                       ;  msbs: dst=0 src0=0 src1=1 src2=1
	v_add3_u32 v1, v1, v207 /*v463*/, v208 /*v464*/
	s_set_vgpr_msb 0x44                     ;  msbs: dst=1 src0=0 src1=1 src2=0
	v_mul_i32_i24_e32 v172 /*v428*/, v223, v203 /*v459*/
	s_set_vgpr_msb 20                       ;  msbs: dst=0 src0=0 src1=1 src2=1
	s_delay_alu instid0(VALU_DEP_2) | instskip(NEXT) | instid1(VALU_DEP_1)
	v_add3_u32 v1, v1, v209 /*v465*/, v210 /*v466*/
	v_add3_u32 v1, v1, v211 /*v467*/, v212 /*v468*/
	s_delay_alu instid0(VALU_DEP_1) | instskip(NEXT) | instid1(VALU_DEP_1)
	v_add3_u32 v1, v1, v213 /*v469*/, v214 /*v470*/
	v_add3_u32 v1, v1, v215 /*v471*/, v216 /*v472*/
	s_delay_alu instid0(VALU_DEP_1) | instskip(NEXT) | instid1(VALU_DEP_1)
	;; [unrolled: 3-line block ×3, first 2 shown]
	v_add3_u32 v1, v1, v221 /*v477*/, v222 /*v478*/
	v_add3_u32 v1, v1, v223 /*v479*/, v224 /*v480*/
	s_set_vgpr_msb 0x54                     ;  msbs: dst=1 src0=0 src1=1 src2=1
	s_delay_alu instid0(VALU_DEP_1)
	v_add3_u32 v160 /*v416*/, v1, v225 /*v481*/, v226 /*v482*/
	s_set_vgpr_msb 0                        ;  msbs: dst=0 src0=0 src1=0 src2=0
	v_mul_i32_i24_e32 v1, v40, v168
	v_mul_i32_i24_e32 v40, v54, v170
	;; [unrolled: 1-line block ×5, first 2 shown]
	v_mad_i32_i24 v1, v52, v167, v1
	v_mul_i32_i24_e32 v52, v55, v171
	v_mul_i32_i24_e32 v55, v60, v175
	v_mul_i32_i24_e32 v60, v64, v178
	v_mul_i32_i24_e32 v64, v69, v181
	v_add3_u32 v40, v1, v2, v40
	v_mul_i32_i24_e32 v67, v82, v183
	v_mul_i32_i24_e32 v69, v84, v184
	;; [unrolled: 1-line block ×4, first 2 shown]
	v_add3_u32 v40, v40, v52, v53
	s_set_vgpr_msb 4                        ;  msbs: dst=0 src0=0 src1=1 src2=0
	v_mul_i32_i24_e32 v92, v190, v170 /*v426*/
	v_mul_i32_i24_e32 v133, v192, v171 /*v427*/
	s_set_vgpr_msb 0x44                     ;  msbs: dst=1 src0=0 src1=1 src2=0
	v_mul_i32_i24_e32 v170 /*v426*/, v195, v173 /*v429*/
	s_set_vgpr_msb 1                        ;  msbs: dst=0 src0=1 src1=0 src2=0
	v_mul_i32_i24_e32 v52, v181 /*v437*/, v203
	s_set_vgpr_msb 0                        ;  msbs: dst=0 src0=0 src1=0 src2=0
	v_add3_u32 v11, v40, v54, v11
	s_set_vgpr_msb 1                        ;  msbs: dst=0 src0=1 src1=0 src2=0
	v_mul_i32_i24_e32 v40, v179 /*v435*/, v200
	v_mul_i32_i24_e32 v53, v182 /*v438*/, v198
	v_mul_i32_i24_e32 v54, v183 /*v439*/, v205
	s_set_vgpr_msb 0x44                     ;  msbs: dst=1 src0=0 src1=1 src2=0
	v_mul_i32_i24_e32 v171 /*v427*/, v224, v202 /*v458*/
	s_set_vgpr_msb 0                        ;  msbs: dst=0 src0=0 src1=0 src2=0
	v_add3_u32 v11, v11, v55, v56
	s_set_vgpr_msb 1                        ;  msbs: dst=0 src0=1 src1=0 src2=0
	v_mul_i32_i24_e32 v55, v184 /*v440*/, v206
	v_mul_i32_i24_e32 v56, v185 /*v441*/, v207
	;; [unrolled: 1-line block ×4, first 2 shown]
	s_set_vgpr_msb 0                        ;  msbs: dst=0 src0=0 src1=0 src2=0
	v_add3_u32 v11, v11, v58, v60
	s_set_vgpr_msb 1                        ;  msbs: dst=0 src0=1 src1=0 src2=0
	v_mul_i32_i24_e32 v58, v186 /*v442*/, v204
	v_mul_i32_i24_e32 v60, v187 /*v443*/, v209
	v_add3_u32 v10, v160 /*v416*/, v13, v10
	s_set_vgpr_msb 0                        ;  msbs: dst=0 src0=0 src1=0 src2=0
	v_add3_u32 v11, v11, v61, v62
	s_set_vgpr_msb 1                        ;  msbs: dst=0 src0=1 src1=0 src2=0
	v_mul_i32_i24_e32 v61, v188 /*v444*/, v210
	v_mul_i32_i24_e32 v62, v189 /*v445*/, v211
	s_set_vgpr_msb 0                        ;  msbs: dst=0 src0=0 src1=0 src2=0
	v_add3_u32 v11, v11, v64, v66
	s_set_vgpr_msb 1                        ;  msbs: dst=0 src0=1 src1=0 src2=0
	v_mul_i32_i24_e32 v64, v190 /*v446*/, v208
	v_mul_i32_i24_e32 v66, v191 /*v447*/, v212
	s_set_vgpr_msb 0                        ;  msbs: dst=0 src0=0 src1=0 src2=0
	v_add3_u32 v11, v11, v67, v69
	s_set_vgpr_msb 4                        ;  msbs: dst=0 src0=0 src1=1 src2=0
	v_mul_i32_i24_e32 v67, v213, v192 /*v448*/
	v_mul_i32_i24_e32 v69, v214, v193 /*v449*/
	s_set_vgpr_msb 0                        ;  msbs: dst=0 src0=0 src1=0 src2=0
	v_add3_u32 v11, v11, v71, v82
	s_set_vgpr_msb 4                        ;  msbs: dst=0 src0=0 src1=1 src2=0
	v_mul_i32_i24_e32 v71, v216, v194 /*v450*/
	v_mul_i32_i24_e32 v82, v215, v195 /*v451*/
	;; [unrolled: 5-line block ×3, first 2 shown]
	s_set_vgpr_msb 0                        ;  msbs: dst=0 src0=0 src1=0 src2=0
	v_add3_u32 v5, v11, v92, v5
	s_set_vgpr_msb 1                        ;  msbs: dst=0 src0=1 src1=0 src2=0
	v_mul_i32_i24_e32 v11, v178 /*v434*/, v194
	s_set_vgpr_msb 4                        ;  msbs: dst=0 src0=0 src1=1 src2=0
	v_mul_i32_i24_e32 v92, v220, v198 /*v454*/
	s_set_vgpr_msb 16                       ;  msbs: dst=0 src0=0 src1=0 src2=1
	v_add3_u32 v5, v5, v133, v169 /*v425*/
	s_set_vgpr_msb 4                        ;  msbs: dst=0 src0=0 src1=1 src2=0
	v_mul_i32_i24_e32 v133, v219, v199 /*v455*/
	s_set_vgpr_msb 0x44                     ;  msbs: dst=1 src0=0 src1=1 src2=0
	v_mul_i32_i24_e32 v169 /*v425*/, v221, v200 /*v456*/
	s_set_vgpr_msb 4                        ;  msbs: dst=0 src0=0 src1=1 src2=0
	v_add3_u32 v5, v5, v170 /*v426*/, v6
	s_set_vgpr_msb 1                        ;  msbs: dst=0 src0=1 src1=0 src2=0
	v_mul_i32_i24_e32 v6, v176 /*v432*/, v197
	s_set_vgpr_msb 0x44                     ;  msbs: dst=1 src0=0 src1=1 src2=0
	v_mul_i32_i24_e32 v170 /*v426*/, v222, v201 /*v457*/
	s_set_vgpr_msb 0                        ;  msbs: dst=0 src0=0 src1=0 src2=0
	v_add3_u32 v1, v5, v1, v2
	s_set_vgpr_msb 1                        ;  msbs: dst=0 src0=1 src1=0 src2=0
	v_mad_i32_i24 v6, v177 /*v433*/, v196, v6
	s_set_vgpr_msb 0                        ;  msbs: dst=0 src0=0 src1=0 src2=0
	s_delay_alu instid0(VALU_DEP_1) | instskip(SKIP_4) | instid1(VALU_DEP_2)
	v_add3_u32 v11, v6, v11, v40
	s_set_vgpr_msb 1                        ;  msbs: dst=0 src0=1 src1=0 src2=0
	v_mul_i32_i24_e32 v40, v180 /*v436*/, v202
	v_mul_i32_i24_e32 v6, v204 /*v460*/, v225
	s_set_vgpr_msb 0                        ;  msbs: dst=0 src0=0 src1=0 src2=0
	v_add3_u32 v11, v11, v40, v52
	v_or_b32_e32 v40, s12, v140
	s_delay_alu instid0(VALU_DEP_2) | instskip(NEXT) | instid1(VALU_DEP_2)
	v_add3_u32 v11, v11, v53, v54
	v_dual_lshlrev_b32 v52, 2, v40 :: v_dual_lshrrev_b32 v40, 1, v40
	s_delay_alu instid0(VALU_DEP_2) | instskip(NEXT) | instid1(VALU_DEP_1)
	v_add3_u32 v11, v11, v55, v56
	v_add3_u32 v11, v11, v58, v60
	s_delay_alu instid0(VALU_DEP_1) | instskip(NEXT) | instid1(VALU_DEP_1)
	v_add3_u32 v11, v11, v61, v62
	v_add3_u32 v11, v11, v64, v66
	s_delay_alu instid0(VALU_DEP_1) | instskip(NEXT) | instid1(VALU_DEP_1)
	;; [unrolled: 3-line block ×3, first 2 shown]
	v_add3_u32 v11, v11, v84, v86
	v_add3_u32 v11, v11, v92, v133
	s_set_vgpr_msb 20                       ;  msbs: dst=0 src0=0 src1=1 src2=1
	s_delay_alu instid0(VALU_DEP_1) | instskip(NEXT) | instid1(VALU_DEP_1)
	v_add3_u32 v11, v11, v169 /*v425*/, v170 /*v426*/
	v_add3_u32 v11, v11, v171 /*v427*/, v172 /*v428*/
	s_set_vgpr_msb 64                       ;  msbs: dst=1 src0=0 src1=0 src2=0
	ds_load_b128 v[170:173] /*v[426:429]*/, v52 offset:16896
	ds_load_b128 v[174:177] /*v[430:433]*/, v52 offset:16912
	ds_load_b128 v[178:181] /*v[434:437]*/, v52 offset:16928
	ds_load_b128 v[182:185] /*v[438:441]*/, v52 offset:16944
	s_wait_dscnt 0x3
	s_set_vgpr_msb 1                        ;  msbs: dst=0 src0=1 src1=0 src2=0
	v_bfe_i32 v52, v170 /*v426*/, 0, 8
	v_bfe_i32 v53, v170 /*v426*/, 8, 8
	v_bfe_i32 v54, v170 /*v426*/, 16, 8
	s_set_vgpr_msb 4                        ;  msbs: dst=0 src0=0 src1=1 src2=0
	v_dual_ashrrev_i32 v55, 24, v170 /*v426*/ :: v_dual_ashrrev_i32 v84, 24, v173 /*v429*/
	s_set_vgpr_msb 0x44                     ;  msbs: dst=1 src0=0 src1=1 src2=0
	v_mul_i32_i24_e32 v169 /*v425*/, v52, v102 /*v358*/
	s_set_vgpr_msb 1                        ;  msbs: dst=0 src0=1 src1=0 src2=0
	v_bfe_i32 v56, v171 /*v427*/, 0, 8
	v_bfe_i32 v58, v171 /*v427*/, 8, 8
	;; [unrolled: 1-line block ×3, first 2 shown]
	s_set_vgpr_msb 4                        ;  msbs: dst=0 src0=0 src1=1 src2=0
	v_ashrrev_i32_e32 v61, 24, v171 /*v427*/
	s_set_vgpr_msb 0x54                     ;  msbs: dst=1 src0=0 src1=1 src2=1
	v_mul_i32_i24_e32 v170 /*v426*/, v54, v103 /*v359*/
	v_mul_i32_i24_e32 v171 /*v427*/, v55, v104 /*v360*/
	v_mad_i32_i24 v169 /*v425*/, v53, v101 /*v357*/, v169 /*v425*/
	s_wait_dscnt 0x1
	s_set_vgpr_msb 0x41                     ;  msbs: dst=1 src0=1 src1=0 src2=0
	v_bfe_i32 v198 /*v454*/, v178 /*v434*/, 0, 8
	s_set_vgpr_msb 1                        ;  msbs: dst=0 src0=1 src1=0 src2=0
	v_bfe_i32 v62, v172 /*v428*/, 0, 8
	v_bfe_i32 v64, v172 /*v428*/, 8, 8
	;; [unrolled: 1-line block ×3, first 2 shown]
	s_set_vgpr_msb 0x55                     ;  msbs: dst=1 src0=1 src1=1 src2=1
	v_add3_u32 v169 /*v425*/, v169 /*v425*/, v170 /*v426*/, v171 /*v427*/
	s_set_vgpr_msb 0x44                     ;  msbs: dst=1 src0=0 src1=1 src2=0
	v_mul_i32_i24_e32 v170 /*v426*/, v56, v105 /*v361*/
	v_mul_i32_i24_e32 v171 /*v427*/, v58, v106 /*v362*/
	s_set_vgpr_msb 4                        ;  msbs: dst=0 src0=0 src1=1 src2=0
	v_ashrrev_i32_e32 v67, 24, v172 /*v428*/
	s_set_vgpr_msb 1                        ;  msbs: dst=0 src0=1 src1=0 src2=0
	v_bfe_i32 v69, v173 /*v429*/, 0, 8
	v_bfe_i32 v71, v173 /*v429*/, 8, 8
	;; [unrolled: 1-line block ×3, first 2 shown]
	s_set_vgpr_msb 0x44                     ;  msbs: dst=1 src0=0 src1=1 src2=0
	v_dual_ashrrev_i32 v194 /*v450*/, 24, v176 /*v432*/ :: v_dual_ashrrev_i32 v201 /*v457*/, 24, v178 /*v434*/
	s_set_vgpr_msb 0x41                     ;  msbs: dst=1 src0=1 src1=0 src2=0
	v_bfe_i32 v199 /*v455*/, v178 /*v434*/, 8, 8
	v_bfe_i32 v200 /*v456*/, v178 /*v434*/, 16, 8
	s_set_vgpr_msb 0x44                     ;  msbs: dst=1 src0=0 src1=1 src2=0
	v_mul_i32_i24_e32 v172 /*v428*/, v60, v107 /*v363*/
	v_mul_i32_i24_e32 v173 /*v429*/, v61, v108 /*v364*/
	s_set_vgpr_msb 0x55                     ;  msbs: dst=1 src0=1 src1=1 src2=1
	v_add3_u32 v169 /*v425*/, v169 /*v425*/, v170 /*v426*/, v171 /*v427*/
	v_mul_i32_i24_e32 v170 /*v426*/, v141 /*v397*/, v198 /*v454*/
	v_bfe_i32 v202 /*v458*/, v179 /*v435*/, 0, 8
	v_bfe_i32 v203 /*v459*/, v179 /*v435*/, 8, 8
	v_mul_i32_i24_e32 v171 /*v427*/, v140 /*v396*/, v200 /*v456*/
	v_add3_u32 v169 /*v425*/, v169 /*v425*/, v172 /*v428*/, v173 /*v429*/
	v_mul_i32_i24_e32 v172 /*v428*/, v134 /*v390*/, v201 /*v457*/
	v_mad_i32_i24 v170 /*v426*/, v139 /*v395*/, v199 /*v455*/, v170 /*v426*/
	s_set_vgpr_msb 1                        ;  msbs: dst=0 src0=1 src1=0 src2=0
	v_bfe_i32 v86, v174 /*v430*/, 0, 8
	v_bfe_i32 v92, v174 /*v430*/, 8, 8
	;; [unrolled: 1-line block ×3, first 2 shown]
	s_set_vgpr_msb 0x44                     ;  msbs: dst=1 src0=0 src1=1 src2=0
	v_dual_ashrrev_i32 v186 /*v442*/, 24, v174 /*v430*/ :: v_dual_ashrrev_i32 v190 /*v446*/, 24, v175 /*v431*/
	s_set_vgpr_msb 0x41                     ;  msbs: dst=1 src0=1 src1=0 src2=0
	v_bfe_i32 v187 /*v443*/, v175 /*v431*/, 0, 8
	v_bfe_i32 v188 /*v444*/, v175 /*v431*/, 8, 8
	;; [unrolled: 1-line block ×4, first 2 shown]
	s_set_vgpr_msb 0x44                     ;  msbs: dst=1 src0=0 src1=1 src2=0
	v_dual_ashrrev_i32 v205 /*v461*/, 24, v179 /*v435*/ :: v_dual_ashrrev_i32 v209 /*v465*/, 24, v180 /*v436*/
	v_mul_i32_i24_e32 v174 /*v430*/, v62, v109 /*v365*/
	v_mul_i32_i24_e32 v175 /*v431*/, v64, v110 /*v366*/
	s_set_vgpr_msb 0x55                     ;  msbs: dst=1 src0=1 src1=1 src2=1
	v_add3_u32 v170 /*v426*/, v170 /*v426*/, v171 /*v427*/, v172 /*v428*/
	v_mul_i32_i24_e32 v171 /*v427*/, v144 /*v400*/, v202 /*v458*/
	v_mul_i32_i24_e32 v172 /*v428*/, v143 /*v399*/, v203 /*v459*/
	v_bfe_i32 v191 /*v447*/, v176 /*v432*/, 0, 8
	v_bfe_i32 v192 /*v448*/, v176 /*v432*/, 8, 8
	;; [unrolled: 1-line block ×5, first 2 shown]
	s_set_vgpr_msb 0x44                     ;  msbs: dst=1 src0=0 src1=1 src2=0
	v_mul_i32_i24_e32 v176 /*v432*/, v66, v111 /*v367*/
	v_mul_i32_i24_e32 v178 /*v434*/, v67, v112 /*v368*/
	s_set_vgpr_msb 0x55                     ;  msbs: dst=1 src0=1 src1=1 src2=1
	v_add3_u32 v169 /*v425*/, v169 /*v425*/, v174 /*v430*/, v175 /*v431*/
	v_mul_i32_i24_e32 v173 /*v429*/, v142 /*v398*/, v204 /*v460*/
	v_mul_i32_i24_e32 v174 /*v430*/, v126 /*v382*/, v205 /*v461*/
	v_add3_u32 v170 /*v426*/, v170 /*v426*/, v171 /*v427*/, v172 /*v428*/
	v_bfe_i32 v208 /*v464*/, v180 /*v436*/, 16, 8
	s_set_vgpr_msb 0x44                     ;  msbs: dst=1 src0=0 src1=1 src2=0
	v_mul_i32_i24_e32 v179 /*v435*/, v69, v113 /*v369*/
	v_mul_i32_i24_e32 v180 /*v436*/, v71, v114 /*v370*/
	s_set_vgpr_msb 0x55                     ;  msbs: dst=1 src0=1 src1=1 src2=1
	v_add3_u32 v169 /*v425*/, v169 /*v425*/, v176 /*v432*/, v178 /*v434*/
	v_mul_i32_i24_e32 v175 /*v431*/, v147 /*v403*/, v206 /*v462*/
	v_mul_i32_i24_e32 v176 /*v432*/, v146 /*v402*/, v207 /*v463*/
	v_add3_u32 v170 /*v426*/, v170 /*v426*/, v173 /*v429*/, v174 /*v430*/
	v_bfe_i32 v210 /*v466*/, v181 /*v437*/, 0, 8
	v_bfe_i32 v211 /*v467*/, v181 /*v437*/, 8, 8
	;; [unrolled: 1-line block ×3, first 2 shown]
	v_ashrrev_i32_e32 v213 /*v469*/, 24, v181 /*v437*/
	s_set_vgpr_msb 0x44                     ;  msbs: dst=1 src0=0 src1=1 src2=0
	v_mul_i32_i24_e32 v181 /*v437*/, v82, v115 /*v371*/
	v_mul_i32_i24_e32 v225 /*v481*/, v84, v116 /*v372*/
	s_set_vgpr_msb 0x55                     ;  msbs: dst=1 src0=1 src1=1 src2=1
	v_add3_u32 v169 /*v425*/, v169 /*v425*/, v179 /*v435*/, v180 /*v436*/
	v_mul_i32_i24_e32 v178 /*v434*/, v145 /*v401*/, v208 /*v464*/
	v_mul_i32_i24_e32 v179 /*v435*/, v127 /*v383*/, v209 /*v465*/
	v_add3_u32 v170 /*v426*/, v170 /*v426*/, v175 /*v431*/, v176 /*v432*/
	s_set_vgpr_msb 0x44                     ;  msbs: dst=1 src0=0 src1=1 src2=0
	v_mul_i32_i24_e32 v226 /*v482*/, v86, v117 /*v373*/
	v_mul_i32_i24_e32 v227 /*v483*/, v92, v118 /*v374*/
	s_set_vgpr_msb 0x55                     ;  msbs: dst=1 src0=1 src1=1 src2=1
	v_add3_u32 v169 /*v425*/, v169 /*v425*/, v181 /*v437*/, v225 /*v481*/
	v_mul_i32_i24_e32 v180 /*v436*/, v150 /*v406*/, v210 /*v466*/
	v_mul_i32_i24_e32 v181 /*v437*/, v149 /*v405*/, v211 /*v467*/
	v_add3_u32 v170 /*v426*/, v170 /*v426*/, v178 /*v434*/, v179 /*v435*/
	s_wait_dscnt 0x0
	v_bfe_i32 v214 /*v470*/, v182 /*v438*/, 0, 8
	v_bfe_i32 v215 /*v471*/, v182 /*v438*/, 8, 8
	v_bfe_i32 v216 /*v472*/, v182 /*v438*/, 16, 8
	v_ashrrev_i32_e32 v182 /*v438*/, 24, v182 /*v438*/
	s_set_vgpr_msb 0x41                     ;  msbs: dst=1 src0=1 src1=0 src2=0
	v_mul_i32_i24_e32 v228 /*v484*/, v120 /*v376*/, v133
	s_set_vgpr_msb 0x55                     ;  msbs: dst=1 src0=1 src1=1 src2=1
	v_mul_i32_i24_e32 v229 /*v485*/, v119 /*v375*/, v186 /*v442*/
	v_add3_u32 v169 /*v425*/, v169 /*v425*/, v226 /*v482*/, v227 /*v483*/
	v_mul_i32_i24_e32 v225 /*v481*/, v148 /*v404*/, v212 /*v468*/
	v_mul_i32_i24_e32 v226 /*v482*/, v128 /*v384*/, v213 /*v469*/
	v_add3_u32 v170 /*v426*/, v170 /*v426*/, v180 /*v436*/, v181 /*v437*/
	v_mul_i32_i24_e32 v230 /*v486*/, v122 /*v378*/, v187 /*v443*/
	;; [unrolled: 3-line block ×3, first 2 shown]
	v_mul_i32_i24_e32 v228 /*v484*/, v152 /*v408*/, v215 /*v471*/
	v_add3_u32 v170 /*v426*/, v170 /*v426*/, v225 /*v481*/, v226 /*v482*/
	v_bfe_i32 v217 /*v473*/, v183 /*v439*/, 0, 8
	v_bfe_i32 v218 /*v474*/, v183 /*v439*/, 8, 8
	v_mul_i32_i24_e32 v232 /*v488*/, v124 /*v380*/, v189 /*v445*/
	v_mul_i32_i24_e32 v233 /*v489*/, v123 /*v379*/, v190 /*v446*/
	v_add3_u32 v169 /*v425*/, v169 /*v425*/, v230 /*v486*/, v231 /*v487*/
	v_mul_i32_i24_e32 v229 /*v485*/, v151 /*v407*/, v216 /*v472*/
	v_mul_i32_i24_e32 v230 /*v486*/, v129 /*v385*/, v182 /*v438*/
	v_add3_u32 v170 /*v426*/, v170 /*v426*/, v227 /*v483*/, v228 /*v484*/
	v_bfe_i32 v219 /*v475*/, v183 /*v439*/, 16, 8
	v_ashrrev_i32_e32 v183 /*v439*/, 24, v183 /*v439*/
	v_mul_i32_i24_e32 v234 /*v490*/, v132 /*v388*/, v191 /*v447*/
	v_mul_i32_i24_e32 v235 /*v491*/, v125 /*v381*/, v192 /*v448*/
	v_add3_u32 v169 /*v425*/, v169 /*v425*/, v232 /*v488*/, v233 /*v489*/
	v_mul_i32_i24_e32 v231 /*v487*/, v156 /*v412*/, v217 /*v473*/
	v_mul_i32_i24_e32 v232 /*v488*/, v155 /*v411*/, v218 /*v474*/
	v_add3_u32 v170 /*v426*/, v170 /*v426*/, v229 /*v485*/, v230 /*v486*/
	v_bfe_i32 v220 /*v476*/, v184 /*v440*/, 0, 8
	v_bfe_i32 v221 /*v477*/, v184 /*v440*/, 8, 8
	;; [unrolled: 1-line block ×3, first 2 shown]
	v_ashrrev_i32_e32 v184 /*v440*/, 24, v184 /*v440*/
	v_mul_i32_i24_e32 v236 /*v492*/, v136 /*v392*/, v193 /*v449*/
	v_mul_i32_i24_e32 v237 /*v493*/, v133 /*v389*/, v194 /*v450*/
	v_add3_u32 v169 /*v425*/, v169 /*v425*/, v234 /*v490*/, v235 /*v491*/
	v_mul_i32_i24_e32 v233 /*v489*/, v154 /*v410*/, v219 /*v475*/
	v_mul_i32_i24_e32 v234 /*v490*/, v130 /*v386*/, v183 /*v439*/
	v_add3_u32 v170 /*v426*/, v170 /*v426*/, v231 /*v487*/, v232 /*v488*/
	v_mul_i32_i24_e32 v235 /*v491*/, v159 /*v415*/, v220 /*v476*/
	v_add3_u32 v169 /*v425*/, v169 /*v425*/, v236 /*v492*/, v237 /*v493*/
	v_mul_i32_i24_e32 v236 /*v492*/, v158 /*v414*/, v221 /*v477*/
	v_mul_i32_i24_e32 v237 /*v493*/, v157 /*v413*/, v222 /*v478*/
	v_add3_u32 v170 /*v426*/, v170 /*v426*/, v233 /*v489*/, v234 /*v490*/
	v_mul_i32_i24_e32 v240 /*v496*/, v131 /*v387*/, v184 /*v440*/
	s_set_vgpr_msb 64                       ;  msbs: dst=1 src0=0 src1=0 src2=0
	ds_load_b64 v[172:173] /*v[428:429]*/, v40 offset:27200
	s_set_vgpr_msb 0x55                     ;  msbs: dst=1 src0=1 src1=1 src2=1
	v_bfe_i32 v195 /*v451*/, v177 /*v433*/, 0, 8
	v_bfe_i32 v196 /*v452*/, v177 /*v433*/, 8, 8
	v_add3_u32 v170 /*v426*/, v170 /*v426*/, v235 /*v491*/, v236 /*v492*/
	v_bfe_i32 v197 /*v453*/, v177 /*v433*/, 16, 8
	v_ashrrev_i32_e32 v226 /*v482*/, 24, v177 /*v433*/
	v_mul_i32_i24_e32 v238 /*v494*/, v195 /*v451*/, v137 /*v393*/
	v_mul_i32_i24_e32 v239 /*v495*/, v196 /*v452*/, v138 /*v394*/
	v_add3_u32 v225 /*v481*/, v170 /*v426*/, v237 /*v493*/, v240 /*v496*/
	s_set_vgpr_msb 64                       ;  msbs: dst=1 src0=0 src1=0 src2=0
	ds_load_b64 v[170:171] /*v[426:427]*/, v8 offset:27200
	v_bfe_i32 v227 /*v483*/, v3, 16, 8
	v_ashrrev_i32_e32 v228 /*v484*/, 24, v3
	s_set_vgpr_msb 0x55                     ;  msbs: dst=1 src0=1 src1=1 src2=1
	v_add3_u32 v164 /*v420*/, v169 /*v425*/, v238 /*v494*/, v239 /*v495*/
	v_bfe_i32 v223 /*v479*/, v185 /*v441*/, 0, 8
	v_bfe_i32 v224 /*v480*/, v185 /*v441*/, 8, 8
	s_set_vgpr_msb 0x44                     ;  msbs: dst=1 src0=0 src1=1 src2=0
	v_mul_i32_i24_e32 v229 /*v485*/, v86, v58 /*v314*/
	s_set_vgpr_msb 0x45                     ;  msbs: dst=1 src0=1 src1=1 src2=0
	v_mul_i32_i24_e32 v166 /*v422*/, v36 /*v292*/, v228 /*v484*/
	s_set_vgpr_msb 0x44                     ;  msbs: dst=1 src0=0 src1=1 src2=0
	v_mul_i32_i24_e32 v230 /*v486*/, v92, v59 /*v315*/
	s_set_vgpr_msb 0x45                     ;  msbs: dst=1 src0=1 src1=1 src2=0
	v_mul_i32_i24_e32 v241 /*v497*/, v223 /*v479*/, v135 /*v391*/
	s_set_vgpr_msb 0x41                     ;  msbs: dst=1 src0=1 src1=0 src2=0
	v_mul_i32_i24_e32 v231 /*v487*/, v61 /*v317*/, v133
	s_wait_dscnt 0x1
	s_set_vgpr_msb 4                        ;  msbs: dst=0 src0=0 src1=1 src2=0
	v_lshrrev_b32_e32 v40, 16, v172 /*v428*/
	s_set_vgpr_msb 0x41                     ;  msbs: dst=1 src0=1 src1=0 src2=0
	v_cvt_f32_f16_e64 v175 /*v431*/, v172 /*v428*/
	v_cvt_f32_f16_e64 v179 /*v435*/, v173 /*v429*/
	v_mul_i32_i24_e32 v172 /*v428*/, v33 /*v289*/, v7
	s_set_vgpr_msb 0x45                     ;  msbs: dst=1 src0=1 src1=1 src2=0
	v_mul_i32_i24_e32 v232 /*v488*/, v60 /*v316*/, v186 /*v442*/
	s_set_vgpr_msb 64                       ;  msbs: dst=1 src0=0 src1=0 src2=0
	v_cvt_f32_f16_e64 v177 /*v433*/, v40
	s_set_vgpr_msb 1                        ;  msbs: dst=0 src0=1 src1=0 src2=0
	v_bfe_i32 v40, v185 /*v441*/, 16, 8
	s_set_vgpr_msb 0x45                     ;  msbs: dst=1 src0=1 src1=1 src2=0
	v_ashrrev_i32_e32 v185 /*v441*/, 24, v185 /*v441*/
	v_mul_i32_i24_e32 v233 /*v489*/, v63 /*v319*/, v187 /*v443*/
	s_wait_dscnt 0x0
	s_set_vgpr_msb 4                        ;  msbs: dst=0 src0=0 src1=1 src2=0
	v_dual_lshrrev_b32 v8, 16, v170 /*v426*/ :: v_dual_lshrrev_b32 v3, 16, v171 /*v427*/
	s_set_vgpr_msb 0x45                     ;  msbs: dst=1 src0=1 src1=1 src2=0
	v_cvt_f32_f16_e64 v174 /*v430*/, v170 /*v426*/
	v_cvt_f32_f16_e64 v178 /*v434*/, v171 /*v427*/
	v_mul_i32_i24_e32 v169 /*v425*/, v36 /*v292*/, v185 /*v441*/
	s_set_vgpr_msb 64                       ;  msbs: dst=1 src0=0 src1=0 src2=0
	v_cvt_f32_f16_e64 v176 /*v432*/, v8
	s_set_vgpr_msb 4                        ;  msbs: dst=0 src0=0 src1=1 src2=0
	v_lshrrev_b32_e32 v8, 16, v173 /*v429*/
	s_set_vgpr_msb 64                       ;  msbs: dst=1 src0=0 src1=0 src2=0
	v_cvt_f32_f16_e64 v170 /*v426*/, v3
	s_set_vgpr_msb 4                        ;  msbs: dst=0 src0=0 src1=1 src2=0
	v_mul_i32_i24_e32 v3, v4, v34 /*v290*/
	s_set_vgpr_msb 0x45                     ;  msbs: dst=1 src0=1 src1=1 src2=0
	v_mul_i32_i24_e32 v173 /*v429*/, v33 /*v289*/, v226 /*v482*/
	s_set_vgpr_msb 0x44                     ;  msbs: dst=1 src0=0 src1=1 src2=0
	v_pk_fma_f32 v[180:181] /*v[436:437]*/, v[120:121], v[176:177] /*v[432:433]*/, 0 op_sel_hi:[0,1,0]
	v_cvt_f32_f16_e64 v171 /*v427*/, v8
	s_set_vgpr_msb 5                        ;  msbs: dst=0 src0=1 src1=1 src2=0
	v_mul_i32_i24_e32 v8, v197 /*v453*/, v34 /*v290*/
	s_set_vgpr_msb 17                       ;  msbs: dst=0 src0=1 src1=0 src2=1
	v_add3_u32 v3, v163 /*v419*/, v3, v172 /*v428*/
	s_set_vgpr_msb 0x45                     ;  msbs: dst=1 src0=1 src1=1 src2=0
	v_mul_i32_i24_e32 v163 /*v419*/, v37 /*v293*/, v227 /*v483*/
	v_mul_i32_i24_e32 v234 /*v490*/, v62 /*v318*/, v188 /*v444*/
	;; [unrolled: 1-line block ×3, first 2 shown]
	s_set_vgpr_msb 17                       ;  msbs: dst=0 src0=1 src1=0 src2=1
	v_add3_u32 v8, v164 /*v420*/, v8, v173 /*v429*/
	s_set_vgpr_msb 4                        ;  msbs: dst=0 src0=0 src1=1 src2=0
	v_mul_lo_u32 v3, v3, v32 /*v288*/
	s_set_vgpr_msb 0x41                     ;  msbs: dst=1 src0=1 src1=0 src2=0
	v_mul_i32_i24_e32 v164 /*v420*/, v37 /*v293*/, v40
	s_set_vgpr_msb 0x45                     ;  msbs: dst=1 src0=1 src1=1 src2=0
	v_mul_i32_i24_e32 v236 /*v492*/, v64 /*v320*/, v190 /*v446*/
	v_mul_i32_i24_e32 v237 /*v493*/, v67 /*v323*/, v191 /*v447*/
	s_set_vgpr_msb 4                        ;  msbs: dst=0 src0=0 src1=1 src2=0
	v_mul_lo_u32 v8, v8, v32 /*v288*/
	s_set_vgpr_msb 0x45                     ;  msbs: dst=1 src0=1 src1=1 src2=0
	v_mul_i32_i24_e32 v238 /*v494*/, v66 /*v322*/, v192 /*v448*/
	v_mul_i32_i24_e32 v239 /*v495*/, v70 /*v326*/, v193 /*v449*/
	;; [unrolled: 1-line block ×6, first 2 shown]
	s_set_vgpr_msb 64                       ;  msbs: dst=1 src0=0 src1=0 src2=0
	v_cvt_f32_i32_e32 v172 /*v428*/, v3
	s_set_vgpr_msb 5                        ;  msbs: dst=0 src0=1 src1=1 src2=0
	v_mul_i32_i24_e32 v3, v224 /*v480*/, v38 /*v294*/
	s_set_vgpr_msb 64                       ;  msbs: dst=1 src0=0 src1=0 src2=0
	v_mul_i32_i24_e32 v165 /*v421*/, v67, v240
	s_set_vgpr_msb 4                        ;  msbs: dst=0 src0=0 src1=1 src2=0
	v_mul_i32_i24_e32 v12, v113, v227 /*v483*/
	s_set_vgpr_msb 64                       ;  msbs: dst=1 src0=0 src1=0 src2=0
	v_cvt_f32_i32_e32 v173 /*v429*/, v8
	s_set_vgpr_msb 4                        ;  msbs: dst=0 src0=0 src1=1 src2=0
	v_mul_i32_i24_e32 v8, v0, v38 /*v294*/
	s_set_vgpr_msb 5                        ;  msbs: dst=0 src0=1 src1=1 src2=0
	v_add3_u32 v3, v225 /*v481*/, v241 /*v497*/, v3
	s_set_vgpr_msb 0x44                     ;  msbs: dst=1 src0=0 src1=1 src2=0
	v_mul_i32_i24_e32 v225 /*v481*/, v84, v57 /*v313*/
	s_set_vgpr_msb 0x45                     ;  msbs: dst=1 src0=1 src1=1 src2=0
	v_mul_i32_i24_e32 v241 /*v497*/, v195 /*v451*/, v74 /*v330*/
	v_pk_fma_f32 v[172:173] /*v[428:429]*/, v[174:175] /*v[430:431]*/, v[172:173] /*v[428:429]*/, 0 op_sel_hi:[1,1,0]
	s_set_vgpr_msb 5                        ;  msbs: dst=0 src0=1 src1=1 src2=0
	v_add3_u32 v8, v168 /*v424*/, v167 /*v423*/, v8
	s_set_vgpr_msb 20                       ;  msbs: dst=0 src0=0 src1=1 src2=1
	v_add3_u32 v3, v3, v164 /*v420*/, v169 /*v425*/
	s_set_vgpr_msb 0x54                     ;  msbs: dst=1 src0=0 src1=1 src2=1
	v_pk_fma_f32 v[168:169] /*v[424:425]*/, v[122:123], v[170:171] /*v[426:427]*/, v[180:181] /*v[436:437]*/ op_sel_hi:[0,1,1]
	v_mul_i32_i24_e32 v164 /*v420*/, v60, v48 /*v304*/
	v_mul_i32_i24_e32 v180 /*v436*/, v71, v55 /*v311*/
	s_set_vgpr_msb 20                       ;  msbs: dst=0 src0=0 src1=1 src2=1
	v_add3_u32 v8, v8, v163 /*v419*/, v166 /*v422*/
	v_mul_lo_u32 v3, v3, v35 /*v291*/
	s_set_vgpr_msb 0x41                     ;  msbs: dst=1 src0=1 src1=0 src2=0
	v_pk_mul_f32 v[168:169] /*v[424:425]*/, v[168:169] /*v[424:425]*/, v[102:103]
	s_set_vgpr_msb 0x44                     ;  msbs: dst=1 src0=0 src1=1 src2=0
	v_mul_i32_i24_e32 v163 /*v419*/, v55, v45 /*v301*/
	v_mul_i32_i24_e32 v181 /*v437*/, v82, v56 /*v312*/
	s_set_vgpr_msb 4                        ;  msbs: dst=0 src0=0 src1=1 src2=0
	v_mul_lo_u32 v8, v8, v35 /*v291*/
	s_set_vgpr_msb 0x44                     ;  msbs: dst=1 src0=0 src1=1 src2=0
	v_mul_i32_i24_e32 v160 /*v416*/, v223, v184 /*v440*/
	s_set_vgpr_msb 0                        ;  msbs: dst=0 src0=0 src1=0 src2=0
	v_mul_i32_i24_e32 v0, v0, v162
	s_set_vgpr_msb 64                       ;  msbs: dst=1 src0=0 src1=0 src2=0
	v_cvt_f32_i32_e32 v167 /*v423*/, v3
	s_set_vgpr_msb 4                        ;  msbs: dst=0 src0=0 src1=1 src2=0
	v_mul_i32_i24_e32 v3, v52, v43 /*v299*/
	s_set_vgpr_msb 0                        ;  msbs: dst=0 src0=0 src1=0 src2=0
	v_add3_u32 v0, v11, v6, v0
	s_set_vgpr_msb 64                       ;  msbs: dst=1 src0=0 src1=0 src2=0
	v_cvt_f32_i32_e32 v166 /*v422*/, v8
	s_set_vgpr_msb 4                        ;  msbs: dst=0 src0=0 src1=1 src2=0
	v_mul_i32_i24_e32 v8, v54, v44 /*v300*/
	v_mad_i32_i24 v3, v53, v42 /*v298*/, v3
	s_set_vgpr_msb 0x55                     ;  msbs: dst=1 src0=1 src1=1 src2=1
	v_pk_fma_f32 v[166:167] /*v[422:423]*/, v[178:179] /*v[434:435]*/, v[166:167] /*v[422:423]*/, v[172:173] /*v[428:429]*/
	s_set_vgpr_msb 0x44                     ;  msbs: dst=1 src0=0 src1=1 src2=0
	v_mul_i32_i24_e32 v172 /*v428*/, v67, v53 /*v309*/
	s_set_vgpr_msb 16                       ;  msbs: dst=0 src0=0 src1=0 src2=1
	v_add3_u32 v3, v3, v8, v163 /*v419*/
	s_set_vgpr_msb 4                        ;  msbs: dst=0 src0=0 src1=1 src2=0
	v_mul_i32_i24_e32 v8, v56, v46 /*v302*/
	s_set_vgpr_msb 0x44                     ;  msbs: dst=1 src0=0 src1=1 src2=0
	v_mul_i32_i24_e32 v163 /*v419*/, v58, v47 /*v303*/
	s_set_vgpr_msb 0x51                     ;  msbs: dst=1 src0=1 src1=0 src2=1
	v_pk_fma_f32 v[166:167] /*v[422:423]*/, v[166:167] /*v[422:423]*/, v[94:95], v[168:169] /*v[424:425]*/ neg_lo:[0,0,1] neg_hi:[0,0,1]
	s_set_vgpr_msb 0x44                     ;  msbs: dst=1 src0=0 src1=1 src2=0
	v_mul_i32_i24_e32 v168 /*v424*/, v64, v51 /*v307*/
	v_mul_i32_i24_e32 v169 /*v425*/, v66, v52 /*v308*/
	;; [unrolled: 1-line block ×3, first 2 shown]
	s_set_vgpr_msb 16                       ;  msbs: dst=0 src0=0 src1=0 src2=1
	v_add3_u32 v3, v3, v8, v163 /*v419*/
	s_set_vgpr_msb 4                        ;  msbs: dst=0 src0=0 src1=1 src2=0
	v_pk_add_f32 v[38:39], v[38:39], v[166:167] /*v[422:423]*/
	s_set_vgpr_msb 0x44                     ;  msbs: dst=1 src0=0 src1=1 src2=0
	v_mul_i32_i24_e32 v166 /*v422*/, v61, v49 /*v305*/
	v_mul_i32_i24_e32 v167 /*v423*/, v62, v50 /*v306*/
	s_set_vgpr_msb 5                        ;  msbs: dst=0 src0=1 src1=1 src2=0
	v_mul_i32_i24_e32 v8, v198 /*v454*/, v72 /*v328*/
	s_set_vgpr_msb 0x45                     ;  msbs: dst=1 src0=1 src1=1 src2=0
	v_mul_i32_i24_e32 v163 /*v419*/, v200 /*v456*/, v69 /*v325*/
	s_set_vgpr_msb 20                       ;  msbs: dst=0 src0=0 src1=1 src2=1
	v_add3_u32 v3, v3, v164 /*v420*/, v166 /*v422*/
	s_set_vgpr_msb 0x45                     ;  msbs: dst=1 src0=1 src1=1 src2=0
	v_mul_i32_i24_e32 v164 /*v420*/, v201 /*v457*/, v75 /*v331*/
	s_set_vgpr_msb 5                        ;  msbs: dst=0 src0=1 src1=1 src2=0
	v_mad_i32_i24 v8, v199 /*v455*/, v71 /*v327*/, v8
	s_set_vgpr_msb 0x45                     ;  msbs: dst=1 src0=1 src1=1 src2=0
	v_mul_i32_i24_e32 v166 /*v422*/, v204 /*v460*/, v73 /*v329*/
	s_set_vgpr_msb 20                       ;  msbs: dst=0 src0=0 src1=1 src2=1
	v_add3_u32 v3, v3, v167 /*v423*/, v168 /*v424*/
	s_set_vgpr_msb 0x45                     ;  msbs: dst=1 src0=1 src1=1 src2=0
	v_mul_i32_i24_e32 v167 /*v423*/, v205 /*v461*/, v80 /*v336*/
	s_set_vgpr_msb 20                       ;  msbs: dst=0 src0=0 src1=1 src2=1
	v_add3_u32 v8, v8, v163 /*v419*/, v164 /*v420*/
	s_set_vgpr_msb 0x45                     ;  msbs: dst=1 src0=1 src1=1 src2=0
	v_mul_i32_i24_e32 v163 /*v419*/, v202 /*v458*/, v77 /*v333*/
	v_mul_i32_i24_e32 v164 /*v420*/, v203 /*v459*/, v78 /*v334*/
	s_set_vgpr_msb 20                       ;  msbs: dst=0 src0=0 src1=1 src2=1
	v_add3_u32 v3, v3, v169 /*v425*/, v172 /*v428*/
	s_set_vgpr_msb 0x45                     ;  msbs: dst=1 src0=1 src1=1 src2=0
	v_mul_i32_i24_e32 v168 /*v424*/, v206 /*v462*/, v81 /*v337*/
	v_mul_i32_i24_e32 v169 /*v425*/, v207 /*v463*/, v82 /*v338*/
	v_mul_i32_i24_e32 v172 /*v428*/, v208 /*v464*/, v79 /*v335*/
	s_set_vgpr_msb 20                       ;  msbs: dst=0 src0=0 src1=1 src2=1
	v_add3_u32 v8, v8, v163 /*v419*/, v164 /*v420*/
	v_add3_u32 v3, v3, v173 /*v429*/, v180 /*v436*/
	s_set_vgpr_msb 0x45                     ;  msbs: dst=1 src0=1 src1=1 src2=0
	v_mul_i32_i24_e32 v173 /*v429*/, v209 /*v465*/, v84 /*v340*/
	v_mul_i32_i24_e32 v180 /*v436*/, v210 /*v466*/, v85 /*v341*/
	v_mul_i32_i24_e32 v164 /*v420*/, v197 /*v453*/, v41 /*v297*/
	s_set_vgpr_msb 20                       ;  msbs: dst=0 src0=0 src1=1 src2=1
	v_add3_u32 v8, v8, v166 /*v422*/, v167 /*v423*/
	;; [unrolled: 7-line block ×3, first 2 shown]
	v_add3_u32 v3, v3, v229 /*v485*/, v230 /*v486*/
	s_set_vgpr_msb 0x45                     ;  msbs: dst=1 src0=1 src1=1 src2=0
	v_mul_i32_i24_e32 v229 /*v485*/, v213 /*v469*/, v87 /*v343*/
	v_mul_i32_i24_e32 v230 /*v486*/, v88 /*v344*/, v214 /*v470*/
	s_set_vgpr_msb 0x44                     ;  msbs: dst=1 src0=0 src1=1 src2=0
	v_mul_i32_i24_e32 v163 /*v419*/, v4, v41 /*v297*/
	s_set_vgpr_msb 20                       ;  msbs: dst=0 src0=0 src1=1 src2=1
	v_add3_u32 v8, v8, v172 /*v428*/, v173 /*v429*/
	v_add3_u32 v3, v3, v231 /*v487*/, v232 /*v488*/
	s_set_vgpr_msb 0x45                     ;  msbs: dst=1 src0=1 src1=1 src2=0
	v_mul_i32_i24_e32 v231 /*v487*/, v89 /*v345*/, v215 /*v471*/
	v_mul_i32_i24_e32 v232 /*v488*/, v91 /*v347*/, v216 /*v472*/
	s_set_vgpr_msb 0x41                     ;  msbs: dst=1 src0=1 src1=0 src2=0
	v_mul_i32_i24_e32 v166 /*v422*/, v40 /*v296*/, v7
	s_set_vgpr_msb 20                       ;  msbs: dst=0 src0=0 src1=1 src2=1
	v_add3_u32 v8, v8, v180 /*v436*/, v181 /*v437*/
	v_add3_u32 v3, v3, v233 /*v489*/, v234 /*v490*/
	s_set_vgpr_msb 0x45                     ;  msbs: dst=1 src0=1 src1=1 src2=0
	v_mul_i32_i24_e32 v233 /*v489*/, v90 /*v346*/, v182 /*v438*/
	v_mul_i32_i24_e32 v234 /*v490*/, v92 /*v348*/, v217 /*v473*/
	s_set_vgpr_msb 20                       ;  msbs: dst=0 src0=0 src1=1 src2=1
	v_add3_u32 v14, v14, v163 /*v419*/, v166 /*v422*/
	v_add3_u32 v8, v8, v225 /*v481*/, v229 /*v485*/
	;; [unrolled: 1-line block ×3, first 2 shown]
	s_set_vgpr_msb 0x45                     ;  msbs: dst=1 src0=1 src1=1 src2=0
	v_mul_i32_i24_e32 v235 /*v491*/, v93 /*v349*/, v218 /*v474*/
	v_mul_i32_i24_e32 v236 /*v492*/, v95 /*v351*/, v219 /*v475*/
	s_set_vgpr_msb 0x44                     ;  msbs: dst=1 src0=0 src1=1 src2=0
	v_mul_i32_i24_e32 v163 /*v419*/, v157, v227 /*v483*/
	s_set_vgpr_msb 20                       ;  msbs: dst=0 src0=0 src1=1 src2=1
	v_add3_u32 v8, v8, v230 /*v486*/, v231 /*v487*/
	v_add3_u32 v3, v3, v237 /*v493*/, v238 /*v494*/
	s_set_vgpr_msb 0x45                     ;  msbs: dst=1 src0=1 src1=1 src2=0
	v_mul_i32_i24_e32 v237 /*v493*/, v94 /*v350*/, v183 /*v439*/
	v_mul_i32_i24_e32 v238 /*v494*/, v96 /*v352*/, v220 /*v476*/
	s_set_vgpr_msb 0x44                     ;  msbs: dst=1 src0=0 src1=1 src2=0
	v_mul_i32_i24_e32 v168 /*v424*/, v119, v228 /*v484*/
	s_set_vgpr_msb 20                       ;  msbs: dst=0 src0=0 src1=1 src2=1
	v_add3_u32 v8, v8, v232 /*v488*/, v233 /*v489*/
	v_add3_u32 v3, v3, v239 /*v495*/, v240 /*v496*/
	;; [unrolled: 8-line block ×3, first 2 shown]
	v_mul_lo_u32 v14, v14, v39 /*v295*/
	s_set_vgpr_msb 64                       ;  msbs: dst=1 src0=0 src1=0 src2=0
	v_mul_i32_i24_e32 v172 /*v428*/, v86, v245
	v_mul_i32_i24_e32 v173 /*v429*/, v92, v246
	s_set_vgpr_msb 20                       ;  msbs: dst=0 src0=0 src1=1 src2=1
	v_add3_u32 v8, v8, v236 /*v492*/, v237 /*v493*/
	v_add3_u32 v3, v3, v164 /*v420*/, v167 /*v423*/
	s_set_vgpr_msb 64                       ;  msbs: dst=1 src0=0 src1=0 src2=0
	v_mul_i32_i24_e32 v164 /*v420*/, v157, v40
	s_set_vgpr_msb 0x44                     ;  msbs: dst=1 src0=0 src1=1 src2=0
	v_pk_fma_f32 v[166:167] /*v[422:423]*/, v[124:125], v[176:177] /*v[432:433]*/, 0 op_sel_hi:[0,1,0]
	s_set_vgpr_msb 64                       ;  msbs: dst=1 src0=0 src1=0 src2=0
	v_mul_i32_i24_e32 v180 /*v436*/, v248, v133
	s_set_vgpr_msb 20                       ;  msbs: dst=0 src0=0 src1=1 src2=1
	v_add3_u32 v8, v8, v238 /*v494*/, v239 /*v495*/
	v_mul_lo_u32 v3, v3, v39 /*v295*/
	s_set_vgpr_msb 0x44                     ;  msbs: dst=1 src0=0 src1=1 src2=0
	v_mul_i32_i24_e32 v181 /*v437*/, v247, v186 /*v442*/
	s_set_vgpr_msb 0                        ;  msbs: dst=0 src0=0 src1=0 src2=0
	v_cvt_f32_i32_e32 v14, v14
	s_set_vgpr_msb 0x44                     ;  msbs: dst=1 src0=0 src1=1 src2=0
	v_mul_i32_i24_e32 v225 /*v481*/, v250, v187 /*v443*/
	s_set_vgpr_msb 20                       ;  msbs: dst=0 src0=0 src1=1 src2=1
	v_add3_u32 v8, v8, v240 /*v496*/, v243 /*v499*/
	s_set_vgpr_msb 0x44                     ;  msbs: dst=1 src0=0 src1=1 src2=0
	v_mul_i32_i24_e32 v229 /*v485*/, v249, v188 /*v444*/
	v_mul_i32_i24_e32 v230 /*v486*/, v252, v189 /*v445*/
	;; [unrolled: 1-line block ×5, first 2 shown]
	s_set_vgpr_msb 0x45                     ;  msbs: dst=1 src0=1 src1=1 src2=0
	v_mul_i32_i24_e32 v234 /*v490*/, v1 /*v257*/, v193 /*v449*/
	s_set_vgpr_msb 0                        ;  msbs: dst=0 src0=0 src1=0 src2=0
	v_cvt_f32_i32_e32 v15, v3
	s_set_vgpr_msb 1                        ;  msbs: dst=0 src0=1 src1=0 src2=0
	v_mul_i32_i24_e32 v3, v224 /*v480*/, v158
	s_set_vgpr_msb 0x44                     ;  msbs: dst=1 src0=0 src1=1 src2=0
	v_mul_i32_i24_e32 v235 /*v491*/, v255, v194 /*v450*/
	s_set_vgpr_msb 0x45                     ;  msbs: dst=1 src0=1 src1=1 src2=0
	v_mul_i32_i24_e32 v236 /*v492*/, v195 /*v451*/, v5 /*v261*/
	v_mul_i32_i24_e32 v237 /*v493*/, v196 /*v452*/, v7 /*v263*/
	s_set_vgpr_msb 1                        ;  msbs: dst=0 src0=1 src1=0 src2=0
	v_pk_fma_f32 v[14:15], v[174:175] /*v[430:431]*/, v[14:15], 0 op_sel_hi:[1,1,0]
	s_set_vgpr_msb 4                        ;  msbs: dst=0 src0=0 src1=1 src2=0
	v_add3_u32 v3, v8, v244 /*v500*/, v3
	s_set_vgpr_msb 21                       ;  msbs: dst=0 src0=1 src1=1 src2=1
	v_add3_u32 v8, v161 /*v417*/, v163 /*v419*/, v168 /*v424*/
	s_set_vgpr_msb 64                       ;  msbs: dst=1 src0=0 src1=0 src2=0
	v_mul_i32_i24_e32 v161 /*v417*/, v61, v236
	v_mul_i32_i24_e32 v168 /*v424*/, v82, v243
	s_set_vgpr_msb 0x45                     ;  msbs: dst=1 src0=1 src1=1 src2=0
	v_mul_i32_i24_e32 v238 /*v494*/, v29 /*v285*/, v184 /*v440*/
	s_set_vgpr_msb 20                       ;  msbs: dst=0 src0=0 src1=1 src2=1
	v_add3_u32 v3, v3, v164 /*v420*/, v169 /*v425*/
	s_set_vgpr_msb 0                        ;  msbs: dst=0 src0=0 src1=0 src2=0
	v_mul_lo_u32 v8, v8, v159
	s_set_vgpr_msb 64                       ;  msbs: dst=1 src0=0 src1=0 src2=0
	v_mul_i32_i24_e32 v164 /*v420*/, v66, v239
	v_mul_i32_i24_e32 v169 /*v425*/, v84, v244
	s_set_vgpr_msb 0x45                     ;  msbs: dst=1 src0=1 src1=1 src2=0
	v_mul_i32_i24_e32 v239 /*v495*/, v223 /*v479*/, v31 /*v287*/
	s_set_vgpr_msb 0                        ;  msbs: dst=0 src0=0 src1=0 src2=0
	v_mul_lo_u32 v3, v3, v159
	s_set_vgpr_msb 64                       ;  msbs: dst=1 src0=0 src1=0 src2=0
	v_cvt_f32_i32_e32 v162 /*v418*/, v8
	s_set_vgpr_msb 0                        ;  msbs: dst=0 src0=0 src1=0 src2=0
	v_mul_i32_i24_e32 v8, v54, v231
	s_set_vgpr_msb 64                       ;  msbs: dst=1 src0=0 src1=0 src2=0
	s_delay_alu instid0(VALU_DEP_3) | instskip(SKIP_3) | instid1(VALU_DEP_2)
	v_cvt_f32_i32_e32 v163 /*v419*/, v3
	s_set_vgpr_msb 0                        ;  msbs: dst=0 src0=0 src1=0 src2=0
	v_mul_i32_i24_e32 v3, v52, v230
	s_set_vgpr_msb 5                        ;  msbs: dst=0 src0=1 src1=1 src2=0
	v_pk_fma_f32 v[14:15], v[178:179] /*v[434:435]*/, v[162:163] /*v[418:419]*/, v[14:15]
	s_set_vgpr_msb 0x54                     ;  msbs: dst=1 src0=0 src1=1 src2=1
	v_pk_fma_f32 v[162:163] /*v[418:419]*/, v[118:119], v[170:171] /*v[426:427]*/, v[166:167] /*v[422:423]*/ op_sel_hi:[0,1,1]
	s_set_vgpr_msb 0                        ;  msbs: dst=0 src0=0 src1=0 src2=0
	v_mad_i32_i24 v3, v53, v229, v3
	s_set_vgpr_msb 64                       ;  msbs: dst=1 src0=0 src1=0 src2=0
	v_mul_i32_i24_e32 v166 /*v422*/, v69, v241
	v_mul_i32_i24_e32 v167 /*v423*/, v71, v242
	s_set_vgpr_msb 0x41                     ;  msbs: dst=1 src0=1 src1=0 src2=0
	v_pk_mul_f32 v[162:163] /*v[418:419]*/, v[162:163] /*v[418:419]*/, v[104:105]
	s_set_vgpr_msb 16                       ;  msbs: dst=0 src0=0 src1=0 src2=1
	s_delay_alu instid0(VALU_DEP_1)
	v_pk_fma_f32 v[14:15], v[14:15], v[96:97], v[162:163] /*v[418:419]*/ neg_lo:[0,0,1] neg_hi:[0,0,1]
	s_set_vgpr_msb 64                       ;  msbs: dst=1 src0=0 src1=0 src2=0
	v_mul_i32_i24_e32 v162 /*v418*/, v62, v237
	v_mul_i32_i24_e32 v163 /*v419*/, v64, v238
	s_set_vgpr_msb 0                        ;  msbs: dst=0 src0=0 src1=0 src2=0
	v_pk_add_f32 v[36:37], v[36:37], v[14:15]
	v_mul_i32_i24_e32 v14, v55, v232
	v_mul_i32_i24_e32 v15, v60, v235
	s_delay_alu instid0(VALU_DEP_2) | instskip(SKIP_2) | instid1(VALU_DEP_1)
	v_add3_u32 v3, v3, v8, v14
	v_mul_i32_i24_e32 v8, v56, v233
	v_mul_i32_i24_e32 v14, v58, v234
	v_add3_u32 v3, v3, v8, v14
	s_set_vgpr_msb 5                        ;  msbs: dst=0 src0=1 src1=1 src2=0
	v_mul_i32_i24_e32 v8, v198 /*v454*/, v3 /*v259*/
	v_mul_i32_i24_e32 v14, v200 /*v456*/, v0 /*v256*/
	s_set_vgpr_msb 16                       ;  msbs: dst=0 src0=0 src1=0 src2=1
	v_add3_u32 v3, v3, v15, v161 /*v417*/
	s_set_vgpr_msb 5                        ;  msbs: dst=0 src0=1 src1=1 src2=0
	v_mul_i32_i24_e32 v15, v201 /*v457*/, v6 /*v262*/
	v_mad_i32_i24 v8, v199 /*v455*/, v2 /*v258*/, v8
	s_set_vgpr_msb 0x45                     ;  msbs: dst=1 src0=1 src1=1 src2=0
	v_mul_i32_i24_e32 v161 /*v417*/, v204 /*v460*/, v4 /*v260*/
	s_set_vgpr_msb 20                       ;  msbs: dst=0 src0=0 src1=1 src2=1
	v_add3_u32 v3, v3, v162 /*v418*/, v163 /*v419*/
	s_set_vgpr_msb 0x45                     ;  msbs: dst=1 src0=1 src1=1 src2=0
	v_mul_i32_i24_e32 v162 /*v418*/, v205 /*v461*/, v11 /*v267*/
	s_set_vgpr_msb 0                        ;  msbs: dst=0 src0=0 src1=0 src2=0
	v_add3_u32 v8, v8, v14, v15
	s_set_vgpr_msb 5                        ;  msbs: dst=0 src0=1 src1=1 src2=0
	v_mul_i32_i24_e32 v14, v202 /*v458*/, v8 /*v264*/
	v_mul_i32_i24_e32 v15, v203 /*v459*/, v9 /*v265*/
	s_set_vgpr_msb 20                       ;  msbs: dst=0 src0=0 src1=1 src2=1
	v_add3_u32 v3, v3, v164 /*v420*/, v165 /*v421*/
	s_set_vgpr_msb 0x45                     ;  msbs: dst=1 src0=1 src1=1 src2=0
	v_mul_i32_i24_e32 v163 /*v419*/, v206 /*v462*/, v12 /*v268*/
	v_mul_i32_i24_e32 v164 /*v420*/, v207 /*v463*/, v13 /*v269*/
	;; [unrolled: 1-line block ×3, first 2 shown]
	s_set_vgpr_msb 0                        ;  msbs: dst=0 src0=0 src1=0 src2=0
	v_add3_u32 v8, v8, v14, v15
	s_set_vgpr_msb 20                       ;  msbs: dst=0 src0=0 src1=1 src2=1
	v_add3_u32 v3, v3, v166 /*v422*/, v167 /*v423*/
	s_set_vgpr_msb 0x45                     ;  msbs: dst=1 src0=1 src1=1 src2=0
	v_mul_i32_i24_e32 v166 /*v422*/, v209 /*v465*/, v15 /*v271*/
	v_mul_i32_i24_e32 v167 /*v423*/, v210 /*v466*/, v16 /*v272*/
	s_set_vgpr_msb 1                        ;  msbs: dst=0 src0=1 src1=0 src2=0
	v_mul_i32_i24_e32 v14, v197 /*v453*/, v228
	s_set_vgpr_msb 20                       ;  msbs: dst=0 src0=0 src1=1 src2=1
	v_add3_u32 v8, v8, v161 /*v417*/, v162 /*v418*/
	v_add3_u32 v3, v3, v168 /*v424*/, v169 /*v425*/
	s_set_vgpr_msb 0x45                     ;  msbs: dst=1 src0=1 src1=1 src2=0
	v_mul_i32_i24_e32 v168 /*v424*/, v211 /*v467*/, v17 /*v273*/
	v_mul_i32_i24_e32 v169 /*v425*/, v212 /*v468*/, v14 /*v270*/
	s_set_vgpr_msb 0x44                     ;  msbs: dst=1 src0=0 src1=1 src2=0
	v_mul_i32_i24_e32 v162 /*v418*/, v227, v226 /*v482*/
	s_set_vgpr_msb 20                       ;  msbs: dst=0 src0=0 src1=1 src2=1
	v_add3_u32 v8, v8, v163 /*v419*/, v164 /*v420*/
	v_add3_u32 v3, v3, v172 /*v428*/, v173 /*v429*/
	s_set_vgpr_msb 0x45                     ;  msbs: dst=1 src0=1 src1=1 src2=0
	v_mul_i32_i24_e32 v172 /*v428*/, v213 /*v469*/, v18 /*v274*/
	v_mul_i32_i24_e32 v173 /*v429*/, v19 /*v275*/, v214 /*v470*/
	s_set_vgpr_msb 0                        ;  msbs: dst=0 src0=0 src1=0 src2=0
	v_mul_i32_i24_e32 v15, v227, v7
	s_set_vgpr_msb 20                       ;  msbs: dst=0 src0=0 src1=1 src2=1
	v_add3_u32 v8, v8, v165 /*v421*/, v166 /*v422*/
	v_add3_u32 v3, v3, v180 /*v436*/, v181 /*v437*/
	s_set_vgpr_msb 0x45                     ;  msbs: dst=1 src0=1 src1=1 src2=0
	v_mul_i32_i24_e32 v180 /*v436*/, v20 /*v276*/, v215 /*v471*/
	v_mul_i32_i24_e32 v181 /*v437*/, v22 /*v278*/, v216 /*v472*/
	s_set_vgpr_msb 0x44                     ;  msbs: dst=1 src0=0 src1=1 src2=0
	v_mul_i32_i24_e32 v163 /*v419*/, v111, v228 /*v484*/
	s_set_vgpr_msb 20                       ;  msbs: dst=0 src0=0 src1=1 src2=1
	v_add3_u32 v8, v8, v167 /*v423*/, v168 /*v424*/
	v_add3_u32 v3, v3, v225 /*v481*/, v229 /*v485*/
	s_set_vgpr_msb 0x45                     ;  msbs: dst=1 src0=1 src1=1 src2=0
	v_mul_i32_i24_e32 v225 /*v481*/, v21 /*v277*/, v182 /*v438*/
	v_mul_i32_i24_e32 v229 /*v485*/, v23 /*v279*/, v217 /*v473*/
	s_set_vgpr_msb 0x44                     ;  msbs: dst=1 src0=0 src1=1 src2=0
	v_mul_i32_i24_e32 v164 /*v420*/, v111, v185 /*v441*/
	s_set_vgpr_msb 20                       ;  msbs: dst=0 src0=0 src1=1 src2=1
	v_add3_u32 v8, v8, v169 /*v425*/, v172 /*v428*/
	v_add3_u32 v3, v3, v230 /*v486*/, v231 /*v487*/
	s_set_vgpr_msb 0x45                     ;  msbs: dst=1 src0=1 src1=1 src2=0
	v_mul_i32_i24_e32 v230 /*v486*/, v24 /*v280*/, v218 /*v474*/
	v_mul_i32_i24_e32 v231 /*v487*/, v26 /*v282*/, v219 /*v475*/
	s_set_vgpr_msb 16                       ;  msbs: dst=0 src0=0 src1=0 src2=1
	v_add3_u32 v10, v10, v12, v163 /*v419*/
	s_set_vgpr_msb 20                       ;  msbs: dst=0 src0=0 src1=1 src2=1
	v_add3_u32 v8, v8, v173 /*v429*/, v180 /*v436*/
	v_add3_u32 v3, v3, v232 /*v488*/, v233 /*v489*/
	s_set_vgpr_msb 0x45                     ;  msbs: dst=1 src0=1 src1=1 src2=0
	v_mul_i32_i24_e32 v232 /*v488*/, v25 /*v281*/, v183 /*v439*/
	v_mul_i32_i24_e32 v233 /*v489*/, v27 /*v283*/, v220 /*v476*/
	s_set_vgpr_msb 0                        ;  msbs: dst=0 src0=0 src1=0 src2=0
	v_mul_lo_u32 v10, v10, v117
	s_set_vgpr_msb 20                       ;  msbs: dst=0 src0=0 src1=1 src2=1
	v_add3_u32 v8, v8, v181 /*v437*/, v225 /*v481*/
	v_add3_u32 v3, v3, v234 /*v490*/, v235 /*v491*/
	s_set_vgpr_msb 0x45                     ;  msbs: dst=1 src0=1 src1=1 src2=0
	v_mul_i32_i24_e32 v234 /*v490*/, v28 /*v284*/, v221 /*v477*/
	v_mul_i32_i24_e32 v235 /*v491*/, v30 /*v286*/, v222 /*v478*/
	s_set_vgpr_msb 0                        ;  msbs: dst=0 src0=0 src1=0 src2=0
	v_mul_i32_i24_e32 v7, v165, v7
	s_set_vgpr_msb 20                       ;  msbs: dst=0 src0=0 src1=1 src2=1
	v_add3_u32 v8, v8, v229 /*v485*/, v230 /*v486*/
	v_add3_u32 v3, v3, v236 /*v492*/, v237 /*v493*/
	s_delay_alu instid0(VALU_DEP_2) | instskip(SKIP_1) | instid1(VALU_DEP_2)
	v_add3_u32 v8, v8, v231 /*v487*/, v232 /*v488*/
	s_set_vgpr_msb 16                       ;  msbs: dst=0 src0=0 src1=0 src2=1
	v_add3_u32 v3, v3, v14, v162 /*v418*/
	s_set_vgpr_msb 64                       ;  msbs: dst=1 src0=0 src1=0 src2=0
	v_mul_i32_i24_e32 v162 /*v418*/, v113, v40
	s_set_vgpr_msb 0                        ;  msbs: dst=0 src0=0 src1=0 src2=0
	v_cvt_f32_i32_e32 v12, v10
	v_mul_i32_i24_e32 v10, v60, v173
	s_set_vgpr_msb 20                       ;  msbs: dst=0 src0=0 src1=1 src2=1
	v_add3_u32 v8, v8, v233 /*v489*/, v234 /*v490*/
	s_set_vgpr_msb 0                        ;  msbs: dst=0 src0=0 src1=0 src2=0
	v_mul_lo_u32 v3, v3, v226
	v_mul_i32_i24_e32 v60, v92, v184
	s_set_vgpr_msb 1                        ;  msbs: dst=0 src0=1 src1=0 src2=0
	v_mul_i32_i24_e32 v92, v195 /*v451*/, v199
	s_set_vgpr_msb 0x54                     ;  msbs: dst=1 src0=0 src1=1 src2=1
	v_add3_u32 v161 /*v417*/, v8, v235 /*v491*/, v238 /*v494*/
	s_set_vgpr_msb 0                        ;  msbs: dst=0 src0=0 src1=0 src2=0
	v_mul_i32_i24_e32 v8, v4, v228
	v_mul_i32_i24_e32 v4, v4, v166
	s_delay_alu instid0(VALU_DEP_2)
	v_add3_u32 v8, v9, v8, v15
	v_cvt_f32_i32_e32 v9, v3
	s_set_vgpr_msb 1                        ;  msbs: dst=0 src0=1 src1=0 src2=0
	v_mul_i32_i24_e32 v3, v224 /*v480*/, v115
	s_set_vgpr_msb 4                        ;  msbs: dst=0 src0=0 src1=1 src2=0
	v_pk_fma_f32 v[14:15], v[110:111], v[176:177] /*v[432:433]*/, 0 op_sel_hi:[0,1,0]
	s_set_vgpr_msb 0                        ;  msbs: dst=0 src0=0 src1=0 src2=0
	v_add3_u32 v1, v1, v4, v7
	v_mul_lo_u32 v8, v8, v226
	s_set_vgpr_msb 4                        ;  msbs: dst=0 src0=0 src1=1 src2=0
	v_mul_i32_i24_e32 v7, v161, v227 /*v483*/
	s_set_vgpr_msb 5                        ;  msbs: dst=0 src0=1 src1=1 src2=0
	v_add3_u32 v3, v161 /*v417*/, v239 /*v495*/, v3
	s_set_vgpr_msb 0x41                     ;  msbs: dst=1 src0=1 src1=0 src2=0
	v_mul_i32_i24_e32 v161 /*v417*/, v223 /*v479*/, v225
	s_set_vgpr_msb 0                        ;  msbs: dst=0 src0=0 src1=0 src2=0
	v_mul_lo_u32 v1, v1, v164
	s_set_vgpr_msb 20                       ;  msbs: dst=0 src0=0 src1=1 src2=1
	v_pk_fma_f32 v[4:5], v[116:117], v[176:177] /*v[432:433]*/, 0 op_sel_hi:[0,1,0]
	v_add3_u32 v3, v3, v162 /*v418*/, v164 /*v420*/
	v_cvt_f32_i32_e32 v8, v8
	s_set_vgpr_msb 0                        ;  msbs: dst=0 src0=0 src1=0 src2=0
	s_delay_alu instid0(VALU_DEP_2) | instskip(SKIP_1) | instid1(VALU_DEP_2)
	v_mul_lo_u32 v3, v3, v117
	s_set_vgpr_msb 1                        ;  msbs: dst=0 src0=1 src1=0 src2=0
	v_pk_fma_f32 v[8:9], v[174:175] /*v[430:431]*/, v[8:9], 0 op_sel_hi:[1,1,0]
	s_set_vgpr_msb 0                        ;  msbs: dst=0 src0=0 src1=0 src2=0
	s_delay_alu instid0(VALU_DEP_2)
	v_cvt_f32_i32_e32 v13, v3
	v_mul_i32_i24_e32 v3, v52, v168
	v_mul_i32_i24_e32 v52, v67, v178
	s_set_vgpr_msb 4                        ;  msbs: dst=0 src0=0 src1=1 src2=0
	v_mul_i32_i24_e32 v67, v190, v189 /*v445*/
	s_set_vgpr_msb 1                        ;  msbs: dst=0 src0=1 src1=0 src2=0
	v_pk_fma_f32 v[8:9], v[178:179] /*v[434:435]*/, v[12:13], v[8:9]
	s_set_vgpr_msb 4                        ;  msbs: dst=0 src0=0 src1=1 src2=0
	v_pk_fma_f32 v[12:13], v[112:113], v[170:171] /*v[426:427]*/, v[14:15] op_sel_hi:[0,1,1]
	s_set_vgpr_msb 0                        ;  msbs: dst=0 src0=0 src1=0 src2=0
	v_mad_i32_i24 v3, v53, v167, v3
	v_mul_i32_i24_e32 v14, v64, v176
	v_mul_i32_i24_e32 v15, v66, v177
	;; [unrolled: 1-line block ×3, first 2 shown]
	v_pk_mul_f32 v[12:13], v[12:13], v[106:107]
	s_set_vgpr_msb 4                        ;  msbs: dst=0 src0=0 src1=1 src2=0
	v_mul_i32_i24_e32 v64, v188, v187 /*v443*/
	v_mul_i32_i24_e32 v66, v187, v188 /*v444*/
	;; [unrolled: 1-line block ×3, first 2 shown]
	s_set_vgpr_msb 0                        ;  msbs: dst=0 src0=0 src1=0 src2=0
	v_pk_fma_f32 v[8:9], v[8:9], v[98:99], v[12:13] neg_lo:[0,0,1] neg_hi:[0,0,1]
	v_mul_i32_i24_e32 v12, v61, v174
	v_mul_i32_i24_e32 v13, v62, v175
	;; [unrolled: 1-line block ×3, first 2 shown]
	s_set_vgpr_msb 4                        ;  msbs: dst=0 src0=0 src1=1 src2=0
	v_mul_i32_i24_e32 v62, v185, v186 /*v442*/
	s_set_vgpr_msb 0                        ;  msbs: dst=0 src0=0 src1=0 src2=0
	v_pk_add_f32 v[34:35], v[34:35], v[8:9]
	v_mul_i32_i24_e32 v8, v54, v169
	v_mul_i32_i24_e32 v9, v55, v170
	;; [unrolled: 1-line block ×4, first 2 shown]
	s_set_vgpr_msb 4                        ;  msbs: dst=0 src0=0 src1=1 src2=0
	v_mul_i32_i24_e32 v71, v192, v191 /*v447*/
	v_mul_i32_i24_e32 v82, v191, v192 /*v448*/
	s_set_vgpr_msb 0                        ;  msbs: dst=0 src0=0 src1=0 src2=0
	v_add3_u32 v3, v3, v8, v9
	v_mul_i32_i24_e32 v8, v56, v171
	v_mul_i32_i24_e32 v9, v58, v172
	;; [unrolled: 1-line block ×4, first 2 shown]
	s_set_vgpr_msb 4                        ;  msbs: dst=0 src0=0 src1=1 src2=0
	v_mul_i32_i24_e32 v84, v195, v193 /*v449*/
	v_mul_i32_i24_e32 v86, v193, v194 /*v450*/
	s_set_vgpr_msb 0                        ;  msbs: dst=0 src0=0 src1=0 src2=0
	v_add3_u32 v3, v3, v8, v9
	s_set_vgpr_msb 1                        ;  msbs: dst=0 src0=1 src1=0 src2=0
	v_mul_i32_i24_e32 v8, v198 /*v454*/, v197
	v_mul_i32_i24_e32 v9, v200 /*v456*/, v194
	;; [unrolled: 1-line block ×3, first 2 shown]
	s_set_vgpr_msb 0                        ;  msbs: dst=0 src0=0 src1=0 src2=0
	v_add3_u32 v3, v3, v10, v12
	s_set_vgpr_msb 1                        ;  msbs: dst=0 src0=1 src1=0 src2=0
	v_mul_i32_i24_e32 v10, v201 /*v457*/, v200
	v_mad_i32_i24 v8, v199 /*v455*/, v196, v8
	v_mul_i32_i24_e32 v12, v204 /*v460*/, v198
	s_set_vgpr_msb 0                        ;  msbs: dst=0 src0=0 src1=0 src2=0
	v_add3_u32 v3, v3, v13, v14
	s_set_vgpr_msb 1                        ;  msbs: dst=0 src0=1 src1=0 src2=0
	v_mul_i32_i24_e32 v13, v205 /*v461*/, v205
	s_set_vgpr_msb 0                        ;  msbs: dst=0 src0=0 src1=0 src2=0
	v_add3_u32 v8, v8, v9, v10
	s_set_vgpr_msb 1                        ;  msbs: dst=0 src0=1 src1=0 src2=0
	v_mul_i32_i24_e32 v9, v202 /*v458*/, v202
	v_mul_i32_i24_e32 v10, v203 /*v459*/, v203
	s_set_vgpr_msb 0                        ;  msbs: dst=0 src0=0 src1=0 src2=0
	v_add3_u32 v3, v3, v15, v52
	s_set_vgpr_msb 1                        ;  msbs: dst=0 src0=1 src1=0 src2=0
	v_mul_i32_i24_e32 v14, v206 /*v462*/, v206
	v_mul_i32_i24_e32 v15, v207 /*v463*/, v207
	v_mul_i32_i24_e32 v52, v208 /*v464*/, v204
	s_set_vgpr_msb 0                        ;  msbs: dst=0 src0=0 src1=0 src2=0
	v_add3_u32 v8, v8, v9, v10
	v_add3_u32 v3, v3, v53, v54
	s_set_vgpr_msb 1                        ;  msbs: dst=0 src0=1 src1=0 src2=0
	v_mul_i32_i24_e32 v53, v209 /*v465*/, v209
	v_mul_i32_i24_e32 v54, v210 /*v466*/, v210
	;; [unrolled: 1-line block ×3, first 2 shown]
	s_set_vgpr_msb 0                        ;  msbs: dst=0 src0=0 src1=0 src2=0
	v_add3_u32 v8, v8, v12, v13
	v_add3_u32 v3, v3, v55, v56
	s_set_vgpr_msb 1                        ;  msbs: dst=0 src0=1 src1=0 src2=0
	v_mul_i32_i24_e32 v55, v211 /*v467*/, v211
	v_mul_i32_i24_e32 v56, v212 /*v468*/, v208
	s_set_vgpr_msb 4                        ;  msbs: dst=0 src0=0 src1=1 src2=0
	v_mul_i32_i24_e32 v10, v165, v226 /*v482*/
	s_set_vgpr_msb 0                        ;  msbs: dst=0 src0=0 src1=0 src2=0
	v_add3_u32 v8, v8, v14, v15
	v_add3_u32 v3, v3, v58, v60
	s_set_vgpr_msb 1                        ;  msbs: dst=0 src0=1 src1=0 src2=0
	v_mul_i32_i24_e32 v58, v213 /*v469*/, v212
	s_set_vgpr_msb 4                        ;  msbs: dst=0 src0=0 src1=1 src2=0
	v_mul_i32_i24_e32 v60, v213, v214 /*v470*/
	v_mul_i32_i24_e32 v12, v160, v185 /*v441*/
	s_set_vgpr_msb 0                        ;  msbs: dst=0 src0=0 src1=0 src2=0
	v_add3_u32 v8, v8, v52, v53
	v_add3_u32 v3, v3, v61, v62
	s_set_vgpr_msb 4                        ;  msbs: dst=0 src0=0 src1=1 src2=0
	v_mul_i32_i24_e32 v61, v214, v215 /*v471*/
	v_mul_i32_i24_e32 v62, v216, v216 /*v472*/
	s_set_vgpr_msb 0                        ;  msbs: dst=0 src0=0 src1=0 src2=0
	v_add3_u32 v8, v8, v54, v55
	v_add3_u32 v3, v3, v64, v66
	s_set_vgpr_msb 4                        ;  msbs: dst=0 src0=0 src1=1 src2=0
	v_mul_i32_i24_e32 v64, v215, v182 /*v438*/
	v_mul_i32_i24_e32 v66, v217, v217 /*v473*/
	s_set_vgpr_msb 0                        ;  msbs: dst=0 src0=0 src1=0 src2=0
	v_add3_u32 v8, v8, v56, v58
	v_add3_u32 v3, v3, v67, v69
	s_set_vgpr_msb 4                        ;  msbs: dst=0 src0=0 src1=1 src2=0
	v_mul_i32_i24_e32 v67, v218, v218 /*v474*/
	v_mul_i32_i24_e32 v69, v220, v219 /*v475*/
	s_set_vgpr_msb 0                        ;  msbs: dst=0 src0=0 src1=0 src2=0
	v_add3_u32 v8, v8, v60, v61
	v_add3_u32 v3, v3, v71, v82
	s_set_vgpr_msb 4                        ;  msbs: dst=0 src0=0 src1=1 src2=0
	v_mul_i32_i24_e32 v71, v219, v183 /*v439*/
	v_mul_i32_i24_e32 v82, v221, v220 /*v476*/
	s_set_vgpr_msb 0                        ;  msbs: dst=0 src0=0 src1=0 src2=0
	v_add3_u32 v8, v8, v62, v64
	v_add3_u32 v3, v3, v84, v86
	s_set_vgpr_msb 4                        ;  msbs: dst=0 src0=0 src1=1 src2=0
	v_mul_i32_i24_e32 v84, v222, v221 /*v477*/
	v_mul_i32_i24_e32 v86, v224, v222 /*v478*/
	s_set_vgpr_msb 0                        ;  msbs: dst=0 src0=0 src1=0 src2=0
	v_add3_u32 v8, v8, v66, v67
	v_add3_u32 v2, v3, v92, v133
	s_delay_alu instid0(VALU_DEP_2) | instskip(NEXT) | instid1(VALU_DEP_2)
	v_add3_u32 v8, v8, v69, v71
	v_add3_u32 v2, v2, v9, v10
	v_mul_i32_i24_e32 v9, v161, v40
	s_set_vgpr_msb 4                        ;  msbs: dst=0 src0=0 src1=1 src2=0
	v_mul_i32_i24_e32 v10, v160, v228 /*v484*/
	s_set_vgpr_msb 0                        ;  msbs: dst=0 src0=0 src1=0 src2=0
	v_add3_u32 v8, v8, v82, v84
	v_mul_lo_u32 v2, v2, v164
	s_delay_alu instid0(VALU_DEP_3) | instskip(SKIP_1) | instid1(VALU_DEP_3)
	v_add3_u32 v0, v0, v7, v10
	s_set_vgpr_msb 16                       ;  msbs: dst=0 src0=0 src1=0 src2=1
	v_add3_u32 v8, v8, v86, v160 /*v416*/
	s_delay_alu instid0(VALU_DEP_2) | instskip(NEXT) | instid1(VALU_DEP_4)
	v_mul_lo_u32 v0, v0, v163
	v_cvt_f32_i32_e32 v3, v2
	v_cvt_f32_i32_e32 v2, v1
	s_set_vgpr_msb 1                        ;  msbs: dst=0 src0=1 src1=0 src2=0
	v_mul_i32_i24_e32 v1, v224 /*v480*/, v162
	s_delay_alu instid0(VALU_DEP_2) | instskip(SKIP_1) | instid1(VALU_DEP_2)
	v_pk_fma_f32 v[2:3], v[174:175] /*v[430:431]*/, v[2:3], 0 op_sel_hi:[1,1,0]
	s_set_vgpr_msb 4                        ;  msbs: dst=0 src0=0 src1=1 src2=0
	v_add3_u32 v1, v8, v161 /*v417*/, v1
	v_cvt_f32_i32_e32 v0, v0
	s_set_vgpr_msb 0                        ;  msbs: dst=0 src0=0 src1=0 src2=0
	s_delay_alu instid0(VALU_DEP_2) | instskip(NEXT) | instid1(VALU_DEP_1)
	v_add3_u32 v1, v1, v9, v12
	v_mul_lo_u32 v1, v1, v163
	s_delay_alu instid0(VALU_DEP_1) | instskip(SKIP_1) | instid1(VALU_DEP_1)
	v_cvt_f32_i32_e32 v1, v1
	s_set_vgpr_msb 1                        ;  msbs: dst=0 src0=1 src1=0 src2=0
	v_pk_fma_f32 v[0:1], v[178:179] /*v[434:435]*/, v[0:1], v[2:3]
	s_set_vgpr_msb 4                        ;  msbs: dst=0 src0=0 src1=1 src2=0
	v_pk_fma_f32 v[2:3], v[114:115], v[170:171] /*v[426:427]*/, v[4:5] op_sel_hi:[0,1,1]
	s_set_vgpr_msb 0                        ;  msbs: dst=0 src0=0 src1=0 src2=0
	s_delay_alu instid0(VALU_DEP_1) | instskip(NEXT) | instid1(VALU_DEP_1)
	v_pk_mul_f32 v[2:3], v[2:3], v[108:109]
	v_pk_fma_f32 v[0:1], v[0:1], v[100:101], v[2:3] neg_lo:[0,0,1] neg_hi:[0,0,1]
	s_delay_alu instid0(VALU_DEP_1) | instskip(SKIP_1) | instid1(VALU_DEP_1)
	v_pk_add_f32 v[32:33], v[32:33], v[0:1]
	v_or_b32_e32 v0, s12, v141
	v_dual_lshlrev_b32 v1, 2, v0 :: v_dual_lshrrev_b32 v8, 1, v0
	ds_load_b128 v[10:13], v1 offset:16896
	ds_load_b128 v[4:7], v1 offset:16912
	s_set_vgpr_msb 64                       ;  msbs: dst=1 src0=0 src1=0 src2=0
	ds_load_b128 v[160:163] /*v[416:419]*/, v1 offset:16928
	s_set_vgpr_msb 0                        ;  msbs: dst=0 src0=0 src1=0 src2=0
	ds_load_b128 v[0:3], v1 offset:16944
	s_wait_dscnt 0x3
	v_bfe_i32 v40, v10, 0, 8
	v_bfe_i32 v52, v10, 8, 8
	;; [unrolled: 1-line block ×3, first 2 shown]
	v_ashrrev_i32_e32 v54, 24, v10
	s_wait_dscnt 0x0
	s_set_vgpr_msb 64                       ;  msbs: dst=1 src0=0 src1=0 src2=0
	v_bfe_i32 v196 /*v452*/, v1, 0, 8
	v_bfe_i32 v197 /*v453*/, v1, 8, 8
	;; [unrolled: 1-line block ×3, first 2 shown]
	v_dual_ashrrev_i32 v199 /*v455*/, 24, v1 :: v_dual_ashrrev_i32 v203 /*v459*/, 24, v2
	s_set_vgpr_msb 4                        ;  msbs: dst=0 src0=0 src1=1 src2=0
	v_mul_i32_i24_e32 v1, v40, v102 /*v358*/
	v_bfe_i32 v55, v11, 0, 8
	v_bfe_i32 v56, v11, 8, 8
	v_bfe_i32 v58, v11, 16, 8
	s_set_vgpr_msb 0                        ;  msbs: dst=0 src0=0 src1=0 src2=0
	v_ashrrev_i32_e32 v11, 24, v11
	s_set_vgpr_msb 64                       ;  msbs: dst=1 src0=0 src1=0 src2=0
	v_bfe_i32 v200 /*v456*/, v2, 0, 8
	v_bfe_i32 v201 /*v457*/, v2, 8, 8
	;; [unrolled: 1-line block ×3, first 2 shown]
	s_set_vgpr_msb 4                        ;  msbs: dst=0 src0=0 src1=1 src2=0
	v_mul_i32_i24_e32 v2, v53, v103 /*v359*/
	v_mul_i32_i24_e32 v9, v54, v104 /*v360*/
	v_mad_i32_i24 v1, v52, v101 /*v357*/, v1
	v_bfe_i32 v60, v12, 0, 8
	v_bfe_i32 v61, v12, 8, 8
	;; [unrolled: 1-line block ×3, first 2 shown]
	s_set_vgpr_msb 0                        ;  msbs: dst=0 src0=0 src1=0 src2=0
	v_dual_ashrrev_i32 v64, 24, v12 :: v_dual_ashrrev_i32 v71, 24, v13
	v_add3_u32 v1, v1, v2, v9
	s_set_vgpr_msb 4                        ;  msbs: dst=0 src0=0 src1=1 src2=0
	v_mul_i32_i24_e32 v2, v55, v105 /*v361*/
	v_mul_i32_i24_e32 v9, v56, v106 /*v362*/
	;; [unrolled: 1-line block ×4, first 2 shown]
	v_bfe_i32 v66, v13, 0, 8
	v_bfe_i32 v67, v13, 8, 8
	s_set_vgpr_msb 0                        ;  msbs: dst=0 src0=0 src1=0 src2=0
	v_add3_u32 v1, v1, v2, v9
	v_bfe_i32 v69, v13, 16, 8
	s_set_vgpr_msb 4                        ;  msbs: dst=0 src0=0 src1=1 src2=0
	v_mul_i32_i24_e32 v13, v60, v109 /*v365*/
	v_mul_i32_i24_e32 v14, v61, v110 /*v366*/
	s_set_vgpr_msb 0x41                     ;  msbs: dst=1 src0=1 src1=0 src2=0
	v_bfe_i32 v176 /*v432*/, v160 /*v416*/, 0, 8
	s_set_vgpr_msb 0                        ;  msbs: dst=0 src0=0 src1=0 src2=0
	v_add3_u32 v1, v1, v10, v12
	s_set_vgpr_msb 0x41                     ;  msbs: dst=1 src0=1 src1=0 src2=0
	v_bfe_i32 v177 /*v433*/, v160 /*v416*/, 8, 8
	v_bfe_i32 v178 /*v434*/, v160 /*v416*/, 16, 8
	s_set_vgpr_msb 0x44                     ;  msbs: dst=1 src0=0 src1=1 src2=0
	v_ashrrev_i32_e32 v179 /*v435*/, 24, v160 /*v416*/
	s_set_vgpr_msb 4                        ;  msbs: dst=0 src0=0 src1=1 src2=0
	v_mul_i32_i24_e32 v15, v62, v111 /*v367*/
	s_set_vgpr_msb 0x44                     ;  msbs: dst=1 src0=0 src1=1 src2=0
	v_mul_i32_i24_e32 v160 /*v416*/, v64, v112 /*v368*/
	s_set_vgpr_msb 0                        ;  msbs: dst=0 src0=0 src1=0 src2=0
	v_add3_u32 v1, v1, v13, v14
	s_set_vgpr_msb 0x41                     ;  msbs: dst=1 src0=1 src1=0 src2=0
	v_bfe_i32 v180 /*v436*/, v161 /*v417*/, 0, 8
	v_bfe_i32 v181 /*v437*/, v161 /*v417*/, 8, 8
	;; [unrolled: 1-line block ×3, first 2 shown]
	s_set_vgpr_msb 0x44                     ;  msbs: dst=1 src0=0 src1=1 src2=0
	v_dual_ashrrev_i32 v183 /*v439*/, 24, v161 /*v417*/ :: v_dual_ashrrev_i32 v191 /*v447*/, 24, v163 /*v419*/
	s_set_vgpr_msb 0x41                     ;  msbs: dst=1 src0=1 src1=0 src2=0
	v_bfe_i32 v184 /*v440*/, v162 /*v418*/, 0, 8
	v_bfe_i32 v185 /*v441*/, v162 /*v418*/, 8, 8
	;; [unrolled: 1-line block ×3, first 2 shown]
	s_set_vgpr_msb 0x44                     ;  msbs: dst=1 src0=0 src1=1 src2=0
	v_ashrrev_i32_e32 v187 /*v443*/, 24, v162 /*v418*/
	v_mul_i32_i24_e32 v161 /*v417*/, v66, v113 /*v369*/
	v_mul_i32_i24_e32 v162 /*v418*/, v67, v114 /*v370*/
	s_set_vgpr_msb 16                       ;  msbs: dst=0 src0=0 src1=0 src2=1
	v_add3_u32 v1, v1, v15, v160 /*v416*/
	v_bfe_i32 v82, v4, 0, 8
	v_bfe_i32 v84, v4, 8, 8
	s_set_vgpr_msb 0x44                     ;  msbs: dst=1 src0=0 src1=1 src2=0
	v_mul_i32_i24_e32 v165 /*v421*/, v69, v115 /*v371*/
	v_mul_i32_i24_e32 v166 /*v422*/, v71, v116 /*v372*/
	s_set_vgpr_msb 20                       ;  msbs: dst=0 src0=0 src1=1 src2=1
	v_add3_u32 v1, v1, v161 /*v417*/, v162 /*v418*/
	v_bfe_i32 v86, v4, 16, 8
	s_set_vgpr_msb 0                        ;  msbs: dst=0 src0=0 src1=0 src2=0
	v_ashrrev_i32_e32 v92, 24, v4
	s_set_vgpr_msb 0x44                     ;  msbs: dst=1 src0=0 src1=1 src2=0
	v_mul_i32_i24_e32 v167 /*v423*/, v82, v117 /*v373*/
	v_mul_i32_i24_e32 v168 /*v424*/, v84, v118 /*v374*/
	s_set_vgpr_msb 20                       ;  msbs: dst=0 src0=0 src1=1 src2=1
	v_add3_u32 v1, v1, v165 /*v421*/, v166 /*v422*/
	v_bfe_i32 v133, v5, 0, 8
	s_set_vgpr_msb 64                       ;  msbs: dst=1 src0=0 src1=0 src2=0
	v_bfe_i32 v169 /*v425*/, v5, 8, 8
	v_bfe_i32 v170 /*v426*/, v5, 16, 8
	s_set_vgpr_msb 0                        ;  msbs: dst=0 src0=0 src1=0 src2=0
	v_ashrrev_i32_e32 v5, 24, v5
	s_set_vgpr_msb 0x41                     ;  msbs: dst=1 src0=1 src1=0 src2=0
	v_mul_i32_i24_e32 v205 /*v461*/, v120 /*v376*/, v86
	v_mul_i32_i24_e32 v206 /*v462*/, v119 /*v375*/, v92
	s_set_vgpr_msb 20                       ;  msbs: dst=0 src0=0 src1=1 src2=1
	v_add3_u32 v1, v1, v167 /*v423*/, v168 /*v424*/
	s_set_vgpr_msb 0x41                     ;  msbs: dst=1 src0=1 src1=0 src2=0
	v_mul_i32_i24_e32 v207 /*v463*/, v122 /*v378*/, v133
	s_set_vgpr_msb 0x45                     ;  msbs: dst=1 src0=1 src1=1 src2=0
	v_mul_i32_i24_e32 v208 /*v464*/, v121 /*v377*/, v169 /*v425*/
	s_set_vgpr_msb 64                       ;  msbs: dst=1 src0=0 src1=0 src2=0
	v_bfe_i32 v171 /*v427*/, v6, 0, 8
	v_bfe_i32 v172 /*v428*/, v6, 8, 8
	s_set_vgpr_msb 20                       ;  msbs: dst=0 src0=0 src1=1 src2=1
	v_add3_u32 v1, v1, v205 /*v461*/, v206 /*v462*/
	s_set_vgpr_msb 0x45                     ;  msbs: dst=1 src0=1 src1=1 src2=0
	v_mul_i32_i24_e32 v209 /*v465*/, v124 /*v380*/, v170 /*v426*/
	s_set_vgpr_msb 0x41                     ;  msbs: dst=1 src0=1 src1=0 src2=0
	v_mul_i32_i24_e32 v210 /*v466*/, v123 /*v379*/, v5
	s_set_vgpr_msb 64                       ;  msbs: dst=1 src0=0 src1=0 src2=0
	v_bfe_i32 v173 /*v429*/, v6, 16, 8
	s_set_vgpr_msb 0                        ;  msbs: dst=0 src0=0 src1=0 src2=0
	v_ashrrev_i32_e32 v6, 24, v6
	s_set_vgpr_msb 20                       ;  msbs: dst=0 src0=0 src1=1 src2=1
	v_add3_u32 v1, v1, v207 /*v463*/, v208 /*v464*/
	s_set_vgpr_msb 0x45                     ;  msbs: dst=1 src0=1 src1=1 src2=0
	v_mul_i32_i24_e32 v211 /*v467*/, v132 /*v388*/, v171 /*v427*/
	v_mul_i32_i24_e32 v212 /*v468*/, v125 /*v381*/, v172 /*v428*/
	;; [unrolled: 1-line block ×3, first 2 shown]
	s_set_vgpr_msb 0x41                     ;  msbs: dst=1 src0=1 src1=0 src2=0
	v_mul_i32_i24_e32 v214 /*v470*/, v133 /*v389*/, v6
	s_set_vgpr_msb 20                       ;  msbs: dst=0 src0=0 src1=1 src2=1
	v_add3_u32 v1, v1, v209 /*v465*/, v210 /*v466*/
	s_set_vgpr_msb 5                        ;  msbs: dst=0 src0=1 src1=1 src2=0
	v_mul_i32_i24_e32 v2, v140 /*v396*/, v178 /*v434*/
	v_mul_i32_i24_e32 v9, v134 /*v390*/, v179 /*v435*/
	;; [unrolled: 1-line block ×4, first 2 shown]
	s_set_vgpr_msb 20                       ;  msbs: dst=0 src0=0 src1=1 src2=1
	v_add3_u32 v1, v1, v211 /*v467*/, v212 /*v468*/
	s_set_vgpr_msb 5                        ;  msbs: dst=0 src0=1 src1=1 src2=0
	v_mul_i32_i24_e32 v13, v147 /*v403*/, v184 /*v440*/
	v_mul_i32_i24_e32 v14, v146 /*v402*/, v185 /*v441*/
	s_set_vgpr_msb 0x41                     ;  msbs: dst=1 src0=1 src1=0 src2=0
	v_bfe_i32 v188 /*v444*/, v163 /*v419*/, 0, 8
	v_bfe_i32 v189 /*v445*/, v163 /*v419*/, 8, 8
	s_set_vgpr_msb 0x54                     ;  msbs: dst=1 src0=0 src1=1 src2=1
	v_add3_u32 v166 /*v422*/, v1, v213 /*v469*/, v214 /*v470*/
	s_set_vgpr_msb 5                        ;  msbs: dst=0 src0=1 src1=1 src2=0
	v_mul_i32_i24_e32 v1, v141 /*v397*/, v176 /*v432*/
	v_mul_i32_i24_e32 v15, v145 /*v401*/, v186 /*v442*/
	s_set_vgpr_msb 0x45                     ;  msbs: dst=1 src0=1 src1=1 src2=0
	v_mul_i32_i24_e32 v160 /*v416*/, v127 /*v383*/, v187 /*v443*/
	v_bfe_i32 v190 /*v446*/, v163 /*v419*/, 16, 8
	v_mul_i32_i24_e32 v161 /*v417*/, v150 /*v406*/, v188 /*v444*/
	s_set_vgpr_msb 5                        ;  msbs: dst=0 src0=1 src1=1 src2=0
	v_mad_i32_i24 v1, v139 /*v395*/, v177 /*v433*/, v1
	s_set_vgpr_msb 0x45                     ;  msbs: dst=1 src0=1 src1=1 src2=0
	v_mul_i32_i24_e32 v162 /*v418*/, v149 /*v405*/, v189 /*v445*/
	s_set_vgpr_msb 64                       ;  msbs: dst=1 src0=0 src1=0 src2=0
	v_bfe_i32 v192 /*v448*/, v0, 0, 8
	v_bfe_i32 v193 /*v449*/, v0, 8, 8
	s_set_vgpr_msb 0x45                     ;  msbs: dst=1 src0=1 src1=1 src2=0
	v_mul_i32_i24_e32 v165 /*v421*/, v148 /*v404*/, v190 /*v446*/
	s_set_vgpr_msb 0                        ;  msbs: dst=0 src0=0 src1=0 src2=0
	v_add3_u32 v1, v1, v2, v9
	s_set_vgpr_msb 5                        ;  msbs: dst=0 src0=1 src1=1 src2=0
	v_mul_i32_i24_e32 v2, v144 /*v400*/, v180 /*v436*/
	v_mul_i32_i24_e32 v9, v143 /*v399*/, v181 /*v437*/
	s_set_vgpr_msb 0x45                     ;  msbs: dst=1 src0=1 src1=1 src2=0
	v_mul_i32_i24_e32 v168 /*v424*/, v128 /*v384*/, v191 /*v447*/
	s_set_vgpr_msb 64                       ;  msbs: dst=1 src0=0 src1=0 src2=0
	v_bfe_i32 v194 /*v450*/, v0, 16, 8
	v_ashrrev_i32_e32 v195 /*v451*/, 24, v0
	s_set_vgpr_msb 0x45                     ;  msbs: dst=1 src0=1 src1=1 src2=0
	v_mul_i32_i24_e32 v205 /*v461*/, v153 /*v409*/, v192 /*v448*/
	s_set_vgpr_msb 0                        ;  msbs: dst=0 src0=0 src1=0 src2=0
	v_add3_u32 v1, v1, v2, v9
	s_set_vgpr_msb 0x45                     ;  msbs: dst=1 src0=1 src1=1 src2=0
	v_mul_i32_i24_e32 v206 /*v462*/, v152 /*v408*/, v193 /*v449*/
	v_mul_i32_i24_e32 v207 /*v463*/, v151 /*v407*/, v194 /*v450*/
	v_mul_i32_i24_e32 v208 /*v464*/, v129 /*v385*/, v195 /*v451*/
	v_mul_i32_i24_e32 v209 /*v465*/, v156 /*v412*/, v196 /*v452*/
	s_set_vgpr_msb 0                        ;  msbs: dst=0 src0=0 src1=0 src2=0
	v_add3_u32 v1, v1, v10, v12
	s_set_vgpr_msb 0x45                     ;  msbs: dst=1 src0=1 src1=1 src2=0
	v_mul_i32_i24_e32 v210 /*v466*/, v155 /*v411*/, v197 /*v453*/
	v_mul_i32_i24_e32 v211 /*v467*/, v154 /*v410*/, v198 /*v454*/
	v_mul_i32_i24_e32 v212 /*v468*/, v130 /*v386*/, v199 /*v455*/
	;; [unrolled: 7-line block ×3, first 2 shown]
	s_set_vgpr_msb 4                        ;  msbs: dst=0 src0=0 src1=1 src2=0
	v_mul_i32_i24_e32 v2, v53, v44 /*v300*/
	s_set_vgpr_msb 16                       ;  msbs: dst=0 src0=0 src1=0 src2=1
	v_add3_u32 v1, v1, v15, v160 /*v416*/
	s_set_vgpr_msb 20                       ;  msbs: dst=0 src0=0 src1=1 src2=1
	v_mul_i32_i24_e32 v9, v54, v45 /*v301*/
	v_mul_i32_i24_e32 v10, v58, v48 /*v304*/
	;; [unrolled: 1-line block ×4, first 2 shown]
	v_add3_u32 v1, v1, v161 /*v417*/, v162 /*v418*/
	s_set_vgpr_msb 0x44                     ;  msbs: dst=1 src0=0 src1=1 src2=0
	v_mul_i32_i24_e32 v160 /*v416*/, v61, v51 /*v307*/
	v_mul_i32_i24_e32 v161 /*v417*/, v62, v52 /*v308*/
	;; [unrolled: 1-line block ×3, first 2 shown]
	s_set_vgpr_msb 0x45                     ;  msbs: dst=1 src0=1 src1=1 src2=0
	v_mul_i32_i24_e32 v217 /*v473*/, v66 /*v322*/, v172 /*v428*/
	s_set_vgpr_msb 20                       ;  msbs: dst=0 src0=0 src1=1 src2=1
	v_add3_u32 v1, v1, v165 /*v421*/, v168 /*v424*/
	s_set_vgpr_msb 0x44                     ;  msbs: dst=1 src0=0 src1=1 src2=0
	v_mul_i32_i24_e32 v165 /*v421*/, v66, v54 /*v310*/
	s_set_vgpr_msb 0x45                     ;  msbs: dst=1 src0=1 src1=1 src2=0
	v_mul_i32_i24_e32 v218 /*v474*/, v70 /*v326*/, v173 /*v429*/
	s_set_vgpr_msb 0x41                     ;  msbs: dst=1 src0=1 src1=0 src2=0
	v_mul_i32_i24_e32 v219 /*v475*/, v68 /*v324*/, v6
	s_set_vgpr_msb 0x45                     ;  msbs: dst=1 src0=1 src1=1 src2=0
	v_mul_i32_i24_e32 v220 /*v476*/, v99 /*v355*/, v202 /*v458*/
	s_set_vgpr_msb 20                       ;  msbs: dst=0 src0=0 src1=1 src2=1
	v_add3_u32 v1, v1, v205 /*v461*/, v206 /*v462*/
	s_set_vgpr_msb 0x44                     ;  msbs: dst=1 src0=0 src1=1 src2=0
	v_mul_i32_i24_e32 v205 /*v461*/, v67, v55 /*v311*/
	v_mul_i32_i24_e32 v206 /*v462*/, v69, v56 /*v312*/
	s_set_vgpr_msb 0x45                     ;  msbs: dst=1 src0=1 src1=1 src2=0
	v_mul_i32_i24_e32 v221 /*v477*/, v98 /*v354*/, v203 /*v459*/
	s_set_vgpr_msb 0x44                     ;  msbs: dst=1 src0=0 src1=1 src2=0
	v_mul_i32_i24_e32 v222 /*v478*/, v253, v172 /*v428*/
	s_set_vgpr_msb 20                       ;  msbs: dst=0 src0=0 src1=1 src2=1
	v_add3_u32 v1, v1, v207 /*v463*/, v208 /*v464*/
	s_set_vgpr_msb 0x44                     ;  msbs: dst=1 src0=0 src1=1 src2=0
	v_mul_i32_i24_e32 v207 /*v463*/, v71, v57 /*v313*/
	v_mul_i32_i24_e32 v208 /*v464*/, v82, v58 /*v314*/
	s_set_vgpr_msb 0x45                     ;  msbs: dst=1 src0=1 src1=1 src2=0
	v_mul_i32_i24_e32 v223 /*v479*/, v1 /*v257*/, v173 /*v429*/
	s_set_vgpr_msb 64                       ;  msbs: dst=1 src0=0 src1=0 src2=0
	v_mul_i32_i24_e32 v224 /*v480*/, v255, v6
	s_set_vgpr_msb 20                       ;  msbs: dst=0 src0=0 src1=1 src2=1
	v_add3_u32 v1, v1, v209 /*v465*/, v210 /*v466*/
	s_set_vgpr_msb 0x44                     ;  msbs: dst=1 src0=0 src1=1 src2=0
	v_mul_i32_i24_e32 v209 /*v465*/, v84, v59 /*v315*/
	s_set_vgpr_msb 0x41                     ;  msbs: dst=1 src0=1 src1=0 src2=0
	v_mul_i32_i24_e32 v210 /*v466*/, v61 /*v317*/, v86
	s_set_vgpr_msb 0x45                     ;  msbs: dst=1 src0=1 src1=1 src2=0
	v_mul_i32_i24_e32 v225 /*v481*/, v30 /*v286*/, v202 /*v458*/
	v_mul_i32_i24_e32 v226 /*v482*/, v29 /*v285*/, v203 /*v459*/
	s_set_vgpr_msb 20                       ;  msbs: dst=0 src0=0 src1=1 src2=1
	v_add3_u32 v1, v1, v211 /*v467*/, v212 /*v468*/
	s_set_vgpr_msb 0x41                     ;  msbs: dst=1 src0=1 src1=0 src2=0
	v_mul_i32_i24_e32 v211 /*v467*/, v60 /*v316*/, v92
	v_mul_i32_i24_e32 v212 /*v468*/, v63 /*v319*/, v133
	s_set_vgpr_msb 0                        ;  msbs: dst=0 src0=0 src1=0 src2=0
	v_mul_i32_i24_e32 v6, v193, v6
	s_set_vgpr_msb 64                       ;  msbs: dst=1 src0=0 src1=0 src2=0
	v_bfe_i32 v174 /*v430*/, v7, 0, 8
	s_set_vgpr_msb 20                       ;  msbs: dst=0 src0=0 src1=1 src2=1
	v_add3_u32 v1, v1, v213 /*v469*/, v214 /*v470*/
	s_set_vgpr_msb 0x45                     ;  msbs: dst=1 src0=1 src1=1 src2=0
	v_mul_i32_i24_e32 v213 /*v469*/, v62 /*v318*/, v169 /*v425*/
	v_mul_i32_i24_e32 v214 /*v470*/, v65 /*v321*/, v170 /*v426*/
	s_set_vgpr_msb 64                       ;  msbs: dst=1 src0=0 src1=0 src2=0
	v_bfe_i32 v175 /*v431*/, v7, 8, 8
	s_set_vgpr_msb 0                        ;  msbs: dst=0 src0=0 src1=0 src2=0
	v_bfe_i32 v4, v7, 16, 8
	s_set_vgpr_msb 0x54                     ;  msbs: dst=1 src0=0 src1=1 src2=1
	v_add3_u32 v168 /*v424*/, v1, v215 /*v471*/, v216 /*v472*/
	s_set_vgpr_msb 4                        ;  msbs: dst=0 src0=0 src1=1 src2=0
	v_mul_i32_i24_e32 v1, v40, v43 /*v299*/
	s_set_vgpr_msb 0x41                     ;  msbs: dst=1 src0=1 src1=0 src2=0
	v_mul_i32_i24_e32 v215 /*v471*/, v64 /*v320*/, v5
	s_set_vgpr_msb 0x45                     ;  msbs: dst=1 src0=1 src1=1 src2=0
	v_mul_i32_i24_e32 v216 /*v472*/, v67 /*v323*/, v171 /*v427*/
	v_mul_i32_i24_e32 v163 /*v419*/, v174 /*v430*/, v137 /*v393*/
	;; [unrolled: 1-line block ×3, first 2 shown]
	s_set_vgpr_msb 4                        ;  msbs: dst=0 src0=0 src1=1 src2=0
	v_mad_i32_i24 v1, v52, v42 /*v298*/, v1
	s_set_vgpr_msb 5                        ;  msbs: dst=0 src0=1 src1=1 src2=0
	v_mul_i32_i24_e32 v14, v174 /*v430*/, v74 /*v330*/
	v_mul_i32_i24_e32 v15, v175 /*v431*/, v76 /*v332*/
	s_set_vgpr_msb 64                       ;  msbs: dst=1 src0=0 src1=0 src2=0
	v_bfe_i32 v204 /*v460*/, v3, 0, 8
	s_set_vgpr_msb 0                        ;  msbs: dst=0 src0=0 src1=0 src2=0
	v_bfe_i32 v0, v3, 8, 8
	v_add3_u32 v1, v1, v2, v9
	s_set_vgpr_msb 4                        ;  msbs: dst=0 src0=0 src1=1 src2=0
	v_mul_i32_i24_e32 v2, v55, v46 /*v302*/
	v_mul_i32_i24_e32 v9, v56, v47 /*v303*/
	s_set_vgpr_msb 0x55                     ;  msbs: dst=1 src0=1 src1=1 src2=1
	v_mul_i32_i24_e32 v167 /*v423*/, v204 /*v460*/, v135 /*v391*/
	v_add3_u32 v163 /*v419*/, v166 /*v422*/, v163 /*v419*/, v164 /*v420*/
	s_set_vgpr_msb 0                        ;  msbs: dst=0 src0=0 src1=0 src2=0
	v_ashrrev_i32_e32 v7, 24, v7
	v_add3_u32 v1, v1, v2, v9
	s_set_vgpr_msb 5                        ;  msbs: dst=0 src0=1 src1=1 src2=0
	v_mul_i32_i24_e32 v2, v178 /*v434*/, v69 /*v325*/
	v_mul_i32_i24_e32 v9, v179 /*v435*/, v75 /*v331*/
	s_set_vgpr_msb 0                        ;  msbs: dst=0 src0=0 src1=0 src2=0
	v_add3_u32 v1, v1, v10, v12
	s_set_vgpr_msb 5                        ;  msbs: dst=0 src0=1 src1=1 src2=0
	v_mul_i32_i24_e32 v10, v182 /*v438*/, v73 /*v329*/
	v_mul_i32_i24_e32 v12, v183 /*v439*/, v80 /*v336*/
	s_set_vgpr_msb 16                       ;  msbs: dst=0 src0=0 src1=0 src2=1
	v_add3_u32 v1, v1, v13, v160 /*v416*/
	s_set_vgpr_msb 5                        ;  msbs: dst=0 src0=1 src1=1 src2=0
	v_mul_i32_i24_e32 v13, v184 /*v440*/, v81 /*v337*/
	s_set_vgpr_msb 0x45                     ;  msbs: dst=1 src0=1 src1=1 src2=0
	v_mul_i32_i24_e32 v160 /*v416*/, v185 /*v441*/, v82 /*v338*/
	s_set_vgpr_msb 20                       ;  msbs: dst=0 src0=0 src1=1 src2=1
	v_add3_u32 v1, v1, v161 /*v417*/, v162 /*v418*/
	s_set_vgpr_msb 0x45                     ;  msbs: dst=1 src0=1 src1=1 src2=0
	v_mul_i32_i24_e32 v162 /*v418*/, v204 /*v460*/, v100 /*v356*/
	s_set_vgpr_msb 20                       ;  msbs: dst=0 src0=0 src1=1 src2=1
	s_delay_alu instid0(VALU_DEP_2)
	v_add3_u32 v1, v1, v165 /*v421*/, v205 /*v461*/
	s_set_vgpr_msb 0x45                     ;  msbs: dst=1 src0=1 src1=1 src2=0
	v_mul_i32_i24_e32 v165 /*v421*/, v186 /*v442*/, v79 /*v335*/
	v_mul_i32_i24_e32 v205 /*v461*/, v187 /*v443*/, v84 /*v340*/
	s_set_vgpr_msb 20                       ;  msbs: dst=0 src0=0 src1=1 src2=1
	v_add3_u32 v1, v1, v206 /*v462*/, v207 /*v463*/
	s_set_vgpr_msb 0x45                     ;  msbs: dst=1 src0=1 src1=1 src2=0
	v_mul_i32_i24_e32 v206 /*v462*/, v188 /*v444*/, v85 /*v341*/
	v_mul_i32_i24_e32 v207 /*v463*/, v189 /*v445*/, v86 /*v342*/
	s_set_vgpr_msb 20                       ;  msbs: dst=0 src0=0 src1=1 src2=1
	;; [unrolled: 5-line block ×6, first 2 shown]
	v_add3_u32 v1, v1, v216 /*v472*/, v217 /*v473*/
	s_set_vgpr_msb 0x45                     ;  msbs: dst=1 src0=1 src1=1 src2=0
	v_mul_i32_i24_e32 v216 /*v472*/, v95 /*v351*/, v198 /*v454*/
	v_mul_i32_i24_e32 v217 /*v473*/, v94 /*v350*/, v199 /*v455*/
	s_set_vgpr_msb 0x54                     ;  msbs: dst=1 src0=0 src1=1 src2=1
	v_add3_u32 v161 /*v417*/, v1, v218 /*v474*/, v219 /*v475*/
	s_set_vgpr_msb 5                        ;  msbs: dst=0 src0=1 src1=1 src2=0
	v_mul_i32_i24_e32 v1, v176 /*v432*/, v72 /*v328*/
	s_set_vgpr_msb 0x45                     ;  msbs: dst=1 src0=1 src1=1 src2=0
	v_mul_i32_i24_e32 v218 /*v474*/, v96 /*v352*/, v200 /*v456*/
	v_mul_i32_i24_e32 v219 /*v475*/, v97 /*v353*/, v201 /*v457*/
	s_set_vgpr_msb 1                        ;  msbs: dst=0 src0=1 src1=0 src2=0
	v_add3_u32 v14, v161 /*v417*/, v14, v15
	s_set_vgpr_msb 5                        ;  msbs: dst=0 src0=1 src1=1 src2=0
	v_mad_i32_i24 v1, v177 /*v433*/, v71 /*v327*/, v1
	s_set_vgpr_msb 64                       ;  msbs: dst=1 src0=0 src1=0 src2=0
	v_mul_i32_i24_e32 v161 /*v417*/, v0, v158
	s_set_vgpr_msb 0                        ;  msbs: dst=0 src0=0 src1=0 src2=0
	s_delay_alu instid0(VALU_DEP_2) | instskip(SKIP_4) | instid1(VALU_DEP_1)
	v_add3_u32 v1, v1, v2, v9
	s_set_vgpr_msb 5                        ;  msbs: dst=0 src0=1 src1=1 src2=0
	v_mul_i32_i24_e32 v2, v180 /*v436*/, v77 /*v333*/
	v_mul_i32_i24_e32 v9, v181 /*v437*/, v78 /*v334*/
	s_set_vgpr_msb 0                        ;  msbs: dst=0 src0=0 src1=0 src2=0
	v_add3_u32 v1, v1, v2, v9
	v_mul_i32_i24_e32 v2, v53, v231
	v_mul_i32_i24_e32 v9, v54, v232
	s_delay_alu instid0(VALU_DEP_3)
	v_add3_u32 v1, v1, v10, v12
	v_mul_i32_i24_e32 v12, v56, v234
	s_set_vgpr_msb 5                        ;  msbs: dst=0 src0=1 src1=1 src2=0
	v_mul_i32_i24_e32 v10, v175 /*v431*/, v7 /*v263*/
	s_set_vgpr_msb 16                       ;  msbs: dst=0 src0=0 src1=0 src2=1
	v_add3_u32 v1, v1, v13, v160 /*v416*/
	v_mul_i32_i24_e32 v13, v58, v235
	s_set_vgpr_msb 64                       ;  msbs: dst=1 src0=0 src1=0 src2=0
	v_mul_i32_i24_e32 v160 /*v416*/, v11, v236
	s_set_vgpr_msb 0                        ;  msbs: dst=0 src0=0 src1=0 src2=0
	v_mul_i32_i24_e32 v11, v11, v174
	s_set_vgpr_msb 20                       ;  msbs: dst=0 src0=0 src1=1 src2=1
	v_add3_u32 v1, v1, v165 /*v421*/, v205 /*v461*/
	s_set_vgpr_msb 64                       ;  msbs: dst=1 src0=0 src1=0 src2=0
	v_mul_i32_i24_e32 v205 /*v461*/, v60, v237
	s_set_vgpr_msb 20                       ;  msbs: dst=0 src0=0 src1=1 src2=1
	s_delay_alu instid0(VALU_DEP_2)
	v_add3_u32 v1, v1, v206 /*v462*/, v207 /*v463*/
	s_set_vgpr_msb 64                       ;  msbs: dst=1 src0=0 src1=0 src2=0
	v_mul_i32_i24_e32 v206 /*v462*/, v61, v238
	v_mul_i32_i24_e32 v207 /*v463*/, v62, v239
	s_set_vgpr_msb 20                       ;  msbs: dst=0 src0=0 src1=1 src2=1
	v_add3_u32 v1, v1, v208 /*v464*/, v209 /*v465*/
	s_set_vgpr_msb 64                       ;  msbs: dst=1 src0=0 src1=0 src2=0
	v_mul_i32_i24_e32 v208 /*v464*/, v64, v240
	v_mul_i32_i24_e32 v209 /*v465*/, v66, v241
	s_set_vgpr_msb 20                       ;  msbs: dst=0 src0=0 src1=1 src2=1
	v_add3_u32 v1, v1, v210 /*v466*/, v211 /*v467*/
	s_set_vgpr_msb 64                       ;  msbs: dst=1 src0=0 src1=0 src2=0
	v_mul_i32_i24_e32 v210 /*v466*/, v67, v242
	v_mul_i32_i24_e32 v211 /*v467*/, v69, v243
	s_set_vgpr_msb 20                       ;  msbs: dst=0 src0=0 src1=1 src2=1
	v_add3_u32 v1, v1, v212 /*v468*/, v213 /*v469*/
	s_set_vgpr_msb 64                       ;  msbs: dst=1 src0=0 src1=0 src2=0
	v_mul_i32_i24_e32 v212 /*v468*/, v71, v244
	v_mul_i32_i24_e32 v213 /*v469*/, v82, v245
	s_set_vgpr_msb 20                       ;  msbs: dst=0 src0=0 src1=1 src2=1
	v_add3_u32 v1, v1, v214 /*v470*/, v215 /*v471*/
	s_set_vgpr_msb 64                       ;  msbs: dst=1 src0=0 src1=0 src2=0
	v_mul_i32_i24_e32 v214 /*v470*/, v84, v246
	v_mul_i32_i24_e32 v215 /*v471*/, v248, v86
	s_set_vgpr_msb 20                       ;  msbs: dst=0 src0=0 src1=1 src2=1
	v_add3_u32 v1, v1, v216 /*v472*/, v217 /*v473*/
	s_set_vgpr_msb 64                       ;  msbs: dst=1 src0=0 src1=0 src2=0
	v_mul_i32_i24_e32 v216 /*v472*/, v247, v92
	v_mul_i32_i24_e32 v217 /*v473*/, v250, v133
	s_set_vgpr_msb 20                       ;  msbs: dst=0 src0=0 src1=1 src2=1
	v_add3_u32 v1, v1, v218 /*v474*/, v219 /*v475*/
	s_set_vgpr_msb 0x54                     ;  msbs: dst=1 src0=0 src1=1 src2=1
	v_mul_i32_i24_e32 v218 /*v474*/, v249, v169 /*v425*/
	v_mul_i32_i24_e32 v219 /*v475*/, v252, v170 /*v426*/
	s_delay_alu instid0(VALU_DEP_3)
	v_add3_u32 v165 /*v421*/, v1, v220 /*v476*/, v221 /*v477*/
	s_set_vgpr_msb 0                        ;  msbs: dst=0 src0=0 src1=0 src2=0
	v_mul_i32_i24_e32 v1, v40, v230
	s_set_vgpr_msb 64                       ;  msbs: dst=1 src0=0 src1=0 src2=0
	v_mul_i32_i24_e32 v220 /*v476*/, v251, v5
	s_set_vgpr_msb 0x44                     ;  msbs: dst=1 src0=0 src1=1 src2=0
	v_mul_i32_i24_e32 v221 /*v477*/, v254, v171 /*v427*/
	s_set_vgpr_msb 0                        ;  msbs: dst=0 src0=0 src1=0 src2=0
	v_mul_i32_i24_e32 v5, v189, v5
	s_set_vgpr_msb 0x55                     ;  msbs: dst=1 src0=1 src1=1 src2=1
	v_add3_u32 v161 /*v417*/, v165 /*v421*/, v162 /*v418*/, v161 /*v417*/
	s_set_vgpr_msb 0                        ;  msbs: dst=0 src0=0 src1=0 src2=0
	v_mad_i32_i24 v1, v52, v229, v1
	s_delay_alu instid0(VALU_DEP_1) | instskip(SKIP_4) | instid1(VALU_DEP_2)
	v_add3_u32 v1, v1, v2, v9
	v_mul_i32_i24_e32 v2, v55, v233
	s_set_vgpr_msb 5                        ;  msbs: dst=0 src0=1 src1=1 src2=0
	v_mul_i32_i24_e32 v9, v174 /*v430*/, v5 /*v261*/
	s_set_vgpr_msb 0                        ;  msbs: dst=0 src0=0 src1=0 src2=0
	v_add3_u32 v1, v1, v2, v12
	s_set_vgpr_msb 5                        ;  msbs: dst=0 src0=1 src1=1 src2=0
	v_mul_i32_i24_e32 v2, v178 /*v434*/, v0 /*v256*/
	s_set_vgpr_msb 16                       ;  msbs: dst=0 src0=0 src1=0 src2=1
	s_delay_alu instid0(VALU_DEP_2)
	v_add3_u32 v1, v1, v13, v160 /*v416*/
	s_set_vgpr_msb 5                        ;  msbs: dst=0 src0=1 src1=1 src2=0
	v_mul_i32_i24_e32 v13, v179 /*v435*/, v6 /*v262*/
	s_set_vgpr_msb 0x45                     ;  msbs: dst=1 src0=1 src1=1 src2=0
	v_mul_i32_i24_e32 v160 /*v416*/, v181 /*v437*/, v9 /*v265*/
	s_set_vgpr_msb 20                       ;  msbs: dst=0 src0=0 src1=1 src2=1
	v_add3_u32 v1, v1, v205 /*v461*/, v206 /*v462*/
	s_set_vgpr_msb 0x45                     ;  msbs: dst=1 src0=1 src1=1 src2=0
	v_mul_i32_i24_e32 v205 /*v461*/, v182 /*v438*/, v4 /*v260*/
	v_mul_i32_i24_e32 v206 /*v462*/, v183 /*v439*/, v11 /*v267*/
	s_set_vgpr_msb 20                       ;  msbs: dst=0 src0=0 src1=1 src2=1
	v_add3_u32 v1, v1, v207 /*v463*/, v208 /*v464*/
	s_set_vgpr_msb 0x45                     ;  msbs: dst=1 src0=1 src1=1 src2=0
	v_mul_i32_i24_e32 v207 /*v463*/, v184 /*v440*/, v12 /*v268*/
	;; [unrolled: 5-line block ×9, first 2 shown]
	v_mul_i32_i24_e32 v222 /*v478*/, v25 /*v281*/, v199 /*v455*/
	s_set_vgpr_msb 20                       ;  msbs: dst=0 src0=0 src1=1 src2=1
	v_add3_u32 v12, v1, v223 /*v479*/, v224 /*v480*/
	s_set_vgpr_msb 5                        ;  msbs: dst=0 src0=1 src1=1 src2=0
	v_mul_i32_i24_e32 v1, v176 /*v432*/, v3 /*v259*/
	s_set_vgpr_msb 0x45                     ;  msbs: dst=1 src0=1 src1=1 src2=0
	v_mul_i32_i24_e32 v223 /*v479*/, v27 /*v283*/, v200 /*v456*/
	v_mul_i32_i24_e32 v224 /*v480*/, v28 /*v284*/, v201 /*v457*/
	s_set_vgpr_msb 0                        ;  msbs: dst=0 src0=0 src1=0 src2=0
	v_add3_u32 v9, v12, v9, v10
	s_set_vgpr_msb 5                        ;  msbs: dst=0 src0=1 src1=1 src2=0
	v_mad_i32_i24 v1, v177 /*v433*/, v2 /*v258*/, v1
	s_set_vgpr_msb 0                        ;  msbs: dst=0 src0=0 src1=0 src2=0
	v_mul_i32_i24_e32 v10, v0, v115
	s_delay_alu instid0(VALU_DEP_2) | instskip(SKIP_4) | instid1(VALU_DEP_2)
	v_add3_u32 v1, v1, v2, v13
	s_set_vgpr_msb 5                        ;  msbs: dst=0 src0=1 src1=1 src2=0
	v_mul_i32_i24_e32 v2, v180 /*v436*/, v8 /*v264*/
	v_mul_i32_i24_e32 v13, v204 /*v460*/, v31 /*v287*/
	s_set_vgpr_msb 16                       ;  msbs: dst=0 src0=0 src1=0 src2=1
	v_add3_u32 v1, v1, v2, v160 /*v416*/
	v_mul_i32_i24_e32 v2, v53, v169
	v_mul_i32_i24_e32 v53, v56, v172
	;; [unrolled: 1-line block ×4, first 2 shown]
	s_set_vgpr_msb 20                       ;  msbs: dst=0 src0=0 src1=1 src2=1
	v_add3_u32 v1, v1, v205 /*v461*/, v206 /*v462*/
	s_set_vgpr_msb 0                        ;  msbs: dst=0 src0=0 src1=0 src2=0
	v_mul_i32_i24_e32 v66, v71, v182
	v_mul_i32_i24_e32 v71, v186, v86
	s_set_vgpr_msb 4                        ;  msbs: dst=0 src0=0 src1=1 src2=0
	v_mul_i32_i24_e32 v86, v187, v169 /*v425*/
	s_set_vgpr_msb 0x44                     ;  msbs: dst=1 src0=0 src1=1 src2=0
	v_mul_i32_i24_e32 v169 /*v425*/, v191, v172 /*v428*/
	s_set_vgpr_msb 20                       ;  msbs: dst=0 src0=0 src1=1 src2=1
	v_add3_u32 v1, v1, v207 /*v463*/, v208 /*v464*/
	s_set_vgpr_msb 0x44                     ;  msbs: dst=1 src0=0 src1=1 src2=0
	v_mul_i32_i24_e32 v172 /*v428*/, v223, v203 /*v459*/
	s_set_vgpr_msb 20                       ;  msbs: dst=0 src0=0 src1=1 src2=1
	s_delay_alu instid0(VALU_DEP_2) | instskip(NEXT) | instid1(VALU_DEP_1)
	v_add3_u32 v1, v1, v209 /*v465*/, v210 /*v466*/
	v_add3_u32 v1, v1, v211 /*v467*/, v212 /*v468*/
	s_delay_alu instid0(VALU_DEP_1) | instskip(NEXT) | instid1(VALU_DEP_1)
	v_add3_u32 v1, v1, v213 /*v469*/, v214 /*v470*/
	v_add3_u32 v1, v1, v215 /*v471*/, v216 /*v472*/
	s_delay_alu instid0(VALU_DEP_1) | instskip(NEXT) | instid1(VALU_DEP_1)
	;; [unrolled: 3-line block ×3, first 2 shown]
	v_add3_u32 v1, v1, v221 /*v477*/, v222 /*v478*/
	v_add3_u32 v1, v1, v223 /*v479*/, v224 /*v480*/
	s_set_vgpr_msb 0x54                     ;  msbs: dst=1 src0=0 src1=1 src2=1
	s_delay_alu instid0(VALU_DEP_1)
	v_add3_u32 v160 /*v416*/, v1, v225 /*v481*/, v226 /*v482*/
	s_set_vgpr_msb 0                        ;  msbs: dst=0 src0=0 src1=0 src2=0
	v_mul_i32_i24_e32 v1, v40, v168
	v_mul_i32_i24_e32 v40, v54, v170
	;; [unrolled: 1-line block ×5, first 2 shown]
	v_mad_i32_i24 v1, v52, v167, v1
	v_mul_i32_i24_e32 v52, v55, v171
	v_mul_i32_i24_e32 v55, v60, v175
	;; [unrolled: 1-line block ×4, first 2 shown]
	v_add3_u32 v40, v1, v2, v40
	v_mul_i32_i24_e32 v67, v82, v183
	v_mul_i32_i24_e32 v69, v84, v184
	;; [unrolled: 1-line block ×4, first 2 shown]
	v_add3_u32 v40, v40, v52, v53
	s_set_vgpr_msb 4                        ;  msbs: dst=0 src0=0 src1=1 src2=0
	v_mul_i32_i24_e32 v92, v190, v170 /*v426*/
	v_mul_i32_i24_e32 v133, v192, v171 /*v427*/
	s_set_vgpr_msb 0x44                     ;  msbs: dst=1 src0=0 src1=1 src2=0
	v_mul_i32_i24_e32 v170 /*v426*/, v195, v173 /*v429*/
	s_set_vgpr_msb 1                        ;  msbs: dst=0 src0=1 src1=0 src2=0
	v_mul_i32_i24_e32 v52, v181 /*v437*/, v203
	s_set_vgpr_msb 0                        ;  msbs: dst=0 src0=0 src1=0 src2=0
	v_add3_u32 v11, v40, v54, v11
	s_set_vgpr_msb 1                        ;  msbs: dst=0 src0=1 src1=0 src2=0
	v_mul_i32_i24_e32 v40, v179 /*v435*/, v200
	v_mul_i32_i24_e32 v53, v182 /*v438*/, v198
	;; [unrolled: 1-line block ×3, first 2 shown]
	s_set_vgpr_msb 0x44                     ;  msbs: dst=1 src0=0 src1=1 src2=0
	v_mul_i32_i24_e32 v171 /*v427*/, v224, v202 /*v458*/
	s_set_vgpr_msb 0                        ;  msbs: dst=0 src0=0 src1=0 src2=0
	v_add3_u32 v11, v11, v55, v56
	s_set_vgpr_msb 1                        ;  msbs: dst=0 src0=1 src1=0 src2=0
	v_mul_i32_i24_e32 v55, v184 /*v440*/, v206
	v_mul_i32_i24_e32 v56, v185 /*v441*/, v207
	;; [unrolled: 1-line block ×4, first 2 shown]
	s_set_vgpr_msb 0                        ;  msbs: dst=0 src0=0 src1=0 src2=0
	v_add3_u32 v11, v11, v58, v60
	s_set_vgpr_msb 1                        ;  msbs: dst=0 src0=1 src1=0 src2=0
	v_mul_i32_i24_e32 v58, v186 /*v442*/, v204
	v_mul_i32_i24_e32 v60, v187 /*v443*/, v209
	v_add3_u32 v10, v160 /*v416*/, v13, v10
	s_set_vgpr_msb 0                        ;  msbs: dst=0 src0=0 src1=0 src2=0
	v_add3_u32 v11, v11, v61, v62
	s_set_vgpr_msb 1                        ;  msbs: dst=0 src0=1 src1=0 src2=0
	v_mul_i32_i24_e32 v61, v188 /*v444*/, v210
	v_mul_i32_i24_e32 v62, v189 /*v445*/, v211
	s_set_vgpr_msb 0                        ;  msbs: dst=0 src0=0 src1=0 src2=0
	v_add3_u32 v11, v11, v64, v66
	s_set_vgpr_msb 1                        ;  msbs: dst=0 src0=1 src1=0 src2=0
	v_mul_i32_i24_e32 v64, v190 /*v446*/, v208
	v_mul_i32_i24_e32 v66, v191 /*v447*/, v212
	s_set_vgpr_msb 0                        ;  msbs: dst=0 src0=0 src1=0 src2=0
	v_add3_u32 v11, v11, v67, v69
	s_set_vgpr_msb 4                        ;  msbs: dst=0 src0=0 src1=1 src2=0
	v_mul_i32_i24_e32 v67, v213, v192 /*v448*/
	v_mul_i32_i24_e32 v69, v214, v193 /*v449*/
	s_set_vgpr_msb 0                        ;  msbs: dst=0 src0=0 src1=0 src2=0
	v_add3_u32 v11, v11, v71, v82
	s_set_vgpr_msb 4                        ;  msbs: dst=0 src0=0 src1=1 src2=0
	v_mul_i32_i24_e32 v71, v216, v194 /*v450*/
	v_mul_i32_i24_e32 v82, v215, v195 /*v451*/
	;; [unrolled: 5-line block ×3, first 2 shown]
	s_set_vgpr_msb 0                        ;  msbs: dst=0 src0=0 src1=0 src2=0
	v_add3_u32 v5, v11, v92, v5
	s_set_vgpr_msb 1                        ;  msbs: dst=0 src0=1 src1=0 src2=0
	v_mul_i32_i24_e32 v11, v178 /*v434*/, v194
	s_set_vgpr_msb 4                        ;  msbs: dst=0 src0=0 src1=1 src2=0
	v_mul_i32_i24_e32 v92, v220, v198 /*v454*/
	s_set_vgpr_msb 16                       ;  msbs: dst=0 src0=0 src1=0 src2=1
	v_add3_u32 v5, v5, v133, v169 /*v425*/
	s_set_vgpr_msb 4                        ;  msbs: dst=0 src0=0 src1=1 src2=0
	v_mul_i32_i24_e32 v133, v219, v199 /*v455*/
	s_set_vgpr_msb 0x44                     ;  msbs: dst=1 src0=0 src1=1 src2=0
	v_mul_i32_i24_e32 v169 /*v425*/, v221, v200 /*v456*/
	s_set_vgpr_msb 4                        ;  msbs: dst=0 src0=0 src1=1 src2=0
	v_add3_u32 v5, v5, v170 /*v426*/, v6
	s_set_vgpr_msb 1                        ;  msbs: dst=0 src0=1 src1=0 src2=0
	v_mul_i32_i24_e32 v6, v176 /*v432*/, v197
	s_set_vgpr_msb 0x44                     ;  msbs: dst=1 src0=0 src1=1 src2=0
	v_mul_i32_i24_e32 v170 /*v426*/, v222, v201 /*v457*/
	s_set_vgpr_msb 0                        ;  msbs: dst=0 src0=0 src1=0 src2=0
	v_add3_u32 v1, v5, v1, v2
	s_set_vgpr_msb 1                        ;  msbs: dst=0 src0=1 src1=0 src2=0
	v_mad_i32_i24 v6, v177 /*v433*/, v196, v6
	s_set_vgpr_msb 0                        ;  msbs: dst=0 src0=0 src1=0 src2=0
	s_delay_alu instid0(VALU_DEP_1) | instskip(SKIP_4) | instid1(VALU_DEP_2)
	v_add3_u32 v11, v6, v11, v40
	s_set_vgpr_msb 1                        ;  msbs: dst=0 src0=1 src1=0 src2=0
	v_mul_i32_i24_e32 v40, v180 /*v436*/, v202
	v_mul_i32_i24_e32 v6, v204 /*v460*/, v225
	s_set_vgpr_msb 0                        ;  msbs: dst=0 src0=0 src1=0 src2=0
	v_add3_u32 v11, v11, v40, v52
	v_or_b32_e32 v40, s12, v142
	s_delay_alu instid0(VALU_DEP_2) | instskip(NEXT) | instid1(VALU_DEP_2)
	v_add3_u32 v11, v11, v53, v54
	v_dual_lshlrev_b32 v52, 2, v40 :: v_dual_lshrrev_b32 v40, 1, v40
	s_delay_alu instid0(VALU_DEP_2) | instskip(NEXT) | instid1(VALU_DEP_1)
	v_add3_u32 v11, v11, v55, v56
	v_add3_u32 v11, v11, v58, v60
	s_delay_alu instid0(VALU_DEP_1) | instskip(NEXT) | instid1(VALU_DEP_1)
	v_add3_u32 v11, v11, v61, v62
	v_add3_u32 v11, v11, v64, v66
	s_delay_alu instid0(VALU_DEP_1) | instskip(NEXT) | instid1(VALU_DEP_1)
	;; [unrolled: 3-line block ×3, first 2 shown]
	v_add3_u32 v11, v11, v84, v86
	v_add3_u32 v11, v11, v92, v133
	s_set_vgpr_msb 20                       ;  msbs: dst=0 src0=0 src1=1 src2=1
	s_delay_alu instid0(VALU_DEP_1) | instskip(NEXT) | instid1(VALU_DEP_1)
	v_add3_u32 v11, v11, v169 /*v425*/, v170 /*v426*/
	v_add3_u32 v11, v11, v171 /*v427*/, v172 /*v428*/
	s_set_vgpr_msb 64                       ;  msbs: dst=1 src0=0 src1=0 src2=0
	ds_load_b128 v[170:173] /*v[426:429]*/, v52 offset:16896
	ds_load_b128 v[174:177] /*v[430:433]*/, v52 offset:16912
	;; [unrolled: 1-line block ×4, first 2 shown]
	s_wait_dscnt 0x3
	s_set_vgpr_msb 1                        ;  msbs: dst=0 src0=1 src1=0 src2=0
	v_bfe_i32 v52, v170 /*v426*/, 0, 8
	v_bfe_i32 v53, v170 /*v426*/, 8, 8
	;; [unrolled: 1-line block ×3, first 2 shown]
	s_set_vgpr_msb 4                        ;  msbs: dst=0 src0=0 src1=1 src2=0
	v_dual_ashrrev_i32 v55, 24, v170 /*v426*/ :: v_dual_ashrrev_i32 v61, 24, v171 /*v427*/
	s_set_vgpr_msb 0x44                     ;  msbs: dst=1 src0=0 src1=1 src2=0
	v_mul_i32_i24_e32 v169 /*v425*/, v52, v102 /*v358*/
	s_set_vgpr_msb 1                        ;  msbs: dst=0 src0=1 src1=0 src2=0
	v_bfe_i32 v56, v171 /*v427*/, 0, 8
	v_bfe_i32 v58, v171 /*v427*/, 8, 8
	;; [unrolled: 1-line block ×3, first 2 shown]
	s_set_vgpr_msb 0x54                     ;  msbs: dst=1 src0=0 src1=1 src2=1
	v_mul_i32_i24_e32 v170 /*v426*/, v54, v103 /*v359*/
	v_mul_i32_i24_e32 v171 /*v427*/, v55, v104 /*v360*/
	v_mad_i32_i24 v169 /*v425*/, v53, v101 /*v357*/, v169 /*v425*/
	s_wait_dscnt 0x1
	s_set_vgpr_msb 0x41                     ;  msbs: dst=1 src0=1 src1=0 src2=0
	v_bfe_i32 v198 /*v454*/, v178 /*v434*/, 0, 8
	s_set_vgpr_msb 1                        ;  msbs: dst=0 src0=1 src1=0 src2=0
	v_bfe_i32 v62, v172 /*v428*/, 0, 8
	v_bfe_i32 v64, v172 /*v428*/, 8, 8
	;; [unrolled: 1-line block ×3, first 2 shown]
	s_set_vgpr_msb 0x55                     ;  msbs: dst=1 src0=1 src1=1 src2=1
	v_add3_u32 v169 /*v425*/, v169 /*v425*/, v170 /*v426*/, v171 /*v427*/
	s_set_vgpr_msb 0x44                     ;  msbs: dst=1 src0=0 src1=1 src2=0
	v_mul_i32_i24_e32 v170 /*v426*/, v56, v105 /*v361*/
	v_mul_i32_i24_e32 v171 /*v427*/, v58, v106 /*v362*/
	s_set_vgpr_msb 4                        ;  msbs: dst=0 src0=0 src1=1 src2=0
	v_dual_ashrrev_i32 v67, 24, v172 /*v428*/ :: v_dual_ashrrev_i32 v84, 24, v173 /*v429*/
	s_set_vgpr_msb 1                        ;  msbs: dst=0 src0=1 src1=0 src2=0
	v_bfe_i32 v69, v173 /*v429*/, 0, 8
	v_bfe_i32 v71, v173 /*v429*/, 8, 8
	;; [unrolled: 1-line block ×3, first 2 shown]
	s_set_vgpr_msb 0x44                     ;  msbs: dst=1 src0=0 src1=1 src2=0
	v_dual_ashrrev_i32 v194 /*v450*/, 24, v176 /*v432*/ :: v_dual_ashrrev_i32 v201 /*v457*/, 24, v178 /*v434*/
	s_set_vgpr_msb 0x41                     ;  msbs: dst=1 src0=1 src1=0 src2=0
	v_bfe_i32 v199 /*v455*/, v178 /*v434*/, 8, 8
	v_bfe_i32 v200 /*v456*/, v178 /*v434*/, 16, 8
	s_set_vgpr_msb 0x44                     ;  msbs: dst=1 src0=0 src1=1 src2=0
	v_mul_i32_i24_e32 v172 /*v428*/, v60, v107 /*v363*/
	v_mul_i32_i24_e32 v173 /*v429*/, v61, v108 /*v364*/
	s_set_vgpr_msb 0x55                     ;  msbs: dst=1 src0=1 src1=1 src2=1
	v_add3_u32 v169 /*v425*/, v169 /*v425*/, v170 /*v426*/, v171 /*v427*/
	v_mul_i32_i24_e32 v170 /*v426*/, v141 /*v397*/, v198 /*v454*/
	v_bfe_i32 v202 /*v458*/, v179 /*v435*/, 0, 8
	v_bfe_i32 v203 /*v459*/, v179 /*v435*/, 8, 8
	v_mul_i32_i24_e32 v171 /*v427*/, v140 /*v396*/, v200 /*v456*/
	v_add3_u32 v169 /*v425*/, v169 /*v425*/, v172 /*v428*/, v173 /*v429*/
	v_mul_i32_i24_e32 v172 /*v428*/, v134 /*v390*/, v201 /*v457*/
	v_mad_i32_i24 v170 /*v426*/, v139 /*v395*/, v199 /*v455*/, v170 /*v426*/
	s_set_vgpr_msb 1                        ;  msbs: dst=0 src0=1 src1=0 src2=0
	v_bfe_i32 v86, v174 /*v430*/, 0, 8
	v_bfe_i32 v92, v174 /*v430*/, 8, 8
	;; [unrolled: 1-line block ×3, first 2 shown]
	s_set_vgpr_msb 0x44                     ;  msbs: dst=1 src0=0 src1=1 src2=0
	v_dual_ashrrev_i32 v186 /*v442*/, 24, v174 /*v430*/ :: v_dual_ashrrev_i32 v190 /*v446*/, 24, v175 /*v431*/
	s_set_vgpr_msb 0x41                     ;  msbs: dst=1 src0=1 src1=0 src2=0
	v_bfe_i32 v187 /*v443*/, v175 /*v431*/, 0, 8
	v_bfe_i32 v188 /*v444*/, v175 /*v431*/, 8, 8
	;; [unrolled: 1-line block ×4, first 2 shown]
	s_set_vgpr_msb 0x44                     ;  msbs: dst=1 src0=0 src1=1 src2=0
	v_dual_ashrrev_i32 v205 /*v461*/, 24, v179 /*v435*/ :: v_dual_ashrrev_i32 v209 /*v465*/, 24, v180 /*v436*/
	v_mul_i32_i24_e32 v174 /*v430*/, v62, v109 /*v365*/
	v_mul_i32_i24_e32 v175 /*v431*/, v64, v110 /*v366*/
	s_set_vgpr_msb 0x55                     ;  msbs: dst=1 src0=1 src1=1 src2=1
	v_add3_u32 v170 /*v426*/, v170 /*v426*/, v171 /*v427*/, v172 /*v428*/
	v_mul_i32_i24_e32 v171 /*v427*/, v144 /*v400*/, v202 /*v458*/
	v_mul_i32_i24_e32 v172 /*v428*/, v143 /*v399*/, v203 /*v459*/
	v_bfe_i32 v191 /*v447*/, v176 /*v432*/, 0, 8
	v_bfe_i32 v192 /*v448*/, v176 /*v432*/, 8, 8
	;; [unrolled: 1-line block ×5, first 2 shown]
	s_set_vgpr_msb 0x44                     ;  msbs: dst=1 src0=0 src1=1 src2=0
	v_mul_i32_i24_e32 v176 /*v432*/, v66, v111 /*v367*/
	v_mul_i32_i24_e32 v178 /*v434*/, v67, v112 /*v368*/
	s_set_vgpr_msb 0x55                     ;  msbs: dst=1 src0=1 src1=1 src2=1
	v_add3_u32 v169 /*v425*/, v169 /*v425*/, v174 /*v430*/, v175 /*v431*/
	v_mul_i32_i24_e32 v173 /*v429*/, v142 /*v398*/, v204 /*v460*/
	v_mul_i32_i24_e32 v174 /*v430*/, v126 /*v382*/, v205 /*v461*/
	v_add3_u32 v170 /*v426*/, v170 /*v426*/, v171 /*v427*/, v172 /*v428*/
	v_bfe_i32 v208 /*v464*/, v180 /*v436*/, 16, 8
	s_set_vgpr_msb 0x44                     ;  msbs: dst=1 src0=0 src1=1 src2=0
	v_mul_i32_i24_e32 v179 /*v435*/, v69, v113 /*v369*/
	v_mul_i32_i24_e32 v180 /*v436*/, v71, v114 /*v370*/
	s_set_vgpr_msb 0x55                     ;  msbs: dst=1 src0=1 src1=1 src2=1
	v_add3_u32 v169 /*v425*/, v169 /*v425*/, v176 /*v432*/, v178 /*v434*/
	v_mul_i32_i24_e32 v175 /*v431*/, v147 /*v403*/, v206 /*v462*/
	v_mul_i32_i24_e32 v176 /*v432*/, v146 /*v402*/, v207 /*v463*/
	v_add3_u32 v170 /*v426*/, v170 /*v426*/, v173 /*v429*/, v174 /*v430*/
	v_bfe_i32 v210 /*v466*/, v181 /*v437*/, 0, 8
	v_bfe_i32 v211 /*v467*/, v181 /*v437*/, 8, 8
	;; [unrolled: 1-line block ×3, first 2 shown]
	v_ashrrev_i32_e32 v213 /*v469*/, 24, v181 /*v437*/
	s_set_vgpr_msb 0x44                     ;  msbs: dst=1 src0=0 src1=1 src2=0
	v_mul_i32_i24_e32 v181 /*v437*/, v82, v115 /*v371*/
	v_mul_i32_i24_e32 v225 /*v481*/, v84, v116 /*v372*/
	s_set_vgpr_msb 0x55                     ;  msbs: dst=1 src0=1 src1=1 src2=1
	v_add3_u32 v169 /*v425*/, v169 /*v425*/, v179 /*v435*/, v180 /*v436*/
	v_mul_i32_i24_e32 v178 /*v434*/, v145 /*v401*/, v208 /*v464*/
	v_mul_i32_i24_e32 v179 /*v435*/, v127 /*v383*/, v209 /*v465*/
	v_add3_u32 v170 /*v426*/, v170 /*v426*/, v175 /*v431*/, v176 /*v432*/
	s_set_vgpr_msb 0x44                     ;  msbs: dst=1 src0=0 src1=1 src2=0
	v_mul_i32_i24_e32 v226 /*v482*/, v86, v117 /*v373*/
	v_mul_i32_i24_e32 v227 /*v483*/, v92, v118 /*v374*/
	s_set_vgpr_msb 0x55                     ;  msbs: dst=1 src0=1 src1=1 src2=1
	v_add3_u32 v169 /*v425*/, v169 /*v425*/, v181 /*v437*/, v225 /*v481*/
	v_mul_i32_i24_e32 v180 /*v436*/, v150 /*v406*/, v210 /*v466*/
	v_mul_i32_i24_e32 v181 /*v437*/, v149 /*v405*/, v211 /*v467*/
	v_add3_u32 v170 /*v426*/, v170 /*v426*/, v178 /*v434*/, v179 /*v435*/
	s_wait_dscnt 0x0
	v_bfe_i32 v214 /*v470*/, v182 /*v438*/, 0, 8
	v_bfe_i32 v215 /*v471*/, v182 /*v438*/, 8, 8
	;; [unrolled: 1-line block ×3, first 2 shown]
	v_ashrrev_i32_e32 v182 /*v438*/, 24, v182 /*v438*/
	s_set_vgpr_msb 0x41                     ;  msbs: dst=1 src0=1 src1=0 src2=0
	v_mul_i32_i24_e32 v228 /*v484*/, v120 /*v376*/, v133
	s_set_vgpr_msb 0x55                     ;  msbs: dst=1 src0=1 src1=1 src2=1
	v_mul_i32_i24_e32 v229 /*v485*/, v119 /*v375*/, v186 /*v442*/
	v_add3_u32 v169 /*v425*/, v169 /*v425*/, v226 /*v482*/, v227 /*v483*/
	v_mul_i32_i24_e32 v225 /*v481*/, v148 /*v404*/, v212 /*v468*/
	v_mul_i32_i24_e32 v226 /*v482*/, v128 /*v384*/, v213 /*v469*/
	v_add3_u32 v170 /*v426*/, v170 /*v426*/, v180 /*v436*/, v181 /*v437*/
	v_mul_i32_i24_e32 v230 /*v486*/, v122 /*v378*/, v187 /*v443*/
	;; [unrolled: 3-line block ×3, first 2 shown]
	v_mul_i32_i24_e32 v228 /*v484*/, v152 /*v408*/, v215 /*v471*/
	v_add3_u32 v170 /*v426*/, v170 /*v426*/, v225 /*v481*/, v226 /*v482*/
	v_bfe_i32 v217 /*v473*/, v183 /*v439*/, 0, 8
	v_bfe_i32 v218 /*v474*/, v183 /*v439*/, 8, 8
	v_mul_i32_i24_e32 v232 /*v488*/, v124 /*v380*/, v189 /*v445*/
	v_mul_i32_i24_e32 v233 /*v489*/, v123 /*v379*/, v190 /*v446*/
	v_add3_u32 v169 /*v425*/, v169 /*v425*/, v230 /*v486*/, v231 /*v487*/
	v_mul_i32_i24_e32 v229 /*v485*/, v151 /*v407*/, v216 /*v472*/
	v_mul_i32_i24_e32 v230 /*v486*/, v129 /*v385*/, v182 /*v438*/
	v_add3_u32 v170 /*v426*/, v170 /*v426*/, v227 /*v483*/, v228 /*v484*/
	v_bfe_i32 v219 /*v475*/, v183 /*v439*/, 16, 8
	v_ashrrev_i32_e32 v183 /*v439*/, 24, v183 /*v439*/
	v_mul_i32_i24_e32 v234 /*v490*/, v132 /*v388*/, v191 /*v447*/
	v_mul_i32_i24_e32 v235 /*v491*/, v125 /*v381*/, v192 /*v448*/
	v_add3_u32 v169 /*v425*/, v169 /*v425*/, v232 /*v488*/, v233 /*v489*/
	v_mul_i32_i24_e32 v231 /*v487*/, v156 /*v412*/, v217 /*v473*/
	v_mul_i32_i24_e32 v232 /*v488*/, v155 /*v411*/, v218 /*v474*/
	v_add3_u32 v170 /*v426*/, v170 /*v426*/, v229 /*v485*/, v230 /*v486*/
	v_bfe_i32 v220 /*v476*/, v184 /*v440*/, 0, 8
	v_bfe_i32 v221 /*v477*/, v184 /*v440*/, 8, 8
	;; [unrolled: 1-line block ×3, first 2 shown]
	v_ashrrev_i32_e32 v184 /*v440*/, 24, v184 /*v440*/
	v_mul_i32_i24_e32 v236 /*v492*/, v136 /*v392*/, v193 /*v449*/
	v_mul_i32_i24_e32 v237 /*v493*/, v133 /*v389*/, v194 /*v450*/
	v_add3_u32 v169 /*v425*/, v169 /*v425*/, v234 /*v490*/, v235 /*v491*/
	v_mul_i32_i24_e32 v233 /*v489*/, v154 /*v410*/, v219 /*v475*/
	v_mul_i32_i24_e32 v234 /*v490*/, v130 /*v386*/, v183 /*v439*/
	v_add3_u32 v170 /*v426*/, v170 /*v426*/, v231 /*v487*/, v232 /*v488*/
	v_mul_i32_i24_e32 v235 /*v491*/, v159 /*v415*/, v220 /*v476*/
	v_add3_u32 v169 /*v425*/, v169 /*v425*/, v236 /*v492*/, v237 /*v493*/
	v_mul_i32_i24_e32 v236 /*v492*/, v158 /*v414*/, v221 /*v477*/
	v_mul_i32_i24_e32 v237 /*v493*/, v157 /*v413*/, v222 /*v478*/
	v_add3_u32 v170 /*v426*/, v170 /*v426*/, v233 /*v489*/, v234 /*v490*/
	v_mul_i32_i24_e32 v240 /*v496*/, v131 /*v387*/, v184 /*v440*/
	s_set_vgpr_msb 64                       ;  msbs: dst=1 src0=0 src1=0 src2=0
	ds_load_b64 v[172:173] /*v[428:429]*/, v40 offset:27200
	s_set_vgpr_msb 0x55                     ;  msbs: dst=1 src0=1 src1=1 src2=1
	v_bfe_i32 v195 /*v451*/, v177 /*v433*/, 0, 8
	v_bfe_i32 v196 /*v452*/, v177 /*v433*/, 8, 8
	v_add3_u32 v170 /*v426*/, v170 /*v426*/, v235 /*v491*/, v236 /*v492*/
	v_bfe_i32 v197 /*v453*/, v177 /*v433*/, 16, 8
	v_ashrrev_i32_e32 v226 /*v482*/, 24, v177 /*v433*/
	v_mul_i32_i24_e32 v238 /*v494*/, v195 /*v451*/, v137 /*v393*/
	v_mul_i32_i24_e32 v239 /*v495*/, v196 /*v452*/, v138 /*v394*/
	v_add3_u32 v225 /*v481*/, v170 /*v426*/, v237 /*v493*/, v240 /*v496*/
	s_set_vgpr_msb 64                       ;  msbs: dst=1 src0=0 src1=0 src2=0
	ds_load_b64 v[170:171] /*v[426:427]*/, v8 offset:27200
	v_bfe_i32 v227 /*v483*/, v3, 16, 8
	v_ashrrev_i32_e32 v228 /*v484*/, 24, v3
	s_set_vgpr_msb 0x55                     ;  msbs: dst=1 src0=1 src1=1 src2=1
	v_add3_u32 v164 /*v420*/, v169 /*v425*/, v238 /*v494*/, v239 /*v495*/
	v_bfe_i32 v223 /*v479*/, v185 /*v441*/, 0, 8
	v_bfe_i32 v224 /*v480*/, v185 /*v441*/, 8, 8
	s_set_vgpr_msb 0x44                     ;  msbs: dst=1 src0=0 src1=1 src2=0
	v_mul_i32_i24_e32 v229 /*v485*/, v86, v58 /*v314*/
	s_set_vgpr_msb 0x45                     ;  msbs: dst=1 src0=1 src1=1 src2=0
	v_mul_i32_i24_e32 v166 /*v422*/, v36 /*v292*/, v228 /*v484*/
	s_set_vgpr_msb 0x44                     ;  msbs: dst=1 src0=0 src1=1 src2=0
	v_mul_i32_i24_e32 v230 /*v486*/, v92, v59 /*v315*/
	s_set_vgpr_msb 0x45                     ;  msbs: dst=1 src0=1 src1=1 src2=0
	v_mul_i32_i24_e32 v241 /*v497*/, v223 /*v479*/, v135 /*v391*/
	s_set_vgpr_msb 0x41                     ;  msbs: dst=1 src0=1 src1=0 src2=0
	v_mul_i32_i24_e32 v231 /*v487*/, v61 /*v317*/, v133
	s_wait_dscnt 0x1
	s_set_vgpr_msb 4                        ;  msbs: dst=0 src0=0 src1=1 src2=0
	v_lshrrev_b32_e32 v40, 16, v172 /*v428*/
	s_set_vgpr_msb 0x41                     ;  msbs: dst=1 src0=1 src1=0 src2=0
	v_cvt_f32_f16_e64 v175 /*v431*/, v172 /*v428*/
	v_cvt_f32_f16_e64 v179 /*v435*/, v173 /*v429*/
	v_mul_i32_i24_e32 v172 /*v428*/, v33 /*v289*/, v7
	s_set_vgpr_msb 0x45                     ;  msbs: dst=1 src0=1 src1=1 src2=0
	v_mul_i32_i24_e32 v232 /*v488*/, v60 /*v316*/, v186 /*v442*/
	s_set_vgpr_msb 64                       ;  msbs: dst=1 src0=0 src1=0 src2=0
	v_cvt_f32_f16_e64 v177 /*v433*/, v40
	s_set_vgpr_msb 1                        ;  msbs: dst=0 src0=1 src1=0 src2=0
	v_bfe_i32 v40, v185 /*v441*/, 16, 8
	s_set_vgpr_msb 0x45                     ;  msbs: dst=1 src0=1 src1=1 src2=0
	v_ashrrev_i32_e32 v185 /*v441*/, 24, v185 /*v441*/
	v_mul_i32_i24_e32 v233 /*v489*/, v63 /*v319*/, v187 /*v443*/
	s_wait_dscnt 0x0
	s_set_vgpr_msb 4                        ;  msbs: dst=0 src0=0 src1=1 src2=0
	v_dual_lshrrev_b32 v8, 16, v170 /*v426*/ :: v_dual_lshrrev_b32 v3, 16, v171 /*v427*/
	s_set_vgpr_msb 0x45                     ;  msbs: dst=1 src0=1 src1=1 src2=0
	v_cvt_f32_f16_e64 v174 /*v430*/, v170 /*v426*/
	v_cvt_f32_f16_e64 v178 /*v434*/, v171 /*v427*/
	v_mul_i32_i24_e32 v169 /*v425*/, v36 /*v292*/, v185 /*v441*/
	s_set_vgpr_msb 64                       ;  msbs: dst=1 src0=0 src1=0 src2=0
	v_cvt_f32_f16_e64 v176 /*v432*/, v8
	s_set_vgpr_msb 4                        ;  msbs: dst=0 src0=0 src1=1 src2=0
	v_lshrrev_b32_e32 v8, 16, v173 /*v429*/
	s_set_vgpr_msb 64                       ;  msbs: dst=1 src0=0 src1=0 src2=0
	v_cvt_f32_f16_e64 v170 /*v426*/, v3
	s_set_vgpr_msb 4                        ;  msbs: dst=0 src0=0 src1=1 src2=0
	v_mul_i32_i24_e32 v3, v4, v34 /*v290*/
	s_set_vgpr_msb 0x45                     ;  msbs: dst=1 src0=1 src1=1 src2=0
	v_mul_i32_i24_e32 v173 /*v429*/, v33 /*v289*/, v226 /*v482*/
	s_set_vgpr_msb 0x44                     ;  msbs: dst=1 src0=0 src1=1 src2=0
	v_pk_fma_f32 v[180:181] /*v[436:437]*/, v[120:121], v[176:177] /*v[432:433]*/, 0 op_sel_hi:[0,1,0]
	v_cvt_f32_f16_e64 v171 /*v427*/, v8
	s_set_vgpr_msb 5                        ;  msbs: dst=0 src0=1 src1=1 src2=0
	v_mul_i32_i24_e32 v8, v197 /*v453*/, v34 /*v290*/
	s_set_vgpr_msb 17                       ;  msbs: dst=0 src0=1 src1=0 src2=1
	v_add3_u32 v3, v163 /*v419*/, v3, v172 /*v428*/
	s_set_vgpr_msb 0x45                     ;  msbs: dst=1 src0=1 src1=1 src2=0
	v_mul_i32_i24_e32 v163 /*v419*/, v37 /*v293*/, v227 /*v483*/
	v_mul_i32_i24_e32 v234 /*v490*/, v62 /*v318*/, v188 /*v444*/
	;; [unrolled: 1-line block ×3, first 2 shown]
	s_set_vgpr_msb 17                       ;  msbs: dst=0 src0=1 src1=0 src2=1
	v_add3_u32 v8, v164 /*v420*/, v8, v173 /*v429*/
	s_set_vgpr_msb 4                        ;  msbs: dst=0 src0=0 src1=1 src2=0
	v_mul_lo_u32 v3, v3, v32 /*v288*/
	s_set_vgpr_msb 0x41                     ;  msbs: dst=1 src0=1 src1=0 src2=0
	v_mul_i32_i24_e32 v164 /*v420*/, v37 /*v293*/, v40
	s_set_vgpr_msb 0x45                     ;  msbs: dst=1 src0=1 src1=1 src2=0
	v_mul_i32_i24_e32 v236 /*v492*/, v64 /*v320*/, v190 /*v446*/
	v_mul_i32_i24_e32 v237 /*v493*/, v67 /*v323*/, v191 /*v447*/
	s_set_vgpr_msb 4                        ;  msbs: dst=0 src0=0 src1=1 src2=0
	v_mul_lo_u32 v8, v8, v32 /*v288*/
	s_set_vgpr_msb 0x45                     ;  msbs: dst=1 src0=1 src1=1 src2=0
	v_mul_i32_i24_e32 v238 /*v494*/, v66 /*v322*/, v192 /*v448*/
	v_mul_i32_i24_e32 v239 /*v495*/, v70 /*v326*/, v193 /*v449*/
	;; [unrolled: 1-line block ×6, first 2 shown]
	s_set_vgpr_msb 64                       ;  msbs: dst=1 src0=0 src1=0 src2=0
	v_cvt_f32_i32_e32 v172 /*v428*/, v3
	s_set_vgpr_msb 5                        ;  msbs: dst=0 src0=1 src1=1 src2=0
	v_mul_i32_i24_e32 v3, v224 /*v480*/, v38 /*v294*/
	s_set_vgpr_msb 64                       ;  msbs: dst=1 src0=0 src1=0 src2=0
	v_mul_i32_i24_e32 v165 /*v421*/, v67, v240
	s_set_vgpr_msb 4                        ;  msbs: dst=0 src0=0 src1=1 src2=0
	v_mul_i32_i24_e32 v12, v113, v227 /*v483*/
	s_set_vgpr_msb 64                       ;  msbs: dst=1 src0=0 src1=0 src2=0
	v_cvt_f32_i32_e32 v173 /*v429*/, v8
	s_set_vgpr_msb 4                        ;  msbs: dst=0 src0=0 src1=1 src2=0
	v_mul_i32_i24_e32 v8, v0, v38 /*v294*/
	s_set_vgpr_msb 5                        ;  msbs: dst=0 src0=1 src1=1 src2=0
	v_add3_u32 v3, v225 /*v481*/, v241 /*v497*/, v3
	s_set_vgpr_msb 0x44                     ;  msbs: dst=1 src0=0 src1=1 src2=0
	v_mul_i32_i24_e32 v225 /*v481*/, v84, v57 /*v313*/
	s_set_vgpr_msb 0x45                     ;  msbs: dst=1 src0=1 src1=1 src2=0
	v_mul_i32_i24_e32 v241 /*v497*/, v195 /*v451*/, v74 /*v330*/
	v_pk_fma_f32 v[172:173] /*v[428:429]*/, v[174:175] /*v[430:431]*/, v[172:173] /*v[428:429]*/, 0 op_sel_hi:[1,1,0]
	s_set_vgpr_msb 5                        ;  msbs: dst=0 src0=1 src1=1 src2=0
	v_add3_u32 v8, v168 /*v424*/, v167 /*v423*/, v8
	s_set_vgpr_msb 20                       ;  msbs: dst=0 src0=0 src1=1 src2=1
	v_add3_u32 v3, v3, v164 /*v420*/, v169 /*v425*/
	s_set_vgpr_msb 0x54                     ;  msbs: dst=1 src0=0 src1=1 src2=1
	v_pk_fma_f32 v[168:169] /*v[424:425]*/, v[122:123], v[170:171] /*v[426:427]*/, v[180:181] /*v[436:437]*/ op_sel_hi:[0,1,1]
	v_mul_i32_i24_e32 v164 /*v420*/, v60, v48 /*v304*/
	v_mul_i32_i24_e32 v180 /*v436*/, v71, v55 /*v311*/
	s_set_vgpr_msb 20                       ;  msbs: dst=0 src0=0 src1=1 src2=1
	v_add3_u32 v8, v8, v163 /*v419*/, v166 /*v422*/
	v_mul_lo_u32 v3, v3, v35 /*v291*/
	s_set_vgpr_msb 0x41                     ;  msbs: dst=1 src0=1 src1=0 src2=0
	v_pk_mul_f32 v[168:169] /*v[424:425]*/, v[168:169] /*v[424:425]*/, v[102:103]
	s_set_vgpr_msb 0x44                     ;  msbs: dst=1 src0=0 src1=1 src2=0
	v_mul_i32_i24_e32 v163 /*v419*/, v55, v45 /*v301*/
	v_mul_i32_i24_e32 v181 /*v437*/, v82, v56 /*v312*/
	s_set_vgpr_msb 4                        ;  msbs: dst=0 src0=0 src1=1 src2=0
	v_mul_lo_u32 v8, v8, v35 /*v291*/
	s_set_vgpr_msb 0x44                     ;  msbs: dst=1 src0=0 src1=1 src2=0
	v_mul_i32_i24_e32 v160 /*v416*/, v223, v184 /*v440*/
	s_set_vgpr_msb 0                        ;  msbs: dst=0 src0=0 src1=0 src2=0
	v_mul_i32_i24_e32 v0, v0, v162
	s_set_vgpr_msb 64                       ;  msbs: dst=1 src0=0 src1=0 src2=0
	v_cvt_f32_i32_e32 v167 /*v423*/, v3
	s_set_vgpr_msb 4                        ;  msbs: dst=0 src0=0 src1=1 src2=0
	v_mul_i32_i24_e32 v3, v52, v43 /*v299*/
	s_set_vgpr_msb 0                        ;  msbs: dst=0 src0=0 src1=0 src2=0
	v_add3_u32 v0, v11, v6, v0
	s_set_vgpr_msb 64                       ;  msbs: dst=1 src0=0 src1=0 src2=0
	v_cvt_f32_i32_e32 v166 /*v422*/, v8
	s_set_vgpr_msb 4                        ;  msbs: dst=0 src0=0 src1=1 src2=0
	v_mul_i32_i24_e32 v8, v54, v44 /*v300*/
	v_mad_i32_i24 v3, v53, v42 /*v298*/, v3
	s_set_vgpr_msb 0x55                     ;  msbs: dst=1 src0=1 src1=1 src2=1
	v_pk_fma_f32 v[166:167] /*v[422:423]*/, v[178:179] /*v[434:435]*/, v[166:167] /*v[422:423]*/, v[172:173] /*v[428:429]*/
	s_set_vgpr_msb 0x44                     ;  msbs: dst=1 src0=0 src1=1 src2=0
	v_mul_i32_i24_e32 v172 /*v428*/, v67, v53 /*v309*/
	s_set_vgpr_msb 16                       ;  msbs: dst=0 src0=0 src1=0 src2=1
	v_add3_u32 v3, v3, v8, v163 /*v419*/
	s_set_vgpr_msb 4                        ;  msbs: dst=0 src0=0 src1=1 src2=0
	v_mul_i32_i24_e32 v8, v56, v46 /*v302*/
	s_set_vgpr_msb 0x44                     ;  msbs: dst=1 src0=0 src1=1 src2=0
	v_mul_i32_i24_e32 v163 /*v419*/, v58, v47 /*v303*/
	s_set_vgpr_msb 0x51                     ;  msbs: dst=1 src0=1 src1=0 src2=1
	v_pk_fma_f32 v[166:167] /*v[422:423]*/, v[166:167] /*v[422:423]*/, v[94:95], v[168:169] /*v[424:425]*/ neg_lo:[0,0,1] neg_hi:[0,0,1]
	s_set_vgpr_msb 0x44                     ;  msbs: dst=1 src0=0 src1=1 src2=0
	v_mul_i32_i24_e32 v168 /*v424*/, v64, v51 /*v307*/
	v_mul_i32_i24_e32 v169 /*v425*/, v66, v52 /*v308*/
	;; [unrolled: 1-line block ×3, first 2 shown]
	s_set_vgpr_msb 16                       ;  msbs: dst=0 src0=0 src1=0 src2=1
	v_add3_u32 v3, v3, v8, v163 /*v419*/
	s_set_vgpr_msb 4                        ;  msbs: dst=0 src0=0 src1=1 src2=0
	v_pk_add_f32 v[30:31], v[30:31], v[166:167] /*v[422:423]*/
	s_set_vgpr_msb 0x44                     ;  msbs: dst=1 src0=0 src1=1 src2=0
	v_mul_i32_i24_e32 v166 /*v422*/, v61, v49 /*v305*/
	v_mul_i32_i24_e32 v167 /*v423*/, v62, v50 /*v306*/
	s_set_vgpr_msb 5                        ;  msbs: dst=0 src0=1 src1=1 src2=0
	v_mul_i32_i24_e32 v8, v198 /*v454*/, v72 /*v328*/
	s_set_vgpr_msb 0x45                     ;  msbs: dst=1 src0=1 src1=1 src2=0
	v_mul_i32_i24_e32 v163 /*v419*/, v200 /*v456*/, v69 /*v325*/
	s_set_vgpr_msb 20                       ;  msbs: dst=0 src0=0 src1=1 src2=1
	v_add3_u32 v3, v3, v164 /*v420*/, v166 /*v422*/
	s_set_vgpr_msb 0x45                     ;  msbs: dst=1 src0=1 src1=1 src2=0
	v_mul_i32_i24_e32 v164 /*v420*/, v201 /*v457*/, v75 /*v331*/
	s_set_vgpr_msb 5                        ;  msbs: dst=0 src0=1 src1=1 src2=0
	v_mad_i32_i24 v8, v199 /*v455*/, v71 /*v327*/, v8
	s_set_vgpr_msb 0x45                     ;  msbs: dst=1 src0=1 src1=1 src2=0
	v_mul_i32_i24_e32 v166 /*v422*/, v204 /*v460*/, v73 /*v329*/
	s_set_vgpr_msb 20                       ;  msbs: dst=0 src0=0 src1=1 src2=1
	v_add3_u32 v3, v3, v167 /*v423*/, v168 /*v424*/
	s_set_vgpr_msb 0x45                     ;  msbs: dst=1 src0=1 src1=1 src2=0
	v_mul_i32_i24_e32 v167 /*v423*/, v205 /*v461*/, v80 /*v336*/
	s_set_vgpr_msb 20                       ;  msbs: dst=0 src0=0 src1=1 src2=1
	v_add3_u32 v8, v8, v163 /*v419*/, v164 /*v420*/
	s_set_vgpr_msb 0x45                     ;  msbs: dst=1 src0=1 src1=1 src2=0
	v_mul_i32_i24_e32 v163 /*v419*/, v202 /*v458*/, v77 /*v333*/
	v_mul_i32_i24_e32 v164 /*v420*/, v203 /*v459*/, v78 /*v334*/
	s_set_vgpr_msb 20                       ;  msbs: dst=0 src0=0 src1=1 src2=1
	v_add3_u32 v3, v3, v169 /*v425*/, v172 /*v428*/
	s_set_vgpr_msb 0x45                     ;  msbs: dst=1 src0=1 src1=1 src2=0
	v_mul_i32_i24_e32 v168 /*v424*/, v206 /*v462*/, v81 /*v337*/
	v_mul_i32_i24_e32 v169 /*v425*/, v207 /*v463*/, v82 /*v338*/
	v_mul_i32_i24_e32 v172 /*v428*/, v208 /*v464*/, v79 /*v335*/
	s_set_vgpr_msb 20                       ;  msbs: dst=0 src0=0 src1=1 src2=1
	v_add3_u32 v8, v8, v163 /*v419*/, v164 /*v420*/
	v_add3_u32 v3, v3, v173 /*v429*/, v180 /*v436*/
	s_set_vgpr_msb 0x45                     ;  msbs: dst=1 src0=1 src1=1 src2=0
	v_mul_i32_i24_e32 v173 /*v429*/, v209 /*v465*/, v84 /*v340*/
	v_mul_i32_i24_e32 v180 /*v436*/, v210 /*v466*/, v85 /*v341*/
	v_mul_i32_i24_e32 v164 /*v420*/, v197 /*v453*/, v41 /*v297*/
	s_set_vgpr_msb 20                       ;  msbs: dst=0 src0=0 src1=1 src2=1
	v_add3_u32 v8, v8, v166 /*v422*/, v167 /*v423*/
	;; [unrolled: 7-line block ×3, first 2 shown]
	v_add3_u32 v3, v3, v229 /*v485*/, v230 /*v486*/
	s_set_vgpr_msb 0x45                     ;  msbs: dst=1 src0=1 src1=1 src2=0
	v_mul_i32_i24_e32 v229 /*v485*/, v213 /*v469*/, v87 /*v343*/
	v_mul_i32_i24_e32 v230 /*v486*/, v88 /*v344*/, v214 /*v470*/
	s_set_vgpr_msb 0x44                     ;  msbs: dst=1 src0=0 src1=1 src2=0
	v_mul_i32_i24_e32 v163 /*v419*/, v4, v41 /*v297*/
	s_set_vgpr_msb 20                       ;  msbs: dst=0 src0=0 src1=1 src2=1
	v_add3_u32 v8, v8, v172 /*v428*/, v173 /*v429*/
	v_add3_u32 v3, v3, v231 /*v487*/, v232 /*v488*/
	s_set_vgpr_msb 0x45                     ;  msbs: dst=1 src0=1 src1=1 src2=0
	v_mul_i32_i24_e32 v231 /*v487*/, v89 /*v345*/, v215 /*v471*/
	v_mul_i32_i24_e32 v232 /*v488*/, v91 /*v347*/, v216 /*v472*/
	s_set_vgpr_msb 0x41                     ;  msbs: dst=1 src0=1 src1=0 src2=0
	v_mul_i32_i24_e32 v166 /*v422*/, v40 /*v296*/, v7
	s_set_vgpr_msb 20                       ;  msbs: dst=0 src0=0 src1=1 src2=1
	v_add3_u32 v8, v8, v180 /*v436*/, v181 /*v437*/
	v_add3_u32 v3, v3, v233 /*v489*/, v234 /*v490*/
	s_set_vgpr_msb 0x45                     ;  msbs: dst=1 src0=1 src1=1 src2=0
	v_mul_i32_i24_e32 v233 /*v489*/, v90 /*v346*/, v182 /*v438*/
	v_mul_i32_i24_e32 v234 /*v490*/, v92 /*v348*/, v217 /*v473*/
	s_set_vgpr_msb 20                       ;  msbs: dst=0 src0=0 src1=1 src2=1
	v_add3_u32 v14, v14, v163 /*v419*/, v166 /*v422*/
	v_add3_u32 v8, v8, v225 /*v481*/, v229 /*v485*/
	v_add3_u32 v3, v3, v235 /*v491*/, v236 /*v492*/
	s_set_vgpr_msb 0x45                     ;  msbs: dst=1 src0=1 src1=1 src2=0
	v_mul_i32_i24_e32 v235 /*v491*/, v93 /*v349*/, v218 /*v474*/
	v_mul_i32_i24_e32 v236 /*v492*/, v95 /*v351*/, v219 /*v475*/
	s_set_vgpr_msb 0x44                     ;  msbs: dst=1 src0=0 src1=1 src2=0
	v_mul_i32_i24_e32 v163 /*v419*/, v157, v227 /*v483*/
	s_set_vgpr_msb 20                       ;  msbs: dst=0 src0=0 src1=1 src2=1
	v_add3_u32 v8, v8, v230 /*v486*/, v231 /*v487*/
	v_add3_u32 v3, v3, v237 /*v493*/, v238 /*v494*/
	s_set_vgpr_msb 0x45                     ;  msbs: dst=1 src0=1 src1=1 src2=0
	v_mul_i32_i24_e32 v237 /*v493*/, v94 /*v350*/, v183 /*v439*/
	v_mul_i32_i24_e32 v238 /*v494*/, v96 /*v352*/, v220 /*v476*/
	s_set_vgpr_msb 0x44                     ;  msbs: dst=1 src0=0 src1=1 src2=0
	v_mul_i32_i24_e32 v168 /*v424*/, v119, v228 /*v484*/
	s_set_vgpr_msb 20                       ;  msbs: dst=0 src0=0 src1=1 src2=1
	v_add3_u32 v8, v8, v232 /*v488*/, v233 /*v489*/
	v_add3_u32 v3, v3, v239 /*v495*/, v240 /*v496*/
	;; [unrolled: 8-line block ×3, first 2 shown]
	v_mul_lo_u32 v14, v14, v39 /*v295*/
	s_set_vgpr_msb 64                       ;  msbs: dst=1 src0=0 src1=0 src2=0
	v_mul_i32_i24_e32 v172 /*v428*/, v86, v245
	v_mul_i32_i24_e32 v173 /*v429*/, v92, v246
	s_set_vgpr_msb 20                       ;  msbs: dst=0 src0=0 src1=1 src2=1
	v_add3_u32 v8, v8, v236 /*v492*/, v237 /*v493*/
	v_add3_u32 v3, v3, v164 /*v420*/, v167 /*v423*/
	s_set_vgpr_msb 64                       ;  msbs: dst=1 src0=0 src1=0 src2=0
	v_mul_i32_i24_e32 v164 /*v420*/, v157, v40
	s_set_vgpr_msb 0x44                     ;  msbs: dst=1 src0=0 src1=1 src2=0
	v_pk_fma_f32 v[166:167] /*v[422:423]*/, v[124:125], v[176:177] /*v[432:433]*/, 0 op_sel_hi:[0,1,0]
	s_set_vgpr_msb 64                       ;  msbs: dst=1 src0=0 src1=0 src2=0
	v_mul_i32_i24_e32 v180 /*v436*/, v248, v133
	s_set_vgpr_msb 20                       ;  msbs: dst=0 src0=0 src1=1 src2=1
	v_add3_u32 v8, v8, v238 /*v494*/, v239 /*v495*/
	v_mul_lo_u32 v3, v3, v39 /*v295*/
	s_set_vgpr_msb 0x44                     ;  msbs: dst=1 src0=0 src1=1 src2=0
	v_mul_i32_i24_e32 v181 /*v437*/, v247, v186 /*v442*/
	s_set_vgpr_msb 0                        ;  msbs: dst=0 src0=0 src1=0 src2=0
	v_cvt_f32_i32_e32 v14, v14
	s_set_vgpr_msb 0x44                     ;  msbs: dst=1 src0=0 src1=1 src2=0
	v_mul_i32_i24_e32 v225 /*v481*/, v250, v187 /*v443*/
	s_set_vgpr_msb 20                       ;  msbs: dst=0 src0=0 src1=1 src2=1
	v_add3_u32 v8, v8, v240 /*v496*/, v243 /*v499*/
	s_set_vgpr_msb 0x44                     ;  msbs: dst=1 src0=0 src1=1 src2=0
	v_mul_i32_i24_e32 v229 /*v485*/, v249, v188 /*v444*/
	v_mul_i32_i24_e32 v230 /*v486*/, v252, v189 /*v445*/
	;; [unrolled: 1-line block ×5, first 2 shown]
	s_set_vgpr_msb 0x45                     ;  msbs: dst=1 src0=1 src1=1 src2=0
	v_mul_i32_i24_e32 v234 /*v490*/, v1 /*v257*/, v193 /*v449*/
	s_set_vgpr_msb 0                        ;  msbs: dst=0 src0=0 src1=0 src2=0
	v_cvt_f32_i32_e32 v15, v3
	s_set_vgpr_msb 1                        ;  msbs: dst=0 src0=1 src1=0 src2=0
	v_mul_i32_i24_e32 v3, v224 /*v480*/, v158
	s_set_vgpr_msb 0x44                     ;  msbs: dst=1 src0=0 src1=1 src2=0
	v_mul_i32_i24_e32 v235 /*v491*/, v255, v194 /*v450*/
	s_set_vgpr_msb 0x45                     ;  msbs: dst=1 src0=1 src1=1 src2=0
	v_mul_i32_i24_e32 v236 /*v492*/, v195 /*v451*/, v5 /*v261*/
	v_mul_i32_i24_e32 v237 /*v493*/, v196 /*v452*/, v7 /*v263*/
	s_set_vgpr_msb 1                        ;  msbs: dst=0 src0=1 src1=0 src2=0
	v_pk_fma_f32 v[14:15], v[174:175] /*v[430:431]*/, v[14:15], 0 op_sel_hi:[1,1,0]
	s_set_vgpr_msb 4                        ;  msbs: dst=0 src0=0 src1=1 src2=0
	v_add3_u32 v3, v8, v244 /*v500*/, v3
	s_set_vgpr_msb 21                       ;  msbs: dst=0 src0=1 src1=1 src2=1
	v_add3_u32 v8, v161 /*v417*/, v163 /*v419*/, v168 /*v424*/
	s_set_vgpr_msb 64                       ;  msbs: dst=1 src0=0 src1=0 src2=0
	v_mul_i32_i24_e32 v161 /*v417*/, v61, v236
	v_mul_i32_i24_e32 v168 /*v424*/, v82, v243
	s_set_vgpr_msb 0x45                     ;  msbs: dst=1 src0=1 src1=1 src2=0
	v_mul_i32_i24_e32 v238 /*v494*/, v29 /*v285*/, v184 /*v440*/
	s_set_vgpr_msb 20                       ;  msbs: dst=0 src0=0 src1=1 src2=1
	v_add3_u32 v3, v3, v164 /*v420*/, v169 /*v425*/
	s_set_vgpr_msb 0                        ;  msbs: dst=0 src0=0 src1=0 src2=0
	v_mul_lo_u32 v8, v8, v159
	s_set_vgpr_msb 64                       ;  msbs: dst=1 src0=0 src1=0 src2=0
	v_mul_i32_i24_e32 v164 /*v420*/, v66, v239
	v_mul_i32_i24_e32 v169 /*v425*/, v84, v244
	s_set_vgpr_msb 0x45                     ;  msbs: dst=1 src0=1 src1=1 src2=0
	v_mul_i32_i24_e32 v239 /*v495*/, v223 /*v479*/, v31 /*v287*/
	s_set_vgpr_msb 0                        ;  msbs: dst=0 src0=0 src1=0 src2=0
	v_mul_lo_u32 v3, v3, v159
	s_set_vgpr_msb 64                       ;  msbs: dst=1 src0=0 src1=0 src2=0
	v_cvt_f32_i32_e32 v162 /*v418*/, v8
	s_set_vgpr_msb 0                        ;  msbs: dst=0 src0=0 src1=0 src2=0
	v_mul_i32_i24_e32 v8, v54, v231
	s_set_vgpr_msb 64                       ;  msbs: dst=1 src0=0 src1=0 src2=0
	s_delay_alu instid0(VALU_DEP_3) | instskip(SKIP_3) | instid1(VALU_DEP_2)
	v_cvt_f32_i32_e32 v163 /*v419*/, v3
	s_set_vgpr_msb 0                        ;  msbs: dst=0 src0=0 src1=0 src2=0
	v_mul_i32_i24_e32 v3, v52, v230
	s_set_vgpr_msb 5                        ;  msbs: dst=0 src0=1 src1=1 src2=0
	v_pk_fma_f32 v[14:15], v[178:179] /*v[434:435]*/, v[162:163] /*v[418:419]*/, v[14:15]
	s_set_vgpr_msb 0x54                     ;  msbs: dst=1 src0=0 src1=1 src2=1
	v_pk_fma_f32 v[162:163] /*v[418:419]*/, v[118:119], v[170:171] /*v[426:427]*/, v[166:167] /*v[422:423]*/ op_sel_hi:[0,1,1]
	s_set_vgpr_msb 0                        ;  msbs: dst=0 src0=0 src1=0 src2=0
	v_mad_i32_i24 v3, v53, v229, v3
	s_set_vgpr_msb 64                       ;  msbs: dst=1 src0=0 src1=0 src2=0
	v_mul_i32_i24_e32 v166 /*v422*/, v69, v241
	v_mul_i32_i24_e32 v167 /*v423*/, v71, v242
	s_set_vgpr_msb 0x41                     ;  msbs: dst=1 src0=1 src1=0 src2=0
	v_pk_mul_f32 v[162:163] /*v[418:419]*/, v[162:163] /*v[418:419]*/, v[104:105]
	s_set_vgpr_msb 16                       ;  msbs: dst=0 src0=0 src1=0 src2=1
	s_delay_alu instid0(VALU_DEP_1)
	v_pk_fma_f32 v[14:15], v[14:15], v[96:97], v[162:163] /*v[418:419]*/ neg_lo:[0,0,1] neg_hi:[0,0,1]
	s_set_vgpr_msb 64                       ;  msbs: dst=1 src0=0 src1=0 src2=0
	v_mul_i32_i24_e32 v162 /*v418*/, v62, v237
	v_mul_i32_i24_e32 v163 /*v419*/, v64, v238
	s_set_vgpr_msb 0                        ;  msbs: dst=0 src0=0 src1=0 src2=0
	v_pk_add_f32 v[28:29], v[28:29], v[14:15]
	v_mul_i32_i24_e32 v14, v55, v232
	v_mul_i32_i24_e32 v15, v60, v235
	s_delay_alu instid0(VALU_DEP_2) | instskip(SKIP_2) | instid1(VALU_DEP_1)
	v_add3_u32 v3, v3, v8, v14
	v_mul_i32_i24_e32 v8, v56, v233
	v_mul_i32_i24_e32 v14, v58, v234
	v_add3_u32 v3, v3, v8, v14
	s_set_vgpr_msb 5                        ;  msbs: dst=0 src0=1 src1=1 src2=0
	v_mul_i32_i24_e32 v8, v198 /*v454*/, v3 /*v259*/
	v_mul_i32_i24_e32 v14, v200 /*v456*/, v0 /*v256*/
	s_set_vgpr_msb 16                       ;  msbs: dst=0 src0=0 src1=0 src2=1
	v_add3_u32 v3, v3, v15, v161 /*v417*/
	s_set_vgpr_msb 5                        ;  msbs: dst=0 src0=1 src1=1 src2=0
	v_mul_i32_i24_e32 v15, v201 /*v457*/, v6 /*v262*/
	v_mad_i32_i24 v8, v199 /*v455*/, v2 /*v258*/, v8
	s_set_vgpr_msb 0x45                     ;  msbs: dst=1 src0=1 src1=1 src2=0
	v_mul_i32_i24_e32 v161 /*v417*/, v204 /*v460*/, v4 /*v260*/
	s_set_vgpr_msb 20                       ;  msbs: dst=0 src0=0 src1=1 src2=1
	v_add3_u32 v3, v3, v162 /*v418*/, v163 /*v419*/
	s_set_vgpr_msb 0x45                     ;  msbs: dst=1 src0=1 src1=1 src2=0
	v_mul_i32_i24_e32 v162 /*v418*/, v205 /*v461*/, v11 /*v267*/
	s_set_vgpr_msb 0                        ;  msbs: dst=0 src0=0 src1=0 src2=0
	v_add3_u32 v8, v8, v14, v15
	s_set_vgpr_msb 5                        ;  msbs: dst=0 src0=1 src1=1 src2=0
	v_mul_i32_i24_e32 v14, v202 /*v458*/, v8 /*v264*/
	v_mul_i32_i24_e32 v15, v203 /*v459*/, v9 /*v265*/
	s_set_vgpr_msb 20                       ;  msbs: dst=0 src0=0 src1=1 src2=1
	v_add3_u32 v3, v3, v164 /*v420*/, v165 /*v421*/
	s_set_vgpr_msb 0x45                     ;  msbs: dst=1 src0=1 src1=1 src2=0
	v_mul_i32_i24_e32 v163 /*v419*/, v206 /*v462*/, v12 /*v268*/
	v_mul_i32_i24_e32 v164 /*v420*/, v207 /*v463*/, v13 /*v269*/
	;; [unrolled: 1-line block ×3, first 2 shown]
	s_set_vgpr_msb 0                        ;  msbs: dst=0 src0=0 src1=0 src2=0
	v_add3_u32 v8, v8, v14, v15
	s_set_vgpr_msb 20                       ;  msbs: dst=0 src0=0 src1=1 src2=1
	v_add3_u32 v3, v3, v166 /*v422*/, v167 /*v423*/
	s_set_vgpr_msb 0x45                     ;  msbs: dst=1 src0=1 src1=1 src2=0
	v_mul_i32_i24_e32 v166 /*v422*/, v209 /*v465*/, v15 /*v271*/
	v_mul_i32_i24_e32 v167 /*v423*/, v210 /*v466*/, v16 /*v272*/
	s_set_vgpr_msb 1                        ;  msbs: dst=0 src0=1 src1=0 src2=0
	v_mul_i32_i24_e32 v14, v197 /*v453*/, v228
	s_set_vgpr_msb 20                       ;  msbs: dst=0 src0=0 src1=1 src2=1
	v_add3_u32 v8, v8, v161 /*v417*/, v162 /*v418*/
	v_add3_u32 v3, v3, v168 /*v424*/, v169 /*v425*/
	s_set_vgpr_msb 0x45                     ;  msbs: dst=1 src0=1 src1=1 src2=0
	v_mul_i32_i24_e32 v168 /*v424*/, v211 /*v467*/, v17 /*v273*/
	v_mul_i32_i24_e32 v169 /*v425*/, v212 /*v468*/, v14 /*v270*/
	s_set_vgpr_msb 0x44                     ;  msbs: dst=1 src0=0 src1=1 src2=0
	v_mul_i32_i24_e32 v162 /*v418*/, v227, v226 /*v482*/
	s_set_vgpr_msb 20                       ;  msbs: dst=0 src0=0 src1=1 src2=1
	v_add3_u32 v8, v8, v163 /*v419*/, v164 /*v420*/
	v_add3_u32 v3, v3, v172 /*v428*/, v173 /*v429*/
	s_set_vgpr_msb 0x45                     ;  msbs: dst=1 src0=1 src1=1 src2=0
	v_mul_i32_i24_e32 v172 /*v428*/, v213 /*v469*/, v18 /*v274*/
	v_mul_i32_i24_e32 v173 /*v429*/, v19 /*v275*/, v214 /*v470*/
	s_set_vgpr_msb 0                        ;  msbs: dst=0 src0=0 src1=0 src2=0
	v_mul_i32_i24_e32 v15, v227, v7
	s_set_vgpr_msb 20                       ;  msbs: dst=0 src0=0 src1=1 src2=1
	v_add3_u32 v8, v8, v165 /*v421*/, v166 /*v422*/
	v_add3_u32 v3, v3, v180 /*v436*/, v181 /*v437*/
	s_set_vgpr_msb 0x45                     ;  msbs: dst=1 src0=1 src1=1 src2=0
	v_mul_i32_i24_e32 v180 /*v436*/, v20 /*v276*/, v215 /*v471*/
	v_mul_i32_i24_e32 v181 /*v437*/, v22 /*v278*/, v216 /*v472*/
	s_set_vgpr_msb 0x44                     ;  msbs: dst=1 src0=0 src1=1 src2=0
	v_mul_i32_i24_e32 v163 /*v419*/, v111, v228 /*v484*/
	s_set_vgpr_msb 20                       ;  msbs: dst=0 src0=0 src1=1 src2=1
	v_add3_u32 v8, v8, v167 /*v423*/, v168 /*v424*/
	v_add3_u32 v3, v3, v225 /*v481*/, v229 /*v485*/
	s_set_vgpr_msb 0x45                     ;  msbs: dst=1 src0=1 src1=1 src2=0
	v_mul_i32_i24_e32 v225 /*v481*/, v21 /*v277*/, v182 /*v438*/
	v_mul_i32_i24_e32 v229 /*v485*/, v23 /*v279*/, v217 /*v473*/
	s_set_vgpr_msb 0x44                     ;  msbs: dst=1 src0=0 src1=1 src2=0
	v_mul_i32_i24_e32 v164 /*v420*/, v111, v185 /*v441*/
	s_set_vgpr_msb 20                       ;  msbs: dst=0 src0=0 src1=1 src2=1
	v_add3_u32 v8, v8, v169 /*v425*/, v172 /*v428*/
	v_add3_u32 v3, v3, v230 /*v486*/, v231 /*v487*/
	s_set_vgpr_msb 0x45                     ;  msbs: dst=1 src0=1 src1=1 src2=0
	v_mul_i32_i24_e32 v230 /*v486*/, v24 /*v280*/, v218 /*v474*/
	v_mul_i32_i24_e32 v231 /*v487*/, v26 /*v282*/, v219 /*v475*/
	s_set_vgpr_msb 16                       ;  msbs: dst=0 src0=0 src1=0 src2=1
	v_add3_u32 v10, v10, v12, v163 /*v419*/
	s_set_vgpr_msb 20                       ;  msbs: dst=0 src0=0 src1=1 src2=1
	v_add3_u32 v8, v8, v173 /*v429*/, v180 /*v436*/
	v_add3_u32 v3, v3, v232 /*v488*/, v233 /*v489*/
	s_set_vgpr_msb 0x45                     ;  msbs: dst=1 src0=1 src1=1 src2=0
	v_mul_i32_i24_e32 v232 /*v488*/, v25 /*v281*/, v183 /*v439*/
	v_mul_i32_i24_e32 v233 /*v489*/, v27 /*v283*/, v220 /*v476*/
	s_set_vgpr_msb 0                        ;  msbs: dst=0 src0=0 src1=0 src2=0
	v_mul_lo_u32 v10, v10, v117
	s_set_vgpr_msb 20                       ;  msbs: dst=0 src0=0 src1=1 src2=1
	v_add3_u32 v8, v8, v181 /*v437*/, v225 /*v481*/
	v_add3_u32 v3, v3, v234 /*v490*/, v235 /*v491*/
	s_set_vgpr_msb 0x45                     ;  msbs: dst=1 src0=1 src1=1 src2=0
	v_mul_i32_i24_e32 v234 /*v490*/, v28 /*v284*/, v221 /*v477*/
	v_mul_i32_i24_e32 v235 /*v491*/, v30 /*v286*/, v222 /*v478*/
	s_set_vgpr_msb 0                        ;  msbs: dst=0 src0=0 src1=0 src2=0
	v_mul_i32_i24_e32 v7, v165, v7
	s_set_vgpr_msb 20                       ;  msbs: dst=0 src0=0 src1=1 src2=1
	v_add3_u32 v8, v8, v229 /*v485*/, v230 /*v486*/
	v_add3_u32 v3, v3, v236 /*v492*/, v237 /*v493*/
	s_delay_alu instid0(VALU_DEP_2) | instskip(SKIP_1) | instid1(VALU_DEP_2)
	v_add3_u32 v8, v8, v231 /*v487*/, v232 /*v488*/
	s_set_vgpr_msb 16                       ;  msbs: dst=0 src0=0 src1=0 src2=1
	v_add3_u32 v3, v3, v14, v162 /*v418*/
	s_set_vgpr_msb 64                       ;  msbs: dst=1 src0=0 src1=0 src2=0
	v_mul_i32_i24_e32 v162 /*v418*/, v113, v40
	s_set_vgpr_msb 0                        ;  msbs: dst=0 src0=0 src1=0 src2=0
	v_cvt_f32_i32_e32 v12, v10
	v_mul_i32_i24_e32 v10, v60, v173
	s_set_vgpr_msb 20                       ;  msbs: dst=0 src0=0 src1=1 src2=1
	v_add3_u32 v8, v8, v233 /*v489*/, v234 /*v490*/
	s_set_vgpr_msb 0                        ;  msbs: dst=0 src0=0 src1=0 src2=0
	v_mul_lo_u32 v3, v3, v226
	v_mul_i32_i24_e32 v60, v92, v184
	s_set_vgpr_msb 1                        ;  msbs: dst=0 src0=1 src1=0 src2=0
	v_mul_i32_i24_e32 v92, v195 /*v451*/, v199
	s_set_vgpr_msb 0x54                     ;  msbs: dst=1 src0=0 src1=1 src2=1
	v_add3_u32 v161 /*v417*/, v8, v235 /*v491*/, v238 /*v494*/
	s_set_vgpr_msb 0                        ;  msbs: dst=0 src0=0 src1=0 src2=0
	v_mul_i32_i24_e32 v8, v4, v228
	v_mul_i32_i24_e32 v4, v4, v166
	s_delay_alu instid0(VALU_DEP_2)
	v_add3_u32 v8, v9, v8, v15
	v_cvt_f32_i32_e32 v9, v3
	s_set_vgpr_msb 1                        ;  msbs: dst=0 src0=1 src1=0 src2=0
	v_mul_i32_i24_e32 v3, v224 /*v480*/, v115
	s_set_vgpr_msb 4                        ;  msbs: dst=0 src0=0 src1=1 src2=0
	v_pk_fma_f32 v[14:15], v[110:111], v[176:177] /*v[432:433]*/, 0 op_sel_hi:[0,1,0]
	s_set_vgpr_msb 0                        ;  msbs: dst=0 src0=0 src1=0 src2=0
	v_add3_u32 v1, v1, v4, v7
	v_mul_lo_u32 v8, v8, v226
	s_set_vgpr_msb 4                        ;  msbs: dst=0 src0=0 src1=1 src2=0
	v_mul_i32_i24_e32 v7, v161, v227 /*v483*/
	s_set_vgpr_msb 5                        ;  msbs: dst=0 src0=1 src1=1 src2=0
	v_add3_u32 v3, v161 /*v417*/, v239 /*v495*/, v3
	s_set_vgpr_msb 0x41                     ;  msbs: dst=1 src0=1 src1=0 src2=0
	v_mul_i32_i24_e32 v161 /*v417*/, v223 /*v479*/, v225
	s_set_vgpr_msb 0                        ;  msbs: dst=0 src0=0 src1=0 src2=0
	v_mul_lo_u32 v1, v1, v164
	s_set_vgpr_msb 20                       ;  msbs: dst=0 src0=0 src1=1 src2=1
	v_pk_fma_f32 v[4:5], v[116:117], v[176:177] /*v[432:433]*/, 0 op_sel_hi:[0,1,0]
	v_add3_u32 v3, v3, v162 /*v418*/, v164 /*v420*/
	v_cvt_f32_i32_e32 v8, v8
	s_set_vgpr_msb 0                        ;  msbs: dst=0 src0=0 src1=0 src2=0
	s_delay_alu instid0(VALU_DEP_2) | instskip(SKIP_1) | instid1(VALU_DEP_2)
	v_mul_lo_u32 v3, v3, v117
	s_set_vgpr_msb 1                        ;  msbs: dst=0 src0=1 src1=0 src2=0
	v_pk_fma_f32 v[8:9], v[174:175] /*v[430:431]*/, v[8:9], 0 op_sel_hi:[1,1,0]
	s_set_vgpr_msb 0                        ;  msbs: dst=0 src0=0 src1=0 src2=0
	s_delay_alu instid0(VALU_DEP_2)
	v_cvt_f32_i32_e32 v13, v3
	v_mul_i32_i24_e32 v3, v52, v168
	v_mul_i32_i24_e32 v52, v67, v178
	s_set_vgpr_msb 4                        ;  msbs: dst=0 src0=0 src1=1 src2=0
	v_mul_i32_i24_e32 v67, v190, v189 /*v445*/
	s_set_vgpr_msb 1                        ;  msbs: dst=0 src0=1 src1=0 src2=0
	v_pk_fma_f32 v[8:9], v[178:179] /*v[434:435]*/, v[12:13], v[8:9]
	s_set_vgpr_msb 4                        ;  msbs: dst=0 src0=0 src1=1 src2=0
	v_pk_fma_f32 v[12:13], v[112:113], v[170:171] /*v[426:427]*/, v[14:15] op_sel_hi:[0,1,1]
	s_set_vgpr_msb 0                        ;  msbs: dst=0 src0=0 src1=0 src2=0
	v_mad_i32_i24 v3, v53, v167, v3
	v_mul_i32_i24_e32 v14, v64, v176
	v_mul_i32_i24_e32 v15, v66, v177
	;; [unrolled: 1-line block ×3, first 2 shown]
	v_pk_mul_f32 v[12:13], v[12:13], v[106:107]
	s_set_vgpr_msb 4                        ;  msbs: dst=0 src0=0 src1=1 src2=0
	v_mul_i32_i24_e32 v64, v188, v187 /*v443*/
	v_mul_i32_i24_e32 v66, v187, v188 /*v444*/
	;; [unrolled: 1-line block ×3, first 2 shown]
	s_set_vgpr_msb 0                        ;  msbs: dst=0 src0=0 src1=0 src2=0
	v_pk_fma_f32 v[8:9], v[8:9], v[98:99], v[12:13] neg_lo:[0,0,1] neg_hi:[0,0,1]
	v_mul_i32_i24_e32 v12, v61, v174
	v_mul_i32_i24_e32 v13, v62, v175
	;; [unrolled: 1-line block ×3, first 2 shown]
	s_set_vgpr_msb 4                        ;  msbs: dst=0 src0=0 src1=1 src2=0
	v_mul_i32_i24_e32 v62, v185, v186 /*v442*/
	s_set_vgpr_msb 0                        ;  msbs: dst=0 src0=0 src1=0 src2=0
	v_pk_add_f32 v[26:27], v[26:27], v[8:9]
	v_mul_i32_i24_e32 v8, v54, v169
	v_mul_i32_i24_e32 v9, v55, v170
	;; [unrolled: 1-line block ×4, first 2 shown]
	s_set_vgpr_msb 4                        ;  msbs: dst=0 src0=0 src1=1 src2=0
	v_mul_i32_i24_e32 v71, v192, v191 /*v447*/
	v_mul_i32_i24_e32 v82, v191, v192 /*v448*/
	s_set_vgpr_msb 0                        ;  msbs: dst=0 src0=0 src1=0 src2=0
	v_add3_u32 v3, v3, v8, v9
	v_mul_i32_i24_e32 v8, v56, v171
	v_mul_i32_i24_e32 v9, v58, v172
	;; [unrolled: 1-line block ×4, first 2 shown]
	s_set_vgpr_msb 4                        ;  msbs: dst=0 src0=0 src1=1 src2=0
	v_mul_i32_i24_e32 v84, v195, v193 /*v449*/
	v_mul_i32_i24_e32 v86, v193, v194 /*v450*/
	s_set_vgpr_msb 0                        ;  msbs: dst=0 src0=0 src1=0 src2=0
	v_add3_u32 v3, v3, v8, v9
	s_set_vgpr_msb 1                        ;  msbs: dst=0 src0=1 src1=0 src2=0
	v_mul_i32_i24_e32 v8, v198 /*v454*/, v197
	v_mul_i32_i24_e32 v9, v200 /*v456*/, v194
	;; [unrolled: 1-line block ×3, first 2 shown]
	s_set_vgpr_msb 0                        ;  msbs: dst=0 src0=0 src1=0 src2=0
	v_add3_u32 v3, v3, v10, v12
	s_set_vgpr_msb 1                        ;  msbs: dst=0 src0=1 src1=0 src2=0
	v_mul_i32_i24_e32 v10, v201 /*v457*/, v200
	v_mad_i32_i24 v8, v199 /*v455*/, v196, v8
	v_mul_i32_i24_e32 v12, v204 /*v460*/, v198
	s_set_vgpr_msb 0                        ;  msbs: dst=0 src0=0 src1=0 src2=0
	v_add3_u32 v3, v3, v13, v14
	s_set_vgpr_msb 1                        ;  msbs: dst=0 src0=1 src1=0 src2=0
	v_mul_i32_i24_e32 v13, v205 /*v461*/, v205
	s_set_vgpr_msb 0                        ;  msbs: dst=0 src0=0 src1=0 src2=0
	v_add3_u32 v8, v8, v9, v10
	s_set_vgpr_msb 1                        ;  msbs: dst=0 src0=1 src1=0 src2=0
	v_mul_i32_i24_e32 v9, v202 /*v458*/, v202
	v_mul_i32_i24_e32 v10, v203 /*v459*/, v203
	s_set_vgpr_msb 0                        ;  msbs: dst=0 src0=0 src1=0 src2=0
	v_add3_u32 v3, v3, v15, v52
	s_set_vgpr_msb 1                        ;  msbs: dst=0 src0=1 src1=0 src2=0
	v_mul_i32_i24_e32 v14, v206 /*v462*/, v206
	v_mul_i32_i24_e32 v15, v207 /*v463*/, v207
	;; [unrolled: 1-line block ×3, first 2 shown]
	s_set_vgpr_msb 0                        ;  msbs: dst=0 src0=0 src1=0 src2=0
	v_add3_u32 v8, v8, v9, v10
	v_add3_u32 v3, v3, v53, v54
	s_set_vgpr_msb 1                        ;  msbs: dst=0 src0=1 src1=0 src2=0
	v_mul_i32_i24_e32 v53, v209 /*v465*/, v209
	v_mul_i32_i24_e32 v54, v210 /*v466*/, v210
	v_mul_i32_i24_e32 v9, v197 /*v453*/, v166
	s_set_vgpr_msb 0                        ;  msbs: dst=0 src0=0 src1=0 src2=0
	v_add3_u32 v8, v8, v12, v13
	v_add3_u32 v3, v3, v55, v56
	s_set_vgpr_msb 1                        ;  msbs: dst=0 src0=1 src1=0 src2=0
	v_mul_i32_i24_e32 v55, v211 /*v467*/, v211
	v_mul_i32_i24_e32 v56, v212 /*v468*/, v208
	s_set_vgpr_msb 4                        ;  msbs: dst=0 src0=0 src1=1 src2=0
	v_mul_i32_i24_e32 v10, v165, v226 /*v482*/
	s_set_vgpr_msb 0                        ;  msbs: dst=0 src0=0 src1=0 src2=0
	v_add3_u32 v8, v8, v14, v15
	v_add3_u32 v3, v3, v58, v60
	s_set_vgpr_msb 1                        ;  msbs: dst=0 src0=1 src1=0 src2=0
	v_mul_i32_i24_e32 v58, v213 /*v469*/, v212
	s_set_vgpr_msb 4                        ;  msbs: dst=0 src0=0 src1=1 src2=0
	v_mul_i32_i24_e32 v60, v213, v214 /*v470*/
	v_mul_i32_i24_e32 v12, v160, v185 /*v441*/
	s_set_vgpr_msb 0                        ;  msbs: dst=0 src0=0 src1=0 src2=0
	v_add3_u32 v8, v8, v52, v53
	v_add3_u32 v3, v3, v61, v62
	s_set_vgpr_msb 4                        ;  msbs: dst=0 src0=0 src1=1 src2=0
	v_mul_i32_i24_e32 v61, v214, v215 /*v471*/
	v_mul_i32_i24_e32 v62, v216, v216 /*v472*/
	s_set_vgpr_msb 0                        ;  msbs: dst=0 src0=0 src1=0 src2=0
	v_add3_u32 v8, v8, v54, v55
	v_add3_u32 v3, v3, v64, v66
	;; [unrolled: 6-line block ×6, first 2 shown]
	s_delay_alu instid0(VALU_DEP_2) | instskip(NEXT) | instid1(VALU_DEP_2)
	v_add3_u32 v8, v8, v69, v71
	v_add3_u32 v2, v2, v9, v10
	v_mul_i32_i24_e32 v9, v161, v40
	s_set_vgpr_msb 4                        ;  msbs: dst=0 src0=0 src1=1 src2=0
	v_mul_i32_i24_e32 v10, v160, v228 /*v484*/
	s_set_vgpr_msb 0                        ;  msbs: dst=0 src0=0 src1=0 src2=0
	v_add3_u32 v8, v8, v82, v84
	v_mul_lo_u32 v2, v2, v164
	s_delay_alu instid0(VALU_DEP_3) | instskip(SKIP_1) | instid1(VALU_DEP_3)
	v_add3_u32 v0, v0, v7, v10
	s_set_vgpr_msb 16                       ;  msbs: dst=0 src0=0 src1=0 src2=1
	v_add3_u32 v8, v8, v86, v160 /*v416*/
	s_delay_alu instid0(VALU_DEP_2) | instskip(NEXT) | instid1(VALU_DEP_4)
	v_mul_lo_u32 v0, v0, v163
	v_cvt_f32_i32_e32 v3, v2
	v_cvt_f32_i32_e32 v2, v1
	s_set_vgpr_msb 1                        ;  msbs: dst=0 src0=1 src1=0 src2=0
	v_mul_i32_i24_e32 v1, v224 /*v480*/, v162
	s_delay_alu instid0(VALU_DEP_2) | instskip(SKIP_1) | instid1(VALU_DEP_2)
	v_pk_fma_f32 v[2:3], v[174:175] /*v[430:431]*/, v[2:3], 0 op_sel_hi:[1,1,0]
	s_set_vgpr_msb 4                        ;  msbs: dst=0 src0=0 src1=1 src2=0
	v_add3_u32 v1, v8, v161 /*v417*/, v1
	v_cvt_f32_i32_e32 v0, v0
	s_set_vgpr_msb 0                        ;  msbs: dst=0 src0=0 src1=0 src2=0
	s_delay_alu instid0(VALU_DEP_2) | instskip(NEXT) | instid1(VALU_DEP_1)
	v_add3_u32 v1, v1, v9, v12
	v_mul_lo_u32 v1, v1, v163
	s_delay_alu instid0(VALU_DEP_1) | instskip(SKIP_1) | instid1(VALU_DEP_1)
	v_cvt_f32_i32_e32 v1, v1
	s_set_vgpr_msb 1                        ;  msbs: dst=0 src0=1 src1=0 src2=0
	v_pk_fma_f32 v[0:1], v[178:179] /*v[434:435]*/, v[0:1], v[2:3]
	s_set_vgpr_msb 4                        ;  msbs: dst=0 src0=0 src1=1 src2=0
	v_pk_fma_f32 v[2:3], v[114:115], v[170:171] /*v[426:427]*/, v[4:5] op_sel_hi:[0,1,1]
	s_set_vgpr_msb 0                        ;  msbs: dst=0 src0=0 src1=0 src2=0
	s_delay_alu instid0(VALU_DEP_1) | instskip(NEXT) | instid1(VALU_DEP_1)
	v_pk_mul_f32 v[2:3], v[2:3], v[108:109]
	v_pk_fma_f32 v[0:1], v[0:1], v[100:101], v[2:3] neg_lo:[0,0,1] neg_hi:[0,0,1]
	s_delay_alu instid0(VALU_DEP_1) | instskip(SKIP_1) | instid1(VALU_DEP_1)
	v_pk_add_f32 v[24:25], v[24:25], v[0:1]
	v_or_b32_e32 v0, s12, v143
	v_lshlrev_b32_e32 v1, 2, v0
	s_set_vgpr_msb 64                       ;  msbs: dst=1 src0=0 src1=0 src2=0
	v_lshrrev_b32_e32 v232 /*v488*/, 1, v0
	s_set_vgpr_msb 0                        ;  msbs: dst=0 src0=0 src1=0 src2=0
	ds_load_b128 v[8:11], v1 offset:16896
	ds_load_b128 v[4:7], v1 offset:16912
	ds_load_b128 v[12:15], v1 offset:16928
	ds_load_b128 v[0:3], v1 offset:16944
	s_wait_dscnt 0x3
	v_bfe_i32 v40, v8, 0, 8
	v_bfe_i32 v52, v8, 8, 8
	;; [unrolled: 1-line block ×3, first 2 shown]
	v_ashrrev_i32_e32 v8, 24, v8
	v_bfe_i32 v54, v9, 0, 8
	s_set_vgpr_msb 0x44                     ;  msbs: dst=1 src0=0 src1=1 src2=0
	v_mul_i32_i24_e32 v164 /*v420*/, v40, v102 /*v358*/
	s_set_vgpr_msb 0                        ;  msbs: dst=0 src0=0 src1=0 src2=0
	v_bfe_i32 v55, v9, 8, 8
	v_bfe_i32 v58, v10, 0, 8
	;; [unrolled: 1-line block ×4, first 2 shown]
	v_ashrrev_i32_e32 v10, 24, v10
	s_set_vgpr_msb 0x54                     ;  msbs: dst=1 src0=0 src1=1 src2=1
	v_mul_i32_i24_e32 v166 /*v422*/, v53, v103 /*v359*/
	v_mul_i32_i24_e32 v167 /*v423*/, v8, v104 /*v360*/
	v_mad_i32_i24 v164 /*v420*/, v52, v101 /*v357*/, v164 /*v420*/
	s_set_vgpr_msb 0                        ;  msbs: dst=0 src0=0 src1=0 src2=0
	v_bfe_i32 v56, v9, 16, 8
	v_ashrrev_i32_e32 v9, 24, v9
	s_set_vgpr_msb 0x44                     ;  msbs: dst=1 src0=0 src1=1 src2=0
	v_mul_i32_i24_e32 v170 /*v426*/, v58, v109 /*v365*/
	v_mul_i32_i24_e32 v171 /*v427*/, v60, v110 /*v366*/
	s_set_vgpr_msb 0x55                     ;  msbs: dst=1 src0=1 src1=1 src2=1
	v_add3_u32 v164 /*v420*/, v164 /*v420*/, v166 /*v422*/, v167 /*v423*/
	s_set_vgpr_msb 0x44                     ;  msbs: dst=1 src0=0 src1=1 src2=0
	v_mul_i32_i24_e32 v166 /*v422*/, v54, v105 /*v361*/
	v_mul_i32_i24_e32 v167 /*v423*/, v55, v106 /*v362*/
	;; [unrolled: 1-line block ×4, first 2 shown]
	s_set_vgpr_msb 0                        ;  msbs: dst=0 src0=0 src1=0 src2=0
	v_bfe_i32 v62, v11, 0, 8
	v_bfe_i32 v64, v11, 8, 8
	s_set_vgpr_msb 0x55                     ;  msbs: dst=1 src0=1 src1=1 src2=1
	v_add3_u32 v164 /*v420*/, v164 /*v420*/, v166 /*v422*/, v167 /*v423*/
	s_set_vgpr_msb 0x44                     ;  msbs: dst=1 src0=0 src1=1 src2=0
	v_mul_i32_i24_e32 v172 /*v428*/, v61, v111 /*v367*/
	v_mul_i32_i24_e32 v173 /*v429*/, v10, v112 /*v368*/
	s_set_vgpr_msb 0                        ;  msbs: dst=0 src0=0 src1=0 src2=0
	v_bfe_i32 v66, v11, 16, 8
	v_ashrrev_i32_e32 v11, 24, v11
	s_set_vgpr_msb 0x55                     ;  msbs: dst=1 src0=1 src1=1 src2=1
	v_add3_u32 v164 /*v420*/, v164 /*v420*/, v168 /*v424*/, v169 /*v425*/
	s_set_vgpr_msb 0x44                     ;  msbs: dst=1 src0=0 src1=1 src2=0
	v_mul_i32_i24_e32 v196 /*v452*/, v62, v113 /*v369*/
	v_mul_i32_i24_e32 v197 /*v453*/, v64, v114 /*v370*/
	s_wait_dscnt 0x2
	s_set_vgpr_msb 0                        ;  msbs: dst=0 src0=0 src1=0 src2=0
	v_bfe_i32 v67, v4, 0, 8
	v_bfe_i32 v69, v4, 8, 8
	s_set_vgpr_msb 0x55                     ;  msbs: dst=1 src0=1 src1=1 src2=1
	v_add3_u32 v164 /*v420*/, v164 /*v420*/, v170 /*v426*/, v171 /*v427*/
	s_set_vgpr_msb 0                        ;  msbs: dst=0 src0=0 src1=0 src2=0
	v_bfe_i32 v71, v4, 16, 8
	v_ashrrev_i32_e32 v4, 24, v4
	s_set_vgpr_msb 0x44                     ;  msbs: dst=1 src0=0 src1=1 src2=0
	v_mul_i32_i24_e32 v198 /*v454*/, v66, v115 /*v371*/
	v_mul_i32_i24_e32 v199 /*v455*/, v11, v116 /*v372*/
	s_set_vgpr_msb 0x55                     ;  msbs: dst=1 src0=1 src1=1 src2=1
	v_add3_u32 v164 /*v420*/, v164 /*v420*/, v172 /*v428*/, v173 /*v429*/
	s_set_vgpr_msb 0x44                     ;  msbs: dst=1 src0=0 src1=1 src2=0
	v_mul_i32_i24_e32 v200 /*v456*/, v67, v117 /*v373*/
	v_mul_i32_i24_e32 v201 /*v457*/, v69, v118 /*v374*/
	s_set_vgpr_msb 0                        ;  msbs: dst=0 src0=0 src1=0 src2=0
	v_bfe_i32 v82, v5, 0, 8
	v_bfe_i32 v84, v5, 8, 8
	s_set_vgpr_msb 0x55                     ;  msbs: dst=1 src0=1 src1=1 src2=1
	v_add3_u32 v164 /*v420*/, v164 /*v420*/, v196 /*v452*/, v197 /*v453*/
	s_set_vgpr_msb 0x41                     ;  msbs: dst=1 src0=1 src1=0 src2=0
	v_mul_i32_i24_e32 v202 /*v458*/, v120 /*v376*/, v71
	v_mul_i32_i24_e32 v203 /*v459*/, v119 /*v375*/, v4
	s_set_vgpr_msb 0                        ;  msbs: dst=0 src0=0 src1=0 src2=0
	v_bfe_i32 v86, v5, 16, 8
	v_ashrrev_i32_e32 v5, 24, v5
	s_set_vgpr_msb 0x55                     ;  msbs: dst=1 src0=1 src1=1 src2=1
	v_add3_u32 v164 /*v420*/, v164 /*v420*/, v198 /*v454*/, v199 /*v455*/
	s_set_vgpr_msb 0x41                     ;  msbs: dst=1 src0=1 src1=0 src2=0
	v_mul_i32_i24_e32 v204 /*v460*/, v122 /*v378*/, v82
	v_mul_i32_i24_e32 v205 /*v461*/, v121 /*v377*/, v84
	s_set_vgpr_msb 0                        ;  msbs: dst=0 src0=0 src1=0 src2=0
	v_bfe_i32 v92, v6, 0, 8
	v_bfe_i32 v133, v6, 8, 8
	s_set_vgpr_msb 0x55                     ;  msbs: dst=1 src0=1 src1=1 src2=1
	v_add3_u32 v164 /*v420*/, v164 /*v420*/, v200 /*v456*/, v201 /*v457*/
	s_set_vgpr_msb 64                       ;  msbs: dst=1 src0=0 src1=0 src2=0
	v_bfe_i32 v161 /*v417*/, v6, 16, 8
	s_set_vgpr_msb 0                        ;  msbs: dst=0 src0=0 src1=0 src2=0
	v_ashrrev_i32_e32 v6, 24, v6
	s_set_vgpr_msb 0x41                     ;  msbs: dst=1 src0=1 src1=0 src2=0
	v_mul_i32_i24_e32 v206 /*v462*/, v124 /*v380*/, v86
	v_mul_i32_i24_e32 v207 /*v463*/, v123 /*v379*/, v5
	s_set_vgpr_msb 0x55                     ;  msbs: dst=1 src0=1 src1=1 src2=1
	v_add3_u32 v164 /*v420*/, v164 /*v420*/, v202 /*v458*/, v203 /*v459*/
	s_set_vgpr_msb 0x41                     ;  msbs: dst=1 src0=1 src1=0 src2=0
	v_mul_i32_i24_e32 v208 /*v464*/, v132 /*v388*/, v92
	v_mul_i32_i24_e32 v209 /*v465*/, v125 /*v381*/, v133
	s_wait_dscnt 0x1
	s_set_vgpr_msb 64                       ;  msbs: dst=1 src0=0 src1=0 src2=0
	v_bfe_i32 v174 /*v430*/, v12, 0, 8
	s_set_vgpr_msb 0x55                     ;  msbs: dst=1 src0=1 src1=1 src2=1
	v_mul_i32_i24_e32 v210 /*v466*/, v136 /*v392*/, v161 /*v417*/
	v_add3_u32 v164 /*v420*/, v164 /*v420*/, v204 /*v460*/, v205 /*v461*/
	s_set_vgpr_msb 0x41                     ;  msbs: dst=1 src0=1 src1=0 src2=0
	v_mul_i32_i24_e32 v211 /*v467*/, v133 /*v389*/, v6
	s_set_vgpr_msb 64                       ;  msbs: dst=1 src0=0 src1=0 src2=0
	v_bfe_i32 v175 /*v431*/, v12, 8, 8
	v_bfe_i32 v176 /*v432*/, v12, 16, 8
	s_set_vgpr_msb 0                        ;  msbs: dst=0 src0=0 src1=0 src2=0
	v_ashrrev_i32_e32 v12, 24, v12
	s_set_vgpr_msb 0x55                     ;  msbs: dst=1 src0=1 src1=1 src2=1
	v_add3_u32 v164 /*v420*/, v164 /*v420*/, v206 /*v462*/, v207 /*v463*/
	s_set_vgpr_msb 64                       ;  msbs: dst=1 src0=0 src1=0 src2=0
	v_bfe_i32 v177 /*v433*/, v13, 0, 8
	v_bfe_i32 v178 /*v434*/, v13, 8, 8
	;; [unrolled: 1-line block ×3, first 2 shown]
	s_set_vgpr_msb 0                        ;  msbs: dst=0 src0=0 src1=0 src2=0
	v_ashrrev_i32_e32 v13, 24, v13
	s_set_vgpr_msb 0x55                     ;  msbs: dst=1 src0=1 src1=1 src2=1
	v_add3_u32 v164 /*v420*/, v164 /*v420*/, v208 /*v464*/, v209 /*v465*/
	v_mul_i32_i24_e32 v166 /*v422*/, v140 /*v396*/, v176 /*v432*/
	s_set_vgpr_msb 0x41                     ;  msbs: dst=1 src0=1 src1=0 src2=0
	v_mul_i32_i24_e32 v167 /*v423*/, v134 /*v390*/, v12
	s_set_vgpr_msb 64                       ;  msbs: dst=1 src0=0 src1=0 src2=0
	v_bfe_i32 v180 /*v436*/, v14, 0, 8
	v_bfe_i32 v181 /*v437*/, v14, 8, 8
	s_set_vgpr_msb 0x55                     ;  msbs: dst=1 src0=1 src1=1 src2=1
	v_add3_u32 v238 /*v494*/, v164 /*v420*/, v210 /*v466*/, v211 /*v467*/
	v_mul_i32_i24_e32 v164 /*v420*/, v141 /*v397*/, v174 /*v430*/
	v_mul_i32_i24_e32 v168 /*v424*/, v142 /*v398*/, v179 /*v435*/
	s_set_vgpr_msb 0x41                     ;  msbs: dst=1 src0=1 src1=0 src2=0
	v_mul_i32_i24_e32 v169 /*v425*/, v126 /*v382*/, v13
	s_set_vgpr_msb 64                       ;  msbs: dst=1 src0=0 src1=0 src2=0
	v_bfe_i32 v182 /*v438*/, v14, 16, 8
	s_set_vgpr_msb 0                        ;  msbs: dst=0 src0=0 src1=0 src2=0
	v_ashrrev_i32_e32 v14, 24, v14
	s_set_vgpr_msb 0x55                     ;  msbs: dst=1 src0=1 src1=1 src2=1
	v_mad_i32_i24 v164 /*v420*/, v139 /*v395*/, v175 /*v431*/, v164 /*v420*/
	v_mul_i32_i24_e32 v170 /*v426*/, v147 /*v403*/, v180 /*v436*/
	v_mul_i32_i24_e32 v171 /*v427*/, v146 /*v402*/, v181 /*v437*/
	s_set_vgpr_msb 64                       ;  msbs: dst=1 src0=0 src1=0 src2=0
	v_bfe_i32 v183 /*v439*/, v15, 0, 8
	v_bfe_i32 v184 /*v440*/, v15, 8, 8
	s_set_vgpr_msb 0x55                     ;  msbs: dst=1 src0=1 src1=1 src2=1
	v_add3_u32 v164 /*v420*/, v164 /*v420*/, v166 /*v422*/, v167 /*v423*/
	v_mul_i32_i24_e32 v166 /*v422*/, v144 /*v400*/, v177 /*v433*/
	v_mul_i32_i24_e32 v167 /*v423*/, v143 /*v399*/, v178 /*v434*/
	s_set_vgpr_msb 64                       ;  msbs: dst=1 src0=0 src1=0 src2=0
	v_bfe_i32 v185 /*v441*/, v15, 16, 8
	s_set_vgpr_msb 0                        ;  msbs: dst=0 src0=0 src1=0 src2=0
	v_ashrrev_i32_e32 v15, 24, v15
	s_set_vgpr_msb 0x45                     ;  msbs: dst=1 src0=1 src1=1 src2=0
	v_mul_i32_i24_e32 v172 /*v428*/, v145 /*v401*/, v182 /*v438*/
	s_set_vgpr_msb 0x41                     ;  msbs: dst=1 src0=1 src1=0 src2=0
	v_mul_i32_i24_e32 v173 /*v429*/, v127 /*v383*/, v14
	s_set_vgpr_msb 0x55                     ;  msbs: dst=1 src0=1 src1=1 src2=1
	v_add3_u32 v164 /*v420*/, v164 /*v420*/, v166 /*v422*/, v167 /*v423*/
	v_mul_i32_i24_e32 v196 /*v452*/, v150 /*v406*/, v183 /*v439*/
	v_mul_i32_i24_e32 v197 /*v453*/, v149 /*v405*/, v184 /*v440*/
	s_wait_dscnt 0x0
	s_set_vgpr_msb 64                       ;  msbs: dst=1 src0=0 src1=0 src2=0
	v_bfe_i32 v186 /*v442*/, v0, 0, 8
	v_bfe_i32 v187 /*v443*/, v0, 8, 8
	s_set_vgpr_msb 0x55                     ;  msbs: dst=1 src0=1 src1=1 src2=1
	v_add3_u32 v164 /*v420*/, v164 /*v420*/, v168 /*v424*/, v169 /*v425*/
	v_mul_i32_i24_e32 v198 /*v454*/, v148 /*v404*/, v185 /*v441*/
	s_set_vgpr_msb 0x41                     ;  msbs: dst=1 src0=1 src1=0 src2=0
	v_mul_i32_i24_e32 v199 /*v455*/, v128 /*v384*/, v15
	s_set_vgpr_msb 64                       ;  msbs: dst=1 src0=0 src1=0 src2=0
	v_bfe_i32 v188 /*v444*/, v0, 16, 8
	s_set_vgpr_msb 0                        ;  msbs: dst=0 src0=0 src1=0 src2=0
	v_ashrrev_i32_e32 v0, 24, v0
	s_set_vgpr_msb 0x55                     ;  msbs: dst=1 src0=1 src1=1 src2=1
	v_add3_u32 v164 /*v420*/, v164 /*v420*/, v170 /*v426*/, v171 /*v427*/
	v_mul_i32_i24_e32 v200 /*v456*/, v153 /*v409*/, v186 /*v442*/
	v_mul_i32_i24_e32 v201 /*v457*/, v152 /*v408*/, v187 /*v443*/
	s_set_vgpr_msb 64                       ;  msbs: dst=1 src0=0 src1=0 src2=0
	v_bfe_i32 v189 /*v445*/, v1, 0, 8
	v_bfe_i32 v190 /*v446*/, v1, 8, 8
	s_set_vgpr_msb 0x55                     ;  msbs: dst=1 src0=1 src1=1 src2=1
	v_add3_u32 v164 /*v420*/, v164 /*v420*/, v172 /*v428*/, v173 /*v429*/
	s_set_vgpr_msb 64                       ;  msbs: dst=1 src0=0 src1=0 src2=0
	v_bfe_i32 v191 /*v447*/, v1, 16, 8
	s_set_vgpr_msb 0                        ;  msbs: dst=0 src0=0 src1=0 src2=0
	v_ashrrev_i32_e32 v1, 24, v1
	s_set_vgpr_msb 0x45                     ;  msbs: dst=1 src0=1 src1=1 src2=0
	v_mul_i32_i24_e32 v202 /*v458*/, v151 /*v407*/, v188 /*v444*/
	s_set_vgpr_msb 0x41                     ;  msbs: dst=1 src0=1 src1=0 src2=0
	v_mul_i32_i24_e32 v203 /*v459*/, v129 /*v385*/, v0
	s_set_vgpr_msb 0x55                     ;  msbs: dst=1 src0=1 src1=1 src2=1
	v_add3_u32 v164 /*v420*/, v164 /*v420*/, v196 /*v452*/, v197 /*v453*/
	v_mul_i32_i24_e32 v204 /*v460*/, v156 /*v412*/, v189 /*v445*/
	v_mul_i32_i24_e32 v205 /*v461*/, v155 /*v411*/, v190 /*v446*/
	s_set_vgpr_msb 64                       ;  msbs: dst=1 src0=0 src1=0 src2=0
	v_bfe_i32 v192 /*v448*/, v2, 0, 8
	v_bfe_i32 v193 /*v449*/, v2, 8, 8
	s_set_vgpr_msb 0x55                     ;  msbs: dst=1 src0=1 src1=1 src2=1
	v_add3_u32 v164 /*v420*/, v164 /*v420*/, v198 /*v454*/, v199 /*v455*/
	v_mul_i32_i24_e32 v206 /*v462*/, v154 /*v410*/, v191 /*v447*/
	s_set_vgpr_msb 0x41                     ;  msbs: dst=1 src0=1 src1=0 src2=0
	v_mul_i32_i24_e32 v207 /*v463*/, v130 /*v386*/, v1
	s_set_vgpr_msb 64                       ;  msbs: dst=1 src0=0 src1=0 src2=0
	v_bfe_i32 v194 /*v450*/, v2, 16, 8
	s_set_vgpr_msb 0                        ;  msbs: dst=0 src0=0 src1=0 src2=0
	v_ashrrev_i32_e32 v2, 24, v2
	s_set_vgpr_msb 0x55                     ;  msbs: dst=1 src0=1 src1=1 src2=1
	v_add3_u32 v164 /*v420*/, v164 /*v420*/, v200 /*v456*/, v201 /*v457*/
	v_mul_i32_i24_e32 v208 /*v464*/, v159 /*v415*/, v192 /*v448*/
	v_mul_i32_i24_e32 v209 /*v465*/, v158 /*v414*/, v193 /*v449*/
	;; [unrolled: 1-line block ×3, first 2 shown]
	s_set_vgpr_msb 0x41                     ;  msbs: dst=1 src0=1 src1=0 src2=0
	v_mul_i32_i24_e32 v211 /*v467*/, v131 /*v387*/, v2
	s_set_vgpr_msb 0x55                     ;  msbs: dst=1 src0=1 src1=1 src2=1
	v_add3_u32 v164 /*v420*/, v164 /*v420*/, v202 /*v458*/, v203 /*v459*/
	s_set_vgpr_msb 0x44                     ;  msbs: dst=1 src0=0 src1=1 src2=0
	v_mul_i32_i24_e32 v166 /*v422*/, v53, v44 /*v300*/
	v_mul_i32_i24_e32 v167 /*v423*/, v8, v45 /*v301*/
	v_mul_i32_i24_e32 v168 /*v424*/, v56, v48 /*v304*/
	v_mul_i32_i24_e32 v169 /*v425*/, v9, v49 /*v305*/
	s_set_vgpr_msb 0x55                     ;  msbs: dst=1 src0=1 src1=1 src2=1
	v_add3_u32 v164 /*v420*/, v164 /*v420*/, v204 /*v460*/, v205 /*v461*/
	s_set_vgpr_msb 0x44                     ;  msbs: dst=1 src0=0 src1=1 src2=0
	v_mul_i32_i24_e32 v170 /*v426*/, v58, v50 /*v306*/
	v_mul_i32_i24_e32 v171 /*v427*/, v60, v51 /*v307*/
	v_mul_i32_i24_e32 v172 /*v428*/, v61, v52 /*v308*/
	v_mul_i32_i24_e32 v173 /*v429*/, v10, v53 /*v309*/
	;; [unrolled: 7-line block ×3, first 2 shown]
	s_set_vgpr_msb 0x55                     ;  msbs: dst=1 src0=1 src1=1 src2=1
	v_add3_u32 v164 /*v420*/, v164 /*v420*/, v208 /*v464*/, v209 /*v465*/
	s_set_vgpr_msb 0x44                     ;  msbs: dst=1 src0=0 src1=1 src2=0
	v_mul_i32_i24_e32 v200 /*v456*/, v67, v58 /*v314*/
	v_mul_i32_i24_e32 v201 /*v457*/, v69, v59 /*v315*/
	s_set_vgpr_msb 0x41                     ;  msbs: dst=1 src0=1 src1=0 src2=0
	v_mul_i32_i24_e32 v202 /*v458*/, v61 /*v317*/, v71
	v_mul_i32_i24_e32 v203 /*v459*/, v60 /*v316*/, v4
	s_set_vgpr_msb 0x55                     ;  msbs: dst=1 src0=1 src1=1 src2=1
	v_add3_u32 v240 /*v496*/, v164 /*v420*/, v210 /*v466*/, v211 /*v467*/
	s_set_vgpr_msb 0x44                     ;  msbs: dst=1 src0=0 src1=1 src2=0
	v_mul_i32_i24_e32 v164 /*v420*/, v40, v43 /*v299*/
	s_set_vgpr_msb 0x41                     ;  msbs: dst=1 src0=1 src1=0 src2=0
	v_mul_i32_i24_e32 v204 /*v460*/, v63 /*v319*/, v82
	v_mul_i32_i24_e32 v205 /*v461*/, v62 /*v318*/, v84
	;; [unrolled: 1-line block ×4, first 2 shown]
	s_set_vgpr_msb 0x54                     ;  msbs: dst=1 src0=0 src1=1 src2=1
	v_mad_i32_i24 v164 /*v420*/, v52, v42 /*v298*/, v164 /*v420*/
	s_set_vgpr_msb 0x41                     ;  msbs: dst=1 src0=1 src1=0 src2=0
	v_mul_i32_i24_e32 v208 /*v464*/, v67 /*v323*/, v92
	v_mul_i32_i24_e32 v209 /*v465*/, v66 /*v322*/, v133
	s_set_vgpr_msb 0x45                     ;  msbs: dst=1 src0=1 src1=1 src2=0
	v_mul_i32_i24_e32 v210 /*v466*/, v70 /*v326*/, v161 /*v417*/
	s_set_vgpr_msb 0x41                     ;  msbs: dst=1 src0=1 src1=0 src2=0
	v_mul_i32_i24_e32 v211 /*v467*/, v68 /*v324*/, v6
	s_set_vgpr_msb 0x55                     ;  msbs: dst=1 src0=1 src1=1 src2=1
	v_add3_u32 v164 /*v420*/, v164 /*v420*/, v166 /*v422*/, v167 /*v423*/
	s_set_vgpr_msb 0x44                     ;  msbs: dst=1 src0=0 src1=1 src2=0
	v_mul_i32_i24_e32 v166 /*v422*/, v54, v46 /*v302*/
	v_mul_i32_i24_e32 v167 /*v423*/, v55, v47 /*v303*/
	s_set_vgpr_msb 0x41                     ;  msbs: dst=1 src0=1 src1=0 src2=0
	v_mul_i32_i24_e32 v212 /*v468*/, v98 /*v354*/, v2
	s_set_vgpr_msb 64                       ;  msbs: dst=1 src0=0 src1=0 src2=0
	v_mul_i32_i24_e32 v213 /*v469*/, v253, v133
	s_set_vgpr_msb 0x45                     ;  msbs: dst=1 src0=1 src1=1 src2=0
	v_mul_i32_i24_e32 v214 /*v470*/, v1 /*v257*/, v161 /*v417*/
	s_set_vgpr_msb 64                       ;  msbs: dst=1 src0=0 src1=0 src2=0
	v_mul_i32_i24_e32 v215 /*v471*/, v255, v6
	s_set_vgpr_msb 0x55                     ;  msbs: dst=1 src0=1 src1=1 src2=1
	v_add3_u32 v164 /*v420*/, v164 /*v420*/, v166 /*v422*/, v167 /*v423*/
	v_mul_i32_i24_e32 v166 /*v422*/, v176 /*v432*/, v69 /*v325*/
	s_set_vgpr_msb 0x44                     ;  msbs: dst=1 src0=0 src1=1 src2=0
	v_mul_i32_i24_e32 v167 /*v423*/, v12, v75 /*v331*/
	s_set_vgpr_msb 0                        ;  msbs: dst=0 src0=0 src1=0 src2=0
	v_mul_i32_i24_e32 v6, v193, v6
	s_set_vgpr_msb 64                       ;  msbs: dst=1 src0=0 src1=0 src2=0
	v_bfe_i32 v162 /*v418*/, v7, 0, 8
	s_set_vgpr_msb 0x55                     ;  msbs: dst=1 src0=1 src1=1 src2=1
	v_add3_u32 v164 /*v420*/, v164 /*v420*/, v168 /*v424*/, v169 /*v425*/
	v_mul_i32_i24_e32 v168 /*v424*/, v179 /*v435*/, v73 /*v329*/
	s_set_vgpr_msb 0x44                     ;  msbs: dst=1 src0=0 src1=1 src2=0
	v_mul_i32_i24_e32 v169 /*v425*/, v13, v80 /*v336*/
	s_set_vgpr_msb 0x45                     ;  msbs: dst=1 src0=1 src1=1 src2=0
	v_mul_i32_i24_e32 v216 /*v472*/, v30 /*v286*/, v194 /*v450*/
	s_set_vgpr_msb 0x41                     ;  msbs: dst=1 src0=1 src1=0 src2=0
	v_mul_i32_i24_e32 v217 /*v473*/, v29 /*v285*/, v2
	s_set_vgpr_msb 0x55                     ;  msbs: dst=1 src0=1 src1=1 src2=1
	v_add3_u32 v164 /*v420*/, v164 /*v420*/, v170 /*v426*/, v171 /*v427*/
	v_mul_i32_i24_e32 v170 /*v426*/, v180 /*v436*/, v81 /*v337*/
	v_mul_i32_i24_e32 v171 /*v427*/, v181 /*v437*/, v82 /*v338*/
	s_set_vgpr_msb 0                        ;  msbs: dst=0 src0=0 src1=0 src2=0
	v_mul_i32_i24_e32 v2, v223, v2
	s_set_vgpr_msb 0x55                     ;  msbs: dst=1 src0=1 src1=1 src2=1
	v_mul_i32_i24_e32 v236 /*v492*/, v162 /*v418*/, v137 /*v393*/
	v_add3_u32 v164 /*v420*/, v164 /*v420*/, v172 /*v428*/, v173 /*v429*/
	v_mul_i32_i24_e32 v173 /*v429*/, v182 /*v438*/, v79 /*v335*/
	v_mul_i32_i24_e32 v233 /*v489*/, v162 /*v418*/, v74 /*v330*/
	s_set_vgpr_msb 64                       ;  msbs: dst=1 src0=0 src1=0 src2=0
	v_bfe_i32 v195 /*v451*/, v3, 0, 8
	v_bfe_i32 v165 /*v421*/, v7, 8, 8
	s_set_vgpr_msb 0x55                     ;  msbs: dst=1 src0=1 src1=1 src2=1
	v_add3_u32 v164 /*v420*/, v164 /*v420*/, v196 /*v452*/, v197 /*v453*/
	s_set_vgpr_msb 0x44                     ;  msbs: dst=1 src0=0 src1=1 src2=0
	v_mul_i32_i24_e32 v196 /*v452*/, v14, v84 /*v340*/
	s_set_vgpr_msb 0x55                     ;  msbs: dst=1 src0=1 src1=1 src2=1
	v_mul_i32_i24_e32 v197 /*v453*/, v183 /*v439*/, v85 /*v341*/
	v_mul_i32_i24_e32 v239 /*v495*/, v195 /*v451*/, v135 /*v391*/
	;; [unrolled: 1-line block ×3, first 2 shown]
	v_add3_u32 v164 /*v420*/, v164 /*v420*/, v198 /*v454*/, v199 /*v455*/
	v_mul_i32_i24_e32 v198 /*v454*/, v184 /*v440*/, v86 /*v342*/
	v_mul_i32_i24_e32 v199 /*v455*/, v185 /*v441*/, v83 /*v339*/
	s_set_vgpr_msb 64                       ;  msbs: dst=1 src0=0 src1=0 src2=0
	v_bfe_i32 v163 /*v419*/, v7, 16, 8
	s_set_vgpr_msb 0x55                     ;  msbs: dst=1 src0=1 src1=1 src2=1
	v_mul_i32_i24_e32 v237 /*v493*/, v165 /*v421*/, v138 /*v394*/
	v_add3_u32 v164 /*v420*/, v164 /*v420*/, v200 /*v456*/, v201 /*v457*/
	s_set_vgpr_msb 0x44                     ;  msbs: dst=1 src0=0 src1=1 src2=0
	v_mul_i32_i24_e32 v200 /*v456*/, v15, v87 /*v343*/
	s_set_vgpr_msb 0x45                     ;  msbs: dst=1 src0=1 src1=1 src2=0
	v_mul_i32_i24_e32 v201 /*v457*/, v88 /*v344*/, v186 /*v442*/
	s_set_vgpr_msb 64                       ;  msbs: dst=1 src0=0 src1=0 src2=0
	v_bfe_i32 v160 /*v416*/, v3, 8, 8
	s_set_vgpr_msb 0x55                     ;  msbs: dst=1 src0=1 src1=1 src2=1
	v_mul_i32_i24_e32 v234 /*v490*/, v165 /*v421*/, v76 /*v332*/
	v_add3_u32 v164 /*v420*/, v164 /*v420*/, v202 /*v458*/, v203 /*v459*/
	v_mul_i32_i24_e32 v202 /*v458*/, v89 /*v345*/, v187 /*v443*/
	v_mul_i32_i24_e32 v203 /*v459*/, v91 /*v347*/, v188 /*v444*/
	s_delay_alu instid0(VALU_DEP_3)
	v_add3_u32 v164 /*v420*/, v164 /*v420*/, v204 /*v460*/, v205 /*v461*/
	s_set_vgpr_msb 0x41                     ;  msbs: dst=1 src0=1 src1=0 src2=0
	v_mul_i32_i24_e32 v204 /*v460*/, v90 /*v346*/, v0
	s_set_vgpr_msb 0x55                     ;  msbs: dst=1 src0=1 src1=1 src2=1
	v_mul_i32_i24_e32 v205 /*v461*/, v92 /*v348*/, v189 /*v445*/
	v_add3_u32 v164 /*v420*/, v164 /*v420*/, v206 /*v462*/, v207 /*v463*/
	v_mul_i32_i24_e32 v206 /*v462*/, v93 /*v349*/, v190 /*v446*/
	v_mul_i32_i24_e32 v207 /*v463*/, v95 /*v351*/, v191 /*v447*/
	s_delay_alu instid0(VALU_DEP_3)
	v_add3_u32 v164 /*v420*/, v164 /*v420*/, v208 /*v464*/, v209 /*v465*/
	s_set_vgpr_msb 0x41                     ;  msbs: dst=1 src0=1 src1=0 src2=0
	v_mul_i32_i24_e32 v208 /*v464*/, v94 /*v350*/, v1
	s_set_vgpr_msb 0x55                     ;  msbs: dst=1 src0=1 src1=1 src2=1
	v_mul_i32_i24_e32 v209 /*v465*/, v96 /*v352*/, v192 /*v448*/
	v_add3_u32 v235 /*v491*/, v164 /*v420*/, v210 /*v466*/, v211 /*v467*/
	v_mul_i32_i24_e32 v164 /*v420*/, v174 /*v430*/, v72 /*v328*/
	v_mul_i32_i24_e32 v210 /*v466*/, v97 /*v353*/, v193 /*v449*/
	v_mul_i32_i24_e32 v211 /*v467*/, v99 /*v355*/, v194 /*v450*/
	s_delay_alu instid0(VALU_DEP_3) | instskip(NEXT) | instid1(VALU_DEP_1)
	v_mad_i32_i24 v164 /*v420*/, v175 /*v431*/, v71 /*v327*/, v164 /*v420*/
	v_add3_u32 v164 /*v420*/, v164 /*v420*/, v166 /*v422*/, v167 /*v423*/
	v_mul_i32_i24_e32 v166 /*v422*/, v177 /*v433*/, v77 /*v333*/
	v_mul_i32_i24_e32 v167 /*v423*/, v178 /*v434*/, v78 /*v334*/
	s_delay_alu instid0(VALU_DEP_1)
	v_add3_u32 v164 /*v420*/, v164 /*v420*/, v166 /*v422*/, v167 /*v423*/
	s_set_vgpr_msb 64                       ;  msbs: dst=1 src0=0 src1=0 src2=0
	v_mul_i32_i24_e32 v166 /*v422*/, v53, v231
	v_mul_i32_i24_e32 v167 /*v423*/, v8, v232
	s_set_vgpr_msb 0                        ;  msbs: dst=0 src0=0 src1=0 src2=0
	v_mul_i32_i24_e32 v53, v53, v169
	v_mul_i32_i24_e32 v8, v8, v170
	s_set_vgpr_msb 0x55                     ;  msbs: dst=1 src0=1 src1=1 src2=1
	v_add3_u32 v164 /*v420*/, v164 /*v420*/, v168 /*v424*/, v169 /*v425*/
	s_set_vgpr_msb 64                       ;  msbs: dst=1 src0=0 src1=0 src2=0
	v_mul_i32_i24_e32 v168 /*v424*/, v56, v235
	s_set_vgpr_msb 0x55                     ;  msbs: dst=1 src0=1 src1=1 src2=1
	v_mul_i32_i24_e32 v169 /*v425*/, v162 /*v418*/, v5 /*v261*/
	v_add3_u32 v164 /*v420*/, v164 /*v420*/, v170 /*v426*/, v171 /*v427*/
	s_set_vgpr_msb 64                       ;  msbs: dst=1 src0=0 src1=0 src2=0
	v_mul_i32_i24_e32 v171 /*v427*/, v9, v236
	s_set_vgpr_msb 0                        ;  msbs: dst=0 src0=0 src1=0 src2=0
	v_mul_i32_i24_e32 v9, v9, v174
	s_set_vgpr_msb 0x45                     ;  msbs: dst=1 src0=1 src1=1 src2=0
	v_mul_i32_i24_e32 v170 /*v426*/, v165 /*v421*/, v7 /*v263*/
	s_set_vgpr_msb 0x41                     ;  msbs: dst=1 src0=1 src1=0 src2=0
	v_mul_i32_i24_e32 v165 /*v421*/, v165 /*v421*/, v201
	s_set_vgpr_msb 0x55                     ;  msbs: dst=1 src0=1 src1=1 src2=1
	v_add3_u32 v164 /*v420*/, v164 /*v420*/, v173 /*v429*/, v196 /*v452*/
	s_set_vgpr_msb 64                       ;  msbs: dst=1 src0=0 src1=0 src2=0
	v_mul_i32_i24_e32 v196 /*v452*/, v58, v237
	s_set_vgpr_msb 0x55                     ;  msbs: dst=1 src0=1 src1=1 src2=1
	s_delay_alu instid0(VALU_DEP_2)
	v_add3_u32 v164 /*v420*/, v164 /*v420*/, v197 /*v453*/, v198 /*v454*/
	s_set_vgpr_msb 64                       ;  msbs: dst=1 src0=0 src1=0 src2=0
	v_mul_i32_i24_e32 v197 /*v453*/, v60, v238
	v_mul_i32_i24_e32 v198 /*v454*/, v61, v239
	s_set_vgpr_msb 0x55                     ;  msbs: dst=1 src0=1 src1=1 src2=1
	v_add3_u32 v164 /*v420*/, v164 /*v420*/, v199 /*v455*/, v200 /*v456*/
	s_set_vgpr_msb 64                       ;  msbs: dst=1 src0=0 src1=0 src2=0
	v_mul_i32_i24_e32 v199 /*v455*/, v10, v240
	v_mul_i32_i24_e32 v200 /*v456*/, v62, v241
	s_set_vgpr_msb 0                        ;  msbs: dst=0 src0=0 src1=0 src2=0
	v_mul_i32_i24_e32 v10, v10, v178
	s_set_vgpr_msb 0x55                     ;  msbs: dst=1 src0=1 src1=1 src2=1
	v_add3_u32 v164 /*v420*/, v164 /*v420*/, v201 /*v457*/, v202 /*v458*/
	s_set_vgpr_msb 64                       ;  msbs: dst=1 src0=0 src1=0 src2=0
	v_mul_i32_i24_e32 v201 /*v457*/, v64, v242
	v_mul_i32_i24_e32 v202 /*v458*/, v66, v243
	s_set_vgpr_msb 0x55                     ;  msbs: dst=1 src0=1 src1=1 src2=1
	v_add3_u32 v164 /*v420*/, v164 /*v420*/, v203 /*v459*/, v204 /*v460*/
	s_set_vgpr_msb 64                       ;  msbs: dst=1 src0=0 src1=0 src2=0
	v_mul_i32_i24_e32 v203 /*v459*/, v11, v244
	v_mul_i32_i24_e32 v204 /*v460*/, v67, v245
	s_set_vgpr_msb 0                        ;  msbs: dst=0 src0=0 src1=0 src2=0
	v_mul_i32_i24_e32 v11, v11, v182
	s_set_vgpr_msb 0x55                     ;  msbs: dst=1 src0=1 src1=1 src2=1
	v_add3_u32 v164 /*v420*/, v164 /*v420*/, v205 /*v461*/, v206 /*v462*/
	s_set_vgpr_msb 64                       ;  msbs: dst=1 src0=0 src1=0 src2=0
	v_mul_i32_i24_e32 v205 /*v461*/, v69, v246
	v_mul_i32_i24_e32 v206 /*v462*/, v248, v71
	s_set_vgpr_msb 0x55                     ;  msbs: dst=1 src0=1 src1=1 src2=1
	v_add3_u32 v164 /*v420*/, v164 /*v420*/, v207 /*v463*/, v208 /*v464*/
	s_set_vgpr_msb 64                       ;  msbs: dst=1 src0=0 src1=0 src2=0
	v_mul_i32_i24_e32 v207 /*v463*/, v247, v4
	v_mul_i32_i24_e32 v208 /*v464*/, v250, v82
	s_set_vgpr_msb 0                        ;  msbs: dst=0 src0=0 src1=0 src2=0
	v_mul_i32_i24_e32 v4, v185, v4
	s_set_vgpr_msb 0x55                     ;  msbs: dst=1 src0=1 src1=1 src2=1
	v_add3_u32 v164 /*v420*/, v164 /*v420*/, v209 /*v465*/, v210 /*v466*/
	s_set_vgpr_msb 64                       ;  msbs: dst=1 src0=0 src1=0 src2=0
	v_mul_i32_i24_e32 v209 /*v465*/, v249, v84
	v_mul_i32_i24_e32 v210 /*v466*/, v252, v86
	s_set_vgpr_msb 0x55                     ;  msbs: dst=1 src0=1 src1=1 src2=1
	v_add3_u32 v173 /*v429*/, v164 /*v420*/, v211 /*v467*/, v212 /*v468*/
	s_set_vgpr_msb 64                       ;  msbs: dst=1 src0=0 src1=0 src2=0
	v_mul_i32_i24_e32 v164 /*v420*/, v40, v230
	s_set_vgpr_msb 0                        ;  msbs: dst=0 src0=0 src1=0 src2=0
	v_mul_i32_i24_e32 v40, v40, v168
	s_set_vgpr_msb 64                       ;  msbs: dst=1 src0=0 src1=0 src2=0
	v_mul_i32_i24_e32 v211 /*v467*/, v251, v5
	v_mul_i32_i24_e32 v212 /*v468*/, v254, v92
	s_set_vgpr_msb 0                        ;  msbs: dst=0 src0=0 src1=0 src2=0
	v_mul_i32_i24_e32 v5, v189, v5
	s_set_vgpr_msb 0x50                     ;  msbs: dst=1 src0=0 src1=0 src2=1
	v_mad_i32_i24 v164 /*v420*/, v52, v229, v164 /*v420*/
	s_set_vgpr_msb 0                        ;  msbs: dst=0 src0=0 src1=0 src2=0
	v_mad_i32_i24 v40, v52, v167, v40
	v_mul_i32_i24_e32 v52, v55, v172
	s_set_vgpr_msb 0x55                     ;  msbs: dst=1 src0=1 src1=1 src2=1
	v_add3_u32 v164 /*v420*/, v164 /*v420*/, v166 /*v422*/, v167 /*v423*/
	s_set_vgpr_msb 64                       ;  msbs: dst=1 src0=0 src1=0 src2=0
	v_mul_i32_i24_e32 v166 /*v422*/, v54, v233
	v_mul_i32_i24_e32 v167 /*v423*/, v55, v234
	s_set_vgpr_msb 0                        ;  msbs: dst=0 src0=0 src1=0 src2=0
	v_add3_u32 v8, v40, v53, v8
	v_mul_i32_i24_e32 v40, v54, v171
	v_mul_i32_i24_e32 v53, v56, v173
	;; [unrolled: 1-line block ×3, first 2 shown]
	s_set_vgpr_msb 0x55                     ;  msbs: dst=1 src0=1 src1=1 src2=1
	v_add3_u32 v164 /*v420*/, v164 /*v420*/, v166 /*v422*/, v167 /*v423*/
	s_set_vgpr_msb 0                        ;  msbs: dst=0 src0=0 src1=0 src2=0
	v_mul_i32_i24_e32 v55, v60, v176
	v_add3_u32 v8, v8, v40, v52
	v_mul_i32_i24_e32 v56, v61, v177
	v_mul_i32_i24_e32 v58, v62, v179
	s_set_vgpr_msb 0x55                     ;  msbs: dst=1 src0=1 src1=1 src2=1
	v_add3_u32 v164 /*v420*/, v164 /*v420*/, v168 /*v424*/, v171 /*v427*/
	s_set_vgpr_msb 0                        ;  msbs: dst=0 src0=0 src1=0 src2=0
	v_mul_i32_i24_e32 v60, v64, v180
	v_add3_u32 v8, v8, v53, v9
	v_mul_i32_i24_e32 v61, v66, v181
	v_mul_i32_i24_e32 v62, v67, v183
	;; [unrolled: 7-line block ×3, first 2 shown]
	s_set_vgpr_msb 0x55                     ;  msbs: dst=1 src0=1 src1=1 src2=1
	v_add3_u32 v164 /*v420*/, v164 /*v420*/, v198 /*v454*/, v199 /*v455*/
	s_set_vgpr_msb 0                        ;  msbs: dst=0 src0=0 src1=0 src2=0
	v_mul_i32_i24_e32 v69, v187, v84
	v_add3_u32 v8, v8, v56, v10
	v_mul_i32_i24_e32 v71, v190, v86
	s_set_vgpr_msb 0x55                     ;  msbs: dst=1 src0=1 src1=1 src2=1
	v_mul_i32_i24_e32 v166 /*v422*/, v176 /*v432*/, v0 /*v256*/
	v_add3_u32 v164 /*v420*/, v164 /*v420*/, v200 /*v456*/, v201 /*v457*/
	s_set_vgpr_msb 0x44                     ;  msbs: dst=1 src0=0 src1=1 src2=0
	v_mul_i32_i24_e32 v167 /*v423*/, v12, v6 /*v262*/
	s_set_vgpr_msb 0                        ;  msbs: dst=0 src0=0 src1=0 src2=0
	v_add3_u32 v8, v8, v58, v60
	v_mul_i32_i24_e32 v82, v192, v92
	v_mul_i32_i24_e32 v84, v191, v133
	s_set_vgpr_msb 0x55                     ;  msbs: dst=1 src0=1 src1=1 src2=1
	v_add3_u32 v164 /*v420*/, v164 /*v420*/, v202 /*v458*/, v203 /*v459*/
	v_mul_i32_i24_e32 v168 /*v424*/, v178 /*v434*/, v9 /*v265*/
	s_set_vgpr_msb 0                        ;  msbs: dst=0 src0=0 src1=0 src2=0
	v_add3_u32 v8, v8, v61, v11
	s_set_vgpr_msb 4                        ;  msbs: dst=0 src0=0 src1=1 src2=0
	v_mul_i32_i24_e32 v86, v195, v161 /*v417*/
	s_set_vgpr_msb 0x55                     ;  msbs: dst=1 src0=1 src1=1 src2=1
	v_mul_i32_i24_e32 v196 /*v452*/, v179 /*v435*/, v4 /*v260*/
	v_add3_u32 v164 /*v420*/, v164 /*v420*/, v204 /*v460*/, v205 /*v461*/
	s_set_vgpr_msb 0x44                     ;  msbs: dst=1 src0=0 src1=1 src2=0
	v_mul_i32_i24_e32 v197 /*v453*/, v13, v11 /*v267*/
	s_set_vgpr_msb 0                        ;  msbs: dst=0 src0=0 src1=0 src2=0
	v_add3_u32 v8, v8, v62, v64
	v_mul_i32_i24_e32 v9, v13, v205
	s_set_vgpr_msb 0x55                     ;  msbs: dst=1 src0=1 src1=1 src2=1
	v_mul_i32_i24_e32 v198 /*v454*/, v180 /*v436*/, v12 /*v268*/
	v_add3_u32 v164 /*v420*/, v164 /*v420*/, v206 /*v462*/, v207 /*v463*/
	v_mul_i32_i24_e32 v199 /*v455*/, v181 /*v437*/, v13 /*v269*/
	s_set_vgpr_msb 0                        ;  msbs: dst=0 src0=0 src1=0 src2=0
	v_add3_u32 v4, v8, v66, v4
	s_set_vgpr_msb 1                        ;  msbs: dst=0 src0=1 src1=0 src2=0
	v_mul_i32_i24_e32 v8, v179 /*v435*/, v198
	v_mul_i32_i24_e32 v10, v180 /*v436*/, v206
	s_set_vgpr_msb 0x55                     ;  msbs: dst=1 src0=1 src1=1 src2=1
	v_add3_u32 v164 /*v420*/, v164 /*v420*/, v208 /*v464*/, v209 /*v465*/
	s_set_vgpr_msb 1                        ;  msbs: dst=0 src0=1 src1=0 src2=0
	v_mul_i32_i24_e32 v11, v181 /*v437*/, v207
	s_set_vgpr_msb 0                        ;  msbs: dst=0 src0=0 src1=0 src2=0
	v_add3_u32 v4, v4, v67, v69
	s_set_vgpr_msb 0x45                     ;  msbs: dst=1 src0=1 src1=1 src2=0
	v_mul_i32_i24_e32 v200 /*v456*/, v182 /*v438*/, v10 /*v266*/
	s_set_vgpr_msb 0x44                     ;  msbs: dst=1 src0=0 src1=1 src2=0
	v_mul_i32_i24_e32 v201 /*v457*/, v14, v15 /*v271*/
	s_set_vgpr_msb 0x55                     ;  msbs: dst=1 src0=1 src1=1 src2=1
	v_add3_u32 v164 /*v420*/, v164 /*v420*/, v210 /*v466*/, v211 /*v467*/
	s_set_vgpr_msb 0                        ;  msbs: dst=0 src0=0 src1=0 src2=0
	v_mul_i32_i24_e32 v13, v14, v209
	v_add3_u32 v4, v4, v71, v5
	s_set_vgpr_msb 1                        ;  msbs: dst=0 src0=1 src1=0 src2=0
	v_mul_i32_i24_e32 v5, v176 /*v432*/, v194
	s_set_vgpr_msb 0x55                     ;  msbs: dst=1 src0=1 src1=1 src2=1
	v_mul_i32_i24_e32 v202 /*v458*/, v183 /*v439*/, v16 /*v272*/
	v_add3_u32 v164 /*v420*/, v164 /*v420*/, v212 /*v468*/, v213 /*v469*/
	v_mul_i32_i24_e32 v203 /*v459*/, v184 /*v440*/, v17 /*v273*/
	s_set_vgpr_msb 0                        ;  msbs: dst=0 src0=0 src1=0 src2=0
	v_add3_u32 v4, v4, v82, v84
	s_set_vgpr_msb 1                        ;  msbs: dst=0 src0=1 src1=0 src2=0
	v_mul_i32_i24_e32 v14, v183 /*v439*/, v210
	v_mul_i32_i24_e32 v40, v184 /*v440*/, v211
	s_set_vgpr_msb 0x55                     ;  msbs: dst=1 src0=1 src1=1 src2=1
	v_add3_u32 v171 /*v427*/, v164 /*v420*/, v214 /*v470*/, v215 /*v471*/
	v_mul_i32_i24_e32 v164 /*v420*/, v174 /*v430*/, v3 /*v259*/
	v_mul_i32_i24_e32 v204 /*v460*/, v185 /*v441*/, v14 /*v270*/
	s_set_vgpr_msb 0x44                     ;  msbs: dst=1 src0=0 src1=1 src2=0
	v_mul_i32_i24_e32 v205 /*v461*/, v15, v18 /*v274*/
	s_set_vgpr_msb 1                        ;  msbs: dst=0 src0=1 src1=0 src2=0
	v_mul_i32_i24_e32 v52, v185 /*v441*/, v208
	s_set_vgpr_msb 0                        ;  msbs: dst=0 src0=0 src1=0 src2=0
	v_mul_i32_i24_e32 v15, v15, v212
	s_set_vgpr_msb 0x55                     ;  msbs: dst=1 src0=1 src1=1 src2=1
	v_mad_i32_i24 v164 /*v420*/, v175 /*v431*/, v2 /*v258*/, v164 /*v420*/
	v_mul_i32_i24_e32 v206 /*v462*/, v19 /*v275*/, v186 /*v442*/
	v_mul_i32_i24_e32 v207 /*v463*/, v20 /*v276*/, v187 /*v443*/
	s_set_vgpr_msb 4                        ;  msbs: dst=0 src0=0 src1=1 src2=0
	v_mul_i32_i24_e32 v53, v213, v186 /*v442*/
	v_mul_i32_i24_e32 v54, v214, v187 /*v443*/
	s_set_vgpr_msb 0x55                     ;  msbs: dst=1 src0=1 src1=1 src2=1
	v_add3_u32 v164 /*v420*/, v164 /*v420*/, v166 /*v422*/, v167 /*v423*/
	v_mul_i32_i24_e32 v166 /*v422*/, v177 /*v433*/, v8 /*v264*/
	v_mul_i32_i24_e32 v208 /*v464*/, v22 /*v278*/, v188 /*v444*/
	s_set_vgpr_msb 0x41                     ;  msbs: dst=1 src0=1 src1=0 src2=0
	v_mul_i32_i24_e32 v209 /*v465*/, v21 /*v277*/, v0
	s_set_vgpr_msb 4                        ;  msbs: dst=0 src0=0 src1=1 src2=0
	v_mul_i32_i24_e32 v55, v216, v188 /*v444*/
	s_set_vgpr_msb 0                        ;  msbs: dst=0 src0=0 src1=0 src2=0
	v_mul_i32_i24_e32 v0, v215, v0
	s_set_vgpr_msb 0x55                     ;  msbs: dst=1 src0=1 src1=1 src2=1
	v_add3_u32 v164 /*v420*/, v164 /*v420*/, v166 /*v422*/, v168 /*v424*/
	s_set_vgpr_msb 64                       ;  msbs: dst=1 src0=0 src1=0 src2=0
	v_add3_u32 v166 /*v422*/, v4, v86, v6
	s_set_vgpr_msb 1                        ;  msbs: dst=0 src0=1 src1=0 src2=0
	v_mul_i32_i24_e32 v4, v174 /*v430*/, v197
	s_set_vgpr_msb 0                        ;  msbs: dst=0 src0=0 src1=0 src2=0
	v_mul_i32_i24_e32 v6, v12, v200
	s_set_vgpr_msb 1                        ;  msbs: dst=0 src0=1 src1=0 src2=0
	v_mul_i32_i24_e32 v12, v182 /*v438*/, v204
	s_set_vgpr_msb 0x55                     ;  msbs: dst=1 src0=1 src1=1 src2=1
	v_add3_u32 v164 /*v420*/, v164 /*v420*/, v196 /*v452*/, v197 /*v453*/
	v_mul_i32_i24_e32 v210 /*v466*/, v23 /*v279*/, v189 /*v445*/
	s_set_vgpr_msb 1                        ;  msbs: dst=0 src0=1 src1=0 src2=0
	v_mad_i32_i24 v4, v175 /*v431*/, v196, v4
	s_set_vgpr_msb 0x45                     ;  msbs: dst=1 src0=1 src1=1 src2=0
	v_mul_i32_i24_e32 v211 /*v467*/, v24 /*v280*/, v190 /*v446*/
	s_set_vgpr_msb 4                        ;  msbs: dst=0 src0=0 src1=1 src2=0
	v_mul_i32_i24_e32 v56, v217, v189 /*v445*/
	s_set_vgpr_msb 0x55                     ;  msbs: dst=1 src0=1 src1=1 src2=1
	v_add3_u32 v164 /*v420*/, v164 /*v420*/, v198 /*v454*/, v199 /*v455*/
	s_set_vgpr_msb 4                        ;  msbs: dst=0 src0=0 src1=1 src2=0
	v_mul_i32_i24_e32 v58, v218, v190 /*v446*/
	s_set_vgpr_msb 0                        ;  msbs: dst=0 src0=0 src1=0 src2=0
	v_add3_u32 v4, v4, v5, v6
	s_set_vgpr_msb 1                        ;  msbs: dst=0 src0=1 src1=0 src2=0
	v_mul_i32_i24_e32 v5, v177 /*v433*/, v202
	v_mul_i32_i24_e32 v6, v178 /*v434*/, v203
	s_set_vgpr_msb 0x55                     ;  msbs: dst=1 src0=1 src1=1 src2=1
	v_add3_u32 v164 /*v420*/, v164 /*v420*/, v200 /*v456*/, v201 /*v457*/
	v_mul_i32_i24_e32 v212 /*v468*/, v26 /*v282*/, v191 /*v447*/
	s_set_vgpr_msb 0x41                     ;  msbs: dst=1 src0=1 src1=0 src2=0
	v_mul_i32_i24_e32 v213 /*v469*/, v25 /*v281*/, v1
	s_set_vgpr_msb 4                        ;  msbs: dst=0 src0=0 src1=1 src2=0
	v_mul_i32_i24_e32 v60, v220, v191 /*v447*/
	s_set_vgpr_msb 0                        ;  msbs: dst=0 src0=0 src1=0 src2=0
	v_add3_u32 v4, v4, v5, v6
	s_set_vgpr_msb 0x55                     ;  msbs: dst=1 src0=1 src1=1 src2=1
	v_add3_u32 v164 /*v420*/, v164 /*v420*/, v202 /*v458*/, v203 /*v459*/
	s_set_vgpr_msb 0                        ;  msbs: dst=0 src0=0 src1=0 src2=0
	v_mul_i32_i24_e32 v1, v219, v1
	s_set_vgpr_msb 0x45                     ;  msbs: dst=1 src0=1 src1=1 src2=0
	v_mul_i32_i24_e32 v214 /*v470*/, v27 /*v283*/, v192 /*v448*/
	v_mul_i32_i24_e32 v215 /*v471*/, v28 /*v284*/, v193 /*v449*/
	s_set_vgpr_msb 0                        ;  msbs: dst=0 src0=0 src1=0 src2=0
	v_add3_u32 v4, v4, v8, v9
	s_set_vgpr_msb 0x55                     ;  msbs: dst=1 src0=1 src1=1 src2=1
	v_add3_u32 v164 /*v420*/, v164 /*v420*/, v204 /*v460*/, v205 /*v461*/
	s_set_vgpr_msb 4                        ;  msbs: dst=0 src0=0 src1=1 src2=0
	v_mul_i32_i24_e32 v61, v221, v192 /*v448*/
	v_mul_i32_i24_e32 v62, v222, v193 /*v449*/
	;; [unrolled: 1-line block ×3, first 2 shown]
	s_set_vgpr_msb 0                        ;  msbs: dst=0 src0=0 src1=0 src2=0
	v_add3_u32 v4, v4, v10, v11
	s_set_vgpr_msb 0x55                     ;  msbs: dst=1 src0=1 src1=1 src2=1
	v_add3_u32 v164 /*v420*/, v164 /*v420*/, v206 /*v462*/, v207 /*v463*/
	v_mul_i32_i24_e32 v167 /*v423*/, v195 /*v451*/, v31 /*v287*/
	s_set_vgpr_msb 0x41                     ;  msbs: dst=1 src0=1 src1=0 src2=0
	v_mul_i32_i24_e32 v161 /*v417*/, v195 /*v451*/, v225
	s_set_vgpr_msb 0                        ;  msbs: dst=0 src0=0 src1=0 src2=0
	v_add3_u32 v4, v4, v12, v13
	s_set_vgpr_msb 0x55                     ;  msbs: dst=1 src0=1 src1=1 src2=1
	v_add3_u32 v164 /*v420*/, v164 /*v420*/, v208 /*v464*/, v209 /*v465*/
	s_set_vgpr_msb 0                        ;  msbs: dst=0 src0=0 src1=0 src2=0
	s_delay_alu instid0(VALU_DEP_2) | instskip(SKIP_1) | instid1(VALU_DEP_2)
	v_add3_u32 v4, v4, v14, v40
	s_set_vgpr_msb 0x55                     ;  msbs: dst=1 src0=1 src1=1 src2=1
	v_add3_u32 v164 /*v420*/, v164 /*v420*/, v210 /*v466*/, v211 /*v467*/
	s_set_vgpr_msb 0                        ;  msbs: dst=0 src0=0 src1=0 src2=0
	s_delay_alu instid0(VALU_DEP_2) | instskip(SKIP_1) | instid1(VALU_DEP_2)
	;; [unrolled: 5-line block ×4, first 2 shown]
	v_add3_u32 v0, v4, v55, v0
	s_set_vgpr_msb 0x55                     ;  msbs: dst=1 src0=1 src1=1 src2=1
	v_add3_u32 v168 /*v424*/, v164 /*v420*/, v216 /*v472*/, v217 /*v473*/
	s_set_vgpr_msb 0x41                     ;  msbs: dst=1 src0=1 src1=0 src2=0
	v_mul_i32_i24_e32 v164 /*v420*/, v162 /*v418*/, v199
	s_set_vgpr_msb 0                        ;  msbs: dst=0 src0=0 src1=0 src2=0
	v_add3_u32 v0, v0, v56, v58
	s_delay_alu instid0(VALU_DEP_1) | instskip(NEXT) | instid1(VALU_DEP_1)
	v_add3_u32 v0, v0, v60, v1
	v_add3_u32 v0, v0, v61, v62
	s_set_vgpr_msb 64                       ;  msbs: dst=1 src0=0 src1=0 src2=0
	s_delay_alu instid0(VALU_DEP_1)
	v_add3_u32 v162 /*v418*/, v0, v64, v2
	s_set_vgpr_msb 0                        ;  msbs: dst=0 src0=0 src1=0 src2=0
	v_or_b32_e32 v0, s12, v144
	s_add_co_i32 s12, s5, 8
	s_cmp_lt_u32 s5, 24
	s_mov_b32 s5, s12
	s_delay_alu instid0(VALU_DEP_1)
	v_dual_lshlrev_b32 v1, 2, v0 :: v_dual_lshrrev_b32 v0, 1, v0
	s_set_vgpr_msb 64                       ;  msbs: dst=1 src0=0 src1=0 src2=0
	ds_load_b128 v[174:177] /*v[430:433]*/, v1 offset:16896
	s_set_vgpr_msb 0                        ;  msbs: dst=0 src0=0 src1=0 src2=0
	ds_load_b128 v[12:15], v1 offset:16912
	s_set_vgpr_msb 64                       ;  msbs: dst=1 src0=0 src1=0 src2=0
	ds_load_b128 v[182:185] /*v[438:441]*/, v1 offset:16928
	s_set_vgpr_msb 0                        ;  msbs: dst=0 src0=0 src1=0 src2=0
	ds_load_b128 v[8:11], v1 offset:16944
	s_wait_dscnt 0x3
	s_set_vgpr_msb 0x41                     ;  msbs: dst=1 src0=1 src1=0 src2=0
	v_bfe_i32 v229 /*v485*/, v174 /*v430*/, 0, 8
	v_bfe_i32 v202 /*v458*/, v174 /*v430*/, 8, 8
	;; [unrolled: 1-line block ×3, first 2 shown]
	s_set_vgpr_msb 0x44                     ;  msbs: dst=1 src0=0 src1=1 src2=0
	v_ashrrev_i32_e32 v231 /*v487*/, 24, v174 /*v430*/
	s_set_vgpr_msb 0x41                     ;  msbs: dst=1 src0=1 src1=0 src2=0
	v_bfe_i32 v203 /*v459*/, v175 /*v431*/, 0, 8
	s_set_vgpr_msb 5                        ;  msbs: dst=0 src0=1 src1=1 src2=0
	v_mul_i32_i24_e32 v1, v229 /*v485*/, v102 /*v358*/
	s_set_vgpr_msb 0x41                     ;  msbs: dst=1 src0=1 src1=0 src2=0
	v_bfe_i32 v204 /*v460*/, v175 /*v431*/, 8, 8
	s_set_vgpr_msb 5                        ;  msbs: dst=0 src0=1 src1=1 src2=0
	v_mul_i32_i24_e32 v2, v230 /*v486*/, v103 /*v359*/
	v_mul_i32_i24_e32 v4, v231 /*v487*/, v104 /*v360*/
	s_set_vgpr_msb 0x41                     ;  msbs: dst=1 src0=1 src1=0 src2=0
	v_bfe_i32 v205 /*v461*/, v175 /*v431*/, 16, 8
	s_set_vgpr_msb 5                        ;  msbs: dst=0 src0=1 src1=1 src2=0
	v_mad_i32_i24 v1, v202 /*v458*/, v101 /*v357*/, v1
	s_set_vgpr_msb 0x44                     ;  msbs: dst=1 src0=0 src1=1 src2=0
	v_ashrrev_i32_e32 v206 /*v462*/, 24, v175 /*v431*/
	s_set_vgpr_msb 0x41                     ;  msbs: dst=1 src0=1 src1=0 src2=0
	v_bfe_i32 v207 /*v463*/, v176 /*v432*/, 0, 8
	v_bfe_i32 v208 /*v464*/, v176 /*v432*/, 8, 8
	s_set_vgpr_msb 5                        ;  msbs: dst=0 src0=1 src1=1 src2=0
	v_mul_i32_i24_e32 v5, v205 /*v461*/, v107 /*v363*/
	s_set_vgpr_msb 0                        ;  msbs: dst=0 src0=0 src1=0 src2=0
	v_add3_u32 v1, v1, v2, v4
	s_set_vgpr_msb 5                        ;  msbs: dst=0 src0=1 src1=1 src2=0
	v_mul_i32_i24_e32 v2, v203 /*v459*/, v105 /*v361*/
	v_mul_i32_i24_e32 v4, v204 /*v460*/, v106 /*v362*/
	;; [unrolled: 1-line block ×3, first 2 shown]
	s_set_vgpr_msb 0x41                     ;  msbs: dst=1 src0=1 src1=0 src2=0
	v_bfe_i32 v209 /*v465*/, v176 /*v432*/, 16, 8
	s_set_vgpr_msb 0x44                     ;  msbs: dst=1 src0=0 src1=1 src2=0
	v_dual_ashrrev_i32 v210 /*v466*/, 24, v176 /*v432*/ :: v_dual_ashrrev_i32 v214 /*v470*/, 24, v177 /*v433*/
	s_set_vgpr_msb 0                        ;  msbs: dst=0 src0=0 src1=0 src2=0
	v_add3_u32 v1, v1, v2, v4
	s_wait_dscnt 0x0
	s_set_vgpr_msb 64                       ;  msbs: dst=1 src0=0 src1=0 src2=0
	v_dual_ashrrev_i32 v226 /*v482*/, 24, v14 :: v_dual_ashrrev_i32 v189 /*v445*/, 24, v8
	v_bfe_i32 v186 /*v442*/, v8, 0, 8
	v_bfe_i32 v187 /*v443*/, v8, 8, 8
	;; [unrolled: 1-line block ×6, first 2 shown]
	v_dual_ashrrev_i32 v193 /*v449*/, 24, v9 :: v_dual_ashrrev_i32 v197 /*v453*/, 24, v10
	s_set_vgpr_msb 5                        ;  msbs: dst=0 src0=1 src1=1 src2=0
	v_mul_i32_i24_e32 v8, v207 /*v463*/, v109 /*v365*/
	v_mul_i32_i24_e32 v9, v208 /*v464*/, v110 /*v366*/
	s_set_vgpr_msb 0                        ;  msbs: dst=0 src0=0 src1=0 src2=0
	v_add3_u32 v1, v1, v5, v6
	s_set_vgpr_msb 0x41                     ;  msbs: dst=1 src0=1 src1=0 src2=0
	v_bfe_i32 v211 /*v467*/, v177 /*v433*/, 0, 8
	v_bfe_i32 v212 /*v468*/, v177 /*v433*/, 8, 8
	s_set_vgpr_msb 64                       ;  msbs: dst=1 src0=0 src1=0 src2=0
	v_bfe_i32 v194 /*v450*/, v10, 0, 8
	v_bfe_i32 v195 /*v451*/, v10, 8, 8
	;; [unrolled: 1-line block ×3, first 2 shown]
	s_set_vgpr_msb 5                        ;  msbs: dst=0 src0=1 src1=1 src2=0
	v_mul_i32_i24_e32 v10, v209 /*v465*/, v111 /*v367*/
	v_mul_i32_i24_e32 v40, v210 /*v466*/, v112 /*v368*/
	s_set_vgpr_msb 0                        ;  msbs: dst=0 src0=0 src1=0 src2=0
	v_add3_u32 v1, v1, v8, v9
	s_set_vgpr_msb 0x41                     ;  msbs: dst=1 src0=1 src1=0 src2=0
	v_bfe_i32 v213 /*v469*/, v177 /*v433*/, 16, 8
	s_set_vgpr_msb 5                        ;  msbs: dst=0 src0=1 src1=1 src2=0
	v_mul_i32_i24_e32 v52, v211 /*v467*/, v113 /*v369*/
	v_mul_i32_i24_e32 v53, v212 /*v468*/, v114 /*v370*/
	s_set_vgpr_msb 64                       ;  msbs: dst=1 src0=0 src1=0 src2=0
	v_bfe_i32 v215 /*v471*/, v12, 0, 8
	s_set_vgpr_msb 0                        ;  msbs: dst=0 src0=0 src1=0 src2=0
	v_add3_u32 v1, v1, v10, v40
	s_set_vgpr_msb 64                       ;  msbs: dst=1 src0=0 src1=0 src2=0
	v_bfe_i32 v216 /*v472*/, v12, 8, 8
	s_set_vgpr_msb 5                        ;  msbs: dst=0 src0=1 src1=1 src2=0
	v_mul_i32_i24_e32 v54, v213 /*v469*/, v115 /*v371*/
	v_mul_i32_i24_e32 v55, v214 /*v470*/, v116 /*v372*/
	s_set_vgpr_msb 64                       ;  msbs: dst=1 src0=0 src1=0 src2=0
	v_bfe_i32 v217 /*v473*/, v12, 16, 8
	s_set_vgpr_msb 0                        ;  msbs: dst=0 src0=0 src1=0 src2=0
	v_add3_u32 v1, v1, v52, v53
	s_set_vgpr_msb 64                       ;  msbs: dst=1 src0=0 src1=0 src2=0
	v_dual_ashrrev_i32 v218 /*v474*/, 24, v12 :: v_dual_ashrrev_i32 v222 /*v478*/, 24, v13
	s_set_vgpr_msb 5                        ;  msbs: dst=0 src0=1 src1=1 src2=0
	v_mul_i32_i24_e32 v56, v215 /*v471*/, v117 /*v373*/
	v_mul_i32_i24_e32 v58, v216 /*v472*/, v118 /*v374*/
	s_set_vgpr_msb 0                        ;  msbs: dst=0 src0=0 src1=0 src2=0
	v_add3_u32 v1, v1, v54, v55
	s_set_vgpr_msb 64                       ;  msbs: dst=1 src0=0 src1=0 src2=0
	v_bfe_i32 v219 /*v475*/, v13, 0, 8
	v_bfe_i32 v220 /*v476*/, v13, 8, 8
	s_set_vgpr_msb 5                        ;  msbs: dst=0 src0=1 src1=1 src2=0
	v_mul_i32_i24_e32 v60, v120 /*v376*/, v217 /*v473*/
	v_mul_i32_i24_e32 v61, v119 /*v375*/, v218 /*v474*/
	s_set_vgpr_msb 0                        ;  msbs: dst=0 src0=0 src1=0 src2=0
	v_add3_u32 v1, v1, v56, v58
	s_set_vgpr_msb 64                       ;  msbs: dst=1 src0=0 src1=0 src2=0
	v_bfe_i32 v221 /*v477*/, v13, 16, 8
	s_set_vgpr_msb 5                        ;  msbs: dst=0 src0=1 src1=1 src2=0
	v_mul_i32_i24_e32 v62, v122 /*v378*/, v219 /*v475*/
	v_mul_i32_i24_e32 v64, v121 /*v377*/, v220 /*v476*/
	s_set_vgpr_msb 64                       ;  msbs: dst=1 src0=0 src1=0 src2=0
	v_bfe_i32 v223 /*v479*/, v14, 0, 8
	s_set_vgpr_msb 0                        ;  msbs: dst=0 src0=0 src1=0 src2=0
	v_add3_u32 v1, v1, v60, v61
	s_set_vgpr_msb 64                       ;  msbs: dst=1 src0=0 src1=0 src2=0
	v_bfe_i32 v224 /*v480*/, v14, 8, 8
	s_set_vgpr_msb 5                        ;  msbs: dst=0 src0=1 src1=1 src2=0
	v_mul_i32_i24_e32 v66, v124 /*v380*/, v221 /*v477*/
	v_mul_i32_i24_e32 v67, v123 /*v379*/, v222 /*v478*/
	s_set_vgpr_msb 64                       ;  msbs: dst=1 src0=0 src1=0 src2=0
	v_bfe_i32 v225 /*v481*/, v14, 16, 8
	s_set_vgpr_msb 0                        ;  msbs: dst=0 src0=0 src1=0 src2=0
	v_add3_u32 v1, v1, v62, v64
	s_set_vgpr_msb 5                        ;  msbs: dst=0 src0=1 src1=1 src2=0
	v_mul_i32_i24_e32 v69, v132 /*v388*/, v223 /*v479*/
	v_mul_i32_i24_e32 v71, v125 /*v381*/, v224 /*v480*/
	s_set_vgpr_msb 0x41                     ;  msbs: dst=1 src0=1 src1=0 src2=0
	v_bfe_i32 v199 /*v455*/, v182 /*v438*/, 0, 8
	s_set_vgpr_msb 5                        ;  msbs: dst=0 src0=1 src1=1 src2=0
	v_mul_i32_i24_e32 v82, v136 /*v392*/, v225 /*v481*/
	s_set_vgpr_msb 0                        ;  msbs: dst=0 src0=0 src1=0 src2=0
	v_add3_u32 v1, v1, v66, v67
	s_set_vgpr_msb 5                        ;  msbs: dst=0 src0=1 src1=1 src2=0
	v_mul_i32_i24_e32 v84, v133 /*v389*/, v226 /*v482*/
	v_bfe_i32 v14, v182 /*v438*/, 8, 8
	s_set_vgpr_msb 0x41                     ;  msbs: dst=1 src0=1 src1=0 src2=0
	v_bfe_i32 v200 /*v456*/, v182 /*v438*/, 16, 8
	s_set_vgpr_msb 0x44                     ;  msbs: dst=1 src0=0 src1=1 src2=0
	v_dual_ashrrev_i32 v201 /*v457*/, 24, v182 /*v438*/ :: v_dual_ashrrev_i32 v177 /*v433*/, 24, v183 /*v439*/
	s_set_vgpr_msb 0                        ;  msbs: dst=0 src0=0 src1=0 src2=0
	v_add3_u32 v1, v1, v69, v71
	s_set_vgpr_msb 0x41                     ;  msbs: dst=1 src0=1 src1=0 src2=0
	v_bfe_i32 v174 /*v430*/, v183 /*v439*/, 0, 8
	v_bfe_i32 v175 /*v431*/, v183 /*v439*/, 8, 8
	s_set_vgpr_msb 5                        ;  msbs: dst=0 src0=1 src1=1 src2=0
	v_mul_i32_i24_e32 v2, v140 /*v396*/, v200 /*v456*/
	v_mul_i32_i24_e32 v4, v134 /*v390*/, v201 /*v457*/
	s_set_vgpr_msb 0                        ;  msbs: dst=0 src0=0 src1=0 src2=0
	v_add3_u32 v10, v1, v82, v84
	s_set_vgpr_msb 5                        ;  msbs: dst=0 src0=1 src1=1 src2=0
	v_mul_i32_i24_e32 v1, v141 /*v397*/, v199 /*v455*/
	s_set_vgpr_msb 0x41                     ;  msbs: dst=1 src0=1 src1=0 src2=0
	v_bfe_i32 v176 /*v432*/, v183 /*v439*/, 16, 8
	v_bfe_i32 v178 /*v434*/, v184 /*v440*/, 0, 8
	;; [unrolled: 1-line block ×3, first 2 shown]
	s_set_vgpr_msb 5                        ;  msbs: dst=0 src0=1 src1=1 src2=0
	v_mul_i32_i24_e32 v6, v126 /*v382*/, v177 /*v433*/
	s_set_vgpr_msb 1                        ;  msbs: dst=0 src0=1 src1=0 src2=0
	v_mad_i32_i24 v1, v139 /*v395*/, v14, v1
	s_set_vgpr_msb 5                        ;  msbs: dst=0 src0=1 src1=1 src2=0
	v_mul_i32_i24_e32 v5, v142 /*v398*/, v176 /*v432*/
	s_set_vgpr_msb 0x41                     ;  msbs: dst=1 src0=1 src1=0 src2=0
	v_bfe_i32 v180 /*v436*/, v184 /*v440*/, 16, 8
	s_set_vgpr_msb 0x44                     ;  msbs: dst=1 src0=0 src1=1 src2=0
	v_ashrrev_i32_e32 v181 /*v437*/, 24, v184 /*v440*/
	s_set_vgpr_msb 5                        ;  msbs: dst=0 src0=1 src1=1 src2=0
	v_mul_i32_i24_e32 v8, v147 /*v403*/, v178 /*v434*/
	s_set_vgpr_msb 0                        ;  msbs: dst=0 src0=0 src1=0 src2=0
	v_add3_u32 v1, v1, v2, v4
	s_set_vgpr_msb 5                        ;  msbs: dst=0 src0=1 src1=1 src2=0
	v_mul_i32_i24_e32 v2, v144 /*v400*/, v174 /*v430*/
	v_mul_i32_i24_e32 v4, v143 /*v399*/, v175 /*v431*/
	;; [unrolled: 1-line block ×3, first 2 shown]
	s_set_vgpr_msb 0x41                     ;  msbs: dst=1 src0=1 src1=0 src2=0
	v_bfe_i32 v182 /*v438*/, v185 /*v441*/, 0, 8
	v_bfe_i32 v183 /*v439*/, v185 /*v441*/, 8, 8
	;; [unrolled: 1-line block ×3, first 2 shown]
	s_set_vgpr_msb 0                        ;  msbs: dst=0 src0=0 src1=0 src2=0
	v_add3_u32 v1, v1, v2, v4
	s_set_vgpr_msb 0x44                     ;  msbs: dst=1 src0=0 src1=1 src2=0
	v_ashrrev_i32_e32 v185 /*v441*/, 24, v185 /*v441*/
	s_set_vgpr_msb 5                        ;  msbs: dst=0 src0=1 src1=1 src2=0
	v_mul_i32_i24_e32 v40, v145 /*v401*/, v180 /*v436*/
	v_mul_i32_i24_e32 v52, v127 /*v383*/, v181 /*v437*/
	;; [unrolled: 1-line block ×3, first 2 shown]
	s_set_vgpr_msb 0                        ;  msbs: dst=0 src0=0 src1=0 src2=0
	v_add3_u32 v1, v1, v5, v6
	s_set_vgpr_msb 5                        ;  msbs: dst=0 src0=1 src1=1 src2=0
	v_mul_i32_i24_e32 v54, v149 /*v405*/, v183 /*v439*/
	v_mul_i32_i24_e32 v55, v148 /*v404*/, v184 /*v440*/
	;; [unrolled: 1-line block ×4, first 2 shown]
	s_set_vgpr_msb 0                        ;  msbs: dst=0 src0=0 src1=0 src2=0
	v_add3_u32 v1, v1, v8, v9
	s_set_vgpr_msb 5                        ;  msbs: dst=0 src0=1 src1=1 src2=0
	v_mul_i32_i24_e32 v60, v152 /*v408*/, v187 /*v443*/
	ds_load_b64 v[8:9], v232 /*v488*/ offset:27200
	s_set_vgpr_msb 64                       ;  msbs: dst=1 src0=0 src1=0 src2=0
	ds_load_b64 v[106:107] /*v[362:363]*/, v0 offset:27200
	s_set_vgpr_msb 5                        ;  msbs: dst=0 src0=1 src1=1 src2=0
	v_mul_i32_i24_e32 v61, v151 /*v407*/, v188 /*v444*/
	s_set_vgpr_msb 0                        ;  msbs: dst=0 src0=0 src1=0 src2=0
	v_add3_u32 v1, v1, v40, v52
	s_set_vgpr_msb 5                        ;  msbs: dst=0 src0=1 src1=1 src2=0
	v_mul_i32_i24_e32 v62, v129 /*v385*/, v189 /*v445*/
	v_mul_i32_i24_e32 v64, v156 /*v412*/, v190 /*v446*/
	;; [unrolled: 1-line block ×3, first 2 shown]
	s_set_vgpr_msb 64                       ;  msbs: dst=1 src0=0 src1=0 src2=0
	v_bfe_i32 v227 /*v483*/, v15, 0, 8
	s_set_vgpr_msb 0                        ;  msbs: dst=0 src0=0 src1=0 src2=0
	v_add3_u32 v1, v1, v53, v54
	s_set_vgpr_msb 64                       ;  msbs: dst=1 src0=0 src1=0 src2=0
	v_bfe_i32 v228 /*v484*/, v15, 8, 8
	s_set_vgpr_msb 5                        ;  msbs: dst=0 src0=1 src1=1 src2=0
	v_mul_i32_i24_e32 v67, v154 /*v410*/, v192 /*v448*/
	v_mul_i32_i24_e32 v69, v130 /*v386*/, v193 /*v449*/
	s_set_vgpr_msb 0                        ;  msbs: dst=0 src0=0 src1=0 src2=0
	v_bfe_i32 v13, v15, 16, 8
	v_add3_u32 v1, v1, v55, v56
	s_set_vgpr_msb 5                        ;  msbs: dst=0 src0=1 src1=1 src2=0
	v_mul_i32_i24_e32 v86, v227 /*v483*/, v137 /*v393*/
	v_mul_i32_i24_e32 v92, v228 /*v484*/, v138 /*v394*/
	;; [unrolled: 1-line block ×4, first 2 shown]
	s_set_vgpr_msb 0                        ;  msbs: dst=0 src0=0 src1=0 src2=0
	v_add3_u32 v1, v1, v58, v60
	s_set_vgpr_msb 64                       ;  msbs: dst=1 src0=0 src1=0 src2=0
	v_ashrrev_i32_e32 v104 /*v360*/, 24, v15
	v_ashrrev_i32_e32 v105 /*v361*/, 24, v7
	s_wait_dscnt 0x1
	s_set_vgpr_msb 0                        ;  msbs: dst=0 src0=0 src1=0 src2=0
	v_dual_lshrrev_b32 v0, 16, v8 :: v_dual_lshrrev_b32 v2, 16, v9
	v_add3_u32 v1, v1, v61, v62
	s_set_vgpr_msb 64                       ;  msbs: dst=1 src0=0 src1=0 src2=0
	v_bfe_i32 v198 /*v454*/, v11, 0, 8
	s_set_vgpr_msb 0                        ;  msbs: dst=0 src0=0 src1=0 src2=0
	v_bfe_i32 v12, v11, 8, 8
	s_set_vgpr_msb 5                        ;  msbs: dst=0 src0=1 src1=1 src2=0
	v_mul_i32_i24_e32 v84, v157 /*v413*/, v196 /*v452*/
	v_mul_i32_i24_e32 v133, v131 /*v387*/, v197 /*v453*/
	s_set_vgpr_msb 0                        ;  msbs: dst=0 src0=0 src1=0 src2=0
	v_add3_u32 v1, v1, v64, v66
	v_cvt_f32_f16_e32 v6, v8
	v_cvt_f32_f16_e32 v4, v0
	v_bfe_i32 v15, v11, 16, 8
	s_set_vgpr_msb 64                       ;  msbs: dst=1 src0=0 src1=0 src2=0
	v_ashrrev_i32_e32 v101 /*v357*/, 24, v11
	s_set_vgpr_msb 0                        ;  msbs: dst=0 src0=0 src1=0 src2=0
	v_add3_u32 v1, v1, v67, v69
	v_cvt_f32_f16_e32 v0, v9
	s_set_vgpr_msb 5                        ;  msbs: dst=0 src0=1 src1=1 src2=0
	v_mul_i32_i24_e32 v8, v163 /*v419*/, v34 /*v290*/
	s_set_vgpr_msb 4                        ;  msbs: dst=0 src0=0 src1=1 src2=0
	v_mul_i32_i24_e32 v9, v13, v34 /*v290*/
	s_set_vgpr_msb 5                        ;  msbs: dst=0 src0=1 src1=1 src2=0
	v_mul_i32_i24_e32 v11, v33 /*v289*/, v105 /*v361*/
	s_set_vgpr_msb 0                        ;  msbs: dst=0 src0=0 src1=0 src2=0
	v_add3_u32 v1, v1, v71, v82
	s_set_vgpr_msb 21                       ;  msbs: dst=0 src0=1 src1=1 src2=1
	v_mul_i32_i24_e32 v52, v33 /*v289*/, v104 /*v360*/
	v_add3_u32 v53, v238 /*v494*/, v236 /*v492*/, v237 /*v493*/
	s_set_vgpr_msb 0                        ;  msbs: dst=0 src0=0 src1=0 src2=0
	v_add3_u32 v10, v10, v86, v92
	s_set_vgpr_msb 0x45                     ;  msbs: dst=1 src0=1 src1=1 src2=0
	v_mul_i32_i24_e32 v108 /*v364*/, v198 /*v454*/, v135 /*v391*/
	s_set_vgpr_msb 0                        ;  msbs: dst=0 src0=0 src1=0 src2=0
	v_add3_u32 v40, v1, v84, v133
	s_set_vgpr_msb 64                       ;  msbs: dst=1 src0=0 src1=0 src2=0
	v_bfe_i32 v102 /*v358*/, v3, 16, 8
	v_ashrrev_i32_e32 v103 /*v359*/, 24, v3
	s_set_vgpr_msb 0                        ;  msbs: dst=0 src0=0 src1=0 src2=0
	v_add3_u32 v9, v10, v9, v52
	v_add3_u32 v8, v53, v8, v11
	s_set_vgpr_msb 4                        ;  msbs: dst=0 src0=0 src1=1 src2=0
	v_mul_i32_i24_e32 v52, v12, v38 /*v294*/
	s_set_vgpr_msb 5                        ;  msbs: dst=0 src0=1 src1=1 src2=0
	v_mul_i32_i24_e32 v53, v160 /*v416*/, v38 /*v294*/
	v_mul_i32_i24_e32 v54, v37 /*v293*/, v102 /*v358*/
	s_set_vgpr_msb 1                        ;  msbs: dst=0 src0=1 src1=0 src2=0
	v_mul_i32_i24_e32 v55, v37 /*v293*/, v15
	s_set_vgpr_msb 5                        ;  msbs: dst=0 src0=1 src1=1 src2=0
	v_mul_i32_i24_e32 v56, v36 /*v292*/, v103 /*v359*/
	v_mul_i32_i24_e32 v58, v36 /*v292*/, v101 /*v357*/
	v_add3_u32 v53, v240 /*v496*/, v239 /*v495*/, v53
	s_set_vgpr_msb 4                        ;  msbs: dst=0 src0=0 src1=1 src2=0
	v_add3_u32 v40, v40, v108 /*v364*/, v52
	v_mul_lo_u32 v8, v8, v32 /*v288*/
	v_mul_lo_u32 v9, v9, v32 /*v288*/
	s_wait_dscnt 0x0
	v_dual_lshrrev_b32 v1, 16, v106 /*v362*/ :: v_dual_lshrrev_b32 v3, 16, v107 /*v363*/
	s_set_vgpr_msb 0                        ;  msbs: dst=0 src0=0 src1=0 src2=0
	v_add3_u32 v40, v40, v55, v58
	v_add3_u32 v52, v53, v54, v56
	s_set_vgpr_msb 1                        ;  msbs: dst=0 src0=1 src1=0 src2=0
	v_cvt_f32_f16_e64 v7, v106 /*v362*/
	s_set_vgpr_msb 4                        ;  msbs: dst=0 src0=0 src1=1 src2=0
	v_cvt_f32_f16_e32 v5, v1
	v_cvt_f32_f16_e32 v3, v3
	v_mul_lo_u32 v40, v40, v35 /*v291*/
	v_mul_lo_u32 v52, v52, v35 /*v291*/
	v_cvt_f32_f16_e32 v2, v2
	v_cvt_f32_i32_e32 v9, v9
	v_cvt_f32_i32_e32 v8, v8
	s_set_vgpr_msb 0                        ;  msbs: dst=0 src0=0 src1=0 src2=0
	v_pk_fma_f32 v[10:11], v[120:121], v[4:5], 0 op_sel_hi:[0,1,0]
	s_set_vgpr_msb 5                        ;  msbs: dst=0 src0=1 src1=1 src2=0
	v_cvt_f32_f16_e64 v1, v107 /*v363*/
	v_mul_i32_i24_e32 v53, v208 /*v464*/, v51 /*v307*/
	v_mul_i32_i24_e32 v54, v209 /*v465*/, v52 /*v308*/
	s_set_vgpr_msb 0                        ;  msbs: dst=0 src0=0 src1=0 src2=0
	v_pk_fma_f32 v[8:9], v[6:7], v[8:9], 0 op_sel_hi:[1,1,0]
	v_pk_fma_f32 v[10:11], v[122:123], v[2:3], v[10:11] op_sel_hi:[0,1,1]
	s_set_vgpr_msb 64                       ;  msbs: dst=1 src0=0 src1=0 src2=0
	v_cvt_f32_i32_e32 v33 /*v289*/, v40
	v_cvt_f32_i32_e32 v32 /*v288*/, v52
	s_set_vgpr_msb 5                        ;  msbs: dst=0 src0=1 src1=1 src2=0
	v_mul_i32_i24_e32 v40, v206 /*v462*/, v49 /*v305*/
	v_mul_i32_i24_e32 v52, v207 /*v463*/, v50 /*v306*/
	s_set_vgpr_msb 0                        ;  msbs: dst=0 src0=0 src1=0 src2=0
	v_pk_mul_f32 v[10:11], v[10:11], v[102:103]
	s_set_vgpr_msb 5                        ;  msbs: dst=0 src0=1 src1=1 src2=0
	v_mul_i32_i24_e32 v55, v210 /*v466*/, v53 /*v309*/
	s_set_vgpr_msb 4                        ;  msbs: dst=0 src0=0 src1=1 src2=0
	v_pk_fma_f32 v[8:9], v[0:1], v[32:33] /*v[288:289]*/, v[8:9]
	s_set_vgpr_msb 5                        ;  msbs: dst=0 src0=1 src1=1 src2=0
	v_mul_i32_i24_e32 v56, v211 /*v467*/, v54 /*v310*/
	v_mul_i32_i24_e32 v58, v212 /*v468*/, v55 /*v311*/
	;; [unrolled: 1-line block ×4, first 2 shown]
	s_set_vgpr_msb 0                        ;  msbs: dst=0 src0=0 src1=0 src2=0
	v_pk_fma_f32 v[8:9], v[8:9], v[94:95], v[10:11] neg_lo:[0,0,1] neg_hi:[0,0,1]
	s_set_vgpr_msb 5                        ;  msbs: dst=0 src0=1 src1=1 src2=0
	v_mul_i32_i24_e32 v10, v231 /*v487*/, v45 /*v301*/
	v_mul_i32_i24_e32 v11, v205 /*v461*/, v48 /*v304*/
	;; [unrolled: 1-line block ×4, first 2 shown]
	s_set_vgpr_msb 0                        ;  msbs: dst=0 src0=0 src1=0 src2=0
	v_pk_add_f32 v[22:23], v[22:23], v[8:9]
	s_set_vgpr_msb 5                        ;  msbs: dst=0 src0=1 src1=1 src2=0
	v_mul_i32_i24_e32 v8, v229 /*v485*/, v43 /*v299*/
	v_mul_i32_i24_e32 v9, v230 /*v486*/, v44 /*v300*/
	v_mul_i32_i24_e32 v66, v61 /*v317*/, v217 /*v473*/
	v_mul_i32_i24_e32 v67, v60 /*v316*/, v218 /*v474*/
	v_mul_i32_i24_e32 v69, v63 /*v319*/, v219 /*v475*/
	v_mad_i32_i24 v8, v202 /*v458*/, v42 /*v298*/, v8
	v_mul_i32_i24_e32 v71, v62 /*v318*/, v220 /*v476*/
	v_mul_i32_i24_e32 v82, v65 /*v321*/, v221 /*v477*/
	;; [unrolled: 1-line block ×4, first 2 shown]
	s_set_vgpr_msb 0                        ;  msbs: dst=0 src0=0 src1=0 src2=0
	v_add3_u32 v8, v8, v9, v10
	s_set_vgpr_msb 5                        ;  msbs: dst=0 src0=1 src1=1 src2=0
	v_mul_i32_i24_e32 v9, v203 /*v459*/, v46 /*v302*/
	v_mul_i32_i24_e32 v10, v204 /*v460*/, v47 /*v303*/
	v_mul_i32_i24_e32 v92, v66 /*v322*/, v224 /*v480*/
	v_mul_i32_i24_e32 v120, v70 /*v326*/, v225 /*v481*/
	v_mul_i32_i24_e32 v122, v68 /*v324*/, v226 /*v482*/
	v_mul_i32_i24_e32 v133, v227 /*v483*/, v74 /*v330*/
	s_set_vgpr_msb 0                        ;  msbs: dst=0 src0=0 src1=0 src2=0
	v_add3_u32 v8, v8, v9, v10
	s_set_vgpr_msb 5                        ;  msbs: dst=0 src0=1 src1=1 src2=0
	v_mul_i32_i24_e32 v9, v199 /*v455*/, v72 /*v328*/
	v_mul_i32_i24_e32 v10, v200 /*v456*/, v69 /*v325*/
	s_set_vgpr_msb 0x45                     ;  msbs: dst=1 src0=1 src1=1 src2=0
	v_mul_i32_i24_e32 v32 /*v288*/, v228 /*v484*/, v76 /*v332*/
	v_mul_i32_i24_e32 v33 /*v289*/, v99 /*v355*/, v196 /*v452*/
	s_set_vgpr_msb 0                        ;  msbs: dst=0 src0=0 src1=0 src2=0
	v_add3_u32 v8, v8, v11, v40
	s_set_vgpr_msb 5                        ;  msbs: dst=0 src0=1 src1=1 src2=0
	v_mul_i32_i24_e32 v11, v201 /*v457*/, v75 /*v331*/
	s_set_vgpr_msb 4                        ;  msbs: dst=0 src0=0 src1=1 src2=0
	v_mad_i32_i24 v9, v14, v71 /*v327*/, v9
	s_set_vgpr_msb 5                        ;  msbs: dst=0 src0=1 src1=1 src2=0
	v_mul_i32_i24_e32 v40, v176 /*v432*/, v73 /*v329*/
	s_set_vgpr_msb 0x45                     ;  msbs: dst=1 src0=1 src1=1 src2=0
	v_mul_i32_i24_e32 v34 /*v290*/, v98 /*v354*/, v197 /*v453*/
	s_set_vgpr_msb 0                        ;  msbs: dst=0 src0=0 src1=0 src2=0
	v_add3_u32 v8, v8, v52, v53
	s_set_vgpr_msb 5                        ;  msbs: dst=0 src0=1 src1=1 src2=0
	v_mul_i32_i24_e32 v52, v177 /*v433*/, v80 /*v336*/
	s_set_vgpr_msb 0                        ;  msbs: dst=0 src0=0 src1=0 src2=0
	v_add3_u32 v9, v9, v10, v11
	s_set_vgpr_msb 5                        ;  msbs: dst=0 src0=1 src1=1 src2=0
	v_mul_i32_i24_e32 v10, v174 /*v430*/, v77 /*v333*/
	v_mul_i32_i24_e32 v11, v175 /*v431*/, v78 /*v334*/
	s_set_vgpr_msb 0                        ;  msbs: dst=0 src0=0 src1=0 src2=0
	v_add3_u32 v8, v8, v54, v55
	s_set_vgpr_msb 5                        ;  msbs: dst=0 src0=1 src1=1 src2=0
	v_mul_i32_i24_e32 v53, v178 /*v434*/, v81 /*v337*/
	v_mul_i32_i24_e32 v54, v179 /*v435*/, v82 /*v338*/
	;; [unrolled: 1-line block ×3, first 2 shown]
	s_set_vgpr_msb 0                        ;  msbs: dst=0 src0=0 src1=0 src2=0
	v_add3_u32 v9, v9, v10, v11
	v_add3_u32 v8, v8, v56, v58
	s_set_vgpr_msb 5                        ;  msbs: dst=0 src0=1 src1=1 src2=0
	v_mul_i32_i24_e32 v56, v181 /*v437*/, v84 /*v340*/
	v_mul_i32_i24_e32 v58, v182 /*v438*/, v85 /*v341*/
	s_set_vgpr_msb 4                        ;  msbs: dst=0 src0=0 src1=1 src2=0
	v_mul_i32_i24_e32 v10, v13, v41 /*v297*/
	s_set_vgpr_msb 0                        ;  msbs: dst=0 src0=0 src1=0 src2=0
	v_add3_u32 v9, v9, v40, v52
	v_add3_u32 v8, v8, v60, v61
	s_set_vgpr_msb 5                        ;  msbs: dst=0 src0=1 src1=1 src2=0
	v_mul_i32_i24_e32 v60, v183 /*v439*/, v86 /*v342*/
	v_mul_i32_i24_e32 v61, v184 /*v440*/, v83 /*v339*/
	;; [unrolled: 1-line block ×3, first 2 shown]
	s_set_vgpr_msb 0                        ;  msbs: dst=0 src0=0 src1=0 src2=0
	v_add3_u32 v9, v9, v53, v54
	v_add3_u32 v8, v8, v62, v64
	s_set_vgpr_msb 5                        ;  msbs: dst=0 src0=1 src1=1 src2=0
	v_mul_i32_i24_e32 v62, v185 /*v441*/, v87 /*v343*/
	v_mul_i32_i24_e32 v64, v88 /*v344*/, v186 /*v442*/
	;; [unrolled: 1-line block ×3, first 2 shown]
	s_set_vgpr_msb 0                        ;  msbs: dst=0 src0=0 src1=0 src2=0
	v_add3_u32 v9, v9, v55, v56
	v_add3_u32 v8, v8, v66, v67
	s_set_vgpr_msb 21                       ;  msbs: dst=0 src0=1 src1=1 src2=1
	v_mul_i32_i24_e32 v66, v89 /*v345*/, v187 /*v443*/
	v_mul_i32_i24_e32 v67, v91 /*v347*/, v188 /*v444*/
	v_add3_u32 v52, v235 /*v491*/, v233 /*v489*/, v234 /*v490*/
	s_set_vgpr_msb 0                        ;  msbs: dst=0 src0=0 src1=0 src2=0
	v_add3_u32 v9, v9, v58, v60
	v_add3_u32 v8, v8, v69, v71
	s_set_vgpr_msb 5                        ;  msbs: dst=0 src0=1 src1=1 src2=0
	v_mul_i32_i24_e32 v69, v90 /*v346*/, v189 /*v445*/
	v_mul_i32_i24_e32 v71, v92 /*v348*/, v190 /*v446*/
	s_set_vgpr_msb 4                        ;  msbs: dst=0 src0=0 src1=1 src2=0
	v_mul_i32_i24_e32 v53, v157, v102 /*v358*/
	s_set_vgpr_msb 0                        ;  msbs: dst=0 src0=0 src1=0 src2=0
	v_add3_u32 v9, v9, v61, v62
	v_add3_u32 v8, v8, v82, v84
	s_set_vgpr_msb 5                        ;  msbs: dst=0 src0=1 src1=1 src2=0
	v_mul_i32_i24_e32 v82, v93 /*v349*/, v191 /*v447*/
	v_mul_i32_i24_e32 v84, v95 /*v351*/, v192 /*v448*/
	s_set_vgpr_msb 0                        ;  msbs: dst=0 src0=0 src1=0 src2=0
	v_mul_i32_i24_e32 v54, v157, v15
	v_add3_u32 v9, v9, v64, v66
	v_add3_u32 v8, v8, v86, v92
	s_set_vgpr_msb 5                        ;  msbs: dst=0 src0=1 src1=1 src2=0
	v_mul_i32_i24_e32 v86, v94 /*v350*/, v193 /*v449*/
	v_mul_i32_i24_e32 v92, v96 /*v352*/, v194 /*v450*/
	s_set_vgpr_msb 4                        ;  msbs: dst=0 src0=0 src1=1 src2=0
	v_mul_i32_i24_e32 v55, v119, v103 /*v359*/
	s_set_vgpr_msb 0                        ;  msbs: dst=0 src0=0 src1=0 src2=0
	v_add3_u32 v9, v9, v67, v69
	v_add3_u32 v8, v8, v120, v122
	s_set_vgpr_msb 5                        ;  msbs: dst=0 src0=1 src1=1 src2=0
	v_mul_i32_i24_e32 v122, v97 /*v353*/, v195 /*v451*/
	v_mul_i32_i24_e32 v120, v198 /*v454*/, v100 /*v356*/
	s_set_vgpr_msb 4                        ;  msbs: dst=0 src0=0 src1=1 src2=0
	v_mul_i32_i24_e32 v56, v119, v101 /*v357*/
	s_set_vgpr_msb 0                        ;  msbs: dst=0 src0=0 src1=0 src2=0
	v_add3_u32 v9, v9, v71, v82
	s_set_vgpr_msb 16                       ;  msbs: dst=0 src0=0 src1=0 src2=1
	v_add3_u32 v8, v8, v133, v32 /*v288*/
	s_set_vgpr_msb 1                        ;  msbs: dst=0 src0=1 src1=0 src2=0
	v_mul_i32_i24_e32 v58, v212 /*v468*/, v242
	v_mul_i32_i24_e32 v60, v213 /*v469*/, v243
	;; [unrolled: 1-line block ×3, first 2 shown]
	s_set_vgpr_msb 0                        ;  msbs: dst=0 src0=0 src1=0 src2=0
	v_add3_u32 v9, v9, v84, v86
	v_add3_u32 v8, v8, v10, v40
	v_mul_i32_i24_e32 v40, v12, v158
	s_set_vgpr_msb 1                        ;  msbs: dst=0 src0=1 src1=0 src2=0
	v_mul_i32_i24_e32 v62, v215 /*v471*/, v245
	v_mul_i32_i24_e32 v64, v216 /*v472*/, v246
	s_set_vgpr_msb 0                        ;  msbs: dst=0 src0=0 src1=0 src2=0
	v_add3_u32 v9, v9, v92, v122
	s_set_vgpr_msb 20                       ;  msbs: dst=0 src0=0 src1=1 src2=1
	v_mul_lo_u32 v8, v8, v39 /*v295*/
	v_mul_i32_i24_e32 v66, v248, v217 /*v473*/
	v_mul_i32_i24_e32 v67, v247, v218 /*v474*/
	;; [unrolled: 1-line block ×3, first 2 shown]
	v_add3_u32 v122, v9, v33 /*v289*/, v34 /*v290*/
	s_set_vgpr_msb 5                        ;  msbs: dst=0 src0=1 src1=1 src2=0
	v_mul_i32_i24_e32 v9, v163 /*v419*/, v41 /*v297*/
	s_set_vgpr_msb 4                        ;  msbs: dst=0 src0=0 src1=1 src2=0
	v_mul_i32_i24_e32 v71, v249, v220 /*v476*/
	v_mul_i32_i24_e32 v82, v252, v221 /*v477*/
	;; [unrolled: 1-line block ×3, first 2 shown]
	s_set_vgpr_msb 0                        ;  msbs: dst=0 src0=0 src1=0 src2=0
	v_add3_u32 v40, v122, v120, v40
	v_add3_u32 v9, v52, v9, v11
	s_set_vgpr_msb 1                        ;  msbs: dst=0 src0=1 src1=0 src2=0
	v_mul_i32_i24_e32 v52, v160 /*v416*/, v158
	s_set_vgpr_msb 4                        ;  msbs: dst=0 src0=0 src1=1 src2=0
	v_mul_i32_i24_e32 v86, v254, v223 /*v479*/
	v_mul_i32_i24_e32 v92, v253, v224 /*v480*/
	s_set_vgpr_msb 0                        ;  msbs: dst=0 src0=0 src1=0 src2=0
	v_add3_u32 v40, v40, v54, v56
	s_set_vgpr_msb 4                        ;  msbs: dst=0 src0=0 src1=1 src2=0
	v_mul_lo_u32 v10, v9, v39 /*v295*/
	s_set_vgpr_msb 5                        ;  msbs: dst=0 src0=1 src1=1 src2=0
	v_add3_u32 v52, v173 /*v429*/, v172 /*v428*/, v52
	s_set_vgpr_msb 0                        ;  msbs: dst=0 src0=0 src1=0 src2=0
	v_cvt_f32_i32_e32 v9, v8
	s_set_vgpr_msb 1                        ;  msbs: dst=0 src0=1 src1=0 src2=0
	v_mul_i32_i24_e32 v54, v209 /*v465*/, v239
	s_set_vgpr_msb 0                        ;  msbs: dst=0 src0=0 src1=0 src2=0
	v_mul_lo_u32 v40, v40, v159
	s_set_vgpr_msb 1                        ;  msbs: dst=0 src0=1 src1=0 src2=0
	v_mul_i32_i24_e32 v56, v211 /*v467*/, v241
	s_set_vgpr_msb 0                        ;  msbs: dst=0 src0=0 src1=0 src2=0
	v_add3_u32 v52, v52, v53, v55
	s_set_vgpr_msb 1                        ;  msbs: dst=0 src0=1 src1=0 src2=0
	v_mul_i32_i24_e32 v53, v208 /*v464*/, v238
	v_mul_i32_i24_e32 v55, v210 /*v466*/, v240
	s_set_vgpr_msb 5                        ;  msbs: dst=0 src0=1 src1=1 src2=0
	v_mul_i32_i24_e32 v120, v227 /*v483*/, v5 /*v261*/
	v_mul_i32_i24_e32 v122, v228 /*v484*/, v7 /*v263*/
	s_set_vgpr_msb 0                        ;  msbs: dst=0 src0=0 src1=0 src2=0
	v_mul_lo_u32 v52, v52, v159
	v_cvt_f32_i32_e32 v8, v10
	v_pk_fma_f32 v[10:11], v[124:125], v[4:5], 0 op_sel_hi:[0,1,0]
	s_set_vgpr_msb 5                        ;  msbs: dst=0 src0=1 src1=1 src2=0
	v_mul_i32_i24_e32 v124, v29 /*v285*/, v197 /*v453*/
	s_set_vgpr_msb 0                        ;  msbs: dst=0 src0=0 src1=0 src2=0
	v_cvt_f32_i32_e32 v159, v40
	s_set_vgpr_msb 1                        ;  msbs: dst=0 src0=1 src1=0 src2=0
	v_mul_i32_i24_e32 v40, v206 /*v462*/, v236
	s_set_vgpr_msb 0                        ;  msbs: dst=0 src0=0 src1=0 src2=0
	v_pk_fma_f32 v[8:9], v[6:7], v[8:9], 0 op_sel_hi:[1,1,0]
	v_pk_fma_f32 v[10:11], v[118:119], v[2:3], v[10:11] op_sel_hi:[0,1,1]
	s_set_vgpr_msb 5                        ;  msbs: dst=0 src0=1 src1=1 src2=0
	v_mul_i32_i24_e32 v118, v1 /*v257*/, v225 /*v481*/
	s_set_vgpr_msb 4                        ;  msbs: dst=0 src0=0 src1=1 src2=0
	v_mul_i32_i24_e32 v119, v255, v226 /*v482*/
	s_set_vgpr_msb 5                        ;  msbs: dst=0 src0=1 src1=1 src2=0
	v_mul_i32_i24_e32 v133, v198 /*v454*/, v31 /*v287*/
	s_set_vgpr_msb 0                        ;  msbs: dst=0 src0=0 src1=0 src2=0
	v_cvt_f32_i32_e32 v158, v52
	v_pk_mul_f32 v[10:11], v[10:11], v[104:105]
	s_set_vgpr_msb 1                        ;  msbs: dst=0 src0=1 src1=0 src2=0
	v_mul_i32_i24_e32 v52, v207 /*v463*/, v237
	s_set_vgpr_msb 0                        ;  msbs: dst=0 src0=0 src1=0 src2=0
	v_pk_fma_f32 v[8:9], v[0:1], v[158:159], v[8:9]
	s_delay_alu instid0(VALU_DEP_1)
	v_pk_fma_f32 v[8:9], v[8:9], v[96:97], v[10:11] neg_lo:[0,0,1] neg_hi:[0,0,1]
	s_set_vgpr_msb 1                        ;  msbs: dst=0 src0=1 src1=0 src2=0
	v_mul_i32_i24_e32 v10, v231 /*v487*/, v232
	v_mul_i32_i24_e32 v11, v205 /*v461*/, v235
	s_set_vgpr_msb 0                        ;  msbs: dst=0 src0=0 src1=0 src2=0
	v_pk_add_f32 v[20:21], v[20:21], v[8:9]
	s_set_vgpr_msb 1                        ;  msbs: dst=0 src0=1 src1=0 src2=0
	v_mul_i32_i24_e32 v8, v229 /*v485*/, v230
	v_mul_i32_i24_e32 v9, v230 /*v486*/, v231
	s_delay_alu instid0(VALU_DEP_2) | instskip(SKIP_1) | instid1(VALU_DEP_1)
	v_mad_i32_i24 v8, v202 /*v458*/, v229, v8
	s_set_vgpr_msb 0                        ;  msbs: dst=0 src0=0 src1=0 src2=0
	v_add3_u32 v8, v8, v9, v10
	s_set_vgpr_msb 1                        ;  msbs: dst=0 src0=1 src1=0 src2=0
	v_mul_i32_i24_e32 v9, v203 /*v459*/, v233
	v_mul_i32_i24_e32 v10, v204 /*v460*/, v234
	s_set_vgpr_msb 0                        ;  msbs: dst=0 src0=0 src1=0 src2=0
	s_delay_alu instid0(VALU_DEP_1)
	v_add3_u32 v8, v8, v9, v10
	s_set_vgpr_msb 5                        ;  msbs: dst=0 src0=1 src1=1 src2=0
	v_mul_i32_i24_e32 v9, v199 /*v455*/, v3 /*v259*/
	v_mul_i32_i24_e32 v10, v200 /*v456*/, v0 /*v256*/
	s_set_vgpr_msb 0                        ;  msbs: dst=0 src0=0 src1=0 src2=0
	v_add3_u32 v8, v8, v11, v40
	s_set_vgpr_msb 5                        ;  msbs: dst=0 src0=1 src1=1 src2=0
	v_mul_i32_i24_e32 v11, v201 /*v457*/, v6 /*v262*/
	s_set_vgpr_msb 4                        ;  msbs: dst=0 src0=0 src1=1 src2=0
	v_mad_i32_i24 v9, v14, v2 /*v258*/, v9
	s_set_vgpr_msb 5                        ;  msbs: dst=0 src0=1 src1=1 src2=0
	v_mul_i32_i24_e32 v40, v176 /*v432*/, v4 /*v260*/
	s_set_vgpr_msb 0                        ;  msbs: dst=0 src0=0 src1=0 src2=0
	v_add3_u32 v8, v8, v52, v53
	s_set_vgpr_msb 5                        ;  msbs: dst=0 src0=1 src1=1 src2=0
	v_mul_i32_i24_e32 v52, v177 /*v433*/, v11 /*v267*/
	s_set_vgpr_msb 0                        ;  msbs: dst=0 src0=0 src1=0 src2=0
	v_add3_u32 v9, v9, v10, v11
	s_set_vgpr_msb 5                        ;  msbs: dst=0 src0=1 src1=1 src2=0
	v_mul_i32_i24_e32 v10, v174 /*v430*/, v8 /*v264*/
	v_mul_i32_i24_e32 v11, v175 /*v431*/, v9 /*v265*/
	s_set_vgpr_msb 0                        ;  msbs: dst=0 src0=0 src1=0 src2=0
	v_add3_u32 v8, v8, v54, v55
	s_set_vgpr_msb 5                        ;  msbs: dst=0 src0=1 src1=1 src2=0
	v_mul_i32_i24_e32 v53, v178 /*v434*/, v12 /*v268*/
	v_mul_i32_i24_e32 v54, v179 /*v435*/, v13 /*v269*/
	;; [unrolled: 1-line block ×3, first 2 shown]
	s_set_vgpr_msb 0                        ;  msbs: dst=0 src0=0 src1=0 src2=0
	v_add3_u32 v9, v9, v10, v11
	v_add3_u32 v8, v8, v56, v58
	s_set_vgpr_msb 5                        ;  msbs: dst=0 src0=1 src1=1 src2=0
	v_mul_i32_i24_e32 v56, v181 /*v437*/, v15 /*v271*/
	v_mul_i32_i24_e32 v58, v182 /*v438*/, v16 /*v272*/
	s_set_vgpr_msb 0                        ;  msbs: dst=0 src0=0 src1=0 src2=0
	v_mul_i32_i24_e32 v10, v13, v228
	v_add3_u32 v9, v9, v40, v52
	v_add3_u32 v8, v8, v60, v61
	s_set_vgpr_msb 5                        ;  msbs: dst=0 src0=1 src1=1 src2=0
	v_mul_i32_i24_e32 v60, v183 /*v439*/, v17 /*v273*/
	v_mul_i32_i24_e32 v61, v184 /*v440*/, v14 /*v270*/
	s_set_vgpr_msb 4                        ;  msbs: dst=0 src0=0 src1=1 src2=0
	v_mul_i32_i24_e32 v11, v227, v105 /*v361*/
	s_set_vgpr_msb 0                        ;  msbs: dst=0 src0=0 src1=0 src2=0
	v_add3_u32 v9, v9, v53, v54
	v_add3_u32 v8, v8, v62, v64
	s_set_vgpr_msb 5                        ;  msbs: dst=0 src0=1 src1=1 src2=0
	v_mul_i32_i24_e32 v62, v185 /*v441*/, v18 /*v274*/
	v_mul_i32_i24_e32 v64, v19 /*v275*/, v186 /*v442*/
	s_set_vgpr_msb 4                        ;  msbs: dst=0 src0=0 src1=1 src2=0
	v_mul_i32_i24_e32 v52, v227, v104 /*v360*/
	s_set_vgpr_msb 0                        ;  msbs: dst=0 src0=0 src1=0 src2=0
	v_add3_u32 v9, v9, v55, v56
	v_add3_u32 v8, v8, v66, v67
	s_set_vgpr_msb 21                       ;  msbs: dst=0 src0=1 src1=1 src2=1
	v_mul_i32_i24_e32 v66, v20 /*v276*/, v187 /*v443*/
	v_mul_i32_i24_e32 v67, v22 /*v278*/, v188 /*v444*/
	v_add3_u32 v53, v171 /*v427*/, v169 /*v425*/, v170 /*v426*/
	s_set_vgpr_msb 0                        ;  msbs: dst=0 src0=0 src1=0 src2=0
	v_add3_u32 v9, v9, v58, v60
	v_add3_u32 v8, v8, v69, v71
	s_set_vgpr_msb 5                        ;  msbs: dst=0 src0=1 src1=1 src2=0
	v_mul_i32_i24_e32 v69, v21 /*v277*/, v189 /*v445*/
	v_mul_i32_i24_e32 v71, v23 /*v279*/, v190 /*v446*/
	s_set_vgpr_msb 4                        ;  msbs: dst=0 src0=0 src1=1 src2=0
	v_mul_i32_i24_e32 v54, v113, v102 /*v358*/
	s_set_vgpr_msb 0                        ;  msbs: dst=0 src0=0 src1=0 src2=0
	v_add3_u32 v9, v9, v61, v62
	v_add3_u32 v8, v8, v82, v84
	s_set_vgpr_msb 5                        ;  msbs: dst=0 src0=1 src1=1 src2=0
	v_mul_i32_i24_e32 v82, v24 /*v280*/, v191 /*v447*/
	v_mul_i32_i24_e32 v84, v26 /*v282*/, v192 /*v448*/
	s_set_vgpr_msb 0                        ;  msbs: dst=0 src0=0 src1=0 src2=0
	v_mul_i32_i24_e32 v55, v113, v15
	v_add3_u32 v9, v9, v64, v66
	v_add3_u32 v8, v8, v86, v92
	s_set_vgpr_msb 5                        ;  msbs: dst=0 src0=1 src1=1 src2=0
	v_mul_i32_i24_e32 v86, v25 /*v281*/, v193 /*v449*/
	v_mul_i32_i24_e32 v92, v27 /*v283*/, v194 /*v450*/
	s_set_vgpr_msb 4                        ;  msbs: dst=0 src0=0 src1=1 src2=0
	v_mul_i32_i24_e32 v56, v111, v103 /*v359*/
	s_set_vgpr_msb 0                        ;  msbs: dst=0 src0=0 src1=0 src2=0
	v_add3_u32 v9, v9, v67, v69
	v_add3_u32 v8, v8, v118, v119
	s_set_vgpr_msb 5                        ;  msbs: dst=0 src0=1 src1=1 src2=0
	v_mul_i32_i24_e32 v118, v28 /*v284*/, v195 /*v451*/
	v_mul_i32_i24_e32 v119, v30 /*v286*/, v196 /*v452*/
	s_set_vgpr_msb 4                        ;  msbs: dst=0 src0=0 src1=1 src2=0
	v_mul_i32_i24_e32 v58, v111, v101 /*v357*/
	s_set_vgpr_msb 0                        ;  msbs: dst=0 src0=0 src1=0 src2=0
	v_add3_u32 v9, v9, v71, v82
	v_add3_u32 v8, v8, v120, v122
	s_set_vgpr_msb 1                        ;  msbs: dst=0 src0=1 src1=0 src2=0
	v_mul_i32_i24_e32 v60, v213 /*v469*/, v181
	v_mul_i32_i24_e32 v61, v214 /*v470*/, v182
	;; [unrolled: 1-line block ×3, first 2 shown]
	s_set_vgpr_msb 0                        ;  msbs: dst=0 src0=0 src1=0 src2=0
	v_add3_u32 v9, v9, v84, v86
	v_add3_u32 v8, v8, v10, v52
	v_mul_i32_i24_e32 v52, v12, v115
	s_set_vgpr_msb 1                        ;  msbs: dst=0 src0=1 src1=0 src2=0
	v_mul_i32_i24_e32 v64, v216 /*v472*/, v184
	s_set_vgpr_msb 4                        ;  msbs: dst=0 src0=0 src1=1 src2=0
	v_mul_i32_i24_e32 v66, v186, v217 /*v473*/
	s_set_vgpr_msb 0                        ;  msbs: dst=0 src0=0 src1=0 src2=0
	v_add3_u32 v9, v9, v92, v118
	v_mul_lo_u32 v8, v8, v226
	s_set_vgpr_msb 4                        ;  msbs: dst=0 src0=0 src1=1 src2=0
	v_mul_i32_i24_e32 v67, v185, v218 /*v474*/
	v_mul_i32_i24_e32 v69, v188, v219 /*v475*/
	v_mul_i32_i24_e32 v71, v187, v220 /*v476*/
	s_set_vgpr_msb 0                        ;  msbs: dst=0 src0=0 src1=0 src2=0
	v_add3_u32 v40, v9, v119, v124
	s_set_vgpr_msb 1                        ;  msbs: dst=0 src0=1 src1=0 src2=0
	v_mul_i32_i24_e32 v9, v163 /*v419*/, v228
	s_set_vgpr_msb 4                        ;  msbs: dst=0 src0=0 src1=1 src2=0
	v_mul_i32_i24_e32 v82, v190, v221 /*v477*/
	v_mul_i32_i24_e32 v84, v189, v222 /*v478*/
	;; [unrolled: 1-line block ×3, first 2 shown]
	s_set_vgpr_msb 0                        ;  msbs: dst=0 src0=0 src1=0 src2=0
	v_add3_u32 v40, v40, v133, v52
	v_add3_u32 v9, v53, v9, v11
	s_set_vgpr_msb 1                        ;  msbs: dst=0 src0=1 src1=0 src2=0
	v_mul_i32_i24_e32 v53, v160 /*v416*/, v115
	s_set_vgpr_msb 4                        ;  msbs: dst=0 src0=0 src1=1 src2=0
	v_mul_i32_i24_e32 v92, v191, v224 /*v480*/
	s_set_vgpr_msb 1                        ;  msbs: dst=0 src0=1 src1=0 src2=0
	v_mul_i32_i24_e32 v115, v198 /*v454*/, v225
	s_set_vgpr_msb 0                        ;  msbs: dst=0 src0=0 src1=0 src2=0
	v_add3_u32 v40, v40, v55, v58
	v_mul_lo_u32 v10, v9, v226
	s_set_vgpr_msb 5                        ;  msbs: dst=0 src0=1 src1=1 src2=0
	v_add3_u32 v53, v168 /*v424*/, v167 /*v423*/, v53
	s_set_vgpr_msb 0                        ;  msbs: dst=0 src0=0 src1=0 src2=0
	v_cvt_f32_i32_e32 v9, v8
	s_set_vgpr_msb 1                        ;  msbs: dst=0 src0=1 src1=0 src2=0
	v_mul_i32_i24_e32 v55, v210 /*v466*/, v178
	s_set_vgpr_msb 0                        ;  msbs: dst=0 src0=0 src1=0 src2=0
	v_mul_lo_u32 v40, v40, v117
	s_set_vgpr_msb 1                        ;  msbs: dst=0 src0=1 src1=0 src2=0
	v_mul_i32_i24_e32 v58, v212 /*v468*/, v180
	s_set_vgpr_msb 0                        ;  msbs: dst=0 src0=0 src1=0 src2=0
	v_add3_u32 v52, v53, v54, v56
	s_set_vgpr_msb 1                        ;  msbs: dst=0 src0=1 src1=0 src2=0
	v_mul_i32_i24_e32 v53, v208 /*v464*/, v176
	v_mul_i32_i24_e32 v54, v209 /*v465*/, v177
	;; [unrolled: 1-line block ×3, first 2 shown]
	s_set_vgpr_msb 0                        ;  msbs: dst=0 src0=0 src1=0 src2=0
	v_mul_lo_u32 v52, v52, v117
	v_cvt_f32_i32_e32 v8, v10
	v_pk_fma_f32 v[10:11], v[110:111], v[4:5], 0 op_sel_hi:[0,1,0]
	v_pk_fma_f32 v[4:5], v[116:117], v[4:5], 0 op_sel_hi:[0,1,0]
	v_cvt_f32_i32_e32 v111, v40
	s_set_vgpr_msb 1                        ;  msbs: dst=0 src0=1 src1=0 src2=0
	v_mul_i32_i24_e32 v40, v206 /*v462*/, v174
	s_set_vgpr_msb 0                        ;  msbs: dst=0 src0=0 src1=0 src2=0
	v_pk_fma_f32 v[8:9], v[6:7], v[8:9], 0 op_sel_hi:[1,1,0]
	v_pk_fma_f32 v[10:11], v[112:113], v[2:3], v[10:11] op_sel_hi:[0,1,1]
	s_set_vgpr_msb 1                        ;  msbs: dst=0 src0=1 src1=0 src2=0
	v_mul_i32_i24_e32 v112, v227 /*v483*/, v199
	v_mul_i32_i24_e32 v113, v228 /*v484*/, v201
	s_set_vgpr_msb 0                        ;  msbs: dst=0 src0=0 src1=0 src2=0
	v_pk_fma_f32 v[2:3], v[114:115], v[2:3], v[4:5] op_sel_hi:[0,1,1]
	v_cvt_f32_i32_e32 v110, v52
	v_pk_mul_f32 v[10:11], v[10:11], v[106:107]
	s_set_vgpr_msb 1                        ;  msbs: dst=0 src0=1 src1=0 src2=0
	v_mul_i32_i24_e32 v52, v207 /*v463*/, v175
	s_set_vgpr_msb 0                        ;  msbs: dst=0 src0=0 src1=0 src2=0
	v_pk_mul_f32 v[2:3], v[2:3], v[108:109]
	v_pk_fma_f32 v[8:9], v[0:1], v[110:111], v[8:9]
	s_set_vgpr_msb 4                        ;  msbs: dst=0 src0=0 src1=1 src2=0
	v_mul_i32_i24_e32 v110, v195, v225 /*v481*/
	v_mul_i32_i24_e32 v111, v193, v226 /*v482*/
	s_set_vgpr_msb 0                        ;  msbs: dst=0 src0=0 src1=0 src2=0
	v_pk_fma_f32 v[8:9], v[8:9], v[98:99], v[10:11] neg_lo:[0,0,1] neg_hi:[0,0,1]
	s_set_vgpr_msb 1                        ;  msbs: dst=0 src0=1 src1=0 src2=0
	v_mul_i32_i24_e32 v10, v231 /*v487*/, v170
	v_mul_i32_i24_e32 v11, v205 /*v461*/, v173
	s_set_vgpr_msb 0                        ;  msbs: dst=0 src0=0 src1=0 src2=0
	v_pk_add_f32 v[18:19], v[18:19], v[8:9]
	s_set_vgpr_msb 1                        ;  msbs: dst=0 src0=1 src1=0 src2=0
	v_mul_i32_i24_e32 v8, v229 /*v485*/, v168
	v_mul_i32_i24_e32 v9, v230 /*v486*/, v169
	s_delay_alu instid0(VALU_DEP_2) | instskip(SKIP_1) | instid1(VALU_DEP_1)
	v_mad_i32_i24 v8, v202 /*v458*/, v167, v8
	s_set_vgpr_msb 0                        ;  msbs: dst=0 src0=0 src1=0 src2=0
	v_add3_u32 v8, v8, v9, v10
	s_set_vgpr_msb 1                        ;  msbs: dst=0 src0=1 src1=0 src2=0
	v_mul_i32_i24_e32 v9, v203 /*v459*/, v171
	v_mul_i32_i24_e32 v10, v204 /*v460*/, v172
	s_set_vgpr_msb 0                        ;  msbs: dst=0 src0=0 src1=0 src2=0
	s_delay_alu instid0(VALU_DEP_1)
	v_add3_u32 v8, v8, v9, v10
	s_set_vgpr_msb 1                        ;  msbs: dst=0 src0=1 src1=0 src2=0
	v_mul_i32_i24_e32 v9, v199 /*v455*/, v197
	v_mul_i32_i24_e32 v10, v200 /*v456*/, v194
	s_set_vgpr_msb 0                        ;  msbs: dst=0 src0=0 src1=0 src2=0
	v_add3_u32 v8, v8, v11, v40
	s_set_vgpr_msb 1                        ;  msbs: dst=0 src0=1 src1=0 src2=0
	v_mul_i32_i24_e32 v11, v201 /*v457*/, v200
	s_set_vgpr_msb 0                        ;  msbs: dst=0 src0=0 src1=0 src2=0
	v_mad_i32_i24 v9, v14, v196, v9
	s_set_vgpr_msb 1                        ;  msbs: dst=0 src0=1 src1=0 src2=0
	v_mul_i32_i24_e32 v14, v176 /*v432*/, v198
	v_mul_i32_i24_e32 v40, v177 /*v433*/, v205
	s_set_vgpr_msb 0                        ;  msbs: dst=0 src0=0 src1=0 src2=0
	v_add3_u32 v8, v8, v52, v53
	s_set_vgpr_msb 1                        ;  msbs: dst=0 src0=1 src1=0 src2=0
	v_mul_i32_i24_e32 v52, v178 /*v434*/, v206
	s_set_vgpr_msb 0                        ;  msbs: dst=0 src0=0 src1=0 src2=0
	v_add3_u32 v9, v9, v10, v11
	s_set_vgpr_msb 1                        ;  msbs: dst=0 src0=1 src1=0 src2=0
	v_mul_i32_i24_e32 v10, v174 /*v430*/, v202
	v_mul_i32_i24_e32 v11, v175 /*v431*/, v203
	;; [unrolled: 1-line block ×3, first 2 shown]
	s_set_vgpr_msb 0                        ;  msbs: dst=0 src0=0 src1=0 src2=0
	v_add3_u32 v8, v8, v54, v55
	s_set_vgpr_msb 1                        ;  msbs: dst=0 src0=1 src1=0 src2=0
	v_mul_i32_i24_e32 v54, v180 /*v436*/, v204
	v_mul_i32_i24_e32 v55, v181 /*v437*/, v209
	s_set_vgpr_msb 0                        ;  msbs: dst=0 src0=0 src1=0 src2=0
	v_add3_u32 v9, v9, v10, v11
	v_mul_i32_i24_e32 v11, v13, v166
	v_add3_u32 v8, v8, v56, v58
	s_set_vgpr_msb 1                        ;  msbs: dst=0 src0=1 src1=0 src2=0
	v_mul_i32_i24_e32 v56, v182 /*v438*/, v210
	v_mul_i32_i24_e32 v58, v183 /*v439*/, v211
	s_set_vgpr_msb 0                        ;  msbs: dst=0 src0=0 src1=0 src2=0
	v_add3_u32 v9, v9, v14, v40
	s_set_vgpr_msb 4                        ;  msbs: dst=0 src0=0 src1=1 src2=0
	v_mul_i32_i24_e32 v13, v165, v105 /*v361*/
	s_set_vgpr_msb 0                        ;  msbs: dst=0 src0=0 src1=0 src2=0
	v_add3_u32 v8, v8, v60, v61
	s_set_vgpr_msb 1                        ;  msbs: dst=0 src0=1 src1=0 src2=0
	v_mul_i32_i24_e32 v60, v184 /*v440*/, v208
	v_mul_i32_i24_e32 v61, v185 /*v441*/, v212
	s_set_vgpr_msb 0                        ;  msbs: dst=0 src0=0 src1=0 src2=0
	v_add3_u32 v9, v9, v52, v53
	s_set_vgpr_msb 4                        ;  msbs: dst=0 src0=0 src1=1 src2=0
	v_mul_i32_i24_e32 v14, v165, v104 /*v360*/
	s_set_vgpr_msb 0                        ;  msbs: dst=0 src0=0 src1=0 src2=0
	v_add3_u32 v8, v8, v62, v64
	s_set_vgpr_msb 4                        ;  msbs: dst=0 src0=0 src1=1 src2=0
	v_mul_i32_i24_e32 v62, v213, v186 /*v442*/
	v_mul_i32_i24_e32 v64, v214, v187 /*v443*/
	s_set_vgpr_msb 0                        ;  msbs: dst=0 src0=0 src1=0 src2=0
	v_add3_u32 v9, v9, v54, v55
	s_set_vgpr_msb 21                       ;  msbs: dst=0 src0=1 src1=1 src2=1
	v_add3_u32 v40, v166 /*v422*/, v164 /*v420*/, v165 /*v421*/
	s_set_vgpr_msb 0                        ;  msbs: dst=0 src0=0 src1=0 src2=0
	v_add3_u32 v8, v8, v66, v67
	s_set_vgpr_msb 4                        ;  msbs: dst=0 src0=0 src1=1 src2=0
	v_mul_i32_i24_e32 v66, v216, v188 /*v444*/
	v_mul_i32_i24_e32 v67, v215, v189 /*v445*/
	s_set_vgpr_msb 0                        ;  msbs: dst=0 src0=0 src1=0 src2=0
	v_add3_u32 v9, v9, v56, v58
	v_add3_u32 v8, v8, v69, v71
	s_set_vgpr_msb 4                        ;  msbs: dst=0 src0=0 src1=1 src2=0
	v_mul_i32_i24_e32 v69, v217, v190 /*v446*/
	v_mul_i32_i24_e32 v71, v218, v191 /*v447*/
	s_set_vgpr_msb 0                        ;  msbs: dst=0 src0=0 src1=0 src2=0
	v_add3_u32 v9, v9, v60, v61
	;; [unrolled: 6-line block ×5, first 2 shown]
	v_add3_u32 v8, v8, v112, v113
	s_delay_alu instid0(VALU_DEP_2) | instskip(NEXT) | instid1(VALU_DEP_2)
	v_add3_u32 v9, v9, v82, v84
	v_add3_u32 v8, v8, v11, v14
	s_set_vgpr_msb 4                        ;  msbs: dst=0 src0=0 src1=1 src2=0
	v_mul_i32_i24_e32 v14, v160, v101 /*v357*/
	s_set_vgpr_msb 0                        ;  msbs: dst=0 src0=0 src1=0 src2=0
	v_add3_u32 v9, v9, v86, v92
	v_mul_lo_u32 v8, v8, v164
	s_delay_alu instid0(VALU_DEP_2) | instskip(SKIP_3) | instid1(VALU_DEP_1)
	v_add3_u32 v10, v9, v110, v111
	s_set_vgpr_msb 1                        ;  msbs: dst=0 src0=1 src1=0 src2=0
	v_mul_i32_i24_e32 v9, v163 /*v419*/, v166
	s_set_vgpr_msb 0                        ;  msbs: dst=0 src0=0 src1=0 src2=0
	v_add3_u32 v9, v40, v9, v13
	s_set_vgpr_msb 4                        ;  msbs: dst=0 src0=0 src1=1 src2=0
	v_mul_i32_i24_e32 v13, v160, v103 /*v359*/
	s_set_vgpr_msb 0                        ;  msbs: dst=0 src0=0 src1=0 src2=0
	s_delay_alu instid0(VALU_DEP_2) | instskip(SKIP_1) | instid1(VALU_DEP_2)
	v_mul_lo_u32 v11, v9, v164
	v_cvt_f32_i32_e32 v9, v8
	v_cvt_f32_i32_e32 v8, v11
	s_set_vgpr_msb 4                        ;  msbs: dst=0 src0=0 src1=1 src2=0
	v_mul_i32_i24_e32 v11, v161, v102 /*v358*/
	s_set_vgpr_msb 0                        ;  msbs: dst=0 src0=0 src1=0 src2=0
	s_delay_alu instid0(VALU_DEP_2)
	v_pk_fma_f32 v[6:7], v[6:7], v[8:9], 0 op_sel_hi:[1,1,0]
	v_mul_i32_i24_e32 v8, v12, v162
	s_set_vgpr_msb 1                        ;  msbs: dst=0 src0=1 src1=0 src2=0
	v_mul_i32_i24_e32 v9, v160 /*v416*/, v162
	s_set_vgpr_msb 0                        ;  msbs: dst=0 src0=0 src1=0 src2=0
	v_mul_i32_i24_e32 v12, v161, v15
	v_add3_u32 v8, v10, v115, v8
	s_set_vgpr_msb 5                        ;  msbs: dst=0 src0=1 src1=1 src2=0
	v_add3_u32 v9, v162 /*v418*/, v161 /*v417*/, v9
	s_set_vgpr_msb 0                        ;  msbs: dst=0 src0=0 src1=0 src2=0
	s_delay_alu instid0(VALU_DEP_2) | instskip(NEXT) | instid1(VALU_DEP_2)
	v_add3_u32 v8, v8, v12, v14
	v_add3_u32 v9, v9, v11, v13
	s_delay_alu instid0(VALU_DEP_2) | instskip(NEXT) | instid1(VALU_DEP_2)
	v_mul_lo_u32 v8, v8, v163
	v_mul_lo_u32 v10, v9, v163
	s_delay_alu instid0(VALU_DEP_2) | instskip(NEXT) | instid1(VALU_DEP_2)
	v_cvt_f32_i32_e32 v9, v8
	v_cvt_f32_i32_e32 v8, v10
	s_delay_alu instid0(VALU_DEP_1) | instskip(NEXT) | instid1(VALU_DEP_1)
	v_pk_fma_f32 v[0:1], v[0:1], v[8:9], v[6:7]
	v_pk_fma_f32 v[0:1], v[0:1], v[100:101], v[2:3] neg_lo:[0,0,1] neg_hi:[0,0,1]
	s_delay_alu instid0(VALU_DEP_1)
	v_pk_add_f32 v[16:17], v[16:17], v[0:1]
	s_cbranch_scc1 .LBB171_8
; %bb.9:                                ;   in Loop: Header=BB171_5 Depth=1
	s_add_co_i32 s10, s10, 1
	s_delay_alu instid0(SALU_CYCLE_1)
	s_cmp_eq_u32 s10, s15
	s_barrier_signal -1
	s_barrier_wait -1
	s_cbranch_scc0 .LBB171_5
; %bb.10:
	s_clause 0x1
	scratch_load_b32 v2, off, off offset:124 th:TH_LOAD_LU
	scratch_load_b32 v3, off, off offset:128
	v_mov_b32_e32 v1, v41
.LBB171_11:
	s_wait_xcnt 0x0
	s_mov_b32 s0, exec_lo
	s_wait_loadcnt 0x0
	v_cmpx_gt_u32_e64 s4, v3
	s_cbranch_execz .LBB171_62
; %bb.12:
	v_mul_lo_u32 v5, v3, s6
	v_add_nc_u32_e32 v0, s14, v2
	s_delay_alu instid0(VALU_DEP_1)
	v_cmp_gt_u32_e32 vcc_lo, s6, v0
	s_and_saveexec_b32 s1, vcc_lo
	s_cbranch_execz .LBB171_14
; %bb.13:
	v_bfe_u32 v2, v50, 16, 1
	v_cmp_o_f32_e64 s0, v50, v50
	v_add_nc_u32_e32 v3, v0, v5
	s_delay_alu instid0(VALU_DEP_3) | instskip(NEXT) | instid1(VALU_DEP_1)
	v_add3_u32 v2, v50, v2, 0x7fff
	v_lshrrev_b32_e32 v2, 16, v2
	s_delay_alu instid0(VALU_DEP_1)
	v_cndmask_b32_e64 v2, 0x7fc0, v2, s0
	s_wait_kmcnt 0x0
	global_store_b16 v3, v2, s[8:9] scale_offset
.LBB171_14:
	s_wait_xcnt 0x0
	s_or_b32 exec_lo, exec_lo, s1
	v_add_nc_u32_e32 v2, 32, v0
	s_delay_alu instid0(VALU_DEP_1)
	v_cmp_gt_u32_e64 s0, s6, v2
	s_and_saveexec_b32 s2, s0
	s_cbranch_execz .LBB171_16
; %bb.15:
	v_bfe_u32 v3, v48, 16, 1
	v_cmp_o_f32_e64 s1, v48, v48
	v_add_nc_u32_e32 v4, v2, v5
	s_delay_alu instid0(VALU_DEP_3) | instskip(NEXT) | instid1(VALU_DEP_1)
	v_add3_u32 v3, v48, v3, 0x7fff
	v_lshrrev_b32_e32 v3, 16, v3
	s_delay_alu instid0(VALU_DEP_1)
	v_cndmask_b32_e64 v3, 0x7fc0, v3, s1
	s_wait_kmcnt 0x0
	global_store_b16 v4, v3, s[8:9] scale_offset
.LBB171_16:
	s_wait_xcnt 0x0
	s_or_b32 exec_lo, exec_lo, s2
	v_add_nc_u32_e32 v3, 64, v0
	s_delay_alu instid0(VALU_DEP_1)
	v_cmp_gt_u32_e64 s1, s6, v3
	s_and_saveexec_b32 s3, s1
	;; [unrolled: 19-line block ×3, first 2 shown]
	s_cbranch_execz .LBB171_20
; %bb.19:
	v_bfe_u32 v6, v44, 16, 1
	v_cmp_o_f32_e64 s3, v44, v44
	v_add_nc_u32_e32 v5, v4, v5
	s_delay_alu instid0(VALU_DEP_3) | instskip(NEXT) | instid1(VALU_DEP_1)
	v_add3_u32 v6, v44, v6, 0x7fff
	v_lshrrev_b32_e32 v6, 16, v6
	s_delay_alu instid0(VALU_DEP_1)
	v_cndmask_b32_e64 v6, 0x7fc0, v6, s3
	s_wait_kmcnt 0x0
	global_store_b16 v5, v6, s[8:9] scale_offset
.LBB171_20:
	s_wait_xcnt 0x0
	s_or_b32 exec_lo, exec_lo, s5
	v_add3_u32 v5, v1, s7, 8
	s_delay_alu instid0(VALU_DEP_1)
	v_cmp_gt_u32_e64 s3, s4, v5
	s_and_b32 exec_lo, exec_lo, s3
	s_cbranch_execz .LBB171_62
; %bb.21:
	v_mul_lo_u32 v5, v5, s6
	s_and_saveexec_b32 s5, vcc_lo
	s_cbranch_execnz .LBB171_63
; %bb.22:
	s_or_b32 exec_lo, exec_lo, s5
	s_and_saveexec_b32 s5, s0
	s_cbranch_execnz .LBB171_64
.LBB171_23:
	s_or_b32 exec_lo, exec_lo, s5
	s_and_saveexec_b32 s5, s1
	s_cbranch_execnz .LBB171_65
.LBB171_24:
	s_or_b32 exec_lo, exec_lo, s5
	s_and_saveexec_b32 s5, s2
	s_cbranch_execz .LBB171_26
.LBB171_25:
	v_bfe_u32 v6, v45, 16, 1
	v_cmp_o_f32_e64 s3, v45, v45
	v_add_nc_u32_e32 v5, v5, v4
	s_delay_alu instid0(VALU_DEP_3) | instskip(NEXT) | instid1(VALU_DEP_1)
	v_add3_u32 v6, v45, v6, 0x7fff
	v_lshrrev_b32_e32 v6, 16, v6
	s_delay_alu instid0(VALU_DEP_1)
	v_cndmask_b32_e64 v6, 0x7fc0, v6, s3
	s_wait_kmcnt 0x0
	global_store_b16 v5, v6, s[8:9] scale_offset
.LBB171_26:
	s_wait_xcnt 0x0
	s_or_b32 exec_lo, exec_lo, s5
	v_add3_u32 v5, v1, s7, 16
	s_delay_alu instid0(VALU_DEP_1)
	v_cmp_gt_u32_e64 s3, s4, v5
	s_and_b32 exec_lo, exec_lo, s3
	s_cbranch_execz .LBB171_62
; %bb.27:
	v_mul_lo_u32 v5, v5, s6
	s_and_saveexec_b32 s5, vcc_lo
	s_cbranch_execnz .LBB171_66
; %bb.28:
	s_or_b32 exec_lo, exec_lo, s5
	s_and_saveexec_b32 s5, s0
	s_cbranch_execnz .LBB171_67
.LBB171_29:
	s_or_b32 exec_lo, exec_lo, s5
	s_and_saveexec_b32 s5, s1
	s_cbranch_execnz .LBB171_68
.LBB171_30:
	s_or_b32 exec_lo, exec_lo, s5
	s_and_saveexec_b32 s5, s2
	s_cbranch_execz .LBB171_32
.LBB171_31:
	v_bfe_u32 v6, v32, 16, 1
	v_cmp_o_f32_e64 s3, v32, v32
	v_add_nc_u32_e32 v5, v5, v4
	s_delay_alu instid0(VALU_DEP_3) | instskip(NEXT) | instid1(VALU_DEP_1)
	v_add3_u32 v6, v32, v6, 0x7fff
	v_lshrrev_b32_e32 v6, 16, v6
	s_delay_alu instid0(VALU_DEP_1)
	v_cndmask_b32_e64 v6, 0x7fc0, v6, s3
	s_wait_kmcnt 0x0
	global_store_b16 v5, v6, s[8:9] scale_offset
.LBB171_32:
	s_wait_xcnt 0x0
	s_or_b32 exec_lo, exec_lo, s5
	v_add3_u32 v5, v1, s7, 24
	s_delay_alu instid0(VALU_DEP_1)
	v_cmp_gt_u32_e64 s3, s4, v5
	s_and_b32 exec_lo, exec_lo, s3
	s_cbranch_execz .LBB171_62
; %bb.33:
	v_mul_lo_u32 v5, v5, s6
	s_and_saveexec_b32 s5, vcc_lo
	s_cbranch_execnz .LBB171_69
; %bb.34:
	s_or_b32 exec_lo, exec_lo, s5
	s_and_saveexec_b32 s5, s0
	s_cbranch_execnz .LBB171_70
.LBB171_35:
	s_or_b32 exec_lo, exec_lo, s5
	s_and_saveexec_b32 s5, s1
	s_cbranch_execnz .LBB171_71
.LBB171_36:
	s_or_b32 exec_lo, exec_lo, s5
	s_and_saveexec_b32 s5, s2
	s_cbranch_execz .LBB171_38
.LBB171_37:
	v_bfe_u32 v6, v33, 16, 1
	v_cmp_o_f32_e64 s3, v33, v33
	v_add_nc_u32_e32 v5, v5, v4
	s_delay_alu instid0(VALU_DEP_3) | instskip(NEXT) | instid1(VALU_DEP_1)
	v_add3_u32 v6, v33, v6, 0x7fff
	v_lshrrev_b32_e32 v6, 16, v6
	s_delay_alu instid0(VALU_DEP_1)
	v_cndmask_b32_e64 v6, 0x7fc0, v6, s3
	s_wait_kmcnt 0x0
	global_store_b16 v5, v6, s[8:9] scale_offset
.LBB171_38:
	s_wait_xcnt 0x0
	s_or_b32 exec_lo, exec_lo, s5
	v_add3_u32 v5, v1, s7, 32
	s_delay_alu instid0(VALU_DEP_1)
	v_cmp_gt_u32_e64 s3, s4, v5
	s_and_b32 exec_lo, exec_lo, s3
	s_cbranch_execz .LBB171_62
; %bb.39:
	v_mul_lo_u32 v5, v5, s6
	s_and_saveexec_b32 s5, vcc_lo
	s_cbranch_execnz .LBB171_72
; %bb.40:
	s_or_b32 exec_lo, exec_lo, s5
	s_and_saveexec_b32 s5, s0
	s_cbranch_execnz .LBB171_73
.LBB171_41:
	s_or_b32 exec_lo, exec_lo, s5
	s_and_saveexec_b32 s5, s1
	s_cbranch_execnz .LBB171_74
.LBB171_42:
	s_or_b32 exec_lo, exec_lo, s5
	s_and_saveexec_b32 s5, s2
	s_cbranch_execz .LBB171_44
.LBB171_43:
	v_bfe_u32 v6, v24, 16, 1
	v_cmp_o_f32_e64 s3, v24, v24
	v_add_nc_u32_e32 v5, v5, v4
	s_delay_alu instid0(VALU_DEP_3) | instskip(NEXT) | instid1(VALU_DEP_1)
	v_add3_u32 v6, v24, v6, 0x7fff
	v_lshrrev_b32_e32 v6, 16, v6
	s_delay_alu instid0(VALU_DEP_1)
	v_cndmask_b32_e64 v6, 0x7fc0, v6, s3
	s_wait_kmcnt 0x0
	global_store_b16 v5, v6, s[8:9] scale_offset
.LBB171_44:
	s_wait_xcnt 0x0
	s_or_b32 exec_lo, exec_lo, s5
	v_add3_u32 v5, v1, s7, 40
	s_delay_alu instid0(VALU_DEP_1)
	v_cmp_gt_u32_e64 s3, s4, v5
	s_and_b32 exec_lo, exec_lo, s3
	s_cbranch_execz .LBB171_62
; %bb.45:
	v_mul_lo_u32 v5, v5, s6
	s_and_saveexec_b32 s5, vcc_lo
	s_cbranch_execnz .LBB171_75
; %bb.46:
	s_or_b32 exec_lo, exec_lo, s5
	s_and_saveexec_b32 s5, s0
	s_cbranch_execnz .LBB171_76
.LBB171_47:
	s_or_b32 exec_lo, exec_lo, s5
	s_and_saveexec_b32 s5, s1
	s_cbranch_execnz .LBB171_77
.LBB171_48:
	s_or_b32 exec_lo, exec_lo, s5
	s_and_saveexec_b32 s5, s2
	s_cbranch_execz .LBB171_50
.LBB171_49:
	v_bfe_u32 v6, v25, 16, 1
	v_cmp_o_f32_e64 s3, v25, v25
	v_add_nc_u32_e32 v5, v5, v4
	s_delay_alu instid0(VALU_DEP_3) | instskip(NEXT) | instid1(VALU_DEP_1)
	v_add3_u32 v6, v25, v6, 0x7fff
	v_lshrrev_b32_e32 v6, 16, v6
	s_delay_alu instid0(VALU_DEP_1)
	v_cndmask_b32_e64 v6, 0x7fc0, v6, s3
	s_wait_kmcnt 0x0
	global_store_b16 v5, v6, s[8:9] scale_offset
.LBB171_50:
	s_wait_xcnt 0x0
	s_or_b32 exec_lo, exec_lo, s5
	v_add3_u32 v5, v1, s7, 48
	s_delay_alu instid0(VALU_DEP_1)
	v_cmp_gt_u32_e64 s3, s4, v5
	s_and_b32 exec_lo, exec_lo, s3
	s_cbranch_execz .LBB171_62
; %bb.51:
	v_mul_lo_u32 v5, v5, s6
	s_and_saveexec_b32 s5, vcc_lo
	s_cbranch_execnz .LBB171_78
; %bb.52:
	s_or_b32 exec_lo, exec_lo, s5
	s_and_saveexec_b32 s5, s0
	s_cbranch_execnz .LBB171_79
.LBB171_53:
	s_or_b32 exec_lo, exec_lo, s5
	s_and_saveexec_b32 s5, s1
	s_cbranch_execnz .LBB171_80
.LBB171_54:
	s_or_b32 exec_lo, exec_lo, s5
	s_and_saveexec_b32 s5, s2
	s_cbranch_execz .LBB171_56
.LBB171_55:
	v_bfe_u32 v6, v16, 16, 1
	v_cmp_o_f32_e64 s3, v16, v16
	v_add_nc_u32_e32 v5, v5, v4
	s_delay_alu instid0(VALU_DEP_3) | instskip(NEXT) | instid1(VALU_DEP_1)
	v_add3_u32 v6, v16, v6, 0x7fff
	v_lshrrev_b32_e32 v6, 16, v6
	s_delay_alu instid0(VALU_DEP_1)
	v_cndmask_b32_e64 v6, 0x7fc0, v6, s3
	s_wait_kmcnt 0x0
	global_store_b16 v5, v6, s[8:9] scale_offset
.LBB171_56:
	s_wait_xcnt 0x0
	s_or_b32 exec_lo, exec_lo, s5
	v_add3_u32 v1, v1, s7, 56
	s_delay_alu instid0(VALU_DEP_1)
	v_cmp_gt_u32_e64 s3, s4, v1
	s_and_b32 exec_lo, exec_lo, s3
	s_cbranch_execz .LBB171_62
; %bb.57:
	v_mul_lo_u32 v1, v1, s6
	s_and_saveexec_b32 s3, vcc_lo
	s_cbranch_execnz .LBB171_81
; %bb.58:
	s_or_b32 exec_lo, exec_lo, s3
	s_and_saveexec_b32 s3, s0
	s_cbranch_execnz .LBB171_82
.LBB171_59:
	s_or_b32 exec_lo, exec_lo, s3
	s_and_saveexec_b32 s0, s1
	s_cbranch_execnz .LBB171_83
.LBB171_60:
	s_or_b32 exec_lo, exec_lo, s0
	s_delay_alu instid0(SALU_CYCLE_1)
	s_and_b32 exec_lo, exec_lo, s2
	s_cbranch_execz .LBB171_62
.LBB171_61:
	v_bfe_u32 v0, v17, 16, 1
	v_cmp_o_f32_e32 vcc_lo, v17, v17
	v_add_nc_u32_e32 v1, v1, v4
	s_delay_alu instid0(VALU_DEP_3) | instskip(NEXT) | instid1(VALU_DEP_1)
	v_add3_u32 v0, v17, v0, 0x7fff
	v_lshrrev_b32_e32 v0, 16, v0
	s_delay_alu instid0(VALU_DEP_1)
	v_cndmask_b32_e32 v0, 0x7fc0, v0, vcc_lo
	s_wait_kmcnt 0x0
	global_store_b16 v1, v0, s[8:9] scale_offset
.LBB171_62:
	s_sendmsg sendmsg(MSG_DEALLOC_VGPRS)
	s_endpgm
.LBB171_63:
	v_bfe_u32 v6, v51, 16, 1
	v_cmp_o_f32_e64 s3, v51, v51
	s_delay_alu instid0(VALU_DEP_3) | instskip(NEXT) | instid1(VALU_DEP_3)
	v_add_nc_u32_e32 v7, v5, v0
	v_add3_u32 v6, v51, v6, 0x7fff
	s_delay_alu instid0(VALU_DEP_1) | instskip(NEXT) | instid1(VALU_DEP_1)
	v_lshrrev_b32_e32 v6, 16, v6
	v_cndmask_b32_e64 v6, 0x7fc0, v6, s3
	s_wait_kmcnt 0x0
	global_store_b16 v7, v6, s[8:9] scale_offset
	s_wait_xcnt 0x0
	s_or_b32 exec_lo, exec_lo, s5
	s_and_saveexec_b32 s5, s0
	s_cbranch_execz .LBB171_23
.LBB171_64:
	v_bfe_u32 v6, v49, 16, 1
	v_cmp_o_f32_e64 s3, v49, v49
	s_delay_alu instid0(VALU_DEP_3) | instskip(NEXT) | instid1(VALU_DEP_3)
	v_add_nc_u32_e32 v7, v5, v2
	v_add3_u32 v6, v49, v6, 0x7fff
	s_delay_alu instid0(VALU_DEP_1) | instskip(NEXT) | instid1(VALU_DEP_1)
	v_lshrrev_b32_e32 v6, 16, v6
	v_cndmask_b32_e64 v6, 0x7fc0, v6, s3
	s_wait_kmcnt 0x0
	global_store_b16 v7, v6, s[8:9] scale_offset
	s_wait_xcnt 0x0
	s_or_b32 exec_lo, exec_lo, s5
	s_and_saveexec_b32 s5, s1
	s_cbranch_execz .LBB171_24
.LBB171_65:
	v_bfe_u32 v6, v47, 16, 1
	v_cmp_o_f32_e64 s3, v47, v47
	v_add_nc_u32_e32 v7, v5, v3
	s_delay_alu instid0(VALU_DEP_3) | instskip(NEXT) | instid1(VALU_DEP_1)
	v_add3_u32 v6, v47, v6, 0x7fff
	v_lshrrev_b32_e32 v6, 16, v6
	s_delay_alu instid0(VALU_DEP_1)
	v_cndmask_b32_e64 v6, 0x7fc0, v6, s3
	s_wait_kmcnt 0x0
	global_store_b16 v7, v6, s[8:9] scale_offset
	s_wait_xcnt 0x0
	s_or_b32 exec_lo, exec_lo, s5
	s_and_saveexec_b32 s5, s2
	s_cbranch_execnz .LBB171_25
	s_branch .LBB171_26
.LBB171_66:
	v_bfe_u32 v6, v38, 16, 1
	v_cmp_o_f32_e64 s3, v38, v38
	s_delay_alu instid0(VALU_DEP_3) | instskip(NEXT) | instid1(VALU_DEP_3)
	v_add_nc_u32_e32 v7, v5, v0
	v_add3_u32 v6, v38, v6, 0x7fff
	s_delay_alu instid0(VALU_DEP_1) | instskip(NEXT) | instid1(VALU_DEP_1)
	v_lshrrev_b32_e32 v6, 16, v6
	v_cndmask_b32_e64 v6, 0x7fc0, v6, s3
	s_wait_kmcnt 0x0
	global_store_b16 v7, v6, s[8:9] scale_offset
	s_wait_xcnt 0x0
	s_or_b32 exec_lo, exec_lo, s5
	s_and_saveexec_b32 s5, s0
	s_cbranch_execz .LBB171_29
.LBB171_67:
	v_bfe_u32 v6, v36, 16, 1
	v_cmp_o_f32_e64 s3, v36, v36
	s_delay_alu instid0(VALU_DEP_3) | instskip(NEXT) | instid1(VALU_DEP_3)
	v_add_nc_u32_e32 v7, v5, v2
	v_add3_u32 v6, v36, v6, 0x7fff
	s_delay_alu instid0(VALU_DEP_1) | instskip(NEXT) | instid1(VALU_DEP_1)
	v_lshrrev_b32_e32 v6, 16, v6
	v_cndmask_b32_e64 v6, 0x7fc0, v6, s3
	s_wait_kmcnt 0x0
	global_store_b16 v7, v6, s[8:9] scale_offset
	s_wait_xcnt 0x0
	s_or_b32 exec_lo, exec_lo, s5
	s_and_saveexec_b32 s5, s1
	s_cbranch_execz .LBB171_30
.LBB171_68:
	v_bfe_u32 v6, v34, 16, 1
	v_cmp_o_f32_e64 s3, v34, v34
	v_add_nc_u32_e32 v7, v5, v3
	s_delay_alu instid0(VALU_DEP_3) | instskip(NEXT) | instid1(VALU_DEP_1)
	v_add3_u32 v6, v34, v6, 0x7fff
	v_lshrrev_b32_e32 v6, 16, v6
	s_delay_alu instid0(VALU_DEP_1)
	v_cndmask_b32_e64 v6, 0x7fc0, v6, s3
	s_wait_kmcnt 0x0
	global_store_b16 v7, v6, s[8:9] scale_offset
	s_wait_xcnt 0x0
	s_or_b32 exec_lo, exec_lo, s5
	s_and_saveexec_b32 s5, s2
	s_cbranch_execnz .LBB171_31
	s_branch .LBB171_32
.LBB171_69:
	v_bfe_u32 v6, v39, 16, 1
	v_cmp_o_f32_e64 s3, v39, v39
	s_delay_alu instid0(VALU_DEP_3) | instskip(NEXT) | instid1(VALU_DEP_3)
	v_add_nc_u32_e32 v7, v5, v0
	v_add3_u32 v6, v39, v6, 0x7fff
	s_delay_alu instid0(VALU_DEP_1) | instskip(NEXT) | instid1(VALU_DEP_1)
	v_lshrrev_b32_e32 v6, 16, v6
	v_cndmask_b32_e64 v6, 0x7fc0, v6, s3
	s_wait_kmcnt 0x0
	global_store_b16 v7, v6, s[8:9] scale_offset
	s_wait_xcnt 0x0
	s_or_b32 exec_lo, exec_lo, s5
	s_and_saveexec_b32 s5, s0
	s_cbranch_execz .LBB171_35
.LBB171_70:
	v_bfe_u32 v6, v37, 16, 1
	v_cmp_o_f32_e64 s3, v37, v37
	s_delay_alu instid0(VALU_DEP_3) | instskip(NEXT) | instid1(VALU_DEP_3)
	v_add_nc_u32_e32 v7, v5, v2
	v_add3_u32 v6, v37, v6, 0x7fff
	s_delay_alu instid0(VALU_DEP_1) | instskip(NEXT) | instid1(VALU_DEP_1)
	v_lshrrev_b32_e32 v6, 16, v6
	v_cndmask_b32_e64 v6, 0x7fc0, v6, s3
	s_wait_kmcnt 0x0
	global_store_b16 v7, v6, s[8:9] scale_offset
	s_wait_xcnt 0x0
	s_or_b32 exec_lo, exec_lo, s5
	s_and_saveexec_b32 s5, s1
	s_cbranch_execz .LBB171_36
.LBB171_71:
	v_bfe_u32 v6, v35, 16, 1
	v_cmp_o_f32_e64 s3, v35, v35
	v_add_nc_u32_e32 v7, v5, v3
	s_delay_alu instid0(VALU_DEP_3) | instskip(NEXT) | instid1(VALU_DEP_1)
	v_add3_u32 v6, v35, v6, 0x7fff
	v_lshrrev_b32_e32 v6, 16, v6
	s_delay_alu instid0(VALU_DEP_1)
	v_cndmask_b32_e64 v6, 0x7fc0, v6, s3
	s_wait_kmcnt 0x0
	global_store_b16 v7, v6, s[8:9] scale_offset
	s_wait_xcnt 0x0
	s_or_b32 exec_lo, exec_lo, s5
	s_and_saveexec_b32 s5, s2
	s_cbranch_execnz .LBB171_37
	s_branch .LBB171_38
.LBB171_72:
	v_bfe_u32 v6, v30, 16, 1
	v_cmp_o_f32_e64 s3, v30, v30
	s_delay_alu instid0(VALU_DEP_3) | instskip(NEXT) | instid1(VALU_DEP_3)
	v_add_nc_u32_e32 v7, v5, v0
	v_add3_u32 v6, v30, v6, 0x7fff
	s_delay_alu instid0(VALU_DEP_1) | instskip(NEXT) | instid1(VALU_DEP_1)
	v_lshrrev_b32_e32 v6, 16, v6
	v_cndmask_b32_e64 v6, 0x7fc0, v6, s3
	s_wait_kmcnt 0x0
	global_store_b16 v7, v6, s[8:9] scale_offset
	s_wait_xcnt 0x0
	s_or_b32 exec_lo, exec_lo, s5
	s_and_saveexec_b32 s5, s0
	s_cbranch_execz .LBB171_41
.LBB171_73:
	v_bfe_u32 v6, v28, 16, 1
	v_cmp_o_f32_e64 s3, v28, v28
	s_delay_alu instid0(VALU_DEP_3) | instskip(NEXT) | instid1(VALU_DEP_3)
	v_add_nc_u32_e32 v7, v5, v2
	v_add3_u32 v6, v28, v6, 0x7fff
	s_delay_alu instid0(VALU_DEP_1) | instskip(NEXT) | instid1(VALU_DEP_1)
	v_lshrrev_b32_e32 v6, 16, v6
	v_cndmask_b32_e64 v6, 0x7fc0, v6, s3
	s_wait_kmcnt 0x0
	global_store_b16 v7, v6, s[8:9] scale_offset
	s_wait_xcnt 0x0
	s_or_b32 exec_lo, exec_lo, s5
	s_and_saveexec_b32 s5, s1
	s_cbranch_execz .LBB171_42
.LBB171_74:
	v_bfe_u32 v6, v26, 16, 1
	v_cmp_o_f32_e64 s3, v26, v26
	v_add_nc_u32_e32 v7, v5, v3
	s_delay_alu instid0(VALU_DEP_3) | instskip(NEXT) | instid1(VALU_DEP_1)
	v_add3_u32 v6, v26, v6, 0x7fff
	v_lshrrev_b32_e32 v6, 16, v6
	s_delay_alu instid0(VALU_DEP_1)
	v_cndmask_b32_e64 v6, 0x7fc0, v6, s3
	s_wait_kmcnt 0x0
	global_store_b16 v7, v6, s[8:9] scale_offset
	s_wait_xcnt 0x0
	s_or_b32 exec_lo, exec_lo, s5
	s_and_saveexec_b32 s5, s2
	s_cbranch_execnz .LBB171_43
	s_branch .LBB171_44
.LBB171_75:
	v_bfe_u32 v6, v31, 16, 1
	v_cmp_o_f32_e64 s3, v31, v31
	s_delay_alu instid0(VALU_DEP_3) | instskip(NEXT) | instid1(VALU_DEP_3)
	v_add_nc_u32_e32 v7, v5, v0
	v_add3_u32 v6, v31, v6, 0x7fff
	s_delay_alu instid0(VALU_DEP_1) | instskip(NEXT) | instid1(VALU_DEP_1)
	v_lshrrev_b32_e32 v6, 16, v6
	v_cndmask_b32_e64 v6, 0x7fc0, v6, s3
	s_wait_kmcnt 0x0
	global_store_b16 v7, v6, s[8:9] scale_offset
	s_wait_xcnt 0x0
	s_or_b32 exec_lo, exec_lo, s5
	s_and_saveexec_b32 s5, s0
	s_cbranch_execz .LBB171_47
.LBB171_76:
	v_bfe_u32 v6, v29, 16, 1
	v_cmp_o_f32_e64 s3, v29, v29
	s_delay_alu instid0(VALU_DEP_3) | instskip(NEXT) | instid1(VALU_DEP_3)
	v_add_nc_u32_e32 v7, v5, v2
	v_add3_u32 v6, v29, v6, 0x7fff
	s_delay_alu instid0(VALU_DEP_1) | instskip(NEXT) | instid1(VALU_DEP_1)
	v_lshrrev_b32_e32 v6, 16, v6
	v_cndmask_b32_e64 v6, 0x7fc0, v6, s3
	s_wait_kmcnt 0x0
	global_store_b16 v7, v6, s[8:9] scale_offset
	s_wait_xcnt 0x0
	s_or_b32 exec_lo, exec_lo, s5
	s_and_saveexec_b32 s5, s1
	s_cbranch_execz .LBB171_48
.LBB171_77:
	v_bfe_u32 v6, v27, 16, 1
	v_cmp_o_f32_e64 s3, v27, v27
	v_add_nc_u32_e32 v7, v5, v3
	s_delay_alu instid0(VALU_DEP_3) | instskip(NEXT) | instid1(VALU_DEP_1)
	v_add3_u32 v6, v27, v6, 0x7fff
	v_lshrrev_b32_e32 v6, 16, v6
	s_delay_alu instid0(VALU_DEP_1)
	v_cndmask_b32_e64 v6, 0x7fc0, v6, s3
	s_wait_kmcnt 0x0
	global_store_b16 v7, v6, s[8:9] scale_offset
	s_wait_xcnt 0x0
	s_or_b32 exec_lo, exec_lo, s5
	s_and_saveexec_b32 s5, s2
	s_cbranch_execnz .LBB171_49
	s_branch .LBB171_50
.LBB171_78:
	v_bfe_u32 v6, v22, 16, 1
	v_cmp_o_f32_e64 s3, v22, v22
	s_delay_alu instid0(VALU_DEP_3) | instskip(NEXT) | instid1(VALU_DEP_3)
	v_add_nc_u32_e32 v7, v5, v0
	v_add3_u32 v6, v22, v6, 0x7fff
	s_delay_alu instid0(VALU_DEP_1) | instskip(NEXT) | instid1(VALU_DEP_1)
	v_lshrrev_b32_e32 v6, 16, v6
	v_cndmask_b32_e64 v6, 0x7fc0, v6, s3
	s_wait_kmcnt 0x0
	global_store_b16 v7, v6, s[8:9] scale_offset
	s_wait_xcnt 0x0
	s_or_b32 exec_lo, exec_lo, s5
	s_and_saveexec_b32 s5, s0
	s_cbranch_execz .LBB171_53
.LBB171_79:
	v_bfe_u32 v6, v20, 16, 1
	v_cmp_o_f32_e64 s3, v20, v20
	s_delay_alu instid0(VALU_DEP_3) | instskip(NEXT) | instid1(VALU_DEP_3)
	v_add_nc_u32_e32 v7, v5, v2
	v_add3_u32 v6, v20, v6, 0x7fff
	s_delay_alu instid0(VALU_DEP_1) | instskip(NEXT) | instid1(VALU_DEP_1)
	v_lshrrev_b32_e32 v6, 16, v6
	v_cndmask_b32_e64 v6, 0x7fc0, v6, s3
	s_wait_kmcnt 0x0
	global_store_b16 v7, v6, s[8:9] scale_offset
	s_wait_xcnt 0x0
	s_or_b32 exec_lo, exec_lo, s5
	s_and_saveexec_b32 s5, s1
	s_cbranch_execz .LBB171_54
.LBB171_80:
	v_bfe_u32 v6, v18, 16, 1
	v_cmp_o_f32_e64 s3, v18, v18
	v_add_nc_u32_e32 v7, v5, v3
	s_delay_alu instid0(VALU_DEP_3) | instskip(NEXT) | instid1(VALU_DEP_1)
	v_add3_u32 v6, v18, v6, 0x7fff
	v_lshrrev_b32_e32 v6, 16, v6
	s_delay_alu instid0(VALU_DEP_1)
	v_cndmask_b32_e64 v6, 0x7fc0, v6, s3
	s_wait_kmcnt 0x0
	global_store_b16 v7, v6, s[8:9] scale_offset
	s_wait_xcnt 0x0
	s_or_b32 exec_lo, exec_lo, s5
	s_and_saveexec_b32 s5, s2
	s_cbranch_execnz .LBB171_55
	s_branch .LBB171_56
.LBB171_81:
	v_bfe_u32 v5, v23, 16, 1
	v_cmp_o_f32_e32 vcc_lo, v23, v23
	s_delay_alu instid0(VALU_DEP_3) | instskip(NEXT) | instid1(VALU_DEP_3)
	v_add_nc_u32_e32 v0, v1, v0
	v_add3_u32 v5, v23, v5, 0x7fff
	s_delay_alu instid0(VALU_DEP_1) | instskip(NEXT) | instid1(VALU_DEP_1)
	v_lshrrev_b32_e32 v5, 16, v5
	v_cndmask_b32_e32 v5, 0x7fc0, v5, vcc_lo
	s_wait_kmcnt 0x0
	global_store_b16 v0, v5, s[8:9] scale_offset
	s_wait_xcnt 0x0
	s_or_b32 exec_lo, exec_lo, s3
	s_and_saveexec_b32 s3, s0
	s_cbranch_execz .LBB171_59
.LBB171_82:
	v_bfe_u32 v0, v21, 16, 1
	v_cmp_o_f32_e32 vcc_lo, v21, v21
	s_delay_alu instid0(VALU_DEP_3) | instskip(NEXT) | instid1(VALU_DEP_3)
	v_add_nc_u32_e32 v2, v1, v2
	v_add3_u32 v0, v21, v0, 0x7fff
	s_delay_alu instid0(VALU_DEP_1) | instskip(NEXT) | instid1(VALU_DEP_1)
	v_lshrrev_b32_e32 v0, 16, v0
	v_cndmask_b32_e32 v0, 0x7fc0, v0, vcc_lo
	s_wait_kmcnt 0x0
	global_store_b16 v2, v0, s[8:9] scale_offset
	s_wait_xcnt 0x0
	s_or_b32 exec_lo, exec_lo, s3
	s_and_saveexec_b32 s0, s1
	s_cbranch_execz .LBB171_60
.LBB171_83:
	v_bfe_u32 v0, v19, 16, 1
	v_cmp_o_f32_e32 vcc_lo, v19, v19
	v_add_nc_u32_e32 v2, v1, v3
	s_delay_alu instid0(VALU_DEP_3) | instskip(NEXT) | instid1(VALU_DEP_1)
	v_add3_u32 v0, v19, v0, 0x7fff
	v_lshrrev_b32_e32 v0, 16, v0
	s_delay_alu instid0(VALU_DEP_1) | instskip(SKIP_4) | instid1(SALU_CYCLE_1)
	v_cndmask_b32_e32 v0, 0x7fc0, v0, vcc_lo
	s_wait_kmcnt 0x0
	global_store_b16 v2, v0, s[8:9] scale_offset
	s_wait_xcnt 0x0
	s_or_b32 exec_lo, exec_lo, s0
	s_and_b32 exec_lo, exec_lo, s2
	s_cbranch_execnz .LBB171_61
	s_branch .LBB171_62
	.section	.rodata,"a",@progbits
	.p2align	6, 0x0
	.amdhsa_kernel _ZL12mul_mat_q4_KIN3c108BFloat16ELb0EEvPKvS3_PT_iiiii
		.amdhsa_group_segment_fixed_size 28752
		.amdhsa_private_segment_fixed_size 136
		.amdhsa_kernarg_size 44
		.amdhsa_user_sgpr_count 2
		.amdhsa_user_sgpr_dispatch_ptr 0
		.amdhsa_user_sgpr_queue_ptr 0
		.amdhsa_user_sgpr_kernarg_segment_ptr 1
		.amdhsa_user_sgpr_dispatch_id 0
		.amdhsa_user_sgpr_kernarg_preload_length 0
		.amdhsa_user_sgpr_kernarg_preload_offset 0
		.amdhsa_user_sgpr_private_segment_size 0
		.amdhsa_wavefront_size32 1
		.amdhsa_uses_dynamic_stack 0
		.amdhsa_enable_private_segment 1
		.amdhsa_system_sgpr_workgroup_id_x 1
		.amdhsa_system_sgpr_workgroup_id_y 1
		.amdhsa_system_sgpr_workgroup_id_z 0
		.amdhsa_system_sgpr_workgroup_info 0
		.amdhsa_system_vgpr_workitem_id 1
		.amdhsa_next_free_vgpr 512
		.amdhsa_next_free_sgpr 19
		.amdhsa_named_barrier_count 0
		.amdhsa_reserve_vcc 1
		.amdhsa_float_round_mode_32 0
		.amdhsa_float_round_mode_16_64 0
		.amdhsa_float_denorm_mode_32 3
		.amdhsa_float_denorm_mode_16_64 3
		.amdhsa_fp16_overflow 0
		.amdhsa_memory_ordered 1
		.amdhsa_forward_progress 1
		.amdhsa_inst_pref_size 255
		.amdhsa_round_robin_scheduling 0
		.amdhsa_exception_fp_ieee_invalid_op 0
		.amdhsa_exception_fp_denorm_src 0
		.amdhsa_exception_fp_ieee_div_zero 0
		.amdhsa_exception_fp_ieee_overflow 0
		.amdhsa_exception_fp_ieee_underflow 0
		.amdhsa_exception_fp_ieee_inexact 0
		.amdhsa_exception_int_div_zero 0
	.end_amdhsa_kernel
	.section	.text._ZL12mul_mat_q4_KIN3c108BFloat16ELb0EEvPKvS3_PT_iiiii,"axG",@progbits,_ZL12mul_mat_q4_KIN3c108BFloat16ELb0EEvPKvS3_PT_iiiii,comdat
.Lfunc_end171:
	.size	_ZL12mul_mat_q4_KIN3c108BFloat16ELb0EEvPKvS3_PT_iiiii, .Lfunc_end171-_ZL12mul_mat_q4_KIN3c108BFloat16ELb0EEvPKvS3_PT_iiiii
                                        ; -- End function
	.set _ZL12mul_mat_q4_KIN3c108BFloat16ELb0EEvPKvS3_PT_iiiii.num_vgpr, 512
	.set _ZL12mul_mat_q4_KIN3c108BFloat16ELb0EEvPKvS3_PT_iiiii.num_agpr, 0
	.set _ZL12mul_mat_q4_KIN3c108BFloat16ELb0EEvPKvS3_PT_iiiii.numbered_sgpr, 19
	.set _ZL12mul_mat_q4_KIN3c108BFloat16ELb0EEvPKvS3_PT_iiiii.num_named_barrier, 0
	.set _ZL12mul_mat_q4_KIN3c108BFloat16ELb0EEvPKvS3_PT_iiiii.private_seg_size, 136
	.set _ZL12mul_mat_q4_KIN3c108BFloat16ELb0EEvPKvS3_PT_iiiii.uses_vcc, 1
	.set _ZL12mul_mat_q4_KIN3c108BFloat16ELb0EEvPKvS3_PT_iiiii.uses_flat_scratch, 1
	.set _ZL12mul_mat_q4_KIN3c108BFloat16ELb0EEvPKvS3_PT_iiiii.has_dyn_sized_stack, 0
	.set _ZL12mul_mat_q4_KIN3c108BFloat16ELb0EEvPKvS3_PT_iiiii.has_recursion, 0
	.set _ZL12mul_mat_q4_KIN3c108BFloat16ELb0EEvPKvS3_PT_iiiii.has_indirect_call, 0
	.section	.AMDGPU.csdata,"",@progbits
; Kernel info:
; codeLenInByte = 76236
; TotalNumSgprs: 21
; NumVgprs: 512
; ScratchSize: 136
; MemoryBound: 0
; FloatMode: 240
; IeeeMode: 1
; LDSByteSize: 28752 bytes/workgroup (compile time only)
; SGPRBlocks: 0
; VGPRBlocks: 31
; NumSGPRsForWavesPerEU: 21
; NumVGPRsForWavesPerEU: 512
; NamedBarCnt: 0
; Occupancy: 2
; WaveLimiterHint : 0
; COMPUTE_PGM_RSRC2:SCRATCH_EN: 1
; COMPUTE_PGM_RSRC2:USER_SGPR: 2
; COMPUTE_PGM_RSRC2:TRAP_HANDLER: 0
; COMPUTE_PGM_RSRC2:TGID_X_EN: 1
; COMPUTE_PGM_RSRC2:TGID_Y_EN: 1
; COMPUTE_PGM_RSRC2:TGID_Z_EN: 0
; COMPUTE_PGM_RSRC2:TIDIG_COMP_CNT: 1
	.section	.text._ZL12mul_mat_q4_KIN3c108BFloat16ELb1EEvPKvS3_PT_iiiii,"axG",@progbits,_ZL12mul_mat_q4_KIN3c108BFloat16ELb1EEvPKvS3_PT_iiiii,comdat
	.globl	_ZL12mul_mat_q4_KIN3c108BFloat16ELb1EEvPKvS3_PT_iiiii ; -- Begin function _ZL12mul_mat_q4_KIN3c108BFloat16ELb1EEvPKvS3_PT_iiiii
	.p2align	8
	.type	_ZL12mul_mat_q4_KIN3c108BFloat16ELb1EEvPKvS3_PT_iiiii,@function
_ZL12mul_mat_q4_KIN3c108BFloat16ELb1EEvPKvS3_PT_iiiii: ; @_ZL12mul_mat_q4_KIN3c108BFloat16ELb1EEvPKvS3_PT_iiiii
; %bb.0:
	s_clause 0x1
	s_load_b128 s[4:7], s[0:1], 0x18
	s_load_b32 s14, s[0:1], 0x28
	s_bfe_u32 s2, ttmp6, 0x4000c
	s_bfe_u32 s8, ttmp6, 0x40010
	s_add_co_i32 s2, s2, 1
	s_and_b32 s3, ttmp6, 15
	s_mul_i32 s2, ttmp9, s2
	s_add_co_i32 s8, s8, 1
	s_add_co_i32 s3, s3, s2
	s_mul_i32 s2, ttmp7, s8
	s_bfe_u32 s8, ttmp6, 0x40004
	s_getreg_b32 s9, hwreg(HW_REG_IB_STS2, 6, 4)
	s_add_co_i32 s8, s8, s2
	s_cmp_eq_u32 s9, 0
	v_bfe_u32 v43, v0, 10, 10
	s_cselect_b32 s8, ttmp7, s8
	v_and_b32_e32 v58, 0x3ff, v0
	s_cselect_b32 s2, ttmp9, s3
	s_lshl_b32 s15, s8, 6
	s_mov_b32 s3, 0
	s_wait_kmcnt 0x0
	s_cmp_gt_i32 s4, 0xff
	s_cbranch_scc1 .LBB172_2
; %bb.1:
	v_bfe_u32 v1, v0, 10, 10
	v_and_b32_e32 v2, 0x3ff, v0
	s_delay_alu instid0(VALU_DEP_2)
	v_add_nc_u32_e32 v3, s15, v1
	s_branch .LBB172_3
.LBB172_2:
	s_mov_b32 s3, -1
                                        ; implicit-def: $vgpr1
                                        ; implicit-def: $vgpr2
                                        ; implicit-def: $vgpr3
.LBB172_3:
	s_load_b64 s[12:13], s[0:1], 0x10
	v_dual_mov_b32 v17, 0 :: v_dual_mov_b32 v16, 0
	v_dual_mov_b32 v25, 0 :: v_dual_mov_b32 v24, 0
	;; [unrolled: 1-line block ×16, first 2 shown]
	s_and_not1_b32 vcc_lo, exec_lo, s3
	s_lshl_b32 s16, s2, 7
	s_cbranch_vccnz .LBB172_11
; %bb.4:
	v_dual_add_nc_u32 v16, s15, v43 :: v_dual_lshlrev_b32 v63, 5, v43
	s_add_co_i32 s17, s6, -1
	v_bfe_u32 v29, v0, 2, 8
	v_cvt_f64_i32_e32 v[2:3], s17
	s_delay_alu instid0(VALU_DEP_3) | instskip(SKIP_3) | instid1(VALU_DEP_4)
	v_dual_add_nc_u32 v1, 8, v16 :: v_dual_add_nc_u32 v8, 16, v16
	v_cvt_f64_u32_e32 v[4:5], v16
	v_dual_add_nc_u32 v14, 40, v16 :: v_dual_add_nc_u32 v18, 56, v16
	v_add_nc_u32_e32 v20, v63, v58
	v_cvt_f64_u32_e32 v[6:7], v1
	v_dual_add_nc_u32 v1, 24, v16 :: v_dual_add_nc_u32 v12, 32, v16
	v_cvt_f64_u32_e32 v[8:9], v8
	scratch_store_b32 off, v16, off offset:192 ; 4-byte Folded Spill
	v_cvt_f64_u32_e32 v[18:19], v18
	v_cvt_f64_u32_e32 v[10:11], v1
	v_add_nc_u32_e32 v1, 48, v16
	v_cvt_f64_u32_e32 v[12:13], v12
	v_cvt_f64_u32_e32 v[14:15], v14
	v_lshl_add_u32 v29, v43, 3, v29
	s_load_b128 s[8:11], s[0:1], 0x0
	v_cvt_f64_u32_e32 v[16:17], v1
	s_wait_xcnt 0x0
	s_ashr_i32 s1, s7, 31
	s_not_b32 s2, s16
	v_and_b32_e32 v32, 0x7f, v29
	s_lshr_b32 s3, s1, 27
	s_add_co_i32 s1, s5, s2
	v_and_b32_e32 v20, 0x7f, v20
	v_dual_add_nc_u32 v21, 8, v43 :: v_dual_add_nc_u32 v22, 16, v43
	v_dual_add_nc_u32 v23, 24, v43 :: v_dual_lshlrev_b32 v1, 2, v58
	s_delay_alu instid0(VALU_DEP_3) | instskip(NEXT) | instid1(VALU_DEP_3)
	v_dual_mov_b32 v45, 0 :: v_dual_min_i32 v20, s1, v20
	v_dual_add_nc_u32 v24, 32, v43 :: v_dual_min_i32 v25, s1, v21
	s_delay_alu instid0(VALU_DEP_4) | instskip(NEXT) | instid1(VALU_DEP_3)
	v_min_i32_e32 v27, s1, v22
	v_dual_min_num_f64 v[4:5], v[4:5], v[2:3] :: v_dual_ashrrev_i32 v26, 31, v20
	v_min_i32_e32 v28, s1, v23
	v_dual_min_num_f64 v[6:7], v[6:7], v[2:3] :: v_dual_min_i32 v32, s1, v32
	v_bitop3_b32 v34, v29, 64, 0x7f bitop3:0x6c
	s_delay_alu instid0(VALU_DEP_4) | instskip(SKIP_1) | instid1(VALU_DEP_4)
	v_lshrrev_b32_e32 v26, 27, v26
	v_min_num_f64_e32 v[8:9], v[8:9], v[2:3]
	v_dual_add_nc_u32 v31, 40, v43 :: v_dual_ashrrev_i32 v35, 31, v32
	v_min_num_f64_e32 v[10:11], v[10:11], v[2:3]
	s_delay_alu instid0(VALU_DEP_4) | instskip(SKIP_2) | instid1(VALU_DEP_3)
	v_add_nc_u32_e32 v26, v20, v26
	v_dual_min_num_f64 v[12:13], v[12:13], v[2:3] :: v_dual_lshlrev_b32 v37, 2, v20
	v_min_num_f64_e32 v[14:15], v[14:15], v[2:3]
	v_dual_ashrrev_i32 v26, 5, v26 :: v_dual_min_i32 v33, s1, v31
	v_min_num_f64_e32 v[16:17], v[16:17], v[2:3]
	v_dual_min_num_f64 v[2:3], v[18:19], v[2:3] :: v_dual_bitop2_b32 v18, 3, v0 bitop3:0x40
	s_delay_alu instid0(VALU_DEP_3) | instskip(SKIP_1) | instid1(VALU_DEP_3)
	v_dual_lshrrev_b32 v35, 29, v35 :: v_dual_lshlrev_b32 v26, 2, v26
	v_dual_add_nc_u32 v19, 48, v43 :: v_dual_min_i32 v34, s1, v34
	v_cmp_gt_u32_e32 vcc_lo, 2, v18
	s_delay_alu instid0(VALU_DEP_3) | instskip(NEXT) | instid1(VALU_DEP_4)
	v_dual_add_nc_u32 v35, v32, v35 :: v_dual_min_i32 v30, s1, v24
	v_add3_u32 v26, v26, v37, 0x6e40
	s_delay_alu instid0(VALU_DEP_4)
	v_dual_ashrrev_i32 v38, 31, v34 :: v_dual_add_nc_u32 v39, 56, v43
	v_add_nc_u32_e32 v37, 0x60, v58
	s_ashr_i32 s0, s4, 31
	v_cvt_i32_f64_e32 v4, v[4:5]
	s_lshr_b32 s0, s0, 24
	v_bfe_u32 v42, v0, 5, 5
	s_add_co_i32 s0, s4, s0
	v_cvt_i32_f64_e32 v6, v[6:7]
	s_add_co_i32 s4, s7, s3
	s_ashr_i32 s7, s0, 8
	v_cvt_i32_f64_e32 v8, v[8:9]
	s_ashr_i32 s0, s4, 5
	v_bfe_u32 v132, v0, 3, 7
	v_cvt_i32_f64_e32 v10, v[10:11]
	v_and_b32_e32 v11, 4, v1
	v_add_nc_u32_e32 v36, 0xfe, v18
	v_cvt_i32_f64_e32 v12, v[12:13]
	v_cvt_i32_f64_e32 v13, v[14:15]
	v_lshlrev_b32_e32 v14, 2, v18
	v_mul_lo_u32 v90, v20, s7
	v_and_b32_e32 v36, 0xff, v36
	v_ashrrev_i32_e32 v9, 3, v35
	v_mul_lo_u32 v92, v32, s7
	v_mul_lo_u32 v94, v34, s7
	s_mul_i32 s2, s7, s16
	s_delay_alu instid0(VALU_DEP_3)
	v_dual_cndmask_b32 v5, v36, v18, vcc_lo :: v_dual_lshlrev_b32 v9, 2, v9
	v_cvt_i32_f64_e32 v15, v[16:17]
	v_and_b32_e32 v16, 63, v29
	v_cvt_i32_f64_e32 v17, v[2:3]
	v_cmp_lt_u32_e32 vcc_lo, 1, v18
	v_add3_u32 v9, v9, v14, 0x6200
	v_dual_mov_b32 v3, v45 :: v_dual_bitop2_b32 v29, 31, v0 bitop3:0x40
	v_dual_cndmask_b32 v67, 0, v11, vcc_lo :: v_dual_bitop2_b32 v2, s15, v16 bitop3:0x54
	v_lshlrev_b32_e32 v11, 4, v32
	v_mul_lo_u32 v73, s0, v4
	v_lshlrev_b32_e32 v147, 1, v5
	v_mul_lo_u32 v75, s0, v6
	s_delay_alu instid0(VALU_DEP_4)
	v_dual_lshlrev_b32 v6, 7, v21 :: v_dual_add_nc_u32 v9, v9, v11
	s_clause 0x1
	scratch_store_b32 off, v26, off
	scratch_store_b32 off, v58, off offset:188
	s_wait_xcnt 0x1
	v_lshrrev_b32_e32 v26, 29, v38
	v_mul_lo_u32 v77, s0, v8
	v_mul_lo_u32 v79, s0, v10
	v_lshlrev_b32_e32 v4, 7, v43
	v_mul_lo_u32 v81, s0, v12
	v_add_nc_u32_e32 v7, v34, v26
	v_lshlrev_b32_e32 v26, 4, v34
	v_min_i32_e32 v35, s17, v2
	v_and_b32_e32 v2, 28, v1
	v_mul_lo_u32 v83, s0, v13
	v_ashrrev_i32_e32 v7, 3, v7
	v_dual_lshlrev_b32 v13, 7, v31 :: v_dual_lshlrev_b32 v36, 2, v42
	s_wait_kmcnt 0x0
	v_add_nc_u64_e32 v[52:53], s[10:11], v[2:3]
	v_min_i32_e32 v3, s1, v43
	v_lshlrev_b32_e32 v7, 2, v7
	v_mul_lo_u32 v85, s0, v15
	v_mul_lo_u32 v87, s0, v17
	v_dual_add_nc_u32 v15, 64, v58 :: v_dual_lshlrev_b32 v17, 7, v39
	s_delay_alu instid0(VALU_DEP_4)
	v_add3_u32 v7, v7, v14, 0x6200
	v_lshl_or_b32 v14, v16, 4, v14
	v_lshl_or_b32 v16, v29, 2, 0x4200
	v_mad_u32 v29, v35, s0, v18
	v_cmp_ne_u32_e64 s0, 0, v18
	v_add_nc_u32_e32 v7, v7, v26
	v_add_nc_u32_e32 v71, 0x6a40, v14
	v_dual_add_nc_u32 v14, 32, v58 :: v_dual_lshlrev_b32 v141, 5, v31
	s_delay_alu instid0(VALU_DEP_4) | instskip(NEXT) | instid1(VALU_DEP_2)
	v_add_co_ci_u32_e64 v0, null, 0, v5, s0
	v_dual_add_nc_u32 v95, v16, v4 :: v_dual_lshrrev_b32 v89, 3, v14
	s_delay_alu instid0(VALU_DEP_2) | instskip(SKIP_2) | instid1(VALU_DEP_4)
	v_dual_lshlrev_b32 v144, 4, v14 :: v_dual_lshlrev_b32 v54, 2, v0
	v_mov_b32_e32 v55, v45
	v_mad_u32 v0, 0x84, v3, v1
	v_and_b32_e32 v38, 60, v89
	scratch_store_b32 off, v29, off offset:4 ; 4-byte Folded Spill
	s_wait_xcnt 0x0
	v_lshlrev_b32_e32 v29, 7, v19
	v_lshrrev_b32_e32 v35, 3, v15
	scratch_store_b32 off, v9, off offset:8 ; 4-byte Folded Spill
	v_mul_lo_u32 v14, v3, s7
	v_lshlrev_b32_e32 v8, 7, v22
	s_wait_xcnt 0x0
	v_dual_add_nc_u32 v123, v16, v6 :: v_dual_bitop2_b32 v9, 60, v35 bitop3:0x40
	v_lshlrev_b32_e32 v142, 5, v19
	scratch_store_b32 off, v0, off offset:16 ; 4-byte Folded Spill
	s_wait_xcnt 0x0
	v_mad_u32 v0, 0x84, v25, v1
	scratch_store_b32 off, v7, off offset:12 ; 4-byte Folded Spill
	s_wait_xcnt 0x0
	v_lshrrev_b32_e32 v7, 3, v37
	v_dual_add_nc_u32 v129, v16, v13 :: v_dual_add_nc_u32 v125, v16, v8
	v_dual_lshlrev_b32 v143, 5, v39 :: v_dual_min_i32 v6, s1, v39
	s_delay_alu instid0(VALU_DEP_3)
	v_and_b32_e32 v4, 60, v7
	v_add_min_i32_e64 v5, 0x50, v43, s1
	scratch_store_b64 off, v[14:15], off offset:80 ; 8-byte Folded Spill
	s_wait_xcnt 0x0
	v_mul_lo_u32 v14, v25, s7
	v_cndmask_b32_e64 v2, 0, 1, vcc_lo
	v_add3_u32 v136, v1, v4, 0x6e40
	v_min_i32_e32 v4, s1, v19
	v_add3_u32 v135, v1, v9, 0x6e40
	v_add_min_i32_e64 v9, 0x60, v43, s1
	v_dual_mov_b32 v57, v45 :: v_dual_lshlrev_b32 v56, 2, v2
	s_delay_alu instid0(VALU_DEP_4)
	v_mad_u32 v8, 0x84, v4, v1
	scratch_store_b32 off, v0, off offset:20 ; 4-byte Folded Spill
	s_wait_xcnt 0x0
	v_mad_u32 v0, 0x84, v27, v1
	v_mul_lo_u32 v4, v4, s7
	v_add_min_i32_e64 v2, 0x48, v43, s1
	v_dual_lshlrev_b32 v10, 7, v23 :: v_dual_lshlrev_b32 v12, 7, v24
	scratch_store_b64 off, v[14:15], off offset:88 ; 8-byte Folded Spill
	s_wait_xcnt 0x0
	v_mul_lo_u32 v14, v27, s7
	v_add_min_i32_e64 v11, 0x70, v43, s1
	v_dual_add_nc_u32 v127, v16, v10 :: v_dual_add_nc_u32 v128, v16, v12
	scratch_store_b32 off, v8, off offset:40 ; 4-byte Folded Spill
	s_wait_xcnt 0x0
	v_mad_u32 v8, 0x84, v6, v1
	scratch_store_b32 off, v0, off offset:24 ; 4-byte Folded Spill
	s_wait_xcnt 0x0
	v_mad_u32 v0, 0x84, v28, v1
	scratch_store_b64 off, v[4:5], off offset:128 ; 8-byte Folded Spill
	s_wait_xcnt 0x0
	v_mul_lo_u32 v4, v6, s7
	v_add_min_i32_e64 v10, 0x68, v43, s1
	scratch_store_b64 off, v[14:15], off offset:96 ; 8-byte Folded Spill
	s_wait_xcnt 0x0
	v_mul_lo_u32 v14, v28, s7
	v_add_min_i32_e64 v12, 0x78, v43, s1
	v_mul_lo_u32 v86, v11, s7
	v_mul_lo_u32 v84, v10, s7
	v_dual_add_nc_u32 v130, v16, v29 :: v_dual_lshlrev_b32 v138, 5, v22
	scratch_store_b32 off, v0, off offset:28 ; 4-byte Folded Spill
	s_wait_xcnt 0x0
	v_mad_u32 v0, 0x84, v30, v1
	v_mul_lo_u32 v88, v12, s7
	v_dual_add_nc_u32 v131, v16, v17 :: v_dual_lshlrev_b32 v139, 5, v23
	scratch_store_b64 off, v[14:15], off offset:104 ; 8-byte Folded Spill
	s_wait_xcnt 0x0
	v_mul_lo_u32 v14, v30, s7
	scratch_store_b32 off, v8, off offset:44 ; 4-byte Folded Spill
	v_add3_u32 v133, v36, v1, 0x6e40
	v_add3_u32 v134, v1, v38, 0x6e40
	v_dual_lshlrev_b32 v137, 5, v21 :: v_dual_lshlrev_b32 v140, 5, v24
	scratch_store_b32 off, v0, off offset:32 ; 4-byte Folded Spill
	s_wait_xcnt 0x0
	v_mad_u32 v0, 0x84, v33, v1
	s_movk_i32 s4, 0x1080
	v_dual_lshlrev_b32 v145, 4, v15 :: v_dual_lshlrev_b32 v146, 4, v37
	scratch_store_b64 off, v[14:15], off offset:112 ; 8-byte Folded Spill
	s_wait_xcnt 0x0
	v_mul_lo_u32 v14, v33, s7
	s_movk_i32 s5, 0x2100
	s_movk_i32 s17, 0x3180
	v_dual_lshlrev_b32 v164, 2, v1 :: v_dual_lshlrev_b32 v165, 2, v35
	v_mov_b64_e32 v[50:51], 0
	scratch_store_b32 off, v0, off offset:36 ; 4-byte Folded Spill
	s_wait_xcnt 0x0
	v_add_min_i32_e64 v0, v43, 64, s1
	v_mov_b64_e32 v[38:39], 0
	v_mov_b64_e32 v[30:31], 0
	;; [unrolled: 1-line block ×4, first 2 shown]
	v_mad_u32 v8, 0x84, v0, v1
	v_mul_lo_u32 v0, v0, s7
	v_mov_b64_e32 v[36:37], 0
	v_mov_b64_e32 v[28:29], 0
	;; [unrolled: 1-line block ×9, first 2 shown]
	s_clause 0x1
	scratch_store_b32 off, v8, off offset:48
	scratch_store_b64 off, v[14:15], off offset:120
	s_wait_xcnt 0x1
	v_mad_u32 v8, 0x84, v2, v1
	scratch_store_b64 off, v[0:1], off offset:144 ; 8-byte Folded Spill
	s_wait_xcnt 0x0
	v_mul_lo_u32 v0, v2, s7
	v_mov_b64_e32 v[24:25], 0
	v_mov_b64_e32 v[16:17], 0
	s_ashr_i32 s3, s2, 31
	v_and_b32_e32 v44, 0x7c, v1
	v_dual_lshlrev_b32 v166, 2, v7 :: v_dual_lshlrev_b32 v171, 2, v132
	v_mul_u32_u24_e32 v167, 0x84, v58
	v_mad_u32_u24 v168, 0x84, v58, s4
	s_clause 0x1
	scratch_store_b32 off, v8, off offset:52
	scratch_store_b64 off, v[4:5], off offset:136
	s_wait_xcnt 0x1
	v_mad_u32 v8, 0x84, v5, v1
	scratch_store_b64 off, v[0:1], off offset:152 ; 8-byte Folded Spill
	s_wait_xcnt 0x0
	v_mul_lo_u32 v0, v5, s7
	v_mad_u32_u24 v169, 0x84, v58, s5
	v_mad_u32_u24 v170, 0x84, v58, s17
	v_lshlrev_b32_e32 v172, 2, v89
	s_mul_u64 s[2:3], s[2:3], 0x90
	s_delay_alu instid0(SALU_CYCLE_1)
	s_add_nc_u64 s[2:3], s[8:9], s[2:3]
	scratch_store_b32 off, v8, off offset:56 ; 4-byte Folded Spill
	s_wait_xcnt 0x0
	v_add_min_i32_e64 v8, 0x58, v43, s1
	scratch_store_b64 off, v[0:1], off offset:160 ; 8-byte Folded Spill
	s_mov_b32 s1, 0
	s_delay_alu instid0(SALU_CYCLE_1)
	s_mov_b32 s0, s1
	v_mad_u32 v13, 0x84, v8, v1
	s_wait_xcnt 0x0
	v_mul_lo_u32 v0, v8, s7
	scratch_store_b32 off, v13, off offset:60 ; 4-byte Folded Spill
	s_wait_xcnt 0x0
	v_mad_u32 v13, 0x84, v9, v1
	scratch_store_b64 off, v[0:1], off offset:168 ; 8-byte Folded Spill
	s_wait_xcnt 0x0
	v_mul_lo_u32 v0, v9, s7
	scratch_store_b32 off, v13, off offset:64 ; 4-byte Folded Spill
	s_wait_xcnt 0x0
	v_mad_u32 v13, 0x84, v10, v1
	s_clause 0x1
	scratch_store_b64 off, v[0:1], off offset:176
	scratch_store_b32 off, v13, off offset:68
	s_wait_xcnt 0x0
	v_mad_u32 v13, 0x84, v11, v1
	scratch_store_b32 off, v13, off offset:72 ; 4-byte Folded Spill
	s_wait_xcnt 0x0
	v_mad_u32 v13, 0x84, v12, v1
	s_clause 0x1
	scratch_store_b32 off, v43, off offset:184
	scratch_store_b32 off, v13, off offset:76
.LBB172_5:                              ; =>This Loop Header: Depth=1
                                        ;     Child Loop BB172_6 Depth 2
                                        ;     Child Loop BB172_8 Depth 2
	s_clause 0x2
	scratch_load_b64 v[12:13], off, off offset:112
	scratch_load_b64 v[14:15], off, off offset:120
	;; [unrolled: 1-line block ×3, first 2 shown]
	s_mul_u64 s[4:5], s[0:1], 0x90
	s_clause 0x3
	scratch_load_b64 v[4:5], off, off offset:80
	scratch_load_b64 v[6:7], off, off offset:88
	;; [unrolled: 1-line block ×4, first 2 shown]
	s_add_nc_u64 s[4:5], s[2:3], s[4:5]
	s_mov_b32 s9, 0
	v_mad_nc_u64_u32 v[0:1], 0x90, v42, s[4:5]
	v_mad_nc_i64_i32 v[2:3], 0x90, v92, s[4:5]
	s_delay_alu instid0(VALU_DEP_2)
	v_mad_nc_i64_i32 v[110:111], 0x90, v84, v[0:1]
	s_wait_loadcnt 0x6
	v_mad_nc_i64_i32 v[12:13], 0x90, v12, v[0:1]
	s_wait_loadcnt 0x5
	v_mad_nc_i64_i32 v[14:15], 0x90, v14, v[0:1]
	s_wait_loadcnt 0x4
	v_mad_nc_i64_i32 v[96:97], 0x90, v58, v[0:1]
	scratch_load_b64 v[58:59], off, off offset:136 ; 8-byte Folded Reload
	s_wait_loadcnt 0x4
	v_mad_nc_i64_i32 v[4:5], 0x90, v4, v[0:1]
	s_wait_loadcnt 0x3
	v_mad_nc_i64_i32 v[6:7], 0x90, v6, v[0:1]
	;; [unrolled: 2-line block ×4, first 2 shown]
	v_add_nc_u64_e32 v[12:13], v[12:13], v[44:45]
	v_add_nc_u64_e32 v[14:15], v[14:15], v[44:45]
	;; [unrolled: 1-line block ×7, first 2 shown]
	s_wait_loadcnt 0x0
	v_mad_nc_i64_i32 v[98:99], 0x90, v58, v[0:1]
	scratch_load_b64 v[58:59], off, off offset:144 ; 8-byte Folded Reload
	v_add_nc_u64_e32 v[98:99], v[98:99], v[44:45]
	s_wait_loadcnt 0x0
	v_mad_nc_i64_i32 v[100:101], 0x90, v58, v[0:1]
	scratch_load_b64 v[58:59], off, off offset:152 ; 8-byte Folded Reload
	s_wait_loadcnt 0x0
	v_mad_nc_i64_i32 v[102:103], 0x90, v58, v[0:1]
	scratch_load_b64 v[58:59], off, off offset:160 ; 8-byte Folded Reload
	;; [unrolled: 3-line block ×4, first 2 shown]
	s_wait_loadcnt 0x0
	s_clause 0x7
	global_load_b32 v59, v[4:5], off offset:16
	global_load_b32 v114, v[6:7], off offset:16
	;; [unrolled: 1-line block ×8, first 2 shown]
	s_wait_xcnt 0x6
	v_mad_nc_i64_i32 v[6:7], 0x90, v94, s[4:5]
	s_wait_xcnt 0x1
	v_mad_nc_i64_i32 v[96:97], 0x90, v90, s[4:5]
	v_add_nc_u64_e32 v[8:9], v[102:103], v[44:45]
	v_add_nc_u64_e32 v[102:103], v[2:3], v[54:55]
	;; [unrolled: 1-line block ×4, first 2 shown]
	s_lshl_b32 s4, s0, 3
	v_mad_nc_i64_i32 v[12:13], 0x90, v86, v[0:1]
	v_add_nc_u64_e32 v[14:15], v[106:107], v[44:45]
	v_add_nc_u64_e32 v[4:5], v[100:101], v[44:45]
	;; [unrolled: 1-line block ×5, first 2 shown]
	s_clause 0x4
	global_load_b32 v121, v[96:97], off
	global_load_b32 v122, v[102:103], off offset:4
	global_load_b32 v124, v[2:3], off offset:4
	;; [unrolled: 1-line block ×4, first 2 shown]
	scratch_load_b32 v3, off, off offset:4  ; 4-byte Folded Reload
	v_add_nc_u32_e32 v106, s4, v132
	v_add_nc_u64_e32 v[12:13], v[12:13], v[44:45]
	s_mov_b32 s5, -1
	v_mad_nc_i64_i32 v[108:109], 0x90, v58, v[0:1]
	v_mad_nc_i64_i32 v[0:1], 0x90, v88, v[0:1]
	s_delay_alu instid0(VALU_DEP_2) | instskip(NEXT) | instid1(VALU_DEP_2)
	v_add_nc_u64_e32 v[98:99], v[108:109], v[44:45]
	v_add_nc_u64_e32 v[0:1], v[0:1], v[44:45]
	s_wait_loadcnt 0x0
	v_dual_add_nc_u32 v97, s4, v3 :: v_dual_add_nc_u32 v96, v106, v77
	v_dual_add_nc_u32 v108, v106, v83 :: v_dual_add_nc_u32 v2, v106, v73
	s_wait_xcnt 0x1
	v_dual_add_nc_u32 v6, v106, v75 :: v_dual_add_nc_u32 v107, v106, v81
	s_delay_alu instid0(VALU_DEP_3) | instskip(SKIP_2) | instid1(VALU_DEP_4)
	v_mad_nc_i64_i32 v[102:103], v96, 36, v[52:53]
	v_add_nc_u32_e32 v96, v106, v79
	v_mad_nc_i64_i32 v[2:3], v2, 36, v[52:53]
	v_mad_nc_i64_i32 v[6:7], v6, 36, v[52:53]
	v_dual_add_nc_u32 v110, v106, v85 :: v_dual_add_nc_u32 v112, v106, v87
	s_delay_alu instid0(VALU_DEP_4) | instskip(SKIP_2) | instid1(VALU_DEP_4)
	v_mad_nc_i64_i32 v[104:105], v96, 36, v[52:53]
	v_mad_nc_i64_i32 v[106:107], v107, 36, v[52:53]
	;; [unrolled: 1-line block ×5, first 2 shown]
	s_clause 0x7
	global_load_b32 v96, v[4:5], off offset:16
	global_load_b32 v174, v[8:9], off offset:16
	;; [unrolled: 1-line block ×8, first 2 shown]
	s_wait_xcnt 0x0
	v_mad_nc_u64_u32 v[0:1], v97, 36, s[10:11]
	s_clause 0x8
	global_load_b32 v4, v[2:3], off offset:4
	global_load_b32 v5, v[6:7], off offset:4
	;; [unrolled: 1-line block ×8, first 2 shown]
	global_load_b32 v14, v[0:1], off
	s_wait_xcnt 0x0
	v_ashrrev_i32_e32 v0, v67, v122
	v_dual_ashrrev_i32 v2, v147, v124 :: v_dual_ashrrev_i32 v3, v147, v173
	v_ashrrev_i32_e32 v1, v67, v126
	s_delay_alu instid0(VALU_DEP_3) | instskip(NEXT) | instid1(VALU_DEP_2)
	v_and_b32_e32 v0, 0xf0f0f0f, v0
	v_and_b32_e32 v1, 0xf0f0f0f, v1
	s_delay_alu instid0(VALU_DEP_2)
	v_and_or_b32 v0, 0x30303030, v2, v0
	scratch_load_b32 v2, off, off offset:16 ; 4-byte Folded Reload
	v_and_or_b32 v1, 0x30303030, v3, v1
	s_wait_loadcnt 0x0
	ds_store_b32 v2, v59
	scratch_load_b32 v2, off, off offset:20 ; 4-byte Folded Reload
	s_wait_loadcnt 0x0
	ds_store_b32 v2, v114
	scratch_load_b32 v2, off, off offset:24 ; 4-byte Folded Reload
	;; [unrolled: 3-line block ×15, first 2 shown]
	s_wait_loadcnt 0x0
	ds_store_b32 v2, v180
	scratch_load_b32 v2, off, off           ; 4-byte Folded Reload
	s_wait_loadcnt 0x0
	ds_store_b32 v2, v121
	ds_store_b32 v95, v4
	;; [unrolled: 1-line block ×9, first 2 shown]
	scratch_load_b32 v2, off, off offset:8  ; 4-byte Folded Reload
	s_wait_loadcnt 0x0
	ds_store_b32 v2, v0
	scratch_load_b32 v0, off, off offset:12 ; 4-byte Folded Reload
	s_wait_loadcnt 0x0
	ds_store_b32 v0, v1
	ds_store_b32 v71, v14
	s_wait_storecnt_dscnt 0x0
	s_barrier_signal -1
	s_barrier_wait -1
	ds_load_b32 v1, v133
	ds_load_b32 v3, v134 offset:128
	ds_load_b32 v5, v135 offset:256
	;; [unrolled: 1-line block ×3, first 2 shown]
	s_wait_dscnt 0x3
	v_cvt_f32_f16_e32 v0, v1
	v_lshrrev_b32_e32 v1, 16, v1
	s_wait_dscnt 0x2
	v_cvt_f32_f16_e32 v2, v3
	v_lshrrev_b32_e32 v3, 16, v3
	s_wait_dscnt 0x1
	v_cvt_f32_f16_e32 v4, v5
	s_wait_dscnt 0x0
	v_dual_lshrrev_b32 v5, 16, v5 :: v_dual_lshrrev_b32 v7, 16, v6
	v_cvt_f32_f16_e32 v6, v6
	v_cvt_f32_f16_e32 v8, v1
	;; [unrolled: 1-line block ×3, first 2 shown]
	s_delay_alu instid0(VALU_DEP_4) | instskip(SKIP_4) | instid1(VALU_DEP_4)
	v_cvt_f32_f16_e32 v12, v5
	v_cvt_f32_f16_e32 v14, v7
	v_dual_mov_b32 v1, v0 :: v_dual_mov_b32 v3, v2
	v_dual_mov_b32 v5, v4 :: v_dual_mov_b32 v7, v6
	;; [unrolled: 1-line block ×4, first 2 shown]
.LBB172_6:                              ;   Parent Loop BB172_5 Depth=1
                                        ; =>  This Inner Loop Header: Depth=2
	s_lshl_b32 s8, s9, 1
	s_lshr_b32 s17, s9, 2
	v_or_b32_e32 v59, s8, v63
	s_lshl_b32 s9, s9, 2
	s_addk_co_i32 s17, 0x6200
	s_and_b32 vcc_lo, exec_lo, s5
	s_mov_b32 s5, 0
	v_lshlrev_b32_e32 v96, 2, v59
	ds_load_b128 v[98:101], v96 offset:16896
	ds_load_b128 v[102:105], v96 offset:16912
	;; [unrolled: 1-line block ×4, first 2 shown]
	v_add_nc_u32_e32 v96, s9, v167
	ds_load_2addr_b32 v[118:119], v96 offset1:1
	ds_load_2addr_b32 v[116:117], v96 offset0:2 offset1:3
	s_wait_dscnt 0x5
	s_set_vgpr_msb 64                       ;  msbs: dst=1 src0=0 src1=0 src2=0
	v_bfe_i32 v45 /*v301*/, v98, 0, 8
	v_bfe_i32 v49 /*v305*/, v98, 8, 8
	s_wait_dscnt 0x3
	v_bfe_i32 v153 /*v409*/, v108, 0, 8
	v_bfe_i32 v154 /*v410*/, v108, 8, 8
	;; [unrolled: 1-line block ×3, first 2 shown]
	v_dual_ashrrev_i32 v174 /*v430*/, 24, v108 :: v_dual_ashrrev_i32 v172 /*v428*/, 24, v109
	s_wait_dscnt 0x2
	v_bfe_i32 v157 /*v413*/, v112, 0, 8
	v_bfe_i32 v158 /*v414*/, v112, 8, 8
	;; [unrolled: 1-line block ×3, first 2 shown]
	v_dual_ashrrev_i32 v169 /*v425*/, 24, v112 :: v_dual_ashrrev_i32 v167 /*v423*/, 24, v113
	v_bfe_i32 v159 /*v415*/, v113, 0, 8
	v_bfe_i32 v160 /*v416*/, v113, 8, 8
	;; [unrolled: 1-line block ×6, first 2 shown]
	v_dual_ashrrev_i32 v165 /*v421*/, 24, v114 :: v_dual_ashrrev_i32 v161 /*v417*/, 24, v115
	v_bfe_i32 v43 /*v299*/, v115, 0, 8
	v_bfe_i32 v42 /*v298*/, v115, 8, 8
	s_set_vgpr_msb 0                        ;  msbs: dst=0 src0=0 src1=0 src2=0
	v_bfe_i32 v108, v115, 16, 8
	ds_load_2addr_b32 v[112:113], v96 offset0:4 offset1:5
	ds_load_2addr_b32 v[114:115], v96 offset0:6 offset1:7
	s_wait_dscnt 0x3
	v_and_b32_e32 v121, 15, v118
	s_set_vgpr_msb 64                       ;  msbs: dst=1 src0=0 src1=0 src2=0
	v_bfe_i32 v48 /*v304*/, v98, 16, 8
	v_ashrrev_i32_e32 v66 /*v322*/, 24, v98
	s_set_vgpr_msb 0                        ;  msbs: dst=0 src0=0 src1=0 src2=0
	v_ashrrev_i32_e32 v110, 24, v105
	s_set_vgpr_msb 64                       ;  msbs: dst=1 src0=0 src1=0 src2=0
	v_lshrrev_b32_e32 v155 /*v411*/, 1, v59
	s_set_vgpr_msb 4                        ;  msbs: dst=0 src0=0 src1=1 src2=0
	v_mul_i32_i24_e32 v98, v121, v45 /*v301*/
	v_bfe_u32 v120, v118, 8, 4
	s_set_vgpr_msb 64                       ;  msbs: dst=1 src0=0 src1=0 src2=0
	v_bfe_u32 v108 /*v364*/, v118, 16, 4
	v_bfe_u32 v109 /*v365*/, v118, 24, 4
	v_bfe_i32 v50 /*v306*/, v99, 0, 8
	v_bfe_i32 v51 /*v307*/, v99, 8, 8
	;; [unrolled: 1-line block ×3, first 2 shown]
	v_dual_ashrrev_i32 v53 /*v309*/, 24, v99 :: v_dual_ashrrev_i32 v57 /*v313*/, 24, v100
	v_bfe_i32 v54 /*v310*/, v100, 0, 8
	v_bfe_i32 v55 /*v311*/, v100, 8, 8
	;; [unrolled: 1-line block ×3, first 2 shown]
	s_set_vgpr_msb 5                        ;  msbs: dst=0 src0=1 src1=1 src2=0
	v_mul_i32_i24_e32 v99, v108 /*v364*/, v48 /*v304*/
	v_mul_i32_i24_e32 v100, v109 /*v365*/, v66 /*v322*/
	s_set_vgpr_msb 4                        ;  msbs: dst=0 src0=0 src1=1 src2=0
	v_mad_i32_i24 v98, v120, v49 /*v305*/, v98
	s_set_vgpr_msb 64                       ;  msbs: dst=1 src0=0 src1=0 src2=0
	v_dual_lshrrev_b32 v139 /*v395*/, 28, v118 :: v_dual_bitop2_b32 v110 /*v366*/, 15, v119 bitop3:0x40
	v_bfe_u32 v111 /*v367*/, v119, 8, 4
	v_bfe_u32 v112 /*v368*/, v119, 16, 4
	s_set_vgpr_msb 0                        ;  msbs: dst=0 src0=0 src1=0 src2=0
	v_add3_u32 v98, v98, v99, v100
	s_set_vgpr_msb 5                        ;  msbs: dst=0 src0=1 src1=1 src2=0
	v_mul_i32_i24_e32 v99, v110 /*v366*/, v50 /*v306*/
	s_set_vgpr_msb 64                       ;  msbs: dst=1 src0=0 src1=0 src2=0
	v_bfe_u32 v113 /*v369*/, v119, 24, 4
	s_set_vgpr_msb 5                        ;  msbs: dst=0 src0=1 src1=1 src2=0
	v_mul_i32_i24_e32 v100, v111 /*v367*/, v51 /*v307*/
	s_set_vgpr_msb 64                       ;  msbs: dst=1 src0=0 src1=0 src2=0
	v_bfe_i32 v58 /*v314*/, v101, 0, 8
	v_bfe_i32 v59 /*v315*/, v101, 8, 8
	;; [unrolled: 1-line block ×3, first 2 shown]
	v_dual_ashrrev_i32 v61 /*v317*/, 24, v101 :: v_dual_ashrrev_i32 v65 /*v321*/, 24, v102
	v_bfe_i32 v62 /*v318*/, v102, 0, 8
	v_bfe_i32 v63 /*v319*/, v102, 8, 8
	;; [unrolled: 1-line block ×3, first 2 shown]
	s_set_vgpr_msb 5                        ;  msbs: dst=0 src0=1 src1=1 src2=0
	v_mul_i32_i24_e32 v101, v112 /*v368*/, v52 /*v308*/
	v_mul_i32_i24_e32 v102, v113 /*v369*/, v53 /*v309*/
	s_set_vgpr_msb 0                        ;  msbs: dst=0 src0=0 src1=0 src2=0
	v_add3_u32 v98, v98, v100, v99
	s_wait_dscnt 0x2
	s_set_vgpr_msb 64                       ;  msbs: dst=1 src0=0 src1=0 src2=0
	v_dual_lshrrev_b32 v131 /*v387*/, 28, v119 :: v_dual_bitop2_b32 v114 /*v370*/, 15, v116 bitop3:0x40
	v_bfe_u32 v115 /*v371*/, v116, 8, 4
	v_bfe_u32 v116 /*v372*/, v116, 16, 4
	s_set_vgpr_msb 0                        ;  msbs: dst=0 src0=0 src1=0 src2=0
	v_add3_u32 v98, v98, v101, v102
	s_set_vgpr_msb 5                        ;  msbs: dst=0 src0=1 src1=1 src2=0
	v_mul_i32_i24_e32 v99, v114 /*v370*/, v54 /*v310*/
	s_set_vgpr_msb 64                       ;  msbs: dst=1 src0=0 src1=0 src2=0
	v_bfe_u32 v117 /*v373*/, v116, 24, 4
	s_set_vgpr_msb 5                        ;  msbs: dst=0 src0=1 src1=1 src2=0
	v_mul_i32_i24_e32 v100, v115 /*v371*/, v55 /*v311*/
	v_mul_i32_i24_e32 v101, v116 /*v372*/, v56 /*v312*/
	s_set_vgpr_msb 64                       ;  msbs: dst=1 src0=0 src1=0 src2=0
	v_dual_lshrrev_b32 v132 /*v388*/, 28, v116 :: v_dual_bitop2_b32 v118 /*v374*/, 15, v117 bitop3:0x40
	s_set_vgpr_msb 5                        ;  msbs: dst=0 src0=1 src1=1 src2=0
	v_mul_i32_i24_e32 v102, v117 /*v373*/, v57 /*v313*/
	s_set_vgpr_msb 0                        ;  msbs: dst=0 src0=0 src1=0 src2=0
	v_add3_u32 v98, v98, v100, v99
	s_set_vgpr_msb 64                       ;  msbs: dst=1 src0=0 src1=0 src2=0
	v_bfe_u32 v119 /*v375*/, v117, 8, 4
	s_set_vgpr_msb 5                        ;  msbs: dst=0 src0=1 src1=1 src2=0
	v_mul_i32_i24_e32 v99, v118 /*v374*/, v58 /*v314*/
	s_set_vgpr_msb 64                       ;  msbs: dst=1 src0=0 src1=0 src2=0
	v_bfe_u32 v120 /*v376*/, v117, 16, 4
	v_bfe_u32 v121 /*v377*/, v117, 24, 4
	s_set_vgpr_msb 0                        ;  msbs: dst=0 src0=0 src1=0 src2=0
	v_add3_u32 v98, v98, v101, v102
	s_set_vgpr_msb 5                        ;  msbs: dst=0 src0=1 src1=1 src2=0
	v_mul_i32_i24_e32 v100, v119 /*v375*/, v59 /*v315*/
	s_wait_dscnt 0x1
	s_set_vgpr_msb 64                       ;  msbs: dst=1 src0=0 src1=0 src2=0
	v_dual_lshrrev_b32 v133 /*v389*/, 28, v117 :: v_dual_bitop2_b32 v122 /*v378*/, 15, v112 bitop3:0x40
	s_set_vgpr_msb 5                        ;  msbs: dst=0 src0=1 src1=1 src2=0
	v_mul_i32_i24_e32 v101, v120 /*v376*/, v60 /*v316*/
	v_mul_i32_i24_e32 v102, v121 /*v377*/, v61 /*v317*/
	s_set_vgpr_msb 0                        ;  msbs: dst=0 src0=0 src1=0 src2=0
	v_add3_u32 v98, v98, v100, v99
	s_set_vgpr_msb 64                       ;  msbs: dst=1 src0=0 src1=0 src2=0
	v_bfe_u32 v123 /*v379*/, v112, 8, 4
	s_set_vgpr_msb 5                        ;  msbs: dst=0 src0=1 src1=1 src2=0
	v_mul_i32_i24_e32 v99, v122 /*v378*/, v62 /*v318*/
	s_set_vgpr_msb 64                       ;  msbs: dst=1 src0=0 src1=0 src2=0
	v_bfe_u32 v124 /*v380*/, v112, 16, 4
	v_bfe_u32 v125 /*v381*/, v112, 24, 4
	s_set_vgpr_msb 0                        ;  msbs: dst=0 src0=0 src1=0 src2=0
	v_add3_u32 v98, v98, v101, v102
	s_set_vgpr_msb 5                        ;  msbs: dst=0 src0=1 src1=1 src2=0
	v_mul_i32_i24_e32 v100, v123 /*v379*/, v63 /*v319*/
	s_set_vgpr_msb 64                       ;  msbs: dst=1 src0=0 src1=0 src2=0
	v_bfe_i32 v67 /*v323*/, v103, 0, 8
	v_bfe_i32 v68 /*v324*/, v103, 8, 8
	s_set_vgpr_msb 5                        ;  msbs: dst=0 src0=1 src1=1 src2=0
	v_mul_i32_i24_e32 v101, v124 /*v380*/, v64 /*v320*/
	v_mul_i32_i24_e32 v102, v125 /*v381*/, v65 /*v321*/
	s_set_vgpr_msb 0                        ;  msbs: dst=0 src0=0 src1=0 src2=0
	v_add3_u32 v98, v98, v100, v99
	s_set_vgpr_msb 64                       ;  msbs: dst=1 src0=0 src1=0 src2=0
	v_bfe_u32 v126 /*v382*/, v113, 8, 4
	v_dual_lshrrev_b32 v134 /*v390*/, 28, v112 :: v_dual_bitop2_b32 v127 /*v383*/, 15, v113 bitop3:0x40
	v_bfe_i32 v69 /*v325*/, v103, 16, 8
	v_dual_ashrrev_i32 v70 /*v326*/, 24, v103 :: v_dual_ashrrev_i32 v76 /*v332*/, 24, v104
	s_set_vgpr_msb 0                        ;  msbs: dst=0 src0=0 src1=0 src2=0
	v_add3_u32 v98, v98, v101, v102
	s_set_vgpr_msb 5                        ;  msbs: dst=0 src0=1 src1=1 src2=0
	v_mul_i32_i24_e32 v99, v67 /*v323*/, v127 /*v383*/
	v_mul_i32_i24_e32 v100, v68 /*v324*/, v126 /*v382*/
	s_set_vgpr_msb 64                       ;  msbs: dst=1 src0=0 src1=0 src2=0
	v_bfe_u32 v128 /*v384*/, v113, 24, 4
	v_bfe_u32 v129 /*v385*/, v113, 16, 4
	v_bfe_i32 v71 /*v327*/, v104, 0, 8
	v_bfe_i32 v73 /*v329*/, v104, 8, 8
	s_set_vgpr_msb 0                        ;  msbs: dst=0 src0=0 src1=0 src2=0
	v_add3_u32 v98, v98, v100, v99
	s_set_vgpr_msb 5                        ;  msbs: dst=0 src0=1 src1=1 src2=0
	v_mul_i32_i24_e32 v101, v70 /*v326*/, v128 /*v384*/
	v_mul_i32_i24_e32 v102, v69 /*v325*/, v129 /*v385*/
	s_wait_dscnt 0x0
	s_set_vgpr_msb 64                       ;  msbs: dst=1 src0=0 src1=0 src2=0
	v_bfe_u32 v130 /*v386*/, v114, 8, 4
	v_dual_lshrrev_b32 v135 /*v391*/, 28, v113 :: v_dual_bitop2_b32 v137 /*v393*/, 15, v114 bitop3:0x40
	v_bfe_i32 v75 /*v331*/, v104, 16, 8
	s_set_vgpr_msb 0                        ;  msbs: dst=0 src0=0 src1=0 src2=0
	v_add3_u32 v98, v98, v102, v101
	s_set_vgpr_msb 5                        ;  msbs: dst=0 src0=1 src1=1 src2=0
	v_mul_i32_i24_e32 v99, v73 /*v329*/, v130 /*v386*/
	v_mul_i32_i24_e32 v96, v71 /*v327*/, v137 /*v393*/
	s_set_vgpr_msb 64                       ;  msbs: dst=1 src0=0 src1=0 src2=0
	v_bfe_u32 v138 /*v394*/, v114, 24, 4
	v_bfe_u32 v141 /*v397*/, v114, 16, 4
	v_bfe_i32 v74 /*v330*/, v105, 0, 8
	v_bfe_i32 v72 /*v328*/, v105, 8, 8
	s_set_vgpr_msb 0                        ;  msbs: dst=0 src0=0 src1=0 src2=0
	v_add3_u32 v96, v98, v99, v96
	s_set_vgpr_msb 5                        ;  msbs: dst=0 src0=1 src1=1 src2=0
	v_mul_i32_i24_e32 v100, v76 /*v332*/, v138 /*v394*/
	v_mul_i32_i24_e32 v101, v75 /*v331*/, v141 /*v397*/
	s_set_vgpr_msb 64                       ;  msbs: dst=1 src0=0 src1=0 src2=0
	v_dual_lshrrev_b32 v136 /*v392*/, 28, v114 :: v_dual_bitop2_b32 v144 /*v400*/, 15, v115 bitop3:0x40
	v_bfe_u32 v145 /*v401*/, v115, 8, 4
	s_set_vgpr_msb 0                        ;  msbs: dst=0 src0=0 src1=0 src2=0
	v_add3_u32 v59, s17, v171, v164
	v_add3_u32 v96, v96, v101, v100
	s_set_vgpr_msb 5                        ;  msbs: dst=0 src0=1 src1=1 src2=0
	v_mul_i32_i24_e32 v98, v144 /*v400*/, v74 /*v330*/
	s_set_vgpr_msb 0                        ;  msbs: dst=0 src0=0 src1=0 src2=0
	v_lshrrev_b32_e32 v101, 28, v115
	s_set_vgpr_msb 5                        ;  msbs: dst=0 src0=1 src1=1 src2=0
	v_mul_i32_i24_e32 v99, v145 /*v401*/, v72 /*v328*/
	s_set_vgpr_msb 64                       ;  msbs: dst=1 src0=0 src1=0 src2=0
	v_bfe_i32 v44 /*v300*/, v105, 16, 8
	v_bfe_i32 v150 /*v406*/, v106, 0, 8
	;; [unrolled: 1-line block ×4, first 2 shown]
	v_add3_u32 v185 /*v441*/, v96, v99, v98
	s_set_vgpr_msb 0                        ;  msbs: dst=0 src0=0 src1=0 src2=0
	v_lshrrev_b32_e32 v99, 4, v118
	ds_load_u16 v96, v59
	ds_load_u16 v59, v59 offset:8
	s_set_vgpr_msb 64                       ;  msbs: dst=1 src0=0 src1=0 src2=0
	v_dual_ashrrev_i32 v178 /*v434*/, 24, v106 :: v_dual_ashrrev_i32 v176 /*v432*/, 24, v107
	v_bfe_i32 v151 /*v407*/, v107, 0, 8
	s_set_vgpr_msb 0                        ;  msbs: dst=0 src0=0 src1=0 src2=0
	v_lshrrev_b16 v99, 8, v99
	s_set_vgpr_msb 64                       ;  msbs: dst=1 src0=0 src1=0 src2=0
	v_bfe_i32 v152 /*v408*/, v107, 8, 8
	v_bfe_i32 v175 /*v431*/, v107, 16, 8
	;; [unrolled: 1-line block ×4, first 2 shown]
	v_and_b32_e32 v148 /*v404*/, 15, v99
	s_set_vgpr_msb 0                        ;  msbs: dst=0 src0=0 src1=0 src2=0
	v_lshrrev_b32_e32 v99, 4, v119
	s_set_vgpr_msb 64                       ;  msbs: dst=1 src0=0 src1=0 src2=0
	v_bfe_i32 v171 /*v427*/, v109, 16, 8
	v_bfe_u32 v146 /*v402*/, v115, 16, 4
	v_bfe_u32 v147 /*v403*/, v115, 24, 4
	;; [unrolled: 1-line block ×3, first 2 shown]
	s_set_vgpr_msb 0                        ;  msbs: dst=0 src0=0 src1=0 src2=0
	v_lshrrev_b16 v99, 8, v99
	s_set_vgpr_msb 64                       ;  msbs: dst=1 src0=0 src1=0 src2=0
	v_bfe_u32 v142 /*v398*/, v115, 12, 4
	v_bfe_u32 v143 /*v399*/, v115, 20, 4
	s_set_vgpr_msb 0                        ;  msbs: dst=0 src0=0 src1=0 src2=0
	v_add3_u32 v100, s17, v172, v144
	s_wait_dscnt 0x1
	v_lshrrev_b16 v98, 8, v96
	s_set_vgpr_msb 64                       ;  msbs: dst=1 src0=0 src1=0 src2=0
	v_and_b32_e32 v190 /*v446*/, 15, v99
	s_set_vgpr_msb 0                        ;  msbs: dst=0 src0=0 src1=0 src2=0
	v_lshrrev_b32_e32 v99, 4, v116
	v_and_b32_e32 v103, 0xff, v96
	s_wait_dscnt 0x0
	v_cvt_f32_ubyte0_e32 v96, v59
	s_set_vgpr_msb 0x45                     ;  msbs: dst=1 src0=1 src1=1 src2=0
	v_mul_i32_i24_e32 v181 /*v437*/, v142 /*v398*/, v42 /*v298*/
	s_set_vgpr_msb 0x41                     ;  msbs: dst=1 src0=1 src1=0 src2=0
	v_mul_i32_i24_e32 v179 /*v435*/, v143 /*v399*/, v108
	s_set_vgpr_msb 0                        ;  msbs: dst=0 src0=0 src1=0 src2=0
	v_lshrrev_b16 v99, 8, v99
	s_set_vgpr_msb 0x41                     ;  msbs: dst=1 src0=1 src1=0 src2=0
	v_mul_i32_i24_e32 v184 /*v440*/, v147 /*v403*/, v110
	s_set_vgpr_msb 0x45                     ;  msbs: dst=1 src0=1 src1=1 src2=0
	v_mul_i32_i24_e32 v180 /*v436*/, v140 /*v396*/, v43 /*v299*/
	v_mul_i32_i24_e32 v183 /*v439*/, v146 /*v402*/, v44 /*v300*/
	s_set_vgpr_msb 1                        ;  msbs: dst=0 src0=1 src1=0 src2=0
	v_mul_i32_i24_e32 v70, v161 /*v417*/, v101
	s_set_vgpr_msb 64                       ;  msbs: dst=1 src0=0 src1=0 src2=0
	v_and_b32_e32 v189 /*v445*/, 15, v99
	s_set_vgpr_msb 0                        ;  msbs: dst=0 src0=0 src1=0 src2=0
	v_lshrrev_b32_e32 v99, 4, v117
	s_delay_alu instid0(VALU_DEP_1) | instskip(SKIP_1) | instid1(VALU_DEP_1)
	v_lshrrev_b16 v99, 8, v99
	s_set_vgpr_msb 64                       ;  msbs: dst=1 src0=0 src1=0 src2=0
	v_and_b32_e32 v188 /*v444*/, 15, v99
	s_set_vgpr_msb 0                        ;  msbs: dst=0 src0=0 src1=0 src2=0
	v_lshrrev_b32_e32 v99, 4, v112
	s_delay_alu instid0(VALU_DEP_1) | instskip(SKIP_1) | instid1(VALU_DEP_1)
	v_lshrrev_b16 v99, 8, v99
	;; [unrolled: 6-line block ×4, first 2 shown]
	s_set_vgpr_msb 64                       ;  msbs: dst=1 src0=0 src1=0 src2=0
	v_and_b32_e32 v182 /*v438*/, 15, v99
	s_set_vgpr_msb 0                        ;  msbs: dst=0 src0=0 src1=0 src2=0
	v_and_b32_e32 v99, 0xffff, v98
	v_cvt_f32_ubyte1_e32 v98, v59
	v_add_nc_u32_e32 v59, s9, v168
	ds_load_2addr_b32 v[104:105], v59 offset1:1
	ds_load_2addr_b32 v[232:233], v59 offset0:4 offset1:5
	ds_load_2addr_b32 v[240:241], v59 offset0:6 offset1:7
	s_wait_dscnt 0x2
	v_and_b32_e32 v126, 15, v104
	v_bfe_u32 v124, v104, 8, 4
	v_bfe_u32 v173, v104, 16, 4
	;; [unrolled: 1-line block ×3, first 2 shown]
	v_and_b32_e32 v175, 15, v105
	s_set_vgpr_msb 4                        ;  msbs: dst=0 src0=0 src1=1 src2=0
	v_mul_i32_i24_e32 v102, v126, v45 /*v301*/
	v_bfe_u32 v176, v105, 8, 4
	v_mul_i32_i24_e32 v106, v173, v48 /*v304*/
	v_mul_i32_i24_e32 v107, v174, v66 /*v322*/
	v_bfe_u32 v177, v105, 16, 4
	v_mad_i32_i24 v102, v124, v49 /*v305*/, v102
	v_bfe_u32 v178, v105, 24, 4
	s_wait_dscnt 0x1
	s_set_vgpr_msb 0                        ;  msbs: dst=0 src0=0 src1=0 src2=0
	v_dual_lshrrev_b32 v212, 28, v105 :: v_dual_bitop2_b32 v187, 15, v232 bitop3:0x40
	s_set_vgpr_msb 4                        ;  msbs: dst=0 src0=0 src1=1 src2=0
	v_mul_i32_i24_e32 v109, v177, v52 /*v308*/
	s_set_vgpr_msb 0                        ;  msbs: dst=0 src0=0 src1=0 src2=0
	v_add3_u32 v102, v102, v106, v107
	s_set_vgpr_msb 4                        ;  msbs: dst=0 src0=0 src1=1 src2=0
	v_mul_i32_i24_e32 v106, v175, v50 /*v306*/
	v_mul_i32_i24_e32 v107, v176, v51 /*v307*/
	;; [unrolled: 1-line block ×3, first 2 shown]
	v_bfe_u32 v188, v232, 8, 4
	v_bfe_u32 v189, v232, 16, 4
	;; [unrolled: 1-line block ×3, first 2 shown]
	s_set_vgpr_msb 0                        ;  msbs: dst=0 src0=0 src1=0 src2=0
	v_add3_u32 v102, v102, v107, v106
	ds_load_2addr_b32 v[106:107], v59 offset0:2 offset1:3
	v_bfe_u32 v191, v233, 8, 4
	v_dual_lshrrev_b32 v204, 28, v104 :: v_dual_bitop2_b32 v192, 15, v233 bitop3:0x40
	v_add3_u32 v102, v102, v109, v111
	v_bfe_u32 v193, v233, 24, 4
	v_bfe_u32 v194, v233, 16, 4
	s_wait_dscnt 0x1
	v_bfe_u32 v195, v240, 8, 4
	v_and_b32_e32 v196, 15, v240
	v_bfe_u32 v197, v240, 24, 4
	v_bfe_u32 v199, v240, 16, 4
	v_and_b32_e32 v203, 15, v241
	v_bfe_u32 v206, v241, 8, 4
	v_bfe_u32 v201, v104, 4, 4
	;; [unrolled: 1-line block ×4, first 2 shown]
	s_set_vgpr_msb 4                        ;  msbs: dst=0 src0=0 src1=1 src2=0
	v_mul_i32_i24_e32 v104, v204, v178 /*v434*/
	v_bfe_u32 v208, v105, 4, 4
	v_bfe_u32 v210, v105, 12, 4
	;; [unrolled: 1-line block ×3, first 2 shown]
	s_wait_dscnt 0x0
	s_set_vgpr_msb 0                        ;  msbs: dst=0 src0=0 src1=0 src2=0
	v_and_b32_e32 v179, 15, v106
	v_bfe_u32 v180, v106, 8, 4
	v_bfe_u32 v181, v106, 16, 4
	;; [unrolled: 1-line block ×3, first 2 shown]
	v_and_b32_e32 v183, 15, v107
	s_set_vgpr_msb 4                        ;  msbs: dst=0 src0=0 src1=1 src2=0
	v_mul_i32_i24_e32 v109, v179, v54 /*v310*/
	v_mul_i32_i24_e32 v111, v180, v55 /*v311*/
	;; [unrolled: 1-line block ×4, first 2 shown]
	v_bfe_u32 v184, v107, 8, 4
	v_bfe_u32 v185, v107, 16, 4
	s_set_vgpr_msb 0                        ;  msbs: dst=0 src0=0 src1=0 src2=0
	v_add3_u32 v102, v102, v111, v109
	s_set_vgpr_msb 4                        ;  msbs: dst=0 src0=0 src1=1 src2=0
	v_mul_i32_i24_e32 v109, v183, v58 /*v314*/
	v_bfe_u32 v186, v107, 24, 4
	v_mul_i32_i24_e32 v111, v184, v59 /*v315*/
	s_set_vgpr_msb 0                        ;  msbs: dst=0 src0=0 src1=0 src2=0
	v_lshrrev_b32_e32 v216, 28, v106
	v_add3_u32 v102, v102, v115, v122
	s_set_vgpr_msb 4                        ;  msbs: dst=0 src0=0 src1=1 src2=0
	v_mul_i32_i24_e32 v115, v185, v60 /*v316*/
	v_mul_i32_i24_e32 v122, v186, v61 /*v317*/
	s_set_vgpr_msb 1                        ;  msbs: dst=0 src0=1 src1=0 src2=0
	v_mul_i32_i24_e32 v59, v71 /*v327*/, v196
	v_lshrrev_b32_e32 v221, 28, v107
	s_set_vgpr_msb 0                        ;  msbs: dst=0 src0=0 src1=0 src2=0
	v_add3_u32 v102, v102, v111, v109
	s_set_vgpr_msb 4                        ;  msbs: dst=0 src0=0 src1=1 src2=0
	v_mul_i32_i24_e32 v109, v187, v62 /*v318*/
	v_mul_i32_i24_e32 v111, v188, v63 /*v319*/
	;; [unrolled: 1-line block ×4, first 2 shown]
	s_set_vgpr_msb 0                        ;  msbs: dst=0 src0=0 src1=0 src2=0
	v_add3_u32 v102, v102, v115, v122
	s_set_vgpr_msb 4                        ;  msbs: dst=0 src0=0 src1=1 src2=0
	v_mul_i32_i24_e32 v115, v189, v64 /*v320*/
	v_mul_i32_i24_e32 v122, v190, v65 /*v321*/
	v_bfe_u32 v213, v106, 4, 4
	v_bfe_u32 v214, v106, 12, 4
	s_set_vgpr_msb 0                        ;  msbs: dst=0 src0=0 src1=0 src2=0
	v_add3_u32 v102, v102, v111, v109
	s_set_vgpr_msb 1                        ;  msbs: dst=0 src0=1 src1=0 src2=0
	v_mul_i32_i24_e32 v109, v67 /*v323*/, v192
	v_mul_i32_i24_e32 v111, v68 /*v324*/, v191
	s_set_vgpr_msb 4                        ;  msbs: dst=0 src0=0 src1=1 src2=0
	v_bfe_u32 v211, v106, 20, 4
	v_mul_i32_i24_e32 v219, v213, v153 /*v409*/
	s_set_vgpr_msb 0                        ;  msbs: dst=0 src0=0 src1=0 src2=0
	v_add3_u32 v102, v102, v115, v122
	s_set_vgpr_msb 1                        ;  msbs: dst=0 src0=1 src1=0 src2=0
	v_mul_i32_i24_e32 v115, v70 /*v326*/, v193
	v_mul_i32_i24_e32 v122, v69 /*v325*/, v194
	s_set_vgpr_msb 4                        ;  msbs: dst=0 src0=0 src1=1 src2=0
	v_mul_i32_i24_e32 v222, v214, v154 /*v410*/
	v_mul_i32_i24_e32 v224, v211, v173 /*v429*/
	s_set_vgpr_msb 0                        ;  msbs: dst=0 src0=0 src1=0 src2=0
	v_add3_u32 v102, v102, v111, v109
	s_set_vgpr_msb 1                        ;  msbs: dst=0 src0=1 src1=0 src2=0
	v_mul_i32_i24_e32 v109, v73 /*v329*/, v195
	v_mul_i32_i24_e32 v111, v76 /*v332*/, v197
	s_set_vgpr_msb 4                        ;  msbs: dst=0 src0=0 src1=1 src2=0
	v_mul_i32_i24_e32 v106, v216, v174 /*v430*/
	v_bfe_u32 v218, v107, 4, 4
	s_set_vgpr_msb 0                        ;  msbs: dst=0 src0=0 src1=0 src2=0
	v_add3_u32 v102, v102, v122, v115
	s_set_vgpr_msb 1                        ;  msbs: dst=0 src0=1 src1=0 src2=0
	v_mul_i32_i24_e32 v115, v75 /*v331*/, v199
	s_set_vgpr_msb 4                        ;  msbs: dst=0 src0=0 src1=1 src2=0
	v_bfe_u32 v220, v107, 12, 4
	v_bfe_u32 v215, v107, 20, 4
	v_mul_i32_i24_e32 v227, v218, v156 /*v412*/
	s_set_vgpr_msb 0                        ;  msbs: dst=0 src0=0 src1=0 src2=0
	v_add3_u32 v59, v102, v109, v59
	s_set_vgpr_msb 4                        ;  msbs: dst=0 src0=0 src1=1 src2=0
	v_mul_i32_i24_e32 v109, v203, v74 /*v330*/
	v_mul_i32_i24_e32 v228, v220, v170 /*v426*/
	;; [unrolled: 1-line block ×4, first 2 shown]
	s_set_vgpr_msb 0                        ;  msbs: dst=0 src0=0 src1=0 src2=0
	v_add3_u32 v102, v59, v115, v111
	s_set_vgpr_msb 4                        ;  msbs: dst=0 src0=0 src1=1 src2=0
	v_mul_i32_i24_e32 v111, v206, v72 /*v328*/
	v_mul_i32_i24_e32 v115, v198, v177 /*v433*/
	v_bfe_u32 v223, v232, 4, 4
	v_bfe_u32 v225, v232, 12, 4
	s_set_vgpr_msb 0                        ;  msbs: dst=0 src0=0 src1=0 src2=0
	v_dual_lshrrev_b32 v226, 28, v232 :: v_dual_lshrrev_b32 v234, 28, v233
	s_set_vgpr_msb 64                       ;  msbs: dst=1 src0=0 src1=0 src2=0
	v_add3_u32 v192 /*v448*/, v102, v111, v109
	s_set_vgpr_msb 4                        ;  msbs: dst=0 src0=0 src1=1 src2=0
	ds_load_u16 v102, v100
	ds_load_u16 v109, v100 offset:8
	v_mul_i32_i24_e32 v238, v223, v157 /*v413*/
	v_mul_i32_i24_e32 v243, v225, v158 /*v414*/
	v_bfe_u32 v229, v232, 20, 4
	s_set_vgpr_msb 1                        ;  msbs: dst=0 src0=1 src1=0 src2=0
	v_mul_i32_i24_e32 v247, v169 /*v425*/, v226
	s_set_vgpr_msb 0                        ;  msbs: dst=0 src0=0 src1=0 src2=0
	v_bfe_u32 v231, v233, 4, 4
	v_bfe_u32 v232, v233, 12, 4
	v_bfe_u32 v235, v233, 20, 4
	s_set_vgpr_msb 1                        ;  msbs: dst=0 src0=1 src1=0 src2=0
	v_mul_i32_i24_e32 v248, v168 /*v424*/, v229
	v_mul_i32_i24_e32 v233, v167 /*v423*/, v234
	;; [unrolled: 1-line block ×5, first 2 shown]
	s_set_vgpr_msb 0                        ;  msbs: dst=0 src0=0 src1=0 src2=0
	v_bfe_u32 v236, v240, 4, 4
	v_bfe_u32 v237, v240, 12, 4
	v_dual_lshrrev_b32 v239, 28, v240 :: v_dual_lshrrev_b32 v105, 28, v241
	v_bfe_u32 v242, v240, 20, 4
	s_set_vgpr_msb 1                        ;  msbs: dst=0 src0=1 src1=0 src2=0
	v_mul_i32_i24_e32 v253, v162 /*v418*/, v236
	s_wait_dscnt 0x1
	v_lshrrev_b16 v111, 8, v102
	v_and_b32_e32 v122, 0xff, v102
	s_set_vgpr_msb 4                        ;  msbs: dst=0 src0=0 src1=1 src2=0
	v_mul_i32_i24_e32 v102, v201, v150 /*v406*/
	s_wait_dscnt 0x0
	v_cvt_f32_ubyte0_e32 v100, v109
	s_set_vgpr_msb 1                        ;  msbs: dst=0 src0=1 src1=0 src2=0
	v_mul_i32_i24_e32 v252, v163 /*v419*/, v237
	v_mul_i32_i24_e32 v240, v165 /*v421*/, v239
	;; [unrolled: 1-line block ×3, first 2 shown]
	s_set_vgpr_msb 4                        ;  msbs: dst=0 src0=0 src1=1 src2=0
	v_mad_i32_i24 v102, v200, v149 /*v405*/, v102
	v_bfe_u32 v207, v241, 16, 4
	v_bfe_u32 v209, v241, 24, 4
	;; [unrolled: 1-line block ×4, first 2 shown]
	s_set_vgpr_msb 0                        ;  msbs: dst=0 src0=0 src1=0 src2=0
	v_add3_u32 v102, v102, v115, v104
	s_set_vgpr_msb 4                        ;  msbs: dst=0 src0=0 src1=1 src2=0
	v_mul_i32_i24_e32 v104, v208, v151 /*v407*/
	v_mul_i32_i24_e32 v115, v210, v152 /*v408*/
	v_bfe_u32 v246, v241, 20, 4
	v_mul_i32_i24_e32 v255, v244, v43 /*v299*/
	s_set_vgpr_msb 0x44                     ;  msbs: dst=1 src0=0 src1=1 src2=0
	v_mul_i32_i24_e32 v0 /*v256*/, v245, v42 /*v298*/
	s_set_vgpr_msb 64                       ;  msbs: dst=1 src0=0 src1=0 src2=0
	v_mul_i32_i24_e32 v191 /*v447*/, v209, v110
	s_set_vgpr_msb 0                        ;  msbs: dst=0 src0=0 src1=0 src2=0
	v_add3_u32 v102, v102, v104, v115
	v_cvt_f32_ubyte1_e32 v104, v109
	s_set_vgpr_msb 64                       ;  msbs: dst=1 src0=0 src1=0 src2=0
	v_mul_i32_i24_e32 v193 /*v449*/, v246, v108
	s_set_vgpr_msb 4                        ;  msbs: dst=0 src0=0 src1=1 src2=0
	v_mul_i32_i24_e32 v59, v207, v44 /*v300*/
	s_set_vgpr_msb 0                        ;  msbs: dst=0 src0=0 src1=0 src2=0
	v_add3_u32 v102, v102, v205, v217
	s_set_vgpr_msb 17                       ;  msbs: dst=0 src0=1 src1=0 src2=1
	s_delay_alu instid0(VALU_DEP_2) | instskip(SKIP_1) | instid1(VALU_DEP_2)
	v_add3_u32 v59, v192 /*v448*/, v59, v191 /*v447*/
	s_set_vgpr_msb 0                        ;  msbs: dst=0 src0=0 src1=0 src2=0
	v_add3_u32 v102, v102, v219, v222
	s_delay_alu instid0(VALU_DEP_2) | instskip(NEXT) | instid1(VALU_DEP_2)
	v_mul_lo_u32 v59, v59, v122
	v_add3_u32 v102, v102, v224, v106
	v_add_nc_u32_e32 v106, s9, v169
	s_delay_alu instid0(VALU_DEP_2)
	v_add3_u32 v102, v102, v227, v228
	s_set_vgpr_msb 64                       ;  msbs: dst=1 src0=0 src1=0 src2=0
	ds_load_2addr_b32 v[18:19] /*v[274:275]*/, v106 offset1:1
	ds_load_2addr_b32 v[26:27] /*v[282:283]*/, v106 offset0:2 offset1:3
	ds_load_2addr_b32 v[34:35] /*v[290:291]*/, v106 offset0:4 offset1:5
	;; [unrolled: 1-line block ×3, first 2 shown]
	s_set_vgpr_msb 0                        ;  msbs: dst=0 src0=0 src1=0 src2=0
	v_add3_u32 v102, v102, v230, v107
	v_and_b32_e32 v107, 0xffff, v111
	s_delay_alu instid0(VALU_DEP_2) | instskip(NEXT) | instid1(VALU_DEP_1)
	v_add3_u32 v102, v102, v238, v243
	v_add3_u32 v102, v102, v248, v247
	s_delay_alu instid0(VALU_DEP_1)
	v_add3_u32 v102, v102, v250, v249
	s_wait_dscnt 0x3
	s_set_vgpr_msb 4                        ;  msbs: dst=0 src0=0 src1=1 src2=0
	v_and_b32_e32 v219, 15, v18 /*v274*/
	s_set_vgpr_msb 1                        ;  msbs: dst=0 src0=1 src1=0 src2=0
	v_bfe_u32 v217, v18 /*v274*/, 8, 4
	v_bfe_u32 v222, v18 /*v274*/, 16, 4
	;; [unrolled: 1-line block ×3, first 2 shown]
	s_set_vgpr_msb 4                        ;  msbs: dst=0 src0=0 src1=1 src2=0
	v_and_b32_e32 v227, 15, v19 /*v275*/
	v_mul_i32_i24_e32 v109, v219, v45 /*v301*/
	s_set_vgpr_msb 1                        ;  msbs: dst=0 src0=1 src1=0 src2=0
	v_bfe_u32 v228, v19 /*v275*/, 8, 4
	s_set_vgpr_msb 4                        ;  msbs: dst=0 src0=0 src1=1 src2=0
	v_mul_i32_i24_e32 v111, v222, v48 /*v304*/
	v_mul_i32_i24_e32 v115, v224, v66 /*v322*/
	s_set_vgpr_msb 0                        ;  msbs: dst=0 src0=0 src1=0 src2=0
	v_add3_u32 v102, v102, v251, v233
	s_set_vgpr_msb 4                        ;  msbs: dst=0 src0=0 src1=1 src2=0
	v_mad_i32_i24 v109, v217, v49 /*v305*/, v109
	s_set_vgpr_msb 1                        ;  msbs: dst=0 src0=1 src1=0 src2=0
	v_bfe_u32 v230, v19 /*v275*/, 16, 4
	v_bfe_u32 v233, v19 /*v275*/, 24, 4
	s_wait_dscnt 0x2
	v_bfe_u32 v241, v26 /*v282*/, 16, 4
	s_set_vgpr_msb 0                        ;  msbs: dst=0 src0=0 src1=0 src2=0
	v_add3_u32 v102, v102, v253, v252
	v_add3_u32 v109, v109, v111, v115
	s_set_vgpr_msb 4                        ;  msbs: dst=0 src0=0 src1=1 src2=0
	v_mul_i32_i24_e32 v111, v227, v50 /*v306*/
	v_mul_i32_i24_e32 v115, v228, v51 /*v307*/
	;; [unrolled: 1-line block ×4, first 2 shown]
	s_set_vgpr_msb 0                        ;  msbs: dst=0 src0=0 src1=0 src2=0
	v_add3_u32 v102, v102, v254, v240
	s_set_vgpr_msb 1                        ;  msbs: dst=0 src0=1 src1=0 src2=0
	v_bfe_u32 v240, v26 /*v282*/, 8, 4
	s_set_vgpr_msb 0                        ;  msbs: dst=0 src0=0 src1=0 src2=0
	v_add3_u32 v109, v109, v115, v111
	s_set_vgpr_msb 1                        ;  msbs: dst=0 src0=1 src1=0 src2=0
	v_bfe_u32 v243, v26 /*v282*/, 24, 4
	v_bfe_u32 v248, v27 /*v283*/, 8, 4
	;; [unrolled: 1-line block ×3, first 2 shown]
	s_set_vgpr_msb 4                        ;  msbs: dst=0 src0=0 src1=1 src2=0
	v_mul_i32_i24_e32 v115, v240, v55 /*v311*/
	s_set_vgpr_msb 0                        ;  msbs: dst=0 src0=0 src1=0 src2=0
	v_add3_u32 v109, v109, v205, v238
	s_set_vgpr_msb 4                        ;  msbs: dst=0 src0=0 src1=1 src2=0
	v_and_b32_e32 v238, 15, v26 /*v282*/
	v_mul_i32_i24_e32 v205, v241, v56 /*v312*/
	v_mul_i32_i24_e32 v247, v243, v57 /*v313*/
	s_set_vgpr_msb 1                        ;  msbs: dst=0 src0=1 src1=0 src2=0
	v_bfe_u32 v250, v27 /*v283*/, 24, 4
	s_wait_dscnt 0x1
	v_bfe_u32 v252, v34 /*v290*/, 8, 4
	s_set_vgpr_msb 4                        ;  msbs: dst=0 src0=0 src1=1 src2=0
	v_mul_i32_i24_e32 v111, v238, v54 /*v310*/
	s_set_vgpr_msb 1                        ;  msbs: dst=0 src0=1 src1=0 src2=0
	v_bfe_u32 v253, v34 /*v290*/, 16, 4
	v_bfe_u32 v254, v34 /*v290*/, 24, 4
	s_set_vgpr_msb 4                        ;  msbs: dst=0 src0=0 src1=1 src2=0
	v_mul_i32_i24_e32 v251, v250, v61 /*v317*/
	s_set_vgpr_msb 0x50                     ;  msbs: dst=1 src0=0 src1=0 src2=1
	v_add3_u32 v194 /*v450*/, v102, v255, v0 /*v256*/
	s_set_vgpr_msb 0                        ;  msbs: dst=0 src0=0 src1=0 src2=0
	v_add3_u32 v109, v109, v115, v111
	s_set_vgpr_msb 4                        ;  msbs: dst=0 src0=0 src1=1 src2=0
	v_mul_i32_i24_e32 v115, v248, v59 /*v315*/
	v_mul_i32_i24_e32 v255, v254, v65 /*v321*/
	s_set_vgpr_msb 0x44                     ;  msbs: dst=1 src0=0 src1=1 src2=0
	v_dual_lshrrev_b32 v12 /*v268*/, 28, v18 /*v274*/ :: v_dual_bitop2_b32 v0 /*v256*/, 15, v35 /*v291*/ bitop3:0x40
	s_set_vgpr_msb 0                        ;  msbs: dst=0 src0=0 src1=0 src2=0
	v_add3_u32 v109, v109, v205, v247
	s_set_vgpr_msb 4                        ;  msbs: dst=0 src0=0 src1=1 src2=0
	v_and_b32_e32 v247, 15, v27 /*v283*/
	v_mul_i32_i24_e32 v205, v249, v60 /*v316*/
	s_set_vgpr_msb 0x41                     ;  msbs: dst=1 src0=1 src1=0 src2=0
	v_bfe_u32 v1 /*v257*/, v35 /*v291*/, 24, 4
	v_bfe_u32 v2 /*v258*/, v35 /*v291*/, 16, 4
	s_wait_dscnt 0x0
	s_set_vgpr_msb 0x44                     ;  msbs: dst=1 src0=0 src1=1 src2=0
	v_and_b32_e32 v4 /*v260*/, 15, v46 /*v302*/
	s_set_vgpr_msb 4                        ;  msbs: dst=0 src0=0 src1=1 src2=0
	v_mul_i32_i24_e32 v111, v247, v58 /*v314*/
	s_set_vgpr_msb 0x45                     ;  msbs: dst=1 src0=1 src1=1 src2=0
	v_bfe_u32 v5 /*v261*/, v46 /*v302*/, 24, 4
	v_bfe_u32 v7 /*v263*/, v46 /*v302*/, 16, 4
	v_mul_i32_i24_e32 v3 /*v259*/, v69 /*v325*/, v2 /*v258*/
	s_set_vgpr_msb 5                        ;  msbs: dst=0 src0=1 src1=1 src2=0
	v_mul_i32_i24_e32 v106, v71 /*v327*/, v4 /*v260*/
	s_set_vgpr_msb 0                        ;  msbs: dst=0 src0=0 src1=0 src2=0
	v_add3_u32 v109, v109, v115, v111
	s_set_vgpr_msb 4                        ;  msbs: dst=0 src0=0 src1=1 src2=0
	v_mul_i32_i24_e32 v115, v252, v63 /*v319*/
	s_set_vgpr_msb 0x44                     ;  msbs: dst=1 src0=0 src1=1 src2=0
	v_dual_lshrrev_b32 v23 /*v279*/, 28, v26 /*v282*/ :: v_dual_bitop2_b32 v11 /*v267*/, 15, v47 /*v303*/ bitop3:0x40
	s_set_vgpr_msb 0x41                     ;  msbs: dst=1 src0=1 src1=0 src2=0
	v_bfe_u32 v13 /*v269*/, v47 /*v303*/, 8, 4
	s_set_vgpr_msb 0                        ;  msbs: dst=0 src0=0 src1=0 src2=0
	v_add3_u32 v109, v109, v205, v251
	s_set_vgpr_msb 4                        ;  msbs: dst=0 src0=0 src1=1 src2=0
	v_and_b32_e32 v251, 15, v34 /*v290*/
	v_mul_i32_i24_e32 v205, v253, v64 /*v320*/
	s_set_vgpr_msb 0                        ;  msbs: dst=0 src0=0 src1=0 src2=0
	v_add3_u32 v102, s17, v165, v145
	s_set_vgpr_msb 0x41                     ;  msbs: dst=1 src0=1 src1=0 src2=0
	v_bfe_u32 v9 /*v265*/, v18 /*v274*/, 4, 4
	v_bfe_u32 v6 /*v262*/, v18 /*v274*/, 20, 4
	s_set_vgpr_msb 4                        ;  msbs: dst=0 src0=0 src1=1 src2=0
	v_mul_i32_i24_e32 v111, v251, v62 /*v318*/
	s_set_vgpr_msb 0x45                     ;  msbs: dst=1 src0=1 src1=1 src2=0
	v_bfe_u32 v8 /*v264*/, v18 /*v274*/, 12, 4
	v_mul_i32_i24_e32 v10 /*v266*/, v12 /*v268*/, v178 /*v434*/
	v_bfe_u32 v15 /*v271*/, v19 /*v275*/, 4, 4
	v_bfe_u32 v17 /*v273*/, v19 /*v275*/, 12, 4
	s_set_vgpr_msb 0                        ;  msbs: dst=0 src0=0 src1=0 src2=0
	v_add3_u32 v109, v109, v115, v111
	s_set_vgpr_msb 5                        ;  msbs: dst=0 src0=1 src1=1 src2=0
	v_mul_i32_i24_e32 v111, v67 /*v323*/, v0 /*v256*/
	s_set_vgpr_msb 0x45                     ;  msbs: dst=1 src0=1 src1=1 src2=0
	v_bfe_u32 v20 /*v276*/, v26 /*v282*/, 4, 4
	v_mul_i32_i24_e32 v77 /*v333*/, v15 /*v271*/, v151 /*v407*/
	v_mul_i32_i24_e32 v78 /*v334*/, v17 /*v273*/, v152 /*v408*/
	s_set_vgpr_msb 0                        ;  msbs: dst=0 src0=0 src1=0 src2=0
	v_add3_u32 v109, v109, v205, v255
	s_set_vgpr_msb 5                        ;  msbs: dst=0 src0=1 src1=1 src2=0
	v_bfe_u32 v255, v35 /*v291*/, 8, 4
	v_mul_i32_i24_e32 v205, v70 /*v326*/, v1 /*v257*/
	s_set_vgpr_msb 0x45                     ;  msbs: dst=1 src0=1 src1=1 src2=0
	v_bfe_u32 v21 /*v277*/, v26 /*v282*/, 12, 4
	v_bfe_u32 v18 /*v274*/, v26 /*v282*/, 20, 4
	v_mul_i32_i24_e32 v81 /*v337*/, v20 /*v276*/, v153 /*v409*/
	s_set_vgpr_msb 1                        ;  msbs: dst=0 src0=1 src1=0 src2=0
	v_mul_i32_i24_e32 v115, v68 /*v324*/, v255
	s_set_vgpr_msb 0x45                     ;  msbs: dst=1 src0=1 src1=1 src2=0
	v_mul_i32_i24_e32 v84 /*v340*/, v23 /*v279*/, v174 /*v430*/
	v_mul_i32_i24_e32 v82 /*v338*/, v21 /*v277*/, v154 /*v410*/
	;; [unrolled: 1-line block ×3, first 2 shown]
	v_bfe_u32 v24 /*v280*/, v27 /*v283*/, 4, 4
	s_set_vgpr_msb 0                        ;  msbs: dst=0 src0=0 src1=0 src2=0
	v_add3_u32 v109, v109, v115, v111
	s_set_vgpr_msb 5                        ;  msbs: dst=0 src0=1 src1=1 src2=0
	v_mul_i32_i24_e32 v115, v76 /*v332*/, v5 /*v261*/
	s_set_vgpr_msb 0x45                     ;  msbs: dst=1 src0=1 src1=1 src2=0
	v_bfe_u32 v25 /*v281*/, v27 /*v283*/, 12, 4
	v_bfe_u32 v22 /*v278*/, v27 /*v283*/, 20, 4
	v_mul_i32_i24_e32 v85 /*v341*/, v24 /*v280*/, v156 /*v412*/
	s_set_vgpr_msb 4                        ;  msbs: dst=0 src0=0 src1=1 src2=0
	v_add3_u32 v109, v109, v3 /*v259*/, v205
	s_set_vgpr_msb 0x41                     ;  msbs: dst=1 src0=1 src1=0 src2=0
	v_bfe_u32 v3 /*v259*/, v46 /*v302*/, 8, 4
	s_set_vgpr_msb 5                        ;  msbs: dst=0 src0=1 src1=1 src2=0
	v_mul_i32_i24_e32 v205, v75 /*v331*/, v7 /*v263*/
	s_set_vgpr_msb 0x45                     ;  msbs: dst=1 src0=1 src1=1 src2=0
	v_mul_i32_i24_e32 v86 /*v342*/, v25 /*v281*/, v170 /*v426*/
	v_dual_lshrrev_b32 v26 /*v282*/, 28, v27 /*v283*/ :: v_dual_lshrrev_b32 v29 /*v285*/, 28, v34 /*v290*/
	s_set_vgpr_msb 5                        ;  msbs: dst=0 src0=1 src1=1 src2=0
	v_mul_i32_i24_e32 v111, v73 /*v329*/, v3 /*v259*/
	s_set_vgpr_msb 0x45                     ;  msbs: dst=1 src0=1 src1=1 src2=0
	v_mul_i32_i24_e32 v87 /*v343*/, v22 /*v278*/, v171 /*v427*/
	v_bfe_u32 v27 /*v283*/, v34 /*v290*/, 4, 4
	v_mul_i32_i24_e32 v88 /*v344*/, v26 /*v282*/, v172 /*v428*/
	v_bfe_u32 v28 /*v284*/, v34 /*v290*/, 12, 4
	s_set_vgpr_msb 0                        ;  msbs: dst=0 src0=0 src1=0 src2=0
	v_add3_u32 v106, v109, v111, v106
	s_set_vgpr_msb 5                        ;  msbs: dst=0 src0=1 src1=1 src2=0
	v_mul_i32_i24_e32 v109, v11 /*v267*/, v74 /*v330*/
	v_mul_i32_i24_e32 v111, v13 /*v269*/, v72 /*v328*/
	s_set_vgpr_msb 0x45                     ;  msbs: dst=1 src0=1 src1=1 src2=0
	v_mul_i32_i24_e32 v89 /*v345*/, v27 /*v283*/, v157 /*v413*/
	v_mul_i32_i24_e32 v90 /*v346*/, v28 /*v284*/, v158 /*v414*/
	s_set_vgpr_msb 0                        ;  msbs: dst=0 src0=0 src1=0 src2=0
	v_add3_u32 v106, v106, v205, v115
	s_set_vgpr_msb 0x45                     ;  msbs: dst=1 src0=1 src1=1 src2=0
	v_bfe_u32 v30 /*v286*/, v34 /*v290*/, 20, 4
	v_mul_i32_i24_e32 v91 /*v347*/, v169 /*v425*/, v29 /*v285*/
	v_bfe_u32 v31 /*v287*/, v35 /*v291*/, 4, 4
	v_bfe_u32 v32 /*v288*/, v35 /*v291*/, 12, 4
	s_set_vgpr_msb 64                       ;  msbs: dst=1 src0=0 src1=0 src2=0
	v_add3_u32 v197 /*v453*/, v106, v111, v109
	s_set_vgpr_msb 0                        ;  msbs: dst=0 src0=0 src1=0 src2=0
	ds_load_u16 v106, v102
	ds_load_u16 v115, v102 offset:8
	s_set_vgpr_msb 5                        ;  msbs: dst=0 src0=1 src1=1 src2=0
	v_mul_i32_i24_e32 v109, v6 /*v262*/, v177 /*v433*/
	s_set_vgpr_msb 0x45                     ;  msbs: dst=1 src0=1 src1=1 src2=0
	v_mul_i32_i24_e32 v92 /*v348*/, v168 /*v424*/, v30 /*v286*/
	v_mul_i32_i24_e32 v93 /*v349*/, v160 /*v416*/, v32 /*v288*/
	v_mul_i32_i24_e32 v94 /*v350*/, v159 /*v415*/, v31 /*v287*/
	v_dual_lshrrev_b32 v33 /*v289*/, 28, v35 /*v291*/ :: v_dual_lshrrev_b32 v37 /*v293*/, 28, v46 /*v302*/
	v_bfe_u32 v34 /*v290*/, v35 /*v291*/, 20, 4
	v_bfe_u32 v35 /*v291*/, v46 /*v302*/, 4, 4
	v_bfe_u32 v36 /*v292*/, v46 /*v302*/, 12, 4
	s_delay_alu instid0(VALU_DEP_4)
	v_mul_i32_i24_e32 v95 /*v351*/, v167 /*v423*/, v33 /*v289*/
	v_bfe_u32 v38 /*v294*/, v46 /*v302*/, 20, 4
	v_mul_i32_i24_e32 v96 /*v352*/, v166 /*v422*/, v34 /*v290*/
	v_mul_i32_i24_e32 v98 /*v354*/, v162 /*v418*/, v35 /*v291*/
	;; [unrolled: 1-line block ×5, first 2 shown]
	v_bfe_u32 v39 /*v295*/, v47 /*v303*/, 4, 4
	v_bfe_u32 v40 /*v296*/, v47 /*v303*/, 12, 4
	s_wait_dscnt 0x1
	s_set_vgpr_msb 0                        ;  msbs: dst=0 src0=0 src1=0 src2=0
	v_lshrrev_b16 v111, 8, v106
	v_and_b32_e32 v205, 0xff, v106
	s_set_vgpr_msb 5                        ;  msbs: dst=0 src0=1 src1=1 src2=0
	v_mul_i32_i24_e32 v106, v9 /*v265*/, v150 /*v406*/
	s_set_vgpr_msb 0x45                     ;  msbs: dst=1 src0=1 src1=1 src2=0
	v_mul_i32_i24_e32 v100 /*v356*/, v39 /*v295*/, v43 /*v299*/
	v_mul_i32_i24_e32 v101 /*v357*/, v40 /*v296*/, v42 /*v298*/
	v_bfe_u32 v14 /*v270*/, v47 /*v303*/, 16, 4
	v_bfe_u32 v16 /*v272*/, v47 /*v303*/, 24, 4
	s_set_vgpr_msb 5                        ;  msbs: dst=0 src0=1 src1=1 src2=0
	v_mad_i32_i24 v106, v8 /*v264*/, v149 /*v405*/, v106
	s_set_vgpr_msb 0x41                     ;  msbs: dst=1 src0=1 src1=0 src2=0
	v_bfe_u32 v41 /*v297*/, v47 /*v303*/, 20, 4
	s_wait_dscnt 0x0
	s_set_vgpr_msb 0                        ;  msbs: dst=0 src0=0 src1=0 src2=0
	v_cvt_f32_ubyte0_e32 v102, v115
	s_set_vgpr_msb 0x45                     ;  msbs: dst=1 src0=1 src1=1 src2=0
	v_mul_i32_i24_e32 v195 /*v451*/, v14 /*v270*/, v44 /*v300*/
	s_set_vgpr_msb 0x41                     ;  msbs: dst=1 src0=1 src1=0 src2=0
	v_mul_i32_i24_e32 v196 /*v452*/, v16 /*v272*/, v110
	s_set_vgpr_msb 16                       ;  msbs: dst=0 src0=0 src1=0 src2=1
	v_add3_u32 v106, v106, v109, v10 /*v266*/
	s_set_vgpr_msb 0x41                     ;  msbs: dst=1 src0=1 src1=0 src2=0
	v_bfe_u32 v10 /*v266*/, v19 /*v275*/, 20, 4
	s_set_vgpr_msb 0x44                     ;  msbs: dst=1 src0=0 src1=1 src2=0
	v_lshrrev_b32_e32 v19 /*v275*/, 28, v19 /*v275*/
	s_set_vgpr_msb 4                        ;  msbs: dst=0 src0=0 src1=1 src2=0
	v_lshrrev_b32_e32 v109, 28, v47 /*v303*/
	s_set_vgpr_msb 0x41                     ;  msbs: dst=1 src0=1 src1=0 src2=0
	v_mul_i32_i24_e32 v198 /*v454*/, v41 /*v297*/, v108
	s_set_vgpr_msb 20                       ;  msbs: dst=0 src0=0 src1=1 src2=1
	v_add3_u32 v106, v106, v77 /*v333*/, v78 /*v334*/
	s_set_vgpr_msb 0x45                     ;  msbs: dst=1 src0=1 src1=1 src2=0
	v_mul_i32_i24_e32 v79 /*v335*/, v10 /*v266*/, v175 /*v431*/
	v_mul_i32_i24_e32 v80 /*v336*/, v19 /*v275*/, v176 /*v432*/
	s_set_vgpr_msb 64                       ;  msbs: dst=1 src0=0 src1=0 src2=0
	v_add_nc_u32_e32 v77 /*v333*/, s9, v170
	s_set_vgpr_msb 0                        ;  msbs: dst=0 src0=0 src1=0 src2=0
	v_and_b32_e32 v111, 0xffff, v111
	s_mov_b32 s9, 8
	s_set_vgpr_msb 20                       ;  msbs: dst=0 src0=0 src1=1 src2=1
	v_add3_u32 v106, v106, v79 /*v335*/, v80 /*v336*/
	s_set_vgpr_msb 0x41                     ;  msbs: dst=1 src0=1 src1=0 src2=0
	ds_load_2addr_b32 v[204:205] /*v[460:461]*/, v77 /*v333*/ offset0:6 offset1:7
	s_set_vgpr_msb 20                       ;  msbs: dst=0 src0=0 src1=1 src2=1
	v_add3_u32 v106, v106, v81 /*v337*/, v82 /*v338*/
	s_delay_alu instid0(VALU_DEP_1) | instskip(NEXT) | instid1(VALU_DEP_1)
	v_add3_u32 v106, v106, v83 /*v339*/, v84 /*v340*/
	v_add3_u32 v106, v106, v85 /*v341*/, v86 /*v342*/
	s_set_vgpr_msb 0x41                     ;  msbs: dst=1 src0=1 src1=0 src2=0
	ds_load_2addr_b32 v[84:85] /*v[340:341]*/, v77 /*v333*/ offset1:1
	s_set_vgpr_msb 20                       ;  msbs: dst=0 src0=0 src1=1 src2=1
	v_add3_u32 v106, v106, v87 /*v343*/, v88 /*v344*/
	s_wait_dscnt 0x1
	s_set_vgpr_msb 0x41                     ;  msbs: dst=1 src0=1 src1=0 src2=0
	v_bfe_u32 v106 /*v362*/, v205 /*v461*/, 12, 4
	v_bfe_u32 v107 /*v363*/, v205 /*v461*/, 20, 4
	;; [unrolled: 1-line block ×4, first 2 shown]
	s_set_vgpr_msb 20                       ;  msbs: dst=0 src0=0 src1=1 src2=1
	v_add3_u32 v106, v106, v89 /*v345*/, v90 /*v346*/
	s_set_vgpr_msb 0x45                     ;  msbs: dst=1 src0=1 src1=1 src2=0
	v_mul_i32_i24_e32 v231 /*v487*/, v106 /*v362*/, v42 /*v298*/
	s_set_vgpr_msb 0x41                     ;  msbs: dst=1 src0=1 src1=0 src2=0
	v_mul_i32_i24_e32 v203 /*v459*/, v107 /*v363*/, v108
	v_mul_i32_i24_e32 v201 /*v457*/, v82 /*v338*/, v110
	s_set_vgpr_msb 0x45                     ;  msbs: dst=1 src0=1 src1=1 src2=0
	v_mul_i32_i24_e32 v228 /*v484*/, v163 /*v419*/, v102 /*v358*/
	s_set_vgpr_msb 20                       ;  msbs: dst=0 src0=0 src1=1 src2=1
	v_add3_u32 v106, v106, v92 /*v348*/, v91 /*v347*/
	s_set_vgpr_msb 0x41                     ;  msbs: dst=1 src0=1 src1=0 src2=0
	v_bfe_u32 v104 /*v360*/, v204 /*v460*/, 20, 4
	v_bfe_u32 v105 /*v361*/, v205 /*v461*/, 4, 4
	s_set_vgpr_msb 0x44                     ;  msbs: dst=1 src0=0 src1=1 src2=0
	v_dual_lshrrev_b32 v103 /*v359*/, 28, v204 /*v460*/ :: v_dual_lshrrev_b32 v42 /*v298*/, 28, v205 /*v461*/
	s_set_vgpr_msb 20                       ;  msbs: dst=0 src0=0 src1=1 src2=1
	v_add3_u32 v106, v106, v94 /*v350*/, v93 /*v349*/
	s_set_vgpr_msb 0x45                     ;  msbs: dst=1 src0=1 src1=1 src2=0
	ds_load_2addr_b32 v[92:93] /*v[348:349]*/, v77 /*v333*/ offset0:2 offset1:3
	v_mul_i32_i24_e32 v230 /*v486*/, v164 /*v420*/, v104 /*v360*/
	v_mul_i32_i24_e32 v43 /*v299*/, v105 /*v361*/, v43 /*v299*/
	s_set_vgpr_msb 20                       ;  msbs: dst=0 src0=0 src1=1 src2=1
	v_add3_u32 v106, v106, v96 /*v352*/, v95 /*v351*/
	s_delay_alu instid0(VALU_DEP_1) | instskip(NEXT) | instid1(VALU_DEP_1)
	v_add3_u32 v106, v106, v98 /*v354*/, v97 /*v353*/
	v_add3_u32 v106, v106, v99 /*v355*/, v46 /*v302*/
	s_set_vgpr_msb 0x54                     ;  msbs: dst=1 src0=0 src1=1 src2=1
	s_delay_alu instid0(VALU_DEP_1)
	v_add3_u32 v199 /*v455*/, v106, v100 /*v356*/, v101 /*v357*/
	s_set_vgpr_msb 0x41                     ;  msbs: dst=1 src0=1 src1=0 src2=0
	ds_load_2addr_b32 v[100:101] /*v[356:357]*/, v77 /*v333*/ offset0:4 offset1:5
	s_wait_dscnt 0x2
	s_set_vgpr_msb 0x44                     ;  msbs: dst=1 src0=0 src1=1 src2=0
	v_and_b32_e32 v46 /*v302*/, 15, v84 /*v340*/
	s_set_vgpr_msb 0x41                     ;  msbs: dst=1 src0=1 src1=0 src2=0
	v_bfe_u32 v47 /*v303*/, v84 /*v340*/, 16, 4
	s_wait_dscnt 0x1
	s_set_vgpr_msb 0x44                     ;  msbs: dst=1 src0=0 src1=1 src2=0
	v_lshrrev_b32_e32 v89 /*v345*/, 28, v92 /*v348*/
	s_set_vgpr_msb 0x55                     ;  msbs: dst=1 src0=1 src1=1 src2=1
	v_bfe_u32 v86 /*v342*/, v92 /*v348*/, 4, 4
	v_bfe_u32 v87 /*v343*/, v92 /*v348*/, 12, 4
	v_mul_i32_i24_e32 v78 /*v334*/, v46 /*v302*/, v45 /*v301*/
	v_bfe_u32 v45 /*v301*/, v84 /*v340*/, 8, 4
	v_mul_i32_i24_e32 v79 /*v335*/, v47 /*v303*/, v48 /*v304*/
	;; [unrolled: 2-line block ×3, first 2 shown]
	v_mul_i32_i24_e32 v213 /*v469*/, v87 /*v343*/, v154 /*v410*/
	v_mad_i32_i24 v49 /*v305*/, v45 /*v301*/, v49 /*v305*/, v78 /*v334*/
	v_mul_i32_i24_e32 v215 /*v471*/, v89 /*v345*/, v174 /*v430*/
	v_mul_i32_i24_e32 v66 /*v322*/, v48 /*v304*/, v66 /*v322*/
	v_bfe_u32 v90 /*v346*/, v93 /*v349*/, 4, 4
	v_bfe_u32 v91 /*v347*/, v93 /*v349*/, 12, 4
	;; [unrolled: 1-line block ×3, first 2 shown]
	s_set_vgpr_msb 0                        ;  msbs: dst=0 src0=0 src1=0 src2=0
	v_cvt_f32_ubyte1_e32 v106, v115
	s_set_vgpr_msb 0x55                     ;  msbs: dst=1 src0=1 src1=1 src2=1
	v_add3_u32 v66 /*v322*/, v49 /*v305*/, v79 /*v335*/, v66 /*v322*/
	s_wait_dscnt 0x0
	v_dual_lshrrev_b32 v95 /*v351*/, 28, v100 /*v356*/ :: v_dual_bitop2_b32 v49 /*v305*/, 15, v85 /*v341*/ bitop3:0x40
	v_lshrrev_b32_e32 v99 /*v355*/, 28, v101 /*v357*/
	v_mul_i32_i24_e32 v216 /*v472*/, v90 /*v346*/, v156 /*v412*/
	v_mul_i32_i24_e32 v217 /*v473*/, v91 /*v347*/, v170 /*v426*/
	s_delay_alu instid0(VALU_DEP_4)
	v_mul_i32_i24_e32 v78 /*v334*/, v49 /*v305*/, v50 /*v306*/
	v_bfe_u32 v50 /*v306*/, v85 /*v341*/, 8, 4
	v_mul_i32_i24_e32 v218 /*v474*/, v88 /*v344*/, v171 /*v427*/
	v_bfe_u32 v94 /*v350*/, v100 /*v356*/, 12, 4
	v_bfe_u32 v96 /*v352*/, v100 /*v356*/, 20, 4
	v_mul_i32_i24_e32 v222 /*v478*/, v169 /*v425*/, v95 /*v351*/
	v_mul_i32_i24_e32 v79 /*v335*/, v50 /*v306*/, v51 /*v307*/
	v_bfe_u32 v51 /*v307*/, v85 /*v341*/, 16, 4
	v_mul_i32_i24_e32 v221 /*v477*/, v94 /*v350*/, v158 /*v414*/
	v_mul_i32_i24_e32 v223 /*v479*/, v168 /*v424*/, v96 /*v352*/
	v_bfe_u32 v97 /*v353*/, v101 /*v357*/, 4, 4
	v_add3_u32 v66 /*v322*/, v66 /*v322*/, v79 /*v335*/, v78 /*v334*/
	v_mul_i32_i24_e32 v80 /*v336*/, v51 /*v307*/, v52 /*v308*/
	v_bfe_u32 v52 /*v308*/, v85 /*v341*/, 24, 4
	v_bfe_u32 v98 /*v354*/, v101 /*v357*/, 12, 4
	s_set_vgpr_msb 0                        ;  msbs: dst=0 src0=0 src1=0 src2=0
	v_add3_u32 v115, s17, v166, v146
	s_set_vgpr_msb 0x45                     ;  msbs: dst=1 src0=1 src1=1 src2=0
	v_mul_i32_i24_e32 v225 /*v481*/, v159 /*v415*/, v97 /*v353*/
	s_set_vgpr_msb 0                        ;  msbs: dst=0 src0=0 src1=0 src2=0
	ds_load_u16 v110, v115
	ds_load_u16 v115, v115 offset:8
	s_set_vgpr_msb 0x55                     ;  msbs: dst=1 src0=1 src1=1 src2=1
	v_mul_i32_i24_e32 v53 /*v309*/, v52 /*v308*/, v53 /*v309*/
	v_mul_i32_i24_e32 v224 /*v480*/, v160 /*v416*/, v98 /*v354*/
	;; [unrolled: 1-line block ×5, first 2 shown]
	v_add3_u32 v66 /*v322*/, v66 /*v322*/, v80 /*v336*/, v53 /*v309*/
	v_and_b32_e32 v53 /*v309*/, 15, v92 /*v348*/
	s_delay_alu instid0(VALU_DEP_1) | instskip(SKIP_1) | instid1(VALU_DEP_1)
	v_mul_i32_i24_e32 v78 /*v334*/, v53 /*v309*/, v54 /*v310*/
	v_bfe_u32 v54 /*v310*/, v92 /*v348*/, 8, 4
	v_mul_i32_i24_e32 v79 /*v335*/, v54 /*v310*/, v55 /*v311*/
	v_bfe_u32 v55 /*v311*/, v92 /*v348*/, 16, 4
	s_wait_dscnt 0x1
	s_set_vgpr_msb 64                       ;  msbs: dst=1 src0=0 src1=0 src2=0
	v_lshrrev_b16 v206 /*v462*/, 8, v110
	s_set_vgpr_msb 0x55                     ;  msbs: dst=1 src0=1 src1=1 src2=1
	v_add3_u32 v66 /*v322*/, v66 /*v322*/, v79 /*v335*/, v78 /*v334*/
	v_mul_i32_i24_e32 v80 /*v336*/, v55 /*v311*/, v56 /*v312*/
	v_bfe_u32 v56 /*v312*/, v92 /*v348*/, 24, 4
	s_delay_alu instid0(VALU_DEP_1) | instskip(NEXT) | instid1(VALU_DEP_1)
	v_mul_i32_i24_e32 v57 /*v313*/, v56 /*v312*/, v57 /*v313*/
	v_add3_u32 v66 /*v322*/, v66 /*v322*/, v80 /*v336*/, v57 /*v313*/
	v_and_b32_e32 v57 /*v313*/, 15, v93 /*v349*/
	s_delay_alu instid0(VALU_DEP_1) | instskip(SKIP_1) | instid1(VALU_DEP_1)
	v_mul_i32_i24_e32 v78 /*v334*/, v57 /*v313*/, v58 /*v314*/
	v_bfe_u32 v58 /*v314*/, v93 /*v349*/, 8, 4
	v_mul_i32_i24_e32 v79 /*v335*/, v58 /*v314*/, v59 /*v315*/
	v_bfe_u32 v59 /*v315*/, v93 /*v349*/, 16, 4
	s_delay_alu instid0(VALU_DEP_2) | instskip(NEXT) | instid1(VALU_DEP_2)
	v_add3_u32 v66 /*v322*/, v66 /*v322*/, v79 /*v335*/, v78 /*v334*/
	v_mul_i32_i24_e32 v80 /*v336*/, v59 /*v315*/, v60 /*v316*/
	v_bfe_u32 v60 /*v316*/, v93 /*v349*/, 24, 4
	s_delay_alu instid0(VALU_DEP_1) | instskip(NEXT) | instid1(VALU_DEP_1)
	v_mul_i32_i24_e32 v61 /*v317*/, v60 /*v316*/, v61 /*v317*/
	v_add3_u32 v66 /*v322*/, v66 /*v322*/, v80 /*v336*/, v61 /*v317*/
	v_and_b32_e32 v61 /*v317*/, 15, v100 /*v356*/
	s_delay_alu instid0(VALU_DEP_1) | instskip(SKIP_1) | instid1(VALU_DEP_1)
	v_mul_i32_i24_e32 v78 /*v334*/, v61 /*v317*/, v62 /*v318*/
	v_bfe_u32 v62 /*v318*/, v100 /*v356*/, 8, 4
	v_mul_i32_i24_e32 v79 /*v335*/, v62 /*v318*/, v63 /*v319*/
	v_bfe_u32 v63 /*v319*/, v100 /*v356*/, 16, 4
	s_delay_alu instid0(VALU_DEP_2) | instskip(NEXT) | instid1(VALU_DEP_2)
	v_add3_u32 v66 /*v322*/, v66 /*v322*/, v79 /*v335*/, v78 /*v334*/
	v_mul_i32_i24_e32 v80 /*v336*/, v63 /*v319*/, v64 /*v320*/
	v_bfe_u32 v64 /*v320*/, v100 /*v356*/, 24, 4
	s_delay_alu instid0(VALU_DEP_1) | instskip(NEXT) | instid1(VALU_DEP_1)
	v_mul_i32_i24_e32 v65 /*v321*/, v64 /*v320*/, v65 /*v321*/
	v_add3_u32 v78 /*v334*/, v66 /*v322*/, v80 /*v336*/, v65 /*v321*/
	v_bfe_u32 v65 /*v321*/, v101 /*v357*/, 8, 4
	v_and_b32_e32 v66 /*v322*/, 15, v101 /*v357*/
	s_delay_alu instid0(VALU_DEP_2) | instskip(NEXT) | instid1(VALU_DEP_2)
	v_mul_i32_i24_e32 v80 /*v336*/, v68 /*v324*/, v65 /*v321*/
	v_mul_i32_i24_e32 v79 /*v335*/, v67 /*v323*/, v66 /*v322*/
	v_bfe_u32 v67 /*v323*/, v101 /*v357*/, 24, 4
	v_bfe_u32 v68 /*v324*/, v101 /*v357*/, 16, 4
	s_delay_alu instid0(VALU_DEP_3) | instskip(NEXT) | instid1(VALU_DEP_3)
	v_add3_u32 v78 /*v334*/, v78 /*v334*/, v80 /*v336*/, v79 /*v335*/
	v_mul_i32_i24_e32 v70 /*v326*/, v70 /*v326*/, v67 /*v323*/
	s_delay_alu instid0(VALU_DEP_3) | instskip(SKIP_1) | instid1(VALU_DEP_2)
	v_mul_i32_i24_e32 v69 /*v325*/, v69 /*v325*/, v68 /*v324*/
	v_bfe_u32 v80 /*v336*/, v205 /*v461*/, 16, 4
	v_add3_u32 v78 /*v334*/, v78 /*v334*/, v69 /*v325*/, v70 /*v326*/
	v_bfe_u32 v69 /*v325*/, v204 /*v460*/, 8, 4
	v_and_b32_e32 v70 /*v326*/, 15, v204 /*v460*/
	s_delay_alu instid0(VALU_DEP_4)
	v_mul_i32_i24_e32 v200 /*v456*/, v80 /*v336*/, v44 /*v300*/
	s_set_vgpr_msb 64                       ;  msbs: dst=1 src0=0 src1=0 src2=0
	v_and_b32_e32 v44 /*v300*/, 0xff, v110
	s_wait_dscnt 0x0
	s_set_vgpr_msb 0                        ;  msbs: dst=0 src0=0 src1=0 src2=0
	v_cvt_f32_ubyte0_e32 v110, v115
	s_set_vgpr_msb 0x55                     ;  msbs: dst=1 src0=1 src1=1 src2=1
	v_mul_i32_i24_e32 v79 /*v335*/, v73 /*v329*/, v69 /*v325*/
	v_mul_i32_i24_e32 v77 /*v333*/, v71 /*v327*/, v70 /*v326*/
	v_bfe_u32 v71 /*v327*/, v204 /*v460*/, 24, 4
	v_bfe_u32 v73 /*v329*/, v204 /*v460*/, 16, 4
	s_delay_alu instid0(VALU_DEP_3) | instskip(NEXT) | instid1(VALU_DEP_3)
	v_add3_u32 v77 /*v333*/, v78 /*v334*/, v79 /*v335*/, v77 /*v333*/
	v_mul_i32_i24_e32 v76 /*v332*/, v76 /*v332*/, v71 /*v327*/
	s_delay_alu instid0(VALU_DEP_3) | instskip(SKIP_2) | instid1(VALU_DEP_3)
	v_mul_i32_i24_e32 v75 /*v331*/, v75 /*v331*/, v73 /*v329*/
	v_bfe_u32 v79 /*v335*/, v205 /*v461*/, 8, 4
	v_lshrrev_b32_e32 v78 /*v334*/, 28, v84 /*v340*/
	v_add3_u32 v75 /*v331*/, v77 /*v333*/, v75 /*v331*/, v76 /*v332*/
	v_and_b32_e32 v77 /*v333*/, 15, v205 /*v461*/
	s_delay_alu instid0(VALU_DEP_4) | instskip(NEXT) | instid1(VALU_DEP_4)
	v_mul_i32_i24_e32 v72 /*v328*/, v79 /*v335*/, v72 /*v328*/
	v_mul_i32_i24_e32 v83 /*v339*/, v78 /*v334*/, v178 /*v434*/
	s_delay_alu instid0(VALU_DEP_3) | instskip(NEXT) | instid1(VALU_DEP_1)
	v_mul_i32_i24_e32 v74 /*v330*/, v77 /*v333*/, v74 /*v330*/
	v_add3_u32 v202 /*v458*/, v75 /*v331*/, v72 /*v328*/, v74 /*v330*/
	v_bfe_u32 v75 /*v331*/, v84 /*v340*/, 4, 4
	v_bfe_u32 v72 /*v328*/, v84 /*v340*/, 20, 4
	;; [unrolled: 1-line block ×4, first 2 shown]
	v_lshrrev_b32_e32 v92 /*v348*/, 28, v93 /*v349*/
	v_mul_i32_i24_e32 v76 /*v332*/, v75 /*v331*/, v150 /*v406*/
	v_mul_i32_i24_e32 v81 /*v337*/, v72 /*v328*/, v177 /*v433*/
	v_bfe_u32 v93 /*v349*/, v100 /*v356*/, 4, 4
	v_mul_i32_i24_e32 v214 /*v470*/, v84 /*v340*/, v173 /*v429*/
	v_mul_i32_i24_e32 v219 /*v475*/, v92 /*v348*/, v172 /*v428*/
	v_mad_i32_i24 v76 /*v332*/, v74 /*v330*/, v149 /*v405*/, v76 /*v332*/
	v_bfe_u32 v100 /*v356*/, v101 /*v357*/, 20, 4
	v_mul_i32_i24_e32 v220 /*v476*/, v93 /*v349*/, v157 /*v413*/
	v_bfe_u32 v101 /*v357*/, v204 /*v460*/, 4, 4
	v_mul_i32_i24_e32 v204 /*v460*/, v165 /*v421*/, v103 /*v359*/
	v_add3_u32 v207 /*v463*/, v76 /*v332*/, v81 /*v337*/, v83 /*v339*/
	v_bfe_u32 v81 /*v337*/, v85 /*v341*/, 4, 4
	v_bfe_u32 v83 /*v339*/, v85 /*v341*/, 12, 4
	;; [unrolled: 1-line block ×3, first 2 shown]
	v_lshrrev_b32_e32 v85 /*v341*/, 28, v85 /*v341*/
	v_mul_i32_i24_e32 v227 /*v483*/, v166 /*v422*/, v100 /*v356*/
	v_mul_i32_i24_e32 v208 /*v464*/, v81 /*v337*/, v151 /*v407*/
	;; [unrolled: 1-line block ×7, first 2 shown]
	s_set_vgpr_msb 21                       ;  msbs: dst=0 src0=1 src1=1 src2=1
	v_add3_u32 v108, v207 /*v463*/, v208 /*v464*/, v209 /*v465*/
	s_set_vgpr_msb 0x45                     ;  msbs: dst=1 src0=1 src1=1 src2=0
	v_mul_i32_i24_e32 v165 /*v421*/, v136 /*v392*/, v165 /*v421*/
	s_set_vgpr_msb 20                       ;  msbs: dst=0 src0=0 src1=1 src2=1
	s_delay_alu instid0(VALU_DEP_2) | instskip(NEXT) | instid1(VALU_DEP_1)
	v_add3_u32 v108, v108, v210 /*v466*/, v211 /*v467*/
	v_add3_u32 v108, v108, v212 /*v468*/, v213 /*v469*/
	s_delay_alu instid0(VALU_DEP_1) | instskip(NEXT) | instid1(VALU_DEP_1)
	v_add3_u32 v108, v108, v214 /*v470*/, v215 /*v471*/
	v_add3_u32 v108, v108, v216 /*v472*/, v217 /*v473*/
	s_delay_alu instid0(VALU_DEP_1) | instskip(NEXT) | instid1(VALU_DEP_1)
	;; [unrolled: 3-line block ×4, first 2 shown]
	v_add3_u32 v108, v108, v227 /*v483*/, v226 /*v482*/
	v_add3_u32 v108, v108, v229 /*v485*/, v228 /*v484*/
	s_delay_alu instid0(VALU_DEP_1) | instskip(SKIP_1) | instid1(VALU_DEP_1)
	v_add3_u32 v108, v108, v230 /*v486*/, v204 /*v460*/
	s_set_vgpr_msb 0x54                     ;  msbs: dst=1 src0=0 src1=1 src2=1
	v_add3_u32 v204 /*v460*/, v108, v43 /*v299*/, v231 /*v487*/
	s_set_vgpr_msb 0                        ;  msbs: dst=0 src0=0 src1=0 src2=0
	v_cvt_f32_ubyte1_e32 v108, v115
	v_or_b32_e32 v115, s8, v137
	s_set_vgpr_msb 0x44                     ;  msbs: dst=1 src0=0 src1=1 src2=0
	v_and_b32_e32 v43 /*v299*/, 0xffff, v206 /*v462*/
	s_set_vgpr_msb 0x41                     ;  msbs: dst=1 src0=1 src1=0 src2=0
	s_delay_alu instid0(VALU_DEP_2)
	v_dual_lshlrev_b32 v205 /*v461*/, 2, v115 :: v_dual_lshrrev_b32 v222 /*v478*/, 1, v115
	ds_load_b128 v[206:209] /*v[462:465]*/, v205 /*v461*/ offset:16896
	ds_load_b128 v[210:213] /*v[466:469]*/, v205 /*v461*/ offset:16912
	;; [unrolled: 1-line block ×4, first 2 shown]
	s_wait_dscnt 0x3
	v_bfe_i32 v205 /*v461*/, v206 /*v462*/, 0, 8
	v_bfe_i32 v223 /*v479*/, v206 /*v462*/, 8, 8
	;; [unrolled: 1-line block ×3, first 2 shown]
	s_set_vgpr_msb 0x44                     ;  msbs: dst=1 src0=0 src1=1 src2=0
	v_ashrrev_i32_e32 v206 /*v462*/, 24, v206 /*v462*/
	s_set_vgpr_msb 0x41                     ;  msbs: dst=1 src0=1 src1=0 src2=0
	v_bfe_i32 v225 /*v481*/, v207 /*v463*/, 0, 8
	s_set_vgpr_msb 1                        ;  msbs: dst=0 src0=1 src1=0 src2=0
	v_mul_i32_i24_e32 v115, v205 /*v461*/, v121
	s_set_vgpr_msb 0x41                     ;  msbs: dst=1 src0=1 src1=0 src2=0
	v_bfe_i32 v226 /*v482*/, v207 /*v463*/, 8, 8
	v_bfe_i32 v227 /*v483*/, v207 /*v463*/, 16, 8
	s_set_vgpr_msb 0x45                     ;  msbs: dst=1 src0=1 src1=1 src2=0
	v_ashrrev_i32_e32 v207 /*v463*/, 24, v207 /*v463*/
	v_mul_i32_i24_e32 v246 /*v502*/, v224 /*v480*/, v108 /*v364*/
	v_mul_i32_i24_e32 v247 /*v503*/, v206 /*v462*/, v109 /*v365*/
	s_set_vgpr_msb 1                        ;  msbs: dst=0 src0=1 src1=0 src2=0
	v_mad_i32_i24 v115, v223 /*v479*/, v120, v115
	s_set_vgpr_msb 0x45                     ;  msbs: dst=1 src0=1 src1=1 src2=0
	v_bfe_i32 v228 /*v484*/, v208 /*v464*/, 0, 8
	v_bfe_i32 v229 /*v485*/, v208 /*v464*/, 8, 8
	v_mul_i32_i24_e32 v248 /*v504*/, v227 /*v483*/, v112 /*v368*/
	v_mul_i32_i24_e32 v249 /*v505*/, v207 /*v463*/, v113 /*v369*/
	s_set_vgpr_msb 20                       ;  msbs: dst=0 src0=0 src1=1 src2=1
	v_add3_u32 v115, v115, v246 /*v502*/, v247 /*v503*/
	s_set_vgpr_msb 0x45                     ;  msbs: dst=1 src0=1 src1=1 src2=0
	v_mul_i32_i24_e32 v246 /*v502*/, v225 /*v481*/, v110 /*v366*/
	v_mul_i32_i24_e32 v247 /*v503*/, v226 /*v482*/, v111 /*v367*/
	v_bfe_i32 v230 /*v486*/, v208 /*v464*/, 16, 8
	v_ashrrev_i32_e32 v208 /*v464*/, 24, v208 /*v464*/
	v_mul_i32_i24_e32 v250 /*v506*/, v228 /*v484*/, v114 /*v370*/
	v_mul_i32_i24_e32 v251 /*v507*/, v229 /*v485*/, v115 /*v371*/
	s_set_vgpr_msb 20                       ;  msbs: dst=0 src0=0 src1=1 src2=1
	v_add3_u32 v115, v115, v246 /*v502*/, v247 /*v503*/
	s_set_vgpr_msb 0x41                     ;  msbs: dst=1 src0=1 src1=0 src2=0
	v_bfe_i32 v231 /*v487*/, v209 /*v465*/, 0, 8
	v_bfe_i32 v232 /*v488*/, v209 /*v465*/, 8, 8
	;; [unrolled: 1-line block ×3, first 2 shown]
	s_set_vgpr_msb 0x44                     ;  msbs: dst=1 src0=0 src1=1 src2=0
	v_ashrrev_i32_e32 v209 /*v465*/, 24, v209 /*v465*/
	s_set_vgpr_msb 20                       ;  msbs: dst=0 src0=0 src1=1 src2=1
	v_add3_u32 v115, v115, v248 /*v504*/, v249 /*v505*/
	s_set_vgpr_msb 0x45                     ;  msbs: dst=1 src0=1 src1=1 src2=0
	v_mul_i32_i24_e32 v252 /*v508*/, v230 /*v486*/, v116 /*v372*/
	v_mul_i32_i24_e32 v253 /*v509*/, v208 /*v464*/, v117 /*v373*/
	;; [unrolled: 1-line block ×4, first 2 shown]
	s_set_vgpr_msb 20                       ;  msbs: dst=0 src0=0 src1=1 src2=1
	v_add3_u32 v115, v115, v250 /*v506*/, v251 /*v507*/
	s_wait_dscnt 0x2
	s_set_vgpr_msb 0x41                     ;  msbs: dst=1 src0=1 src1=0 src2=0
	v_bfe_i32 v234 /*v490*/, v210 /*v466*/, 0, 8
	v_bfe_i32 v235 /*v491*/, v210 /*v466*/, 8, 8
	s_set_vgpr_msb 5                        ;  msbs: dst=0 src0=1 src1=1 src2=0
	v_mul_i32_i24_e32 v61, v233 /*v489*/, v120 /*v376*/
	v_mul_i32_i24_e32 v43, v209 /*v465*/, v121 /*v377*/
	s_set_vgpr_msb 20                       ;  msbs: dst=0 src0=0 src1=1 src2=1
	v_add3_u32 v115, v115, v252 /*v508*/, v253 /*v509*/
	s_set_vgpr_msb 0x41                     ;  msbs: dst=1 src0=1 src1=0 src2=0
	v_bfe_i32 v236 /*v492*/, v210 /*v466*/, 16, 8
	s_set_vgpr_msb 0x44                     ;  msbs: dst=1 src0=0 src1=1 src2=0
	v_ashrrev_i32_e32 v210 /*v466*/, 24, v210 /*v466*/
	s_set_vgpr_msb 5                        ;  msbs: dst=0 src0=1 src1=1 src2=0
	v_mul_i32_i24_e32 v65, v234 /*v490*/, v122 /*v378*/
	v_mul_i32_i24_e32 v69, v235 /*v491*/, v123 /*v379*/
	s_set_vgpr_msb 20                       ;  msbs: dst=0 src0=0 src1=1 src2=1
	v_add3_u32 v115, v115, v254 /*v510*/, v255 /*v511*/
	s_set_vgpr_msb 0x41                     ;  msbs: dst=1 src0=1 src1=0 src2=0
	v_bfe_i32 v237 /*v493*/, v211 /*v467*/, 0, 8
	v_bfe_i32 v238 /*v494*/, v211 /*v467*/, 8, 8
	v_bfe_i32 v239 /*v495*/, v211 /*v467*/, 16, 8
	s_set_vgpr_msb 0x44                     ;  msbs: dst=1 src0=0 src1=1 src2=0
	v_ashrrev_i32_e32 v211 /*v467*/, 24, v211 /*v467*/
	s_set_vgpr_msb 0                        ;  msbs: dst=0 src0=0 src1=0 src2=0
	v_add3_u32 v43, v115, v61, v43
	s_set_vgpr_msb 5                        ;  msbs: dst=0 src0=1 src1=1 src2=0
	v_mul_i32_i24_e32 v91, v236 /*v492*/, v124 /*v380*/
	v_mul_i32_i24_e32 v93, v210 /*v466*/, v125 /*v381*/
	;; [unrolled: 1-line block ×4, first 2 shown]
	s_set_vgpr_msb 0                        ;  msbs: dst=0 src0=0 src1=0 src2=0
	v_add3_u32 v43, v43, v65, v69
	s_set_vgpr_msb 0x41                     ;  msbs: dst=1 src0=1 src1=0 src2=0
	v_bfe_i32 v240 /*v496*/, v212 /*v468*/, 0, 8
	v_bfe_i32 v241 /*v497*/, v212 /*v468*/, 8, 8
	s_set_vgpr_msb 5                        ;  msbs: dst=0 src0=1 src1=1 src2=0
	v_mul_i32_i24_e32 v150, v129 /*v385*/, v239 /*v495*/
	v_mul_i32_i24_e32 v151, v128 /*v384*/, v211 /*v467*/
	s_set_vgpr_msb 0                        ;  msbs: dst=0 src0=0 src1=0 src2=0
	v_add3_u32 v43, v43, v91, v93
	s_set_vgpr_msb 4                        ;  msbs: dst=0 src0=0 src1=1 src2=0
	v_and_b32_e32 v115, 0xffff, v148 /*v404*/
	s_set_vgpr_msb 64                       ;  msbs: dst=1 src0=0 src1=0 src2=0
	v_bfe_u32 v148 /*v404*/, v118, 20, 4
	s_set_vgpr_msb 0                        ;  msbs: dst=0 src0=0 src1=0 src2=0
	v_bfe_u32 v118, v118, 4, 4
	s_set_vgpr_msb 0x41                     ;  msbs: dst=1 src0=1 src1=0 src2=0
	v_bfe_i32 v242 /*v498*/, v212 /*v468*/, 16, 8
	s_set_vgpr_msb 0                        ;  msbs: dst=0 src0=0 src1=0 src2=0
	v_add3_u32 v43, v43, v148, v149
	s_set_vgpr_msb 0x44                     ;  msbs: dst=1 src0=0 src1=1 src2=0
	v_ashrrev_i32_e32 v212 /*v468*/, 24, v212 /*v468*/
	s_set_vgpr_msb 5                        ;  msbs: dst=0 src0=1 src1=1 src2=0
	v_mul_i32_i24_e32 v152, v137 /*v393*/, v240 /*v496*/
	v_mul_i32_i24_e32 v153, v130 /*v386*/, v241 /*v497*/
	s_set_vgpr_msb 4                        ;  msbs: dst=0 src0=0 src1=1 src2=0
	v_mul_i32_i24_e32 v61, v118, v150 /*v406*/
	s_set_vgpr_msb 0                        ;  msbs: dst=0 src0=0 src1=0 src2=0
	v_add3_u32 v43, v43, v150, v151
	s_set_vgpr_msb 0x41                     ;  msbs: dst=1 src0=1 src1=0 src2=0
	v_bfe_i32 v243 /*v499*/, v213 /*v469*/, 0, 8
	v_bfe_i32 v244 /*v500*/, v213 /*v469*/, 8, 8
	;; [unrolled: 1-line block ×3, first 2 shown]
	s_set_vgpr_msb 0x44                     ;  msbs: dst=1 src0=0 src1=1 src2=0
	v_ashrrev_i32_e32 v213 /*v469*/, 24, v213 /*v469*/
	s_set_vgpr_msb 5                        ;  msbs: dst=0 src0=1 src1=1 src2=0
	v_mul_i32_i24_e32 v154, v141 /*v397*/, v242 /*v498*/
	v_mul_i32_i24_e32 v155, v138 /*v394*/, v212 /*v468*/
	s_set_vgpr_msb 0                        ;  msbs: dst=0 src0=0 src1=0 src2=0
	v_add3_u32 v43, v43, v152, v153
	s_set_vgpr_msb 5                        ;  msbs: dst=0 src0=1 src1=1 src2=0
	v_mul_i32_i24_e32 v65, v148 /*v404*/, v177 /*v433*/
	v_mul_i32_i24_e32 v69, v139 /*v395*/, v178 /*v434*/
	s_set_vgpr_msb 4                        ;  msbs: dst=0 src0=0 src1=1 src2=0
	v_mad_i32_i24 v61, v115, v149 /*v405*/, v61
	s_set_vgpr_msb 0x44                     ;  msbs: dst=1 src0=0 src1=1 src2=0
	v_bfe_u32 v149 /*v405*/, v119, 20, 4
	v_and_b32_e32 v150 /*v406*/, 0xffff, v190 /*v446*/
	s_set_vgpr_msb 0                        ;  msbs: dst=0 src0=0 src1=0 src2=0
	v_bfe_u32 v119, v119, 4, 4
	s_set_vgpr_msb 5                        ;  msbs: dst=0 src0=1 src1=1 src2=0
	v_mul_i32_i24_e32 v156, v243 /*v499*/, v144 /*v400*/
	v_mul_i32_i24_e32 v157, v244 /*v500*/, v145 /*v401*/
	s_set_vgpr_msb 0                        ;  msbs: dst=0 src0=0 src1=0 src2=0
	v_add3_u32 v43, v43, v154, v155
	v_add3_u32 v61, v61, v65, v69
	s_set_vgpr_msb 4                        ;  msbs: dst=0 src0=0 src1=1 src2=0
	v_mul_i32_i24_e32 v154, v119, v151 /*v407*/
	s_set_vgpr_msb 5                        ;  msbs: dst=0 src0=1 src1=1 src2=0
	v_mul_i32_i24_e32 v155, v150 /*v406*/, v152 /*v408*/
	s_set_vgpr_msb 64                       ;  msbs: dst=1 src0=0 src1=0 src2=0
	v_bfe_u32 v151 /*v407*/, v116, 20, 4
	s_set_vgpr_msb 0                        ;  msbs: dst=0 src0=0 src1=0 src2=0
	v_add3_u32 v43, v43, v156, v157
	s_set_vgpr_msb 5                        ;  msbs: dst=0 src0=1 src1=1 src2=0
	v_mul_i32_i24_e32 v156, v149 /*v405*/, v175 /*v431*/
	v_mul_i32_i24_e32 v157, v131 /*v387*/, v176 /*v432*/
	s_set_vgpr_msb 0                        ;  msbs: dst=0 src0=0 src1=0 src2=0
	v_add3_u32 v61, v61, v154, v155
	s_set_vgpr_msb 0x44                     ;  msbs: dst=1 src0=0 src1=1 src2=0
	v_and_b32_e32 v152 /*v408*/, 0xffff, v189 /*v445*/
	s_set_vgpr_msb 0                        ;  msbs: dst=0 src0=0 src1=0 src2=0
	v_bfe_u32 v116, v116, 4, 4
	s_set_vgpr_msb 0x45                     ;  msbs: dst=1 src0=1 src1=1 src2=0
	v_mul_i32_i24_e32 v173 /*v429*/, v151 /*v407*/, v173 /*v429*/
	s_set_vgpr_msb 5                        ;  msbs: dst=0 src0=1 src1=1 src2=0
	v_mul_i32_i24_e32 v158, v245 /*v501*/, v146 /*v402*/
	s_set_vgpr_msb 0                        ;  msbs: dst=0 src0=0 src1=0 src2=0
	v_add3_u32 v61, v61, v156, v157
	s_set_vgpr_msb 0x45                     ;  msbs: dst=1 src0=1 src1=1 src2=0
	v_mul_i32_i24_e32 v154 /*v410*/, v152 /*v408*/, v154 /*v410*/
	s_set_vgpr_msb 0x44                     ;  msbs: dst=1 src0=0 src1=1 src2=0
	v_mul_i32_i24_e32 v153 /*v409*/, v116, v153 /*v409*/
	s_set_vgpr_msb 5                        ;  msbs: dst=0 src0=1 src1=1 src2=0
	v_mul_i32_i24_e32 v159, v213 /*v469*/, v147 /*v403*/
	s_wait_dscnt 0x0
	v_bfe_i32 v163, v221 /*v477*/, 0, 8
	v_bfe_i32 v58, v221 /*v477*/, 8, 8
	;; [unrolled: 1-line block ×3, first 2 shown]
	s_set_vgpr_msb 20                       ;  msbs: dst=0 src0=0 src1=1 src2=1
	v_add3_u32 v61, v61, v153 /*v409*/, v154 /*v410*/
	s_set_vgpr_msb 0x44                     ;  msbs: dst=1 src0=0 src1=1 src2=0
	v_bfe_u32 v153 /*v409*/, v117, 20, 4
	v_and_b32_e32 v154 /*v410*/, 0xffff, v188 /*v444*/
	s_set_vgpr_msb 0                        ;  msbs: dst=0 src0=0 src1=0 src2=0
	v_bfe_u32 v117, v117, 4, 4
	v_add3_u32 v43, v43, v158, v159
	s_set_vgpr_msb 20                       ;  msbs: dst=0 src0=0 src1=1 src2=1
	v_add3_u32 v61, v61, v173 /*v429*/, v174 /*v430*/
	s_set_vgpr_msb 0x45                     ;  msbs: dst=1 src0=1 src1=1 src2=0
	v_mul_i32_i24_e32 v171 /*v427*/, v153 /*v409*/, v171 /*v427*/
	v_mul_i32_i24_e32 v170 /*v426*/, v154 /*v410*/, v170 /*v426*/
	s_set_vgpr_msb 0x44                     ;  msbs: dst=1 src0=0 src1=1 src2=0
	v_mul_i32_i24_e32 v156 /*v412*/, v117, v156 /*v412*/
	s_set_vgpr_msb 21                       ;  msbs: dst=0 src0=1 src1=1 src2=1
	v_add3_u32 v158, v185 /*v441*/, v183 /*v439*/, v184 /*v440*/
	s_set_vgpr_msb 0                        ;  msbs: dst=0 src0=0 src1=0 src2=0
	v_mul_lo_u32 v43, v43, v103
	s_set_vgpr_msb 0x44                     ;  msbs: dst=1 src0=0 src1=1 src2=0
	v_ashrrev_i32_e32 v221 /*v477*/, 24, v221 /*v477*/
	s_set_vgpr_msb 20                       ;  msbs: dst=0 src0=0 src1=1 src2=1
	v_lshrrev_b16 v69, 8, v215 /*v471*/
	v_add3_u32 v61, v61, v156 /*v412*/, v170 /*v426*/
	s_set_vgpr_msb 0                        ;  msbs: dst=0 src0=0 src1=0 src2=0
	v_mul_lo_u32 v158, v158, v103
	s_set_vgpr_msb 20                       ;  msbs: dst=0 src0=0 src1=1 src2=1
	v_lshrrev_b16 v65, 8, v214 /*v470*/
	v_lshrrev_b16 v91, 8, v216 /*v472*/
	;; [unrolled: 1-line block ×3, first 2 shown]
	v_add3_u32 v61, v61, v171 /*v427*/, v172 /*v428*/
	s_set_vgpr_msb 0x41                     ;  msbs: dst=1 src0=1 src1=0 src2=0
	ds_load_b64 v[170:171] /*v[426:427]*/, v155 /*v411*/ offset:27200
	ds_load_b64 v[172:173] /*v[428:429]*/, v222 /*v478*/ offset:27200
	s_set_vgpr_msb 0x44                     ;  msbs: dst=1 src0=0 src1=1 src2=0
	v_ashrrev_i32_e32 v251 /*v507*/, 24, v217 /*v473*/
	s_set_vgpr_msb 4                        ;  msbs: dst=0 src0=0 src1=1 src2=0
	v_ashrrev_i32_e32 v148, 24, v214 /*v470*/
	s_set_vgpr_msb 1                        ;  msbs: dst=0 src0=1 src1=0 src2=0
	v_bfe_i32 v149, v214 /*v470*/, 16, 8
	v_bfe_i32 v150, v214 /*v470*/, 0, 8
	s_set_vgpr_msb 0x44                     ;  msbs: dst=1 src0=0 src1=1 src2=0
	v_ashrrev_i32_e32 v178 /*v434*/, 24, v215 /*v471*/
	s_set_vgpr_msb 0x41                     ;  msbs: dst=1 src0=1 src1=0 src2=0
	v_bfe_i32 v190 /*v446*/, v215 /*v471*/, 16, 8
	s_set_vgpr_msb 0                        ;  msbs: dst=0 src0=0 src1=0 src2=0
	v_bfe_i32 v69, v69, 0, 8
	s_set_vgpr_msb 0x41                     ;  msbs: dst=1 src0=1 src1=0 src2=0
	v_bfe_i32 v214 /*v470*/, v215 /*v471*/, 0, 8
	s_set_vgpr_msb 0x44                     ;  msbs: dst=1 src0=0 src1=1 src2=0
	v_ashrrev_i32_e32 v215 /*v471*/, 24, v216 /*v472*/
	s_set_vgpr_msb 4                        ;  msbs: dst=0 src0=0 src1=1 src2=0
	v_bfe_i32 v65, v65, 0, 8
	v_mul_i32_i24_e32 v153, v148, v139 /*v395*/
	v_mul_i32_i24_e32 v155, v69, v150 /*v406*/
	s_set_vgpr_msb 5                        ;  msbs: dst=0 src0=1 src1=1 src2=0
	v_mul_i32_i24_e32 v157, v178 /*v434*/, v131 /*v387*/
	s_set_vgpr_msb 0x41                     ;  msbs: dst=1 src0=1 src1=0 src2=0
	v_bfe_i32 v246 /*v502*/, v216 /*v472*/, 16, 8
	s_set_vgpr_msb 0                        ;  msbs: dst=0 src0=0 src1=0 src2=0
	v_bfe_i32 v91, v91, 0, 8
	s_set_vgpr_msb 0x45                     ;  msbs: dst=1 src0=1 src1=1 src2=0
	v_bfe_i32 v216 /*v472*/, v216 /*v472*/, 0, 8
	v_mul_i32_i24_e32 v250 /*v506*/, v215 /*v471*/, v132 /*v388*/
	s_set_vgpr_msb 0                        ;  msbs: dst=0 src0=0 src1=0 src2=0
	v_bfe_i32 v93, v93, 0, 8
	s_wait_dscnt 0x0
	s_set_vgpr_msb 0x44                     ;  msbs: dst=1 src0=0 src1=1 src2=0
	v_dual_lshrrev_b32 v155 /*v411*/, 16, v170 /*v426*/ :: v_dual_lshrrev_b32 v156 /*v412*/, 16, v172 /*v428*/
	s_set_vgpr_msb 0x41                     ;  msbs: dst=1 src0=1 src1=0 src2=0
	v_cvt_f32_f16_e64 v174 /*v430*/, v170 /*v426*/
	v_cvt_f32_f16_e64 v188 /*v444*/, v171 /*v427*/
	;; [unrolled: 1-line block ×5, first 2 shown]
	s_set_vgpr_msb 0x44                     ;  msbs: dst=1 src0=0 src1=1 src2=0
	v_dual_lshrrev_b32 v155 /*v411*/, 16, v171 /*v427*/ :: v_dual_lshrrev_b32 v156 /*v412*/, 16, v173 /*v429*/
	s_set_vgpr_msb 0x41                     ;  msbs: dst=1 src0=1 src1=0 src2=0
	v_cvt_f32_f16_e64 v189 /*v445*/, v173 /*v429*/
	s_set_vgpr_msb 64                       ;  msbs: dst=1 src0=0 src1=0 src2=0
	v_cvt_f32_i32_e32 v173 /*v429*/, v43
	v_cvt_f32_i32_e32 v172 /*v428*/, v158
	s_set_vgpr_msb 0x41                     ;  msbs: dst=1 src0=1 src1=0 src2=0
	v_cvt_f32_f16_e64 v170 /*v426*/, v155 /*v411*/
	v_cvt_f32_f16_e64 v171 /*v427*/, v156 /*v412*/
	s_set_vgpr_msb 0x44                     ;  msbs: dst=1 src0=0 src1=1 src2=0
	v_bfe_u32 v155 /*v411*/, v112, 20, 4
	v_and_b32_e32 v156 /*v412*/, 0xffff, v187 /*v443*/
	s_set_vgpr_msb 0                        ;  msbs: dst=0 src0=0 src1=0 src2=0
	v_bfe_u32 v112, v112, 4, 4
	s_set_vgpr_msb 0x44                     ;  msbs: dst=1 src0=0 src1=1 src2=0
	v_lshrrev_b16 v222 /*v478*/, 8, v218 /*v474*/
	s_set_vgpr_msb 5                        ;  msbs: dst=0 src0=1 src1=1 src2=0
	v_lshrrev_b16 v161, 8, v219 /*v475*/
	v_mul_i32_i24_e32 v159, v155 /*v411*/, v168 /*v424*/
	v_mul_i32_i24_e32 v158, v156 /*v412*/, v158 /*v414*/
	s_set_vgpr_msb 4                        ;  msbs: dst=0 src0=0 src1=1 src2=0
	v_mul_i32_i24_e32 v43, v112, v157 /*v413*/
	s_set_vgpr_msb 0x45                     ;  msbs: dst=1 src0=1 src1=1 src2=0
	v_mul_i32_i24_e32 v157 /*v413*/, v134 /*v390*/, v169 /*v425*/
	v_and_b32_e32 v158 /*v414*/, 0xffff, v186 /*v442*/
	s_set_vgpr_msb 0                        ;  msbs: dst=0 src0=0 src1=0 src2=0
	v_mul_i32_i24_e32 v151, v150, v118
	s_set_vgpr_msb 4                        ;  msbs: dst=0 src0=0 src1=1 src2=0
	v_mul_i32_i24_e32 v152, v149, v148 /*v404*/
	s_set_vgpr_msb 0                        ;  msbs: dst=0 src0=0 src1=0 src2=0
	v_add3_u32 v43, v61, v43, v158
	s_set_vgpr_msb 4                        ;  msbs: dst=0 src0=0 src1=1 src2=0
	v_ashrrev_i32_e32 v61, 24, v218 /*v474*/
	s_set_vgpr_msb 0x45                     ;  msbs: dst=1 src0=1 src1=1 src2=0
	v_mul_i32_i24_e32 v160 /*v416*/, v158 /*v414*/, v160 /*v416*/
	s_set_vgpr_msb 1                        ;  msbs: dst=0 src0=1 src1=0 src2=0
	v_mul_i32_i24_e32 v154, v214 /*v470*/, v119
	s_set_vgpr_msb 5                        ;  msbs: dst=0 src0=1 src1=1 src2=0
	v_mul_i32_i24_e32 v156, v190 /*v446*/, v149 /*v405*/
	s_set_vgpr_msb 16                       ;  msbs: dst=0 src0=0 src1=0 src2=1
	v_add3_u32 v43, v43, v159, v157 /*v413*/
	s_set_vgpr_msb 64                       ;  msbs: dst=1 src0=0 src1=0 src2=0
	v_bfe_u32 v157 /*v413*/, v113, 20, 4
	s_set_vgpr_msb 0                        ;  msbs: dst=0 src0=0 src1=0 src2=0
	v_bfe_u32 v113, v113, 4, 4
	s_set_vgpr_msb 0x41                     ;  msbs: dst=1 src0=1 src1=0 src2=0
	v_mul_i32_i24_e32 v247 /*v503*/, v216 /*v472*/, v116
	s_set_vgpr_msb 0x44                     ;  msbs: dst=1 src0=0 src1=1 src2=0
	v_mul_i32_i24_e32 v248 /*v504*/, v91, v152 /*v408*/
	s_set_vgpr_msb 0x45                     ;  msbs: dst=1 src0=1 src1=1 src2=0
	v_mul_i32_i24_e32 v249 /*v505*/, v246 /*v502*/, v151 /*v407*/
	v_mul_i32_i24_e32 v166 /*v422*/, v157 /*v413*/, v166 /*v422*/
	s_set_vgpr_msb 0x44                     ;  msbs: dst=1 src0=0 src1=1 src2=0
	v_mul_i32_i24_e32 v159 /*v415*/, v113, v159 /*v415*/
	s_set_vgpr_msb 0x41                     ;  msbs: dst=1 src0=1 src1=0 src2=0
	v_bfe_i32 v252 /*v508*/, v217 /*v473*/, 16, 8
	v_bfe_i32 v217 /*v473*/, v217 /*v473*/, 0, 8
	s_set_vgpr_msb 0x44                     ;  msbs: dst=1 src0=0 src1=1 src2=0
	v_mul_i32_i24_e32 v254 /*v510*/, v93, v154 /*v410*/
	s_set_vgpr_msb 5                        ;  msbs: dst=0 src0=1 src1=1 src2=0
	v_mul_i32_i24_e32 v160, v251 /*v507*/, v133 /*v389*/
	s_set_vgpr_msb 20                       ;  msbs: dst=0 src0=0 src1=1 src2=1
	v_add3_u32 v43, v43, v159 /*v415*/, v160 /*v416*/
	s_set_vgpr_msb 0x44                     ;  msbs: dst=1 src0=0 src1=1 src2=0
	v_bfe_u32 v159 /*v415*/, v114, 20, 4
	v_and_b32_e32 v160 /*v416*/, 0xffff, v182 /*v438*/
	s_set_vgpr_msb 20                       ;  msbs: dst=0 src0=0 src1=1 src2=1
	v_bfe_u32 v114, v114, 4, 4
	v_lshrrev_b16 v162, 8, v220 /*v476*/
	v_add3_u32 v43, v43, v166 /*v422*/, v167 /*v423*/
	s_set_vgpr_msb 1                        ;  msbs: dst=0 src0=1 src1=0 src2=0
	v_bfe_i32 v158, v218 /*v474*/, 16, 8
	s_set_vgpr_msb 0x45                     ;  msbs: dst=1 src0=1 src1=1 src2=0
	v_mul_i32_i24_e32 v163 /*v419*/, v160 /*v416*/, v163 /*v419*/
	s_set_vgpr_msb 0x44                     ;  msbs: dst=1 src0=0 src1=1 src2=0
	v_mul_i32_i24_e32 v162 /*v418*/, v114, v162 /*v418*/
	s_set_vgpr_msb 1                        ;  msbs: dst=0 src0=1 src1=0 src2=0
	v_bfe_i32 v159, v222 /*v478*/, 0, 8
	s_set_vgpr_msb 0x41                     ;  msbs: dst=1 src0=1 src1=0 src2=0
	v_bfe_i32 v168 /*v424*/, v218 /*v474*/, 0, 8
	s_set_vgpr_msb 0x44                     ;  msbs: dst=1 src0=0 src1=1 src2=0
	v_mul_i32_i24_e32 v218 /*v474*/, v61, v134 /*v390*/
	v_dual_ashrrev_i32 v186 /*v442*/, 24, v219 /*v475*/ :: v_dual_ashrrev_i32 v182 /*v438*/, 24, v220 /*v476*/
	s_set_vgpr_msb 0                        ;  msbs: dst=0 src0=0 src1=0 src2=0
	v_bfe_i32 v161, v161, 0, 8
	s_set_vgpr_msb 0x45                     ;  msbs: dst=1 src0=1 src1=1 src2=0
	v_mul_i32_i24_e32 v164 /*v420*/, v159 /*v415*/, v164 /*v420*/
	s_set_vgpr_msb 20                       ;  msbs: dst=0 src0=0 src1=1 src2=1
	v_add3_u32 v43, v43, v162 /*v418*/, v163 /*v419*/
	s_set_vgpr_msb 0                        ;  msbs: dst=0 src0=0 src1=0 src2=0
	v_mad_i32_i24 v155, v65, v115, v155
	s_set_vgpr_msb 16                       ;  msbs: dst=0 src0=0 src1=0 src2=1
	v_add3_u32 v153, v153, v157, v250 /*v506*/
	s_set_vgpr_msb 0x41                     ;  msbs: dst=1 src0=1 src1=0 src2=0
	v_mul_i32_i24_e32 v253 /*v509*/, v217 /*v473*/, v117
	s_set_vgpr_msb 0x45                     ;  msbs: dst=1 src0=1 src1=1 src2=0
	v_mul_i32_i24_e32 v255 /*v511*/, v252 /*v508*/, v153 /*v409*/
	s_set_vgpr_msb 0x41                     ;  msbs: dst=1 src0=1 src1=0 src2=0
	v_mul_i32_i24_e32 v169 /*v425*/, v168 /*v424*/, v112
	s_set_vgpr_msb 0x44                     ;  msbs: dst=1 src0=0 src1=1 src2=0
	v_mul_i32_i24_e32 v183 /*v439*/, v159, v156 /*v412*/
	v_mul_i32_i24_e32 v187 /*v443*/, v158, v155 /*v411*/
	s_set_vgpr_msb 0x41                     ;  msbs: dst=1 src0=1 src1=0 src2=0
	v_bfe_i32 v222 /*v478*/, v219 /*v475*/, 16, 8
	v_bfe_i32 v219 /*v475*/, v219 /*v475*/, 0, 8
	s_set_vgpr_msb 0x44                     ;  msbs: dst=1 src0=0 src1=1 src2=0
	v_mul_i32_i24_e32 v167 /*v423*/, v161, v158 /*v414*/
	s_set_vgpr_msb 5                        ;  msbs: dst=0 src0=1 src1=1 src2=0
	v_mul_i32_i24_e32 v64, v186 /*v442*/, v135 /*v391*/
	v_bfe_i32 v66, v220 /*v476*/, 16, 8
	s_set_vgpr_msb 0                        ;  msbs: dst=0 src0=0 src1=0 src2=0
	v_bfe_i32 v162, v162, 0, 8
	s_set_vgpr_msb 0x41                     ;  msbs: dst=1 src0=1 src1=0 src2=0
	v_bfe_i32 v220 /*v476*/, v220 /*v476*/, 0, 8
	s_set_vgpr_msb 20                       ;  msbs: dst=0 src0=0 src1=1 src2=1
	v_add3_u32 v43, v43, v164 /*v420*/, v165 /*v421*/
	s_set_vgpr_msb 0x45                     ;  msbs: dst=1 src0=1 src1=1 src2=0
	v_mul_i32_i24_e32 v165 /*v421*/, v182 /*v438*/, v136 /*v392*/
	s_set_vgpr_msb 16                       ;  msbs: dst=0 src0=0 src1=0 src2=1
	v_add3_u32 v152, v152, v156, v249 /*v505*/
	v_add3_u32 v151, v151, v154, v247 /*v503*/
	s_set_vgpr_msb 20                       ;  msbs: dst=0 src0=0 src1=1 src2=1
	v_add3_u32 v154, v155, v248 /*v504*/, v254 /*v510*/
	s_set_vgpr_msb 16                       ;  msbs: dst=0 src0=0 src1=0 src2=1
	v_add3_u32 v153, v153, v160, v218 /*v474*/
	s_set_vgpr_msb 0x41                     ;  msbs: dst=1 src0=1 src1=0 src2=0
	v_mul_i32_i24_e32 v166 /*v422*/, v219 /*v475*/, v113
	s_set_vgpr_msb 5                        ;  msbs: dst=0 src0=1 src1=1 src2=0
	v_mul_i32_i24_e32 v62, v222 /*v478*/, v157 /*v413*/
	s_set_vgpr_msb 0x41                     ;  msbs: dst=1 src0=1 src1=0 src2=0
	v_mul_i32_i24_e32 v162 /*v418*/, v220 /*v476*/, v114
	s_set_vgpr_msb 0x44                     ;  msbs: dst=1 src0=0 src1=1 src2=0
	v_mul_i32_i24_e32 v163 /*v419*/, v162, v160 /*v416*/
	v_mul_i32_i24_e32 v164 /*v420*/, v66, v159 /*v415*/
	s_set_vgpr_msb 20                       ;  msbs: dst=0 src0=0 src1=1 src2=1
	v_add3_u32 v151, v151, v253 /*v509*/, v169 /*v425*/
	v_add3_u32 v152, v152, v255 /*v511*/, v187 /*v443*/
	;; [unrolled: 1-line block ×3, first 2 shown]
	s_set_vgpr_msb 16                       ;  msbs: dst=0 src0=0 src1=0 src2=1
	v_add3_u32 v64, v153, v64, v165 /*v421*/
	s_set_vgpr_msb 20                       ;  msbs: dst=0 src0=0 src1=1 src2=1
	v_add3_u32 v43, v43, v180 /*v436*/, v181 /*v437*/
	v_add3_u32 v151, v151, v166 /*v422*/, v162 /*v418*/
	s_set_vgpr_msb 16                       ;  msbs: dst=0 src0=0 src1=0 src2=1
	v_add3_u32 v62, v152, v62, v164 /*v420*/
	s_set_vgpr_msb 0x44                     ;  msbs: dst=1 src0=0 src1=1 src2=0
	v_mul_i32_i24_e32 v180 /*v436*/, v163, v140 /*v396*/
	s_set_vgpr_msb 4                        ;  msbs: dst=0 src0=0 src1=1 src2=0
	v_add3_u32 v64, v154, v163 /*v419*/, v64
	s_set_vgpr_msb 0x44                     ;  msbs: dst=1 src0=0 src1=1 src2=0
	v_mul_i32_i24_e32 v181 /*v437*/, v58, v142 /*v398*/
	s_set_vgpr_msb 4                        ;  msbs: dst=0 src0=0 src1=1 src2=0
	v_mul_i32_i24_e32 v68, v60, v143 /*v399*/
	s_set_vgpr_msb 1                        ;  msbs: dst=0 src0=1 src1=0 src2=0
	v_mul_i32_i24_e32 v72, v221 /*v477*/, v101
	s_set_vgpr_msb 4                        ;  msbs: dst=0 src0=0 src1=1 src2=0
	v_add3_u32 v43, v43, v179 /*v435*/, v70
	s_set_vgpr_msb 0                        ;  msbs: dst=0 src0=0 src1=0 src2=0
	v_add3_u32 v62, v151, v62, v64
	s_set_vgpr_msb 1                        ;  msbs: dst=0 src0=1 src1=0 src2=0
	v_mul_i32_i24_e32 v64, v206 /*v462*/, v174
	v_mul_i32_i24_e32 v70, v207 /*v463*/, v178
	s_set_vgpr_msb 0x44                     ;  msbs: dst=1 src0=0 src1=1 src2=0
	v_pk_fma_f32 v[184:185] /*v[440:441]*/, v[96:97], v[176:177] /*v[432:433]*/, 0 op_sel_hi:[0,1,0]
	s_set_vgpr_msb 0                        ;  msbs: dst=0 src0=0 src1=0 src2=0
	v_mul_lo_u32 v43, v43, v99
	s_set_vgpr_msb 20                       ;  msbs: dst=0 src0=0 src1=1 src2=1
	v_add3_u32 v62, v62, v180 /*v436*/, v181 /*v437*/
	s_set_vgpr_msb 1                        ;  msbs: dst=0 src0=1 src1=0 src2=0
	v_mul_i32_i24_e32 v151, v229 /*v485*/, v180
	s_set_vgpr_msb 0x45                     ;  msbs: dst=1 src0=1 src1=1 src2=0
	v_pk_fma_f32 v[172:173] /*v[428:429]*/, v[174:175] /*v[430:431]*/, v[172:173] /*v[428:429]*/, 0 op_sel_hi:[1,1,0]
	s_set_vgpr_msb 0x54                     ;  msbs: dst=1 src0=0 src1=1 src2=1
	v_pk_fma_f32 v[164:165] /*v[420:421]*/, v[98:99], v[170:171] /*v[426:427]*/, v[184:185] /*v[440:441]*/ op_sel_hi:[0,1,1]
	s_set_vgpr_msb 1                        ;  msbs: dst=0 src0=1 src1=0 src2=0
	v_mul_i32_i24_e32 v152, v230 /*v486*/, v181
	s_set_vgpr_msb 0                        ;  msbs: dst=0 src0=0 src1=0 src2=0
	v_add3_u32 v62, v62, v68, v72
	s_set_vgpr_msb 1                        ;  msbs: dst=0 src0=1 src1=0 src2=0
	v_mul_i32_i24_e32 v68, v227 /*v483*/, v177
	v_mul_i32_i24_e32 v72, v228 /*v484*/, v179
	;; [unrolled: 1-line block ×3, first 2 shown]
	s_set_vgpr_msb 0x41                     ;  msbs: dst=1 src0=1 src1=0 src2=0
	v_pk_mul_f32 v[164:165] /*v[420:421]*/, v[164:165] /*v[420:421]*/, v[8:9]
	s_set_vgpr_msb 0                        ;  msbs: dst=0 src0=0 src1=0 src2=0
	v_mul_lo_u32 v62, v62, v99
	s_set_vgpr_msb 64                       ;  msbs: dst=1 src0=0 src1=0 src2=0
	v_cvt_f32_i32_e32 v162 /*v418*/, v43
	s_set_vgpr_msb 1                        ;  msbs: dst=0 src0=1 src1=0 src2=0
	v_mul_i32_i24_e32 v43, v205 /*v461*/, v126
	v_mul_i32_i24_e32 v154, v231 /*v487*/, v183
	;; [unrolled: 1-line block ×5, first 2 shown]
	v_mad_i32_i24 v43, v223 /*v479*/, v124, v43
	v_mul_i32_i24_e32 v160, v234 /*v490*/, v187
	s_set_vgpr_msb 0x44                     ;  msbs: dst=1 src0=0 src1=1 src2=0
	v_mul_i32_i24_e32 v166 /*v422*/, v191, v238 /*v494*/
	v_mul_i32_i24_e32 v167 /*v423*/, v194, v239 /*v495*/
	v_cvt_f32_i32_e32 v163 /*v419*/, v62
	s_set_vgpr_msb 1                        ;  msbs: dst=0 src0=1 src1=0 src2=0
	v_mul_i32_i24_e32 v62, v224 /*v480*/, v173
	s_set_vgpr_msb 0x44                     ;  msbs: dst=1 src0=0 src1=1 src2=0
	v_mul_i32_i24_e32 v169 /*v425*/, v193, v211 /*v467*/
	v_mul_i32_i24_e32 v179 /*v435*/, v199, v242 /*v498*/
	;; [unrolled: 1-line block ×3, first 2 shown]
	s_set_vgpr_msb 0x55                     ;  msbs: dst=1 src0=1 src1=1 src2=1
	v_pk_fma_f32 v[162:163] /*v[418:419]*/, v[188:189] /*v[444:445]*/, v[162:163] /*v[418:419]*/, v[172:173] /*v[428:429]*/
	s_set_vgpr_msb 0                        ;  msbs: dst=0 src0=0 src1=0 src2=0
	v_add3_u32 v43, v43, v62, v64
	s_set_vgpr_msb 1                        ;  msbs: dst=0 src0=1 src1=0 src2=0
	v_mul_i32_i24_e32 v62, v225 /*v481*/, v175
	v_mul_i32_i24_e32 v64, v226 /*v482*/, v176
	s_set_vgpr_msb 0x44                     ;  msbs: dst=1 src0=0 src1=1 src2=0
	v_mul_i32_i24_e32 v172 /*v428*/, v196, v240 /*v496*/
	s_set_vgpr_msb 0x51                     ;  msbs: dst=1 src0=1 src1=0 src2=1
	v_pk_fma_f32 v[162:163] /*v[418:419]*/, v[162:163] /*v[418:419]*/, v[0:1], v[164:165] /*v[420:421]*/ neg_lo:[0,0,1] neg_hi:[0,0,1]
	v_mul_i32_i24_e32 v164 /*v420*/, v210 /*v466*/, v190
	s_set_vgpr_msb 0x44                     ;  msbs: dst=1 src0=0 src1=1 src2=0
	v_mul_i32_i24_e32 v165 /*v421*/, v192, v237 /*v493*/
	s_set_vgpr_msb 0                        ;  msbs: dst=0 src0=0 src1=0 src2=0
	v_add3_u32 v43, v43, v62, v64
	v_mul_i32_i24_e32 v62, v150, v201
	v_mul_i32_i24_e32 v64, v149, v198
	s_set_vgpr_msb 4                        ;  msbs: dst=0 src0=0 src1=1 src2=0
	v_pk_add_f32 v[50:51], v[50:51], v[162:163] /*v[418:419]*/
	s_set_vgpr_msb 0x41                     ;  msbs: dst=1 src0=1 src1=0 src2=0
	v_mul_i32_i24_e32 v162 /*v418*/, v235 /*v491*/, v188
	s_set_vgpr_msb 0                        ;  msbs: dst=0 src0=0 src1=0 src2=0
	v_add3_u32 v43, v43, v68, v70
	v_mul_i32_i24_e32 v68, v148, v204
	v_mad_i32_i24 v62, v65, v200, v62
	s_set_vgpr_msb 1                        ;  msbs: dst=0 src0=1 src1=0 src2=0
	v_mul_i32_i24_e32 v70, v190 /*v446*/, v202
	s_set_vgpr_msb 0x41                     ;  msbs: dst=1 src0=1 src1=0 src2=0
	v_mul_i32_i24_e32 v163 /*v419*/, v236 /*v492*/, v189
	s_set_vgpr_msb 0                        ;  msbs: dst=0 src0=0 src1=0 src2=0
	v_add3_u32 v43, v43, v72, v151
	s_set_vgpr_msb 1                        ;  msbs: dst=0 src0=1 src1=0 src2=0
	v_mul_i32_i24_e32 v72, v178 /*v434*/, v212
	s_set_vgpr_msb 0                        ;  msbs: dst=0 src0=0 src1=0 src2=0
	v_add3_u32 v62, v62, v64, v68
	s_set_vgpr_msb 1                        ;  msbs: dst=0 src0=1 src1=0 src2=0
	v_mul_i32_i24_e32 v64, v214 /*v470*/, v208
	s_set_vgpr_msb 0                        ;  msbs: dst=0 src0=0 src1=0 src2=0
	v_mul_i32_i24_e32 v68, v69, v210
	v_add3_u32 v43, v43, v152, v153
	s_set_vgpr_msb 1                        ;  msbs: dst=0 src0=1 src1=0 src2=0
	v_mul_i32_i24_e32 v151, v216 /*v472*/, v213
	s_set_vgpr_msb 0                        ;  msbs: dst=0 src0=0 src1=0 src2=0
	v_mul_i32_i24_e32 v152, v91, v214
	s_set_vgpr_msb 1                        ;  msbs: dst=0 src0=1 src1=0 src2=0
	v_mul_i32_i24_e32 v153, v246 /*v502*/, v211
	s_set_vgpr_msb 0                        ;  msbs: dst=0 src0=0 src1=0 src2=0
	v_add3_u32 v62, v62, v64, v68
	v_add3_u32 v43, v43, v154, v155
	s_set_vgpr_msb 1                        ;  msbs: dst=0 src0=1 src1=0 src2=0
	v_mul_i32_i24_e32 v154, v215 /*v471*/, v216
	v_mul_i32_i24_e32 v155, v217 /*v473*/, v218
	s_set_vgpr_msb 0x44                     ;  msbs: dst=1 src0=0 src1=1 src2=0
	v_mul_i32_i24_e32 v173 /*v429*/, v195, v241 /*v497*/
	s_set_vgpr_msb 0                        ;  msbs: dst=0 src0=0 src1=0 src2=0
	v_add3_u32 v62, v62, v70, v72
	v_add3_u32 v43, v43, v156, v157
	v_mul_i32_i24_e32 v156, v93, v220
	s_set_vgpr_msb 1                        ;  msbs: dst=0 src0=1 src1=0 src2=0
	v_mul_i32_i24_e32 v157, v252 /*v508*/, v215
	s_set_vgpr_msb 0x41                     ;  msbs: dst=1 src0=1 src1=0 src2=0
	v_mul_i32_i24_e32 v181 /*v437*/, v243 /*v499*/, v203
	s_set_vgpr_msb 0                        ;  msbs: dst=0 src0=0 src1=0 src2=0
	v_add3_u32 v62, v62, v151, v152
	s_set_vgpr_msb 16                       ;  msbs: dst=0 src0=0 src1=0 src2=1
	v_add3_u32 v43, v43, v160, v162 /*v418*/
	s_set_vgpr_msb 1                        ;  msbs: dst=0 src0=1 src1=0 src2=0
	v_mul_i32_i24_e32 v160, v251 /*v507*/, v221
	s_set_vgpr_msb 0x41                     ;  msbs: dst=1 src0=1 src1=0 src2=0
	v_mul_i32_i24_e32 v162 /*v418*/, v168 /*v424*/, v223
	v_mul_i32_i24_e32 v183 /*v439*/, v244 /*v500*/, v206
	s_set_vgpr_msb 0                        ;  msbs: dst=0 src0=0 src1=0 src2=0
	v_add3_u32 v62, v62, v153, v154
	s_set_vgpr_msb 20                       ;  msbs: dst=0 src0=0 src1=1 src2=1
	v_add3_u32 v43, v43, v163 /*v419*/, v164 /*v420*/
	s_set_vgpr_msb 64                       ;  msbs: dst=1 src0=0 src1=0 src2=0
	v_mul_i32_i24_e32 v163 /*v419*/, v159, v225
	v_mul_i32_i24_e32 v164 /*v420*/, v158, v229
	s_set_vgpr_msb 0x41                     ;  msbs: dst=1 src0=1 src1=0 src2=0
	v_mul_i32_i24_e32 v184 /*v440*/, v245 /*v501*/, v207
	s_set_vgpr_msb 0                        ;  msbs: dst=0 src0=0 src1=0 src2=0
	v_add3_u32 v62, v62, v155, v156
	s_set_vgpr_msb 20                       ;  msbs: dst=0 src0=0 src1=1 src2=1
	v_add3_u32 v43, v43, v165 /*v421*/, v166 /*v422*/
	s_set_vgpr_msb 64                       ;  msbs: dst=1 src0=0 src1=0 src2=0
	v_mul_i32_i24_e32 v165 /*v421*/, v61, v226
	s_set_vgpr_msb 0x41                     ;  msbs: dst=1 src0=1 src1=0 src2=0
	v_mul_i32_i24_e32 v166 /*v422*/, v219 /*v475*/, v231
	v_mul_i32_i24_e32 v185 /*v441*/, v213 /*v469*/, v209
	s_set_vgpr_msb 0                        ;  msbs: dst=0 src0=0 src1=0 src2=0
	v_add3_u32 v62, v62, v157, v160
	s_set_vgpr_msb 20                       ;  msbs: dst=0 src0=0 src1=1 src2=1
	v_add3_u32 v43, v43, v167 /*v423*/, v169 /*v425*/
	s_set_vgpr_msb 64                       ;  msbs: dst=1 src0=0 src1=0 src2=0
	v_mul_i32_i24_e32 v167 /*v423*/, v161, v232
	s_set_vgpr_msb 0x41                     ;  msbs: dst=1 src0=1 src1=0 src2=0
	v_mul_i32_i24_e32 v169 /*v425*/, v222 /*v478*/, v235
	s_set_vgpr_msb 64                       ;  msbs: dst=1 src0=0 src1=0 src2=0
	v_mul_i32_i24_e32 v187 /*v443*/, v58, v245
	s_set_vgpr_msb 20                       ;  msbs: dst=0 src0=0 src1=1 src2=1
	v_add3_u32 v62, v62, v162 /*v418*/, v163 /*v419*/
	v_add3_u32 v43, v43, v172 /*v428*/, v173 /*v429*/
	s_set_vgpr_msb 0x41                     ;  msbs: dst=1 src0=1 src1=0 src2=0
	v_mul_i32_i24_e32 v172 /*v428*/, v186 /*v442*/, v234
	v_mul_i32_i24_e32 v173 /*v429*/, v220 /*v476*/, v236
	s_set_vgpr_msb 64                       ;  msbs: dst=1 src0=0 src1=0 src2=0
	v_mul_i32_i24_e32 v218 /*v474*/, v60, v246
	s_set_vgpr_msb 20                       ;  msbs: dst=0 src0=0 src1=1 src2=1
	v_add3_u32 v62, v62, v164 /*v420*/, v165 /*v421*/
	v_add3_u32 v43, v43, v179 /*v435*/, v180 /*v436*/
	s_set_vgpr_msb 64                       ;  msbs: dst=1 src0=0 src1=0 src2=0
	v_mul_i32_i24_e32 v179 /*v435*/, v162, v237
	v_mul_i32_i24_e32 v180 /*v436*/, v66, v242
	v_cvt_f32_i32_e32 v162 /*v418*/, v59
	s_set_vgpr_msb 20                       ;  msbs: dst=0 src0=0 src1=1 src2=1
	v_add3_u32 v62, v62, v166 /*v422*/, v167 /*v423*/
	v_add3_u32 v43, v43, v181 /*v437*/, v183 /*v439*/
	s_set_vgpr_msb 0x41                     ;  msbs: dst=1 src0=1 src1=0 src2=0
	v_mul_i32_i24_e32 v181 /*v437*/, v182 /*v438*/, v239
	s_set_vgpr_msb 64                       ;  msbs: dst=1 src0=0 src1=0 src2=0
	v_mul_i32_i24_e32 v183 /*v439*/, v163, v244
	s_set_vgpr_msb 1                        ;  msbs: dst=0 src0=1 src1=0 src2=0
	v_mul_i32_i24_e32 v59, v161 /*v417*/, v105
	s_set_vgpr_msb 20                       ;  msbs: dst=0 src0=0 src1=1 src2=1
	v_add3_u32 v62, v62, v169 /*v425*/, v172 /*v428*/
	v_add3_u32 v43, v43, v184 /*v440*/, v185 /*v441*/
	s_set_vgpr_msb 1                        ;  msbs: dst=0 src0=1 src1=0 src2=0
	v_mul_i32_i24_e32 v64, v227 /*v483*/, v230
	v_mul_i32_i24_e32 v68, v207 /*v463*/, v233
	s_set_vgpr_msb 5                        ;  msbs: dst=0 src0=1 src1=1 src2=0
	v_add3_u32 v59, v194 /*v450*/, v193 /*v449*/, v59
	s_set_vgpr_msb 20                       ;  msbs: dst=0 src0=0 src1=1 src2=1
	v_add3_u32 v62, v62, v173 /*v429*/, v179 /*v435*/
	s_set_vgpr_msb 0                        ;  msbs: dst=0 src0=0 src1=0 src2=0
	v_mul_lo_u32 v43, v43, v122
	s_set_vgpr_msb 1                        ;  msbs: dst=0 src0=1 src1=0 src2=0
	v_mul_i32_i24_e32 v70, v228 /*v484*/, v238
	v_mul_i32_i24_e32 v72, v229 /*v485*/, v240
	s_set_vgpr_msb 0                        ;  msbs: dst=0 src0=0 src1=0 src2=0
	v_mul_lo_u32 v59, v59, v107
	s_set_vgpr_msb 20                       ;  msbs: dst=0 src0=0 src1=1 src2=1
	v_add3_u32 v62, v62, v180 /*v436*/, v181 /*v437*/
	s_set_vgpr_msb 0x44                     ;  msbs: dst=1 src0=0 src1=1 src2=0
	v_pk_fma_f32 v[164:165] /*v[420:421]*/, v[100:101], v[176:177] /*v[432:433]*/, 0 op_sel_hi:[0,1,0]
	s_set_vgpr_msb 1                        ;  msbs: dst=0 src0=1 src1=0 src2=0
	v_mul_i32_i24_e32 v151, v230 /*v486*/, v241
	v_mul_i32_i24_e32 v152, v208 /*v464*/, v243
	;; [unrolled: 1-line block ×3, first 2 shown]
	s_set_vgpr_msb 20                       ;  msbs: dst=0 src0=0 src1=1 src2=1
	v_add3_u32 v62, v62, v183 /*v439*/, v187 /*v443*/
	s_set_vgpr_msb 0x54                     ;  msbs: dst=1 src0=0 src1=1 src2=1
	v_pk_fma_f32 v[164:165] /*v[420:421]*/, v[104:105], v[170:171] /*v[426:427]*/, v[164:165] /*v[420:421]*/ op_sel_hi:[0,1,1]
	v_cvt_f32_i32_e32 v163 /*v419*/, v43
	s_set_vgpr_msb 1                        ;  msbs: dst=0 src0=1 src1=0 src2=0
	v_mul_i32_i24_e32 v43, v221 /*v477*/, v105
	v_mul_i32_i24_e32 v154, v232 /*v488*/, v248
	s_set_vgpr_msb 64                       ;  msbs: dst=1 src0=0 src1=0 src2=0
	v_cvt_f32_i32_e32 v166 /*v422*/, v59
	s_set_vgpr_msb 1                        ;  msbs: dst=0 src0=1 src1=0 src2=0
	v_mul_i32_i24_e32 v59, v224 /*v480*/, v222
	s_set_vgpr_msb 0x45                     ;  msbs: dst=1 src0=1 src1=1 src2=0
	v_pk_fma_f32 v[162:163] /*v[418:419]*/, v[174:175] /*v[430:431]*/, v[162:163] /*v[418:419]*/, 0 op_sel_hi:[1,1,0]
	s_set_vgpr_msb 4                        ;  msbs: dst=0 src0=0 src1=1 src2=0
	v_add3_u32 v43, v62, v218 /*v474*/, v43
	s_set_vgpr_msb 1                        ;  msbs: dst=0 src0=1 src1=0 src2=0
	v_mul_i32_i24_e32 v62, v206 /*v462*/, v224
	s_set_vgpr_msb 0x41                     ;  msbs: dst=1 src0=1 src1=0 src2=0
	v_pk_mul_f32 v[164:165] /*v[420:421]*/, v[164:165] /*v[420:421]*/, v[10:11]
	s_set_vgpr_msb 1                        ;  msbs: dst=0 src0=1 src1=0 src2=0
	v_mul_i32_i24_e32 v155, v233 /*v489*/, v249
	v_mul_i32_i24_e32 v156, v209 /*v465*/, v250
	s_set_vgpr_msb 0                        ;  msbs: dst=0 src0=0 src1=0 src2=0
	v_mul_lo_u32 v43, v43, v107
	s_set_vgpr_msb 1                        ;  msbs: dst=0 src0=1 src1=0 src2=0
	v_mul_i32_i24_e32 v157, v234 /*v490*/, v251
	v_mul_i32_i24_e32 v160, v235 /*v491*/, v252
	s_set_vgpr_msb 0x45                     ;  msbs: dst=1 src0=1 src1=1 src2=0
	v_mul_i32_i24_e32 v169 /*v425*/, v4 /*v260*/, v240 /*v496*/
	v_mul_i32_i24_e32 v172 /*v428*/, v3 /*v259*/, v241 /*v497*/
	v_mul_i32_i24_e32 v173 /*v429*/, v7 /*v263*/, v242 /*v498*/
	v_mul_i32_i24_e32 v179 /*v435*/, v5 /*v261*/, v212 /*v468*/
	v_mul_i32_i24_e32 v180 /*v436*/, v243 /*v499*/, v11 /*v267*/
	v_mul_i32_i24_e32 v181 /*v437*/, v244 /*v500*/, v13 /*v269*/
	v_mul_i32_i24_e32 v183 /*v439*/, v245 /*v501*/, v14 /*v270*/
	v_mul_i32_i24_e32 v184 /*v440*/, v213 /*v469*/, v16 /*v272*/
	s_set_vgpr_msb 64                       ;  msbs: dst=1 src0=0 src1=0 src2=0
	v_cvt_f32_i32_e32 v167 /*v423*/, v43
	s_set_vgpr_msb 1                        ;  msbs: dst=0 src0=1 src1=0 src2=0
	v_mul_i32_i24_e32 v43, v205 /*v461*/, v219
	s_set_vgpr_msb 0x44                     ;  msbs: dst=1 src0=0 src1=1 src2=0
	v_mul_i32_i24_e32 v185 /*v441*/, v58, v40 /*v296*/
	v_mul_i32_i24_e32 v187 /*v443*/, v60, v41 /*v297*/
	s_set_vgpr_msb 4                        ;  msbs: dst=0 src0=0 src1=1 src2=0
	v_mul_i32_i24_e32 v58, v58, v106 /*v362*/
	s_set_vgpr_msb 0x55                     ;  msbs: dst=1 src0=1 src1=1 src2=1
	v_pk_fma_f32 v[162:163] /*v[418:419]*/, v[188:189] /*v[444:445]*/, v[166:167] /*v[422:423]*/, v[162:163] /*v[418:419]*/
	s_set_vgpr_msb 1                        ;  msbs: dst=0 src0=1 src1=0 src2=0
	v_mad_i32_i24 v43, v223 /*v479*/, v217, v43
	s_set_vgpr_msb 0x45                     ;  msbs: dst=1 src0=1 src1=1 src2=0
	v_mul_i32_i24_e32 v166 /*v422*/, v2 /*v258*/, v239 /*v495*/
	v_mul_i32_i24_e32 v167 /*v423*/, v1 /*v257*/, v211 /*v467*/
	s_set_vgpr_msb 4                        ;  msbs: dst=0 src0=0 src1=1 src2=0
	v_mul_i32_i24_e32 v60, v60, v107 /*v363*/
	s_set_vgpr_msb 0x51                     ;  msbs: dst=1 src0=1 src1=0 src2=1
	v_pk_fma_f32 v[162:163] /*v[418:419]*/, v[162:163] /*v[418:419]*/, v[2:3], v[164:165] /*v[420:421]*/ neg_lo:[0,0,1] neg_hi:[0,0,1]
	s_set_vgpr_msb 0                        ;  msbs: dst=0 src0=0 src1=0 src2=0
	v_add3_u32 v43, v43, v59, v62
	s_set_vgpr_msb 1                        ;  msbs: dst=0 src0=1 src1=0 src2=0
	v_mul_i32_i24_e32 v59, v225 /*v481*/, v227
	v_mul_i32_i24_e32 v62, v226 /*v482*/, v228
	s_set_vgpr_msb 0x45                     ;  msbs: dst=1 src0=1 src1=1 src2=0
	v_mul_i32_i24_e32 v164 /*v420*/, v0 /*v256*/, v237 /*v493*/
	s_set_vgpr_msb 4                        ;  msbs: dst=0 src0=0 src1=1 src2=0
	v_pk_add_f32 v[48:49], v[48:49], v[162:163] /*v[418:419]*/
	s_set_vgpr_msb 0x41                     ;  msbs: dst=1 src0=1 src1=0 src2=0
	v_mul_i32_i24_e32 v162 /*v418*/, v236 /*v492*/, v253
	v_mul_i32_i24_e32 v163 /*v419*/, v210 /*v466*/, v254
	s_set_vgpr_msb 0                        ;  msbs: dst=0 src0=0 src1=0 src2=0
	v_add3_u32 v43, v43, v59, v62
	s_set_vgpr_msb 4                        ;  msbs: dst=0 src0=0 src1=1 src2=0
	v_mul_i32_i24_e32 v59, v150, v9 /*v265*/
	v_mul_i32_i24_e32 v62, v149, v6 /*v262*/
	s_set_vgpr_msb 0x44                     ;  msbs: dst=1 src0=0 src1=1 src2=0
	v_mul_i32_i24_e32 v165 /*v421*/, v255, v238 /*v494*/
	s_set_vgpr_msb 0                        ;  msbs: dst=0 src0=0 src1=0 src2=0
	v_add3_u32 v43, v43, v64, v68
	s_set_vgpr_msb 4                        ;  msbs: dst=0 src0=0 src1=1 src2=0
	v_mul_i32_i24_e32 v64, v148, v12 /*v268*/
	v_mad_i32_i24 v59, v65, v8 /*v264*/, v59
	s_set_vgpr_msb 5                        ;  msbs: dst=0 src0=1 src1=1 src2=0
	v_mul_i32_i24_e32 v68, v190 /*v446*/, v10 /*v266*/
	s_set_vgpr_msb 0                        ;  msbs: dst=0 src0=0 src1=0 src2=0
	v_add3_u32 v43, v43, v70, v72
	s_set_vgpr_msb 5                        ;  msbs: dst=0 src0=1 src1=1 src2=0
	v_mul_i32_i24_e32 v70, v178 /*v434*/, v19 /*v275*/
	s_set_vgpr_msb 0                        ;  msbs: dst=0 src0=0 src1=0 src2=0
	v_add3_u32 v59, v59, v62, v64
	s_set_vgpr_msb 5                        ;  msbs: dst=0 src0=1 src1=1 src2=0
	v_mul_i32_i24_e32 v62, v214 /*v470*/, v15 /*v271*/
	s_set_vgpr_msb 4                        ;  msbs: dst=0 src0=0 src1=1 src2=0
	v_mul_i32_i24_e32 v64, v69, v17 /*v273*/
	s_set_vgpr_msb 0                        ;  msbs: dst=0 src0=0 src1=0 src2=0
	v_add3_u32 v43, v43, v151, v152
	s_set_vgpr_msb 5                        ;  msbs: dst=0 src0=1 src1=1 src2=0
	v_mul_i32_i24_e32 v72, v216 /*v472*/, v20 /*v276*/
	s_set_vgpr_msb 4                        ;  msbs: dst=0 src0=0 src1=1 src2=0
	v_mul_i32_i24_e32 v151, v91, v21 /*v277*/
	s_set_vgpr_msb 5                        ;  msbs: dst=0 src0=1 src1=1 src2=0
	v_mul_i32_i24_e32 v152, v246 /*v502*/, v18 /*v274*/
	s_set_vgpr_msb 0                        ;  msbs: dst=0 src0=0 src1=0 src2=0
	v_add3_u32 v59, v59, v62, v64
	v_add3_u32 v43, v43, v153, v154
	s_set_vgpr_msb 21                       ;  msbs: dst=0 src0=1 src1=1 src2=1
	v_mul_i32_i24_e32 v153, v215 /*v471*/, v23 /*v279*/
	v_mul_i32_i24_e32 v154, v217 /*v473*/, v24 /*v280*/
	v_add3_u32 v62, v197 /*v453*/, v195 /*v451*/, v196 /*v452*/
	s_set_vgpr_msb 0                        ;  msbs: dst=0 src0=0 src1=0 src2=0
	v_add3_u32 v59, v59, v68, v70
	v_add3_u32 v43, v43, v155, v156
	s_set_vgpr_msb 4                        ;  msbs: dst=0 src0=0 src1=1 src2=0
	v_mul_i32_i24_e32 v155, v93, v25 /*v281*/
	s_set_vgpr_msb 5                        ;  msbs: dst=0 src0=1 src1=1 src2=0
	v_mul_i32_i24_e32 v156, v252 /*v508*/, v22 /*v278*/
	s_set_vgpr_msb 0                        ;  msbs: dst=0 src0=0 src1=0 src2=0
	v_mul_lo_u32 v62, v62, v205
	v_add3_u32 v59, v59, v72, v151
	v_add3_u32 v43, v43, v157, v160
	s_set_vgpr_msb 5                        ;  msbs: dst=0 src0=1 src1=1 src2=0
	v_mul_i32_i24_e32 v157, v251 /*v507*/, v26 /*v282*/
	v_mul_i32_i24_e32 v160, v168 /*v424*/, v27 /*v283*/
	;; [unrolled: 1-line block ×3, first 2 shown]
	s_set_vgpr_msb 0                        ;  msbs: dst=0 src0=0 src1=0 src2=0
	v_add3_u32 v59, v59, v152, v153
	s_set_vgpr_msb 20                       ;  msbs: dst=0 src0=0 src1=1 src2=1
	v_add3_u32 v43, v43, v162 /*v418*/, v163 /*v419*/
	s_set_vgpr_msb 0x44                     ;  msbs: dst=1 src0=0 src1=1 src2=0
	v_mul_i32_i24_e32 v162 /*v418*/, v159, v28 /*v284*/
	v_mul_i32_i24_e32 v163 /*v419*/, v158, v30 /*v286*/
	s_set_vgpr_msb 5                        ;  msbs: dst=0 src0=1 src1=1 src2=0
	v_mul_i32_i24_e32 v68, v207 /*v463*/, v52 /*v308*/
	s_set_vgpr_msb 0                        ;  msbs: dst=0 src0=0 src1=0 src2=0
	v_add3_u32 v59, v59, v154, v155
	s_set_vgpr_msb 20                       ;  msbs: dst=0 src0=0 src1=1 src2=1
	v_add3_u32 v43, v43, v164 /*v420*/, v165 /*v421*/
	s_set_vgpr_msb 0x44                     ;  msbs: dst=1 src0=0 src1=1 src2=0
	v_mul_i32_i24_e32 v164 /*v420*/, v61, v29 /*v285*/
	s_set_vgpr_msb 0x45                     ;  msbs: dst=1 src0=1 src1=1 src2=0
	v_mul_i32_i24_e32 v165 /*v421*/, v219 /*v475*/, v31 /*v287*/
	s_set_vgpr_msb 5                        ;  msbs: dst=0 src0=1 src1=1 src2=0
	v_mul_i32_i24_e32 v70, v228 /*v484*/, v53 /*v309*/
	s_set_vgpr_msb 0                        ;  msbs: dst=0 src0=0 src1=0 src2=0
	v_add3_u32 v59, v59, v156, v157
	s_set_vgpr_msb 20                       ;  msbs: dst=0 src0=0 src1=1 src2=1
	v_add3_u32 v43, v43, v166 /*v422*/, v167 /*v423*/
	s_set_vgpr_msb 0x44                     ;  msbs: dst=1 src0=0 src1=1 src2=0
	v_mul_i32_i24_e32 v166 /*v422*/, v161, v32 /*v288*/
	s_set_vgpr_msb 0x45                     ;  msbs: dst=1 src0=1 src1=1 src2=0
	v_mul_i32_i24_e32 v167 /*v423*/, v222 /*v478*/, v34 /*v290*/
	s_set_vgpr_msb 5                        ;  msbs: dst=0 src0=1 src1=1 src2=0
	v_mul_i32_i24_e32 v72, v229 /*v485*/, v54 /*v310*/
	s_set_vgpr_msb 16                       ;  msbs: dst=0 src0=0 src1=0 src2=1
	v_add3_u32 v59, v59, v160, v162 /*v418*/
	s_set_vgpr_msb 20                       ;  msbs: dst=0 src0=0 src1=1 src2=1
	v_add3_u32 v43, v43, v169 /*v425*/, v172 /*v428*/
	s_set_vgpr_msb 0x45                     ;  msbs: dst=1 src0=1 src1=1 src2=0
	v_mul_i32_i24_e32 v169 /*v425*/, v186 /*v442*/, v33 /*v289*/
	v_mul_i32_i24_e32 v172 /*v428*/, v220 /*v476*/, v35 /*v291*/
	s_set_vgpr_msb 64                       ;  msbs: dst=1 src0=0 src1=0 src2=0
	v_cvt_f32_i32_e32 v162 /*v418*/, v62
	s_set_vgpr_msb 20                       ;  msbs: dst=0 src0=0 src1=1 src2=1
	v_add3_u32 v59, v59, v163 /*v419*/, v164 /*v420*/
	v_add3_u32 v43, v43, v173 /*v429*/, v179 /*v435*/
	s_set_vgpr_msb 0x44                     ;  msbs: dst=1 src0=0 src1=1 src2=0
	v_mul_i32_i24_e32 v173 /*v429*/, v162, v36 /*v292*/
	v_mul_i32_i24_e32 v179 /*v435*/, v66, v38 /*v294*/
	s_set_vgpr_msb 1                        ;  msbs: dst=0 src0=1 src1=0 src2=0
	v_mul_i32_i24_e32 v62, v161 /*v417*/, v109
	s_set_vgpr_msb 20                       ;  msbs: dst=0 src0=0 src1=1 src2=1
	v_add3_u32 v59, v59, v165 /*v421*/, v166 /*v422*/
	v_add3_u32 v43, v43, v180 /*v436*/, v181 /*v437*/
	s_set_vgpr_msb 0x45                     ;  msbs: dst=1 src0=1 src1=1 src2=0
	v_mul_i32_i24_e32 v180 /*v436*/, v182 /*v438*/, v37 /*v293*/
	s_set_vgpr_msb 0x44                     ;  msbs: dst=1 src0=0 src1=1 src2=0
	v_mul_i32_i24_e32 v181 /*v437*/, v163, v39 /*v295*/
	s_set_vgpr_msb 5                        ;  msbs: dst=0 src0=1 src1=1 src2=0
	v_add3_u32 v62, v199 /*v455*/, v198 /*v454*/, v62
	s_set_vgpr_msb 20                       ;  msbs: dst=0 src0=0 src1=1 src2=1
	v_add3_u32 v59, v59, v167 /*v423*/, v169 /*v425*/
	v_add3_u32 v43, v43, v183 /*v439*/, v184 /*v440*/
	s_set_vgpr_msb 0x44                     ;  msbs: dst=1 src0=0 src1=1 src2=0
	v_pk_fma_f32 v[164:165] /*v[420:421]*/, v[102:103], v[176:177] /*v[432:433]*/, 0 op_sel_hi:[0,1,0]
	s_set_vgpr_msb 5                        ;  msbs: dst=0 src0=1 src1=1 src2=0
	v_mul_i32_i24_e32 v151, v230 /*v486*/, v55 /*v311*/
	v_mul_i32_i24_e32 v152, v208 /*v464*/, v56 /*v312*/
	s_set_vgpr_msb 20                       ;  msbs: dst=0 src0=0 src1=1 src2=1
	v_add3_u32 v59, v59, v172 /*v428*/, v173 /*v429*/
	s_set_vgpr_msb 0                        ;  msbs: dst=0 src0=0 src1=0 src2=0
	v_mul_lo_u32 v43, v43, v205
	s_set_vgpr_msb 0x54                     ;  msbs: dst=1 src0=0 src1=1 src2=1
	v_pk_fma_f32 v[164:165] /*v[420:421]*/, v[106:107], v[170:171] /*v[426:427]*/, v[164:165] /*v[420:421]*/ op_sel_hi:[0,1,1]
	s_set_vgpr_msb 5                        ;  msbs: dst=0 src0=1 src1=1 src2=0
	v_mul_i32_i24_e32 v153, v231 /*v487*/, v57 /*v313*/
	v_mul_i32_i24_e32 v154, v232 /*v488*/, v58 /*v314*/
	s_set_vgpr_msb 20                       ;  msbs: dst=0 src0=0 src1=1 src2=1
	v_add3_u32 v59, v59, v179 /*v435*/, v180 /*v436*/
	s_set_vgpr_msb 5                        ;  msbs: dst=0 src0=1 src1=1 src2=0
	v_mul_i32_i24_e32 v155, v233 /*v489*/, v59 /*v315*/
	s_set_vgpr_msb 0x41                     ;  msbs: dst=1 src0=1 src1=0 src2=0
	v_pk_mul_f32 v[164:165] /*v[420:421]*/, v[164:165] /*v[420:421]*/, v[12:13]
	s_set_vgpr_msb 5                        ;  msbs: dst=0 src0=1 src1=1 src2=0
	v_mul_i32_i24_e32 v156, v209 /*v465*/, v60 /*v316*/
	s_set_vgpr_msb 20                       ;  msbs: dst=0 src0=0 src1=1 src2=1
	v_mul_i32_i24_e32 v93, v93, v91 /*v347*/
	v_add3_u32 v59, v59, v181 /*v437*/, v185 /*v441*/
	s_set_vgpr_msb 5                        ;  msbs: dst=0 src0=1 src1=1 src2=0
	v_mul_i32_i24_e32 v157, v234 /*v490*/, v61 /*v317*/
	s_set_vgpr_msb 64                       ;  msbs: dst=1 src0=0 src1=0 src2=0
	v_cvt_f32_i32_e32 v163 /*v419*/, v43
	s_set_vgpr_msb 1                        ;  msbs: dst=0 src0=1 src1=0 src2=0
	v_mul_i32_i24_e32 v43, v221 /*v477*/, v109
	s_set_vgpr_msb 5                        ;  msbs: dst=0 src0=1 src1=1 src2=0
	v_mul_i32_i24_e32 v160, v235 /*v491*/, v62 /*v318*/
	s_set_vgpr_msb 4                        ;  msbs: dst=0 src0=0 src1=1 src2=0
	v_mul_i32_i24_e32 v61, v61, v95 /*v351*/
	s_set_vgpr_msb 0x45                     ;  msbs: dst=1 src0=1 src1=1 src2=0
	v_mul_i32_i24_e32 v169 /*v425*/, v70 /*v326*/, v240 /*v496*/
	v_pk_fma_f32 v[162:163] /*v[418:419]*/, v[174:175] /*v[430:431]*/, v[162:163] /*v[418:419]*/, 0 op_sel_hi:[1,1,0]
	s_set_vgpr_msb 4                        ;  msbs: dst=0 src0=0 src1=1 src2=0
	v_add3_u32 v43, v59, v187 /*v443*/, v43
	s_set_vgpr_msb 0                        ;  msbs: dst=0 src0=0 src1=0 src2=0
	v_mul_lo_u32 v59, v62, v111
	s_set_vgpr_msb 5                        ;  msbs: dst=0 src0=1 src1=1 src2=0
	v_mul_i32_i24_e32 v62, v206 /*v462*/, v48 /*v304*/
	s_set_vgpr_msb 0x45                     ;  msbs: dst=1 src0=1 src1=1 src2=0
	v_mul_i32_i24_e32 v172 /*v428*/, v69 /*v325*/, v241 /*v497*/
	v_mul_i32_i24_e32 v173 /*v429*/, v73 /*v329*/, v242 /*v498*/
	s_set_vgpr_msb 0                        ;  msbs: dst=0 src0=0 src1=0 src2=0
	v_mul_lo_u32 v43, v43, v111
	s_set_vgpr_msb 0x45                     ;  msbs: dst=1 src0=1 src1=1 src2=0
	v_mul_i32_i24_e32 v179 /*v435*/, v71 /*v327*/, v212 /*v468*/
	v_mul_i32_i24_e32 v180 /*v436*/, v243 /*v499*/, v77 /*v333*/
	;; [unrolled: 1-line block ×3, first 2 shown]
	s_set_vgpr_msb 4                        ;  msbs: dst=0 src0=0 src1=1 src2=0
	v_mul_i32_i24_e32 v66, v66, v104 /*v360*/
	s_set_vgpr_msb 0x45                     ;  msbs: dst=1 src0=1 src1=1 src2=0
	v_mul_i32_i24_e32 v183 /*v439*/, v245 /*v501*/, v80 /*v336*/
	v_mul_i32_i24_e32 v184 /*v440*/, v213 /*v469*/, v82 /*v338*/
	s_set_vgpr_msb 64                       ;  msbs: dst=1 src0=0 src1=0 src2=0
	v_cvt_f32_i32_e32 v166 /*v422*/, v59
	s_set_vgpr_msb 5                        ;  msbs: dst=0 src0=1 src1=1 src2=0
	v_mul_i32_i24_e32 v59, v224 /*v480*/, v47 /*v303*/
	s_set_vgpr_msb 64                       ;  msbs: dst=1 src0=0 src1=0 src2=0
	v_cvt_f32_i32_e32 v167 /*v423*/, v43
	s_set_vgpr_msb 5                        ;  msbs: dst=0 src0=1 src1=1 src2=0
	v_mul_i32_i24_e32 v43, v205 /*v461*/, v46 /*v302*/
	s_set_vgpr_msb 0x55                     ;  msbs: dst=1 src0=1 src1=1 src2=1
	s_delay_alu instid0(VALU_DEP_2) | instskip(SKIP_1) | instid1(VALU_DEP_2)
	v_pk_fma_f32 v[162:163] /*v[418:419]*/, v[188:189] /*v[444:445]*/, v[166:167] /*v[422:423]*/, v[162:163] /*v[418:419]*/
	s_set_vgpr_msb 5                        ;  msbs: dst=0 src0=1 src1=1 src2=0
	v_mad_i32_i24 v43, v223 /*v479*/, v45 /*v301*/, v43
	s_set_vgpr_msb 0x45                     ;  msbs: dst=1 src0=1 src1=1 src2=0
	v_mul_i32_i24_e32 v166 /*v422*/, v68 /*v324*/, v239 /*v495*/
	v_mul_i32_i24_e32 v167 /*v423*/, v67 /*v323*/, v211 /*v467*/
	s_set_vgpr_msb 0x51                     ;  msbs: dst=1 src0=1 src1=0 src2=1
	v_pk_fma_f32 v[162:163] /*v[418:419]*/, v[162:163] /*v[418:419]*/, v[4:5], v[164:165] /*v[420:421]*/ neg_lo:[0,0,1] neg_hi:[0,0,1]
	s_set_vgpr_msb 0                        ;  msbs: dst=0 src0=0 src1=0 src2=0
	v_add3_u32 v43, v43, v59, v62
	s_set_vgpr_msb 5                        ;  msbs: dst=0 src0=1 src1=1 src2=0
	v_mul_i32_i24_e32 v59, v225 /*v481*/, v49 /*v305*/
	v_mul_i32_i24_e32 v62, v226 /*v482*/, v50 /*v306*/
	s_set_vgpr_msb 0x45                     ;  msbs: dst=1 src0=1 src1=1 src2=0
	v_mul_i32_i24_e32 v164 /*v420*/, v66 /*v322*/, v237 /*v493*/
	s_set_vgpr_msb 4                        ;  msbs: dst=0 src0=0 src1=1 src2=0
	v_pk_add_f32 v[46:47], v[46:47], v[162:163] /*v[418:419]*/
	s_set_vgpr_msb 0x45                     ;  msbs: dst=1 src0=1 src1=1 src2=0
	v_mul_i32_i24_e32 v162 /*v418*/, v236 /*v492*/, v63 /*v319*/
	v_mul_i32_i24_e32 v163 /*v419*/, v210 /*v466*/, v64 /*v320*/
	s_set_vgpr_msb 0                        ;  msbs: dst=0 src0=0 src1=0 src2=0
	v_add3_u32 v43, v43, v59, v62
	s_set_vgpr_msb 4                        ;  msbs: dst=0 src0=0 src1=1 src2=0
	v_mul_i32_i24_e32 v59, v150, v75 /*v331*/
	v_mul_i32_i24_e32 v62, v149, v72 /*v328*/
	s_set_vgpr_msb 5                        ;  msbs: dst=0 src0=1 src1=1 src2=0
	v_mul_i32_i24_e32 v149, v252 /*v508*/, v88 /*v344*/
	v_mul_i32_i24_e32 v150, v251 /*v507*/, v92 /*v348*/
	s_set_vgpr_msb 0                        ;  msbs: dst=0 src0=0 src1=0 src2=0
	v_add3_u32 v43, v43, v64, v68
	s_set_vgpr_msb 4                        ;  msbs: dst=0 src0=0 src1=1 src2=0
	v_mul_i32_i24_e32 v64, v148, v78 /*v334*/
	v_mad_i32_i24 v59, v65, v74 /*v330*/, v59
	s_set_vgpr_msb 5                        ;  msbs: dst=0 src0=1 src1=1 src2=0
	v_mul_i32_i24_e32 v65, v190 /*v446*/, v76 /*v332*/
	v_mul_i32_i24_e32 v68, v178 /*v434*/, v85 /*v341*/
	s_set_vgpr_msb 0                        ;  msbs: dst=0 src0=0 src1=0 src2=0
	v_add3_u32 v43, v43, v70, v72
	s_set_vgpr_msb 4                        ;  msbs: dst=0 src0=0 src1=1 src2=0
	v_mul_i32_i24_e32 v70, v91, v87 /*v343*/
	s_set_vgpr_msb 0                        ;  msbs: dst=0 src0=0 src1=0 src2=0
	v_add3_u32 v59, v59, v62, v64
	s_set_vgpr_msb 5                        ;  msbs: dst=0 src0=1 src1=1 src2=0
	v_mul_i32_i24_e32 v62, v214 /*v470*/, v81 /*v337*/
	s_set_vgpr_msb 4                        ;  msbs: dst=0 src0=0 src1=1 src2=0
	v_mul_i32_i24_e32 v64, v69, v83 /*v339*/
	s_set_vgpr_msb 5                        ;  msbs: dst=0 src0=1 src1=1 src2=0
	v_mul_i32_i24_e32 v69, v216 /*v472*/, v86 /*v342*/
	s_set_vgpr_msb 0                        ;  msbs: dst=0 src0=0 src1=0 src2=0
	v_add3_u32 v43, v43, v151, v152
	s_set_vgpr_msb 5                        ;  msbs: dst=0 src0=1 src1=1 src2=0
	v_mul_i32_i24_e32 v72, v246 /*v502*/, v84 /*v340*/
	v_mul_i32_i24_e32 v91, v215 /*v471*/, v89 /*v345*/
	s_set_vgpr_msb 0                        ;  msbs: dst=0 src0=0 src1=0 src2=0
	v_add3_u32 v59, v59, v62, v64
	s_set_vgpr_msb 5                        ;  msbs: dst=0 src0=1 src1=1 src2=0
	v_mul_i32_i24_e32 v148, v217 /*v473*/, v90 /*v346*/
	s_set_vgpr_msb 0                        ;  msbs: dst=0 src0=0 src1=0 src2=0
	v_add3_u32 v43, v43, v153, v154
	s_set_vgpr_msb 5                        ;  msbs: dst=0 src0=1 src1=1 src2=0
	v_mul_i32_i24_e32 v151, v168 /*v424*/, v93 /*v349*/
	s_set_vgpr_msb 4                        ;  msbs: dst=0 src0=0 src1=1 src2=0
	v_mul_i32_i24_e32 v152, v159, v94 /*v350*/
	s_set_vgpr_msb 0                        ;  msbs: dst=0 src0=0 src1=0 src2=0
	v_add3_u32 v59, v59, v65, v68
	s_set_vgpr_msb 0x45                     ;  msbs: dst=1 src0=1 src1=1 src2=0
	v_mul_i32_i24_e32 v165 /*v421*/, v65 /*v321*/, v238 /*v494*/
	s_set_vgpr_msb 0                        ;  msbs: dst=0 src0=0 src1=0 src2=0
	v_add3_u32 v43, v43, v155, v156
	s_set_vgpr_msb 4                        ;  msbs: dst=0 src0=0 src1=1 src2=0
	v_mul_i32_i24_e32 v153, v158, v96 /*v352*/
	s_set_vgpr_msb 5                        ;  msbs: dst=0 src0=1 src1=1 src2=0
	v_mul_i32_i24_e32 v154, v219 /*v475*/, v97 /*v353*/
	s_set_vgpr_msb 0                        ;  msbs: dst=0 src0=0 src1=0 src2=0
	v_add3_u32 v59, v59, v69, v70
	s_set_vgpr_msb 4                        ;  msbs: dst=0 src0=0 src1=1 src2=0
	v_mul_i32_i24_e32 v155, v161, v98 /*v354*/
	s_set_vgpr_msb 0                        ;  msbs: dst=0 src0=0 src1=0 src2=0
	v_add3_u32 v43, v43, v157, v160
	s_set_vgpr_msb 5                        ;  msbs: dst=0 src0=1 src1=1 src2=0
	v_mul_i32_i24_e32 v156, v222 /*v478*/, v100 /*v356*/
	v_mul_i32_i24_e32 v157, v186 /*v442*/, v99 /*v355*/
	s_set_vgpr_msb 0                        ;  msbs: dst=0 src0=0 src1=0 src2=0
	v_add3_u32 v59, v59, v72, v91
	s_set_vgpr_msb 5                        ;  msbs: dst=0 src0=1 src1=1 src2=0
	v_mul_i32_i24_e32 v158, v220 /*v476*/, v101 /*v357*/
	s_set_vgpr_msb 20                       ;  msbs: dst=0 src0=0 src1=1 src2=1
	v_add3_u32 v43, v43, v162 /*v418*/, v163 /*v419*/
	v_mul_i32_i24_e32 v159, v162, v102 /*v358*/
	s_set_vgpr_msb 5                        ;  msbs: dst=0 src0=1 src1=1 src2=0
	v_mul_i32_i24_e32 v160, v182 /*v438*/, v103 /*v359*/
	s_set_vgpr_msb 0                        ;  msbs: dst=0 src0=0 src1=0 src2=0
	v_add3_u32 v59, v59, v148, v93
	s_set_vgpr_msb 20                       ;  msbs: dst=0 src0=0 src1=1 src2=1
	v_mul_i32_i24_e32 v161, v163, v105 /*v361*/
	v_add3_u32 v43, v43, v164 /*v420*/, v165 /*v421*/
	s_set_vgpr_msb 0x44                     ;  msbs: dst=1 src0=0 src1=1 src2=0
	v_pk_fma_f32 v[164:165] /*v[420:421]*/, v[110:111], v[176:177] /*v[432:433]*/, 0 op_sel_hi:[0,1,0]
	s_set_vgpr_msb 0                        ;  msbs: dst=0 src0=0 src1=0 src2=0
	v_add3_u32 v59, v59, v149, v150
	s_set_vgpr_msb 20                       ;  msbs: dst=0 src0=0 src1=1 src2=1
	v_add3_u32 v43, v43, v166 /*v422*/, v167 /*v423*/
	s_set_vgpr_msb 0x54                     ;  msbs: dst=1 src0=0 src1=1 src2=1
	v_pk_fma_f32 v[164:165] /*v[420:421]*/, v[108:109], v[170:171] /*v[426:427]*/, v[164:165] /*v[420:421]*/ op_sel_hi:[0,1,1]
	s_set_vgpr_msb 0                        ;  msbs: dst=0 src0=0 src1=0 src2=0
	v_add3_u32 v59, v59, v151, v152
	s_set_vgpr_msb 20                       ;  msbs: dst=0 src0=0 src1=1 src2=1
	v_add3_u32 v43, v43, v169 /*v425*/, v172 /*v428*/
	s_set_vgpr_msb 0x41                     ;  msbs: dst=1 src0=1 src1=0 src2=0
	v_pk_mul_f32 v[164:165] /*v[420:421]*/, v[164:165] /*v[420:421]*/, v[14:15]
	s_set_vgpr_msb 0                        ;  msbs: dst=0 src0=0 src1=0 src2=0
	v_add3_u32 v59, v59, v153, v61
	s_set_vgpr_msb 20                       ;  msbs: dst=0 src0=0 src1=1 src2=1
	v_add3_u32 v43, v43, v173 /*v429*/, v179 /*v435*/
	s_set_vgpr_msb 0                        ;  msbs: dst=0 src0=0 src1=0 src2=0
	s_delay_alu instid0(VALU_DEP_2) | instskip(SKIP_1) | instid1(VALU_DEP_2)
	v_add3_u32 v59, v59, v154, v155
	s_set_vgpr_msb 20                       ;  msbs: dst=0 src0=0 src1=1 src2=1
	v_add3_u32 v43, v43, v180 /*v436*/, v181 /*v437*/
	s_set_vgpr_msb 0                        ;  msbs: dst=0 src0=0 src1=0 src2=0
	s_delay_alu instid0(VALU_DEP_2) | instskip(SKIP_1) | instid1(VALU_DEP_2)
	;; [unrolled: 5-line block ×3, first 2 shown]
	v_add3_u32 v59, v59, v158, v159
	s_set_vgpr_msb 4                        ;  msbs: dst=0 src0=0 src1=1 src2=0
	v_mul_lo_u32 v43, v43, v44 /*v300*/
	s_set_vgpr_msb 0                        ;  msbs: dst=0 src0=0 src1=0 src2=0
	s_delay_alu instid0(VALU_DEP_2) | instskip(NEXT) | instid1(VALU_DEP_1)
	v_add3_u32 v59, v59, v66, v160
	v_add3_u32 v58, v59, v161, v58
	s_set_vgpr_msb 21                       ;  msbs: dst=0 src0=1 src1=1 src2=1
	v_add3_u32 v59, v202 /*v458*/, v200 /*v456*/, v201 /*v457*/
	s_set_vgpr_msb 64                       ;  msbs: dst=1 src0=0 src1=0 src2=0
	s_delay_alu instid0(VALU_DEP_4)
	v_cvt_f32_i32_e32 v163 /*v419*/, v43
	s_set_vgpr_msb 5                        ;  msbs: dst=0 src0=1 src1=1 src2=0
	v_mul_i32_i24_e32 v43, v221 /*v477*/, v42 /*v298*/
	s_set_vgpr_msb 4                        ;  msbs: dst=0 src0=0 src1=1 src2=0
	v_mul_lo_u32 v59, v59, v44 /*v300*/
	s_set_vgpr_msb 0                        ;  msbs: dst=0 src0=0 src1=0 src2=0
	s_delay_alu instid0(VALU_DEP_2) | instskip(SKIP_1) | instid1(VALU_DEP_1)
	v_add3_u32 v43, v58, v60, v43
	s_set_vgpr_msb 4                        ;  msbs: dst=0 src0=0 src1=1 src2=0
	v_mul_lo_u32 v43, v43, v43 /*v299*/
	s_set_vgpr_msb 64                       ;  msbs: dst=1 src0=0 src1=0 src2=0
	s_delay_alu instid0(VALU_DEP_3) | instskip(SKIP_3) | instid1(VALU_DEP_2)
	v_cvt_f32_i32_e32 v162 /*v418*/, v59
	s_set_vgpr_msb 5                        ;  msbs: dst=0 src0=1 src1=1 src2=0
	v_mul_i32_i24_e32 v59, v161 /*v417*/, v42 /*v298*/
	s_set_vgpr_msb 0x45                     ;  msbs: dst=1 src0=1 src1=1 src2=0
	v_pk_fma_f32 v[162:163] /*v[418:419]*/, v[174:175] /*v[430:431]*/, v[162:163] /*v[418:419]*/, 0 op_sel_hi:[1,1,0]
	s_set_vgpr_msb 5                        ;  msbs: dst=0 src0=1 src1=1 src2=0
	s_delay_alu instid0(VALU_DEP_2)
	v_add3_u32 v59, v204 /*v460*/, v203 /*v459*/, v59
	s_set_vgpr_msb 64                       ;  msbs: dst=1 src0=0 src1=0 src2=0
	v_cvt_f32_i32_e32 v167 /*v423*/, v43
	s_set_vgpr_msb 0                        ;  msbs: dst=0 src0=0 src1=0 src2=0
	v_or_b32_e32 v43, s8, v138
	s_set_vgpr_msb 4                        ;  msbs: dst=0 src0=0 src1=1 src2=0
	v_mul_lo_u32 v58, v59, v43 /*v299*/
	s_set_vgpr_msb 64                       ;  msbs: dst=1 src0=0 src1=0 src2=0
	s_delay_alu instid0(VALU_DEP_2) | instskip(NEXT) | instid1(VALU_DEP_2)
	v_lshrrev_b32_e32 v161 /*v417*/, 1, v43
	v_cvt_f32_i32_e32 v166 /*v422*/, v58
	s_set_vgpr_msb 0                        ;  msbs: dst=0 src0=0 src1=0 src2=0
	v_lshlrev_b32_e32 v58, 2, v43
	s_set_vgpr_msb 0x55                     ;  msbs: dst=1 src0=1 src1=1 src2=1
	s_delay_alu instid0(VALU_DEP_2) | instskip(SKIP_1) | instid1(VALU_DEP_1)
	v_pk_fma_f32 v[162:163] /*v[418:419]*/, v[188:189] /*v[444:445]*/, v[166:167] /*v[422:423]*/, v[162:163] /*v[418:419]*/
	s_set_vgpr_msb 0x51                     ;  msbs: dst=1 src0=1 src1=0 src2=1
	v_pk_fma_f32 v[162:163] /*v[418:419]*/, v[162:163] /*v[418:419]*/, v[6:7], v[164:165] /*v[420:421]*/ neg_lo:[0,0,1] neg_hi:[0,0,1]
	s_set_vgpr_msb 4                        ;  msbs: dst=0 src0=0 src1=1 src2=0
	s_delay_alu instid0(VALU_DEP_1)
	v_pk_add_f32 v[40:41], v[40:41], v[162:163] /*v[418:419]*/
	s_set_vgpr_msb 64                       ;  msbs: dst=1 src0=0 src1=0 src2=0
	ds_load_b128 v[162:165] /*v[418:421]*/, v58 offset:16896
	ds_load_b128 v[166:169] /*v[422:425]*/, v58 offset:16912
	;; [unrolled: 1-line block ×4, first 2 shown]
	s_wait_dscnt 0x3
	s_set_vgpr_msb 1                        ;  msbs: dst=0 src0=1 src1=0 src2=0
	v_bfe_i32 v43, v162 /*v418*/, 0, 8
	v_bfe_i32 v58, v162 /*v418*/, 8, 8
	;; [unrolled: 1-line block ×3, first 2 shown]
	s_set_vgpr_msb 4                        ;  msbs: dst=0 src0=0 src1=1 src2=0
	v_dual_ashrrev_i32 v61, 24, v162 /*v418*/ :: v_dual_ashrrev_i32 v149, 24, v165 /*v421*/
	s_set_vgpr_msb 1                        ;  msbs: dst=0 src0=1 src1=0 src2=0
	v_bfe_i32 v68, v164 /*v420*/, 0, 8
	v_bfe_i32 v69, v164 /*v420*/, 8, 8
	;; [unrolled: 1-line block ×3, first 2 shown]
	s_set_vgpr_msb 4                        ;  msbs: dst=0 src0=0 src1=1 src2=0
	v_ashrrev_i32_e32 v72, 24, v164 /*v420*/
	s_set_vgpr_msb 64                       ;  msbs: dst=1 src0=0 src1=0 src2=0
	v_mul_i32_i24_e32 v164 /*v420*/, v43, v121
	s_set_vgpr_msb 1                        ;  msbs: dst=0 src0=1 src1=0 src2=0
	v_bfe_i32 v62, v163 /*v419*/, 0, 8
	v_bfe_i32 v64, v163 /*v419*/, 8, 8
	;; [unrolled: 1-line block ×5, first 2 shown]
	s_wait_dscnt 0x2
	v_bfe_i32 v150, v166 /*v422*/, 0, 8
	v_bfe_i32 v151, v166 /*v422*/, 8, 8
	;; [unrolled: 1-line block ×3, first 2 shown]
	s_set_vgpr_msb 4                        ;  msbs: dst=0 src0=0 src1=1 src2=0
	v_dual_ashrrev_i32 v153, 24, v166 /*v422*/ :: v_dual_ashrrev_i32 v157, 24, v167 /*v423*/
	s_set_vgpr_msb 0x44                     ;  msbs: dst=1 src0=0 src1=1 src2=0
	v_mul_i32_i24_e32 v165 /*v421*/, v60, v108 /*v364*/
	v_mul_i32_i24_e32 v166 /*v422*/, v61, v109 /*v365*/
	s_set_vgpr_msb 0x50                     ;  msbs: dst=1 src0=0 src1=0 src2=1
	v_mad_i32_i24 v164 /*v420*/, v58, v120, v164 /*v420*/
	s_set_vgpr_msb 1                        ;  msbs: dst=0 src0=1 src1=0 src2=0
	v_bfe_i32 v65, v163 /*v419*/, 16, 8
	s_set_vgpr_msb 4                        ;  msbs: dst=0 src0=0 src1=1 src2=0
	v_ashrrev_i32_e32 v66, 24, v163 /*v419*/
	s_set_vgpr_msb 1                        ;  msbs: dst=0 src0=1 src1=0 src2=0
	v_bfe_i32 v154, v167 /*v423*/, 0, 8
	v_bfe_i32 v155, v167 /*v423*/, 8, 8
	s_set_vgpr_msb 0x55                     ;  msbs: dst=1 src0=1 src1=1 src2=1
	v_add3_u32 v164 /*v420*/, v164 /*v420*/, v165 /*v421*/, v166 /*v422*/
	s_set_vgpr_msb 0x44                     ;  msbs: dst=1 src0=0 src1=1 src2=0
	v_mul_i32_i24_e32 v165 /*v421*/, v62, v110 /*v366*/
	v_mul_i32_i24_e32 v166 /*v422*/, v64, v111 /*v367*/
	s_set_vgpr_msb 1                        ;  msbs: dst=0 src0=1 src1=0 src2=0
	v_bfe_i32 v156, v167 /*v423*/, 16, 8
	v_bfe_i32 v162, v169 /*v425*/, 0, 8
	;; [unrolled: 1-line block ×3, first 2 shown]
	s_set_vgpr_msb 0x41                     ;  msbs: dst=1 src0=1 src1=0 src2=0
	v_bfe_i32 v162 /*v418*/, v169 /*v425*/, 16, 8
	s_wait_dscnt 0x1
	s_set_vgpr_msb 0x44                     ;  msbs: dst=1 src0=0 src1=1 src2=0
	v_dual_ashrrev_i32 v163 /*v419*/, 24, v169 /*v425*/ :: v_dual_ashrrev_i32 v184 /*v440*/, 24, v170 /*v426*/
	v_mul_i32_i24_e32 v167 /*v423*/, v65, v112 /*v368*/
	v_mul_i32_i24_e32 v169 /*v425*/, v66, v113 /*v369*/
	s_set_vgpr_msb 0x55                     ;  msbs: dst=1 src0=1 src1=1 src2=1
	v_add3_u32 v164 /*v420*/, v164 /*v420*/, v165 /*v421*/, v166 /*v422*/
	s_set_vgpr_msb 1                        ;  msbs: dst=0 src0=1 src1=0 src2=0
	v_bfe_i32 v158, v168 /*v424*/, 0, 8
	v_bfe_i32 v159, v168 /*v424*/, 8, 8
	;; [unrolled: 1-line block ×3, first 2 shown]
	s_wait_dscnt 0x0
	s_set_vgpr_msb 4                        ;  msbs: dst=0 src0=0 src1=1 src2=0
	v_dual_ashrrev_i32 v161, 24, v168 /*v424*/ :: v_dual_ashrrev_i32 v59, 24, v177 /*v433*/
	s_set_vgpr_msb 0x41                     ;  msbs: dst=1 src0=1 src1=0 src2=0
	v_bfe_i32 v168 /*v424*/, v170 /*v426*/, 0, 8
	v_bfe_i32 v182 /*v438*/, v170 /*v426*/, 8, 8
	;; [unrolled: 1-line block ×6, first 2 shown]
	s_set_vgpr_msb 0x44                     ;  msbs: dst=1 src0=0 src1=1 src2=0
	v_dual_ashrrev_i32 v171 /*v427*/, 24, v171 /*v427*/ :: v_dual_ashrrev_i32 v191 /*v447*/, 24, v172 /*v428*/
	s_set_vgpr_msb 0x41                     ;  msbs: dst=1 src0=1 src1=0 src2=0
	v_bfe_i32 v188 /*v444*/, v172 /*v428*/, 0, 8
	v_bfe_i32 v189 /*v445*/, v172 /*v428*/, 8, 8
	;; [unrolled: 1-line block ×3, first 2 shown]
	s_set_vgpr_msb 0x44                     ;  msbs: dst=1 src0=0 src1=1 src2=0
	v_mul_i32_i24_e32 v170 /*v426*/, v68, v114 /*v370*/
	v_mul_i32_i24_e32 v172 /*v428*/, v69, v115 /*v371*/
	s_set_vgpr_msb 0x55                     ;  msbs: dst=1 src0=1 src1=1 src2=1
	v_add3_u32 v164 /*v420*/, v164 /*v420*/, v167 /*v423*/, v169 /*v425*/
	v_bfe_i32 v192 /*v448*/, v173 /*v429*/, 0, 8
	v_bfe_i32 v193 /*v449*/, v173 /*v429*/, 8, 8
	;; [unrolled: 1-line block ×3, first 2 shown]
	v_dual_ashrrev_i32 v195 /*v451*/, 24, v173 /*v429*/ :: v_dual_ashrrev_i32 v199 /*v455*/, 24, v174 /*v430*/
	v_dual_ashrrev_i32 v203 /*v459*/, 24, v175 /*v431*/ :: v_dual_ashrrev_i32 v207 /*v463*/, 24, v176 /*v432*/
	v_bfe_i32 v204 /*v460*/, v176 /*v432*/, 0, 8
	v_bfe_i32 v205 /*v461*/, v176 /*v432*/, 8, 8
	v_bfe_i32 v206 /*v462*/, v176 /*v432*/, 16, 8
	s_set_vgpr_msb 0x44                     ;  msbs: dst=1 src0=0 src1=1 src2=0
	v_mul_i32_i24_e32 v173 /*v429*/, v70, v116 /*v372*/
	v_mul_i32_i24_e32 v176 /*v432*/, v72, v117 /*v373*/
	s_set_vgpr_msb 0x55                     ;  msbs: dst=1 src0=1 src1=1 src2=1
	v_add3_u32 v164 /*v420*/, v164 /*v420*/, v170 /*v426*/, v172 /*v428*/
	v_bfe_i32 v208 /*v464*/, v177 /*v433*/, 0, 8
	v_bfe_i32 v209 /*v465*/, v177 /*v433*/, 8, 8
	v_bfe_i32 v210 /*v466*/, v177 /*v433*/, 16, 8
	s_set_vgpr_msb 0x44                     ;  msbs: dst=1 src0=0 src1=1 src2=0
	v_mul_i32_i24_e32 v177 /*v433*/, v91, v118 /*v374*/
	v_mul_i32_i24_e32 v178 /*v434*/, v93, v119 /*v375*/
	s_set_vgpr_msb 0x55                     ;  msbs: dst=1 src0=1 src1=1 src2=1
	v_add3_u32 v164 /*v420*/, v164 /*v420*/, v173 /*v429*/, v176 /*v432*/
	s_set_vgpr_msb 0x44                     ;  msbs: dst=1 src0=0 src1=1 src2=0
	v_mul_i32_i24_e32 v179 /*v435*/, v148, v120 /*v376*/
	v_mul_i32_i24_e32 v180 /*v436*/, v149, v121 /*v377*/
	;; [unrolled: 1-line block ×4, first 2 shown]
	s_set_vgpr_msb 0x55                     ;  msbs: dst=1 src0=1 src1=1 src2=1
	v_add3_u32 v164 /*v420*/, v164 /*v420*/, v177 /*v433*/, v178 /*v434*/
	s_set_vgpr_msb 0x44                     ;  msbs: dst=1 src0=0 src1=1 src2=0
	v_mul_i32_i24_e32 v212 /*v468*/, v152, v124 /*v380*/
	v_mul_i32_i24_e32 v213 /*v469*/, v153, v125 /*v381*/
	s_set_vgpr_msb 0x41                     ;  msbs: dst=1 src0=1 src1=0 src2=0
	v_mul_i32_i24_e32 v214 /*v470*/, v127 /*v383*/, v154
	v_mul_i32_i24_e32 v215 /*v471*/, v126 /*v382*/, v155
	s_set_vgpr_msb 0x55                     ;  msbs: dst=1 src0=1 src1=1 src2=1
	v_add3_u32 v164 /*v420*/, v164 /*v420*/, v179 /*v435*/, v180 /*v436*/
	s_set_vgpr_msb 0x41                     ;  msbs: dst=1 src0=1 src1=0 src2=0
	v_mul_i32_i24_e32 v216 /*v472*/, v129 /*v385*/, v156
	v_mul_i32_i24_e32 v217 /*v473*/, v128 /*v384*/, v157
	;; [unrolled: 1-line block ×4, first 2 shown]
	s_set_vgpr_msb 0x55                     ;  msbs: dst=1 src0=1 src1=1 src2=1
	v_add3_u32 v164 /*v420*/, v164 /*v420*/, v181 /*v437*/, v211 /*v467*/
	s_set_vgpr_msb 0x41                     ;  msbs: dst=1 src0=1 src1=0 src2=0
	v_mul_i32_i24_e32 v220 /*v476*/, v141 /*v397*/, v160
	v_mul_i32_i24_e32 v221 /*v477*/, v138 /*v394*/, v161
	s_set_vgpr_msb 0x44                     ;  msbs: dst=1 src0=0 src1=1 src2=0
	v_mul_i32_i24_e32 v222 /*v478*/, v162, v144 /*v400*/
	v_mul_i32_i24_e32 v223 /*v479*/, v163, v145 /*v401*/
	s_set_vgpr_msb 0x55                     ;  msbs: dst=1 src0=1 src1=1 src2=1
	v_add3_u32 v164 /*v420*/, v164 /*v420*/, v212 /*v468*/, v213 /*v469*/
	v_mul_i32_i24_e32 v165 /*v421*/, v148 /*v404*/, v183 /*v439*/
	v_mul_i32_i24_e32 v166 /*v422*/, v139 /*v395*/, v184 /*v440*/
	;; [unrolled: 1-line block ×4, first 2 shown]
	v_add3_u32 v164 /*v420*/, v164 /*v420*/, v214 /*v470*/, v215 /*v471*/
	s_set_vgpr_msb 0x44                     ;  msbs: dst=1 src0=0 src1=1 src2=0
	v_mul_i32_i24_e32 v170 /*v426*/, v116, v188 /*v444*/
	s_set_vgpr_msb 0x55                     ;  msbs: dst=1 src0=1 src1=1 src2=1
	v_mul_i32_i24_e32 v172 /*v428*/, v152 /*v408*/, v189 /*v445*/
	v_mul_i32_i24_e32 v173 /*v429*/, v151 /*v407*/, v190 /*v446*/
	;; [unrolled: 1-line block ×3, first 2 shown]
	v_add3_u32 v164 /*v420*/, v164 /*v420*/, v216 /*v472*/, v217 /*v473*/
	s_set_vgpr_msb 0x44                     ;  msbs: dst=1 src0=0 src1=1 src2=0
	v_mul_i32_i24_e32 v178 /*v434*/, v117, v192 /*v448*/
	s_set_vgpr_msb 0x55                     ;  msbs: dst=1 src0=1 src1=1 src2=1
	v_mul_i32_i24_e32 v179 /*v435*/, v154 /*v410*/, v193 /*v449*/
	v_bfe_i32 v196 /*v452*/, v174 /*v430*/, 0, 8
	v_bfe_i32 v197 /*v453*/, v174 /*v430*/, 8, 8
	v_add3_u32 v164 /*v420*/, v164 /*v420*/, v218 /*v474*/, v219 /*v475*/
	v_mul_i32_i24_e32 v181 /*v437*/, v153 /*v409*/, v194 /*v450*/
	v_mul_i32_i24_e32 v211 /*v467*/, v133 /*v389*/, v195 /*v451*/
	v_bfe_i32 v198 /*v454*/, v174 /*v430*/, 16, 8
	s_set_vgpr_msb 0x44                     ;  msbs: dst=1 src0=0 src1=1 src2=0
	v_mul_i32_i24_e32 v212 /*v468*/, v112, v196 /*v452*/
	s_set_vgpr_msb 0x55                     ;  msbs: dst=1 src0=1 src1=1 src2=1
	v_add3_u32 v164 /*v420*/, v164 /*v420*/, v220 /*v476*/, v221 /*v477*/
	v_mul_i32_i24_e32 v213 /*v469*/, v156 /*v412*/, v197 /*v453*/
	v_bfe_i32 v200 /*v456*/, v175 /*v431*/, 0, 8
	v_bfe_i32 v201 /*v457*/, v175 /*v431*/, 8, 8
	v_mul_i32_i24_e32 v214 /*v470*/, v155 /*v411*/, v198 /*v454*/
	v_add3_u32 v177 /*v433*/, v164 /*v420*/, v222 /*v478*/, v223 /*v479*/
	s_set_vgpr_msb 0x44                     ;  msbs: dst=1 src0=0 src1=1 src2=0
	v_mul_i32_i24_e32 v164 /*v420*/, v118, v168 /*v424*/
	s_set_vgpr_msb 0x45                     ;  msbs: dst=1 src0=1 src1=1 src2=0
	v_mul_i32_i24_e32 v215 /*v471*/, v134 /*v390*/, v199 /*v455*/
	v_bfe_i32 v202 /*v458*/, v175 /*v431*/, 16, 8
	s_set_vgpr_msb 0x44                     ;  msbs: dst=1 src0=0 src1=1 src2=0
	v_mul_i32_i24_e32 v216 /*v472*/, v113, v200 /*v456*/
	s_set_vgpr_msb 0x45                     ;  msbs: dst=1 src0=1 src1=1 src2=0
	v_mul_i32_i24_e32 v217 /*v473*/, v158 /*v414*/, v201 /*v457*/
	s_set_vgpr_msb 0x54                     ;  msbs: dst=1 src0=0 src1=1 src2=1
	v_mad_i32_i24 v164 /*v420*/, v115, v182 /*v438*/, v164 /*v420*/
	s_set_vgpr_msb 0x45                     ;  msbs: dst=1 src0=1 src1=1 src2=0
	v_mul_i32_i24_e32 v219 /*v475*/, v135 /*v391*/, v203 /*v459*/
	v_mul_i32_i24_e32 v218 /*v474*/, v157 /*v413*/, v202 /*v458*/
	s_set_vgpr_msb 0x44                     ;  msbs: dst=1 src0=0 src1=1 src2=0
	v_mul_i32_i24_e32 v220 /*v476*/, v114, v204 /*v460*/
	s_set_vgpr_msb 0x55                     ;  msbs: dst=1 src0=1 src1=1 src2=1
	v_mul_i32_i24_e32 v221 /*v477*/, v160 /*v416*/, v205 /*v461*/
	v_add3_u32 v164 /*v420*/, v164 /*v420*/, v165 /*v421*/, v166 /*v422*/
	s_set_vgpr_msb 0x44                     ;  msbs: dst=1 src0=0 src1=1 src2=0
	v_mul_i32_i24_e32 v165 /*v421*/, v119, v185 /*v441*/
	s_set_vgpr_msb 0x55                     ;  msbs: dst=1 src0=1 src1=1 src2=1
	v_mul_i32_i24_e32 v166 /*v422*/, v150 /*v406*/, v186 /*v442*/
	v_mul_i32_i24_e32 v222 /*v478*/, v159 /*v415*/, v206 /*v462*/
	;; [unrolled: 1-line block ×5, first 2 shown]
	v_add3_u32 v164 /*v420*/, v164 /*v420*/, v165 /*v421*/, v166 /*v422*/
	s_set_vgpr_msb 64                       ;  msbs: dst=1 src0=0 src1=0 src2=0
	v_mul_i32_i24_e32 v165 /*v421*/, v60, v173
	v_mul_i32_i24_e32 v166 /*v422*/, v61, v174
	;; [unrolled: 1-line block ×4, first 2 shown]
	s_set_vgpr_msb 0x55                     ;  msbs: dst=1 src0=1 src1=1 src2=1
	v_add3_u32 v164 /*v420*/, v164 /*v420*/, v167 /*v423*/, v169 /*v425*/
	s_set_vgpr_msb 64                       ;  msbs: dst=1 src0=0 src1=0 src2=0
	v_mul_i32_i24_e32 v167 /*v423*/, v65, v177
	v_mul_i32_i24_e32 v228 /*v484*/, v163, v206
	s_set_vgpr_msb 0x41                     ;  msbs: dst=1 src0=1 src1=0 src2=0
	v_mul_i32_i24_e32 v229 /*v485*/, v208 /*v464*/, v244
	v_mul_i32_i24_e32 v230 /*v486*/, v209 /*v465*/, v245
	s_set_vgpr_msb 0x55                     ;  msbs: dst=1 src0=1 src1=1 src2=1
	v_add3_u32 v164 /*v420*/, v164 /*v420*/, v170 /*v426*/, v172 /*v428*/
	s_set_vgpr_msb 64                       ;  msbs: dst=1 src0=0 src1=0 src2=0
	v_mul_i32_i24_e32 v172 /*v428*/, v66, v178
	s_set_vgpr_msb 0x41                     ;  msbs: dst=1 src0=1 src1=0 src2=0
	v_mul_i32_i24_e32 v231 /*v487*/, v5 /*v261*/, v161
	s_set_vgpr_msb 0x44                     ;  msbs: dst=1 src0=0 src1=1 src2=0
	v_mul_i32_i24_e32 v232 /*v488*/, v162, v11 /*v267*/
	v_mul_i32_i24_e32 v233 /*v489*/, v163, v13 /*v269*/
	s_set_vgpr_msb 0x55                     ;  msbs: dst=1 src0=1 src1=1 src2=1
	v_add3_u32 v164 /*v420*/, v164 /*v420*/, v173 /*v429*/, v176 /*v432*/
	s_set_vgpr_msb 64                       ;  msbs: dst=1 src0=0 src1=0 src2=0
	v_mul_i32_i24_e32 v173 /*v429*/, v68, v179
	v_mul_i32_i24_e32 v176 /*v432*/, v69, v180
	s_set_vgpr_msb 0x55                     ;  msbs: dst=1 src0=1 src1=1 src2=1
	v_mul_i32_i24_e32 v234 /*v490*/, v208 /*v464*/, v39 /*v295*/
	v_mul_i32_i24_e32 v235 /*v491*/, v209 /*v465*/, v40 /*v296*/
	v_add3_u32 v164 /*v420*/, v164 /*v420*/, v178 /*v434*/, v179 /*v435*/
	s_set_vgpr_msb 64                       ;  msbs: dst=1 src0=0 src1=0 src2=0
	v_mul_i32_i24_e32 v178 /*v434*/, v70, v181
	v_mul_i32_i24_e32 v179 /*v435*/, v72, v182
	s_set_vgpr_msb 0x55                     ;  msbs: dst=1 src0=1 src1=1 src2=1
	v_mul_i32_i24_e32 v180 /*v436*/, v210 /*v466*/, v143 /*v399*/
	v_mul_i32_i24_e32 v174 /*v430*/, v162 /*v418*/, v146 /*v402*/
	v_add3_u32 v164 /*v420*/, v164 /*v420*/, v181 /*v437*/, v211 /*v467*/
	s_set_vgpr_msb 64                       ;  msbs: dst=1 src0=0 src1=0 src2=0
	v_mul_i32_i24_e32 v211 /*v467*/, v91, v183
	s_set_vgpr_msb 0x45                     ;  msbs: dst=1 src0=1 src1=1 src2=0
	v_mul_i32_i24_e32 v175 /*v431*/, v163 /*v419*/, v147 /*v403*/
	s_set_vgpr_msb 0x41                     ;  msbs: dst=1 src0=1 src1=0 src2=0
	v_mul_i32_i24_e32 v169 /*v425*/, v162 /*v418*/, v207
	v_mul_i32_i24_e32 v170 /*v426*/, v163 /*v419*/, v209
	s_set_vgpr_msb 0x55                     ;  msbs: dst=1 src0=1 src1=1 src2=1
	v_add3_u32 v164 /*v420*/, v164 /*v420*/, v212 /*v468*/, v213 /*v469*/
	s_set_vgpr_msb 64                       ;  msbs: dst=1 src0=0 src1=0 src2=0
	v_mul_i32_i24_e32 v212 /*v468*/, v93, v184
	v_mul_i32_i24_e32 v213 /*v469*/, v148, v185
	s_set_vgpr_msb 0x55                     ;  msbs: dst=1 src0=1 src1=1 src2=1
	v_add3_u32 v164 /*v420*/, v164 /*v420*/, v214 /*v470*/, v215 /*v471*/
	s_set_vgpr_msb 64                       ;  msbs: dst=1 src0=0 src1=0 src2=0
	v_mul_i32_i24_e32 v214 /*v470*/, v149, v186
	v_mul_i32_i24_e32 v215 /*v471*/, v150, v187
	;; [unrolled: 5-line block ×6, first 2 shown]
	s_set_vgpr_msb 0x55                     ;  msbs: dst=1 src0=1 src1=1 src2=1
	v_add3_u32 v181 /*v437*/, v164 /*v420*/, v224 /*v480*/, v225 /*v481*/
	s_set_vgpr_msb 0x50                     ;  msbs: dst=1 src0=0 src1=0 src2=1
	v_mul_i32_i24_e32 v164 /*v420*/, v43, v126
	v_mul_i32_i24_e32 v224 /*v480*/, v195, v159
	;; [unrolled: 1-line block ×3, first 2 shown]
	s_delay_alu instid0(VALU_DEP_3) | instskip(SKIP_1) | instid1(VALU_DEP_1)
	v_mad_i32_i24 v164 /*v420*/, v58, v124, v164 /*v420*/
	s_set_vgpr_msb 0x55                     ;  msbs: dst=1 src0=1 src1=1 src2=1
	v_add3_u32 v164 /*v420*/, v164 /*v420*/, v165 /*v421*/, v166 /*v422*/
	s_set_vgpr_msb 64                       ;  msbs: dst=1 src0=0 src1=0 src2=0
	v_mul_i32_i24_e32 v165 /*v421*/, v62, v175
	v_mul_i32_i24_e32 v166 /*v422*/, v64, v176
	s_set_vgpr_msb 0x55                     ;  msbs: dst=1 src0=1 src1=1 src2=1
	s_delay_alu instid0(VALU_DEP_1)
	v_add3_u32 v164 /*v420*/, v164 /*v420*/, v165 /*v421*/, v166 /*v422*/
	s_set_vgpr_msb 0x41                     ;  msbs: dst=1 src0=1 src1=0 src2=0
	v_mul_i32_i24_e32 v165 /*v421*/, v183 /*v439*/, v198
	v_mul_i32_i24_e32 v166 /*v422*/, v184 /*v440*/, v204
	s_set_vgpr_msb 0x55                     ;  msbs: dst=1 src0=1 src1=1 src2=1
	v_add3_u32 v164 /*v420*/, v164 /*v420*/, v167 /*v423*/, v172 /*v428*/
	s_set_vgpr_msb 0x41                     ;  msbs: dst=1 src0=1 src1=0 src2=0
	v_mul_i32_i24_e32 v167 /*v423*/, v187 /*v443*/, v202
	s_set_vgpr_msb 0x55                     ;  msbs: dst=1 src0=1 src1=1 src2=1
	s_delay_alu instid0(VALU_DEP_2)
	v_add3_u32 v164 /*v420*/, v164 /*v420*/, v173 /*v429*/, v176 /*v432*/
	s_set_vgpr_msb 0x41                     ;  msbs: dst=1 src0=1 src1=0 src2=0
	v_mul_i32_i24_e32 v173 /*v429*/, v171 /*v427*/, v212
	v_mul_i32_i24_e32 v176 /*v432*/, v188 /*v444*/, v213
	s_set_vgpr_msb 0x55                     ;  msbs: dst=1 src0=1 src1=1 src2=1
	v_add3_u32 v164 /*v420*/, v164 /*v420*/, v178 /*v434*/, v179 /*v435*/
	s_set_vgpr_msb 0x41                     ;  msbs: dst=1 src0=1 src1=0 src2=0
	v_mul_i32_i24_e32 v179 /*v435*/, v189 /*v445*/, v214
	v_mul_i32_i24_e32 v178 /*v434*/, v210 /*v466*/, v246
	s_set_vgpr_msb 0x55                     ;  msbs: dst=1 src0=1 src1=1 src2=1
	;; [unrolled: 5-line block ×6, first 2 shown]
	v_add3_u32 v164 /*v420*/, v164 /*v420*/, v219 /*v475*/, v220 /*v476*/
	s_set_vgpr_msb 0x44                     ;  msbs: dst=1 src0=0 src1=1 src2=0
	v_mul_i32_i24_e32 v219 /*v475*/, v229, v198 /*v454*/
	v_mul_i32_i24_e32 v220 /*v476*/, v226, v199 /*v455*/
	s_set_vgpr_msb 0x55                     ;  msbs: dst=1 src0=1 src1=1 src2=1
	v_add3_u32 v164 /*v420*/, v164 /*v420*/, v221 /*v477*/, v222 /*v478*/
	s_set_vgpr_msb 0x44                     ;  msbs: dst=1 src0=0 src1=1 src2=0
	v_mul_i32_i24_e32 v221 /*v477*/, v231, v200 /*v456*/
	v_mul_i32_i24_e32 v222 /*v478*/, v232, v201 /*v457*/
	s_set_vgpr_msb 0x55                     ;  msbs: dst=1 src0=1 src1=1 src2=1
	;; [unrolled: 5-line block ×4, first 2 shown]
	v_add3_u32 v172 /*v428*/, v164 /*v420*/, v227 /*v483*/, v228 /*v484*/
	s_set_vgpr_msb 0x41                     ;  msbs: dst=1 src0=1 src1=0 src2=0
	v_mul_i32_i24_e32 v164 /*v420*/, v168 /*v424*/, v201
	s_set_vgpr_msb 0x44                     ;  msbs: dst=1 src0=0 src1=1 src2=0
	v_mul_i32_i24_e32 v227 /*v483*/, v242, v206 /*v462*/
	v_mul_i32_i24_e32 v228 /*v484*/, v239, v207 /*v463*/
	s_set_vgpr_msb 0x55                     ;  msbs: dst=1 src0=1 src1=1 src2=1
	v_add3_u32 v169 /*v425*/, v172 /*v428*/, v169 /*v425*/, v170 /*v426*/
	s_set_vgpr_msb 0x51                     ;  msbs: dst=1 src0=1 src1=0 src2=1
	v_mad_i32_i24 v164 /*v420*/, v182 /*v438*/, v200, v164 /*v420*/
	s_delay_alu instid0(VALU_DEP_2) | instskip(SKIP_1) | instid1(VALU_DEP_2)
	v_mul_lo_u32 v169 /*v425*/, v169 /*v425*/, v122
	s_set_vgpr_msb 0x55                     ;  msbs: dst=1 src0=1 src1=1 src2=1
	v_add3_u32 v164 /*v420*/, v164 /*v420*/, v165 /*v421*/, v166 /*v422*/
	s_set_vgpr_msb 0x41                     ;  msbs: dst=1 src0=1 src1=0 src2=0
	v_mul_i32_i24_e32 v165 /*v421*/, v185 /*v441*/, v208
	v_mul_i32_i24_e32 v166 /*v422*/, v186 /*v442*/, v210
	s_set_vgpr_msb 0x55                     ;  msbs: dst=1 src0=1 src1=1 src2=1
	s_delay_alu instid0(VALU_DEP_1)
	v_add3_u32 v164 /*v420*/, v164 /*v420*/, v165 /*v421*/, v166 /*v422*/
	s_set_vgpr_msb 64                       ;  msbs: dst=1 src0=0 src1=0 src2=0
	v_mul_i32_i24_e32 v165 /*v421*/, v60, v222
	v_mul_i32_i24_e32 v166 /*v422*/, v61, v224
	s_set_vgpr_msb 4                        ;  msbs: dst=0 src0=0 src1=1 src2=0
	v_mul_i32_i24_e32 v60, v60, v47 /*v303*/
	v_mul_i32_i24_e32 v61, v61, v48 /*v304*/
	s_set_vgpr_msb 0x55                     ;  msbs: dst=1 src0=1 src1=1 src2=1
	v_add3_u32 v164 /*v420*/, v164 /*v420*/, v167 /*v423*/, v173 /*v429*/
	s_set_vgpr_msb 64                       ;  msbs: dst=1 src0=0 src1=0 src2=0
	v_mul_i32_i24_e32 v167 /*v423*/, v62, v227
	v_mul_i32_i24_e32 v173 /*v429*/, v64, v228
	s_set_vgpr_msb 0x55                     ;  msbs: dst=1 src0=1 src1=1 src2=1
	v_add3_u32 v164 /*v420*/, v164 /*v420*/, v176 /*v432*/, v179 /*v435*/
	s_set_vgpr_msb 64                       ;  msbs: dst=1 src0=0 src1=0 src2=0
	v_mul_i32_i24_e32 v176 /*v432*/, v65, v230
	s_set_vgpr_msb 0x55                     ;  msbs: dst=1 src0=1 src1=1 src2=1
	s_delay_alu instid0(VALU_DEP_2)
	v_add3_u32 v164 /*v420*/, v164 /*v420*/, v211 /*v467*/, v212 /*v468*/
	s_set_vgpr_msb 64                       ;  msbs: dst=1 src0=0 src1=0 src2=0
	v_mul_i32_i24_e32 v211 /*v467*/, v66, v233
	v_mul_i32_i24_e32 v212 /*v468*/, v68, v238
	s_set_vgpr_msb 0x55                     ;  msbs: dst=1 src0=1 src1=1 src2=1
	v_add3_u32 v164 /*v420*/, v164 /*v420*/, v213 /*v469*/, v214 /*v470*/
	s_set_vgpr_msb 64                       ;  msbs: dst=1 src0=0 src1=0 src2=0
	v_mul_i32_i24_e32 v213 /*v469*/, v69, v240
	v_mul_i32_i24_e32 v214 /*v470*/, v70, v241
	s_set_vgpr_msb 0x55                     ;  msbs: dst=1 src0=1 src1=1 src2=1
	;; [unrolled: 5-line block ×6, first 2 shown]
	v_add3_u32 v164 /*v420*/, v164 /*v420*/, v223 /*v479*/, v224 /*v480*/
	s_set_vgpr_msb 64                       ;  msbs: dst=1 src0=0 src1=0 src2=0
	v_mul_i32_i24_e32 v223 /*v479*/, v153, v254
	s_set_vgpr_msb 0x41                     ;  msbs: dst=1 src0=1 src1=0 src2=0
	v_mul_i32_i24_e32 v224 /*v480*/, v0 /*v256*/, v154
	s_set_vgpr_msb 0x55                     ;  msbs: dst=1 src0=1 src1=1 src2=1
	v_add3_u32 v164 /*v420*/, v164 /*v420*/, v225 /*v481*/, v226 /*v482*/
	s_set_vgpr_msb 64                       ;  msbs: dst=1 src0=0 src1=0 src2=0
	v_mul_i32_i24_e32 v225 /*v481*/, v255, v155
	s_set_vgpr_msb 0x41                     ;  msbs: dst=1 src0=1 src1=0 src2=0
	v_mul_i32_i24_e32 v226 /*v482*/, v2 /*v258*/, v156
	s_set_vgpr_msb 0x55                     ;  msbs: dst=1 src0=1 src1=1 src2=1
	v_add3_u32 v164 /*v420*/, v164 /*v420*/, v227 /*v483*/, v228 /*v484*/
	s_set_vgpr_msb 0x41                     ;  msbs: dst=1 src0=1 src1=0 src2=0
	v_mul_i32_i24_e32 v227 /*v483*/, v1 /*v257*/, v157
	v_mul_i32_i24_e32 v228 /*v484*/, v4 /*v260*/, v158
	s_set_vgpr_msb 0x55                     ;  msbs: dst=1 src0=1 src1=1 src2=1
	v_add3_u32 v179 /*v435*/, v164 /*v420*/, v229 /*v485*/, v230 /*v486*/
	s_set_vgpr_msb 64                       ;  msbs: dst=1 src0=0 src1=0 src2=0
	v_mul_i32_i24_e32 v164 /*v420*/, v43, v219
	s_set_vgpr_msb 0x41                     ;  msbs: dst=1 src0=1 src1=0 src2=0
	v_mul_i32_i24_e32 v229 /*v485*/, v3 /*v259*/, v159
	v_mul_i32_i24_e32 v230 /*v486*/, v7 /*v263*/, v160
	s_set_vgpr_msb 4                        ;  msbs: dst=0 src0=0 src1=1 src2=0
	v_mul_i32_i24_e32 v43, v43, v46 /*v302*/
	s_set_vgpr_msb 0x50                     ;  msbs: dst=1 src0=0 src1=0 src2=1
	v_mad_i32_i24 v164 /*v420*/, v58, v217, v164 /*v420*/
	s_set_vgpr_msb 4                        ;  msbs: dst=0 src0=0 src1=1 src2=0
	s_delay_alu instid0(VALU_DEP_2)
	v_mad_i32_i24 v43, v58, v45 /*v301*/, v43
	v_mul_i32_i24_e32 v58, v62, v49 /*v305*/
	s_set_vgpr_msb 0x55                     ;  msbs: dst=1 src0=1 src1=1 src2=1
	v_add3_u32 v164 /*v420*/, v164 /*v420*/, v165 /*v421*/, v166 /*v422*/
	s_set_vgpr_msb 4                        ;  msbs: dst=0 src0=0 src1=1 src2=0
	v_mul_i32_i24_e32 v62, v66, v52 /*v308*/
	v_mul_i32_i24_e32 v66, v70, v55 /*v311*/
	s_set_vgpr_msb 0                        ;  msbs: dst=0 src0=0 src1=0 src2=0
	v_add3_u32 v43, v43, v60, v61
	s_set_vgpr_msb 4                        ;  msbs: dst=0 src0=0 src1=1 src2=0
	v_mul_i32_i24_e32 v60, v64, v50 /*v306*/
	s_set_vgpr_msb 0x55                     ;  msbs: dst=1 src0=1 src1=1 src2=1
	v_add3_u32 v164 /*v420*/, v164 /*v420*/, v167 /*v423*/, v173 /*v429*/
	v_mul_i32_i24_e32 v173 /*v429*/, v183 /*v439*/, v6 /*v262*/
	s_set_vgpr_msb 4                        ;  msbs: dst=0 src0=0 src1=1 src2=0
	v_mul_i32_i24_e32 v61, v65, v51 /*v307*/
	v_mul_i32_i24_e32 v64, v68, v53 /*v309*/
	s_set_vgpr_msb 0                        ;  msbs: dst=0 src0=0 src1=0 src2=0
	v_add3_u32 v43, v43, v58, v60
	s_set_vgpr_msb 0x55                     ;  msbs: dst=1 src0=1 src1=1 src2=1
	v_add3_u32 v164 /*v420*/, v164 /*v420*/, v176 /*v432*/, v211 /*v467*/
	v_mul_i32_i24_e32 v176 /*v432*/, v184 /*v440*/, v12 /*v268*/
	v_mul_i32_i24_e32 v211 /*v467*/, v186 /*v442*/, v17 /*v273*/
	s_set_vgpr_msb 4                        ;  msbs: dst=0 src0=0 src1=1 src2=0
	v_mul_i32_i24_e32 v65, v69, v54 /*v310*/
	s_set_vgpr_msb 0                        ;  msbs: dst=0 src0=0 src1=0 src2=0
	v_add3_u32 v43, v43, v61, v62
	s_set_vgpr_msb 0x55                     ;  msbs: dst=1 src0=1 src1=1 src2=1
	v_add3_u32 v164 /*v420*/, v164 /*v420*/, v212 /*v468*/, v213 /*v469*/
	v_mul_i32_i24_e32 v212 /*v468*/, v187 /*v443*/, v10 /*v266*/
	v_mul_i32_i24_e32 v213 /*v469*/, v171 /*v427*/, v19 /*v275*/
	s_set_vgpr_msb 4                        ;  msbs: dst=0 src0=0 src1=1 src2=0
	;; [unrolled: 8-line block ×3, first 2 shown]
	v_mul_i32_i24_e32 v69, v91, v57 /*v313*/
	v_mul_i32_i24_e32 v70, v93, v58 /*v314*/
	s_set_vgpr_msb 0x55                     ;  msbs: dst=1 src0=1 src1=1 src2=1
	v_add3_u32 v164 /*v420*/, v164 /*v420*/, v216 /*v472*/, v217 /*v473*/
	v_mul_i32_i24_e32 v216 /*v472*/, v190 /*v446*/, v18 /*v274*/
	v_mul_i32_i24_e32 v217 /*v473*/, v191 /*v447*/, v23 /*v279*/
	s_set_vgpr_msb 0                        ;  msbs: dst=0 src0=0 src1=0 src2=0
	v_add3_u32 v43, v43, v66, v68
	s_set_vgpr_msb 4                        ;  msbs: dst=0 src0=0 src1=1 src2=0
	v_mul_i32_i24_e32 v72, v148, v59 /*v315*/
	s_set_vgpr_msb 0x55                     ;  msbs: dst=1 src0=1 src1=1 src2=1
	v_add3_u32 v164 /*v420*/, v164 /*v420*/, v218 /*v474*/, v219 /*v475*/
	v_mul_i32_i24_e32 v218 /*v474*/, v192 /*v448*/, v24 /*v280*/
	v_mul_i32_i24_e32 v219 /*v475*/, v193 /*v449*/, v25 /*v281*/
	s_set_vgpr_msb 4                        ;  msbs: dst=0 src0=0 src1=1 src2=0
	v_mul_i32_i24_e32 v91, v149, v60 /*v316*/
	s_set_vgpr_msb 0                        ;  msbs: dst=0 src0=0 src1=0 src2=0
	v_add3_u32 v43, v43, v69, v70
	s_set_vgpr_msb 0x55                     ;  msbs: dst=1 src0=1 src1=1 src2=1
	v_add3_u32 v164 /*v420*/, v164 /*v420*/, v220 /*v476*/, v221 /*v477*/
	v_mul_i32_i24_e32 v220 /*v476*/, v194 /*v450*/, v22 /*v278*/
	v_mul_i32_i24_e32 v221 /*v477*/, v195 /*v451*/, v26 /*v282*/
	s_set_vgpr_msb 4                        ;  msbs: dst=0 src0=0 src1=1 src2=0
	v_mul_i32_i24_e32 v93, v150, v61 /*v317*/
	v_mul_i32_i24_e32 v148, v151, v62 /*v318*/
	s_set_vgpr_msb 0x55                     ;  msbs: dst=1 src0=1 src1=1 src2=1
	v_add3_u32 v164 /*v420*/, v164 /*v420*/, v222 /*v478*/, v223 /*v479*/
	v_mul_i32_i24_e32 v222 /*v478*/, v196 /*v452*/, v27 /*v283*/
	v_mul_i32_i24_e32 v223 /*v479*/, v197 /*v453*/, v28 /*v284*/
	s_set_vgpr_msb 0                        ;  msbs: dst=0 src0=0 src1=0 src2=0
	v_add3_u32 v43, v43, v72, v91
	s_set_vgpr_msb 4                        ;  msbs: dst=0 src0=0 src1=1 src2=0
	v_mul_i32_i24_e32 v149, v152, v63 /*v319*/
	s_set_vgpr_msb 0x55                     ;  msbs: dst=1 src0=1 src1=1 src2=1
	v_add3_u32 v164 /*v420*/, v164 /*v420*/, v224 /*v480*/, v225 /*v481*/
	v_mul_i32_i24_e32 v224 /*v480*/, v30 /*v286*/, v198 /*v454*/
	v_mul_i32_i24_e32 v225 /*v481*/, v29 /*v285*/, v199 /*v455*/
	s_set_vgpr_msb 4                        ;  msbs: dst=0 src0=0 src1=1 src2=0
	v_mul_i32_i24_e32 v150, v153, v64 /*v320*/
	s_set_vgpr_msb 0                        ;  msbs: dst=0 src0=0 src1=0 src2=0
	v_add3_u32 v43, v43, v93, v148
	s_set_vgpr_msb 0x55                     ;  msbs: dst=1 src0=1 src1=1 src2=1
	v_add3_u32 v164 /*v420*/, v164 /*v420*/, v226 /*v482*/, v227 /*v483*/
	v_mul_i32_i24_e32 v226 /*v482*/, v31 /*v287*/, v200 /*v456*/
	v_mul_i32_i24_e32 v227 /*v483*/, v32 /*v288*/, v201 /*v457*/
	s_set_vgpr_msb 1                        ;  msbs: dst=0 src0=1 src1=0 src2=0
	v_mul_i32_i24_e32 v151, v66 /*v322*/, v154
	v_mul_i32_i24_e32 v152, v65 /*v321*/, v155
	s_set_vgpr_msb 0x55                     ;  msbs: dst=1 src0=1 src1=1 src2=1
	v_add3_u32 v164 /*v420*/, v164 /*v420*/, v228 /*v484*/, v229 /*v485*/
	s_set_vgpr_msb 0                        ;  msbs: dst=0 src0=0 src1=0 src2=0
	v_add3_u32 v43, v43, v149, v150
	s_set_vgpr_msb 0x45                     ;  msbs: dst=1 src0=1 src1=1 src2=0
	v_mul_i32_i24_e32 v228 /*v484*/, v34 /*v290*/, v202 /*v458*/
	v_mul_i32_i24_e32 v229 /*v485*/, v33 /*v289*/, v203 /*v459*/
	s_set_vgpr_msb 1                        ;  msbs: dst=0 src0=1 src1=0 src2=0
	v_mul_i32_i24_e32 v153, v68 /*v324*/, v156
	s_set_vgpr_msb 0x55                     ;  msbs: dst=1 src0=1 src1=1 src2=1
	v_add3_u32 v164 /*v420*/, v164 /*v420*/, v230 /*v486*/, v231 /*v487*/
	s_set_vgpr_msb 1                        ;  msbs: dst=0 src0=1 src1=0 src2=0
	v_mul_i32_i24_e32 v154, v67 /*v323*/, v157
	s_set_vgpr_msb 0                        ;  msbs: dst=0 src0=0 src1=0 src2=0
	v_add3_u32 v43, v43, v151, v152
	s_set_vgpr_msb 0x55                     ;  msbs: dst=1 src0=1 src1=1 src2=1
	v_mul_i32_i24_e32 v230 /*v486*/, v35 /*v291*/, v204 /*v460*/
	v_mul_i32_i24_e32 v231 /*v487*/, v36 /*v292*/, v205 /*v461*/
	v_add3_u32 v167 /*v423*/, v164 /*v420*/, v232 /*v488*/, v233 /*v489*/
	v_mul_i32_i24_e32 v164 /*v420*/, v168 /*v424*/, v9 /*v265*/
	s_set_vgpr_msb 1                        ;  msbs: dst=0 src0=1 src1=0 src2=0
	v_mul_i32_i24_e32 v155, v70 /*v326*/, v158
	v_mul_i32_i24_e32 v156, v69 /*v325*/, v159
	s_set_vgpr_msb 0                        ;  msbs: dst=0 src0=0 src1=0 src2=0
	v_add3_u32 v43, v43, v153, v154
	s_set_vgpr_msb 0x55                     ;  msbs: dst=1 src0=1 src1=1 src2=1
	v_mul_i32_i24_e32 v232 /*v488*/, v38 /*v294*/, v206 /*v462*/
	v_mad_i32_i24 v164 /*v420*/, v182 /*v438*/, v8 /*v264*/, v164 /*v420*/
	v_mul_i32_i24_e32 v233 /*v489*/, v37 /*v293*/, v207 /*v463*/
	s_set_vgpr_msb 1                        ;  msbs: dst=0 src0=1 src1=0 src2=0
	v_mul_i32_i24_e32 v157, v73 /*v329*/, v160
	v_mul_i32_i24_e32 v158, v71 /*v327*/, v161
	s_set_vgpr_msb 0                        ;  msbs: dst=0 src0=0 src1=0 src2=0
	v_add3_u32 v43, v43, v155, v156
	s_set_vgpr_msb 0x55                     ;  msbs: dst=1 src0=1 src1=1 src2=1
	v_add3_u32 v164 /*v420*/, v164 /*v420*/, v173 /*v429*/, v176 /*v432*/
	v_mul_i32_i24_e32 v176 /*v432*/, v185 /*v441*/, v15 /*v271*/
	s_set_vgpr_msb 4                        ;  msbs: dst=0 src0=0 src1=1 src2=0
	v_mul_i32_i24_e32 v159, v162, v77 /*v333*/
	v_mul_i32_i24_e32 v160, v163, v79 /*v335*/
	s_set_vgpr_msb 0                        ;  msbs: dst=0 src0=0 src1=0 src2=0
	v_add3_u32 v43, v43, v157, v158
	s_set_vgpr_msb 5                        ;  msbs: dst=0 src0=1 src1=1 src2=0
	v_mul_i32_i24_e32 v58, v183 /*v439*/, v72 /*v328*/
	s_set_vgpr_msb 0x55                     ;  msbs: dst=1 src0=1 src1=1 src2=1
	v_add3_u32 v164 /*v420*/, v164 /*v420*/, v176 /*v432*/, v211 /*v467*/
	s_set_vgpr_msb 5                        ;  msbs: dst=0 src0=1 src1=1 src2=0
	v_mul_i32_i24_e32 v60, v184 /*v440*/, v78 /*v334*/
	v_mul_i32_i24_e32 v61, v187 /*v443*/, v76 /*v332*/
	v_mul_i32_i24_e32 v62, v171 /*v427*/, v85 /*v341*/
	v_mul_i32_i24_e32 v64, v188 /*v444*/, v86 /*v342*/
	s_set_vgpr_msb 0x55                     ;  msbs: dst=1 src0=1 src1=1 src2=1
	v_add3_u32 v164 /*v420*/, v164 /*v420*/, v212 /*v468*/, v213 /*v469*/
	s_set_vgpr_msb 5                        ;  msbs: dst=0 src0=1 src1=1 src2=0
	v_mul_i32_i24_e32 v65, v189 /*v445*/, v87 /*v343*/
	v_mul_i32_i24_e32 v66, v190 /*v446*/, v84 /*v340*/
	v_mul_i32_i24_e32 v68, v191 /*v447*/, v89 /*v345*/
	;; [unrolled: 7-line block ×6, first 2 shown]
	s_set_vgpr_msb 0x55                     ;  msbs: dst=1 src0=1 src1=1 src2=1
	v_mul_i32_i24_e32 v173 /*v429*/, v210 /*v466*/, v41 /*v297*/
	v_add3_u32 v164 /*v420*/, v164 /*v420*/, v222 /*v478*/, v223 /*v479*/
	v_mul_i32_i24_e32 v165 /*v421*/, v162 /*v418*/, v14 /*v270*/
	v_mul_i32_i24_e32 v166 /*v422*/, v163 /*v419*/, v16 /*v272*/
	;; [unrolled: 1-line block ×4, first 2 shown]
	v_add3_u32 v164 /*v420*/, v164 /*v420*/, v224 /*v480*/, v225 /*v481*/
	s_delay_alu instid0(VALU_DEP_4) | instskip(NEXT) | instid1(VALU_DEP_2)
	v_add3_u32 v165 /*v421*/, v167 /*v423*/, v165 /*v421*/, v166 /*v422*/
	v_add3_u32 v164 /*v420*/, v164 /*v420*/, v226 /*v482*/, v227 /*v483*/
	s_set_vgpr_msb 0x41                     ;  msbs: dst=1 src0=1 src1=0 src2=0
	s_delay_alu instid0(VALU_DEP_2) | instskip(SKIP_1) | instid1(VALU_DEP_2)
	v_mul_lo_u32 v165 /*v421*/, v165 /*v421*/, v205
	s_set_vgpr_msb 0x55                     ;  msbs: dst=1 src0=1 src1=1 src2=1
	v_add3_u32 v164 /*v420*/, v164 /*v420*/, v228 /*v484*/, v229 /*v485*/
	s_delay_alu instid0(VALU_DEP_1) | instskip(NEXT) | instid1(VALU_DEP_3)
	v_add3_u32 v164 /*v420*/, v164 /*v420*/, v230 /*v486*/, v231 /*v487*/
	v_cvt_f32_i32_e32 v166 /*v422*/, v165 /*v421*/
	s_delay_alu instid0(VALU_DEP_2) | instskip(NEXT) | instid1(VALU_DEP_1)
	v_add3_u32 v164 /*v420*/, v164 /*v420*/, v232 /*v488*/, v233 /*v489*/
	v_add3_u32 v176 /*v432*/, v164 /*v420*/, v234 /*v490*/, v235 /*v491*/
	s_set_vgpr_msb 64                       ;  msbs: dst=1 src0=0 src1=0 src2=0
	v_add3_u32 v164 /*v420*/, v43, v159, v160
	s_set_vgpr_msb 5                        ;  msbs: dst=0 src0=1 src1=1 src2=0
	v_mul_i32_i24_e32 v43, v168 /*v424*/, v75 /*v331*/
	v_mul_i32_i24_e32 v159, v208 /*v464*/, v105 /*v361*/
	;; [unrolled: 1-line block ×3, first 2 shown]
	s_set_vgpr_msb 0x45                     ;  msbs: dst=1 src0=1 src1=1 src2=0
	v_mul_i32_i24_e32 v168 /*v424*/, v210 /*v466*/, v107 /*v363*/
	s_set_vgpr_msb 5                        ;  msbs: dst=0 src0=1 src1=1 src2=0
	v_mad_i32_i24 v43, v182 /*v438*/, v74 /*v330*/, v43
	s_set_vgpr_msb 0                        ;  msbs: dst=0 src0=0 src1=0 src2=0
	s_delay_alu instid0(VALU_DEP_1) | instskip(SKIP_4) | instid1(VALU_DEP_1)
	v_add3_u32 v43, v43, v58, v60
	s_set_vgpr_msb 5                        ;  msbs: dst=0 src0=1 src1=1 src2=0
	v_mul_i32_i24_e32 v58, v185 /*v441*/, v81 /*v337*/
	v_mul_i32_i24_e32 v60, v186 /*v442*/, v83 /*v339*/
	s_set_vgpr_msb 0                        ;  msbs: dst=0 src0=0 src1=0 src2=0
	v_add3_u32 v43, v43, v58, v60
	s_delay_alu instid0(VALU_DEP_1) | instskip(NEXT) | instid1(VALU_DEP_1)
	v_add3_u32 v43, v43, v61, v62
	v_add3_u32 v43, v43, v64, v65
	s_delay_alu instid0(VALU_DEP_1) | instskip(NEXT) | instid1(VALU_DEP_1)
	v_add3_u32 v43, v43, v66, v68
	;; [unrolled: 3-line block ×5, first 2 shown]
	v_add3_u32 v43, v43, v155, v156
	s_delay_alu instid0(VALU_DEP_1) | instskip(SKIP_1) | instid1(VALU_DEP_1)
	v_add3_u32 v43, v43, v157, v158
	s_set_vgpr_msb 64                       ;  msbs: dst=1 src0=0 src1=0 src2=0
	v_add3_u32 v171 /*v427*/, v43, v159, v160
	s_set_vgpr_msb 0                        ;  msbs: dst=0 src0=0 src1=0 src2=0
	v_or_b32_e32 v43, s8, v139
	s_delay_alu instid0(VALU_DEP_1)
	v_dual_lshlrev_b32 v58, 2, v43 :: v_dual_lshrrev_b32 v43, 1, v43
	s_set_vgpr_msb 64                       ;  msbs: dst=1 src0=0 src1=0 src2=0
	ds_load_b128 v[182:185] /*v[438:441]*/, v58 offset:16896
	ds_load_b128 v[186:189] /*v[442:445]*/, v58 offset:16912
	;; [unrolled: 1-line block ×4, first 2 shown]
	s_wait_dscnt 0x3
	s_set_vgpr_msb 1                        ;  msbs: dst=0 src0=1 src1=0 src2=0
	v_bfe_i32 v58, v182 /*v438*/, 0, 8
	v_bfe_i32 v60, v182 /*v438*/, 8, 8
	;; [unrolled: 1-line block ×3, first 2 shown]
	s_set_vgpr_msb 4                        ;  msbs: dst=0 src0=0 src1=1 src2=0
	v_dual_ashrrev_i32 v62, 24, v182 /*v438*/ :: v_dual_ashrrev_i32 v68, 24, v183 /*v439*/
	s_set_vgpr_msb 64                       ;  msbs: dst=1 src0=0 src1=0 src2=0
	v_mul_i32_i24_e32 v182 /*v438*/, v58, v121
	s_set_vgpr_msb 1                        ;  msbs: dst=0 src0=1 src1=0 src2=0
	v_bfe_i32 v64, v183 /*v439*/, 0, 8
	v_bfe_i32 v65, v183 /*v439*/, 8, 8
	;; [unrolled: 1-line block ×6, first 2 shown]
	s_set_vgpr_msb 4                        ;  msbs: dst=0 src0=0 src1=1 src2=0
	v_dual_ashrrev_i32 v91, 24, v184 /*v440*/ :: v_dual_ashrrev_i32 v150, 24, v185 /*v441*/
	s_set_vgpr_msb 0x44                     ;  msbs: dst=1 src0=0 src1=1 src2=0
	v_mul_i32_i24_e32 v183 /*v439*/, v61, v108 /*v364*/
	v_mul_i32_i24_e32 v184 /*v440*/, v62, v109 /*v365*/
	s_set_vgpr_msb 0x50                     ;  msbs: dst=1 src0=0 src1=0 src2=1
	v_mad_i32_i24 v182 /*v438*/, v60, v120, v182 /*v438*/
	s_set_vgpr_msb 1                        ;  msbs: dst=0 src0=1 src1=0 src2=0
	v_bfe_i32 v93, v185 /*v441*/, 0, 8
	v_bfe_i32 v148, v185 /*v441*/, 8, 8
	v_bfe_i32 v149, v185 /*v441*/, 16, 8
	s_wait_dscnt 0x2
	v_bfe_i32 v151, v186 /*v442*/, 0, 8
	s_set_vgpr_msb 0x55                     ;  msbs: dst=1 src0=1 src1=1 src2=1
	v_add3_u32 v182 /*v438*/, v182 /*v438*/, v183 /*v439*/, v184 /*v440*/
	s_set_vgpr_msb 0x44                     ;  msbs: dst=1 src0=0 src1=1 src2=0
	v_mul_i32_i24_e32 v183 /*v439*/, v64, v110 /*v366*/
	v_mul_i32_i24_e32 v184 /*v440*/, v65, v111 /*v367*/
	s_set_vgpr_msb 1                        ;  msbs: dst=0 src0=1 src1=0 src2=0
	v_bfe_i32 v152, v186 /*v442*/, 8, 8
	v_bfe_i32 v153, v186 /*v442*/, 16, 8
	s_set_vgpr_msb 4                        ;  msbs: dst=0 src0=0 src1=1 src2=0
	v_dual_ashrrev_i32 v154, 24, v186 /*v442*/ :: v_dual_ashrrev_i32 v158, 24, v187 /*v443*/
	s_set_vgpr_msb 0x44                     ;  msbs: dst=1 src0=0 src1=1 src2=0
	v_mul_i32_i24_e32 v185 /*v441*/, v66, v112 /*v368*/
	v_mul_i32_i24_e32 v186 /*v442*/, v68, v113 /*v369*/
	s_set_vgpr_msb 0x55                     ;  msbs: dst=1 src0=1 src1=1 src2=1
	v_add3_u32 v182 /*v438*/, v182 /*v438*/, v183 /*v439*/, v184 /*v440*/
	s_set_vgpr_msb 1                        ;  msbs: dst=0 src0=1 src1=0 src2=0
	v_bfe_i32 v155, v187 /*v443*/, 0, 8
	v_bfe_i32 v156, v187 /*v443*/, 8, 8
	;; [unrolled: 1-line block ×6, first 2 shown]
	s_set_vgpr_msb 4                        ;  msbs: dst=0 src0=0 src1=1 src2=0
	v_ashrrev_i32_e32 v162, 24, v188 /*v444*/
	s_set_vgpr_msb 0x44                     ;  msbs: dst=1 src0=0 src1=1 src2=0
	v_mul_i32_i24_e32 v187 /*v443*/, v69, v114 /*v370*/
	v_mul_i32_i24_e32 v188 /*v444*/, v70, v115 /*v371*/
	s_set_vgpr_msb 0x55                     ;  msbs: dst=1 src0=1 src1=1 src2=1
	v_add3_u32 v182 /*v438*/, v182 /*v438*/, v185 /*v441*/, v186 /*v442*/
	s_set_vgpr_msb 1                        ;  msbs: dst=0 src0=1 src1=0 src2=0
	v_bfe_i32 v163, v189 /*v445*/, 0, 8
	s_set_vgpr_msb 0x41                     ;  msbs: dst=1 src0=1 src1=0 src2=0
	v_bfe_i32 v198 /*v454*/, v189 /*v445*/, 8, 8
	v_bfe_i32 v199 /*v455*/, v189 /*v445*/, 16, 8
	s_wait_dscnt 0x1
	s_set_vgpr_msb 0x44                     ;  msbs: dst=1 src0=0 src1=1 src2=0
	v_dual_ashrrev_i32 v200 /*v456*/, 24, v189 /*v445*/ :: v_dual_ashrrev_i32 v204 /*v460*/, 24, v190 /*v446*/
	s_set_vgpr_msb 0x41                     ;  msbs: dst=1 src0=1 src1=0 src2=0
	v_bfe_i32 v201 /*v457*/, v190 /*v446*/, 0, 8
	v_bfe_i32 v202 /*v458*/, v190 /*v446*/, 8, 8
	;; [unrolled: 1-line block ×3, first 2 shown]
	s_set_vgpr_msb 0x44                     ;  msbs: dst=1 src0=0 src1=1 src2=0
	v_mul_i32_i24_e32 v189 /*v445*/, v72, v116 /*v372*/
	v_mul_i32_i24_e32 v190 /*v446*/, v91, v117 /*v373*/
	s_set_vgpr_msb 0x55                     ;  msbs: dst=1 src0=1 src1=1 src2=1
	v_add3_u32 v182 /*v438*/, v182 /*v438*/, v187 /*v443*/, v188 /*v444*/
	v_bfe_i32 v205 /*v461*/, v191 /*v447*/, 0, 8
	v_bfe_i32 v206 /*v462*/, v191 /*v447*/, 8, 8
	;; [unrolled: 1-line block ×3, first 2 shown]
	v_ashrrev_i32_e32 v208 /*v464*/, 24, v191 /*v447*/
	s_set_vgpr_msb 0x44                     ;  msbs: dst=1 src0=0 src1=1 src2=0
	v_mul_i32_i24_e32 v191 /*v447*/, v93, v118 /*v374*/
	v_mul_i32_i24_e32 v227 /*v483*/, v148, v119 /*v375*/
	s_set_vgpr_msb 0x55                     ;  msbs: dst=1 src0=1 src1=1 src2=1
	v_add3_u32 v182 /*v438*/, v182 /*v438*/, v189 /*v445*/, v190 /*v446*/
	s_set_vgpr_msb 0x44                     ;  msbs: dst=1 src0=0 src1=1 src2=0
	v_mul_i32_i24_e32 v228 /*v484*/, v149, v120 /*v376*/
	v_mul_i32_i24_e32 v229 /*v485*/, v150, v121 /*v377*/
	;; [unrolled: 1-line block ×4, first 2 shown]
	s_set_vgpr_msb 0x55                     ;  msbs: dst=1 src0=1 src1=1 src2=1
	v_add3_u32 v182 /*v438*/, v182 /*v438*/, v191 /*v447*/, v227 /*v483*/
	s_set_vgpr_msb 0x44                     ;  msbs: dst=1 src0=0 src1=1 src2=0
	v_mul_i32_i24_e32 v232 /*v488*/, v153, v124 /*v380*/
	v_mul_i32_i24_e32 v233 /*v489*/, v154, v125 /*v381*/
	s_set_vgpr_msb 0x41                     ;  msbs: dst=1 src0=1 src1=0 src2=0
	v_mul_i32_i24_e32 v234 /*v490*/, v127 /*v383*/, v155
	v_mul_i32_i24_e32 v235 /*v491*/, v126 /*v382*/, v156
	s_set_vgpr_msb 0x55                     ;  msbs: dst=1 src0=1 src1=1 src2=1
	v_add3_u32 v182 /*v438*/, v182 /*v438*/, v228 /*v484*/, v229 /*v485*/
	s_set_vgpr_msb 0x41                     ;  msbs: dst=1 src0=1 src1=0 src2=0
	v_mul_i32_i24_e32 v236 /*v492*/, v129 /*v385*/, v157
	v_mul_i32_i24_e32 v237 /*v493*/, v128 /*v384*/, v158
	;; [unrolled: 1-line block ×4, first 2 shown]
	s_set_vgpr_msb 0x55                     ;  msbs: dst=1 src0=1 src1=1 src2=1
	v_add3_u32 v182 /*v438*/, v182 /*v438*/, v230 /*v486*/, v231 /*v487*/
	s_set_vgpr_msb 0x41                     ;  msbs: dst=1 src0=1 src1=0 src2=0
	v_mul_i32_i24_e32 v240 /*v496*/, v141 /*v397*/, v161
	v_mul_i32_i24_e32 v241 /*v497*/, v138 /*v394*/, v162
	s_set_vgpr_msb 0x44                     ;  msbs: dst=1 src0=0 src1=1 src2=0
	v_mul_i32_i24_e32 v242 /*v498*/, v163, v144 /*v400*/
	s_set_vgpr_msb 0x55                     ;  msbs: dst=1 src0=1 src1=1 src2=1
	v_mul_i32_i24_e32 v243 /*v499*/, v198 /*v454*/, v145 /*v401*/
	v_add3_u32 v182 /*v438*/, v182 /*v438*/, v232 /*v488*/, v233 /*v489*/
	v_mul_i32_i24_e32 v183 /*v439*/, v148 /*v404*/, v203 /*v459*/
	v_mul_i32_i24_e32 v184 /*v440*/, v139 /*v395*/, v204 /*v460*/
	v_bfe_i32 v209 /*v465*/, v192 /*v448*/, 0, 8
	v_bfe_i32 v210 /*v466*/, v192 /*v448*/, 8, 8
	v_add3_u32 v182 /*v438*/, v182 /*v438*/, v234 /*v490*/, v235 /*v491*/
	v_bfe_i32 v211 /*v467*/, v192 /*v448*/, 16, 8
	v_ashrrev_i32_e32 v192 /*v448*/, 24, v192 /*v448*/
	v_mul_i32_i24_e32 v185 /*v441*/, v149 /*v405*/, v207 /*v463*/
	v_mul_i32_i24_e32 v186 /*v442*/, v131 /*v387*/, v208 /*v464*/
	v_add3_u32 v182 /*v438*/, v182 /*v438*/, v236 /*v492*/, v237 /*v493*/
	s_set_vgpr_msb 0x44                     ;  msbs: dst=1 src0=0 src1=1 src2=0
	v_mul_i32_i24_e32 v187 /*v443*/, v116, v209 /*v465*/
	s_set_vgpr_msb 0x55                     ;  msbs: dst=1 src0=1 src1=1 src2=1
	v_mul_i32_i24_e32 v188 /*v444*/, v152 /*v408*/, v210 /*v466*/
	v_bfe_i32 v212 /*v468*/, v193 /*v449*/, 0, 8
	v_bfe_i32 v213 /*v469*/, v193 /*v449*/, 8, 8
	v_add3_u32 v182 /*v438*/, v182 /*v438*/, v238 /*v494*/, v239 /*v495*/
	v_mul_i32_i24_e32 v189 /*v445*/, v151 /*v407*/, v211 /*v467*/
	v_mul_i32_i24_e32 v190 /*v446*/, v132 /*v388*/, v192 /*v448*/
	v_bfe_i32 v214 /*v470*/, v193 /*v449*/, 16, 8
	v_ashrrev_i32_e32 v193 /*v449*/, 24, v193 /*v449*/
	v_add3_u32 v182 /*v438*/, v182 /*v438*/, v240 /*v496*/, v241 /*v497*/
	s_set_vgpr_msb 0x44                     ;  msbs: dst=1 src0=0 src1=1 src2=0
	v_mul_i32_i24_e32 v191 /*v447*/, v117, v212 /*v468*/
	s_set_vgpr_msb 0x55                     ;  msbs: dst=1 src0=1 src1=1 src2=1
	v_mul_i32_i24_e32 v228 /*v484*/, v154 /*v410*/, v213 /*v469*/
	s_wait_dscnt 0x0
	v_bfe_i32 v215 /*v471*/, v194 /*v450*/, 0, 8
	v_bfe_i32 v216 /*v472*/, v194 /*v450*/, 8, 8
	v_add3_u32 v227 /*v483*/, v182 /*v438*/, v242 /*v498*/, v243 /*v499*/
	s_set_vgpr_msb 0x44                     ;  msbs: dst=1 src0=0 src1=1 src2=0
	v_mul_i32_i24_e32 v182 /*v438*/, v118, v201 /*v457*/
	s_set_vgpr_msb 0x41                     ;  msbs: dst=1 src0=1 src1=0 src2=0
	v_bfe_i32 v217 /*v473*/, v194 /*v450*/, 16, 8
	s_set_vgpr_msb 0x45                     ;  msbs: dst=1 src0=1 src1=1 src2=0
	v_ashrrev_i32_e32 v194 /*v450*/, 24, v194 /*v450*/
	v_mul_i32_i24_e32 v229 /*v485*/, v153 /*v409*/, v214 /*v470*/
	v_mul_i32_i24_e32 v230 /*v486*/, v133 /*v389*/, v193 /*v449*/
	s_set_vgpr_msb 0x54                     ;  msbs: dst=1 src0=0 src1=1 src2=1
	v_mad_i32_i24 v182 /*v438*/, v115, v202 /*v458*/, v182 /*v438*/
	v_mul_i32_i24_e32 v231 /*v487*/, v112, v215 /*v471*/
	s_set_vgpr_msb 0x55                     ;  msbs: dst=1 src0=1 src1=1 src2=1
	v_mul_i32_i24_e32 v232 /*v488*/, v156 /*v412*/, v216 /*v472*/
	v_bfe_i32 v218 /*v474*/, v195 /*v451*/, 0, 8
	v_bfe_i32 v219 /*v475*/, v195 /*v451*/, 8, 8
	v_add3_u32 v182 /*v438*/, v182 /*v438*/, v183 /*v439*/, v184 /*v440*/
	s_set_vgpr_msb 0x44                     ;  msbs: dst=1 src0=0 src1=1 src2=0
	v_mul_i32_i24_e32 v183 /*v439*/, v119, v205 /*v461*/
	s_set_vgpr_msb 0x55                     ;  msbs: dst=1 src0=1 src1=1 src2=1
	v_mul_i32_i24_e32 v184 /*v440*/, v150 /*v406*/, v206 /*v462*/
	v_mul_i32_i24_e32 v233 /*v489*/, v155 /*v411*/, v217 /*v473*/
	;; [unrolled: 1-line block ×3, first 2 shown]
	v_bfe_i32 v220 /*v476*/, v195 /*v451*/, 16, 8
	v_ashrrev_i32_e32 v195 /*v451*/, 24, v195 /*v451*/
	v_add3_u32 v182 /*v438*/, v182 /*v438*/, v183 /*v439*/, v184 /*v440*/
	s_set_vgpr_msb 0x44                     ;  msbs: dst=1 src0=0 src1=1 src2=0
	v_mul_i32_i24_e32 v235 /*v491*/, v113, v218 /*v474*/
	s_set_vgpr_msb 0x55                     ;  msbs: dst=1 src0=1 src1=1 src2=1
	v_mul_i32_i24_e32 v236 /*v492*/, v158 /*v414*/, v219 /*v475*/
	v_bfe_i32 v221 /*v477*/, v196 /*v452*/, 0, 8
	v_bfe_i32 v222 /*v478*/, v196 /*v452*/, 8, 8
	v_add3_u32 v182 /*v438*/, v182 /*v438*/, v185 /*v441*/, v186 /*v442*/
	v_bfe_i32 v223 /*v479*/, v196 /*v452*/, 16, 8
	v_ashrrev_i32_e32 v196 /*v452*/, 24, v196 /*v452*/
	v_mul_i32_i24_e32 v237 /*v493*/, v157 /*v413*/, v220 /*v476*/
	v_mul_i32_i24_e32 v238 /*v494*/, v135 /*v391*/, v195 /*v451*/
	v_add3_u32 v182 /*v438*/, v182 /*v438*/, v187 /*v443*/, v188 /*v444*/
	s_set_vgpr_msb 0x44                     ;  msbs: dst=1 src0=0 src1=1 src2=0
	v_mul_i32_i24_e32 v239 /*v495*/, v114, v221 /*v477*/
	s_set_vgpr_msb 0x55                     ;  msbs: dst=1 src0=1 src1=1 src2=1
	v_mul_i32_i24_e32 v240 /*v496*/, v160 /*v416*/, v222 /*v478*/
	v_bfe_i32 v224 /*v480*/, v197 /*v453*/, 0, 8
	v_bfe_i32 v225 /*v481*/, v197 /*v453*/, 8, 8
	v_add3_u32 v182 /*v438*/, v182 /*v438*/, v189 /*v445*/, v190 /*v446*/
	v_mul_i32_i24_e32 v241 /*v497*/, v159 /*v415*/, v223 /*v479*/
	v_mul_i32_i24_e32 v242 /*v498*/, v136 /*v392*/, v196 /*v452*/
	;; [unrolled: 1-line block ×4, first 2 shown]
	v_add3_u32 v182 /*v438*/, v182 /*v438*/, v191 /*v447*/, v228 /*v484*/
	s_set_vgpr_msb 64                       ;  msbs: dst=1 src0=0 src1=0 src2=0
	ds_load_b64 v[184:185] /*v[440:441]*/, v43 offset:27200
	s_set_vgpr_msb 0x55                     ;  msbs: dst=1 src0=1 src1=1 src2=1
	v_bfe_i32 v226 /*v482*/, v197 /*v453*/, 16, 8
	v_mul_i32_i24_e32 v244 /*v500*/, v199 /*v455*/, v146 /*v402*/
	v_mul_i32_i24_e32 v245 /*v501*/, v200 /*v456*/, v147 /*v403*/
	v_add3_u32 v182 /*v438*/, v182 /*v438*/, v229 /*v485*/, v230 /*v486*/
	s_set_vgpr_msb 64                       ;  msbs: dst=1 src0=0 src1=0 src2=0
	v_mul_i32_i24_e32 v229 /*v485*/, v149, v185
	s_set_vgpr_msb 0x45                     ;  msbs: dst=1 src0=1 src1=1 src2=0
	v_mul_i32_i24_e32 v247 /*v503*/, v226 /*v482*/, v143 /*v399*/
	s_set_vgpr_msb 64                       ;  msbs: dst=1 src0=0 src1=0 src2=0
	v_mul_i32_i24_e32 v230 /*v486*/, v150, v186
	s_set_vgpr_msb 0x41                     ;  msbs: dst=1 src0=1 src1=0 src2=0
	v_mul_i32_i24_e32 v248 /*v504*/, v226 /*v482*/, v246
	s_set_vgpr_msb 0x55                     ;  msbs: dst=1 src0=1 src1=1 src2=1
	v_add3_u32 v182 /*v438*/, v182 /*v438*/, v231 /*v487*/, v232 /*v488*/
	s_set_vgpr_msb 64                       ;  msbs: dst=1 src0=0 src1=0 src2=0
	v_mul_i32_i24_e32 v231 /*v487*/, v151, v187
	v_mul_i32_i24_e32 v232 /*v488*/, v152, v188
	;; [unrolled: 1-line block ×4, first 2 shown]
	s_set_vgpr_msb 0x55                     ;  msbs: dst=1 src0=1 src1=1 src2=1
	v_add3_u32 v182 /*v438*/, v182 /*v438*/, v233 /*v489*/, v234 /*v490*/
	s_set_vgpr_msb 64                       ;  msbs: dst=1 src0=0 src1=0 src2=0
	v_mul_i32_i24_e32 v233 /*v489*/, v153, v189
	v_mul_i32_i24_e32 v234 /*v490*/, v154, v190
	s_set_vgpr_msb 0x55                     ;  msbs: dst=1 src0=1 src1=1 src2=1
	v_add3_u32 v182 /*v438*/, v182 /*v438*/, v235 /*v491*/, v236 /*v492*/
	s_wait_dscnt 0x0
	s_set_vgpr_msb 4                        ;  msbs: dst=0 src0=0 src1=1 src2=0
	v_lshrrev_b32_e32 v43, 16, v184 /*v440*/
	s_set_vgpr_msb 0x41                     ;  msbs: dst=1 src0=1 src1=0 src2=0
	v_cvt_f32_f16_e64 v187 /*v443*/, v184 /*v440*/
	v_cvt_f32_f16_e64 v191 /*v447*/, v185 /*v441*/
	s_set_vgpr_msb 64                       ;  msbs: dst=1 src0=0 src1=0 src2=0
	v_mul_i32_i24_e32 v235 /*v491*/, v192, v155
	s_set_vgpr_msb 0x55                     ;  msbs: dst=1 src0=1 src1=1 src2=1
	v_add3_u32 v182 /*v438*/, v182 /*v438*/, v237 /*v493*/, v238 /*v494*/
	s_set_vgpr_msb 64                       ;  msbs: dst=1 src0=0 src1=0 src2=0
	v_cvt_f32_f16_e64 v189 /*v445*/, v43
	v_mul_i32_i24_e32 v236 /*v492*/, v191, v156
	v_mul_i32_i24_e32 v237 /*v493*/, v194, v157
	;; [unrolled: 1-line block ×3, first 2 shown]
	s_set_vgpr_msb 0x55                     ;  msbs: dst=1 src0=1 src1=1 src2=1
	v_add3_u32 v182 /*v438*/, v182 /*v438*/, v239 /*v495*/, v240 /*v496*/
	s_set_vgpr_msb 64                       ;  msbs: dst=1 src0=0 src1=0 src2=0
	v_mul_i32_i24_e32 v239 /*v495*/, v196, v159
	v_mul_i32_i24_e32 v240 /*v496*/, v195, v160
	s_set_vgpr_msb 0x55                     ;  msbs: dst=1 src0=1 src1=1 src2=1
	v_add3_u32 v182 /*v438*/, v182 /*v438*/, v241 /*v497*/, v242 /*v498*/
	s_set_vgpr_msb 64                       ;  msbs: dst=1 src0=0 src1=0 src2=0
	v_mul_i32_i24_e32 v241 /*v497*/, v199, v161
	s_set_vgpr_msb 0x55                     ;  msbs: dst=1 src0=1 src1=1 src2=1
	s_delay_alu instid0(VALU_DEP_2)
	v_add3_u32 v228 /*v484*/, v182 /*v438*/, v243 /*v499*/, v246 /*v502*/
	ds_load_b64 v[182:183] /*v[438:439]*/, v161 /*v417*/ offset:27200
	v_ashrrev_i32_e32 v197 /*v453*/, 24, v197 /*v453*/
	s_set_vgpr_msb 64                       ;  msbs: dst=1 src0=0 src1=0 src2=0
	v_mul_i32_i24_e32 v243 /*v499*/, v163, v203
	s_set_vgpr_msb 0x41                     ;  msbs: dst=1 src0=1 src1=0 src2=0
	v_mul_i32_i24_e32 v246 /*v502*/, v200 /*v456*/, v209
	s_wait_dscnt 0x0
	s_set_vgpr_msb 0x44                     ;  msbs: dst=1 src0=0 src1=1 src2=0
	v_lshrrev_b32_e32 v161 /*v417*/, 16, v182 /*v438*/
	s_set_vgpr_msb 4                        ;  msbs: dst=0 src0=0 src1=1 src2=0
	v_lshrrev_b32_e32 v43, 16, v183 /*v439*/
	s_set_vgpr_msb 0x41                     ;  msbs: dst=1 src0=1 src1=0 src2=0
	v_cvt_f32_f16_e64 v186 /*v442*/, v182 /*v438*/
	v_cvt_f32_f16_e64 v190 /*v446*/, v183 /*v439*/
	s_set_vgpr_msb 64                       ;  msbs: dst=1 src0=0 src1=0 src2=0
	v_mul_i32_i24_e32 v242 /*v498*/, v197, v162
	s_set_vgpr_msb 0x41                     ;  msbs: dst=1 src0=1 src1=0 src2=0
	v_cvt_f32_f16_e64 v188 /*v444*/, v161 /*v417*/
	s_set_vgpr_msb 0x44                     ;  msbs: dst=1 src0=0 src1=1 src2=0
	v_lshrrev_b32_e32 v161 /*v417*/, 16, v185 /*v441*/
	v_cvt_f32_f16_e64 v182 /*v438*/, v43
	s_set_vgpr_msb 21                       ;  msbs: dst=0 src0=1 src1=1 src2=1
	v_add3_u32 v43, v227 /*v483*/, v244 /*v500*/, v245 /*v501*/
	s_set_vgpr_msb 64                       ;  msbs: dst=1 src0=0 src1=0 src2=0
	v_mul_i32_i24_e32 v227 /*v483*/, v93, v183
	s_set_vgpr_msb 0x44                     ;  msbs: dst=1 src0=0 src1=1 src2=0
	v_pk_fma_f32 v[184:185] /*v[440:441]*/, v[96:97], v[188:189] /*v[444:445]*/, 0 op_sel_hi:[0,1,0]
	s_set_vgpr_msb 0x55                     ;  msbs: dst=1 src0=1 src1=1 src2=1
	v_cvt_f32_f16_e64 v183 /*v439*/, v161 /*v417*/
	v_add3_u32 v161 /*v417*/, v177 /*v433*/, v174 /*v430*/, v175 /*v431*/
	s_set_vgpr_msb 0                        ;  msbs: dst=0 src0=0 src1=0 src2=0
	v_mul_lo_u32 v43, v43, v103
	s_set_vgpr_msb 64                       ;  msbs: dst=1 src0=0 src1=0 src2=0
	v_mul_i32_i24_e32 v177 /*v433*/, v68, v178
	s_set_vgpr_msb 0x41                     ;  msbs: dst=1 src0=1 src1=0 src2=0
	v_mul_i32_i24_e32 v244 /*v500*/, v198 /*v454*/, v206
	v_mul_i32_i24_e32 v245 /*v501*/, v199 /*v455*/, v207
	v_mul_lo_u32 v161 /*v417*/, v161 /*v417*/, v103
	v_mul_i32_i24_e32 v165 /*v421*/, v197 /*v453*/, v109
	s_set_vgpr_msb 64                       ;  msbs: dst=1 src0=0 src1=0 src2=0
	v_cvt_f32_i32_e32 v175 /*v431*/, v43
	s_set_vgpr_msb 0                        ;  msbs: dst=0 src0=0 src1=0 src2=0
	v_mul_i32_i24_e32 v43, v59, v101
	s_set_vgpr_msb 0x41                     ;  msbs: dst=1 src0=1 src1=0 src2=0
	s_delay_alu instid0(VALU_DEP_4)
	v_cvt_f32_i32_e32 v174 /*v430*/, v161 /*v417*/
	v_mul_i32_i24_e32 v161 /*v417*/, v197 /*v453*/, v101
	s_set_vgpr_msb 5                        ;  msbs: dst=0 src0=1 src1=1 src2=0
	v_add3_u32 v43, v181 /*v437*/, v180 /*v436*/, v43
	s_set_vgpr_msb 0x55                     ;  msbs: dst=1 src0=1 src1=1 src2=1
	v_pk_fma_f32 v[174:175] /*v[430:431]*/, v[186:187] /*v[442:443]*/, v[174:175] /*v[430:431]*/, 0 op_sel_hi:[1,1,0]
	v_add3_u32 v161 /*v417*/, v228 /*v484*/, v247 /*v503*/, v161 /*v417*/
	s_set_vgpr_msb 0                        ;  msbs: dst=0 src0=0 src1=0 src2=0
	v_mul_lo_u32 v43, v43, v99
	s_set_vgpr_msb 64                       ;  msbs: dst=1 src0=0 src1=0 src2=0
	v_mul_i32_i24_e32 v228 /*v484*/, v148, v184
	s_set_vgpr_msb 0x41                     ;  msbs: dst=1 src0=1 src1=0 src2=0
	v_mul_i32_i24_e32 v247 /*v503*/, v225 /*v481*/, v245
	v_mul_lo_u32 v161 /*v417*/, v161 /*v417*/, v99
	s_set_vgpr_msb 64                       ;  msbs: dst=1 src0=0 src1=0 src2=0
	s_delay_alu instid0(VALU_DEP_4) | instskip(SKIP_3) | instid1(VALU_DEP_3)
	v_cvt_f32_i32_e32 v180 /*v436*/, v43
	s_set_vgpr_msb 0                        ;  msbs: dst=0 src0=0 src1=0 src2=0
	v_mul_i32_i24_e32 v43, v58, v126
	s_set_vgpr_msb 0x41                     ;  msbs: dst=1 src0=1 src1=0 src2=0
	v_cvt_f32_i32_e32 v181 /*v437*/, v161 /*v417*/
	s_set_vgpr_msb 64                       ;  msbs: dst=1 src0=0 src1=0 src2=0
	v_mul_i32_i24_e32 v161 /*v417*/, v61, v173
	s_set_vgpr_msb 0                        ;  msbs: dst=0 src0=0 src1=0 src2=0
	v_mad_i32_i24 v43, v60, v124, v43
	s_set_vgpr_msb 0x55                     ;  msbs: dst=1 src0=1 src1=1 src2=1
	v_pk_fma_f32 v[174:175] /*v[430:431]*/, v[190:191] /*v[446:447]*/, v[180:181] /*v[436:437]*/, v[174:175] /*v[430:431]*/
	s_set_vgpr_msb 0x54                     ;  msbs: dst=1 src0=0 src1=1 src2=1
	v_pk_fma_f32 v[180:181] /*v[436:437]*/, v[98:99], v[182:183] /*v[438:439]*/, v[184:185] /*v[440:441]*/ op_sel_hi:[0,1,1]
	s_set_vgpr_msb 64                       ;  msbs: dst=1 src0=0 src1=0 src2=0
	v_mul_i32_i24_e32 v184 /*v440*/, v72, v181
	v_mul_i32_i24_e32 v185 /*v441*/, v91, v182
	s_set_vgpr_msb 0x51                     ;  msbs: dst=1 src0=1 src1=0 src2=1
	v_pk_mul_f32 v[180:181] /*v[436:437]*/, v[180:181] /*v[436:437]*/, v[8:9]
	s_delay_alu instid0(VALU_DEP_1)
	v_pk_fma_f32 v[174:175] /*v[430:431]*/, v[174:175] /*v[430:431]*/, v[0:1], v[180:181] /*v[436:437]*/ neg_lo:[0,0,1] neg_hi:[0,0,1]
	s_set_vgpr_msb 64                       ;  msbs: dst=1 src0=0 src1=0 src2=0
	v_mul_i32_i24_e32 v180 /*v436*/, v69, v179
	v_mul_i32_i24_e32 v181 /*v437*/, v70, v180
	s_set_vgpr_msb 4                        ;  msbs: dst=0 src0=0 src1=1 src2=0
	v_pk_add_f32 v[38:39], v[38:39], v[174:175] /*v[430:431]*/
	s_set_vgpr_msb 64                       ;  msbs: dst=1 src0=0 src1=0 src2=0
	v_mul_i32_i24_e32 v174 /*v430*/, v62, v174
	v_mul_i32_i24_e32 v175 /*v431*/, v66, v177
	s_set_vgpr_msb 20                       ;  msbs: dst=0 src0=0 src1=1 src2=1
	s_delay_alu instid0(VALU_DEP_2) | instskip(SKIP_4) | instid1(VALU_DEP_1)
	v_add3_u32 v43, v43, v161 /*v417*/, v174 /*v430*/
	s_set_vgpr_msb 64                       ;  msbs: dst=1 src0=0 src1=0 src2=0
	v_mul_i32_i24_e32 v161 /*v417*/, v64, v175
	v_mul_i32_i24_e32 v174 /*v430*/, v65, v176
	s_set_vgpr_msb 20                       ;  msbs: dst=0 src0=0 src1=1 src2=1
	v_add3_u32 v43, v43, v161 /*v417*/, v174 /*v430*/
	s_set_vgpr_msb 0x41                     ;  msbs: dst=1 src0=1 src1=0 src2=0
	v_mul_i32_i24_e32 v161 /*v417*/, v201 /*v457*/, v201
	v_mul_i32_i24_e32 v174 /*v430*/, v203 /*v459*/, v198
	s_set_vgpr_msb 20                       ;  msbs: dst=0 src0=0 src1=1 src2=1
	v_add3_u32 v43, v43, v175 /*v431*/, v177 /*v433*/
	s_set_vgpr_msb 0x51                     ;  msbs: dst=1 src0=1 src1=0 src2=1
	v_mul_i32_i24_e32 v175 /*v431*/, v204 /*v460*/, v204
	v_mad_i32_i24 v161 /*v417*/, v202 /*v458*/, v200, v161 /*v417*/
	v_mul_i32_i24_e32 v177 /*v433*/, v207 /*v463*/, v202
	s_set_vgpr_msb 20                       ;  msbs: dst=0 src0=0 src1=1 src2=1
	v_add3_u32 v43, v43, v180 /*v436*/, v181 /*v437*/
	s_set_vgpr_msb 0x41                     ;  msbs: dst=1 src0=1 src1=0 src2=0
	v_mul_i32_i24_e32 v180 /*v436*/, v208 /*v464*/, v212
	s_set_vgpr_msb 0x55                     ;  msbs: dst=1 src0=1 src1=1 src2=1
	v_add3_u32 v161 /*v417*/, v161 /*v417*/, v174 /*v430*/, v175 /*v431*/
	s_set_vgpr_msb 0x41                     ;  msbs: dst=1 src0=1 src1=0 src2=0
	v_mul_i32_i24_e32 v174 /*v430*/, v205 /*v461*/, v208
	v_mul_i32_i24_e32 v175 /*v431*/, v206 /*v462*/, v210
	s_set_vgpr_msb 20                       ;  msbs: dst=0 src0=0 src1=1 src2=1
	v_add3_u32 v43, v43, v184 /*v440*/, v185 /*v441*/
	s_set_vgpr_msb 0x41                     ;  msbs: dst=1 src0=1 src1=0 src2=0
	v_mul_i32_i24_e32 v181 /*v437*/, v209 /*v465*/, v213
	v_mul_i32_i24_e32 v184 /*v440*/, v210 /*v466*/, v214
	;; [unrolled: 1-line block ×3, first 2 shown]
	s_set_vgpr_msb 0x55                     ;  msbs: dst=1 src0=1 src1=1 src2=1
	v_add3_u32 v161 /*v417*/, v161 /*v417*/, v174 /*v430*/, v175 /*v431*/
	s_set_vgpr_msb 20                       ;  msbs: dst=0 src0=0 src1=1 src2=1
	v_add3_u32 v43, v43, v227 /*v483*/, v228 /*v484*/
	s_set_vgpr_msb 0x41                     ;  msbs: dst=1 src0=1 src1=0 src2=0
	v_mul_i32_i24_e32 v227 /*v483*/, v192 /*v448*/, v216
	v_mul_i32_i24_e32 v228 /*v484*/, v212 /*v468*/, v218
	v_cvt_f32_i32_e32 v174 /*v430*/, v169 /*v425*/
	s_set_vgpr_msb 0x55                     ;  msbs: dst=1 src0=1 src1=1 src2=1
	v_add3_u32 v161 /*v417*/, v161 /*v417*/, v177 /*v433*/, v180 /*v436*/
	s_set_vgpr_msb 20                       ;  msbs: dst=0 src0=0 src1=1 src2=1
	v_add3_u32 v43, v43, v229 /*v485*/, v230 /*v486*/
	s_set_vgpr_msb 0x41                     ;  msbs: dst=1 src0=1 src1=0 src2=0
	v_mul_i32_i24_e32 v229 /*v485*/, v213 /*v469*/, v220
	v_mul_i32_i24_e32 v230 /*v486*/, v214 /*v470*/, v215
	;; [unrolled: 1-line block ×3, first 2 shown]
	s_set_vgpr_msb 0x55                     ;  msbs: dst=1 src0=1 src1=1 src2=1
	v_add3_u32 v161 /*v417*/, v161 /*v417*/, v181 /*v437*/, v184 /*v440*/
	s_set_vgpr_msb 20                       ;  msbs: dst=0 src0=0 src1=1 src2=1
	v_add3_u32 v43, v43, v231 /*v487*/, v232 /*v488*/
	s_set_vgpr_msb 0x41                     ;  msbs: dst=1 src0=1 src1=0 src2=0
	v_mul_i32_i24_e32 v231 /*v487*/, v193 /*v449*/, v221
	v_mul_i32_i24_e32 v232 /*v488*/, v215 /*v471*/, v223
	s_set_vgpr_msb 0x44                     ;  msbs: dst=1 src0=0 src1=1 src2=0
	v_pk_fma_f32 v[180:181] /*v[436:437]*/, v[100:101], v[188:189] /*v[444:445]*/, 0 op_sel_hi:[0,1,0]
	s_set_vgpr_msb 0x55                     ;  msbs: dst=1 src0=1 src1=1 src2=1
	v_add3_u32 v161 /*v417*/, v161 /*v417*/, v185 /*v441*/, v227 /*v483*/
	s_set_vgpr_msb 20                       ;  msbs: dst=0 src0=0 src1=1 src2=1
	v_add3_u32 v43, v43, v233 /*v489*/, v234 /*v490*/
	s_set_vgpr_msb 0x41                     ;  msbs: dst=1 src0=1 src1=0 src2=0
	v_mul_i32_i24_e32 v233 /*v489*/, v216 /*v472*/, v225
	s_set_vgpr_msb 0x44                     ;  msbs: dst=1 src0=0 src1=1 src2=0
	v_mul_i32_i24_e32 v234 /*v490*/, v229, v217 /*v473*/
	s_set_vgpr_msb 64                       ;  msbs: dst=1 src0=0 src1=0 src2=0
	v_mul_i32_i24_e32 v177 /*v433*/, v72, v241
	s_set_vgpr_msb 0x55                     ;  msbs: dst=1 src0=1 src1=1 src2=1
	v_add3_u32 v161 /*v417*/, v161 /*v417*/, v228 /*v484*/, v229 /*v485*/
	s_set_vgpr_msb 20                       ;  msbs: dst=0 src0=0 src1=1 src2=1
	v_add3_u32 v43, v43, v235 /*v491*/, v236 /*v492*/
	s_set_vgpr_msb 0x44                     ;  msbs: dst=1 src0=0 src1=1 src2=0
	v_mul_i32_i24_e32 v235 /*v491*/, v226, v194 /*v450*/
	v_mul_i32_i24_e32 v236 /*v492*/, v231, v218 /*v474*/
	s_set_vgpr_msb 64                       ;  msbs: dst=1 src0=0 src1=0 src2=0
	v_mul_i32_i24_e32 v184 /*v440*/, v150, v250
	s_set_vgpr_msb 0x55                     ;  msbs: dst=1 src0=1 src1=1 src2=1
	v_add3_u32 v161 /*v417*/, v161 /*v417*/, v230 /*v486*/, v231 /*v487*/
	s_set_vgpr_msb 20                       ;  msbs: dst=0 src0=0 src1=1 src2=1
	v_add3_u32 v43, v43, v237 /*v493*/, v238 /*v494*/
	s_set_vgpr_msb 0x44                     ;  msbs: dst=1 src0=0 src1=1 src2=0
	v_mul_i32_i24_e32 v237 /*v493*/, v232, v219 /*v475*/
	;; [unrolled: 9-line block ×5, first 2 shown]
	s_set_vgpr_msb 0x41                     ;  msbs: dst=1 src0=1 src1=0 src2=0
	v_mul_i32_i24_e32 v244 /*v500*/, v224 /*v480*/, v244
	s_set_vgpr_msb 64                       ;  msbs: dst=1 src0=0 src1=0 src2=0
	v_mul_i32_i24_e32 v229 /*v485*/, v154, v254
	s_set_vgpr_msb 0x55                     ;  msbs: dst=1 src0=1 src1=1 src2=1
	v_add3_u32 v161 /*v417*/, v161 /*v417*/, v238 /*v494*/, v239 /*v495*/
	s_set_vgpr_msb 20                       ;  msbs: dst=0 src0=0 src1=1 src2=1
	v_add3_u32 v43, v43, v245 /*v501*/, v246 /*v502*/
	s_set_vgpr_msb 0x41                     ;  msbs: dst=1 src0=1 src1=0 src2=0
	v_mul_i32_i24_e32 v230 /*v486*/, v0 /*v256*/, v155
	s_set_vgpr_msb 64                       ;  msbs: dst=1 src0=0 src1=0 src2=0
	v_mul_i32_i24_e32 v231 /*v487*/, v255, v156
	s_set_vgpr_msb 0x41                     ;  msbs: dst=1 src0=1 src1=0 src2=0
	v_mul_i32_i24_e32 v232 /*v488*/, v2 /*v258*/, v157
	s_set_vgpr_msb 0x55                     ;  msbs: dst=1 src0=1 src1=1 src2=1
	v_add3_u32 v161 /*v417*/, v161 /*v417*/, v240 /*v496*/, v241 /*v497*/
	s_set_vgpr_msb 0                        ;  msbs: dst=0 src0=0 src1=0 src2=0
	v_mul_lo_u32 v43, v43, v122
	s_set_vgpr_msb 0x41                     ;  msbs: dst=1 src0=1 src1=0 src2=0
	v_mul_i32_i24_e32 v233 /*v489*/, v1 /*v257*/, v158
	v_mul_i32_i24_e32 v234 /*v490*/, v4 /*v260*/, v159
	;; [unrolled: 1-line block ×3, first 2 shown]
	s_set_vgpr_msb 0x55                     ;  msbs: dst=1 src0=1 src1=1 src2=1
	v_add3_u32 v161 /*v417*/, v161 /*v417*/, v242 /*v498*/, v243 /*v499*/
	s_set_vgpr_msb 0x41                     ;  msbs: dst=1 src0=1 src1=0 src2=0
	v_mul_i32_i24_e32 v236 /*v492*/, v7 /*v263*/, v161
	v_mul_i32_i24_e32 v237 /*v493*/, v5 /*v261*/, v162
	s_set_vgpr_msb 0x44                     ;  msbs: dst=1 src0=0 src1=1 src2=0
	v_mul_i32_i24_e32 v238 /*v494*/, v163, v11 /*v267*/
	s_set_vgpr_msb 0x55                     ;  msbs: dst=1 src0=1 src1=1 src2=1
	v_mul_i32_i24_e32 v239 /*v495*/, v198 /*v454*/, v13 /*v269*/
	v_add3_u32 v161 /*v417*/, v161 /*v417*/, v244 /*v500*/, v247 /*v503*/
	v_mul_i32_i24_e32 v240 /*v496*/, v199 /*v455*/, v14 /*v270*/
	s_set_vgpr_msb 64                       ;  msbs: dst=1 src0=0 src1=0 src2=0
	v_cvt_f32_i32_e32 v175 /*v431*/, v43
	s_set_vgpr_msb 0                        ;  msbs: dst=0 src0=0 src1=0 src2=0
	v_mul_i32_i24_e32 v43, v59, v105
	s_set_vgpr_msb 0x55                     ;  msbs: dst=1 src0=1 src1=1 src2=1
	v_mul_i32_i24_e32 v241 /*v497*/, v200 /*v456*/, v16 /*v272*/
	v_add3_u32 v161 /*v417*/, v161 /*v417*/, v248 /*v504*/, v169 /*v425*/
	s_set_vgpr_msb 64                       ;  msbs: dst=1 src0=0 src1=0 src2=0
	v_mul_i32_i24_e32 v169 /*v425*/, v62, v224
	s_set_vgpr_msb 0x45                     ;  msbs: dst=1 src0=1 src1=1 src2=0
	v_pk_fma_f32 v[174:175] /*v[430:431]*/, v[186:187] /*v[442:443]*/, v[174:175] /*v[430:431]*/, 0 op_sel_hi:[1,1,0]
	s_set_vgpr_msb 5                        ;  msbs: dst=0 src0=1 src1=1 src2=0
	v_add3_u32 v43, v179 /*v435*/, v178 /*v434*/, v43
	s_set_vgpr_msb 0x45                     ;  msbs: dst=1 src0=1 src1=1 src2=0
	v_mul_i32_i24_e32 v242 /*v498*/, v225 /*v481*/, v40 /*v296*/
	s_set_vgpr_msb 0x41                     ;  msbs: dst=1 src0=1 src1=0 src2=0
	v_mul_lo_u32 v161 /*v417*/, v161 /*v417*/, v107
	s_set_vgpr_msb 0x45                     ;  msbs: dst=1 src0=1 src1=1 src2=0
	v_mul_i32_i24_e32 v243 /*v499*/, v226 /*v482*/, v41 /*v297*/
	s_set_vgpr_msb 0                        ;  msbs: dst=0 src0=0 src1=0 src2=0
	v_mul_lo_u32 v43, v43, v107
	s_set_vgpr_msb 0x41                     ;  msbs: dst=1 src0=1 src1=0 src2=0
	s_delay_alu instid0(VALU_DEP_3) | instskip(SKIP_2) | instid1(VALU_DEP_3)
	v_cvt_f32_i32_e32 v179 /*v435*/, v161 /*v417*/
	s_set_vgpr_msb 64                       ;  msbs: dst=1 src0=0 src1=0 src2=0
	v_mul_i32_i24_e32 v161 /*v417*/, v61, v222
	v_cvt_f32_i32_e32 v178 /*v434*/, v43
	s_set_vgpr_msb 0                        ;  msbs: dst=0 src0=0 src1=0 src2=0
	v_mul_i32_i24_e32 v43, v58, v219
	s_set_vgpr_msb 0x55                     ;  msbs: dst=1 src0=1 src1=1 src2=1
	s_delay_alu instid0(VALU_DEP_2)
	v_pk_fma_f32 v[174:175] /*v[430:431]*/, v[190:191] /*v[446:447]*/, v[178:179] /*v[434:435]*/, v[174:175] /*v[430:431]*/
	s_set_vgpr_msb 0x54                     ;  msbs: dst=1 src0=0 src1=1 src2=1
	v_pk_fma_f32 v[178:179] /*v[434:435]*/, v[104:105], v[182:183] /*v[438:439]*/, v[180:181] /*v[436:437]*/ op_sel_hi:[0,1,1]
	s_set_vgpr_msb 0                        ;  msbs: dst=0 src0=0 src1=0 src2=0
	v_mad_i32_i24 v43, v60, v217, v43
	s_set_vgpr_msb 64                       ;  msbs: dst=1 src0=0 src1=0 src2=0
	v_mul_i32_i24_e32 v180 /*v436*/, v148, v248
	v_mul_i32_i24_e32 v181 /*v437*/, v149, v249
	s_set_vgpr_msb 0x41                     ;  msbs: dst=1 src0=1 src1=0 src2=0
	v_pk_mul_f32 v[178:179] /*v[434:435]*/, v[178:179] /*v[434:435]*/, v[10:11]
	s_set_vgpr_msb 20                       ;  msbs: dst=0 src0=0 src1=1 src2=1
	v_add3_u32 v43, v43, v161 /*v417*/, v169 /*v425*/
	s_set_vgpr_msb 64                       ;  msbs: dst=1 src0=0 src1=0 src2=0
	v_mul_i32_i24_e32 v161 /*v417*/, v64, v227
	v_mul_i32_i24_e32 v169 /*v425*/, v65, v228
	s_set_vgpr_msb 0x51                     ;  msbs: dst=1 src0=1 src1=0 src2=1
	v_pk_fma_f32 v[174:175] /*v[430:431]*/, v[174:175] /*v[430:431]*/, v[2:3], v[178:179] /*v[434:435]*/ neg_lo:[0,0,1] neg_hi:[0,0,1]
	s_set_vgpr_msb 64                       ;  msbs: dst=1 src0=0 src1=0 src2=0
	v_mul_i32_i24_e32 v178 /*v434*/, v91, v243
	v_mul_i32_i24_e32 v179 /*v435*/, v93, v247
	s_set_vgpr_msb 20                       ;  msbs: dst=0 src0=0 src1=1 src2=1
	v_add3_u32 v43, v43, v161 /*v417*/, v169 /*v425*/
	s_set_vgpr_msb 0x45                     ;  msbs: dst=1 src0=1 src1=1 src2=0
	v_mul_i32_i24_e32 v161 /*v417*/, v201 /*v457*/, v9 /*v265*/
	s_set_vgpr_msb 4                        ;  msbs: dst=0 src0=0 src1=1 src2=0
	v_pk_add_f32 v[36:37], v[36:37], v[174:175] /*v[430:431]*/
	s_set_vgpr_msb 64                       ;  msbs: dst=1 src0=0 src1=0 src2=0
	v_mul_i32_i24_e32 v174 /*v430*/, v69, v238
	v_mul_i32_i24_e32 v175 /*v431*/, v70, v240
	s_set_vgpr_msb 20                       ;  msbs: dst=0 src0=0 src1=1 src2=1
	v_add3_u32 v43, v43, v170 /*v426*/, v172 /*v428*/
	s_set_vgpr_msb 0x55                     ;  msbs: dst=1 src0=1 src1=1 src2=1
	v_mul_i32_i24_e32 v169 /*v425*/, v203 /*v459*/, v6 /*v262*/
	v_mul_i32_i24_e32 v170 /*v426*/, v204 /*v460*/, v12 /*v268*/
	v_mad_i32_i24 v161 /*v417*/, v202 /*v458*/, v8 /*v264*/, v161 /*v417*/
	v_mul_i32_i24_e32 v172 /*v428*/, v207 /*v463*/, v10 /*v266*/
	s_set_vgpr_msb 20                       ;  msbs: dst=0 src0=0 src1=1 src2=1
	v_add3_u32 v43, v43, v174 /*v430*/, v175 /*v431*/
	s_set_vgpr_msb 0x55                     ;  msbs: dst=1 src0=1 src1=1 src2=1
	v_mul_i32_i24_e32 v174 /*v430*/, v208 /*v464*/, v19 /*v275*/
	v_mul_i32_i24_e32 v175 /*v431*/, v209 /*v465*/, v20 /*v276*/
	v_add3_u32 v161 /*v417*/, v161 /*v417*/, v169 /*v425*/, v170 /*v426*/
	v_mul_i32_i24_e32 v169 /*v425*/, v205 /*v461*/, v15 /*v271*/
	s_set_vgpr_msb 20                       ;  msbs: dst=0 src0=0 src1=1 src2=1
	v_add3_u32 v43, v43, v177 /*v433*/, v178 /*v434*/
	s_set_vgpr_msb 0x45                     ;  msbs: dst=1 src0=1 src1=1 src2=0
	v_mul_i32_i24_e32 v170 /*v426*/, v206 /*v462*/, v17 /*v273*/
	v_mul_i32_i24_e32 v177 /*v433*/, v210 /*v466*/, v21 /*v277*/
	;; [unrolled: 1-line block ×3, first 2 shown]
	s_set_vgpr_msb 20                       ;  msbs: dst=0 src0=0 src1=1 src2=1
	v_add3_u32 v43, v43, v179 /*v435*/, v180 /*v436*/
	s_set_vgpr_msb 0x55                     ;  msbs: dst=1 src0=1 src1=1 src2=1
	v_add3_u32 v161 /*v417*/, v161 /*v417*/, v169 /*v425*/, v170 /*v426*/
	v_mul_i32_i24_e32 v179 /*v435*/, v192 /*v448*/, v23 /*v279*/
	v_mul_i32_i24_e32 v180 /*v436*/, v212 /*v468*/, v24 /*v280*/
	s_set_vgpr_msb 20                       ;  msbs: dst=0 src0=0 src1=1 src2=1
	v_add3_u32 v43, v43, v181 /*v437*/, v184 /*v440*/
	s_set_vgpr_msb 0x55                     ;  msbs: dst=1 src0=1 src1=1 src2=1
	v_add3_u32 v161 /*v417*/, v161 /*v417*/, v172 /*v428*/, v174 /*v430*/
	v_mul_i32_i24_e32 v181 /*v437*/, v213 /*v469*/, v25 /*v281*/
	v_mul_i32_i24_e32 v184 /*v440*/, v214 /*v470*/, v22 /*v278*/
	;; [unrolled: 6-line block ×3, first 2 shown]
	s_set_vgpr_msb 0x44                     ;  msbs: dst=1 src0=0 src1=1 src2=0
	v_pk_fma_f32 v[174:175] /*v[430:431]*/, v[102:103], v[188:189] /*v[444:445]*/, 0 op_sel_hi:[0,1,0]
	s_set_vgpr_msb 20                       ;  msbs: dst=0 src0=0 src1=1 src2=1
	v_add3_u32 v43, v43, v228 /*v484*/, v229 /*v485*/
	s_set_vgpr_msb 0x55                     ;  msbs: dst=1 src0=1 src1=1 src2=1
	v_add3_u32 v161 /*v417*/, v161 /*v417*/, v178 /*v434*/, v179 /*v435*/
	v_mul_i32_i24_e32 v228 /*v484*/, v216 /*v472*/, v28 /*v284*/
	v_mul_i32_i24_e32 v229 /*v485*/, v30 /*v286*/, v217 /*v473*/
	s_set_vgpr_msb 20                       ;  msbs: dst=0 src0=0 src1=1 src2=1
	v_add3_u32 v43, v43, v230 /*v486*/, v231 /*v487*/
	s_set_vgpr_msb 0x55                     ;  msbs: dst=1 src0=1 src1=1 src2=1
	v_add3_u32 v161 /*v417*/, v161 /*v417*/, v180 /*v436*/, v181 /*v437*/
	v_mul_i32_i24_e32 v230 /*v486*/, v29 /*v285*/, v194 /*v450*/
	v_mul_i32_i24_e32 v231 /*v487*/, v31 /*v287*/, v218 /*v474*/
	;; [unrolled: 6-line block ×6, first 2 shown]
	s_set_vgpr_msb 20                       ;  msbs: dst=0 src0=0 src1=1 src2=1
	v_add3_u32 v43, v43, v240 /*v496*/, v241 /*v497*/
	s_set_vgpr_msb 0x55                     ;  msbs: dst=1 src0=1 src1=1 src2=1
	v_add3_u32 v161 /*v417*/, v161 /*v417*/, v233 /*v489*/, v234 /*v490*/
	s_set_vgpr_msb 0                        ;  msbs: dst=0 src0=0 src1=0 src2=0
	s_delay_alu instid0(VALU_DEP_2) | instskip(SKIP_1) | instid1(VALU_DEP_2)
	v_mul_lo_u32 v43, v43, v205
	s_set_vgpr_msb 0x55                     ;  msbs: dst=1 src0=1 src1=1 src2=1
	v_add3_u32 v161 /*v417*/, v161 /*v417*/, v235 /*v491*/, v236 /*v492*/
	s_delay_alu instid0(VALU_DEP_1) | instskip(SKIP_1) | instid1(VALU_DEP_3)
	v_add3_u32 v161 /*v417*/, v161 /*v417*/, v237 /*v493*/, v238 /*v494*/
	s_set_vgpr_msb 64                       ;  msbs: dst=1 src0=0 src1=0 src2=0
	v_cvt_f32_i32_e32 v167 /*v423*/, v43
	s_set_vgpr_msb 0                        ;  msbs: dst=0 src0=0 src1=0 src2=0
	v_mul_i32_i24_e32 v43, v59, v109
	s_set_vgpr_msb 0x55                     ;  msbs: dst=1 src0=1 src1=1 src2=1
	v_add3_u32 v161 /*v417*/, v161 /*v417*/, v239 /*v495*/, v242 /*v498*/
	v_pk_fma_f32 v[166:167] /*v[422:423]*/, v[186:187] /*v[442:443]*/, v[166:167] /*v[422:423]*/, 0 op_sel_hi:[1,1,0]
	s_set_vgpr_msb 5                        ;  msbs: dst=0 src0=1 src1=1 src2=0
	v_add3_u32 v43, v176 /*v432*/, v173 /*v429*/, v43
	s_set_vgpr_msb 0x55                     ;  msbs: dst=1 src0=1 src1=1 src2=1
	v_add3_u32 v161 /*v417*/, v161 /*v417*/, v243 /*v499*/, v165 /*v421*/
	s_set_vgpr_msb 0                        ;  msbs: dst=0 src0=0 src1=0 src2=0
	s_delay_alu instid0(VALU_DEP_2) | instskip(SKIP_1) | instid1(VALU_DEP_2)
	v_mul_lo_u32 v43, v43, v111
	s_set_vgpr_msb 0x41                     ;  msbs: dst=1 src0=1 src1=0 src2=0
	v_mul_lo_u32 v161 /*v417*/, v161 /*v417*/, v111
	s_set_vgpr_msb 64                       ;  msbs: dst=1 src0=0 src1=0 src2=0
	s_delay_alu instid0(VALU_DEP_2)
	v_cvt_f32_i32_e32 v172 /*v428*/, v43
	s_set_vgpr_msb 4                        ;  msbs: dst=0 src0=0 src1=1 src2=0
	v_mul_i32_i24_e32 v43, v58, v46 /*v302*/
	v_mul_i32_i24_e32 v58, v61, v47 /*v303*/
	;; [unrolled: 1-line block ×5, first 2 shown]
	v_mad_i32_i24 v43, v60, v45 /*v301*/, v43
	v_mul_i32_i24_e32 v60, v65, v50 /*v306*/
	v_mul_i32_i24_e32 v65, v70, v54 /*v310*/
	;; [unrolled: 1-line block ×4, first 2 shown]
	s_set_vgpr_msb 0                        ;  msbs: dst=0 src0=0 src1=0 src2=0
	v_add3_u32 v43, v43, v58, v61
	s_set_vgpr_msb 4                        ;  msbs: dst=0 src0=0 src1=1 src2=0
	v_mul_i32_i24_e32 v58, v64, v49 /*v305*/
	v_mul_i32_i24_e32 v61, v66, v51 /*v307*/
	;; [unrolled: 1-line block ×5, first 2 shown]
	s_set_vgpr_msb 0                        ;  msbs: dst=0 src0=0 src1=0 src2=0
	v_add3_u32 v43, v43, v58, v60
	s_set_vgpr_msb 5                        ;  msbs: dst=0 src0=1 src1=1 src2=0
	v_mul_i32_i24_e32 v58, v201 /*v457*/, v75 /*v331*/
	v_mul_i32_i24_e32 v60, v203 /*v459*/, v72 /*v328*/
	s_set_vgpr_msb 4                        ;  msbs: dst=0 src0=0 src1=1 src2=0
	v_mul_i32_i24_e32 v72, v149, v59 /*v315*/
	v_mul_i32_i24_e32 v93, v151, v61 /*v317*/
	s_set_vgpr_msb 0                        ;  msbs: dst=0 src0=0 src1=0 src2=0
	v_add3_u32 v43, v43, v61, v62
	s_set_vgpr_msb 5                        ;  msbs: dst=0 src0=1 src1=1 src2=0
	v_mul_i32_i24_e32 v61, v204 /*v460*/, v78 /*v334*/
	v_mad_i32_i24 v58, v202 /*v458*/, v74 /*v330*/, v58
	v_mul_i32_i24_e32 v62, v207 /*v463*/, v76 /*v332*/
	s_set_vgpr_msb 4                        ;  msbs: dst=0 src0=0 src1=1 src2=0
	v_mul_i32_i24_e32 v148, v152, v62 /*v318*/
	s_set_vgpr_msb 0                        ;  msbs: dst=0 src0=0 src1=0 src2=0
	v_add3_u32 v43, v43, v64, v65
	s_set_vgpr_msb 5                        ;  msbs: dst=0 src0=1 src1=1 src2=0
	v_mul_i32_i24_e32 v64, v208 /*v464*/, v85 /*v341*/
	s_set_vgpr_msb 0                        ;  msbs: dst=0 src0=0 src1=0 src2=0
	v_add3_u32 v58, v58, v60, v61
	s_set_vgpr_msb 5                        ;  msbs: dst=0 src0=1 src1=1 src2=0
	v_mul_i32_i24_e32 v60, v205 /*v461*/, v81 /*v337*/
	v_mul_i32_i24_e32 v61, v206 /*v462*/, v83 /*v339*/
	s_set_vgpr_msb 0                        ;  msbs: dst=0 src0=0 src1=0 src2=0
	v_add3_u32 v43, v43, v66, v68
	s_set_vgpr_msb 5                        ;  msbs: dst=0 src0=1 src1=1 src2=0
	v_mul_i32_i24_e32 v65, v209 /*v465*/, v86 /*v342*/
	v_mul_i32_i24_e32 v66, v210 /*v466*/, v87 /*v343*/
	s_set_vgpr_msb 4                        ;  msbs: dst=0 src0=0 src1=1 src2=0
	v_mul_i32_i24_e32 v149, v153, v63 /*v319*/
	s_set_vgpr_msb 0                        ;  msbs: dst=0 src0=0 src1=0 src2=0
	v_add3_u32 v58, v58, v60, v61
	v_add3_u32 v43, v43, v69, v70
	s_set_vgpr_msb 4                        ;  msbs: dst=0 src0=0 src1=1 src2=0
	v_mul_i32_i24_e32 v150, v154, v64 /*v320*/
	s_set_vgpr_msb 5                        ;  msbs: dst=0 src0=1 src1=1 src2=0
	v_mul_i32_i24_e32 v68, v211 /*v467*/, v84 /*v340*/
	v_mul_i32_i24_e32 v69, v192 /*v448*/, v89 /*v345*/
	s_set_vgpr_msb 0                        ;  msbs: dst=0 src0=0 src1=0 src2=0
	v_add3_u32 v58, v58, v62, v64
	v_add3_u32 v43, v43, v72, v91
	s_set_vgpr_msb 1                        ;  msbs: dst=0 src0=1 src1=0 src2=0
	v_mul_i32_i24_e32 v151, v66 /*v322*/, v155
	v_mul_i32_i24_e32 v152, v65 /*v321*/, v156
	s_set_vgpr_msb 5                        ;  msbs: dst=0 src0=1 src1=1 src2=0
	v_mul_i32_i24_e32 v70, v212 /*v468*/, v90 /*v346*/
	s_set_vgpr_msb 0                        ;  msbs: dst=0 src0=0 src1=0 src2=0
	v_add3_u32 v58, v58, v65, v66
	v_add3_u32 v43, v43, v93, v148
	s_set_vgpr_msb 5                        ;  msbs: dst=0 src0=1 src1=1 src2=0
	v_mul_i32_i24_e32 v72, v213 /*v469*/, v91 /*v347*/
	s_set_vgpr_msb 1                        ;  msbs: dst=0 src0=1 src1=0 src2=0
	v_mul_i32_i24_e32 v153, v68 /*v324*/, v157
	v_mul_i32_i24_e32 v154, v67 /*v323*/, v158
	s_set_vgpr_msb 0                        ;  msbs: dst=0 src0=0 src1=0 src2=0
	v_add3_u32 v58, v58, v68, v69
	v_add3_u32 v43, v43, v149, v150
	s_set_vgpr_msb 5                        ;  msbs: dst=0 src0=1 src1=1 src2=0
	v_mul_i32_i24_e32 v91, v214 /*v470*/, v88 /*v344*/
	v_mul_i32_i24_e32 v93, v193 /*v449*/, v92 /*v348*/
	s_set_vgpr_msb 1                        ;  msbs: dst=0 src0=1 src1=0 src2=0
	v_mul_i32_i24_e32 v155, v70 /*v326*/, v159
	s_set_vgpr_msb 0                        ;  msbs: dst=0 src0=0 src1=0 src2=0
	v_add3_u32 v58, v58, v70, v72
	v_add3_u32 v43, v43, v151, v152
	s_set_vgpr_msb 1                        ;  msbs: dst=0 src0=1 src1=0 src2=0
	v_mul_i32_i24_e32 v156, v69 /*v325*/, v160
	s_set_vgpr_msb 5                        ;  msbs: dst=0 src0=1 src1=1 src2=0
	v_mul_i32_i24_e32 v148, v215 /*v471*/, v93 /*v349*/
	v_mul_i32_i24_e32 v149, v216 /*v472*/, v94 /*v350*/
	s_set_vgpr_msb 0                        ;  msbs: dst=0 src0=0 src1=0 src2=0
	v_add3_u32 v58, v58, v91, v93
	v_add3_u32 v43, v43, v153, v154
	s_set_vgpr_msb 1                        ;  msbs: dst=0 src0=1 src1=0 src2=0
	v_mul_i32_i24_e32 v157, v73 /*v329*/, v161
	v_mul_i32_i24_e32 v158, v71 /*v327*/, v162
	s_set_vgpr_msb 5                        ;  msbs: dst=0 src0=1 src1=1 src2=0
	v_mul_i32_i24_e32 v150, v96 /*v352*/, v217 /*v473*/
	v_mul_i32_i24_e32 v151, v95 /*v351*/, v194 /*v450*/
	s_set_vgpr_msb 0                        ;  msbs: dst=0 src0=0 src1=0 src2=0
	v_add3_u32 v43, v43, v155, v156
	v_add3_u32 v58, v58, v148, v149
	s_set_vgpr_msb 4                        ;  msbs: dst=0 src0=0 src1=1 src2=0
	v_mul_i32_i24_e32 v159, v163, v77 /*v333*/
	s_set_vgpr_msb 5                        ;  msbs: dst=0 src0=1 src1=1 src2=0
	v_mul_i32_i24_e32 v160, v198 /*v454*/, v79 /*v335*/
	v_mul_i32_i24_e32 v152, v97 /*v353*/, v218 /*v474*/
	s_set_vgpr_msb 0                        ;  msbs: dst=0 src0=0 src1=0 src2=0
	v_add3_u32 v43, v43, v157, v158
	s_set_vgpr_msb 5                        ;  msbs: dst=0 src0=1 src1=1 src2=0
	v_mul_i32_i24_e32 v153, v98 /*v354*/, v219 /*v475*/
	s_set_vgpr_msb 0                        ;  msbs: dst=0 src0=0 src1=0 src2=0
	v_add3_u32 v58, v58, v150, v151
	s_set_vgpr_msb 5                        ;  msbs: dst=0 src0=1 src1=1 src2=0
	v_mul_i32_i24_e32 v161, v199 /*v455*/, v80 /*v336*/
	v_mul_i32_i24_e32 v162, v200 /*v456*/, v82 /*v338*/
	s_set_vgpr_msb 0                        ;  msbs: dst=0 src0=0 src1=0 src2=0
	v_add3_u32 v43, v43, v159, v160
	s_set_vgpr_msb 5                        ;  msbs: dst=0 src0=1 src1=1 src2=0
	v_mul_i32_i24_e32 v154, v100 /*v356*/, v220 /*v476*/
	;; [unrolled: 5-line block ×3, first 2 shown]
	s_set_vgpr_msb 0                        ;  msbs: dst=0 src0=0 src1=0 src2=0
	v_add3_u32 v43, v43, v161, v162
	s_set_vgpr_msb 5                        ;  msbs: dst=0 src0=1 src1=1 src2=0
	v_mul_i32_i24_e32 v157, v102 /*v358*/, v222 /*v478*/
	v_mul_i32_i24_e32 v158, v104 /*v360*/, v223 /*v479*/
	s_set_vgpr_msb 0                        ;  msbs: dst=0 src0=0 src1=0 src2=0
	v_add3_u32 v58, v58, v154, v155
	s_set_vgpr_msb 5                        ;  msbs: dst=0 src0=1 src1=1 src2=0
	v_mul_i32_i24_e32 v159, v103 /*v359*/, v196 /*v452*/
	s_set_vgpr_msb 4                        ;  msbs: dst=0 src0=0 src1=1 src2=0
	v_mul_lo_u32 v43, v43, v44 /*v300*/
	s_set_vgpr_msb 5                        ;  msbs: dst=0 src0=1 src1=1 src2=0
	v_mul_i32_i24_e32 v160, v224 /*v480*/, v105 /*v361*/
	v_mul_i32_i24_e32 v163, v225 /*v481*/, v106 /*v362*/
	s_set_vgpr_msb 0                        ;  msbs: dst=0 src0=0 src1=0 src2=0
	v_add3_u32 v58, v58, v156, v157
	s_set_vgpr_msb 0x45                     ;  msbs: dst=1 src0=1 src1=1 src2=0
	v_cvt_f32_i32_e32 v173 /*v429*/, v161 /*v417*/
	v_mul_i32_i24_e32 v161 /*v417*/, v226 /*v482*/, v107 /*v363*/
	s_set_vgpr_msb 21                       ;  msbs: dst=0 src0=1 src1=1 src2=1
	v_add3_u32 v60, v164 /*v420*/, v162 /*v418*/, v163 /*v419*/
	s_set_vgpr_msb 0x44                     ;  msbs: dst=1 src0=0 src1=1 src2=0
	v_pk_fma_f32 v[164:165] /*v[420:421]*/, v[110:111], v[188:189] /*v[444:445]*/, 0 op_sel_hi:[0,1,0]
	s_set_vgpr_msb 0                        ;  msbs: dst=0 src0=0 src1=0 src2=0
	v_add3_u32 v58, v58, v158, v159
	s_set_vgpr_msb 0x55                     ;  msbs: dst=1 src0=1 src1=1 src2=1
	v_pk_fma_f32 v[166:167] /*v[422:423]*/, v[190:191] /*v[446:447]*/, v[172:173] /*v[428:429]*/, v[166:167] /*v[422:423]*/
	s_set_vgpr_msb 0x54                     ;  msbs: dst=1 src0=0 src1=1 src2=1
	v_pk_fma_f32 v[172:173] /*v[428:429]*/, v[106:107], v[182:183] /*v[438:439]*/, v[174:175] /*v[430:431]*/ op_sel_hi:[0,1,1]
	v_cvt_f32_i32_e32 v163 /*v419*/, v43
	s_set_vgpr_msb 4                        ;  msbs: dst=0 src0=0 src1=1 src2=0
	v_mul_i32_i24_e32 v43, v59, v42 /*v298*/
	s_set_vgpr_msb 0                        ;  msbs: dst=0 src0=0 src1=0 src2=0
	v_add3_u32 v58, v58, v160, v163
	s_set_vgpr_msb 5                        ;  msbs: dst=0 src0=1 src1=1 src2=0
	v_mul_i32_i24_e32 v59, v197 /*v453*/, v42 /*v298*/
	s_set_vgpr_msb 4                        ;  msbs: dst=0 src0=0 src1=1 src2=0
	v_mul_lo_u32 v60, v60, v44 /*v300*/
	s_set_vgpr_msb 0x41                     ;  msbs: dst=1 src0=1 src1=0 src2=0
	v_pk_mul_f32 v[172:173] /*v[428:429]*/, v[172:173] /*v[428:429]*/, v[12:13]
	s_set_vgpr_msb 5                        ;  msbs: dst=0 src0=1 src1=1 src2=0
	v_add3_u32 v43, v171 /*v427*/, v168 /*v424*/, v43
	s_set_vgpr_msb 0x54                     ;  msbs: dst=1 src0=0 src1=1 src2=1
	v_pk_fma_f32 v[164:165] /*v[420:421]*/, v[108:109], v[182:183] /*v[438:439]*/, v[164:165] /*v[420:421]*/ op_sel_hi:[0,1,1]
	s_set_vgpr_msb 4                        ;  msbs: dst=0 src0=0 src1=1 src2=0
	v_add3_u32 v58, v58, v161 /*v417*/, v59
	s_set_vgpr_msb 0x51                     ;  msbs: dst=1 src0=1 src1=0 src2=1
	v_pk_fma_f32 v[166:167] /*v[422:423]*/, v[166:167] /*v[422:423]*/, v[4:5], v[172:173] /*v[428:429]*/ neg_lo:[0,0,1] neg_hi:[0,0,1]
	s_set_vgpr_msb 4                        ;  msbs: dst=0 src0=0 src1=1 src2=0
	v_mul_lo_u32 v43, v43, v43 /*v299*/
	s_set_vgpr_msb 0x41                     ;  msbs: dst=1 src0=1 src1=0 src2=0
	v_pk_mul_f32 v[164:165] /*v[420:421]*/, v[164:165] /*v[420:421]*/, v[14:15]
	s_set_vgpr_msb 4                        ;  msbs: dst=0 src0=0 src1=1 src2=0
	v_mul_lo_u32 v58, v58, v43 /*v299*/
	s_set_vgpr_msb 64                       ;  msbs: dst=1 src0=0 src1=0 src2=0
	v_cvt_f32_i32_e32 v162 /*v418*/, v60
	s_set_vgpr_msb 4                        ;  msbs: dst=0 src0=0 src1=1 src2=0
	v_pk_add_f32 v[34:35], v[34:35], v[166:167] /*v[422:423]*/
	s_set_vgpr_msb 0x45                     ;  msbs: dst=1 src0=1 src1=1 src2=0
	s_delay_alu instid0(VALU_DEP_2)
	v_pk_fma_f32 v[162:163] /*v[418:419]*/, v[186:187] /*v[442:443]*/, v[162:163] /*v[418:419]*/, 0 op_sel_hi:[1,1,0]
	s_set_vgpr_msb 64                       ;  msbs: dst=1 src0=0 src1=0 src2=0
	v_cvt_f32_i32_e32 v166 /*v422*/, v43
	s_set_vgpr_msb 0                        ;  msbs: dst=0 src0=0 src1=0 src2=0
	v_or_b32_e32 v43, s8, v140
	s_set_vgpr_msb 64                       ;  msbs: dst=1 src0=0 src1=0 src2=0
	v_cvt_f32_i32_e32 v167 /*v423*/, v58
	s_set_vgpr_msb 0                        ;  msbs: dst=0 src0=0 src1=0 src2=0
	s_delay_alu instid0(VALU_DEP_2) | instskip(SKIP_1) | instid1(VALU_DEP_2)
	v_lshlrev_b32_e32 v58, 2, v43
	s_set_vgpr_msb 0x55                     ;  msbs: dst=1 src0=1 src1=1 src2=1
	v_pk_fma_f32 v[162:163] /*v[418:419]*/, v[190:191] /*v[446:447]*/, v[166:167] /*v[422:423]*/, v[162:163] /*v[418:419]*/
	s_set_vgpr_msb 0x51                     ;  msbs: dst=1 src0=1 src1=0 src2=1
	v_lshrrev_b32_e32 v161 /*v417*/, 1, v43
	s_delay_alu instid0(VALU_DEP_2) | instskip(SKIP_1) | instid1(VALU_DEP_1)
	v_pk_fma_f32 v[162:163] /*v[418:419]*/, v[162:163] /*v[418:419]*/, v[6:7], v[164:165] /*v[420:421]*/ neg_lo:[0,0,1] neg_hi:[0,0,1]
	s_set_vgpr_msb 4                        ;  msbs: dst=0 src0=0 src1=1 src2=0
	v_pk_add_f32 v[32:33], v[32:33], v[162:163] /*v[418:419]*/
	s_set_vgpr_msb 64                       ;  msbs: dst=1 src0=0 src1=0 src2=0
	ds_load_b128 v[162:165] /*v[418:421]*/, v58 offset:16896
	ds_load_b128 v[166:169] /*v[422:425]*/, v58 offset:16912
	;; [unrolled: 1-line block ×4, first 2 shown]
	s_wait_dscnt 0x3
	s_set_vgpr_msb 1                        ;  msbs: dst=0 src0=1 src1=0 src2=0
	v_bfe_i32 v43, v162 /*v418*/, 0, 8
	v_bfe_i32 v58, v162 /*v418*/, 8, 8
	;; [unrolled: 1-line block ×3, first 2 shown]
	s_set_vgpr_msb 4                        ;  msbs: dst=0 src0=0 src1=1 src2=0
	v_dual_ashrrev_i32 v61, 24, v162 /*v418*/ :: v_dual_ashrrev_i32 v66, 24, v163 /*v419*/
	v_ashrrev_i32_e32 v72, 24, v164 /*v420*/
	s_set_vgpr_msb 1                        ;  msbs: dst=0 src0=1 src1=0 src2=0
	v_bfe_i32 v68, v164 /*v420*/, 0, 8
	v_bfe_i32 v69, v164 /*v420*/, 8, 8
	;; [unrolled: 1-line block ×3, first 2 shown]
	s_set_vgpr_msb 64                       ;  msbs: dst=1 src0=0 src1=0 src2=0
	v_mul_i32_i24_e32 v164 /*v420*/, v43, v121
	s_set_vgpr_msb 1                        ;  msbs: dst=0 src0=1 src1=0 src2=0
	v_bfe_i32 v62, v163 /*v419*/, 0, 8
	v_bfe_i32 v64, v163 /*v419*/, 8, 8
	v_bfe_i32 v91, v165 /*v421*/, 0, 8
	v_bfe_i32 v93, v165 /*v421*/, 8, 8
	v_bfe_i32 v148, v165 /*v421*/, 16, 8
	s_wait_dscnt 0x2
	s_set_vgpr_msb 4                        ;  msbs: dst=0 src0=0 src1=1 src2=0
	v_dual_ashrrev_i32 v149, 24, v165 /*v421*/ :: v_dual_ashrrev_i32 v153, 24, v166 /*v422*/
	s_set_vgpr_msb 1                        ;  msbs: dst=0 src0=1 src1=0 src2=0
	v_bfe_i32 v150, v166 /*v422*/, 0, 8
	v_bfe_i32 v151, v166 /*v422*/, 8, 8
	;; [unrolled: 1-line block ×3, first 2 shown]
	s_set_vgpr_msb 0x44                     ;  msbs: dst=1 src0=0 src1=1 src2=0
	v_mul_i32_i24_e32 v165 /*v421*/, v60, v108 /*v364*/
	v_mul_i32_i24_e32 v166 /*v422*/, v61, v109 /*v365*/
	s_set_vgpr_msb 0x50                     ;  msbs: dst=1 src0=0 src1=0 src2=1
	v_mad_i32_i24 v164 /*v420*/, v58, v120, v164 /*v420*/
	s_set_vgpr_msb 1                        ;  msbs: dst=0 src0=1 src1=0 src2=0
	v_bfe_i32 v65, v163 /*v419*/, 16, 8
	v_bfe_i32 v154, v167 /*v423*/, 0, 8
	;; [unrolled: 1-line block ×4, first 2 shown]
	s_set_vgpr_msb 0x55                     ;  msbs: dst=1 src0=1 src1=1 src2=1
	v_add3_u32 v164 /*v420*/, v164 /*v420*/, v165 /*v421*/, v166 /*v422*/
	s_set_vgpr_msb 0x44                     ;  msbs: dst=1 src0=0 src1=1 src2=0
	v_mul_i32_i24_e32 v165 /*v421*/, v62, v110 /*v366*/
	v_mul_i32_i24_e32 v166 /*v422*/, v64, v111 /*v367*/
	s_set_vgpr_msb 4                        ;  msbs: dst=0 src0=0 src1=1 src2=0
	v_dual_ashrrev_i32 v157, 24, v167 /*v423*/ :: v_dual_ashrrev_i32 v161, 24, v168 /*v424*/
	s_set_vgpr_msb 1                        ;  msbs: dst=0 src0=1 src1=0 src2=0
	v_bfe_i32 v162, v169 /*v425*/, 0, 8
	v_bfe_i32 v163, v169 /*v425*/, 8, 8
	s_set_vgpr_msb 0x41                     ;  msbs: dst=1 src0=1 src1=0 src2=0
	v_bfe_i32 v162 /*v418*/, v169 /*v425*/, 16, 8
	s_set_vgpr_msb 0x44                     ;  msbs: dst=1 src0=0 src1=1 src2=0
	v_ashrrev_i32_e32 v163 /*v419*/, 24, v169 /*v425*/
	v_mul_i32_i24_e32 v167 /*v423*/, v65, v112 /*v368*/
	v_mul_i32_i24_e32 v169 /*v425*/, v66, v113 /*v369*/
	s_set_vgpr_msb 0x55                     ;  msbs: dst=1 src0=1 src1=1 src2=1
	v_add3_u32 v164 /*v420*/, v164 /*v420*/, v165 /*v421*/, v166 /*v422*/
	s_set_vgpr_msb 1                        ;  msbs: dst=0 src0=1 src1=0 src2=0
	v_bfe_i32 v158, v168 /*v424*/, 0, 8
	v_bfe_i32 v159, v168 /*v424*/, 8, 8
	;; [unrolled: 1-line block ×3, first 2 shown]
	s_wait_dscnt 0x1
	s_set_vgpr_msb 0x41                     ;  msbs: dst=1 src0=1 src1=0 src2=0
	v_bfe_i32 v168 /*v424*/, v170 /*v426*/, 0, 8
	v_bfe_i32 v182 /*v438*/, v170 /*v426*/, 8, 8
	;; [unrolled: 1-line block ×3, first 2 shown]
	s_set_vgpr_msb 0x44                     ;  msbs: dst=1 src0=0 src1=1 src2=0
	v_ashrrev_i32_e32 v184 /*v440*/, 24, v170 /*v426*/
	s_set_vgpr_msb 0x41                     ;  msbs: dst=1 src0=1 src1=0 src2=0
	v_bfe_i32 v188 /*v444*/, v172 /*v428*/, 0, 8
	v_bfe_i32 v189 /*v445*/, v172 /*v428*/, 8, 8
	;; [unrolled: 1-line block ×3, first 2 shown]
	s_set_vgpr_msb 0x44                     ;  msbs: dst=1 src0=0 src1=1 src2=0
	v_dual_ashrrev_i32 v191 /*v447*/, 24, v172 /*v428*/ :: v_dual_ashrrev_i32 v195 /*v451*/, 24, v173 /*v429*/
	v_mul_i32_i24_e32 v170 /*v426*/, v68, v114 /*v370*/
	v_mul_i32_i24_e32 v172 /*v428*/, v69, v115 /*v371*/
	s_set_vgpr_msb 0x55                     ;  msbs: dst=1 src0=1 src1=1 src2=1
	v_add3_u32 v164 /*v420*/, v164 /*v420*/, v167 /*v423*/, v169 /*v425*/
	v_bfe_i32 v192 /*v448*/, v173 /*v429*/, 0, 8
	v_bfe_i32 v193 /*v449*/, v173 /*v429*/, 8, 8
	;; [unrolled: 1-line block ×3, first 2 shown]
	s_wait_dscnt 0x0
	v_bfe_i32 v204 /*v460*/, v176 /*v432*/, 0, 8
	v_bfe_i32 v205 /*v461*/, v176 /*v432*/, 8, 8
	;; [unrolled: 1-line block ×3, first 2 shown]
	v_ashrrev_i32_e32 v207 /*v463*/, 24, v176 /*v432*/
	s_set_vgpr_msb 0x44                     ;  msbs: dst=1 src0=0 src1=1 src2=0
	v_mul_i32_i24_e32 v173 /*v429*/, v70, v116 /*v372*/
	v_mul_i32_i24_e32 v176 /*v432*/, v72, v117 /*v373*/
	s_set_vgpr_msb 0x55                     ;  msbs: dst=1 src0=1 src1=1 src2=1
	v_add3_u32 v164 /*v420*/, v164 /*v420*/, v170 /*v426*/, v172 /*v428*/
	v_bfe_i32 v208 /*v464*/, v177 /*v433*/, 0, 8
	v_bfe_i32 v209 /*v465*/, v177 /*v433*/, 8, 8
	;; [unrolled: 1-line block ×3, first 2 shown]
	s_set_vgpr_msb 4                        ;  msbs: dst=0 src0=0 src1=1 src2=0
	v_ashrrev_i32_e32 v59, 24, v177 /*v433*/
	s_set_vgpr_msb 0x44                     ;  msbs: dst=1 src0=0 src1=1 src2=0
	v_mul_i32_i24_e32 v177 /*v433*/, v91, v118 /*v374*/
	v_mul_i32_i24_e32 v178 /*v434*/, v93, v119 /*v375*/
	s_set_vgpr_msb 0x55                     ;  msbs: dst=1 src0=1 src1=1 src2=1
	v_add3_u32 v164 /*v420*/, v164 /*v420*/, v173 /*v429*/, v176 /*v432*/
	s_set_vgpr_msb 0x44                     ;  msbs: dst=1 src0=0 src1=1 src2=0
	v_mul_i32_i24_e32 v179 /*v435*/, v148, v120 /*v376*/
	v_mul_i32_i24_e32 v180 /*v436*/, v149, v121 /*v377*/
	v_mul_i32_i24_e32 v181 /*v437*/, v150, v122 /*v378*/
	v_mul_i32_i24_e32 v211 /*v467*/, v151, v123 /*v379*/
	s_set_vgpr_msb 0x55                     ;  msbs: dst=1 src0=1 src1=1 src2=1
	v_add3_u32 v164 /*v420*/, v164 /*v420*/, v177 /*v433*/, v178 /*v434*/
	s_set_vgpr_msb 0x44                     ;  msbs: dst=1 src0=0 src1=1 src2=0
	v_mul_i32_i24_e32 v212 /*v468*/, v152, v124 /*v380*/
	v_mul_i32_i24_e32 v213 /*v469*/, v153, v125 /*v381*/
	s_set_vgpr_msb 0x41                     ;  msbs: dst=1 src0=1 src1=0 src2=0
	v_mul_i32_i24_e32 v214 /*v470*/, v127 /*v383*/, v154
	v_mul_i32_i24_e32 v215 /*v471*/, v126 /*v382*/, v155
	s_set_vgpr_msb 0x55                     ;  msbs: dst=1 src0=1 src1=1 src2=1
	v_add3_u32 v164 /*v420*/, v164 /*v420*/, v179 /*v435*/, v180 /*v436*/
	s_set_vgpr_msb 0x41                     ;  msbs: dst=1 src0=1 src1=0 src2=0
	v_mul_i32_i24_e32 v216 /*v472*/, v129 /*v385*/, v156
	v_mul_i32_i24_e32 v217 /*v473*/, v128 /*v384*/, v157
	;; [unrolled: 1-line block ×4, first 2 shown]
	s_set_vgpr_msb 0x55                     ;  msbs: dst=1 src0=1 src1=1 src2=1
	v_add3_u32 v164 /*v420*/, v164 /*v420*/, v181 /*v437*/, v211 /*v467*/
	s_set_vgpr_msb 0x41                     ;  msbs: dst=1 src0=1 src1=0 src2=0
	v_mul_i32_i24_e32 v220 /*v476*/, v141 /*v397*/, v160
	v_mul_i32_i24_e32 v221 /*v477*/, v138 /*v394*/, v161
	s_set_vgpr_msb 0x44                     ;  msbs: dst=1 src0=0 src1=1 src2=0
	v_mul_i32_i24_e32 v222 /*v478*/, v162, v144 /*v400*/
	v_mul_i32_i24_e32 v223 /*v479*/, v163, v145 /*v401*/
	s_set_vgpr_msb 0x55                     ;  msbs: dst=1 src0=1 src1=1 src2=1
	v_add3_u32 v164 /*v420*/, v164 /*v420*/, v212 /*v468*/, v213 /*v469*/
	v_bfe_i32 v185 /*v441*/, v171 /*v427*/, 0, 8
	v_bfe_i32 v186 /*v442*/, v171 /*v427*/, 8, 8
	v_mul_i32_i24_e32 v165 /*v421*/, v148 /*v404*/, v183 /*v439*/
	v_mul_i32_i24_e32 v166 /*v422*/, v139 /*v395*/, v184 /*v440*/
	v_add3_u32 v164 /*v420*/, v164 /*v420*/, v214 /*v470*/, v215 /*v471*/
	v_bfe_i32 v187 /*v443*/, v171 /*v427*/, 16, 8
	v_ashrrev_i32_e32 v171 /*v427*/, 24, v171 /*v427*/
	s_set_vgpr_msb 0x44                     ;  msbs: dst=1 src0=0 src1=1 src2=0
	v_mul_i32_i24_e32 v170 /*v426*/, v116, v188 /*v444*/
	s_set_vgpr_msb 0x55                     ;  msbs: dst=1 src0=1 src1=1 src2=1
	v_mul_i32_i24_e32 v172 /*v428*/, v152 /*v408*/, v189 /*v445*/
	v_add3_u32 v164 /*v420*/, v164 /*v420*/, v216 /*v472*/, v217 /*v473*/
	v_mul_i32_i24_e32 v167 /*v423*/, v149 /*v405*/, v187 /*v443*/
	v_mul_i32_i24_e32 v169 /*v425*/, v131 /*v387*/, v171 /*v427*/
	;; [unrolled: 1-line block ×4, first 2 shown]
	v_add3_u32 v164 /*v420*/, v164 /*v420*/, v218 /*v474*/, v219 /*v475*/
	s_set_vgpr_msb 0x44                     ;  msbs: dst=1 src0=0 src1=1 src2=0
	v_mul_i32_i24_e32 v178 /*v434*/, v117, v192 /*v448*/
	s_set_vgpr_msb 0x55                     ;  msbs: dst=1 src0=1 src1=1 src2=1
	v_mul_i32_i24_e32 v179 /*v435*/, v154 /*v410*/, v193 /*v449*/
	v_bfe_i32 v196 /*v452*/, v174 /*v430*/, 0, 8
	v_bfe_i32 v197 /*v453*/, v174 /*v430*/, 8, 8
	v_add3_u32 v164 /*v420*/, v164 /*v420*/, v220 /*v476*/, v221 /*v477*/
	v_mul_i32_i24_e32 v181 /*v437*/, v153 /*v409*/, v194 /*v450*/
	v_mul_i32_i24_e32 v211 /*v467*/, v133 /*v389*/, v195 /*v451*/
	v_bfe_i32 v198 /*v454*/, v174 /*v430*/, 16, 8
	v_dual_ashrrev_i32 v199 /*v455*/, 24, v174 /*v430*/ :: v_dual_ashrrev_i32 v203 /*v459*/, 24, v175 /*v431*/
	v_add3_u32 v177 /*v433*/, v164 /*v420*/, v222 /*v478*/, v223 /*v479*/
	s_set_vgpr_msb 0x44                     ;  msbs: dst=1 src0=0 src1=1 src2=0
	v_mul_i32_i24_e32 v164 /*v420*/, v118, v168 /*v424*/
	v_mul_i32_i24_e32 v212 /*v468*/, v112, v196 /*v452*/
	s_set_vgpr_msb 0x45                     ;  msbs: dst=1 src0=1 src1=1 src2=0
	v_mul_i32_i24_e32 v213 /*v469*/, v156 /*v412*/, v197 /*v453*/
	v_bfe_i32 v200 /*v456*/, v175 /*v431*/, 0, 8
	v_bfe_i32 v201 /*v457*/, v175 /*v431*/, 8, 8
	s_set_vgpr_msb 0x54                     ;  msbs: dst=1 src0=0 src1=1 src2=1
	v_mad_i32_i24 v164 /*v420*/, v115, v182 /*v438*/, v164 /*v420*/
	s_set_vgpr_msb 0x45                     ;  msbs: dst=1 src0=1 src1=1 src2=0
	v_mul_i32_i24_e32 v214 /*v470*/, v155 /*v411*/, v198 /*v454*/
	v_mul_i32_i24_e32 v215 /*v471*/, v134 /*v390*/, v199 /*v455*/
	v_bfe_i32 v202 /*v458*/, v175 /*v431*/, 16, 8
	s_set_vgpr_msb 0x44                     ;  msbs: dst=1 src0=0 src1=1 src2=0
	v_mul_i32_i24_e32 v216 /*v472*/, v113, v200 /*v456*/
	s_set_vgpr_msb 0x55                     ;  msbs: dst=1 src0=1 src1=1 src2=1
	v_add3_u32 v164 /*v420*/, v164 /*v420*/, v165 /*v421*/, v166 /*v422*/
	s_set_vgpr_msb 0x44                     ;  msbs: dst=1 src0=0 src1=1 src2=0
	v_mul_i32_i24_e32 v165 /*v421*/, v119, v185 /*v441*/
	s_set_vgpr_msb 0x45                     ;  msbs: dst=1 src0=1 src1=1 src2=0
	v_mul_i32_i24_e32 v166 /*v422*/, v150 /*v406*/, v186 /*v442*/
	v_mul_i32_i24_e32 v217 /*v473*/, v158 /*v414*/, v201 /*v457*/
	;; [unrolled: 1-line block ×4, first 2 shown]
	s_set_vgpr_msb 0x44                     ;  msbs: dst=1 src0=0 src1=1 src2=0
	v_mul_i32_i24_e32 v220 /*v476*/, v114, v204 /*v460*/
	s_set_vgpr_msb 0x55                     ;  msbs: dst=1 src0=1 src1=1 src2=1
	v_add3_u32 v164 /*v420*/, v164 /*v420*/, v165 /*v421*/, v166 /*v422*/
	v_mul_i32_i24_e32 v221 /*v477*/, v160 /*v416*/, v205 /*v461*/
	v_mul_i32_i24_e32 v222 /*v478*/, v159 /*v415*/, v206 /*v462*/
	;; [unrolled: 1-line block ×4, first 2 shown]
	v_add3_u32 v164 /*v420*/, v164 /*v420*/, v167 /*v423*/, v169 /*v425*/
	v_mul_i32_i24_e32 v225 /*v481*/, v209 /*v465*/, v142 /*v398*/
	s_set_vgpr_msb 64                       ;  msbs: dst=1 src0=0 src1=0 src2=0
	v_mul_i32_i24_e32 v165 /*v421*/, v60, v173
	v_mul_i32_i24_e32 v166 /*v422*/, v61, v174
	;; [unrolled: 1-line block ×3, first 2 shown]
	s_set_vgpr_msb 0x55                     ;  msbs: dst=1 src0=1 src1=1 src2=1
	v_add3_u32 v164 /*v420*/, v164 /*v420*/, v170 /*v426*/, v172 /*v428*/
	s_set_vgpr_msb 64                       ;  msbs: dst=1 src0=0 src1=0 src2=0
	v_mul_i32_i24_e32 v172 /*v428*/, v66, v178
	v_mul_i32_i24_e32 v226 /*v482*/, v197, v161
	;; [unrolled: 1-line block ×4, first 2 shown]
	s_set_vgpr_msb 0x55                     ;  msbs: dst=1 src0=1 src1=1 src2=1
	v_add3_u32 v164 /*v420*/, v164 /*v420*/, v173 /*v429*/, v176 /*v432*/
	s_set_vgpr_msb 64                       ;  msbs: dst=1 src0=0 src1=0 src2=0
	v_mul_i32_i24_e32 v173 /*v429*/, v68, v179
	v_mul_i32_i24_e32 v176 /*v432*/, v69, v180
	s_set_vgpr_msb 0x41                     ;  msbs: dst=1 src0=1 src1=0 src2=0
	v_mul_i32_i24_e32 v229 /*v485*/, v208 /*v464*/, v244
	v_mul_i32_i24_e32 v230 /*v486*/, v209 /*v465*/, v245
	s_set_vgpr_msb 0x55                     ;  msbs: dst=1 src0=1 src1=1 src2=1
	v_add3_u32 v164 /*v420*/, v164 /*v420*/, v178 /*v434*/, v179 /*v435*/
	s_set_vgpr_msb 64                       ;  msbs: dst=1 src0=0 src1=0 src2=0
	v_mul_i32_i24_e32 v178 /*v434*/, v70, v181
	v_mul_i32_i24_e32 v179 /*v435*/, v72, v182
	s_set_vgpr_msb 0x41                     ;  msbs: dst=1 src0=1 src1=0 src2=0
	v_mul_i32_i24_e32 v231 /*v487*/, v5 /*v261*/, v161
	s_set_vgpr_msb 0x44                     ;  msbs: dst=1 src0=0 src1=1 src2=0
	v_mul_i32_i24_e32 v232 /*v488*/, v162, v11 /*v267*/
	s_set_vgpr_msb 0x55                     ;  msbs: dst=1 src0=1 src1=1 src2=1
	v_add3_u32 v164 /*v420*/, v164 /*v420*/, v181 /*v437*/, v211 /*v467*/
	s_set_vgpr_msb 64                       ;  msbs: dst=1 src0=0 src1=0 src2=0
	v_mul_i32_i24_e32 v211 /*v467*/, v91, v183
	s_set_vgpr_msb 0x44                     ;  msbs: dst=1 src0=0 src1=1 src2=0
	v_mul_i32_i24_e32 v233 /*v489*/, v163, v13 /*v269*/
	s_set_vgpr_msb 0x55                     ;  msbs: dst=1 src0=1 src1=1 src2=1
	v_mul_i32_i24_e32 v234 /*v490*/, v208 /*v464*/, v39 /*v295*/
	v_mul_i32_i24_e32 v235 /*v491*/, v209 /*v465*/, v40 /*v296*/
	v_add3_u32 v164 /*v420*/, v164 /*v420*/, v212 /*v468*/, v213 /*v469*/
	s_set_vgpr_msb 64                       ;  msbs: dst=1 src0=0 src1=0 src2=0
	v_mul_i32_i24_e32 v212 /*v468*/, v93, v184
	v_mul_i32_i24_e32 v213 /*v469*/, v148, v185
	s_set_vgpr_msb 0x55                     ;  msbs: dst=1 src0=1 src1=1 src2=1
	v_mul_i32_i24_e32 v180 /*v436*/, v210 /*v466*/, v143 /*v399*/
	v_mul_i32_i24_e32 v174 /*v430*/, v162 /*v418*/, v146 /*v402*/
	v_add3_u32 v164 /*v420*/, v164 /*v420*/, v214 /*v470*/, v215 /*v471*/
	s_set_vgpr_msb 64                       ;  msbs: dst=1 src0=0 src1=0 src2=0
	v_mul_i32_i24_e32 v214 /*v470*/, v149, v186
	v_mul_i32_i24_e32 v215 /*v471*/, v150, v187
	s_set_vgpr_msb 0x45                     ;  msbs: dst=1 src0=1 src1=1 src2=0
	v_mul_i32_i24_e32 v175 /*v431*/, v163 /*v419*/, v147 /*v403*/
	s_set_vgpr_msb 0x41                     ;  msbs: dst=1 src0=1 src1=0 src2=0
	v_mul_i32_i24_e32 v169 /*v425*/, v162 /*v418*/, v207
	s_set_vgpr_msb 0x55                     ;  msbs: dst=1 src0=1 src1=1 src2=1
	v_add3_u32 v164 /*v420*/, v164 /*v420*/, v216 /*v472*/, v217 /*v473*/
	s_set_vgpr_msb 64                       ;  msbs: dst=1 src0=0 src1=0 src2=0
	v_mul_i32_i24_e32 v216 /*v472*/, v151, v188
	v_mul_i32_i24_e32 v217 /*v473*/, v152, v189
	s_set_vgpr_msb 0x41                     ;  msbs: dst=1 src0=1 src1=0 src2=0
	v_mul_i32_i24_e32 v170 /*v426*/, v163 /*v419*/, v209
	s_set_vgpr_msb 0x55                     ;  msbs: dst=1 src0=1 src1=1 src2=1
	v_add3_u32 v164 /*v420*/, v164 /*v420*/, v218 /*v474*/, v219 /*v475*/
	s_set_vgpr_msb 64                       ;  msbs: dst=1 src0=0 src1=0 src2=0
	v_mul_i32_i24_e32 v218 /*v474*/, v153, v190
	v_mul_i32_i24_e32 v219 /*v475*/, v192, v154
	s_set_vgpr_msb 0x55                     ;  msbs: dst=1 src0=1 src1=1 src2=1
	v_add3_u32 v164 /*v420*/, v164 /*v420*/, v220 /*v476*/, v221 /*v477*/
	s_set_vgpr_msb 64                       ;  msbs: dst=1 src0=0 src1=0 src2=0
	v_mul_i32_i24_e32 v220 /*v476*/, v191, v155
	v_mul_i32_i24_e32 v221 /*v477*/, v194, v156
	;; [unrolled: 5-line block ×3, first 2 shown]
	s_set_vgpr_msb 0x55                     ;  msbs: dst=1 src0=1 src1=1 src2=1
	v_add3_u32 v181 /*v437*/, v164 /*v420*/, v224 /*v480*/, v225 /*v481*/
	s_set_vgpr_msb 0x50                     ;  msbs: dst=1 src0=0 src1=0 src2=1
	v_mul_i32_i24_e32 v164 /*v420*/, v43, v126
	v_mul_i32_i24_e32 v224 /*v480*/, v195, v159
	;; [unrolled: 1-line block ×3, first 2 shown]
	s_delay_alu instid0(VALU_DEP_3) | instskip(SKIP_1) | instid1(VALU_DEP_1)
	v_mad_i32_i24 v164 /*v420*/, v58, v124, v164 /*v420*/
	s_set_vgpr_msb 0x55                     ;  msbs: dst=1 src0=1 src1=1 src2=1
	v_add3_u32 v164 /*v420*/, v164 /*v420*/, v165 /*v421*/, v166 /*v422*/
	s_set_vgpr_msb 64                       ;  msbs: dst=1 src0=0 src1=0 src2=0
	v_mul_i32_i24_e32 v165 /*v421*/, v62, v175
	v_mul_i32_i24_e32 v166 /*v422*/, v64, v176
	s_set_vgpr_msb 0x55                     ;  msbs: dst=1 src0=1 src1=1 src2=1
	s_delay_alu instid0(VALU_DEP_1)
	v_add3_u32 v164 /*v420*/, v164 /*v420*/, v165 /*v421*/, v166 /*v422*/
	s_set_vgpr_msb 0x41                     ;  msbs: dst=1 src0=1 src1=0 src2=0
	v_mul_i32_i24_e32 v165 /*v421*/, v183 /*v439*/, v198
	v_mul_i32_i24_e32 v166 /*v422*/, v184 /*v440*/, v204
	s_set_vgpr_msb 0x55                     ;  msbs: dst=1 src0=1 src1=1 src2=1
	v_add3_u32 v164 /*v420*/, v164 /*v420*/, v167 /*v423*/, v172 /*v428*/
	s_set_vgpr_msb 0x41                     ;  msbs: dst=1 src0=1 src1=0 src2=0
	v_mul_i32_i24_e32 v167 /*v423*/, v187 /*v443*/, v202
	s_set_vgpr_msb 0x55                     ;  msbs: dst=1 src0=1 src1=1 src2=1
	s_delay_alu instid0(VALU_DEP_2)
	v_add3_u32 v164 /*v420*/, v164 /*v420*/, v173 /*v429*/, v176 /*v432*/
	s_set_vgpr_msb 0x41                     ;  msbs: dst=1 src0=1 src1=0 src2=0
	v_mul_i32_i24_e32 v173 /*v429*/, v171 /*v427*/, v212
	v_mul_i32_i24_e32 v176 /*v432*/, v188 /*v444*/, v213
	s_set_vgpr_msb 0x55                     ;  msbs: dst=1 src0=1 src1=1 src2=1
	v_add3_u32 v164 /*v420*/, v164 /*v420*/, v178 /*v434*/, v179 /*v435*/
	s_set_vgpr_msb 0x41                     ;  msbs: dst=1 src0=1 src1=0 src2=0
	v_mul_i32_i24_e32 v179 /*v435*/, v189 /*v445*/, v214
	v_mul_i32_i24_e32 v178 /*v434*/, v210 /*v466*/, v246
	s_set_vgpr_msb 0x55                     ;  msbs: dst=1 src0=1 src1=1 src2=1
	;; [unrolled: 5-line block ×6, first 2 shown]
	v_add3_u32 v164 /*v420*/, v164 /*v420*/, v219 /*v475*/, v220 /*v476*/
	s_set_vgpr_msb 0x44                     ;  msbs: dst=1 src0=0 src1=1 src2=0
	v_mul_i32_i24_e32 v219 /*v475*/, v229, v198 /*v454*/
	v_mul_i32_i24_e32 v220 /*v476*/, v226, v199 /*v455*/
	s_set_vgpr_msb 0x55                     ;  msbs: dst=1 src0=1 src1=1 src2=1
	v_add3_u32 v164 /*v420*/, v164 /*v420*/, v221 /*v477*/, v222 /*v478*/
	s_set_vgpr_msb 0x44                     ;  msbs: dst=1 src0=0 src1=1 src2=0
	v_mul_i32_i24_e32 v221 /*v477*/, v231, v200 /*v456*/
	v_mul_i32_i24_e32 v222 /*v478*/, v232, v201 /*v457*/
	s_set_vgpr_msb 0x55                     ;  msbs: dst=1 src0=1 src1=1 src2=1
	;; [unrolled: 5-line block ×4, first 2 shown]
	v_add3_u32 v172 /*v428*/, v164 /*v420*/, v227 /*v483*/, v228 /*v484*/
	s_set_vgpr_msb 0x41                     ;  msbs: dst=1 src0=1 src1=0 src2=0
	v_mul_i32_i24_e32 v164 /*v420*/, v168 /*v424*/, v201
	s_set_vgpr_msb 0x44                     ;  msbs: dst=1 src0=0 src1=1 src2=0
	v_mul_i32_i24_e32 v227 /*v483*/, v242, v206 /*v462*/
	v_mul_i32_i24_e32 v228 /*v484*/, v239, v207 /*v463*/
	s_set_vgpr_msb 0x55                     ;  msbs: dst=1 src0=1 src1=1 src2=1
	v_add3_u32 v169 /*v425*/, v172 /*v428*/, v169 /*v425*/, v170 /*v426*/
	s_set_vgpr_msb 0x51                     ;  msbs: dst=1 src0=1 src1=0 src2=1
	v_mad_i32_i24 v164 /*v420*/, v182 /*v438*/, v200, v164 /*v420*/
	s_delay_alu instid0(VALU_DEP_2) | instskip(SKIP_1) | instid1(VALU_DEP_2)
	v_mul_lo_u32 v169 /*v425*/, v169 /*v425*/, v122
	s_set_vgpr_msb 0x55                     ;  msbs: dst=1 src0=1 src1=1 src2=1
	v_add3_u32 v164 /*v420*/, v164 /*v420*/, v165 /*v421*/, v166 /*v422*/
	s_set_vgpr_msb 0x41                     ;  msbs: dst=1 src0=1 src1=0 src2=0
	v_mul_i32_i24_e32 v165 /*v421*/, v185 /*v441*/, v208
	v_mul_i32_i24_e32 v166 /*v422*/, v186 /*v442*/, v210
	s_set_vgpr_msb 0x55                     ;  msbs: dst=1 src0=1 src1=1 src2=1
	s_delay_alu instid0(VALU_DEP_1)
	v_add3_u32 v164 /*v420*/, v164 /*v420*/, v165 /*v421*/, v166 /*v422*/
	s_set_vgpr_msb 64                       ;  msbs: dst=1 src0=0 src1=0 src2=0
	v_mul_i32_i24_e32 v165 /*v421*/, v60, v222
	v_mul_i32_i24_e32 v166 /*v422*/, v61, v224
	s_set_vgpr_msb 4                        ;  msbs: dst=0 src0=0 src1=1 src2=0
	v_mul_i32_i24_e32 v60, v60, v47 /*v303*/
	v_mul_i32_i24_e32 v61, v61, v48 /*v304*/
	s_set_vgpr_msb 0x55                     ;  msbs: dst=1 src0=1 src1=1 src2=1
	v_add3_u32 v164 /*v420*/, v164 /*v420*/, v167 /*v423*/, v173 /*v429*/
	s_set_vgpr_msb 64                       ;  msbs: dst=1 src0=0 src1=0 src2=0
	v_mul_i32_i24_e32 v167 /*v423*/, v62, v227
	v_mul_i32_i24_e32 v173 /*v429*/, v64, v228
	s_set_vgpr_msb 0x55                     ;  msbs: dst=1 src0=1 src1=1 src2=1
	v_add3_u32 v164 /*v420*/, v164 /*v420*/, v176 /*v432*/, v179 /*v435*/
	s_set_vgpr_msb 64                       ;  msbs: dst=1 src0=0 src1=0 src2=0
	v_mul_i32_i24_e32 v176 /*v432*/, v65, v230
	s_set_vgpr_msb 0x55                     ;  msbs: dst=1 src0=1 src1=1 src2=1
	s_delay_alu instid0(VALU_DEP_2)
	v_add3_u32 v164 /*v420*/, v164 /*v420*/, v211 /*v467*/, v212 /*v468*/
	s_set_vgpr_msb 64                       ;  msbs: dst=1 src0=0 src1=0 src2=0
	v_mul_i32_i24_e32 v211 /*v467*/, v66, v233
	v_mul_i32_i24_e32 v212 /*v468*/, v68, v238
	s_set_vgpr_msb 0x55                     ;  msbs: dst=1 src0=1 src1=1 src2=1
	v_add3_u32 v164 /*v420*/, v164 /*v420*/, v213 /*v469*/, v214 /*v470*/
	s_set_vgpr_msb 64                       ;  msbs: dst=1 src0=0 src1=0 src2=0
	v_mul_i32_i24_e32 v213 /*v469*/, v69, v240
	v_mul_i32_i24_e32 v214 /*v470*/, v70, v241
	s_set_vgpr_msb 0x55                     ;  msbs: dst=1 src0=1 src1=1 src2=1
	;; [unrolled: 5-line block ×6, first 2 shown]
	v_add3_u32 v164 /*v420*/, v164 /*v420*/, v223 /*v479*/, v224 /*v480*/
	s_set_vgpr_msb 64                       ;  msbs: dst=1 src0=0 src1=0 src2=0
	v_mul_i32_i24_e32 v223 /*v479*/, v153, v254
	s_set_vgpr_msb 0x41                     ;  msbs: dst=1 src0=1 src1=0 src2=0
	v_mul_i32_i24_e32 v224 /*v480*/, v0 /*v256*/, v154
	s_set_vgpr_msb 0x55                     ;  msbs: dst=1 src0=1 src1=1 src2=1
	v_add3_u32 v164 /*v420*/, v164 /*v420*/, v225 /*v481*/, v226 /*v482*/
	s_set_vgpr_msb 64                       ;  msbs: dst=1 src0=0 src1=0 src2=0
	v_mul_i32_i24_e32 v225 /*v481*/, v255, v155
	s_set_vgpr_msb 0x41                     ;  msbs: dst=1 src0=1 src1=0 src2=0
	v_mul_i32_i24_e32 v226 /*v482*/, v2 /*v258*/, v156
	s_set_vgpr_msb 0x55                     ;  msbs: dst=1 src0=1 src1=1 src2=1
	v_add3_u32 v164 /*v420*/, v164 /*v420*/, v227 /*v483*/, v228 /*v484*/
	s_set_vgpr_msb 0x41                     ;  msbs: dst=1 src0=1 src1=0 src2=0
	v_mul_i32_i24_e32 v227 /*v483*/, v1 /*v257*/, v157
	v_mul_i32_i24_e32 v228 /*v484*/, v4 /*v260*/, v158
	s_set_vgpr_msb 0x55                     ;  msbs: dst=1 src0=1 src1=1 src2=1
	v_add3_u32 v179 /*v435*/, v164 /*v420*/, v229 /*v485*/, v230 /*v486*/
	s_set_vgpr_msb 64                       ;  msbs: dst=1 src0=0 src1=0 src2=0
	v_mul_i32_i24_e32 v164 /*v420*/, v43, v219
	s_set_vgpr_msb 0x41                     ;  msbs: dst=1 src0=1 src1=0 src2=0
	v_mul_i32_i24_e32 v229 /*v485*/, v3 /*v259*/, v159
	v_mul_i32_i24_e32 v230 /*v486*/, v7 /*v263*/, v160
	s_set_vgpr_msb 4                        ;  msbs: dst=0 src0=0 src1=1 src2=0
	v_mul_i32_i24_e32 v43, v43, v46 /*v302*/
	s_set_vgpr_msb 0x50                     ;  msbs: dst=1 src0=0 src1=0 src2=1
	v_mad_i32_i24 v164 /*v420*/, v58, v217, v164 /*v420*/
	s_set_vgpr_msb 4                        ;  msbs: dst=0 src0=0 src1=1 src2=0
	s_delay_alu instid0(VALU_DEP_2)
	v_mad_i32_i24 v43, v58, v45 /*v301*/, v43
	v_mul_i32_i24_e32 v58, v62, v49 /*v305*/
	s_set_vgpr_msb 0x55                     ;  msbs: dst=1 src0=1 src1=1 src2=1
	v_add3_u32 v164 /*v420*/, v164 /*v420*/, v165 /*v421*/, v166 /*v422*/
	s_set_vgpr_msb 4                        ;  msbs: dst=0 src0=0 src1=1 src2=0
	v_mul_i32_i24_e32 v62, v66, v52 /*v308*/
	v_mul_i32_i24_e32 v66, v70, v55 /*v311*/
	s_set_vgpr_msb 0                        ;  msbs: dst=0 src0=0 src1=0 src2=0
	v_add3_u32 v43, v43, v60, v61
	s_set_vgpr_msb 4                        ;  msbs: dst=0 src0=0 src1=1 src2=0
	v_mul_i32_i24_e32 v60, v64, v50 /*v306*/
	s_set_vgpr_msb 0x55                     ;  msbs: dst=1 src0=1 src1=1 src2=1
	v_add3_u32 v164 /*v420*/, v164 /*v420*/, v167 /*v423*/, v173 /*v429*/
	v_mul_i32_i24_e32 v173 /*v429*/, v183 /*v439*/, v6 /*v262*/
	s_set_vgpr_msb 4                        ;  msbs: dst=0 src0=0 src1=1 src2=0
	v_mul_i32_i24_e32 v61, v65, v51 /*v307*/
	v_mul_i32_i24_e32 v64, v68, v53 /*v309*/
	s_set_vgpr_msb 0                        ;  msbs: dst=0 src0=0 src1=0 src2=0
	v_add3_u32 v43, v43, v58, v60
	s_set_vgpr_msb 0x55                     ;  msbs: dst=1 src0=1 src1=1 src2=1
	v_add3_u32 v164 /*v420*/, v164 /*v420*/, v176 /*v432*/, v211 /*v467*/
	v_mul_i32_i24_e32 v176 /*v432*/, v184 /*v440*/, v12 /*v268*/
	v_mul_i32_i24_e32 v211 /*v467*/, v186 /*v442*/, v17 /*v273*/
	s_set_vgpr_msb 4                        ;  msbs: dst=0 src0=0 src1=1 src2=0
	v_mul_i32_i24_e32 v65, v69, v54 /*v310*/
	s_set_vgpr_msb 0                        ;  msbs: dst=0 src0=0 src1=0 src2=0
	v_add3_u32 v43, v43, v61, v62
	s_set_vgpr_msb 0x55                     ;  msbs: dst=1 src0=1 src1=1 src2=1
	v_add3_u32 v164 /*v420*/, v164 /*v420*/, v212 /*v468*/, v213 /*v469*/
	v_mul_i32_i24_e32 v212 /*v468*/, v187 /*v443*/, v10 /*v266*/
	v_mul_i32_i24_e32 v213 /*v469*/, v171 /*v427*/, v19 /*v275*/
	s_set_vgpr_msb 4                        ;  msbs: dst=0 src0=0 src1=1 src2=0
	;; [unrolled: 8-line block ×3, first 2 shown]
	v_mul_i32_i24_e32 v69, v91, v57 /*v313*/
	v_mul_i32_i24_e32 v70, v93, v58 /*v314*/
	s_set_vgpr_msb 0x55                     ;  msbs: dst=1 src0=1 src1=1 src2=1
	v_add3_u32 v164 /*v420*/, v164 /*v420*/, v216 /*v472*/, v217 /*v473*/
	v_mul_i32_i24_e32 v216 /*v472*/, v190 /*v446*/, v18 /*v274*/
	v_mul_i32_i24_e32 v217 /*v473*/, v191 /*v447*/, v23 /*v279*/
	s_set_vgpr_msb 0                        ;  msbs: dst=0 src0=0 src1=0 src2=0
	v_add3_u32 v43, v43, v66, v68
	s_set_vgpr_msb 4                        ;  msbs: dst=0 src0=0 src1=1 src2=0
	v_mul_i32_i24_e32 v72, v148, v59 /*v315*/
	s_set_vgpr_msb 0x55                     ;  msbs: dst=1 src0=1 src1=1 src2=1
	v_add3_u32 v164 /*v420*/, v164 /*v420*/, v218 /*v474*/, v219 /*v475*/
	v_mul_i32_i24_e32 v218 /*v474*/, v192 /*v448*/, v24 /*v280*/
	v_mul_i32_i24_e32 v219 /*v475*/, v193 /*v449*/, v25 /*v281*/
	s_set_vgpr_msb 4                        ;  msbs: dst=0 src0=0 src1=1 src2=0
	v_mul_i32_i24_e32 v91, v149, v60 /*v316*/
	s_set_vgpr_msb 0                        ;  msbs: dst=0 src0=0 src1=0 src2=0
	v_add3_u32 v43, v43, v69, v70
	s_set_vgpr_msb 0x55                     ;  msbs: dst=1 src0=1 src1=1 src2=1
	v_add3_u32 v164 /*v420*/, v164 /*v420*/, v220 /*v476*/, v221 /*v477*/
	v_mul_i32_i24_e32 v220 /*v476*/, v194 /*v450*/, v22 /*v278*/
	v_mul_i32_i24_e32 v221 /*v477*/, v195 /*v451*/, v26 /*v282*/
	s_set_vgpr_msb 4                        ;  msbs: dst=0 src0=0 src1=1 src2=0
	v_mul_i32_i24_e32 v93, v150, v61 /*v317*/
	v_mul_i32_i24_e32 v148, v151, v62 /*v318*/
	s_set_vgpr_msb 0x55                     ;  msbs: dst=1 src0=1 src1=1 src2=1
	v_add3_u32 v164 /*v420*/, v164 /*v420*/, v222 /*v478*/, v223 /*v479*/
	v_mul_i32_i24_e32 v222 /*v478*/, v196 /*v452*/, v27 /*v283*/
	v_mul_i32_i24_e32 v223 /*v479*/, v197 /*v453*/, v28 /*v284*/
	s_set_vgpr_msb 0                        ;  msbs: dst=0 src0=0 src1=0 src2=0
	v_add3_u32 v43, v43, v72, v91
	s_set_vgpr_msb 4                        ;  msbs: dst=0 src0=0 src1=1 src2=0
	v_mul_i32_i24_e32 v149, v152, v63 /*v319*/
	s_set_vgpr_msb 0x55                     ;  msbs: dst=1 src0=1 src1=1 src2=1
	v_add3_u32 v164 /*v420*/, v164 /*v420*/, v224 /*v480*/, v225 /*v481*/
	v_mul_i32_i24_e32 v224 /*v480*/, v30 /*v286*/, v198 /*v454*/
	v_mul_i32_i24_e32 v225 /*v481*/, v29 /*v285*/, v199 /*v455*/
	s_set_vgpr_msb 4                        ;  msbs: dst=0 src0=0 src1=1 src2=0
	v_mul_i32_i24_e32 v150, v153, v64 /*v320*/
	s_set_vgpr_msb 0                        ;  msbs: dst=0 src0=0 src1=0 src2=0
	v_add3_u32 v43, v43, v93, v148
	s_set_vgpr_msb 0x55                     ;  msbs: dst=1 src0=1 src1=1 src2=1
	v_add3_u32 v164 /*v420*/, v164 /*v420*/, v226 /*v482*/, v227 /*v483*/
	v_mul_i32_i24_e32 v226 /*v482*/, v31 /*v287*/, v200 /*v456*/
	v_mul_i32_i24_e32 v227 /*v483*/, v32 /*v288*/, v201 /*v457*/
	s_set_vgpr_msb 1                        ;  msbs: dst=0 src0=1 src1=0 src2=0
	v_mul_i32_i24_e32 v151, v66 /*v322*/, v154
	v_mul_i32_i24_e32 v152, v65 /*v321*/, v155
	s_set_vgpr_msb 0x55                     ;  msbs: dst=1 src0=1 src1=1 src2=1
	v_add3_u32 v164 /*v420*/, v164 /*v420*/, v228 /*v484*/, v229 /*v485*/
	s_set_vgpr_msb 0                        ;  msbs: dst=0 src0=0 src1=0 src2=0
	v_add3_u32 v43, v43, v149, v150
	s_set_vgpr_msb 0x45                     ;  msbs: dst=1 src0=1 src1=1 src2=0
	v_mul_i32_i24_e32 v228 /*v484*/, v34 /*v290*/, v202 /*v458*/
	v_mul_i32_i24_e32 v229 /*v485*/, v33 /*v289*/, v203 /*v459*/
	s_set_vgpr_msb 1                        ;  msbs: dst=0 src0=1 src1=0 src2=0
	v_mul_i32_i24_e32 v153, v68 /*v324*/, v156
	s_set_vgpr_msb 0x55                     ;  msbs: dst=1 src0=1 src1=1 src2=1
	v_add3_u32 v164 /*v420*/, v164 /*v420*/, v230 /*v486*/, v231 /*v487*/
	s_set_vgpr_msb 1                        ;  msbs: dst=0 src0=1 src1=0 src2=0
	v_mul_i32_i24_e32 v154, v67 /*v323*/, v157
	s_set_vgpr_msb 0                        ;  msbs: dst=0 src0=0 src1=0 src2=0
	v_add3_u32 v43, v43, v151, v152
	s_set_vgpr_msb 0x55                     ;  msbs: dst=1 src0=1 src1=1 src2=1
	v_mul_i32_i24_e32 v230 /*v486*/, v35 /*v291*/, v204 /*v460*/
	v_mul_i32_i24_e32 v231 /*v487*/, v36 /*v292*/, v205 /*v461*/
	v_add3_u32 v167 /*v423*/, v164 /*v420*/, v232 /*v488*/, v233 /*v489*/
	v_mul_i32_i24_e32 v164 /*v420*/, v168 /*v424*/, v9 /*v265*/
	s_set_vgpr_msb 1                        ;  msbs: dst=0 src0=1 src1=0 src2=0
	v_mul_i32_i24_e32 v155, v70 /*v326*/, v158
	v_mul_i32_i24_e32 v156, v69 /*v325*/, v159
	s_set_vgpr_msb 0                        ;  msbs: dst=0 src0=0 src1=0 src2=0
	v_add3_u32 v43, v43, v153, v154
	s_set_vgpr_msb 0x55                     ;  msbs: dst=1 src0=1 src1=1 src2=1
	v_mul_i32_i24_e32 v232 /*v488*/, v38 /*v294*/, v206 /*v462*/
	v_mad_i32_i24 v164 /*v420*/, v182 /*v438*/, v8 /*v264*/, v164 /*v420*/
	v_mul_i32_i24_e32 v233 /*v489*/, v37 /*v293*/, v207 /*v463*/
	s_set_vgpr_msb 1                        ;  msbs: dst=0 src0=1 src1=0 src2=0
	v_mul_i32_i24_e32 v157, v73 /*v329*/, v160
	v_mul_i32_i24_e32 v158, v71 /*v327*/, v161
	s_set_vgpr_msb 0                        ;  msbs: dst=0 src0=0 src1=0 src2=0
	v_add3_u32 v43, v43, v155, v156
	s_set_vgpr_msb 0x55                     ;  msbs: dst=1 src0=1 src1=1 src2=1
	v_add3_u32 v164 /*v420*/, v164 /*v420*/, v173 /*v429*/, v176 /*v432*/
	v_mul_i32_i24_e32 v176 /*v432*/, v185 /*v441*/, v15 /*v271*/
	s_set_vgpr_msb 4                        ;  msbs: dst=0 src0=0 src1=1 src2=0
	v_mul_i32_i24_e32 v159, v162, v77 /*v333*/
	v_mul_i32_i24_e32 v160, v163, v79 /*v335*/
	s_set_vgpr_msb 0                        ;  msbs: dst=0 src0=0 src1=0 src2=0
	v_add3_u32 v43, v43, v157, v158
	s_set_vgpr_msb 5                        ;  msbs: dst=0 src0=1 src1=1 src2=0
	v_mul_i32_i24_e32 v58, v183 /*v439*/, v72 /*v328*/
	s_set_vgpr_msb 0x55                     ;  msbs: dst=1 src0=1 src1=1 src2=1
	v_add3_u32 v164 /*v420*/, v164 /*v420*/, v176 /*v432*/, v211 /*v467*/
	s_set_vgpr_msb 5                        ;  msbs: dst=0 src0=1 src1=1 src2=0
	v_mul_i32_i24_e32 v60, v184 /*v440*/, v78 /*v334*/
	v_mul_i32_i24_e32 v61, v187 /*v443*/, v76 /*v332*/
	v_mul_i32_i24_e32 v62, v171 /*v427*/, v85 /*v341*/
	v_mul_i32_i24_e32 v64, v188 /*v444*/, v86 /*v342*/
	s_set_vgpr_msb 0x55                     ;  msbs: dst=1 src0=1 src1=1 src2=1
	v_add3_u32 v164 /*v420*/, v164 /*v420*/, v212 /*v468*/, v213 /*v469*/
	s_set_vgpr_msb 5                        ;  msbs: dst=0 src0=1 src1=1 src2=0
	v_mul_i32_i24_e32 v65, v189 /*v445*/, v87 /*v343*/
	v_mul_i32_i24_e32 v66, v190 /*v446*/, v84 /*v340*/
	v_mul_i32_i24_e32 v68, v191 /*v447*/, v89 /*v345*/
	;; [unrolled: 7-line block ×6, first 2 shown]
	s_set_vgpr_msb 0x55                     ;  msbs: dst=1 src0=1 src1=1 src2=1
	v_mul_i32_i24_e32 v173 /*v429*/, v210 /*v466*/, v41 /*v297*/
	v_add3_u32 v164 /*v420*/, v164 /*v420*/, v222 /*v478*/, v223 /*v479*/
	v_mul_i32_i24_e32 v165 /*v421*/, v162 /*v418*/, v14 /*v270*/
	v_mul_i32_i24_e32 v166 /*v422*/, v163 /*v419*/, v16 /*v272*/
	;; [unrolled: 1-line block ×4, first 2 shown]
	v_add3_u32 v164 /*v420*/, v164 /*v420*/, v224 /*v480*/, v225 /*v481*/
	s_delay_alu instid0(VALU_DEP_4) | instskip(NEXT) | instid1(VALU_DEP_2)
	v_add3_u32 v165 /*v421*/, v167 /*v423*/, v165 /*v421*/, v166 /*v422*/
	v_add3_u32 v164 /*v420*/, v164 /*v420*/, v226 /*v482*/, v227 /*v483*/
	s_set_vgpr_msb 0x41                     ;  msbs: dst=1 src0=1 src1=0 src2=0
	s_delay_alu instid0(VALU_DEP_2) | instskip(SKIP_1) | instid1(VALU_DEP_2)
	v_mul_lo_u32 v165 /*v421*/, v165 /*v421*/, v205
	s_set_vgpr_msb 0x55                     ;  msbs: dst=1 src0=1 src1=1 src2=1
	v_add3_u32 v164 /*v420*/, v164 /*v420*/, v228 /*v484*/, v229 /*v485*/
	s_delay_alu instid0(VALU_DEP_1) | instskip(NEXT) | instid1(VALU_DEP_3)
	v_add3_u32 v164 /*v420*/, v164 /*v420*/, v230 /*v486*/, v231 /*v487*/
	v_cvt_f32_i32_e32 v166 /*v422*/, v165 /*v421*/
	s_delay_alu instid0(VALU_DEP_2) | instskip(NEXT) | instid1(VALU_DEP_1)
	v_add3_u32 v164 /*v420*/, v164 /*v420*/, v232 /*v488*/, v233 /*v489*/
	v_add3_u32 v176 /*v432*/, v164 /*v420*/, v234 /*v490*/, v235 /*v491*/
	s_set_vgpr_msb 64                       ;  msbs: dst=1 src0=0 src1=0 src2=0
	v_add3_u32 v164 /*v420*/, v43, v159, v160
	s_set_vgpr_msb 5                        ;  msbs: dst=0 src0=1 src1=1 src2=0
	v_mul_i32_i24_e32 v43, v168 /*v424*/, v75 /*v331*/
	v_mul_i32_i24_e32 v159, v208 /*v464*/, v105 /*v361*/
	;; [unrolled: 1-line block ×3, first 2 shown]
	s_set_vgpr_msb 0x45                     ;  msbs: dst=1 src0=1 src1=1 src2=0
	v_mul_i32_i24_e32 v168 /*v424*/, v210 /*v466*/, v107 /*v363*/
	s_set_vgpr_msb 5                        ;  msbs: dst=0 src0=1 src1=1 src2=0
	v_mad_i32_i24 v43, v182 /*v438*/, v74 /*v330*/, v43
	s_set_vgpr_msb 0                        ;  msbs: dst=0 src0=0 src1=0 src2=0
	s_delay_alu instid0(VALU_DEP_1) | instskip(SKIP_4) | instid1(VALU_DEP_1)
	v_add3_u32 v43, v43, v58, v60
	s_set_vgpr_msb 5                        ;  msbs: dst=0 src0=1 src1=1 src2=0
	v_mul_i32_i24_e32 v58, v185 /*v441*/, v81 /*v337*/
	v_mul_i32_i24_e32 v60, v186 /*v442*/, v83 /*v339*/
	s_set_vgpr_msb 0                        ;  msbs: dst=0 src0=0 src1=0 src2=0
	v_add3_u32 v43, v43, v58, v60
	s_delay_alu instid0(VALU_DEP_1) | instskip(NEXT) | instid1(VALU_DEP_1)
	v_add3_u32 v43, v43, v61, v62
	v_add3_u32 v43, v43, v64, v65
	s_delay_alu instid0(VALU_DEP_1) | instskip(NEXT) | instid1(VALU_DEP_1)
	v_add3_u32 v43, v43, v66, v68
	;; [unrolled: 3-line block ×5, first 2 shown]
	v_add3_u32 v43, v43, v155, v156
	s_delay_alu instid0(VALU_DEP_1) | instskip(SKIP_1) | instid1(VALU_DEP_1)
	v_add3_u32 v43, v43, v157, v158
	s_set_vgpr_msb 64                       ;  msbs: dst=1 src0=0 src1=0 src2=0
	v_add3_u32 v171 /*v427*/, v43, v159, v160
	s_set_vgpr_msb 0                        ;  msbs: dst=0 src0=0 src1=0 src2=0
	v_or_b32_e32 v43, s8, v141
	s_delay_alu instid0(VALU_DEP_1)
	v_dual_lshlrev_b32 v58, 2, v43 :: v_dual_lshrrev_b32 v43, 1, v43
	s_set_vgpr_msb 64                       ;  msbs: dst=1 src0=0 src1=0 src2=0
	ds_load_b128 v[182:185] /*v[438:441]*/, v58 offset:16896
	ds_load_b128 v[186:189] /*v[442:445]*/, v58 offset:16912
	;; [unrolled: 1-line block ×4, first 2 shown]
	s_wait_dscnt 0x3
	s_set_vgpr_msb 1                        ;  msbs: dst=0 src0=1 src1=0 src2=0
	v_bfe_i32 v58, v182 /*v438*/, 0, 8
	v_bfe_i32 v60, v182 /*v438*/, 8, 8
	v_bfe_i32 v61, v182 /*v438*/, 16, 8
	s_set_vgpr_msb 4                        ;  msbs: dst=0 src0=0 src1=1 src2=0
	v_ashrrev_i32_e32 v62, 24, v182 /*v438*/
	s_set_vgpr_msb 1                        ;  msbs: dst=0 src0=1 src1=0 src2=0
	v_bfe_i32 v64, v183 /*v439*/, 0, 8
	s_set_vgpr_msb 64                       ;  msbs: dst=1 src0=0 src1=0 src2=0
	v_mul_i32_i24_e32 v182 /*v438*/, v58, v121
	s_set_vgpr_msb 1                        ;  msbs: dst=0 src0=1 src1=0 src2=0
	v_bfe_i32 v65, v183 /*v439*/, 8, 8
	v_bfe_i32 v66, v183 /*v439*/, 16, 8
	s_set_vgpr_msb 4                        ;  msbs: dst=0 src0=0 src1=1 src2=0
	v_dual_ashrrev_i32 v68, 24, v183 /*v439*/ :: v_dual_ashrrev_i32 v91, 24, v184 /*v440*/
	s_set_vgpr_msb 1                        ;  msbs: dst=0 src0=1 src1=0 src2=0
	v_bfe_i32 v69, v184 /*v440*/, 0, 8
	v_bfe_i32 v70, v184 /*v440*/, 8, 8
	;; [unrolled: 1-line block ×3, first 2 shown]
	s_set_vgpr_msb 0x44                     ;  msbs: dst=1 src0=0 src1=1 src2=0
	v_mul_i32_i24_e32 v183 /*v439*/, v61, v108 /*v364*/
	v_mul_i32_i24_e32 v184 /*v440*/, v62, v109 /*v365*/
	s_set_vgpr_msb 0x50                     ;  msbs: dst=1 src0=0 src1=0 src2=1
	v_mad_i32_i24 v182 /*v438*/, v60, v120, v182 /*v438*/
	s_set_vgpr_msb 1                        ;  msbs: dst=0 src0=1 src1=0 src2=0
	v_bfe_i32 v93, v185 /*v441*/, 0, 8
	v_bfe_i32 v148, v185 /*v441*/, 8, 8
	;; [unrolled: 1-line block ×3, first 2 shown]
	s_wait_dscnt 0x2
	s_set_vgpr_msb 4                        ;  msbs: dst=0 src0=0 src1=1 src2=0
	v_dual_ashrrev_i32 v150, 24, v185 /*v441*/ :: v_dual_ashrrev_i32 v154, 24, v186 /*v442*/
	s_set_vgpr_msb 0x55                     ;  msbs: dst=1 src0=1 src1=1 src2=1
	v_add3_u32 v182 /*v438*/, v182 /*v438*/, v183 /*v439*/, v184 /*v440*/
	s_set_vgpr_msb 0x44                     ;  msbs: dst=1 src0=0 src1=1 src2=0
	v_mul_i32_i24_e32 v183 /*v439*/, v64, v110 /*v366*/
	v_mul_i32_i24_e32 v184 /*v440*/, v65, v111 /*v367*/
	s_set_vgpr_msb 1                        ;  msbs: dst=0 src0=1 src1=0 src2=0
	v_bfe_i32 v151, v186 /*v442*/, 0, 8
	v_bfe_i32 v152, v186 /*v442*/, 8, 8
	;; [unrolled: 1-line block ×3, first 2 shown]
	s_set_vgpr_msb 0x44                     ;  msbs: dst=1 src0=0 src1=1 src2=0
	v_mul_i32_i24_e32 v185 /*v441*/, v66, v112 /*v368*/
	v_mul_i32_i24_e32 v186 /*v442*/, v68, v113 /*v369*/
	s_set_vgpr_msb 0x55                     ;  msbs: dst=1 src0=1 src1=1 src2=1
	v_add3_u32 v182 /*v438*/, v182 /*v438*/, v183 /*v439*/, v184 /*v440*/
	s_set_vgpr_msb 1                        ;  msbs: dst=0 src0=1 src1=0 src2=0
	v_bfe_i32 v155, v187 /*v443*/, 0, 8
	v_bfe_i32 v156, v187 /*v443*/, 8, 8
	;; [unrolled: 1-line block ×3, first 2 shown]
	s_set_vgpr_msb 4                        ;  msbs: dst=0 src0=0 src1=1 src2=0
	v_dual_ashrrev_i32 v158, 24, v187 /*v443*/ :: v_dual_ashrrev_i32 v162, 24, v188 /*v444*/
	s_set_vgpr_msb 1                        ;  msbs: dst=0 src0=1 src1=0 src2=0
	v_bfe_i32 v159, v188 /*v444*/, 0, 8
	v_bfe_i32 v160, v188 /*v444*/, 8, 8
	;; [unrolled: 1-line block ×3, first 2 shown]
	s_set_vgpr_msb 0x44                     ;  msbs: dst=1 src0=0 src1=1 src2=0
	v_mul_i32_i24_e32 v187 /*v443*/, v69, v114 /*v370*/
	v_mul_i32_i24_e32 v188 /*v444*/, v70, v115 /*v371*/
	s_set_vgpr_msb 0x55                     ;  msbs: dst=1 src0=1 src1=1 src2=1
	v_add3_u32 v182 /*v438*/, v182 /*v438*/, v185 /*v441*/, v186 /*v442*/
	s_set_vgpr_msb 1                        ;  msbs: dst=0 src0=1 src1=0 src2=0
	v_bfe_i32 v163, v189 /*v445*/, 0, 8
	s_set_vgpr_msb 0x41                     ;  msbs: dst=1 src0=1 src1=0 src2=0
	v_bfe_i32 v198 /*v454*/, v189 /*v445*/, 8, 8
	v_bfe_i32 v199 /*v455*/, v189 /*v445*/, 16, 8
	s_set_vgpr_msb 0x44                     ;  msbs: dst=1 src0=0 src1=1 src2=0
	v_ashrrev_i32_e32 v200 /*v456*/, 24, v189 /*v445*/
	s_wait_dscnt 0x1
	s_set_vgpr_msb 0x41                     ;  msbs: dst=1 src0=1 src1=0 src2=0
	v_bfe_i32 v201 /*v457*/, v190 /*v446*/, 0, 8
	v_bfe_i32 v202 /*v458*/, v190 /*v446*/, 8, 8
	;; [unrolled: 1-line block ×3, first 2 shown]
	s_set_vgpr_msb 0x44                     ;  msbs: dst=1 src0=0 src1=1 src2=0
	v_dual_ashrrev_i32 v204 /*v460*/, 24, v190 /*v446*/ :: v_dual_ashrrev_i32 v208 /*v464*/, 24, v191 /*v447*/
	v_mul_i32_i24_e32 v189 /*v445*/, v72, v116 /*v372*/
	v_mul_i32_i24_e32 v190 /*v446*/, v91, v117 /*v373*/
	s_set_vgpr_msb 0x55                     ;  msbs: dst=1 src0=1 src1=1 src2=1
	v_add3_u32 v182 /*v438*/, v182 /*v438*/, v187 /*v443*/, v188 /*v444*/
	v_bfe_i32 v205 /*v461*/, v191 /*v447*/, 0, 8
	v_bfe_i32 v206 /*v462*/, v191 /*v447*/, 8, 8
	;; [unrolled: 1-line block ×3, first 2 shown]
	s_set_vgpr_msb 0x44                     ;  msbs: dst=1 src0=0 src1=1 src2=0
	v_mul_i32_i24_e32 v191 /*v447*/, v93, v118 /*v374*/
	v_mul_i32_i24_e32 v227 /*v483*/, v148, v119 /*v375*/
	s_set_vgpr_msb 0x55                     ;  msbs: dst=1 src0=1 src1=1 src2=1
	v_add3_u32 v182 /*v438*/, v182 /*v438*/, v189 /*v445*/, v190 /*v446*/
	s_set_vgpr_msb 0x44                     ;  msbs: dst=1 src0=0 src1=1 src2=0
	v_mul_i32_i24_e32 v228 /*v484*/, v149, v120 /*v376*/
	v_mul_i32_i24_e32 v229 /*v485*/, v150, v121 /*v377*/
	;; [unrolled: 1-line block ×4, first 2 shown]
	s_set_vgpr_msb 0x55                     ;  msbs: dst=1 src0=1 src1=1 src2=1
	v_add3_u32 v182 /*v438*/, v182 /*v438*/, v191 /*v447*/, v227 /*v483*/
	s_set_vgpr_msb 0x44                     ;  msbs: dst=1 src0=0 src1=1 src2=0
	v_mul_i32_i24_e32 v232 /*v488*/, v153, v124 /*v380*/
	v_mul_i32_i24_e32 v233 /*v489*/, v154, v125 /*v381*/
	s_set_vgpr_msb 0x41                     ;  msbs: dst=1 src0=1 src1=0 src2=0
	v_mul_i32_i24_e32 v234 /*v490*/, v127 /*v383*/, v155
	v_mul_i32_i24_e32 v235 /*v491*/, v126 /*v382*/, v156
	s_set_vgpr_msb 0x55                     ;  msbs: dst=1 src0=1 src1=1 src2=1
	v_add3_u32 v182 /*v438*/, v182 /*v438*/, v228 /*v484*/, v229 /*v485*/
	s_set_vgpr_msb 0x41                     ;  msbs: dst=1 src0=1 src1=0 src2=0
	v_mul_i32_i24_e32 v236 /*v492*/, v129 /*v385*/, v157
	v_mul_i32_i24_e32 v237 /*v493*/, v128 /*v384*/, v158
	;; [unrolled: 1-line block ×4, first 2 shown]
	s_set_vgpr_msb 0x55                     ;  msbs: dst=1 src0=1 src1=1 src2=1
	v_add3_u32 v182 /*v438*/, v182 /*v438*/, v230 /*v486*/, v231 /*v487*/
	s_set_vgpr_msb 0x41                     ;  msbs: dst=1 src0=1 src1=0 src2=0
	v_mul_i32_i24_e32 v240 /*v496*/, v141 /*v397*/, v161
	v_mul_i32_i24_e32 v241 /*v497*/, v138 /*v394*/, v162
	s_set_vgpr_msb 0x44                     ;  msbs: dst=1 src0=0 src1=1 src2=0
	v_mul_i32_i24_e32 v242 /*v498*/, v163, v144 /*v400*/
	s_set_vgpr_msb 0x55                     ;  msbs: dst=1 src0=1 src1=1 src2=1
	v_mul_i32_i24_e32 v243 /*v499*/, v198 /*v454*/, v145 /*v401*/
	v_add3_u32 v182 /*v438*/, v182 /*v438*/, v232 /*v488*/, v233 /*v489*/
	v_mul_i32_i24_e32 v183 /*v439*/, v148 /*v404*/, v203 /*v459*/
	v_mul_i32_i24_e32 v184 /*v440*/, v139 /*v395*/, v204 /*v460*/
	v_bfe_i32 v209 /*v465*/, v192 /*v448*/, 0, 8
	v_bfe_i32 v210 /*v466*/, v192 /*v448*/, 8, 8
	v_add3_u32 v182 /*v438*/, v182 /*v438*/, v234 /*v490*/, v235 /*v491*/
	v_mul_i32_i24_e32 v185 /*v441*/, v149 /*v405*/, v207 /*v463*/
	v_mul_i32_i24_e32 v186 /*v442*/, v131 /*v387*/, v208 /*v464*/
	v_bfe_i32 v211 /*v467*/, v192 /*v448*/, 16, 8
	v_ashrrev_i32_e32 v192 /*v448*/, 24, v192 /*v448*/
	v_add3_u32 v182 /*v438*/, v182 /*v438*/, v236 /*v492*/, v237 /*v493*/
	s_set_vgpr_msb 0x44                     ;  msbs: dst=1 src0=0 src1=1 src2=0
	v_mul_i32_i24_e32 v187 /*v443*/, v116, v209 /*v465*/
	s_set_vgpr_msb 0x55                     ;  msbs: dst=1 src0=1 src1=1 src2=1
	v_mul_i32_i24_e32 v188 /*v444*/, v152 /*v408*/, v210 /*v466*/
	v_bfe_i32 v212 /*v468*/, v193 /*v449*/, 0, 8
	v_bfe_i32 v213 /*v469*/, v193 /*v449*/, 8, 8
	v_add3_u32 v182 /*v438*/, v182 /*v438*/, v238 /*v494*/, v239 /*v495*/
	v_bfe_i32 v214 /*v470*/, v193 /*v449*/, 16, 8
	v_ashrrev_i32_e32 v193 /*v449*/, 24, v193 /*v449*/
	v_mul_i32_i24_e32 v189 /*v445*/, v151 /*v407*/, v211 /*v467*/
	v_mul_i32_i24_e32 v190 /*v446*/, v132 /*v388*/, v192 /*v448*/
	v_add3_u32 v182 /*v438*/, v182 /*v438*/, v240 /*v496*/, v241 /*v497*/
	s_set_vgpr_msb 0x44                     ;  msbs: dst=1 src0=0 src1=1 src2=0
	v_mul_i32_i24_e32 v191 /*v447*/, v117, v212 /*v468*/
	s_set_vgpr_msb 0x55                     ;  msbs: dst=1 src0=1 src1=1 src2=1
	v_mul_i32_i24_e32 v228 /*v484*/, v154 /*v410*/, v213 /*v469*/
	s_wait_dscnt 0x0
	v_bfe_i32 v215 /*v471*/, v194 /*v450*/, 0, 8
	v_bfe_i32 v216 /*v472*/, v194 /*v450*/, 8, 8
	v_add3_u32 v227 /*v483*/, v182 /*v438*/, v242 /*v498*/, v243 /*v499*/
	s_set_vgpr_msb 0x44                     ;  msbs: dst=1 src0=0 src1=1 src2=0
	v_mul_i32_i24_e32 v182 /*v438*/, v118, v201 /*v457*/
	s_set_vgpr_msb 0x45                     ;  msbs: dst=1 src0=1 src1=1 src2=0
	v_mul_i32_i24_e32 v229 /*v485*/, v153 /*v409*/, v214 /*v470*/
	v_mul_i32_i24_e32 v230 /*v486*/, v133 /*v389*/, v193 /*v449*/
	v_bfe_i32 v217 /*v473*/, v194 /*v450*/, 16, 8
	v_ashrrev_i32_e32 v194 /*v450*/, 24, v194 /*v450*/
	s_set_vgpr_msb 0x54                     ;  msbs: dst=1 src0=0 src1=1 src2=1
	v_mad_i32_i24 v182 /*v438*/, v115, v202 /*v458*/, v182 /*v438*/
	v_mul_i32_i24_e32 v231 /*v487*/, v112, v215 /*v471*/
	s_set_vgpr_msb 0x55                     ;  msbs: dst=1 src0=1 src1=1 src2=1
	v_mul_i32_i24_e32 v232 /*v488*/, v156 /*v412*/, v216 /*v472*/
	v_bfe_i32 v218 /*v474*/, v195 /*v451*/, 0, 8
	v_bfe_i32 v219 /*v475*/, v195 /*v451*/, 8, 8
	v_add3_u32 v182 /*v438*/, v182 /*v438*/, v183 /*v439*/, v184 /*v440*/
	s_set_vgpr_msb 0x44                     ;  msbs: dst=1 src0=0 src1=1 src2=0
	v_mul_i32_i24_e32 v183 /*v439*/, v119, v205 /*v461*/
	s_set_vgpr_msb 0x55                     ;  msbs: dst=1 src0=1 src1=1 src2=1
	v_mul_i32_i24_e32 v184 /*v440*/, v150 /*v406*/, v206 /*v462*/
	v_bfe_i32 v220 /*v476*/, v195 /*v451*/, 16, 8
	v_ashrrev_i32_e32 v195 /*v451*/, 24, v195 /*v451*/
	v_mul_i32_i24_e32 v233 /*v489*/, v155 /*v411*/, v217 /*v473*/
	v_mul_i32_i24_e32 v234 /*v490*/, v134 /*v390*/, v194 /*v450*/
	v_add3_u32 v182 /*v438*/, v182 /*v438*/, v183 /*v439*/, v184 /*v440*/
	s_set_vgpr_msb 0x44                     ;  msbs: dst=1 src0=0 src1=1 src2=0
	v_mul_i32_i24_e32 v235 /*v491*/, v113, v218 /*v474*/
	s_set_vgpr_msb 0x55                     ;  msbs: dst=1 src0=1 src1=1 src2=1
	v_mul_i32_i24_e32 v236 /*v492*/, v158 /*v414*/, v219 /*v475*/
	v_bfe_i32 v221 /*v477*/, v196 /*v452*/, 0, 8
	v_bfe_i32 v222 /*v478*/, v196 /*v452*/, 8, 8
	v_add3_u32 v182 /*v438*/, v182 /*v438*/, v185 /*v441*/, v186 /*v442*/
	v_mul_i32_i24_e32 v237 /*v493*/, v157 /*v413*/, v220 /*v476*/
	v_mul_i32_i24_e32 v238 /*v494*/, v135 /*v391*/, v195 /*v451*/
	v_bfe_i32 v223 /*v479*/, v196 /*v452*/, 16, 8
	v_ashrrev_i32_e32 v196 /*v452*/, 24, v196 /*v452*/
	v_add3_u32 v182 /*v438*/, v182 /*v438*/, v187 /*v443*/, v188 /*v444*/
	s_set_vgpr_msb 0x44                     ;  msbs: dst=1 src0=0 src1=1 src2=0
	v_mul_i32_i24_e32 v239 /*v495*/, v114, v221 /*v477*/
	s_set_vgpr_msb 0x55                     ;  msbs: dst=1 src0=1 src1=1 src2=1
	v_mul_i32_i24_e32 v240 /*v496*/, v160 /*v416*/, v222 /*v478*/
	v_bfe_i32 v224 /*v480*/, v197 /*v453*/, 0, 8
	v_bfe_i32 v225 /*v481*/, v197 /*v453*/, 8, 8
	v_add3_u32 v182 /*v438*/, v182 /*v438*/, v189 /*v445*/, v190 /*v446*/
	v_bfe_i32 v226 /*v482*/, v197 /*v453*/, 16, 8
	v_ashrrev_i32_e32 v197 /*v453*/, 24, v197 /*v453*/
	v_mul_i32_i24_e32 v241 /*v497*/, v159 /*v415*/, v223 /*v479*/
	v_mul_i32_i24_e32 v242 /*v498*/, v136 /*v392*/, v196 /*v452*/
	v_add3_u32 v182 /*v438*/, v182 /*v438*/, v191 /*v447*/, v228 /*v484*/
	v_mul_i32_i24_e32 v243 /*v499*/, v224 /*v480*/, v140 /*v396*/
	v_mul_i32_i24_e32 v246 /*v502*/, v225 /*v481*/, v142 /*v398*/
	s_set_vgpr_msb 64                       ;  msbs: dst=1 src0=0 src1=0 src2=0
	ds_load_b64 v[184:185] /*v[440:441]*/, v43 offset:27200
	s_set_vgpr_msb 0x55                     ;  msbs: dst=1 src0=1 src1=1 src2=1
	v_mul_i32_i24_e32 v244 /*v500*/, v199 /*v455*/, v146 /*v402*/
	v_add3_u32 v182 /*v438*/, v182 /*v438*/, v229 /*v485*/, v230 /*v486*/
	v_mul_i32_i24_e32 v245 /*v501*/, v200 /*v456*/, v147 /*v403*/
	v_mul_i32_i24_e32 v247 /*v503*/, v226 /*v482*/, v143 /*v399*/
	s_set_vgpr_msb 64                       ;  msbs: dst=1 src0=0 src1=0 src2=0
	v_mul_i32_i24_e32 v229 /*v485*/, v149, v185
	v_mul_i32_i24_e32 v230 /*v486*/, v150, v186
	s_set_vgpr_msb 0x55                     ;  msbs: dst=1 src0=1 src1=1 src2=1
	v_add3_u32 v182 /*v438*/, v182 /*v438*/, v231 /*v487*/, v232 /*v488*/
	s_set_vgpr_msb 64                       ;  msbs: dst=1 src0=0 src1=0 src2=0
	v_mul_i32_i24_e32 v231 /*v487*/, v151, v187
	v_mul_i32_i24_e32 v232 /*v488*/, v152, v188
	s_set_vgpr_msb 0x41                     ;  msbs: dst=1 src0=1 src1=0 src2=0
	v_mul_i32_i24_e32 v248 /*v504*/, v226 /*v482*/, v246
	s_set_vgpr_msb 64                       ;  msbs: dst=1 src0=0 src1=0 src2=0
	v_mul_i32_i24_e32 v170 /*v426*/, v66, v230
	s_set_vgpr_msb 0x55                     ;  msbs: dst=1 src0=1 src1=1 src2=1
	v_add3_u32 v182 /*v438*/, v182 /*v438*/, v233 /*v489*/, v234 /*v490*/
	s_set_vgpr_msb 64                       ;  msbs: dst=1 src0=0 src1=0 src2=0
	v_mul_i32_i24_e32 v233 /*v489*/, v153, v189
	v_mul_i32_i24_e32 v234 /*v490*/, v154, v190
	;; [unrolled: 1-line block ×3, first 2 shown]
	s_set_vgpr_msb 0x41                     ;  msbs: dst=1 src0=1 src1=0 src2=0
	v_mul_i32_i24_e32 v165 /*v421*/, v197 /*v453*/, v109
	s_set_vgpr_msb 0x55                     ;  msbs: dst=1 src0=1 src1=1 src2=1
	v_add3_u32 v182 /*v438*/, v182 /*v438*/, v235 /*v491*/, v236 /*v492*/
	s_set_vgpr_msb 64                       ;  msbs: dst=1 src0=0 src1=0 src2=0
	v_mul_i32_i24_e32 v235 /*v491*/, v192, v155
	v_mul_i32_i24_e32 v236 /*v492*/, v191, v156
	s_wait_dscnt 0x0
	s_set_vgpr_msb 4                        ;  msbs: dst=0 src0=0 src1=1 src2=0
	v_lshrrev_b32_e32 v43, 16, v184 /*v440*/
	s_set_vgpr_msb 0x55                     ;  msbs: dst=1 src0=1 src1=1 src2=1
	v_cvt_f32_f16_e64 v187 /*v443*/, v184 /*v440*/
	v_add3_u32 v182 /*v438*/, v182 /*v438*/, v237 /*v493*/, v238 /*v494*/
	v_cvt_f32_f16_e64 v191 /*v447*/, v185 /*v441*/
	s_set_vgpr_msb 64                       ;  msbs: dst=1 src0=0 src1=0 src2=0
	v_mul_i32_i24_e32 v237 /*v493*/, v194, v157
	v_cvt_f32_f16_e64 v189 /*v445*/, v43
	v_mul_i32_i24_e32 v238 /*v494*/, v193, v158
	s_set_vgpr_msb 0x55                     ;  msbs: dst=1 src0=1 src1=1 src2=1
	v_add3_u32 v182 /*v438*/, v182 /*v438*/, v239 /*v495*/, v240 /*v496*/
	s_set_vgpr_msb 64                       ;  msbs: dst=1 src0=0 src1=0 src2=0
	v_mul_i32_i24_e32 v239 /*v495*/, v196, v159
	v_mul_i32_i24_e32 v240 /*v496*/, v195, v160
	s_set_vgpr_msb 0x55                     ;  msbs: dst=1 src0=1 src1=1 src2=1
	v_add3_u32 v182 /*v438*/, v182 /*v438*/, v241 /*v497*/, v242 /*v498*/
	s_set_vgpr_msb 64                       ;  msbs: dst=1 src0=0 src1=0 src2=0
	v_mul_i32_i24_e32 v241 /*v497*/, v199, v161
	v_mul_i32_i24_e32 v242 /*v498*/, v197, v162
	s_set_vgpr_msb 0x55                     ;  msbs: dst=1 src0=1 src1=1 src2=1
	v_add3_u32 v228 /*v484*/, v182 /*v438*/, v243 /*v499*/, v246 /*v502*/
	ds_load_b64 v[182:183] /*v[438:439]*/, v161 /*v417*/ offset:27200
	s_set_vgpr_msb 64                       ;  msbs: dst=1 src0=0 src1=0 src2=0
	v_mul_i32_i24_e32 v243 /*v499*/, v163, v203
	s_set_vgpr_msb 0x41                     ;  msbs: dst=1 src0=1 src1=0 src2=0
	v_mul_i32_i24_e32 v246 /*v502*/, v200 /*v456*/, v209
	s_wait_dscnt 0x0
	s_set_vgpr_msb 0x44                     ;  msbs: dst=1 src0=0 src1=1 src2=0
	v_lshrrev_b32_e32 v161 /*v417*/, 16, v182 /*v438*/
	s_set_vgpr_msb 4                        ;  msbs: dst=0 src0=0 src1=1 src2=0
	v_lshrrev_b32_e32 v43, 16, v183 /*v439*/
	s_set_vgpr_msb 0x41                     ;  msbs: dst=1 src0=1 src1=0 src2=0
	v_cvt_f32_f16_e64 v186 /*v442*/, v182 /*v438*/
	v_cvt_f32_f16_e64 v190 /*v446*/, v183 /*v439*/
	;; [unrolled: 1-line block ×3, first 2 shown]
	s_set_vgpr_msb 0x44                     ;  msbs: dst=1 src0=0 src1=1 src2=0
	v_lshrrev_b32_e32 v161 /*v417*/, 16, v185 /*v441*/
	v_cvt_f32_f16_e64 v182 /*v438*/, v43
	s_set_vgpr_msb 21                       ;  msbs: dst=0 src0=1 src1=1 src2=1
	v_add3_u32 v43, v227 /*v483*/, v244 /*v500*/, v245 /*v501*/
	s_set_vgpr_msb 64                       ;  msbs: dst=1 src0=0 src1=0 src2=0
	v_mul_i32_i24_e32 v227 /*v483*/, v93, v183
	s_set_vgpr_msb 0x44                     ;  msbs: dst=1 src0=0 src1=1 src2=0
	v_pk_fma_f32 v[184:185] /*v[440:441]*/, v[96:97], v[188:189] /*v[444:445]*/, 0 op_sel_hi:[0,1,0]
	s_set_vgpr_msb 0x55                     ;  msbs: dst=1 src0=1 src1=1 src2=1
	v_cvt_f32_f16_e64 v183 /*v439*/, v161 /*v417*/
	v_add3_u32 v161 /*v417*/, v177 /*v433*/, v174 /*v430*/, v175 /*v431*/
	s_set_vgpr_msb 0                        ;  msbs: dst=0 src0=0 src1=0 src2=0
	v_mul_lo_u32 v43, v43, v103
	s_set_vgpr_msb 64                       ;  msbs: dst=1 src0=0 src1=0 src2=0
	v_mul_i32_i24_e32 v177 /*v433*/, v68, v178
	s_set_vgpr_msb 0x41                     ;  msbs: dst=1 src0=1 src1=0 src2=0
	v_mul_i32_i24_e32 v244 /*v500*/, v198 /*v454*/, v206
	v_mul_i32_i24_e32 v245 /*v501*/, v199 /*v455*/, v207
	v_mul_lo_u32 v161 /*v417*/, v161 /*v417*/, v103
	s_set_vgpr_msb 64                       ;  msbs: dst=1 src0=0 src1=0 src2=0
	v_cvt_f32_i32_e32 v175 /*v431*/, v43
	s_set_vgpr_msb 0                        ;  msbs: dst=0 src0=0 src1=0 src2=0
	v_mul_i32_i24_e32 v43, v59, v101
	s_set_vgpr_msb 0x41                     ;  msbs: dst=1 src0=1 src1=0 src2=0
	s_delay_alu instid0(VALU_DEP_3)
	v_cvt_f32_i32_e32 v174 /*v430*/, v161 /*v417*/
	v_mul_i32_i24_e32 v161 /*v417*/, v197 /*v453*/, v101
	s_set_vgpr_msb 5                        ;  msbs: dst=0 src0=1 src1=1 src2=0
	v_add3_u32 v43, v181 /*v437*/, v180 /*v436*/, v43
	s_set_vgpr_msb 0x55                     ;  msbs: dst=1 src0=1 src1=1 src2=1
	v_pk_fma_f32 v[174:175] /*v[430:431]*/, v[186:187] /*v[442:443]*/, v[174:175] /*v[430:431]*/, 0 op_sel_hi:[1,1,0]
	v_add3_u32 v161 /*v417*/, v228 /*v484*/, v247 /*v503*/, v161 /*v417*/
	s_set_vgpr_msb 0                        ;  msbs: dst=0 src0=0 src1=0 src2=0
	v_mul_lo_u32 v43, v43, v99
	s_set_vgpr_msb 64                       ;  msbs: dst=1 src0=0 src1=0 src2=0
	v_mul_i32_i24_e32 v228 /*v484*/, v148, v184
	s_set_vgpr_msb 0x41                     ;  msbs: dst=1 src0=1 src1=0 src2=0
	v_mul_i32_i24_e32 v247 /*v503*/, v225 /*v481*/, v245
	v_mul_lo_u32 v161 /*v417*/, v161 /*v417*/, v99
	s_set_vgpr_msb 64                       ;  msbs: dst=1 src0=0 src1=0 src2=0
	s_delay_alu instid0(VALU_DEP_4) | instskip(SKIP_3) | instid1(VALU_DEP_3)
	v_cvt_f32_i32_e32 v180 /*v436*/, v43
	s_set_vgpr_msb 0                        ;  msbs: dst=0 src0=0 src1=0 src2=0
	v_mul_i32_i24_e32 v43, v58, v126
	s_set_vgpr_msb 0x41                     ;  msbs: dst=1 src0=1 src1=0 src2=0
	v_cvt_f32_i32_e32 v181 /*v437*/, v161 /*v417*/
	s_set_vgpr_msb 64                       ;  msbs: dst=1 src0=0 src1=0 src2=0
	v_mul_i32_i24_e32 v161 /*v417*/, v61, v173
	s_set_vgpr_msb 0                        ;  msbs: dst=0 src0=0 src1=0 src2=0
	v_mad_i32_i24 v43, v60, v124, v43
	s_set_vgpr_msb 0x55                     ;  msbs: dst=1 src0=1 src1=1 src2=1
	v_pk_fma_f32 v[174:175] /*v[430:431]*/, v[190:191] /*v[446:447]*/, v[180:181] /*v[436:437]*/, v[174:175] /*v[430:431]*/
	s_set_vgpr_msb 0x54                     ;  msbs: dst=1 src0=0 src1=1 src2=1
	v_pk_fma_f32 v[180:181] /*v[436:437]*/, v[98:99], v[182:183] /*v[438:439]*/, v[184:185] /*v[440:441]*/ op_sel_hi:[0,1,1]
	s_set_vgpr_msb 64                       ;  msbs: dst=1 src0=0 src1=0 src2=0
	v_mul_i32_i24_e32 v184 /*v440*/, v72, v181
	v_mul_i32_i24_e32 v185 /*v441*/, v91, v182
	s_set_vgpr_msb 0x51                     ;  msbs: dst=1 src0=1 src1=0 src2=1
	v_pk_mul_f32 v[180:181] /*v[436:437]*/, v[180:181] /*v[436:437]*/, v[8:9]
	s_delay_alu instid0(VALU_DEP_1)
	v_pk_fma_f32 v[174:175] /*v[430:431]*/, v[174:175] /*v[430:431]*/, v[0:1], v[180:181] /*v[436:437]*/ neg_lo:[0,0,1] neg_hi:[0,0,1]
	s_set_vgpr_msb 64                       ;  msbs: dst=1 src0=0 src1=0 src2=0
	v_mul_i32_i24_e32 v180 /*v436*/, v69, v179
	v_mul_i32_i24_e32 v181 /*v437*/, v70, v180
	s_set_vgpr_msb 4                        ;  msbs: dst=0 src0=0 src1=1 src2=0
	v_pk_add_f32 v[30:31], v[30:31], v[174:175] /*v[430:431]*/
	s_set_vgpr_msb 64                       ;  msbs: dst=1 src0=0 src1=0 src2=0
	v_mul_i32_i24_e32 v174 /*v430*/, v62, v174
	v_mul_i32_i24_e32 v175 /*v431*/, v66, v177
	s_set_vgpr_msb 20                       ;  msbs: dst=0 src0=0 src1=1 src2=1
	s_delay_alu instid0(VALU_DEP_2) | instskip(SKIP_4) | instid1(VALU_DEP_1)
	v_add3_u32 v43, v43, v161 /*v417*/, v174 /*v430*/
	s_set_vgpr_msb 64                       ;  msbs: dst=1 src0=0 src1=0 src2=0
	v_mul_i32_i24_e32 v161 /*v417*/, v64, v175
	v_mul_i32_i24_e32 v174 /*v430*/, v65, v176
	s_set_vgpr_msb 20                       ;  msbs: dst=0 src0=0 src1=1 src2=1
	v_add3_u32 v43, v43, v161 /*v417*/, v174 /*v430*/
	s_set_vgpr_msb 0x41                     ;  msbs: dst=1 src0=1 src1=0 src2=0
	v_mul_i32_i24_e32 v161 /*v417*/, v201 /*v457*/, v201
	v_mul_i32_i24_e32 v174 /*v430*/, v203 /*v459*/, v198
	s_set_vgpr_msb 20                       ;  msbs: dst=0 src0=0 src1=1 src2=1
	v_add3_u32 v43, v43, v175 /*v431*/, v177 /*v433*/
	s_set_vgpr_msb 0x51                     ;  msbs: dst=1 src0=1 src1=0 src2=1
	v_mul_i32_i24_e32 v175 /*v431*/, v204 /*v460*/, v204
	v_mad_i32_i24 v161 /*v417*/, v202 /*v458*/, v200, v161 /*v417*/
	v_mul_i32_i24_e32 v177 /*v433*/, v207 /*v463*/, v202
	s_set_vgpr_msb 20                       ;  msbs: dst=0 src0=0 src1=1 src2=1
	v_add3_u32 v43, v43, v180 /*v436*/, v181 /*v437*/
	s_set_vgpr_msb 0x41                     ;  msbs: dst=1 src0=1 src1=0 src2=0
	v_mul_i32_i24_e32 v180 /*v436*/, v208 /*v464*/, v212
	s_set_vgpr_msb 0x55                     ;  msbs: dst=1 src0=1 src1=1 src2=1
	v_add3_u32 v161 /*v417*/, v161 /*v417*/, v174 /*v430*/, v175 /*v431*/
	s_set_vgpr_msb 0x41                     ;  msbs: dst=1 src0=1 src1=0 src2=0
	v_mul_i32_i24_e32 v174 /*v430*/, v205 /*v461*/, v208
	v_mul_i32_i24_e32 v175 /*v431*/, v206 /*v462*/, v210
	s_set_vgpr_msb 20                       ;  msbs: dst=0 src0=0 src1=1 src2=1
	v_add3_u32 v43, v43, v184 /*v440*/, v185 /*v441*/
	s_set_vgpr_msb 0x41                     ;  msbs: dst=1 src0=1 src1=0 src2=0
	v_mul_i32_i24_e32 v181 /*v437*/, v209 /*v465*/, v213
	v_mul_i32_i24_e32 v184 /*v440*/, v210 /*v466*/, v214
	;; [unrolled: 1-line block ×3, first 2 shown]
	s_set_vgpr_msb 0x55                     ;  msbs: dst=1 src0=1 src1=1 src2=1
	v_add3_u32 v161 /*v417*/, v161 /*v417*/, v174 /*v430*/, v175 /*v431*/
	s_set_vgpr_msb 20                       ;  msbs: dst=0 src0=0 src1=1 src2=1
	v_add3_u32 v43, v43, v227 /*v483*/, v228 /*v484*/
	s_set_vgpr_msb 0x41                     ;  msbs: dst=1 src0=1 src1=0 src2=0
	v_mul_i32_i24_e32 v227 /*v483*/, v192 /*v448*/, v216
	v_mul_i32_i24_e32 v228 /*v484*/, v212 /*v468*/, v218
	v_cvt_f32_i32_e32 v174 /*v430*/, v169 /*v425*/
	s_set_vgpr_msb 0x55                     ;  msbs: dst=1 src0=1 src1=1 src2=1
	v_add3_u32 v161 /*v417*/, v161 /*v417*/, v177 /*v433*/, v180 /*v436*/
	s_set_vgpr_msb 20                       ;  msbs: dst=0 src0=0 src1=1 src2=1
	v_add3_u32 v43, v43, v229 /*v485*/, v230 /*v486*/
	s_set_vgpr_msb 0x41                     ;  msbs: dst=1 src0=1 src1=0 src2=0
	v_mul_i32_i24_e32 v229 /*v485*/, v213 /*v469*/, v220
	v_mul_i32_i24_e32 v230 /*v486*/, v214 /*v470*/, v215
	;; [unrolled: 1-line block ×3, first 2 shown]
	s_set_vgpr_msb 0x55                     ;  msbs: dst=1 src0=1 src1=1 src2=1
	v_add3_u32 v161 /*v417*/, v161 /*v417*/, v181 /*v437*/, v184 /*v440*/
	s_set_vgpr_msb 20                       ;  msbs: dst=0 src0=0 src1=1 src2=1
	v_add3_u32 v43, v43, v231 /*v487*/, v232 /*v488*/
	s_set_vgpr_msb 0x41                     ;  msbs: dst=1 src0=1 src1=0 src2=0
	v_mul_i32_i24_e32 v231 /*v487*/, v193 /*v449*/, v221
	v_mul_i32_i24_e32 v232 /*v488*/, v215 /*v471*/, v223
	s_set_vgpr_msb 0x44                     ;  msbs: dst=1 src0=0 src1=1 src2=0
	v_pk_fma_f32 v[180:181] /*v[436:437]*/, v[100:101], v[188:189] /*v[444:445]*/, 0 op_sel_hi:[0,1,0]
	s_set_vgpr_msb 0x55                     ;  msbs: dst=1 src0=1 src1=1 src2=1
	v_add3_u32 v161 /*v417*/, v161 /*v417*/, v185 /*v441*/, v227 /*v483*/
	s_set_vgpr_msb 20                       ;  msbs: dst=0 src0=0 src1=1 src2=1
	v_add3_u32 v43, v43, v233 /*v489*/, v234 /*v490*/
	s_set_vgpr_msb 0x41                     ;  msbs: dst=1 src0=1 src1=0 src2=0
	v_mul_i32_i24_e32 v233 /*v489*/, v216 /*v472*/, v225
	s_set_vgpr_msb 0x44                     ;  msbs: dst=1 src0=0 src1=1 src2=0
	v_mul_i32_i24_e32 v234 /*v490*/, v229, v217 /*v473*/
	s_set_vgpr_msb 64                       ;  msbs: dst=1 src0=0 src1=0 src2=0
	v_mul_i32_i24_e32 v177 /*v433*/, v72, v241
	s_set_vgpr_msb 0x55                     ;  msbs: dst=1 src0=1 src1=1 src2=1
	v_add3_u32 v161 /*v417*/, v161 /*v417*/, v228 /*v484*/, v229 /*v485*/
	s_set_vgpr_msb 20                       ;  msbs: dst=0 src0=0 src1=1 src2=1
	v_add3_u32 v43, v43, v235 /*v491*/, v236 /*v492*/
	s_set_vgpr_msb 0x44                     ;  msbs: dst=1 src0=0 src1=1 src2=0
	v_mul_i32_i24_e32 v235 /*v491*/, v226, v194 /*v450*/
	v_mul_i32_i24_e32 v236 /*v492*/, v231, v218 /*v474*/
	s_set_vgpr_msb 64                       ;  msbs: dst=1 src0=0 src1=0 src2=0
	v_mul_i32_i24_e32 v184 /*v440*/, v150, v250
	s_set_vgpr_msb 0x55                     ;  msbs: dst=1 src0=1 src1=1 src2=1
	v_add3_u32 v161 /*v417*/, v161 /*v417*/, v230 /*v486*/, v231 /*v487*/
	s_set_vgpr_msb 20                       ;  msbs: dst=0 src0=0 src1=1 src2=1
	v_add3_u32 v43, v43, v237 /*v493*/, v238 /*v494*/
	s_set_vgpr_msb 0x44                     ;  msbs: dst=1 src0=0 src1=1 src2=0
	v_mul_i32_i24_e32 v237 /*v493*/, v232, v219 /*v475*/
	;; [unrolled: 9-line block ×5, first 2 shown]
	s_set_vgpr_msb 0x41                     ;  msbs: dst=1 src0=1 src1=0 src2=0
	v_mul_i32_i24_e32 v244 /*v500*/, v224 /*v480*/, v244
	s_set_vgpr_msb 64                       ;  msbs: dst=1 src0=0 src1=0 src2=0
	v_mul_i32_i24_e32 v229 /*v485*/, v154, v254
	s_set_vgpr_msb 0x55                     ;  msbs: dst=1 src0=1 src1=1 src2=1
	v_add3_u32 v161 /*v417*/, v161 /*v417*/, v238 /*v494*/, v239 /*v495*/
	s_set_vgpr_msb 20                       ;  msbs: dst=0 src0=0 src1=1 src2=1
	v_add3_u32 v43, v43, v245 /*v501*/, v246 /*v502*/
	s_set_vgpr_msb 0x41                     ;  msbs: dst=1 src0=1 src1=0 src2=0
	v_mul_i32_i24_e32 v230 /*v486*/, v0 /*v256*/, v155
	s_set_vgpr_msb 64                       ;  msbs: dst=1 src0=0 src1=0 src2=0
	v_mul_i32_i24_e32 v231 /*v487*/, v255, v156
	s_set_vgpr_msb 0x41                     ;  msbs: dst=1 src0=1 src1=0 src2=0
	v_mul_i32_i24_e32 v232 /*v488*/, v2 /*v258*/, v157
	s_set_vgpr_msb 0x55                     ;  msbs: dst=1 src0=1 src1=1 src2=1
	v_add3_u32 v161 /*v417*/, v161 /*v417*/, v240 /*v496*/, v241 /*v497*/
	s_set_vgpr_msb 0                        ;  msbs: dst=0 src0=0 src1=0 src2=0
	v_mul_lo_u32 v43, v43, v122
	s_set_vgpr_msb 0x41                     ;  msbs: dst=1 src0=1 src1=0 src2=0
	v_mul_i32_i24_e32 v233 /*v489*/, v1 /*v257*/, v158
	v_mul_i32_i24_e32 v234 /*v490*/, v4 /*v260*/, v159
	;; [unrolled: 1-line block ×3, first 2 shown]
	s_set_vgpr_msb 0x55                     ;  msbs: dst=1 src0=1 src1=1 src2=1
	v_add3_u32 v161 /*v417*/, v161 /*v417*/, v242 /*v498*/, v243 /*v499*/
	s_set_vgpr_msb 0x41                     ;  msbs: dst=1 src0=1 src1=0 src2=0
	v_mul_i32_i24_e32 v236 /*v492*/, v7 /*v263*/, v161
	v_mul_i32_i24_e32 v237 /*v493*/, v5 /*v261*/, v162
	s_set_vgpr_msb 0x44                     ;  msbs: dst=1 src0=0 src1=1 src2=0
	v_mul_i32_i24_e32 v238 /*v494*/, v163, v11 /*v267*/
	s_set_vgpr_msb 0x55                     ;  msbs: dst=1 src0=1 src1=1 src2=1
	v_mul_i32_i24_e32 v239 /*v495*/, v198 /*v454*/, v13 /*v269*/
	v_add3_u32 v161 /*v417*/, v161 /*v417*/, v244 /*v500*/, v247 /*v503*/
	v_mul_i32_i24_e32 v240 /*v496*/, v199 /*v455*/, v14 /*v270*/
	s_set_vgpr_msb 64                       ;  msbs: dst=1 src0=0 src1=0 src2=0
	v_cvt_f32_i32_e32 v175 /*v431*/, v43
	s_set_vgpr_msb 0                        ;  msbs: dst=0 src0=0 src1=0 src2=0
	v_mul_i32_i24_e32 v43, v59, v105
	s_set_vgpr_msb 0x55                     ;  msbs: dst=1 src0=1 src1=1 src2=1
	v_mul_i32_i24_e32 v241 /*v497*/, v200 /*v456*/, v16 /*v272*/
	v_add3_u32 v161 /*v417*/, v161 /*v417*/, v248 /*v504*/, v169 /*v425*/
	s_set_vgpr_msb 64                       ;  msbs: dst=1 src0=0 src1=0 src2=0
	v_mul_i32_i24_e32 v169 /*v425*/, v62, v224
	s_set_vgpr_msb 0x45                     ;  msbs: dst=1 src0=1 src1=1 src2=0
	v_pk_fma_f32 v[174:175] /*v[430:431]*/, v[186:187] /*v[442:443]*/, v[174:175] /*v[430:431]*/, 0 op_sel_hi:[1,1,0]
	s_set_vgpr_msb 5                        ;  msbs: dst=0 src0=1 src1=1 src2=0
	v_add3_u32 v43, v179 /*v435*/, v178 /*v434*/, v43
	s_set_vgpr_msb 0x45                     ;  msbs: dst=1 src0=1 src1=1 src2=0
	v_mul_i32_i24_e32 v242 /*v498*/, v225 /*v481*/, v40 /*v296*/
	s_set_vgpr_msb 0x41                     ;  msbs: dst=1 src0=1 src1=0 src2=0
	v_mul_lo_u32 v161 /*v417*/, v161 /*v417*/, v107
	s_set_vgpr_msb 0x45                     ;  msbs: dst=1 src0=1 src1=1 src2=0
	v_mul_i32_i24_e32 v243 /*v499*/, v226 /*v482*/, v41 /*v297*/
	s_set_vgpr_msb 0                        ;  msbs: dst=0 src0=0 src1=0 src2=0
	v_mul_lo_u32 v43, v43, v107
	s_set_vgpr_msb 0x41                     ;  msbs: dst=1 src0=1 src1=0 src2=0
	s_delay_alu instid0(VALU_DEP_3) | instskip(SKIP_2) | instid1(VALU_DEP_3)
	v_cvt_f32_i32_e32 v179 /*v435*/, v161 /*v417*/
	s_set_vgpr_msb 64                       ;  msbs: dst=1 src0=0 src1=0 src2=0
	v_mul_i32_i24_e32 v161 /*v417*/, v61, v222
	v_cvt_f32_i32_e32 v178 /*v434*/, v43
	s_set_vgpr_msb 0                        ;  msbs: dst=0 src0=0 src1=0 src2=0
	v_mul_i32_i24_e32 v43, v58, v219
	s_set_vgpr_msb 0x55                     ;  msbs: dst=1 src0=1 src1=1 src2=1
	s_delay_alu instid0(VALU_DEP_2)
	v_pk_fma_f32 v[174:175] /*v[430:431]*/, v[190:191] /*v[446:447]*/, v[178:179] /*v[434:435]*/, v[174:175] /*v[430:431]*/
	s_set_vgpr_msb 0x54                     ;  msbs: dst=1 src0=0 src1=1 src2=1
	v_pk_fma_f32 v[178:179] /*v[434:435]*/, v[104:105], v[182:183] /*v[438:439]*/, v[180:181] /*v[436:437]*/ op_sel_hi:[0,1,1]
	s_set_vgpr_msb 0                        ;  msbs: dst=0 src0=0 src1=0 src2=0
	v_mad_i32_i24 v43, v60, v217, v43
	s_set_vgpr_msb 64                       ;  msbs: dst=1 src0=0 src1=0 src2=0
	v_mul_i32_i24_e32 v180 /*v436*/, v148, v248
	v_mul_i32_i24_e32 v181 /*v437*/, v149, v249
	s_set_vgpr_msb 0x41                     ;  msbs: dst=1 src0=1 src1=0 src2=0
	v_pk_mul_f32 v[178:179] /*v[434:435]*/, v[178:179] /*v[434:435]*/, v[10:11]
	s_set_vgpr_msb 20                       ;  msbs: dst=0 src0=0 src1=1 src2=1
	v_add3_u32 v43, v43, v161 /*v417*/, v169 /*v425*/
	s_set_vgpr_msb 64                       ;  msbs: dst=1 src0=0 src1=0 src2=0
	v_mul_i32_i24_e32 v161 /*v417*/, v64, v227
	v_mul_i32_i24_e32 v169 /*v425*/, v65, v228
	s_set_vgpr_msb 0x51                     ;  msbs: dst=1 src0=1 src1=0 src2=1
	v_pk_fma_f32 v[174:175] /*v[430:431]*/, v[174:175] /*v[430:431]*/, v[2:3], v[178:179] /*v[434:435]*/ neg_lo:[0,0,1] neg_hi:[0,0,1]
	s_set_vgpr_msb 64                       ;  msbs: dst=1 src0=0 src1=0 src2=0
	v_mul_i32_i24_e32 v178 /*v434*/, v91, v243
	v_mul_i32_i24_e32 v179 /*v435*/, v93, v247
	s_set_vgpr_msb 20                       ;  msbs: dst=0 src0=0 src1=1 src2=1
	v_add3_u32 v43, v43, v161 /*v417*/, v169 /*v425*/
	s_set_vgpr_msb 0x45                     ;  msbs: dst=1 src0=1 src1=1 src2=0
	v_mul_i32_i24_e32 v161 /*v417*/, v201 /*v457*/, v9 /*v265*/
	s_set_vgpr_msb 4                        ;  msbs: dst=0 src0=0 src1=1 src2=0
	v_pk_add_f32 v[28:29], v[28:29], v[174:175] /*v[430:431]*/
	s_set_vgpr_msb 64                       ;  msbs: dst=1 src0=0 src1=0 src2=0
	v_mul_i32_i24_e32 v174 /*v430*/, v69, v238
	v_mul_i32_i24_e32 v175 /*v431*/, v70, v240
	s_set_vgpr_msb 20                       ;  msbs: dst=0 src0=0 src1=1 src2=1
	v_add3_u32 v43, v43, v170 /*v426*/, v172 /*v428*/
	s_set_vgpr_msb 0x55                     ;  msbs: dst=1 src0=1 src1=1 src2=1
	v_mul_i32_i24_e32 v169 /*v425*/, v203 /*v459*/, v6 /*v262*/
	v_mul_i32_i24_e32 v170 /*v426*/, v204 /*v460*/, v12 /*v268*/
	v_mad_i32_i24 v161 /*v417*/, v202 /*v458*/, v8 /*v264*/, v161 /*v417*/
	v_mul_i32_i24_e32 v172 /*v428*/, v207 /*v463*/, v10 /*v266*/
	s_set_vgpr_msb 20                       ;  msbs: dst=0 src0=0 src1=1 src2=1
	v_add3_u32 v43, v43, v174 /*v430*/, v175 /*v431*/
	s_set_vgpr_msb 0x55                     ;  msbs: dst=1 src0=1 src1=1 src2=1
	v_mul_i32_i24_e32 v174 /*v430*/, v208 /*v464*/, v19 /*v275*/
	v_mul_i32_i24_e32 v175 /*v431*/, v209 /*v465*/, v20 /*v276*/
	v_add3_u32 v161 /*v417*/, v161 /*v417*/, v169 /*v425*/, v170 /*v426*/
	v_mul_i32_i24_e32 v169 /*v425*/, v205 /*v461*/, v15 /*v271*/
	s_set_vgpr_msb 20                       ;  msbs: dst=0 src0=0 src1=1 src2=1
	v_add3_u32 v43, v43, v177 /*v433*/, v178 /*v434*/
	s_set_vgpr_msb 0x45                     ;  msbs: dst=1 src0=1 src1=1 src2=0
	v_mul_i32_i24_e32 v170 /*v426*/, v206 /*v462*/, v17 /*v273*/
	v_mul_i32_i24_e32 v177 /*v433*/, v210 /*v466*/, v21 /*v277*/
	;; [unrolled: 1-line block ×3, first 2 shown]
	s_set_vgpr_msb 20                       ;  msbs: dst=0 src0=0 src1=1 src2=1
	v_add3_u32 v43, v43, v179 /*v435*/, v180 /*v436*/
	s_set_vgpr_msb 0x55                     ;  msbs: dst=1 src0=1 src1=1 src2=1
	v_add3_u32 v161 /*v417*/, v161 /*v417*/, v169 /*v425*/, v170 /*v426*/
	v_mul_i32_i24_e32 v179 /*v435*/, v192 /*v448*/, v23 /*v279*/
	v_mul_i32_i24_e32 v180 /*v436*/, v212 /*v468*/, v24 /*v280*/
	s_set_vgpr_msb 20                       ;  msbs: dst=0 src0=0 src1=1 src2=1
	v_add3_u32 v43, v43, v181 /*v437*/, v184 /*v440*/
	s_set_vgpr_msb 0x55                     ;  msbs: dst=1 src0=1 src1=1 src2=1
	v_add3_u32 v161 /*v417*/, v161 /*v417*/, v172 /*v428*/, v174 /*v430*/
	v_mul_i32_i24_e32 v181 /*v437*/, v213 /*v469*/, v25 /*v281*/
	v_mul_i32_i24_e32 v184 /*v440*/, v214 /*v470*/, v22 /*v278*/
	;; [unrolled: 6-line block ×3, first 2 shown]
	s_set_vgpr_msb 0x44                     ;  msbs: dst=1 src0=0 src1=1 src2=0
	v_pk_fma_f32 v[174:175] /*v[430:431]*/, v[102:103], v[188:189] /*v[444:445]*/, 0 op_sel_hi:[0,1,0]
	s_set_vgpr_msb 20                       ;  msbs: dst=0 src0=0 src1=1 src2=1
	v_add3_u32 v43, v43, v228 /*v484*/, v229 /*v485*/
	s_set_vgpr_msb 0x55                     ;  msbs: dst=1 src0=1 src1=1 src2=1
	v_add3_u32 v161 /*v417*/, v161 /*v417*/, v178 /*v434*/, v179 /*v435*/
	v_mul_i32_i24_e32 v228 /*v484*/, v216 /*v472*/, v28 /*v284*/
	v_mul_i32_i24_e32 v229 /*v485*/, v30 /*v286*/, v217 /*v473*/
	s_set_vgpr_msb 20                       ;  msbs: dst=0 src0=0 src1=1 src2=1
	v_add3_u32 v43, v43, v230 /*v486*/, v231 /*v487*/
	s_set_vgpr_msb 0x55                     ;  msbs: dst=1 src0=1 src1=1 src2=1
	v_add3_u32 v161 /*v417*/, v161 /*v417*/, v180 /*v436*/, v181 /*v437*/
	v_mul_i32_i24_e32 v230 /*v486*/, v29 /*v285*/, v194 /*v450*/
	v_mul_i32_i24_e32 v231 /*v487*/, v31 /*v287*/, v218 /*v474*/
	;; [unrolled: 6-line block ×6, first 2 shown]
	s_set_vgpr_msb 20                       ;  msbs: dst=0 src0=0 src1=1 src2=1
	v_add3_u32 v43, v43, v240 /*v496*/, v241 /*v497*/
	s_set_vgpr_msb 0x55                     ;  msbs: dst=1 src0=1 src1=1 src2=1
	v_add3_u32 v161 /*v417*/, v161 /*v417*/, v233 /*v489*/, v234 /*v490*/
	s_set_vgpr_msb 0                        ;  msbs: dst=0 src0=0 src1=0 src2=0
	s_delay_alu instid0(VALU_DEP_2) | instskip(SKIP_1) | instid1(VALU_DEP_2)
	v_mul_lo_u32 v43, v43, v205
	s_set_vgpr_msb 0x55                     ;  msbs: dst=1 src0=1 src1=1 src2=1
	v_add3_u32 v161 /*v417*/, v161 /*v417*/, v235 /*v491*/, v236 /*v492*/
	s_delay_alu instid0(VALU_DEP_1) | instskip(SKIP_1) | instid1(VALU_DEP_3)
	v_add3_u32 v161 /*v417*/, v161 /*v417*/, v237 /*v493*/, v238 /*v494*/
	s_set_vgpr_msb 64                       ;  msbs: dst=1 src0=0 src1=0 src2=0
	v_cvt_f32_i32_e32 v167 /*v423*/, v43
	s_set_vgpr_msb 0                        ;  msbs: dst=0 src0=0 src1=0 src2=0
	v_mul_i32_i24_e32 v43, v59, v109
	s_set_vgpr_msb 0x55                     ;  msbs: dst=1 src0=1 src1=1 src2=1
	v_add3_u32 v161 /*v417*/, v161 /*v417*/, v239 /*v495*/, v242 /*v498*/
	v_pk_fma_f32 v[166:167] /*v[422:423]*/, v[186:187] /*v[442:443]*/, v[166:167] /*v[422:423]*/, 0 op_sel_hi:[1,1,0]
	s_set_vgpr_msb 5                        ;  msbs: dst=0 src0=1 src1=1 src2=0
	v_add3_u32 v43, v176 /*v432*/, v173 /*v429*/, v43
	s_set_vgpr_msb 0x55                     ;  msbs: dst=1 src0=1 src1=1 src2=1
	v_add3_u32 v161 /*v417*/, v161 /*v417*/, v243 /*v499*/, v165 /*v421*/
	s_set_vgpr_msb 0                        ;  msbs: dst=0 src0=0 src1=0 src2=0
	s_delay_alu instid0(VALU_DEP_2) | instskip(SKIP_1) | instid1(VALU_DEP_2)
	v_mul_lo_u32 v43, v43, v111
	s_set_vgpr_msb 0x41                     ;  msbs: dst=1 src0=1 src1=0 src2=0
	v_mul_lo_u32 v161 /*v417*/, v161 /*v417*/, v111
	s_set_vgpr_msb 64                       ;  msbs: dst=1 src0=0 src1=0 src2=0
	s_delay_alu instid0(VALU_DEP_2)
	v_cvt_f32_i32_e32 v172 /*v428*/, v43
	s_set_vgpr_msb 4                        ;  msbs: dst=0 src0=0 src1=1 src2=0
	v_mul_i32_i24_e32 v43, v58, v46 /*v302*/
	v_mul_i32_i24_e32 v58, v61, v47 /*v303*/
	;; [unrolled: 1-line block ×5, first 2 shown]
	v_mad_i32_i24 v43, v60, v45 /*v301*/, v43
	v_mul_i32_i24_e32 v60, v65, v50 /*v306*/
	v_mul_i32_i24_e32 v65, v70, v54 /*v310*/
	;; [unrolled: 1-line block ×4, first 2 shown]
	s_set_vgpr_msb 0                        ;  msbs: dst=0 src0=0 src1=0 src2=0
	v_add3_u32 v43, v43, v58, v61
	s_set_vgpr_msb 4                        ;  msbs: dst=0 src0=0 src1=1 src2=0
	v_mul_i32_i24_e32 v58, v64, v49 /*v305*/
	v_mul_i32_i24_e32 v61, v66, v51 /*v307*/
	;; [unrolled: 1-line block ×5, first 2 shown]
	s_set_vgpr_msb 0                        ;  msbs: dst=0 src0=0 src1=0 src2=0
	v_add3_u32 v43, v43, v58, v60
	s_set_vgpr_msb 5                        ;  msbs: dst=0 src0=1 src1=1 src2=0
	v_mul_i32_i24_e32 v58, v201 /*v457*/, v75 /*v331*/
	v_mul_i32_i24_e32 v60, v203 /*v459*/, v72 /*v328*/
	s_set_vgpr_msb 4                        ;  msbs: dst=0 src0=0 src1=1 src2=0
	v_mul_i32_i24_e32 v72, v149, v59 /*v315*/
	v_mul_i32_i24_e32 v93, v151, v61 /*v317*/
	s_set_vgpr_msb 0                        ;  msbs: dst=0 src0=0 src1=0 src2=0
	v_add3_u32 v43, v43, v61, v62
	s_set_vgpr_msb 5                        ;  msbs: dst=0 src0=1 src1=1 src2=0
	v_mul_i32_i24_e32 v61, v204 /*v460*/, v78 /*v334*/
	v_mad_i32_i24 v58, v202 /*v458*/, v74 /*v330*/, v58
	v_mul_i32_i24_e32 v62, v207 /*v463*/, v76 /*v332*/
	s_set_vgpr_msb 4                        ;  msbs: dst=0 src0=0 src1=1 src2=0
	v_mul_i32_i24_e32 v148, v152, v62 /*v318*/
	s_set_vgpr_msb 0                        ;  msbs: dst=0 src0=0 src1=0 src2=0
	v_add3_u32 v43, v43, v64, v65
	s_set_vgpr_msb 5                        ;  msbs: dst=0 src0=1 src1=1 src2=0
	v_mul_i32_i24_e32 v64, v208 /*v464*/, v85 /*v341*/
	s_set_vgpr_msb 0                        ;  msbs: dst=0 src0=0 src1=0 src2=0
	v_add3_u32 v58, v58, v60, v61
	s_set_vgpr_msb 5                        ;  msbs: dst=0 src0=1 src1=1 src2=0
	v_mul_i32_i24_e32 v60, v205 /*v461*/, v81 /*v337*/
	v_mul_i32_i24_e32 v61, v206 /*v462*/, v83 /*v339*/
	s_set_vgpr_msb 0                        ;  msbs: dst=0 src0=0 src1=0 src2=0
	v_add3_u32 v43, v43, v66, v68
	s_set_vgpr_msb 5                        ;  msbs: dst=0 src0=1 src1=1 src2=0
	v_mul_i32_i24_e32 v65, v209 /*v465*/, v86 /*v342*/
	v_mul_i32_i24_e32 v66, v210 /*v466*/, v87 /*v343*/
	s_set_vgpr_msb 4                        ;  msbs: dst=0 src0=0 src1=1 src2=0
	v_mul_i32_i24_e32 v149, v153, v63 /*v319*/
	s_set_vgpr_msb 0                        ;  msbs: dst=0 src0=0 src1=0 src2=0
	v_add3_u32 v58, v58, v60, v61
	v_add3_u32 v43, v43, v69, v70
	s_set_vgpr_msb 4                        ;  msbs: dst=0 src0=0 src1=1 src2=0
	v_mul_i32_i24_e32 v150, v154, v64 /*v320*/
	s_set_vgpr_msb 5                        ;  msbs: dst=0 src0=1 src1=1 src2=0
	v_mul_i32_i24_e32 v68, v211 /*v467*/, v84 /*v340*/
	v_mul_i32_i24_e32 v69, v192 /*v448*/, v89 /*v345*/
	s_set_vgpr_msb 0                        ;  msbs: dst=0 src0=0 src1=0 src2=0
	v_add3_u32 v58, v58, v62, v64
	v_add3_u32 v43, v43, v72, v91
	s_set_vgpr_msb 1                        ;  msbs: dst=0 src0=1 src1=0 src2=0
	v_mul_i32_i24_e32 v151, v66 /*v322*/, v155
	v_mul_i32_i24_e32 v152, v65 /*v321*/, v156
	s_set_vgpr_msb 5                        ;  msbs: dst=0 src0=1 src1=1 src2=0
	v_mul_i32_i24_e32 v70, v212 /*v468*/, v90 /*v346*/
	s_set_vgpr_msb 0                        ;  msbs: dst=0 src0=0 src1=0 src2=0
	v_add3_u32 v58, v58, v65, v66
	v_add3_u32 v43, v43, v93, v148
	s_set_vgpr_msb 5                        ;  msbs: dst=0 src0=1 src1=1 src2=0
	v_mul_i32_i24_e32 v72, v213 /*v469*/, v91 /*v347*/
	s_set_vgpr_msb 1                        ;  msbs: dst=0 src0=1 src1=0 src2=0
	v_mul_i32_i24_e32 v153, v68 /*v324*/, v157
	v_mul_i32_i24_e32 v154, v67 /*v323*/, v158
	s_set_vgpr_msb 0                        ;  msbs: dst=0 src0=0 src1=0 src2=0
	v_add3_u32 v58, v58, v68, v69
	v_add3_u32 v43, v43, v149, v150
	s_set_vgpr_msb 5                        ;  msbs: dst=0 src0=1 src1=1 src2=0
	v_mul_i32_i24_e32 v91, v214 /*v470*/, v88 /*v344*/
	v_mul_i32_i24_e32 v93, v193 /*v449*/, v92 /*v348*/
	s_set_vgpr_msb 1                        ;  msbs: dst=0 src0=1 src1=0 src2=0
	v_mul_i32_i24_e32 v155, v70 /*v326*/, v159
	s_set_vgpr_msb 0                        ;  msbs: dst=0 src0=0 src1=0 src2=0
	v_add3_u32 v58, v58, v70, v72
	v_add3_u32 v43, v43, v151, v152
	s_set_vgpr_msb 1                        ;  msbs: dst=0 src0=1 src1=0 src2=0
	v_mul_i32_i24_e32 v156, v69 /*v325*/, v160
	s_set_vgpr_msb 5                        ;  msbs: dst=0 src0=1 src1=1 src2=0
	v_mul_i32_i24_e32 v148, v215 /*v471*/, v93 /*v349*/
	v_mul_i32_i24_e32 v149, v216 /*v472*/, v94 /*v350*/
	s_set_vgpr_msb 0                        ;  msbs: dst=0 src0=0 src1=0 src2=0
	v_add3_u32 v58, v58, v91, v93
	v_add3_u32 v43, v43, v153, v154
	s_set_vgpr_msb 1                        ;  msbs: dst=0 src0=1 src1=0 src2=0
	v_mul_i32_i24_e32 v157, v73 /*v329*/, v161
	v_mul_i32_i24_e32 v158, v71 /*v327*/, v162
	s_set_vgpr_msb 5                        ;  msbs: dst=0 src0=1 src1=1 src2=0
	v_mul_i32_i24_e32 v150, v96 /*v352*/, v217 /*v473*/
	v_mul_i32_i24_e32 v151, v95 /*v351*/, v194 /*v450*/
	s_set_vgpr_msb 0                        ;  msbs: dst=0 src0=0 src1=0 src2=0
	v_add3_u32 v43, v43, v155, v156
	v_add3_u32 v58, v58, v148, v149
	s_set_vgpr_msb 4                        ;  msbs: dst=0 src0=0 src1=1 src2=0
	v_mul_i32_i24_e32 v159, v163, v77 /*v333*/
	s_set_vgpr_msb 5                        ;  msbs: dst=0 src0=1 src1=1 src2=0
	v_mul_i32_i24_e32 v160, v198 /*v454*/, v79 /*v335*/
	v_mul_i32_i24_e32 v152, v97 /*v353*/, v218 /*v474*/
	s_set_vgpr_msb 0                        ;  msbs: dst=0 src0=0 src1=0 src2=0
	v_add3_u32 v43, v43, v157, v158
	s_set_vgpr_msb 5                        ;  msbs: dst=0 src0=1 src1=1 src2=0
	v_mul_i32_i24_e32 v153, v98 /*v354*/, v219 /*v475*/
	s_set_vgpr_msb 0                        ;  msbs: dst=0 src0=0 src1=0 src2=0
	v_add3_u32 v58, v58, v150, v151
	s_set_vgpr_msb 5                        ;  msbs: dst=0 src0=1 src1=1 src2=0
	v_mul_i32_i24_e32 v161, v199 /*v455*/, v80 /*v336*/
	v_mul_i32_i24_e32 v162, v200 /*v456*/, v82 /*v338*/
	s_set_vgpr_msb 0                        ;  msbs: dst=0 src0=0 src1=0 src2=0
	v_add3_u32 v43, v43, v159, v160
	s_set_vgpr_msb 5                        ;  msbs: dst=0 src0=1 src1=1 src2=0
	v_mul_i32_i24_e32 v154, v100 /*v356*/, v220 /*v476*/
	;; [unrolled: 5-line block ×3, first 2 shown]
	s_set_vgpr_msb 0                        ;  msbs: dst=0 src0=0 src1=0 src2=0
	v_add3_u32 v43, v43, v161, v162
	s_set_vgpr_msb 5                        ;  msbs: dst=0 src0=1 src1=1 src2=0
	v_mul_i32_i24_e32 v157, v102 /*v358*/, v222 /*v478*/
	v_mul_i32_i24_e32 v158, v104 /*v360*/, v223 /*v479*/
	s_set_vgpr_msb 0                        ;  msbs: dst=0 src0=0 src1=0 src2=0
	v_add3_u32 v58, v58, v154, v155
	s_set_vgpr_msb 5                        ;  msbs: dst=0 src0=1 src1=1 src2=0
	v_mul_i32_i24_e32 v159, v103 /*v359*/, v196 /*v452*/
	s_set_vgpr_msb 4                        ;  msbs: dst=0 src0=0 src1=1 src2=0
	v_mul_lo_u32 v43, v43, v44 /*v300*/
	s_set_vgpr_msb 5                        ;  msbs: dst=0 src0=1 src1=1 src2=0
	v_mul_i32_i24_e32 v160, v224 /*v480*/, v105 /*v361*/
	v_mul_i32_i24_e32 v163, v225 /*v481*/, v106 /*v362*/
	s_set_vgpr_msb 0                        ;  msbs: dst=0 src0=0 src1=0 src2=0
	v_add3_u32 v58, v58, v156, v157
	s_set_vgpr_msb 0x45                     ;  msbs: dst=1 src0=1 src1=1 src2=0
	v_cvt_f32_i32_e32 v173 /*v429*/, v161 /*v417*/
	v_mul_i32_i24_e32 v161 /*v417*/, v226 /*v482*/, v107 /*v363*/
	s_set_vgpr_msb 21                       ;  msbs: dst=0 src0=1 src1=1 src2=1
	v_add3_u32 v60, v164 /*v420*/, v162 /*v418*/, v163 /*v419*/
	s_set_vgpr_msb 0x44                     ;  msbs: dst=1 src0=0 src1=1 src2=0
	v_pk_fma_f32 v[164:165] /*v[420:421]*/, v[110:111], v[188:189] /*v[444:445]*/, 0 op_sel_hi:[0,1,0]
	s_set_vgpr_msb 0                        ;  msbs: dst=0 src0=0 src1=0 src2=0
	v_add3_u32 v58, v58, v158, v159
	s_set_vgpr_msb 0x55                     ;  msbs: dst=1 src0=1 src1=1 src2=1
	v_pk_fma_f32 v[166:167] /*v[422:423]*/, v[190:191] /*v[446:447]*/, v[172:173] /*v[428:429]*/, v[166:167] /*v[422:423]*/
	s_set_vgpr_msb 0x54                     ;  msbs: dst=1 src0=0 src1=1 src2=1
	v_pk_fma_f32 v[172:173] /*v[428:429]*/, v[106:107], v[182:183] /*v[438:439]*/, v[174:175] /*v[430:431]*/ op_sel_hi:[0,1,1]
	v_cvt_f32_i32_e32 v163 /*v419*/, v43
	s_set_vgpr_msb 4                        ;  msbs: dst=0 src0=0 src1=1 src2=0
	v_mul_i32_i24_e32 v43, v59, v42 /*v298*/
	s_set_vgpr_msb 0                        ;  msbs: dst=0 src0=0 src1=0 src2=0
	v_add3_u32 v58, v58, v160, v163
	s_set_vgpr_msb 5                        ;  msbs: dst=0 src0=1 src1=1 src2=0
	v_mul_i32_i24_e32 v59, v197 /*v453*/, v42 /*v298*/
	s_set_vgpr_msb 4                        ;  msbs: dst=0 src0=0 src1=1 src2=0
	v_mul_lo_u32 v60, v60, v44 /*v300*/
	s_set_vgpr_msb 0x41                     ;  msbs: dst=1 src0=1 src1=0 src2=0
	v_pk_mul_f32 v[172:173] /*v[428:429]*/, v[172:173] /*v[428:429]*/, v[12:13]
	s_set_vgpr_msb 5                        ;  msbs: dst=0 src0=1 src1=1 src2=0
	v_add3_u32 v43, v171 /*v427*/, v168 /*v424*/, v43
	s_set_vgpr_msb 0x54                     ;  msbs: dst=1 src0=0 src1=1 src2=1
	v_pk_fma_f32 v[164:165] /*v[420:421]*/, v[108:109], v[182:183] /*v[438:439]*/, v[164:165] /*v[420:421]*/ op_sel_hi:[0,1,1]
	s_set_vgpr_msb 4                        ;  msbs: dst=0 src0=0 src1=1 src2=0
	v_add3_u32 v58, v58, v161 /*v417*/, v59
	s_set_vgpr_msb 0x51                     ;  msbs: dst=1 src0=1 src1=0 src2=1
	v_pk_fma_f32 v[166:167] /*v[422:423]*/, v[166:167] /*v[422:423]*/, v[4:5], v[172:173] /*v[428:429]*/ neg_lo:[0,0,1] neg_hi:[0,0,1]
	s_set_vgpr_msb 4                        ;  msbs: dst=0 src0=0 src1=1 src2=0
	v_mul_lo_u32 v43, v43, v43 /*v299*/
	s_set_vgpr_msb 0x41                     ;  msbs: dst=1 src0=1 src1=0 src2=0
	v_pk_mul_f32 v[164:165] /*v[420:421]*/, v[164:165] /*v[420:421]*/, v[14:15]
	s_set_vgpr_msb 4                        ;  msbs: dst=0 src0=0 src1=1 src2=0
	v_mul_lo_u32 v58, v58, v43 /*v299*/
	s_set_vgpr_msb 64                       ;  msbs: dst=1 src0=0 src1=0 src2=0
	v_cvt_f32_i32_e32 v162 /*v418*/, v60
	s_set_vgpr_msb 4                        ;  msbs: dst=0 src0=0 src1=1 src2=0
	v_pk_add_f32 v[26:27], v[26:27], v[166:167] /*v[422:423]*/
	s_set_vgpr_msb 0x45                     ;  msbs: dst=1 src0=1 src1=1 src2=0
	s_delay_alu instid0(VALU_DEP_2)
	v_pk_fma_f32 v[162:163] /*v[418:419]*/, v[186:187] /*v[442:443]*/, v[162:163] /*v[418:419]*/, 0 op_sel_hi:[1,1,0]
	s_set_vgpr_msb 64                       ;  msbs: dst=1 src0=0 src1=0 src2=0
	v_cvt_f32_i32_e32 v166 /*v422*/, v43
	s_set_vgpr_msb 0                        ;  msbs: dst=0 src0=0 src1=0 src2=0
	v_or_b32_e32 v43, s8, v142
	s_set_vgpr_msb 64                       ;  msbs: dst=1 src0=0 src1=0 src2=0
	v_cvt_f32_i32_e32 v167 /*v423*/, v58
	s_set_vgpr_msb 0                        ;  msbs: dst=0 src0=0 src1=0 src2=0
	s_delay_alu instid0(VALU_DEP_2) | instskip(SKIP_1) | instid1(VALU_DEP_2)
	v_lshlrev_b32_e32 v58, 2, v43
	s_set_vgpr_msb 0x55                     ;  msbs: dst=1 src0=1 src1=1 src2=1
	v_pk_fma_f32 v[162:163] /*v[418:419]*/, v[190:191] /*v[446:447]*/, v[166:167] /*v[422:423]*/, v[162:163] /*v[418:419]*/
	s_set_vgpr_msb 0x51                     ;  msbs: dst=1 src0=1 src1=0 src2=1
	v_lshrrev_b32_e32 v183 /*v439*/, 1, v43
	s_delay_alu instid0(VALU_DEP_2) | instskip(SKIP_1) | instid1(VALU_DEP_1)
	v_pk_fma_f32 v[162:163] /*v[418:419]*/, v[162:163] /*v[418:419]*/, v[6:7], v[164:165] /*v[420:421]*/ neg_lo:[0,0,1] neg_hi:[0,0,1]
	s_set_vgpr_msb 4                        ;  msbs: dst=0 src0=0 src1=1 src2=0
	v_pk_add_f32 v[24:25], v[24:25], v[162:163] /*v[418:419]*/
	s_set_vgpr_msb 64                       ;  msbs: dst=1 src0=0 src1=0 src2=0
	ds_load_b128 v[162:165] /*v[418:421]*/, v58 offset:16896
	ds_load_b128 v[166:169] /*v[422:425]*/, v58 offset:16912
	;; [unrolled: 1-line block ×4, first 2 shown]
	s_wait_dscnt 0x3
	s_set_vgpr_msb 1                        ;  msbs: dst=0 src0=1 src1=0 src2=0
	v_bfe_i32 v43, v162 /*v418*/, 0, 8
	v_bfe_i32 v58, v162 /*v418*/, 8, 8
	;; [unrolled: 1-line block ×3, first 2 shown]
	s_set_vgpr_msb 4                        ;  msbs: dst=0 src0=0 src1=1 src2=0
	v_ashrrev_i32_e32 v60, 24, v162 /*v418*/
	s_set_vgpr_msb 1                        ;  msbs: dst=0 src0=1 src1=0 src2=0
	v_bfe_i32 v66, v164 /*v420*/, 0, 8
	v_bfe_i32 v68, v164 /*v420*/, 8, 8
	;; [unrolled: 1-line block ×3, first 2 shown]
	s_set_vgpr_msb 4                        ;  msbs: dst=0 src0=0 src1=1 src2=0
	v_ashrrev_i32_e32 v70, 24, v164 /*v420*/
	s_set_vgpr_msb 64                       ;  msbs: dst=1 src0=0 src1=0 src2=0
	v_mul_i32_i24_e32 v164 /*v420*/, v43, v121
	s_set_vgpr_msb 1                        ;  msbs: dst=0 src0=1 src1=0 src2=0
	v_bfe_i32 v61, v163 /*v419*/, 0, 8
	v_bfe_i32 v62, v163 /*v419*/, 8, 8
	s_set_vgpr_msb 4                        ;  msbs: dst=0 src0=0 src1=1 src2=0
	v_dual_ashrrev_i32 v65, 24, v163 /*v419*/ :: v_dual_ashrrev_i32 v148, 24, v165 /*v421*/
	s_set_vgpr_msb 1                        ;  msbs: dst=0 src0=1 src1=0 src2=0
	v_bfe_i32 v72, v165 /*v421*/, 0, 8
	v_bfe_i32 v91, v165 /*v421*/, 8, 8
	v_bfe_i32 v93, v165 /*v421*/, 16, 8
	s_wait_dscnt 0x2
	v_bfe_i32 v149, v166 /*v422*/, 0, 8
	v_bfe_i32 v150, v166 /*v422*/, 8, 8
	;; [unrolled: 1-line block ×3, first 2 shown]
	s_set_vgpr_msb 4                        ;  msbs: dst=0 src0=0 src1=1 src2=0
	v_dual_ashrrev_i32 v152, 24, v166 /*v422*/ :: v_dual_ashrrev_i32 v156, 24, v167 /*v423*/
	s_set_vgpr_msb 0x44                     ;  msbs: dst=1 src0=0 src1=1 src2=0
	v_mul_i32_i24_e32 v165 /*v421*/, v59, v108 /*v364*/
	v_mul_i32_i24_e32 v166 /*v422*/, v60, v109 /*v365*/
	s_set_vgpr_msb 0x50                     ;  msbs: dst=1 src0=0 src1=0 src2=1
	v_mad_i32_i24 v164 /*v420*/, v58, v120, v164 /*v420*/
	s_set_vgpr_msb 1                        ;  msbs: dst=0 src0=1 src1=0 src2=0
	v_bfe_i32 v64, v163 /*v419*/, 16, 8
	v_bfe_i32 v153, v167 /*v423*/, 0, 8
	;; [unrolled: 1-line block ×4, first 2 shown]
	s_set_vgpr_msb 0x55                     ;  msbs: dst=1 src0=1 src1=1 src2=1
	v_add3_u32 v164 /*v420*/, v164 /*v420*/, v165 /*v421*/, v166 /*v422*/
	s_set_vgpr_msb 0x44                     ;  msbs: dst=1 src0=0 src1=1 src2=0
	v_mul_i32_i24_e32 v165 /*v421*/, v61, v110 /*v366*/
	v_mul_i32_i24_e32 v166 /*v422*/, v62, v111 /*v367*/
	s_set_vgpr_msb 1                        ;  msbs: dst=0 src0=1 src1=0 src2=0
	v_bfe_i32 v157, v168 /*v424*/, 0, 8
	v_bfe_i32 v158, v168 /*v424*/, 8, 8
	;; [unrolled: 1-line block ×3, first 2 shown]
	s_set_vgpr_msb 4                        ;  msbs: dst=0 src0=0 src1=1 src2=0
	v_ashrrev_i32_e32 v160, 24, v168 /*v424*/
	s_set_vgpr_msb 0x44                     ;  msbs: dst=1 src0=0 src1=1 src2=0
	v_mul_i32_i24_e32 v167 /*v423*/, v64, v112 /*v368*/
	v_mul_i32_i24_e32 v168 /*v424*/, v65, v113 /*v369*/
	s_set_vgpr_msb 0x55                     ;  msbs: dst=1 src0=1 src1=1 src2=1
	v_add3_u32 v164 /*v420*/, v164 /*v420*/, v165 /*v421*/, v166 /*v422*/
	s_set_vgpr_msb 1                        ;  msbs: dst=0 src0=1 src1=0 src2=0
	v_bfe_i32 v161, v169 /*v425*/, 0, 8
	v_bfe_i32 v162, v169 /*v425*/, 8, 8
	v_bfe_i32 v163, v169 /*v425*/, 16, 8
	s_set_vgpr_msb 0x44                     ;  msbs: dst=1 src0=0 src1=1 src2=0
	v_ashrrev_i32_e32 v162 /*v418*/, 24, v169 /*v425*/
	s_wait_dscnt 0x1
	s_set_vgpr_msb 0x41                     ;  msbs: dst=1 src0=1 src1=0 src2=0
	v_bfe_i32 v163 /*v419*/, v170 /*v426*/, 0, 8
	v_bfe_i32 v182 /*v438*/, v170 /*v426*/, 8, 8
	v_bfe_i32 v184 /*v440*/, v170 /*v426*/, 16, 8
	s_set_vgpr_msb 0x44                     ;  msbs: dst=1 src0=0 src1=1 src2=0
	v_ashrrev_i32_e32 v185 /*v441*/, 24, v170 /*v426*/
	v_mul_i32_i24_e32 v169 /*v425*/, v66, v114 /*v370*/
	v_mul_i32_i24_e32 v170 /*v426*/, v68, v115 /*v371*/
	s_set_vgpr_msb 0x55                     ;  msbs: dst=1 src0=1 src1=1 src2=1
	v_add3_u32 v164 /*v420*/, v164 /*v420*/, v167 /*v423*/, v168 /*v424*/
	v_bfe_i32 v186 /*v442*/, v171 /*v427*/, 0, 8
	v_bfe_i32 v187 /*v443*/, v171 /*v427*/, 8, 8
	;; [unrolled: 1-line block ×3, first 2 shown]
	v_dual_ashrrev_i32 v189 /*v445*/, 24, v171 /*v427*/ :: v_dual_ashrrev_i32 v193 /*v449*/, 24, v172 /*v428*/
	v_bfe_i32 v190 /*v446*/, v172 /*v428*/, 0, 8
	v_bfe_i32 v191 /*v447*/, v172 /*v428*/, 8, 8
	;; [unrolled: 1-line block ×3, first 2 shown]
	s_set_vgpr_msb 0x44                     ;  msbs: dst=1 src0=0 src1=1 src2=0
	v_mul_i32_i24_e32 v171 /*v427*/, v69, v116 /*v372*/
	v_mul_i32_i24_e32 v172 /*v428*/, v70, v117 /*v373*/
	s_set_vgpr_msb 0x55                     ;  msbs: dst=1 src0=1 src1=1 src2=1
	v_add3_u32 v164 /*v420*/, v164 /*v420*/, v169 /*v425*/, v170 /*v426*/
	v_bfe_i32 v194 /*v450*/, v173 /*v429*/, 0, 8
	v_bfe_i32 v195 /*v451*/, v173 /*v429*/, 8, 8
	;; [unrolled: 1-line block ×3, first 2 shown]
	s_wait_dscnt 0x0
	v_dual_ashrrev_i32 v197 /*v453*/, 24, v173 /*v429*/ :: v_dual_ashrrev_i32 v201 /*v457*/, 24, v174 /*v430*/
	v_bfe_i32 v198 /*v454*/, v174 /*v430*/, 0, 8
	v_bfe_i32 v199 /*v455*/, v174 /*v430*/, 8, 8
	;; [unrolled: 1-line block ×3, first 2 shown]
	s_set_vgpr_msb 0x44                     ;  msbs: dst=1 src0=0 src1=1 src2=0
	v_mul_i32_i24_e32 v173 /*v429*/, v72, v118 /*v374*/
	v_mul_i32_i24_e32 v174 /*v430*/, v91, v119 /*v375*/
	s_set_vgpr_msb 0x55                     ;  msbs: dst=1 src0=1 src1=1 src2=1
	v_add3_u32 v164 /*v420*/, v164 /*v420*/, v171 /*v427*/, v172 /*v428*/
	v_bfe_i32 v202 /*v458*/, v175 /*v431*/, 0, 8
	v_bfe_i32 v203 /*v459*/, v175 /*v431*/, 8, 8
	;; [unrolled: 1-line block ×3, first 2 shown]
	v_dual_ashrrev_i32 v205 /*v461*/, 24, v175 /*v431*/ :: v_dual_ashrrev_i32 v209 /*v465*/, 24, v176 /*v432*/
	v_bfe_i32 v206 /*v462*/, v176 /*v432*/, 0, 8
	v_bfe_i32 v207 /*v463*/, v176 /*v432*/, 8, 8
	;; [unrolled: 1-line block ×3, first 2 shown]
	s_set_vgpr_msb 0x44                     ;  msbs: dst=1 src0=0 src1=1 src2=0
	v_mul_i32_i24_e32 v175 /*v431*/, v93, v120 /*v376*/
	v_mul_i32_i24_e32 v176 /*v432*/, v148, v121 /*v377*/
	s_set_vgpr_msb 0x55                     ;  msbs: dst=1 src0=1 src1=1 src2=1
	v_add3_u32 v164 /*v420*/, v164 /*v420*/, v173 /*v429*/, v174 /*v430*/
	v_bfe_i32 v210 /*v466*/, v177 /*v433*/, 0, 8
	v_bfe_i32 v211 /*v467*/, v177 /*v433*/, 8, 8
	;; [unrolled: 1-line block ×3, first 2 shown]
	v_ashrrev_i32_e32 v161 /*v417*/, 24, v177 /*v433*/
	s_set_vgpr_msb 0x44                     ;  msbs: dst=1 src0=0 src1=1 src2=0
	v_mul_i32_i24_e32 v177 /*v433*/, v149, v122 /*v378*/
	v_mul_i32_i24_e32 v178 /*v434*/, v150, v123 /*v379*/
	s_set_vgpr_msb 0x55                     ;  msbs: dst=1 src0=1 src1=1 src2=1
	v_add3_u32 v164 /*v420*/, v164 /*v420*/, v175 /*v431*/, v176 /*v432*/
	s_set_vgpr_msb 0x44                     ;  msbs: dst=1 src0=0 src1=1 src2=0
	v_mul_i32_i24_e32 v181 /*v437*/, v151, v124 /*v380*/
	v_mul_i32_i24_e32 v213 /*v469*/, v152, v125 /*v381*/
	s_set_vgpr_msb 0x41                     ;  msbs: dst=1 src0=1 src1=0 src2=0
	v_mul_i32_i24_e32 v214 /*v470*/, v127 /*v383*/, v153
	v_mul_i32_i24_e32 v215 /*v471*/, v126 /*v382*/, v154
	s_set_vgpr_msb 0x55                     ;  msbs: dst=1 src0=1 src1=1 src2=1
	v_add3_u32 v164 /*v420*/, v164 /*v420*/, v177 /*v433*/, v178 /*v434*/
	s_set_vgpr_msb 0x41                     ;  msbs: dst=1 src0=1 src1=0 src2=0
	v_mul_i32_i24_e32 v216 /*v472*/, v129 /*v385*/, v155
	v_mul_i32_i24_e32 v217 /*v473*/, v128 /*v384*/, v156
	v_mul_i32_i24_e32 v218 /*v474*/, v137 /*v393*/, v157
	v_mul_i32_i24_e32 v219 /*v475*/, v130 /*v386*/, v158
	s_set_vgpr_msb 0x55                     ;  msbs: dst=1 src0=1 src1=1 src2=1
	v_add3_u32 v164 /*v420*/, v164 /*v420*/, v181 /*v437*/, v213 /*v469*/
	s_set_vgpr_msb 0x41                     ;  msbs: dst=1 src0=1 src1=0 src2=0
	v_mul_i32_i24_e32 v220 /*v476*/, v141 /*v397*/, v159
	v_mul_i32_i24_e32 v221 /*v477*/, v138 /*v394*/, v160
	s_set_vgpr_msb 0x44                     ;  msbs: dst=1 src0=0 src1=1 src2=0
	v_mul_i32_i24_e32 v222 /*v478*/, v161, v144 /*v400*/
	v_mul_i32_i24_e32 v223 /*v479*/, v162, v145 /*v401*/
	s_set_vgpr_msb 0x55                     ;  msbs: dst=1 src0=1 src1=1 src2=1
	v_add3_u32 v164 /*v420*/, v164 /*v420*/, v214 /*v470*/, v215 /*v471*/
	v_mul_i32_i24_e32 v165 /*v421*/, v148 /*v404*/, v184 /*v440*/
	v_mul_i32_i24_e32 v166 /*v422*/, v139 /*v395*/, v185 /*v441*/
	;; [unrolled: 1-line block ×4, first 2 shown]
	v_add3_u32 v164 /*v420*/, v164 /*v420*/, v216 /*v472*/, v217 /*v473*/
	s_set_vgpr_msb 0x44                     ;  msbs: dst=1 src0=0 src1=1 src2=0
	v_mul_i32_i24_e32 v169 /*v425*/, v116, v190 /*v446*/
	s_set_vgpr_msb 0x55                     ;  msbs: dst=1 src0=1 src1=1 src2=1
	v_mul_i32_i24_e32 v170 /*v426*/, v152 /*v408*/, v191 /*v447*/
	v_mul_i32_i24_e32 v171 /*v427*/, v151 /*v407*/, v192 /*v448*/
	v_mul_i32_i24_e32 v172 /*v428*/, v132 /*v388*/, v193 /*v449*/
	v_add3_u32 v164 /*v420*/, v164 /*v420*/, v218 /*v474*/, v219 /*v475*/
	s_set_vgpr_msb 0x44                     ;  msbs: dst=1 src0=0 src1=1 src2=0
	v_mul_i32_i24_e32 v173 /*v429*/, v117, v194 /*v450*/
	s_set_vgpr_msb 0x55                     ;  msbs: dst=1 src0=1 src1=1 src2=1
	v_mul_i32_i24_e32 v174 /*v430*/, v154 /*v410*/, v195 /*v451*/
	v_mul_i32_i24_e32 v175 /*v431*/, v153 /*v409*/, v196 /*v452*/
	v_mul_i32_i24_e32 v176 /*v432*/, v133 /*v389*/, v197 /*v453*/
	v_add3_u32 v164 /*v420*/, v164 /*v420*/, v220 /*v476*/, v221 /*v477*/
	s_set_vgpr_msb 0x44                     ;  msbs: dst=1 src0=0 src1=1 src2=0
	v_mul_i32_i24_e32 v178 /*v434*/, v112, v198 /*v454*/
	s_set_vgpr_msb 0x55                     ;  msbs: dst=1 src0=1 src1=1 src2=1
	v_mul_i32_i24_e32 v213 /*v469*/, v156 /*v412*/, v199 /*v455*/
	v_mul_i32_i24_e32 v214 /*v470*/, v155 /*v411*/, v200 /*v456*/
	v_mul_i32_i24_e32 v215 /*v471*/, v134 /*v390*/, v201 /*v457*/
	v_add3_u32 v181 /*v437*/, v164 /*v420*/, v222 /*v478*/, v223 /*v479*/
	s_set_vgpr_msb 0x44                     ;  msbs: dst=1 src0=0 src1=1 src2=0
	v_mul_i32_i24_e32 v164 /*v420*/, v118, v163 /*v419*/
	v_mul_i32_i24_e32 v216 /*v472*/, v113, v202 /*v458*/
	s_set_vgpr_msb 0x45                     ;  msbs: dst=1 src0=1 src1=1 src2=0
	v_mul_i32_i24_e32 v217 /*v473*/, v158 /*v414*/, v203 /*v459*/
	v_mul_i32_i24_e32 v218 /*v474*/, v157 /*v413*/, v204 /*v460*/
	;; [unrolled: 1-line block ×3, first 2 shown]
	s_set_vgpr_msb 0x54                     ;  msbs: dst=1 src0=0 src1=1 src2=1
	v_mad_i32_i24 v164 /*v420*/, v115, v182 /*v438*/, v164 /*v420*/
	v_mul_i32_i24_e32 v220 /*v476*/, v114, v206 /*v462*/
	s_set_vgpr_msb 0x55                     ;  msbs: dst=1 src0=1 src1=1 src2=1
	v_mul_i32_i24_e32 v221 /*v477*/, v160 /*v416*/, v207 /*v463*/
	v_mul_i32_i24_e32 v222 /*v478*/, v159 /*v415*/, v208 /*v464*/
	v_mul_i32_i24_e32 v223 /*v479*/, v136 /*v392*/, v209 /*v465*/
	v_add3_u32 v164 /*v420*/, v164 /*v420*/, v165 /*v421*/, v166 /*v422*/
	s_set_vgpr_msb 0x44                     ;  msbs: dst=1 src0=0 src1=1 src2=0
	v_mul_i32_i24_e32 v165 /*v421*/, v119, v186 /*v442*/
	s_set_vgpr_msb 0x45                     ;  msbs: dst=1 src0=1 src1=1 src2=0
	v_mul_i32_i24_e32 v166 /*v422*/, v150 /*v406*/, v187 /*v443*/
	v_mul_i32_i24_e32 v224 /*v480*/, v210 /*v466*/, v140 /*v396*/
	v_mul_i32_i24_e32 v225 /*v481*/, v211 /*v467*/, v142 /*v398*/
	s_set_vgpr_msb 64                       ;  msbs: dst=1 src0=0 src1=0 src2=0
	v_mul_i32_i24_e32 v226 /*v482*/, v197, v160
	v_mul_i32_i24_e32 v227 /*v483*/, v161, v203
	s_set_vgpr_msb 0x55                     ;  msbs: dst=1 src0=1 src1=1 src2=1
	v_add3_u32 v164 /*v420*/, v164 /*v420*/, v165 /*v421*/, v166 /*v422*/
	s_set_vgpr_msb 64                       ;  msbs: dst=1 src0=0 src1=0 src2=0
	v_mul_i32_i24_e32 v165 /*v421*/, v59, v173
	v_mul_i32_i24_e32 v166 /*v422*/, v60, v174
	;; [unrolled: 1-line block ×3, first 2 shown]
	s_set_vgpr_msb 0x41                     ;  msbs: dst=1 src0=1 src1=0 src2=0
	v_mul_i32_i24_e32 v229 /*v485*/, v210 /*v466*/, v244
	s_set_vgpr_msb 0x55                     ;  msbs: dst=1 src0=1 src1=1 src2=1
	v_add3_u32 v164 /*v420*/, v164 /*v420*/, v167 /*v423*/, v168 /*v424*/
	s_set_vgpr_msb 64                       ;  msbs: dst=1 src0=0 src1=0 src2=0
	v_mul_i32_i24_e32 v167 /*v423*/, v64, v177
	v_mul_i32_i24_e32 v168 /*v424*/, v65, v178
	s_set_vgpr_msb 0x41                     ;  msbs: dst=1 src0=1 src1=0 src2=0
	v_mul_i32_i24_e32 v230 /*v486*/, v211 /*v467*/, v245
	v_mul_i32_i24_e32 v231 /*v487*/, v5 /*v261*/, v160
	s_set_vgpr_msb 0x55                     ;  msbs: dst=1 src0=1 src1=1 src2=1
	v_add3_u32 v164 /*v420*/, v164 /*v420*/, v169 /*v425*/, v170 /*v426*/
	s_set_vgpr_msb 64                       ;  msbs: dst=1 src0=0 src1=0 src2=0
	v_mul_i32_i24_e32 v169 /*v425*/, v66, v179
	v_mul_i32_i24_e32 v170 /*v426*/, v68, v180
	s_set_vgpr_msb 0x44                     ;  msbs: dst=1 src0=0 src1=1 src2=0
	v_mul_i32_i24_e32 v232 /*v488*/, v161, v11 /*v267*/
	v_mul_i32_i24_e32 v233 /*v489*/, v162, v13 /*v269*/
	s_set_vgpr_msb 0x55                     ;  msbs: dst=1 src0=1 src1=1 src2=1
	v_add3_u32 v164 /*v420*/, v164 /*v420*/, v171 /*v427*/, v172 /*v428*/
	s_set_vgpr_msb 64                       ;  msbs: dst=1 src0=0 src1=0 src2=0
	v_mul_i32_i24_e32 v171 /*v427*/, v69, v181
	v_mul_i32_i24_e32 v172 /*v428*/, v70, v182
	s_set_vgpr_msb 0x55                     ;  msbs: dst=1 src0=1 src1=1 src2=1
	v_mul_i32_i24_e32 v234 /*v490*/, v210 /*v466*/, v39 /*v295*/
	v_mul_i32_i24_e32 v235 /*v491*/, v211 /*v467*/, v40 /*v296*/
	v_add3_u32 v164 /*v420*/, v164 /*v420*/, v173 /*v429*/, v174 /*v430*/
	s_set_vgpr_msb 64                       ;  msbs: dst=1 src0=0 src1=0 src2=0
	v_mul_i32_i24_e32 v173 /*v429*/, v72, v183
	s_set_vgpr_msb 0x45                     ;  msbs: dst=1 src0=1 src1=1 src2=0
	v_mul_i32_i24_e32 v180 /*v436*/, v162 /*v418*/, v147 /*v403*/
	v_mul_i32_i24_e32 v177 /*v433*/, v212 /*v468*/, v143 /*v399*/
	s_set_vgpr_msb 0x44                     ;  msbs: dst=1 src0=0 src1=1 src2=0
	v_mul_i32_i24_e32 v179 /*v435*/, v163, v146 /*v402*/
	s_set_vgpr_msb 0x55                     ;  msbs: dst=1 src0=1 src1=1 src2=1
	v_add3_u32 v164 /*v420*/, v164 /*v420*/, v175 /*v431*/, v176 /*v432*/
	s_set_vgpr_msb 64                       ;  msbs: dst=1 src0=0 src1=0 src2=0
	v_mul_i32_i24_e32 v176 /*v432*/, v91, v184
	s_set_vgpr_msb 0x41                     ;  msbs: dst=1 src0=1 src1=0 src2=0
	v_mul_i32_i24_e32 v175 /*v431*/, v162 /*v418*/, v209
	s_set_vgpr_msb 64                       ;  msbs: dst=1 src0=0 src1=0 src2=0
	v_mul_i32_i24_e32 v174 /*v430*/, v163, v207
	s_set_vgpr_msb 0x55                     ;  msbs: dst=1 src0=1 src1=1 src2=1
	v_add3_u32 v164 /*v420*/, v164 /*v420*/, v178 /*v434*/, v213 /*v469*/
	s_set_vgpr_msb 64                       ;  msbs: dst=1 src0=0 src1=0 src2=0
	v_mul_i32_i24_e32 v213 /*v469*/, v93, v185
	s_set_vgpr_msb 0x55                     ;  msbs: dst=1 src0=1 src1=1 src2=1
	s_delay_alu instid0(VALU_DEP_2)
	v_add3_u32 v164 /*v420*/, v164 /*v420*/, v214 /*v470*/, v215 /*v471*/
	s_set_vgpr_msb 64                       ;  msbs: dst=1 src0=0 src1=0 src2=0
	v_mul_i32_i24_e32 v214 /*v470*/, v148, v186
	v_mul_i32_i24_e32 v215 /*v471*/, v149, v187
	s_set_vgpr_msb 0x55                     ;  msbs: dst=1 src0=1 src1=1 src2=1
	v_add3_u32 v164 /*v420*/, v164 /*v420*/, v216 /*v472*/, v217 /*v473*/
	s_set_vgpr_msb 64                       ;  msbs: dst=1 src0=0 src1=0 src2=0
	v_mul_i32_i24_e32 v216 /*v472*/, v150, v188
	v_mul_i32_i24_e32 v217 /*v473*/, v151, v189
	s_set_vgpr_msb 0x55                     ;  msbs: dst=1 src0=1 src1=1 src2=1
	;; [unrolled: 5-line block ×5, first 2 shown]
	v_add3_u32 v178 /*v434*/, v164 /*v420*/, v224 /*v480*/, v225 /*v481*/
	s_set_vgpr_msb 0x50                     ;  msbs: dst=1 src0=0 src1=0 src2=1
	v_mul_i32_i24_e32 v164 /*v420*/, v43, v126
	v_mul_i32_i24_e32 v224 /*v480*/, v195, v158
	;; [unrolled: 1-line block ×3, first 2 shown]
	s_delay_alu instid0(VALU_DEP_3) | instskip(SKIP_1) | instid1(VALU_DEP_1)
	v_mad_i32_i24 v164 /*v420*/, v58, v124, v164 /*v420*/
	s_set_vgpr_msb 0x55                     ;  msbs: dst=1 src0=1 src1=1 src2=1
	v_add3_u32 v164 /*v420*/, v164 /*v420*/, v165 /*v421*/, v166 /*v422*/
	s_set_vgpr_msb 64                       ;  msbs: dst=1 src0=0 src1=0 src2=0
	v_mul_i32_i24_e32 v165 /*v421*/, v61, v175
	v_mul_i32_i24_e32 v166 /*v422*/, v62, v176
	s_set_vgpr_msb 0x55                     ;  msbs: dst=1 src0=1 src1=1 src2=1
	s_delay_alu instid0(VALU_DEP_1)
	v_add3_u32 v164 /*v420*/, v164 /*v420*/, v165 /*v421*/, v166 /*v422*/
	s_set_vgpr_msb 0x41                     ;  msbs: dst=1 src0=1 src1=0 src2=0
	v_mul_i32_i24_e32 v165 /*v421*/, v184 /*v440*/, v198
	v_mul_i32_i24_e32 v166 /*v422*/, v185 /*v441*/, v204
	s_set_vgpr_msb 0x55                     ;  msbs: dst=1 src0=1 src1=1 src2=1
	v_add3_u32 v164 /*v420*/, v164 /*v420*/, v167 /*v423*/, v168 /*v424*/
	s_set_vgpr_msb 0x41                     ;  msbs: dst=1 src0=1 src1=0 src2=0
	v_mul_i32_i24_e32 v167 /*v423*/, v188 /*v444*/, v202
	v_mul_i32_i24_e32 v168 /*v424*/, v189 /*v445*/, v212
	s_set_vgpr_msb 0x55                     ;  msbs: dst=1 src0=1 src1=1 src2=1
	;; [unrolled: 5-line block ×4, first 2 shown]
	v_add3_u32 v164 /*v420*/, v164 /*v420*/, v173 /*v429*/, v176 /*v432*/
	s_set_vgpr_msb 0x41                     ;  msbs: dst=1 src0=1 src1=0 src2=0
	v_mul_i32_i24_e32 v173 /*v429*/, v193 /*v449*/, v216
	s_set_vgpr_msb 0x55                     ;  msbs: dst=1 src0=1 src1=1 src2=1
	s_delay_alu instid0(VALU_DEP_2)
	v_add3_u32 v164 /*v420*/, v164 /*v420*/, v213 /*v469*/, v214 /*v470*/
	s_set_vgpr_msb 0x41                     ;  msbs: dst=1 src0=1 src1=0 src2=0
	v_mul_i32_i24_e32 v213 /*v469*/, v194 /*v450*/, v218
	v_mul_i32_i24_e32 v214 /*v470*/, v195 /*v451*/, v220
	s_set_vgpr_msb 0x55                     ;  msbs: dst=1 src0=1 src1=1 src2=1
	v_add3_u32 v164 /*v420*/, v164 /*v420*/, v215 /*v471*/, v216 /*v472*/
	s_set_vgpr_msb 0x41                     ;  msbs: dst=1 src0=1 src1=0 src2=0
	v_mul_i32_i24_e32 v215 /*v471*/, v196 /*v452*/, v215
	v_mul_i32_i24_e32 v216 /*v472*/, v197 /*v453*/, v221
	s_set_vgpr_msb 0x55                     ;  msbs: dst=1 src0=1 src1=1 src2=1
	;; [unrolled: 5-line block ×3, first 2 shown]
	v_add3_u32 v164 /*v420*/, v164 /*v420*/, v219 /*v475*/, v220 /*v476*/
	s_set_vgpr_msb 0x44                     ;  msbs: dst=1 src0=0 src1=1 src2=0
	v_mul_i32_i24_e32 v219 /*v475*/, v229, v200 /*v456*/
	v_mul_i32_i24_e32 v220 /*v476*/, v226, v201 /*v457*/
	s_set_vgpr_msb 0x55                     ;  msbs: dst=1 src0=1 src1=1 src2=1
	v_add3_u32 v164 /*v420*/, v164 /*v420*/, v221 /*v477*/, v222 /*v478*/
	s_set_vgpr_msb 0x44                     ;  msbs: dst=1 src0=0 src1=1 src2=0
	v_mul_i32_i24_e32 v221 /*v477*/, v231, v202 /*v458*/
	v_mul_i32_i24_e32 v222 /*v478*/, v232, v203 /*v459*/
	s_set_vgpr_msb 0x55                     ;  msbs: dst=1 src0=1 src1=1 src2=1
	;; [unrolled: 5-line block ×4, first 2 shown]
	v_add3_u32 v176 /*v432*/, v164 /*v420*/, v227 /*v483*/, v228 /*v484*/
	s_set_vgpr_msb 0x41                     ;  msbs: dst=1 src0=1 src1=0 src2=0
	v_mul_i32_i24_e32 v164 /*v420*/, v163 /*v419*/, v201
	s_set_vgpr_msb 0x44                     ;  msbs: dst=1 src0=0 src1=1 src2=0
	v_mul_i32_i24_e32 v227 /*v483*/, v242, v208 /*v464*/
	v_mul_i32_i24_e32 v228 /*v484*/, v239, v209 /*v465*/
	s_set_vgpr_msb 0x51                     ;  msbs: dst=1 src0=1 src1=0 src2=1
	v_mad_i32_i24 v164 /*v420*/, v182 /*v438*/, v200, v164 /*v420*/
	s_set_vgpr_msb 0x55                     ;  msbs: dst=1 src0=1 src1=1 src2=1
	s_delay_alu instid0(VALU_DEP_1) | instskip(SKIP_4) | instid1(VALU_DEP_1)
	v_add3_u32 v164 /*v420*/, v164 /*v420*/, v165 /*v421*/, v166 /*v422*/
	s_set_vgpr_msb 0x41                     ;  msbs: dst=1 src0=1 src1=0 src2=0
	v_mul_i32_i24_e32 v165 /*v421*/, v186 /*v442*/, v208
	v_mul_i32_i24_e32 v166 /*v422*/, v187 /*v443*/, v210
	s_set_vgpr_msb 0x55                     ;  msbs: dst=1 src0=1 src1=1 src2=1
	v_add3_u32 v164 /*v420*/, v164 /*v420*/, v165 /*v421*/, v166 /*v422*/
	s_set_vgpr_msb 64                       ;  msbs: dst=1 src0=0 src1=0 src2=0
	v_mul_i32_i24_e32 v165 /*v421*/, v59, v222
	v_mul_i32_i24_e32 v166 /*v422*/, v60, v224
	s_set_vgpr_msb 4                        ;  msbs: dst=0 src0=0 src1=1 src2=0
	v_mul_i32_i24_e32 v59, v59, v47 /*v303*/
	v_mul_i32_i24_e32 v60, v60, v48 /*v304*/
	s_set_vgpr_msb 0x55                     ;  msbs: dst=1 src0=1 src1=1 src2=1
	v_add3_u32 v164 /*v420*/, v164 /*v420*/, v167 /*v423*/, v168 /*v424*/
	s_set_vgpr_msb 64                       ;  msbs: dst=1 src0=0 src1=0 src2=0
	v_mul_i32_i24_e32 v167 /*v423*/, v64, v230
	v_mul_i32_i24_e32 v168 /*v424*/, v65, v233
	s_set_vgpr_msb 0x55                     ;  msbs: dst=1 src0=1 src1=1 src2=1
	v_add3_u32 v164 /*v420*/, v164 /*v420*/, v169 /*v425*/, v170 /*v426*/
	v_mul_i32_i24_e32 v170 /*v426*/, v162 /*v418*/, v16 /*v272*/
	s_set_vgpr_msb 0x44                     ;  msbs: dst=1 src0=0 src1=1 src2=0
	v_mul_i32_i24_e32 v169 /*v425*/, v163, v14 /*v270*/
	s_set_vgpr_msb 0x55                     ;  msbs: dst=1 src0=1 src1=1 src2=1
	v_add3_u32 v164 /*v420*/, v164 /*v420*/, v171 /*v427*/, v173 /*v429*/
	s_set_vgpr_msb 64                       ;  msbs: dst=1 src0=0 src1=0 src2=0
	v_mul_i32_i24_e32 v171 /*v427*/, v66, v238
	s_set_vgpr_msb 0x55                     ;  msbs: dst=1 src0=1 src1=1 src2=1
	s_delay_alu instid0(VALU_DEP_2)
	v_add3_u32 v164 /*v420*/, v164 /*v420*/, v213 /*v469*/, v214 /*v470*/
	s_set_vgpr_msb 64                       ;  msbs: dst=1 src0=0 src1=0 src2=0
	v_mul_i32_i24_e32 v213 /*v469*/, v68, v240
	v_mul_i32_i24_e32 v214 /*v470*/, v69, v241
	s_set_vgpr_msb 0x55                     ;  msbs: dst=1 src0=1 src1=1 src2=1
	v_add3_u32 v164 /*v420*/, v164 /*v420*/, v215 /*v471*/, v216 /*v472*/
	s_set_vgpr_msb 64                       ;  msbs: dst=1 src0=0 src1=0 src2=0
	v_mul_i32_i24_e32 v215 /*v471*/, v70, v243
	v_mul_i32_i24_e32 v216 /*v472*/, v72, v247
	s_set_vgpr_msb 0x55                     ;  msbs: dst=1 src0=1 src1=1 src2=1
	;; [unrolled: 5-line block ×5, first 2 shown]
	v_add3_u32 v164 /*v420*/, v164 /*v420*/, v223 /*v479*/, v224 /*v480*/
	s_set_vgpr_msb 64                       ;  msbs: dst=1 src0=0 src1=0 src2=0
	v_mul_i32_i24_e32 v223 /*v479*/, v152, v254
	s_set_vgpr_msb 0x41                     ;  msbs: dst=1 src0=1 src1=0 src2=0
	v_mul_i32_i24_e32 v224 /*v480*/, v0 /*v256*/, v153
	s_set_vgpr_msb 0x55                     ;  msbs: dst=1 src0=1 src1=1 src2=1
	v_add3_u32 v164 /*v420*/, v164 /*v420*/, v225 /*v481*/, v226 /*v482*/
	s_set_vgpr_msb 64                       ;  msbs: dst=1 src0=0 src1=0 src2=0
	v_mul_i32_i24_e32 v225 /*v481*/, v255, v154
	s_set_vgpr_msb 0x41                     ;  msbs: dst=1 src0=1 src1=0 src2=0
	v_mul_i32_i24_e32 v226 /*v482*/, v2 /*v258*/, v155
	s_set_vgpr_msb 0x55                     ;  msbs: dst=1 src0=1 src1=1 src2=1
	v_add3_u32 v164 /*v420*/, v164 /*v420*/, v227 /*v483*/, v228 /*v484*/
	s_set_vgpr_msb 0x41                     ;  msbs: dst=1 src0=1 src1=0 src2=0
	v_mul_i32_i24_e32 v227 /*v483*/, v1 /*v257*/, v156
	v_mul_i32_i24_e32 v228 /*v484*/, v4 /*v260*/, v157
	s_set_vgpr_msb 0x55                     ;  msbs: dst=1 src0=1 src1=1 src2=1
	v_add3_u32 v173 /*v429*/, v164 /*v420*/, v229 /*v485*/, v230 /*v486*/
	s_set_vgpr_msb 64                       ;  msbs: dst=1 src0=0 src1=0 src2=0
	v_mul_i32_i24_e32 v164 /*v420*/, v43, v219
	s_set_vgpr_msb 4                        ;  msbs: dst=0 src0=0 src1=1 src2=0
	v_mul_i32_i24_e32 v43, v43, v46 /*v302*/
	s_set_vgpr_msb 0x41                     ;  msbs: dst=1 src0=1 src1=0 src2=0
	v_mul_i32_i24_e32 v229 /*v485*/, v3 /*v259*/, v158
	v_mul_i32_i24_e32 v230 /*v486*/, v7 /*v263*/, v159
	s_set_vgpr_msb 0x50                     ;  msbs: dst=1 src0=0 src1=0 src2=1
	v_mad_i32_i24 v164 /*v420*/, v58, v217, v164 /*v420*/
	s_set_vgpr_msb 4                        ;  msbs: dst=0 src0=0 src1=1 src2=0
	v_mad_i32_i24 v43, v58, v45 /*v301*/, v43
	v_mul_i32_i24_e32 v58, v61, v49 /*v305*/
	s_set_vgpr_msb 0x55                     ;  msbs: dst=1 src0=1 src1=1 src2=1
	v_add3_u32 v164 /*v420*/, v164 /*v420*/, v165 /*v421*/, v166 /*v422*/
	s_set_vgpr_msb 64                       ;  msbs: dst=1 src0=0 src1=0 src2=0
	v_mul_i32_i24_e32 v165 /*v421*/, v61, v227
	v_mul_i32_i24_e32 v166 /*v422*/, v62, v228
	s_set_vgpr_msb 0                        ;  msbs: dst=0 src0=0 src1=0 src2=0
	v_add3_u32 v43, v43, v59, v60
	s_set_vgpr_msb 4                        ;  msbs: dst=0 src0=0 src1=1 src2=0
	v_mul_i32_i24_e32 v59, v62, v50 /*v306*/
	v_mul_i32_i24_e32 v60, v64, v51 /*v307*/
	;; [unrolled: 1-line block ×3, first 2 shown]
	s_set_vgpr_msb 0x55                     ;  msbs: dst=1 src0=1 src1=1 src2=1
	v_add3_u32 v164 /*v420*/, v164 /*v420*/, v165 /*v421*/, v166 /*v422*/
	s_set_vgpr_msb 4                        ;  msbs: dst=0 src0=0 src1=1 src2=0
	v_mul_i32_i24_e32 v62, v66, v53 /*v309*/
	s_set_vgpr_msb 0                        ;  msbs: dst=0 src0=0 src1=0 src2=0
	v_add3_u32 v43, v43, v58, v59
	s_set_vgpr_msb 4                        ;  msbs: dst=0 src0=0 src1=1 src2=0
	v_mul_i32_i24_e32 v64, v68, v54 /*v310*/
	v_mul_i32_i24_e32 v65, v69, v55 /*v311*/
	s_set_vgpr_msb 0x55                     ;  msbs: dst=1 src0=1 src1=1 src2=1
	v_add3_u32 v164 /*v420*/, v164 /*v420*/, v167 /*v423*/, v168 /*v424*/
	s_set_vgpr_msb 4                        ;  msbs: dst=0 src0=0 src1=1 src2=0
	v_mul_i32_i24_e32 v66, v70, v56 /*v312*/
	s_set_vgpr_msb 0                        ;  msbs: dst=0 src0=0 src1=0 src2=0
	v_add3_u32 v43, v43, v60, v61
	s_set_vgpr_msb 4                        ;  msbs: dst=0 src0=0 src1=1 src2=0
	v_mul_i32_i24_e32 v68, v72, v57 /*v313*/
	v_mul_i32_i24_e32 v69, v91, v58 /*v314*/
	s_set_vgpr_msb 0x55                     ;  msbs: dst=1 src0=1 src1=1 src2=1
	v_add3_u32 v164 /*v420*/, v164 /*v420*/, v171 /*v427*/, v213 /*v469*/
	s_set_vgpr_msb 4                        ;  msbs: dst=0 src0=0 src1=1 src2=0
	v_mul_i32_i24_e32 v70, v93, v59 /*v315*/
	s_set_vgpr_msb 0                        ;  msbs: dst=0 src0=0 src1=0 src2=0
	v_add3_u32 v43, v43, v62, v64
	s_set_vgpr_msb 4                        ;  msbs: dst=0 src0=0 src1=1 src2=0
	v_mul_i32_i24_e32 v72, v148, v60 /*v316*/
	v_mul_i32_i24_e32 v91, v149, v61 /*v317*/
	s_set_vgpr_msb 0x55                     ;  msbs: dst=1 src0=1 src1=1 src2=1
	v_add3_u32 v164 /*v420*/, v164 /*v420*/, v214 /*v470*/, v215 /*v471*/
	s_set_vgpr_msb 4                        ;  msbs: dst=0 src0=0 src1=1 src2=0
	v_mul_i32_i24_e32 v93, v150, v62 /*v318*/
	s_set_vgpr_msb 0                        ;  msbs: dst=0 src0=0 src1=0 src2=0
	v_add3_u32 v43, v43, v65, v66
	s_set_vgpr_msb 4                        ;  msbs: dst=0 src0=0 src1=1 src2=0
	v_mul_i32_i24_e32 v148, v151, v63 /*v319*/
	v_mul_i32_i24_e32 v149, v152, v64 /*v320*/
	s_set_vgpr_msb 0x55                     ;  msbs: dst=1 src0=1 src1=1 src2=1
	v_add3_u32 v164 /*v420*/, v164 /*v420*/, v216 /*v472*/, v217 /*v473*/
	s_set_vgpr_msb 1                        ;  msbs: dst=0 src0=1 src1=0 src2=0
	v_mul_i32_i24_e32 v150, v66 /*v322*/, v153
	s_set_vgpr_msb 0                        ;  msbs: dst=0 src0=0 src1=0 src2=0
	v_add3_u32 v43, v43, v68, v69
	s_set_vgpr_msb 1                        ;  msbs: dst=0 src0=1 src1=0 src2=0
	v_mul_i32_i24_e32 v151, v65 /*v321*/, v154
	v_mul_i32_i24_e32 v152, v68 /*v324*/, v155
	s_set_vgpr_msb 0x55                     ;  msbs: dst=1 src0=1 src1=1 src2=1
	v_add3_u32 v164 /*v420*/, v164 /*v420*/, v218 /*v474*/, v219 /*v475*/
	s_set_vgpr_msb 1                        ;  msbs: dst=0 src0=1 src1=0 src2=0
	v_mul_i32_i24_e32 v153, v67 /*v323*/, v156
	s_set_vgpr_msb 0                        ;  msbs: dst=0 src0=0 src1=0 src2=0
	v_add3_u32 v43, v43, v70, v72
	s_set_vgpr_msb 1                        ;  msbs: dst=0 src0=1 src1=0 src2=0
	v_mul_i32_i24_e32 v154, v70 /*v326*/, v157
	v_mul_i32_i24_e32 v155, v69 /*v325*/, v158
	s_set_vgpr_msb 0x55                     ;  msbs: dst=1 src0=1 src1=1 src2=1
	v_add3_u32 v164 /*v420*/, v164 /*v420*/, v220 /*v476*/, v221 /*v477*/
	v_mul_i32_i24_e32 v165 /*v421*/, v184 /*v440*/, v6 /*v262*/
	s_set_vgpr_msb 0                        ;  msbs: dst=0 src0=0 src1=0 src2=0
	v_add3_u32 v43, v43, v91, v93
	s_set_vgpr_msb 0x45                     ;  msbs: dst=1 src0=1 src1=1 src2=0
	v_mul_i32_i24_e32 v166 /*v422*/, v185 /*v441*/, v12 /*v268*/
	s_set_vgpr_msb 1                        ;  msbs: dst=0 src0=1 src1=0 src2=0
	v_mul_i32_i24_e32 v156, v73 /*v329*/, v159
	s_set_vgpr_msb 0x55                     ;  msbs: dst=1 src0=1 src1=1 src2=1
	v_add3_u32 v164 /*v420*/, v164 /*v420*/, v222 /*v478*/, v223 /*v479*/
	s_set_vgpr_msb 1                        ;  msbs: dst=0 src0=1 src1=0 src2=0
	v_mul_i32_i24_e32 v157, v71 /*v327*/, v160
	s_set_vgpr_msb 0                        ;  msbs: dst=0 src0=0 src1=0 src2=0
	v_add3_u32 v43, v43, v148, v149
	s_set_vgpr_msb 4                        ;  msbs: dst=0 src0=0 src1=1 src2=0
	v_mul_i32_i24_e32 v158, v161, v77 /*v333*/
	v_mul_i32_i24_e32 v159, v162, v79 /*v335*/
	s_set_vgpr_msb 0x55                     ;  msbs: dst=1 src0=1 src1=1 src2=1
	v_add3_u32 v164 /*v420*/, v164 /*v420*/, v224 /*v480*/, v225 /*v481*/
	s_set_vgpr_msb 5                        ;  msbs: dst=0 src0=1 src1=1 src2=0
	v_mul_i32_i24_e32 v58, v184 /*v440*/, v72 /*v328*/
	s_set_vgpr_msb 0                        ;  msbs: dst=0 src0=0 src1=0 src2=0
	v_add3_u32 v43, v43, v150, v151
	s_set_vgpr_msb 5                        ;  msbs: dst=0 src0=1 src1=1 src2=0
	v_mul_i32_i24_e32 v59, v185 /*v441*/, v78 /*v334*/
	v_mul_i32_i24_e32 v60, v188 /*v444*/, v76 /*v332*/
	s_set_vgpr_msb 0x55                     ;  msbs: dst=1 src0=1 src1=1 src2=1
	v_add3_u32 v164 /*v420*/, v164 /*v420*/, v226 /*v482*/, v227 /*v483*/
	s_set_vgpr_msb 5                        ;  msbs: dst=0 src0=1 src1=1 src2=0
	v_mul_i32_i24_e32 v61, v189 /*v445*/, v85 /*v341*/
	s_set_vgpr_msb 0                        ;  msbs: dst=0 src0=0 src1=0 src2=0
	v_add3_u32 v43, v43, v152, v153
	s_set_vgpr_msb 5                        ;  msbs: dst=0 src0=1 src1=1 src2=0
	v_mul_i32_i24_e32 v62, v190 /*v446*/, v86 /*v342*/
	v_mul_i32_i24_e32 v64, v191 /*v447*/, v87 /*v343*/
	;; [unrolled: 9-line block ×4, first 2 shown]
	s_set_vgpr_msb 0x55                     ;  msbs: dst=1 src0=1 src1=1 src2=1
	v_add3_u32 v171 /*v427*/, v164 /*v420*/, v232 /*v488*/, v233 /*v489*/
	v_mul_i32_i24_e32 v164 /*v420*/, v163 /*v419*/, v9 /*v265*/
	s_set_vgpr_msb 5                        ;  msbs: dst=0 src0=1 src1=1 src2=0
	v_mul_i32_i24_e32 v91, v198 /*v454*/, v93 /*v349*/
	v_mul_i32_i24_e32 v93, v199 /*v455*/, v94 /*v350*/
	;; [unrolled: 1-line block ×4, first 2 shown]
	s_set_vgpr_msb 0x55                     ;  msbs: dst=1 src0=1 src1=1 src2=1
	v_mad_i32_i24 v164 /*v420*/, v182 /*v438*/, v8 /*v264*/, v164 /*v420*/
	s_set_vgpr_msb 5                        ;  msbs: dst=0 src0=1 src1=1 src2=0
	v_mul_i32_i24_e32 v150, v97 /*v353*/, v202 /*v458*/
	v_mul_i32_i24_e32 v151, v98 /*v354*/, v203 /*v459*/
	;; [unrolled: 1-line block ×4, first 2 shown]
	s_set_vgpr_msb 0x55                     ;  msbs: dst=1 src0=1 src1=1 src2=1
	v_add3_u32 v164 /*v420*/, v164 /*v420*/, v165 /*v421*/, v166 /*v422*/
	v_mul_i32_i24_e32 v165 /*v421*/, v186 /*v442*/, v15 /*v271*/
	v_mul_i32_i24_e32 v166 /*v422*/, v187 /*v443*/, v17 /*v273*/
	s_set_vgpr_msb 5                        ;  msbs: dst=0 src0=1 src1=1 src2=0
	v_mul_i32_i24_e32 v154, v101 /*v357*/, v206 /*v462*/
	v_mul_i32_i24_e32 v155, v102 /*v358*/, v207 /*v463*/
	;; [unrolled: 1-line block ×4, first 2 shown]
	s_set_vgpr_msb 0x55                     ;  msbs: dst=1 src0=1 src1=1 src2=1
	v_add3_u32 v164 /*v420*/, v164 /*v420*/, v165 /*v421*/, v166 /*v422*/
	s_set_vgpr_msb 64                       ;  msbs: dst=1 src0=0 src1=0 src2=0
	v_add3_u32 v166 /*v422*/, v43, v158, v159
	s_set_vgpr_msb 5                        ;  msbs: dst=0 src0=1 src1=1 src2=0
	v_mul_i32_i24_e32 v43, v163 /*v419*/, v75 /*v331*/
	v_mul_i32_i24_e32 v158, v210 /*v466*/, v105 /*v361*/
	v_mul_i32_i24_e32 v159, v211 /*v467*/, v106 /*v362*/
	s_set_vgpr_msb 0x45                     ;  msbs: dst=1 src0=1 src1=1 src2=0
	v_mul_i32_i24_e32 v168 /*v424*/, v188 /*v444*/, v10 /*v266*/
	v_mul_i32_i24_e32 v213 /*v469*/, v189 /*v445*/, v19 /*v275*/
	s_set_vgpr_msb 5                        ;  msbs: dst=0 src0=1 src1=1 src2=0
	v_mad_i32_i24 v43, v182 /*v438*/, v74 /*v330*/, v43
	s_set_vgpr_msb 0x45                     ;  msbs: dst=1 src0=1 src1=1 src2=0
	v_mul_i32_i24_e32 v214 /*v470*/, v190 /*v446*/, v20 /*v276*/
	v_mul_i32_i24_e32 v215 /*v471*/, v191 /*v447*/, v21 /*v277*/
	;; [unrolled: 1-line block ×4, first 2 shown]
	s_set_vgpr_msb 0                        ;  msbs: dst=0 src0=0 src1=0 src2=0
	v_add3_u32 v43, v43, v58, v59
	s_set_vgpr_msb 5                        ;  msbs: dst=0 src0=1 src1=1 src2=0
	v_mul_i32_i24_e32 v58, v186 /*v442*/, v81 /*v337*/
	v_mul_i32_i24_e32 v59, v187 /*v443*/, v83 /*v339*/
	s_set_vgpr_msb 0x55                     ;  msbs: dst=1 src0=1 src1=1 src2=1
	v_mul_i32_i24_e32 v220 /*v476*/, v196 /*v452*/, v22 /*v278*/
	v_mul_i32_i24_e32 v221 /*v477*/, v197 /*v453*/, v26 /*v282*/
	v_add3_u32 v164 /*v420*/, v164 /*v420*/, v168 /*v424*/, v213 /*v469*/
	v_mul_i32_i24_e32 v216 /*v472*/, v192 /*v448*/, v18 /*v274*/
	s_set_vgpr_msb 0                        ;  msbs: dst=0 src0=0 src1=0 src2=0
	v_add3_u32 v43, v43, v58, v59
	s_set_vgpr_msb 0x55                     ;  msbs: dst=1 src0=1 src1=1 src2=1
	v_mul_i32_i24_e32 v217 /*v473*/, v193 /*v449*/, v23 /*v279*/
	v_mul_i32_i24_e32 v222 /*v478*/, v198 /*v454*/, v27 /*v283*/
	v_add3_u32 v164 /*v420*/, v164 /*v420*/, v214 /*v470*/, v215 /*v471*/
	v_mul_i32_i24_e32 v223 /*v479*/, v199 /*v455*/, v28 /*v284*/
	s_set_vgpr_msb 0                        ;  msbs: dst=0 src0=0 src1=0 src2=0
	v_add3_u32 v43, v43, v60, v61
	;; [unrolled: 7-line block ×6, first 2 shown]
	s_set_vgpr_msb 0x55                     ;  msbs: dst=1 src0=1 src1=1 src2=1
	v_mul_i32_i24_e32 v162 /*v418*/, v212 /*v468*/, v107 /*v363*/
	v_add3_u32 v164 /*v420*/, v164 /*v420*/, v224 /*v480*/, v225 /*v481*/
	s_set_vgpr_msb 0                        ;  msbs: dst=0 src0=0 src1=0 src2=0
	v_add3_u32 v43, v43, v91, v93
	s_set_vgpr_msb 0x55                     ;  msbs: dst=1 src0=1 src1=1 src2=1
	s_delay_alu instid0(VALU_DEP_2) | instskip(SKIP_1) | instid1(VALU_DEP_2)
	v_add3_u32 v164 /*v420*/, v164 /*v420*/, v226 /*v482*/, v227 /*v483*/
	s_set_vgpr_msb 0                        ;  msbs: dst=0 src0=0 src1=0 src2=0
	v_add3_u32 v43, v43, v148, v149
	s_set_vgpr_msb 0x55                     ;  msbs: dst=1 src0=1 src1=1 src2=1
	s_delay_alu instid0(VALU_DEP_2) | instskip(SKIP_1) | instid1(VALU_DEP_2)
	;; [unrolled: 5-line block ×4, first 2 shown]
	v_add3_u32 v164 /*v420*/, v164 /*v420*/, v232 /*v488*/, v233 /*v489*/
	s_set_vgpr_msb 0                        ;  msbs: dst=0 src0=0 src1=0 src2=0
	v_add3_u32 v43, v43, v154, v155
	s_set_vgpr_msb 0x55                     ;  msbs: dst=1 src0=1 src1=1 src2=1
	s_delay_alu instid0(VALU_DEP_2)
	v_add3_u32 v168 /*v424*/, v164 /*v420*/, v234 /*v490*/, v235 /*v491*/
	s_set_vgpr_msb 0x44                     ;  msbs: dst=1 src0=0 src1=1 src2=0
	v_mul_i32_i24_e32 v164 /*v420*/, v163, v80 /*v336*/
	s_set_vgpr_msb 0                        ;  msbs: dst=0 src0=0 src1=0 src2=0
	v_add3_u32 v43, v43, v156, v157
	s_set_vgpr_msb 64                       ;  msbs: dst=1 src0=0 src1=0 src2=0
	s_delay_alu instid0(VALU_DEP_1) | instskip(SKIP_2) | instid1(VALU_DEP_1)
	v_add3_u32 v163 /*v419*/, v43, v158, v159
	s_set_vgpr_msb 0                        ;  msbs: dst=0 src0=0 src1=0 src2=0
	v_or_b32_e32 v43, s8, v143
	v_lshlrev_b32_e32 v58, 2, v43
	s_set_vgpr_msb 64                       ;  msbs: dst=1 src0=0 src1=0 src2=0
	ds_load_b128 v[184:187] /*v[440:443]*/, v58 offset:16896
	ds_load_b128 v[188:191] /*v[444:447]*/, v58 offset:16912
	;; [unrolled: 1-line block ×4, first 2 shown]
	s_set_vgpr_msb 0                        ;  msbs: dst=0 src0=0 src1=0 src2=0
	v_lshrrev_b32_e32 v43, 1, v43
	s_wait_dscnt 0x3
	s_set_vgpr_msb 0x41                     ;  msbs: dst=1 src0=1 src1=0 src2=0
	v_bfe_i32 v244 /*v500*/, v184 /*v440*/, 0, 8
	v_bfe_i32 v215 /*v471*/, v184 /*v440*/, 8, 8
	;; [unrolled: 1-line block ×3, first 2 shown]
	s_set_vgpr_msb 0x44                     ;  msbs: dst=1 src0=0 src1=1 src2=0
	v_ashrrev_i32_e32 v246 /*v502*/, 24, v184 /*v440*/
	s_set_vgpr_msb 0x41                     ;  msbs: dst=1 src0=1 src1=0 src2=0
	v_bfe_i32 v216 /*v472*/, v185 /*v441*/, 0, 8
	s_set_vgpr_msb 1                        ;  msbs: dst=0 src0=1 src1=0 src2=0
	v_mul_i32_i24_e32 v58, v244 /*v500*/, v121
	s_set_vgpr_msb 0x41                     ;  msbs: dst=1 src0=1 src1=0 src2=0
	v_bfe_i32 v217 /*v473*/, v185 /*v441*/, 8, 8
	s_set_vgpr_msb 5                        ;  msbs: dst=0 src0=1 src1=1 src2=0
	v_mul_i32_i24_e32 v59, v245 /*v501*/, v108 /*v364*/
	v_mul_i32_i24_e32 v60, v246 /*v502*/, v109 /*v365*/
	s_set_vgpr_msb 0x41                     ;  msbs: dst=1 src0=1 src1=0 src2=0
	v_bfe_i32 v218 /*v474*/, v185 /*v441*/, 16, 8
	s_set_vgpr_msb 1                        ;  msbs: dst=0 src0=1 src1=0 src2=0
	v_mad_i32_i24 v58, v215 /*v471*/, v120, v58
	s_set_vgpr_msb 0x44                     ;  msbs: dst=1 src0=0 src1=1 src2=0
	v_dual_ashrrev_i32 v219 /*v475*/, 24, v185 /*v441*/ :: v_dual_ashrrev_i32 v223 /*v479*/, 24, v186 /*v442*/
	s_set_vgpr_msb 0x41                     ;  msbs: dst=1 src0=1 src1=0 src2=0
	v_bfe_i32 v220 /*v476*/, v186 /*v442*/, 0, 8
	v_bfe_i32 v221 /*v477*/, v186 /*v442*/, 8, 8
	s_set_vgpr_msb 0                        ;  msbs: dst=0 src0=0 src1=0 src2=0
	v_add3_u32 v58, v58, v59, v60
	s_set_vgpr_msb 5                        ;  msbs: dst=0 src0=1 src1=1 src2=0
	v_mul_i32_i24_e32 v59, v216 /*v472*/, v110 /*v366*/
	v_mul_i32_i24_e32 v60, v217 /*v473*/, v111 /*v367*/
	;; [unrolled: 1-line block ×4, first 2 shown]
	s_set_vgpr_msb 0x41                     ;  msbs: dst=1 src0=1 src1=0 src2=0
	v_bfe_i32 v222 /*v478*/, v186 /*v442*/, 16, 8
	s_set_vgpr_msb 5                        ;  msbs: dst=0 src0=1 src1=1 src2=0
	v_mul_i32_i24_e32 v64, v220 /*v476*/, v114 /*v370*/
	s_set_vgpr_msb 0                        ;  msbs: dst=0 src0=0 src1=0 src2=0
	v_add3_u32 v58, v58, v59, v60
	s_set_vgpr_msb 5                        ;  msbs: dst=0 src0=1 src1=1 src2=0
	v_mul_i32_i24_e32 v65, v221 /*v477*/, v115 /*v371*/
	s_set_vgpr_msb 0x41                     ;  msbs: dst=1 src0=1 src1=0 src2=0
	v_bfe_i32 v224 /*v480*/, v187 /*v443*/, 0, 8
	v_bfe_i32 v225 /*v481*/, v187 /*v443*/, 8, 8
	s_set_vgpr_msb 5                        ;  msbs: dst=0 src0=1 src1=1 src2=0
	v_mul_i32_i24_e32 v66, v222 /*v478*/, v116 /*v372*/
	s_set_vgpr_msb 0                        ;  msbs: dst=0 src0=0 src1=0 src2=0
	v_add3_u32 v58, v58, v61, v62
	s_set_vgpr_msb 5                        ;  msbs: dst=0 src0=1 src1=1 src2=0
	v_mul_i32_i24_e32 v68, v223 /*v479*/, v117 /*v373*/
	s_set_vgpr_msb 0x41                     ;  msbs: dst=1 src0=1 src1=0 src2=0
	v_bfe_i32 v226 /*v482*/, v187 /*v443*/, 16, 8
	s_wait_dscnt 0x2
	s_set_vgpr_msb 0x44                     ;  msbs: dst=1 src0=0 src1=1 src2=0
	v_dual_ashrrev_i32 v227 /*v483*/, 24, v187 /*v443*/ :: v_dual_ashrrev_i32 v231 /*v487*/, 24, v188 /*v444*/
	s_set_vgpr_msb 0                        ;  msbs: dst=0 src0=0 src1=0 src2=0
	v_add3_u32 v58, v58, v64, v65
	s_set_vgpr_msb 5                        ;  msbs: dst=0 src0=1 src1=1 src2=0
	v_mul_i32_i24_e32 v69, v224 /*v480*/, v118 /*v374*/
	v_mul_i32_i24_e32 v70, v225 /*v481*/, v119 /*v375*/
	s_set_vgpr_msb 0x41                     ;  msbs: dst=1 src0=1 src1=0 src2=0
	v_bfe_i32 v228 /*v484*/, v188 /*v444*/, 0, 8
	v_bfe_i32 v229 /*v485*/, v188 /*v444*/, 8, 8
	s_set_vgpr_msb 0                        ;  msbs: dst=0 src0=0 src1=0 src2=0
	v_add3_u32 v58, v58, v66, v68
	s_set_vgpr_msb 5                        ;  msbs: dst=0 src0=1 src1=1 src2=0
	v_mul_i32_i24_e32 v72, v226 /*v482*/, v120 /*v376*/
	v_mul_i32_i24_e32 v91, v227 /*v483*/, v121 /*v377*/
	s_set_vgpr_msb 0x41                     ;  msbs: dst=1 src0=1 src1=0 src2=0
	v_bfe_i32 v230 /*v486*/, v188 /*v444*/, 16, 8
	s_set_vgpr_msb 5                        ;  msbs: dst=0 src0=1 src1=1 src2=0
	v_mul_i32_i24_e32 v93, v228 /*v484*/, v122 /*v378*/
	s_set_vgpr_msb 0                        ;  msbs: dst=0 src0=0 src1=0 src2=0
	v_add3_u32 v58, v58, v69, v70
	s_set_vgpr_msb 5                        ;  msbs: dst=0 src0=1 src1=1 src2=0
	v_mul_i32_i24_e32 v120, v229 /*v485*/, v123 /*v379*/
	s_set_vgpr_msb 0x41                     ;  msbs: dst=1 src0=1 src1=0 src2=0
	v_bfe_i32 v232 /*v488*/, v189 /*v445*/, 0, 8
	v_bfe_i32 v233 /*v489*/, v189 /*v445*/, 8, 8
	s_set_vgpr_msb 5                        ;  msbs: dst=0 src0=1 src1=1 src2=0
	v_mul_i32_i24_e32 v121, v230 /*v486*/, v124 /*v380*/
	s_set_vgpr_msb 0                        ;  msbs: dst=0 src0=0 src1=0 src2=0
	v_add3_u32 v58, v58, v72, v91
	s_set_vgpr_msb 5                        ;  msbs: dst=0 src0=1 src1=1 src2=0
	v_mul_i32_i24_e32 v148, v231 /*v487*/, v125 /*v381*/
	s_set_vgpr_msb 0x41                     ;  msbs: dst=1 src0=1 src1=0 src2=0
	v_bfe_i32 v234 /*v490*/, v189 /*v445*/, 16, 8
	s_set_vgpr_msb 0x44                     ;  msbs: dst=1 src0=0 src1=1 src2=0
	v_dual_ashrrev_i32 v235 /*v491*/, 24, v189 /*v445*/ :: v_dual_ashrrev_i32 v239 /*v495*/, 24, v190 /*v446*/
	s_set_vgpr_msb 0                        ;  msbs: dst=0 src0=0 src1=0 src2=0
	v_add3_u32 v58, v58, v93, v120
	s_set_vgpr_msb 5                        ;  msbs: dst=0 src0=1 src1=1 src2=0
	v_mul_i32_i24_e32 v149, v127 /*v383*/, v232 /*v488*/
	v_mul_i32_i24_e32 v150, v126 /*v382*/, v233 /*v489*/
	s_set_vgpr_msb 0x41                     ;  msbs: dst=1 src0=1 src1=0 src2=0
	v_bfe_i32 v236 /*v492*/, v190 /*v446*/, 0, 8
	v_bfe_i32 v237 /*v493*/, v190 /*v446*/, 8, 8
	s_set_vgpr_msb 0                        ;  msbs: dst=0 src0=0 src1=0 src2=0
	v_add3_u32 v58, v58, v121, v148
	s_set_vgpr_msb 5                        ;  msbs: dst=0 src0=1 src1=1 src2=0
	v_mul_i32_i24_e32 v151, v129 /*v385*/, v234 /*v490*/
	v_mul_i32_i24_e32 v152, v128 /*v384*/, v235 /*v491*/
	s_set_vgpr_msb 0x41                     ;  msbs: dst=1 src0=1 src1=0 src2=0
	v_bfe_i32 v238 /*v494*/, v190 /*v446*/, 16, 8
	s_set_vgpr_msb 5                        ;  msbs: dst=0 src0=1 src1=1 src2=0
	v_mul_i32_i24_e32 v153, v137 /*v393*/, v236 /*v492*/
	s_set_vgpr_msb 0                        ;  msbs: dst=0 src0=0 src1=0 src2=0
	v_add3_u32 v58, v58, v149, v150
	s_set_vgpr_msb 5                        ;  msbs: dst=0 src0=1 src1=1 src2=0
	v_mul_i32_i24_e32 v154, v130 /*v386*/, v237 /*v493*/
	s_set_vgpr_msb 0x41                     ;  msbs: dst=1 src0=1 src1=0 src2=0
	v_bfe_i32 v240 /*v496*/, v191 /*v447*/, 0, 8
	v_bfe_i32 v241 /*v497*/, v191 /*v447*/, 8, 8
	s_set_vgpr_msb 5                        ;  msbs: dst=0 src0=1 src1=1 src2=0
	v_mul_i32_i24_e32 v155, v141 /*v397*/, v238 /*v494*/
	s_set_vgpr_msb 0                        ;  msbs: dst=0 src0=0 src1=0 src2=0
	v_add3_u32 v58, v58, v151, v152
	s_set_vgpr_msb 5                        ;  msbs: dst=0 src0=1 src1=1 src2=0
	v_mul_i32_i24_e32 v156, v138 /*v394*/, v239 /*v495*/
	s_wait_dscnt 0x1
	s_set_vgpr_msb 0x41                     ;  msbs: dst=1 src0=1 src1=0 src2=0
	v_bfe_i32 v212 /*v468*/, v194 /*v450*/, 0, 8
	s_set_vgpr_msb 5                        ;  msbs: dst=0 src0=1 src1=1 src2=0
	v_mul_i32_i24_e32 v157, v240 /*v496*/, v144 /*v400*/
	v_mul_i32_i24_e32 v158, v241 /*v497*/, v145 /*v401*/
	s_set_vgpr_msb 0                        ;  msbs: dst=0 src0=0 src1=0 src2=0
	v_add3_u32 v58, v58, v153, v154
	s_set_vgpr_msb 0x44                     ;  msbs: dst=1 src0=0 src1=1 src2=0
	v_dual_ashrrev_i32 v243 /*v499*/, 24, v191 /*v447*/ :: v_dual_ashrrev_i32 v214 /*v470*/, 24, v194 /*v450*/
	s_set_vgpr_msb 0x41                     ;  msbs: dst=1 src0=1 src1=0 src2=0
	v_bfe_i32 v184 /*v440*/, v194 /*v450*/, 8, 8
	v_bfe_i32 v213 /*v469*/, v194 /*v450*/, 16, 8
	s_set_vgpr_msb 0                        ;  msbs: dst=0 src0=0 src1=0 src2=0
	v_add3_u32 v58, v58, v155, v156
	s_set_vgpr_msb 0x41                     ;  msbs: dst=1 src0=1 src1=0 src2=0
	v_bfe_i32 v185 /*v441*/, v195 /*v451*/, 0, 8
	v_bfe_i32 v186 /*v442*/, v195 /*v451*/, 8, 8
	s_set_vgpr_msb 5                        ;  msbs: dst=0 src0=1 src1=1 src2=0
	v_mul_i32_i24_e32 v60, v139 /*v395*/, v214 /*v470*/
	v_mul_i32_i24_e32 v59, v148 /*v404*/, v213 /*v469*/
	s_set_vgpr_msb 64                       ;  msbs: dst=1 src0=0 src1=0 src2=0
	v_add3_u32 v111 /*v367*/, v58, v157, v158
	s_set_vgpr_msb 4                        ;  msbs: dst=0 src0=0 src1=1 src2=0
	v_mul_i32_i24_e32 v58, v118, v212 /*v468*/
	s_set_vgpr_msb 0x41                     ;  msbs: dst=1 src0=1 src1=0 src2=0
	v_bfe_i32 v187 /*v443*/, v195 /*v451*/, 16, 8
	s_set_vgpr_msb 0x44                     ;  msbs: dst=1 src0=0 src1=1 src2=0
	v_dual_ashrrev_i32 v188 /*v444*/, 24, v195 /*v451*/ :: v_dual_ashrrev_i32 v192 /*v448*/, 24, v196 /*v452*/
	s_set_vgpr_msb 5                        ;  msbs: dst=0 src0=1 src1=1 src2=0
	v_mul_i32_i24_e32 v61, v150 /*v406*/, v186 /*v442*/
	s_set_vgpr_msb 4                        ;  msbs: dst=0 src0=0 src1=1 src2=0
	v_mad_i32_i24 v58, v115, v184 /*v440*/, v58
	s_set_vgpr_msb 0x41                     ;  msbs: dst=1 src0=1 src1=0 src2=0
	v_bfe_i32 v189 /*v445*/, v196 /*v452*/, 0, 8
	v_bfe_i32 v190 /*v446*/, v196 /*v452*/, 8, 8
	s_set_vgpr_msb 5                        ;  msbs: dst=0 src0=1 src1=1 src2=0
	v_mul_i32_i24_e32 v62, v149 /*v405*/, v187 /*v443*/
	v_mul_i32_i24_e32 v64, v131 /*v387*/, v188 /*v444*/
	s_set_vgpr_msb 0                        ;  msbs: dst=0 src0=0 src1=0 src2=0
	v_add3_u32 v58, v58, v59, v60
	s_set_vgpr_msb 4                        ;  msbs: dst=0 src0=0 src1=1 src2=0
	v_mul_i32_i24_e32 v60, v119, v185 /*v441*/
	s_set_vgpr_msb 0x41                     ;  msbs: dst=1 src0=1 src1=0 src2=0
	v_bfe_i32 v242 /*v498*/, v191 /*v447*/, 16, 8
	v_bfe_i32 v191 /*v447*/, v196 /*v452*/, 16, 8
	s_set_vgpr_msb 4                        ;  msbs: dst=0 src0=0 src1=1 src2=0
	v_mul_i32_i24_e32 v65, v116, v189 /*v445*/
	s_set_vgpr_msb 5                        ;  msbs: dst=0 src0=1 src1=1 src2=0
	v_mul_i32_i24_e32 v66, v152 /*v408*/, v190 /*v446*/
	s_set_vgpr_msb 0                        ;  msbs: dst=0 src0=0 src1=0 src2=0
	v_add3_u32 v58, v58, v60, v61
	s_set_vgpr_msb 0x41                     ;  msbs: dst=1 src0=1 src1=0 src2=0
	v_bfe_i32 v193 /*v449*/, v197 /*v453*/, 0, 8
	v_bfe_i32 v194 /*v450*/, v197 /*v453*/, 8, 8
	s_set_vgpr_msb 5                        ;  msbs: dst=0 src0=1 src1=1 src2=0
	v_mul_i32_i24_e32 v68, v151 /*v407*/, v191 /*v447*/
	v_mul_i32_i24_e32 v69, v132 /*v388*/, v192 /*v448*/
	s_set_vgpr_msb 0                        ;  msbs: dst=0 src0=0 src1=0 src2=0
	v_add3_u32 v58, v58, v62, v64
	s_set_vgpr_msb 0x41                     ;  msbs: dst=1 src0=1 src1=0 src2=0
	v_bfe_i32 v195 /*v451*/, v197 /*v453*/, 16, 8
	s_wait_dscnt 0x0
	s_set_vgpr_msb 0x44                     ;  msbs: dst=1 src0=0 src1=1 src2=0
	v_dual_ashrrev_i32 v196 /*v452*/, 24, v197 /*v453*/ :: v_dual_ashrrev_i32 v200 /*v456*/, 24, v248 /*v504*/
	s_set_vgpr_msb 4                        ;  msbs: dst=0 src0=0 src1=1 src2=0
	v_mul_i32_i24_e32 v70, v117, v193 /*v449*/
	s_set_vgpr_msb 0                        ;  msbs: dst=0 src0=0 src1=0 src2=0
	v_add3_u32 v58, v58, v65, v66
	s_set_vgpr_msb 5                        ;  msbs: dst=0 src0=1 src1=1 src2=0
	v_mul_i32_i24_e32 v72, v154 /*v410*/, v194 /*v450*/
	s_set_vgpr_msb 0x41                     ;  msbs: dst=1 src0=1 src1=0 src2=0
	v_bfe_i32 v197 /*v453*/, v248 /*v504*/, 0, 8
	v_bfe_i32 v198 /*v454*/, v248 /*v504*/, 8, 8
	s_set_vgpr_msb 5                        ;  msbs: dst=0 src0=1 src1=1 src2=0
	v_mul_i32_i24_e32 v91, v153 /*v409*/, v195 /*v451*/
	s_set_vgpr_msb 0                        ;  msbs: dst=0 src0=0 src1=0 src2=0
	v_add3_u32 v58, v58, v68, v69
	s_set_vgpr_msb 5                        ;  msbs: dst=0 src0=1 src1=1 src2=0
	v_mul_i32_i24_e32 v93, v133 /*v389*/, v196 /*v452*/
	s_set_vgpr_msb 0x41                     ;  msbs: dst=1 src0=1 src1=0 src2=0
	v_bfe_i32 v199 /*v455*/, v248 /*v504*/, 16, 8
	s_set_vgpr_msb 4                        ;  msbs: dst=0 src0=0 src1=1 src2=0
	v_mul_i32_i24_e32 v112, v112, v197 /*v453*/
	s_set_vgpr_msb 5                        ;  msbs: dst=0 src0=1 src1=1 src2=0
	v_mul_i32_i24_e32 v115, v156 /*v412*/, v198 /*v454*/
	s_set_vgpr_msb 0                        ;  msbs: dst=0 src0=0 src1=0 src2=0
	v_add3_u32 v58, v58, v70, v72
	s_set_vgpr_msb 0x41                     ;  msbs: dst=1 src0=1 src1=0 src2=0
	v_bfe_i32 v201 /*v457*/, v249 /*v505*/, 0, 8
	v_bfe_i32 v202 /*v458*/, v249 /*v505*/, 8, 8
	s_set_vgpr_msb 5                        ;  msbs: dst=0 src0=1 src1=1 src2=0
	v_mul_i32_i24_e32 v116, v155 /*v411*/, v199 /*v455*/
	v_mul_i32_i24_e32 v117, v134 /*v390*/, v200 /*v456*/
	s_set_vgpr_msb 0                        ;  msbs: dst=0 src0=0 src1=0 src2=0
	v_add3_u32 v58, v58, v91, v93
	s_set_vgpr_msb 0x41                     ;  msbs: dst=1 src0=1 src1=0 src2=0
	v_bfe_i32 v203 /*v459*/, v249 /*v505*/, 16, 8
	s_set_vgpr_msb 0x44                     ;  msbs: dst=1 src0=0 src1=1 src2=0
	v_dual_ashrrev_i32 v204 /*v460*/, 24, v249 /*v505*/ :: v_dual_ashrrev_i32 v208 /*v464*/, 24, v250 /*v506*/
	s_set_vgpr_msb 4                        ;  msbs: dst=0 src0=0 src1=1 src2=0
	v_mul_i32_i24_e32 v113, v113, v201 /*v457*/
	s_set_vgpr_msb 0                        ;  msbs: dst=0 src0=0 src1=0 src2=0
	v_add3_u32 v58, v58, v112, v115
	s_set_vgpr_msb 5                        ;  msbs: dst=0 src0=1 src1=1 src2=0
	v_mul_i32_i24_e32 v118, v158 /*v414*/, v202 /*v458*/
	s_set_vgpr_msb 0x41                     ;  msbs: dst=1 src0=1 src1=0 src2=0
	v_bfe_i32 v205 /*v461*/, v250 /*v506*/, 0, 8
	v_bfe_i32 v206 /*v462*/, v250 /*v506*/, 8, 8
	s_set_vgpr_msb 5                        ;  msbs: dst=0 src0=1 src1=1 src2=0
	v_mul_i32_i24_e32 v119, v157 /*v413*/, v203 /*v459*/
	s_set_vgpr_msb 0                        ;  msbs: dst=0 src0=0 src1=0 src2=0
	v_add3_u32 v58, v58, v116, v117
	s_set_vgpr_msb 5                        ;  msbs: dst=0 src0=1 src1=1 src2=0
	v_mul_i32_i24_e32 v120, v135 /*v391*/, v204 /*v460*/
	s_set_vgpr_msb 4                        ;  msbs: dst=0 src0=0 src1=1 src2=0
	v_mul_i32_i24_e32 v114, v114, v205 /*v461*/
	s_set_vgpr_msb 5                        ;  msbs: dst=0 src0=1 src1=1 src2=0
	v_mul_i32_i24_e32 v121, v160 /*v416*/, v206 /*v462*/
	s_set_vgpr_msb 0x41                     ;  msbs: dst=1 src0=1 src1=0 src2=0
	v_bfe_i32 v207 /*v463*/, v250 /*v506*/, 16, 8
	s_set_vgpr_msb 0                        ;  msbs: dst=0 src0=0 src1=0 src2=0
	v_add3_u32 v58, v58, v113, v118
	s_set_vgpr_msb 0x41                     ;  msbs: dst=1 src0=1 src1=0 src2=0
	v_bfe_i32 v209 /*v465*/, v251 /*v507*/, 0, 8
	v_bfe_i32 v210 /*v466*/, v251 /*v507*/, 8, 8
	s_set_vgpr_msb 5                        ;  msbs: dst=0 src0=1 src1=1 src2=0
	v_mul_i32_i24_e32 v149, v136 /*v392*/, v208 /*v464*/
	v_mul_i32_i24_e32 v148, v159 /*v415*/, v207 /*v463*/
	s_set_vgpr_msb 0                        ;  msbs: dst=0 src0=0 src1=0 src2=0
	v_add3_u32 v58, v58, v119, v120
	s_set_vgpr_msb 5                        ;  msbs: dst=0 src0=1 src1=1 src2=0
	ds_load_b64 v[118:119], v183 /*v439*/ offset:27200
	v_mul_i32_i24_e32 v150, v209 /*v465*/, v140 /*v396*/
	v_mul_i32_i24_e32 v151, v210 /*v466*/, v142 /*v398*/
	s_set_vgpr_msb 0x45                     ;  msbs: dst=1 src0=1 src1=1 src2=0
	v_mul_i32_i24_e32 v109 /*v365*/, v242 /*v498*/, v146 /*v402*/
	s_set_vgpr_msb 0                        ;  msbs: dst=0 src0=0 src1=0 src2=0
	v_add3_u32 v58, v58, v114, v121
	ds_load_b64 v[120:121], v43 offset:27200
	s_set_vgpr_msb 0x45                     ;  msbs: dst=1 src0=1 src1=1 src2=0
	v_mul_i32_i24_e32 v110 /*v366*/, v243 /*v499*/, v147 /*v403*/
	v_bfe_i32 v211 /*v467*/, v251 /*v507*/, 16, 8
	v_ashrrev_i32_e32 v182 /*v438*/, 24, v251 /*v507*/
	s_set_vgpr_msb 0                        ;  msbs: dst=0 src0=0 src1=0 src2=0
	v_add3_u32 v58, v58, v148, v149
	s_set_vgpr_msb 1                        ;  msbs: dst=0 src0=1 src1=0 src2=0
	v_mul_i32_i24_e32 v60, v218 /*v474*/, v177
	v_mul_i32_i24_e32 v61, v219 /*v475*/, v178
	s_set_vgpr_msb 5                        ;  msbs: dst=0 src0=1 src1=1 src2=0
	v_mul_i32_i24_e32 v59, v211 /*v467*/, v143 /*v399*/
	s_set_vgpr_msb 1                        ;  msbs: dst=0 src0=1 src1=0 src2=0
	v_mul_i32_i24_e32 v62, v220 /*v476*/, v179
	s_set_vgpr_msb 64                       ;  msbs: dst=1 src0=0 src1=0 src2=0
	v_add3_u32 v108 /*v364*/, v58, v150, v151
	s_set_vgpr_msb 1                        ;  msbs: dst=0 src0=1 src1=0 src2=0
	v_mul_i32_i24_e32 v64, v221 /*v477*/, v180
	v_mul_i32_i24_e32 v65, v222 /*v478*/, v181
	;; [unrolled: 1-line block ×5, first 2 shown]
	s_wait_dscnt 0x1
	v_lshrrev_b32_e32 v58, 16, v118
	s_set_vgpr_msb 0                        ;  msbs: dst=0 src0=0 src1=0 src2=0
	v_cvt_f32_f16_e32 v116, v118
	v_cvt_f32_f16_e32 v112, v119
	s_set_vgpr_msb 1                        ;  msbs: dst=0 src0=1 src1=0 src2=0
	v_mul_i32_i24_e32 v70, v226 /*v482*/, v185
	v_mul_i32_i24_e32 v72, v227 /*v483*/, v186
	s_wait_dscnt 0x0
	v_lshrrev_b32_e32 v43, 16, v120
	s_set_vgpr_msb 0                        ;  msbs: dst=0 src0=0 src1=0 src2=0
	v_cvt_f32_f16_e32 v114, v58
	v_lshrrev_b32_e32 v58, 16, v121
	v_cvt_f32_f16_e32 v113, v121
	v_cvt_f32_f16_e32 v117, v120
	;; [unrolled: 1-line block ×3, first 2 shown]
	v_lshrrev_b32_e32 v43, 16, v119
	v_cvt_f32_f16_e32 v119, v58
	s_set_vgpr_msb 21                       ;  msbs: dst=0 src0=1 src1=1 src2=1
	v_add3_u32 v58, v181 /*v437*/, v179 /*v435*/, v180 /*v436*/
	s_set_vgpr_msb 1                        ;  msbs: dst=0 src0=1 src1=0 src2=0
	v_mul_i32_i24_e32 v91, v228 /*v484*/, v187
	v_mul_i32_i24_e32 v93, v229 /*v485*/, v188
	s_set_vgpr_msb 0                        ;  msbs: dst=0 src0=0 src1=0 src2=0
	v_cvt_f32_f16_e32 v118, v43
	s_set_vgpr_msb 21                       ;  msbs: dst=0 src0=1 src1=1 src2=1
	v_add3_u32 v43, v111 /*v367*/, v109 /*v365*/, v110 /*v366*/
	s_set_vgpr_msb 0                        ;  msbs: dst=0 src0=0 src1=0 src2=0
	v_mul_lo_u32 v58, v58, v103
	s_set_vgpr_msb 64                       ;  msbs: dst=1 src0=0 src1=0 src2=0
	v_pk_fma_f32 v[110:111] /*v[366:367]*/, v[96:97], v[114:115], 0 op_sel_hi:[0,1,0]
	s_set_vgpr_msb 1                        ;  msbs: dst=0 src0=1 src1=0 src2=0
	v_mul_i32_i24_e32 v96, v230 /*v486*/, v189
	s_set_vgpr_msb 4                        ;  msbs: dst=0 src0=0 src1=1 src2=0
	v_mul_i32_i24_e32 v148, v197, v239 /*v495*/
	s_set_vgpr_msb 0                        ;  msbs: dst=0 src0=0 src1=0 src2=0
	v_mul_lo_u32 v43, v43, v103
	s_set_vgpr_msb 4                        ;  msbs: dst=0 src0=0 src1=1 src2=0
	v_mul_i32_i24_e32 v103, v194, v234 /*v490*/
	s_set_vgpr_msb 1                        ;  msbs: dst=0 src0=1 src1=0 src2=0
	v_mul_i32_i24_e32 v149, v240 /*v496*/, v203
	v_mul_i32_i24_e32 v150, v241 /*v497*/, v206
	;; [unrolled: 1-line block ×5, first 2 shown]
	s_set_vgpr_msb 0                        ;  msbs: dst=0 src0=0 src1=0 src2=0
	v_cvt_f32_i32_e32 v120, v58
	s_set_vgpr_msb 1                        ;  msbs: dst=0 src0=1 src1=0 src2=0
	v_mul_i32_i24_e32 v58, v182 /*v438*/, v101
	v_mul_i32_i24_e32 v154, v211 /*v467*/, v246
	s_set_vgpr_msb 0                        ;  msbs: dst=0 src0=0 src1=0 src2=0
	v_cvt_f32_i32_e32 v121, v43
	s_set_vgpr_msb 1                        ;  msbs: dst=0 src0=1 src1=0 src2=0
	v_mul_i32_i24_e32 v43, v161 /*v417*/, v101
	v_add3_u32 v58, v108 /*v364*/, v59, v58
	v_mul_i32_i24_e32 v59, v246 /*v502*/, v174
	s_set_vgpr_msb 4                        ;  msbs: dst=0 src0=0 src1=1 src2=0
	v_mul_i32_i24_e32 v101, v191, v233 /*v489*/
	s_set_vgpr_msb 0                        ;  msbs: dst=0 src0=0 src1=0 src2=0
	v_pk_fma_f32 v[120:121], v[116:117], v[120:121], 0 op_sel_hi:[1,1,0]
	s_set_vgpr_msb 5                        ;  msbs: dst=0 src0=1 src1=1 src2=0
	v_add3_u32 v43, v178 /*v434*/, v177 /*v433*/, v43
	s_set_vgpr_msb 16                       ;  msbs: dst=0 src0=0 src1=0 src2=1
	v_mul_lo_u32 v58, v58, v99
	s_delay_alu instid0(VALU_DEP_2) | instskip(SKIP_1) | instid1(VALU_DEP_1)
	v_mul_lo_u32 v43, v43, v99
	v_pk_fma_f32 v[98:99], v[98:99], v[118:119], v[110:111] /*v[366:367]*/ op_sel_hi:[0,1,1]
	v_pk_mul_f32 v[98:99], v[98:99], v[8:9]
	s_set_vgpr_msb 64                       ;  msbs: dst=1 src0=0 src1=0 src2=0
	s_delay_alu instid0(VALU_DEP_4)
	v_cvt_f32_i32_e32 v109 /*v365*/, v58
	s_set_vgpr_msb 1                        ;  msbs: dst=0 src0=1 src1=0 src2=0
	v_mul_i32_i24_e32 v58, v245 /*v501*/, v173
	s_set_vgpr_msb 64                       ;  msbs: dst=1 src0=0 src1=0 src2=0
	v_cvt_f32_i32_e32 v108 /*v364*/, v43
	s_set_vgpr_msb 1                        ;  msbs: dst=0 src0=1 src1=0 src2=0
	v_mul_i32_i24_e32 v43, v244 /*v500*/, v126
	s_set_vgpr_msb 4                        ;  msbs: dst=0 src0=0 src1=1 src2=0
	v_mul_i32_i24_e32 v126, v199, v238 /*v494*/
	v_pk_fma_f32 v[120:121], v[112:113], v[108:109] /*v[364:365]*/, v[120:121]
	s_set_vgpr_msb 1                        ;  msbs: dst=0 src0=1 src1=0 src2=0
	v_mad_i32_i24 v43, v215 /*v471*/, v124, v43
	s_set_vgpr_msb 4                        ;  msbs: dst=0 src0=0 src1=1 src2=0
	v_mul_i32_i24_e32 v124, v195, v237 /*v493*/
	s_set_vgpr_msb 0                        ;  msbs: dst=0 src0=0 src1=0 src2=0
	v_pk_fma_f32 v[98:99], v[120:121], v[0:1], v[98:99] neg_lo:[0,0,1] neg_hi:[0,0,1]
	v_add3_u32 v43, v43, v58, v59
	s_set_vgpr_msb 1                        ;  msbs: dst=0 src0=1 src1=0 src2=0
	v_mul_i32_i24_e32 v58, v216 /*v472*/, v175
	v_mul_i32_i24_e32 v59, v217 /*v473*/, v176
	s_set_vgpr_msb 4                        ;  msbs: dst=0 src0=0 src1=1 src2=0
	v_mul_i32_i24_e32 v120, v193, v235 /*v491*/
	s_set_vgpr_msb 0                        ;  msbs: dst=0 src0=0 src1=0 src2=0
	v_pk_add_f32 v[22:23], v[22:23], v[98:99]
	s_set_vgpr_msb 1                        ;  msbs: dst=0 src0=1 src1=0 src2=0
	v_mul_i32_i24_e32 v98, v231 /*v487*/, v190
	s_set_vgpr_msb 4                        ;  msbs: dst=0 src0=0 src1=1 src2=0
	v_mul_i32_i24_e32 v99, v192, v232 /*v488*/
	s_set_vgpr_msb 0                        ;  msbs: dst=0 src0=0 src1=0 src2=0
	v_add3_u32 v43, v43, v58, v59
	s_set_vgpr_msb 1                        ;  msbs: dst=0 src0=1 src1=0 src2=0
	v_mul_i32_i24_e32 v58, v212 /*v468*/, v201
	v_mul_i32_i24_e32 v59, v213 /*v469*/, v198
	s_set_vgpr_msb 4                        ;  msbs: dst=0 src0=0 src1=1 src2=0
	v_mul_i32_i24_e32 v121, v196, v236 /*v492*/
	s_set_vgpr_msb 0                        ;  msbs: dst=0 src0=0 src1=0 src2=0
	v_add3_u32 v43, v43, v60, v61
	s_set_vgpr_msb 1                        ;  msbs: dst=0 src0=1 src1=0 src2=0
	v_mul_i32_i24_e32 v60, v214 /*v470*/, v204
	v_mad_i32_i24 v58, v184 /*v440*/, v200, v58
	v_mul_i32_i24_e32 v61, v187 /*v443*/, v202
	s_set_vgpr_msb 0                        ;  msbs: dst=0 src0=0 src1=0 src2=0
	v_add3_u32 v43, v43, v62, v64
	s_set_vgpr_msb 1                        ;  msbs: dst=0 src0=1 src1=0 src2=0
	v_mul_i32_i24_e32 v62, v188 /*v444*/, v212
	s_set_vgpr_msb 0                        ;  msbs: dst=0 src0=0 src1=0 src2=0
	v_add3_u32 v58, v58, v59, v60
	s_set_vgpr_msb 1                        ;  msbs: dst=0 src0=1 src1=0 src2=0
	v_mul_i32_i24_e32 v59, v185 /*v441*/, v208
	v_mul_i32_i24_e32 v60, v186 /*v442*/, v210
	s_set_vgpr_msb 0                        ;  msbs: dst=0 src0=0 src1=0 src2=0
	v_add3_u32 v43, v43, v65, v66
	s_set_vgpr_msb 1                        ;  msbs: dst=0 src0=1 src1=0 src2=0
	v_mul_i32_i24_e32 v64, v189 /*v445*/, v213
	v_mul_i32_i24_e32 v65, v190 /*v446*/, v214
	;; [unrolled: 1-line block ×3, first 2 shown]
	s_set_vgpr_msb 0                        ;  msbs: dst=0 src0=0 src1=0 src2=0
	v_add3_u32 v58, v58, v59, v60
	v_add3_u32 v43, v43, v68, v69
	s_set_vgpr_msb 1                        ;  msbs: dst=0 src0=1 src1=0 src2=0
	v_mul_i32_i24_e32 v68, v192 /*v448*/, v216
	v_mul_i32_i24_e32 v69, v193 /*v449*/, v218
	s_set_vgpr_msb 21                       ;  msbs: dst=0 src0=1 src1=1 src2=1
	v_add3_u32 v59, v176 /*v432*/, v174 /*v430*/, v175 /*v431*/
	s_set_vgpr_msb 0                        ;  msbs: dst=0 src0=0 src1=0 src2=0
	v_add3_u32 v58, v58, v61, v62
	v_add3_u32 v43, v43, v70, v72
	s_set_vgpr_msb 1                        ;  msbs: dst=0 src0=1 src1=0 src2=0
	v_mul_i32_i24_e32 v70, v194 /*v450*/, v220
	v_mul_i32_i24_e32 v72, v195 /*v451*/, v215
	s_set_vgpr_msb 0                        ;  msbs: dst=0 src0=0 src1=0 src2=0
	v_mul_lo_u32 v59, v59, v122
	v_add3_u32 v58, v58, v64, v65
	v_add3_u32 v43, v43, v91, v93
	s_set_vgpr_msb 1                        ;  msbs: dst=0 src0=1 src1=0 src2=0
	v_mul_i32_i24_e32 v91, v196 /*v452*/, v221
	v_mul_i32_i24_e32 v93, v197 /*v453*/, v223
	;; [unrolled: 1-line block ×3, first 2 shown]
	s_set_vgpr_msb 0                        ;  msbs: dst=0 src0=0 src1=0 src2=0
	v_add3_u32 v58, v58, v66, v68
	v_add3_u32 v43, v43, v96, v98
	s_set_vgpr_msb 1                        ;  msbs: dst=0 src0=1 src1=0 src2=0
	v_mul_i32_i24_e32 v96, v198 /*v454*/, v225
	s_set_vgpr_msb 4                        ;  msbs: dst=0 src0=0 src1=1 src2=0
	v_mul_i32_i24_e32 v98, v229, v199 /*v455*/
	s_set_vgpr_msb 1                        ;  msbs: dst=0 src0=1 src1=0 src2=0
	v_mul_i32_i24_e32 v61, v219 /*v475*/, v233
	s_set_vgpr_msb 0                        ;  msbs: dst=0 src0=0 src1=0 src2=0
	v_add3_u32 v58, v58, v69, v70
	v_add3_u32 v43, v43, v99, v101
	s_set_vgpr_msb 4                        ;  msbs: dst=0 src0=0 src1=1 src2=0
	v_mul_i32_i24_e32 v99, v226, v200 /*v456*/
	v_mul_i32_i24_e32 v101, v231, v201 /*v457*/
	s_set_vgpr_msb 1                        ;  msbs: dst=0 src0=1 src1=0 src2=0
	v_mul_i32_i24_e32 v62, v220 /*v476*/, v238
	s_set_vgpr_msb 0                        ;  msbs: dst=0 src0=0 src1=0 src2=0
	v_add3_u32 v58, v58, v72, v91
	v_add3_u32 v43, v43, v103, v120
	s_set_vgpr_msb 4                        ;  msbs: dst=0 src0=0 src1=1 src2=0
	v_mul_i32_i24_e32 v103, v232, v202 /*v458*/
	;; [unrolled: 8-line block ×4, first 2 shown]
	v_mul_i32_i24_e32 v148, v242, v207 /*v463*/
	v_cvt_f32_i32_e32 v98, v59
	s_set_vgpr_msb 0                        ;  msbs: dst=0 src0=0 src1=0 src2=0
	v_add3_u32 v58, v58, v101, v103
	v_add3_u32 v43, v43, v149, v150
	s_set_vgpr_msb 4                        ;  msbs: dst=0 src0=0 src1=1 src2=0
	v_mul_i32_i24_e32 v149, v239, v208 /*v464*/
	s_set_vgpr_msb 1                        ;  msbs: dst=0 src0=1 src1=0 src2=0
	v_mul_i32_i24_e32 v150, v209 /*v465*/, v244
	v_mul_i32_i24_e32 v59, v182 /*v438*/, v105
	s_set_vgpr_msb 0                        ;  msbs: dst=0 src0=0 src1=0 src2=0
	v_add3_u32 v58, v58, v120, v121
	v_add3_u32 v43, v43, v151, v152
	v_pk_fma_f32 v[100:101], v[100:101], v[114:115], 0 op_sel_hi:[0,1,0]
	s_set_vgpr_msb 1                        ;  msbs: dst=0 src0=1 src1=0 src2=0
	v_mul_i32_i24_e32 v66, v223 /*v479*/, v243
	v_mul_i32_i24_e32 v68, v224 /*v480*/, v247
	s_set_vgpr_msb 0                        ;  msbs: dst=0 src0=0 src1=0 src2=0
	v_add3_u32 v58, v58, v124, v126
	v_mul_lo_u32 v43, v43, v122
	v_pk_fma_f32 v[100:101], v[104:105], v[118:119], v[100:101] op_sel_hi:[0,1,1]
	s_set_vgpr_msb 1                        ;  msbs: dst=0 src0=1 src1=0 src2=0
	v_mul_i32_i24_e32 v69, v225 /*v481*/, v248
	v_mul_i32_i24_e32 v70, v226 /*v482*/, v249
	s_set_vgpr_msb 0                        ;  msbs: dst=0 src0=0 src1=0 src2=0
	v_add3_u32 v58, v58, v148, v149
	s_set_vgpr_msb 1                        ;  msbs: dst=0 src0=1 src1=0 src2=0
	v_mul_i32_i24_e32 v72, v227 /*v483*/, v250
	s_set_vgpr_msb 0                        ;  msbs: dst=0 src0=0 src1=0 src2=0
	v_pk_mul_f32 v[100:101], v[100:101], v[10:11]
	s_set_vgpr_msb 1                        ;  msbs: dst=0 src0=1 src1=0 src2=0
	v_mul_i32_i24_e32 v91, v228 /*v484*/, v251
	v_mul_i32_i24_e32 v93, v229 /*v485*/, v252
	s_set_vgpr_msb 0                        ;  msbs: dst=0 src0=0 src1=0 src2=0
	v_add3_u32 v58, v58, v150, v153
	s_set_vgpr_msb 1                        ;  msbs: dst=0 src0=1 src1=0 src2=0
	v_mul_i32_i24_e32 v96, v230 /*v486*/, v253
	s_set_vgpr_msb 0                        ;  msbs: dst=0 src0=0 src1=0 src2=0
	v_cvt_f32_i32_e32 v99, v43
	s_set_vgpr_msb 1                        ;  msbs: dst=0 src0=1 src1=0 src2=0
	v_mul_i32_i24_e32 v43, v161 /*v417*/, v105
	s_set_vgpr_msb 5                        ;  msbs: dst=0 src0=1 src1=1 src2=0
	v_mul_i32_i24_e32 v103, v1 /*v257*/, v235 /*v491*/
	s_set_vgpr_msb 0                        ;  msbs: dst=0 src0=0 src1=0 src2=0
	v_add3_u32 v58, v58, v154, v59
	s_set_vgpr_msb 1                        ;  msbs: dst=0 src0=1 src1=0 src2=0
	v_mul_i32_i24_e32 v59, v246 /*v502*/, v224
	s_set_vgpr_msb 0                        ;  msbs: dst=0 src0=0 src1=0 src2=0
	v_pk_fma_f32 v[98:99], v[116:117], v[98:99], 0 op_sel_hi:[1,1,0]
	s_set_vgpr_msb 5                        ;  msbs: dst=0 src0=1 src1=1 src2=0
	v_add3_u32 v43, v173 /*v429*/, v172 /*v428*/, v43
	v_mul_i32_i24_e32 v104, v4 /*v260*/, v236 /*v492*/
	s_set_vgpr_msb 0                        ;  msbs: dst=0 src0=0 src1=0 src2=0
	v_mul_lo_u32 v58, v58, v107
	s_set_vgpr_msb 5                        ;  msbs: dst=0 src0=1 src1=1 src2=0
	v_mul_i32_i24_e32 v105, v3 /*v259*/, v237 /*v493*/
	v_mul_i32_i24_e32 v122, v241 /*v497*/, v13 /*v269*/
	s_set_vgpr_msb 0                        ;  msbs: dst=0 src0=0 src1=0 src2=0
	v_mul_lo_u32 v43, v43, v107
	s_set_vgpr_msb 5                        ;  msbs: dst=0 src0=1 src1=1 src2=0
	v_mul_i32_i24_e32 v107, v7 /*v263*/, v238 /*v494*/
	v_mul_i32_i24_e32 v124, v242 /*v498*/, v14 /*v270*/
	v_mul_i32_i24_e32 v126, v243 /*v499*/, v16 /*v272*/
	v_mul_i32_i24_e32 v148, v210 /*v466*/, v40 /*v296*/
	v_mul_i32_i24_e32 v149, v211 /*v467*/, v41 /*v297*/
	s_set_vgpr_msb 0                        ;  msbs: dst=0 src0=0 src1=0 src2=0
	v_cvt_f32_i32_e32 v121, v58
	s_set_vgpr_msb 1                        ;  msbs: dst=0 src0=1 src1=0 src2=0
	v_mul_i32_i24_e32 v58, v245 /*v501*/, v222
	s_set_vgpr_msb 0                        ;  msbs: dst=0 src0=0 src1=0 src2=0
	v_cvt_f32_i32_e32 v120, v43
	s_set_vgpr_msb 1                        ;  msbs: dst=0 src0=1 src1=0 src2=0
	v_mul_i32_i24_e32 v43, v244 /*v500*/, v219
	s_set_vgpr_msb 0                        ;  msbs: dst=0 src0=0 src1=0 src2=0
	s_delay_alu instid0(VALU_DEP_2) | instskip(SKIP_1) | instid1(VALU_DEP_2)
	v_pk_fma_f32 v[98:99], v[112:113], v[120:121], v[98:99]
	s_set_vgpr_msb 1                        ;  msbs: dst=0 src0=1 src1=0 src2=0
	v_mad_i32_i24 v43, v215 /*v471*/, v217, v43
	s_set_vgpr_msb 5                        ;  msbs: dst=0 src0=1 src1=1 src2=0
	v_mul_i32_i24_e32 v120, v5 /*v261*/, v239 /*v495*/
	v_mul_i32_i24_e32 v121, v240 /*v496*/, v11 /*v267*/
	s_set_vgpr_msb 0                        ;  msbs: dst=0 src0=0 src1=0 src2=0
	v_pk_fma_f32 v[98:99], v[98:99], v[2:3], v[100:101] neg_lo:[0,0,1] neg_hi:[0,0,1]
	v_add3_u32 v43, v43, v58, v59
	s_set_vgpr_msb 1                        ;  msbs: dst=0 src0=1 src1=0 src2=0
	v_mul_i32_i24_e32 v58, v216 /*v472*/, v227
	v_mul_i32_i24_e32 v59, v217 /*v473*/, v228
	s_set_vgpr_msb 4                        ;  msbs: dst=0 src0=0 src1=1 src2=0
	v_mul_i32_i24_e32 v100, v255, v233 /*v489*/
	s_set_vgpr_msb 0                        ;  msbs: dst=0 src0=0 src1=0 src2=0
	v_pk_add_f32 v[20:21], v[20:21], v[98:99]
	s_set_vgpr_msb 1                        ;  msbs: dst=0 src0=1 src1=0 src2=0
	v_mul_i32_i24_e32 v98, v231 /*v487*/, v254
	s_set_vgpr_msb 5                        ;  msbs: dst=0 src0=1 src1=1 src2=0
	v_mul_i32_i24_e32 v99, v0 /*v256*/, v232 /*v488*/
	s_set_vgpr_msb 0                        ;  msbs: dst=0 src0=0 src1=0 src2=0
	v_add3_u32 v43, v43, v58, v59
	s_set_vgpr_msb 5                        ;  msbs: dst=0 src0=1 src1=1 src2=0
	v_mul_i32_i24_e32 v58, v212 /*v468*/, v9 /*v265*/
	v_mul_i32_i24_e32 v59, v213 /*v469*/, v6 /*v262*/
	;; [unrolled: 1-line block ×3, first 2 shown]
	s_set_vgpr_msb 0                        ;  msbs: dst=0 src0=0 src1=0 src2=0
	v_add3_u32 v43, v43, v60, v61
	s_set_vgpr_msb 5                        ;  msbs: dst=0 src0=1 src1=1 src2=0
	v_mul_i32_i24_e32 v60, v214 /*v470*/, v12 /*v268*/
	v_mad_i32_i24 v58, v184 /*v440*/, v8 /*v264*/, v58
	v_mul_i32_i24_e32 v61, v187 /*v443*/, v10 /*v266*/
	s_set_vgpr_msb 0                        ;  msbs: dst=0 src0=0 src1=0 src2=0
	v_add3_u32 v43, v43, v62, v64
	s_set_vgpr_msb 5                        ;  msbs: dst=0 src0=1 src1=1 src2=0
	v_mul_i32_i24_e32 v62, v188 /*v444*/, v19 /*v275*/
	s_set_vgpr_msb 0                        ;  msbs: dst=0 src0=0 src1=0 src2=0
	v_add3_u32 v58, v58, v59, v60
	s_set_vgpr_msb 5                        ;  msbs: dst=0 src0=1 src1=1 src2=0
	v_mul_i32_i24_e32 v59, v185 /*v441*/, v15 /*v271*/
	v_mul_i32_i24_e32 v60, v186 /*v442*/, v17 /*v273*/
	s_set_vgpr_msb 0                        ;  msbs: dst=0 src0=0 src1=0 src2=0
	v_add3_u32 v43, v43, v65, v66
	s_set_vgpr_msb 5                        ;  msbs: dst=0 src0=1 src1=1 src2=0
	v_mul_i32_i24_e32 v64, v189 /*v445*/, v20 /*v276*/
	v_mul_i32_i24_e32 v65, v190 /*v446*/, v21 /*v277*/
	;; [unrolled: 1-line block ×3, first 2 shown]
	s_set_vgpr_msb 0                        ;  msbs: dst=0 src0=0 src1=0 src2=0
	v_add3_u32 v58, v58, v59, v60
	v_add3_u32 v43, v43, v68, v69
	s_set_vgpr_msb 21                       ;  msbs: dst=0 src0=1 src1=1 src2=1
	v_mul_i32_i24_e32 v68, v192 /*v448*/, v23 /*v279*/
	v_mul_i32_i24_e32 v69, v193 /*v449*/, v24 /*v280*/
	v_add3_u32 v59, v171 /*v427*/, v169 /*v425*/, v170 /*v426*/
	s_set_vgpr_msb 0                        ;  msbs: dst=0 src0=0 src1=0 src2=0
	v_add3_u32 v58, v58, v61, v62
	v_add3_u32 v43, v43, v70, v72
	s_set_vgpr_msb 5                        ;  msbs: dst=0 src0=1 src1=1 src2=0
	v_mul_i32_i24_e32 v70, v194 /*v450*/, v25 /*v281*/
	v_mul_i32_i24_e32 v72, v195 /*v451*/, v22 /*v278*/
	s_set_vgpr_msb 0                        ;  msbs: dst=0 src0=0 src1=0 src2=0
	v_mul_lo_u32 v59, v59, v205
	v_add3_u32 v58, v58, v64, v65
	v_add3_u32 v43, v43, v91, v93
	s_set_vgpr_msb 5                        ;  msbs: dst=0 src0=1 src1=1 src2=0
	v_mul_i32_i24_e32 v91, v196 /*v452*/, v26 /*v282*/
	v_mul_i32_i24_e32 v93, v197 /*v453*/, v27 /*v283*/
	v_mul_i32_i24_e32 v60, v218 /*v474*/, v51 /*v307*/
	s_set_vgpr_msb 0                        ;  msbs: dst=0 src0=0 src1=0 src2=0
	v_add3_u32 v58, v58, v66, v68
	v_add3_u32 v43, v43, v96, v98
	s_set_vgpr_msb 5                        ;  msbs: dst=0 src0=1 src1=1 src2=0
	v_mul_i32_i24_e32 v96, v198 /*v454*/, v28 /*v284*/
	v_mul_i32_i24_e32 v98, v30 /*v286*/, v199 /*v455*/
	v_mul_i32_i24_e32 v61, v219 /*v475*/, v52 /*v308*/
	s_set_vgpr_msb 0                        ;  msbs: dst=0 src0=0 src1=0 src2=0
	;; [unrolled: 7-line block ×5, first 2 shown]
	v_add3_u32 v58, v58, v98, v99
	v_add3_u32 v43, v43, v107, v120
	s_set_vgpr_msb 5                        ;  msbs: dst=0 src0=1 src1=1 src2=0
	v_mul_i32_i24_e32 v107, v36 /*v292*/, v206 /*v462*/
	v_mul_i32_i24_e32 v120, v38 /*v294*/, v207 /*v463*/
	s_set_vgpr_msb 0                        ;  msbs: dst=0 src0=0 src1=0 src2=0
	v_cvt_f32_i32_e32 v98, v59
	v_add3_u32 v58, v58, v100, v101
	v_add3_u32 v43, v43, v121, v122
	s_set_vgpr_msb 5                        ;  msbs: dst=0 src0=1 src1=1 src2=0
	v_mul_i32_i24_e32 v121, v37 /*v293*/, v208 /*v464*/
	v_mul_i32_i24_e32 v122, v209 /*v465*/, v39 /*v295*/
	s_set_vgpr_msb 1                        ;  msbs: dst=0 src0=1 src1=0 src2=0
	v_mul_i32_i24_e32 v59, v182 /*v438*/, v109
	s_set_vgpr_msb 0                        ;  msbs: dst=0 src0=0 src1=0 src2=0
	v_add3_u32 v58, v58, v103, v104
	v_add3_u32 v43, v43, v124, v126
	v_pk_fma_f32 v[100:101], v[102:103], v[114:115], 0 op_sel_hi:[0,1,0]
	s_set_vgpr_msb 5                        ;  msbs: dst=0 src0=1 src1=1 src2=0
	v_mul_i32_i24_e32 v66, v223 /*v479*/, v56 /*v312*/
	v_mul_i32_i24_e32 v68, v224 /*v480*/, v57 /*v313*/
	s_set_vgpr_msb 0                        ;  msbs: dst=0 src0=0 src1=0 src2=0
	v_add3_u32 v58, v58, v105, v107
	v_mul_lo_u32 v43, v43, v205
	v_pk_fma_f32 v[100:101], v[106:107], v[118:119], v[100:101] op_sel_hi:[0,1,1]
	s_set_vgpr_msb 5                        ;  msbs: dst=0 src0=1 src1=1 src2=0
	v_mul_i32_i24_e32 v69, v225 /*v481*/, v58 /*v314*/
	v_mul_i32_i24_e32 v70, v226 /*v482*/, v59 /*v315*/
	s_set_vgpr_msb 0                        ;  msbs: dst=0 src0=0 src1=0 src2=0
	v_add3_u32 v58, v58, v120, v121
	s_set_vgpr_msb 5                        ;  msbs: dst=0 src0=1 src1=1 src2=0
	v_mul_i32_i24_e32 v72, v227 /*v483*/, v60 /*v316*/
	s_set_vgpr_msb 0                        ;  msbs: dst=0 src0=0 src1=0 src2=0
	v_pk_mul_f32 v[100:101], v[100:101], v[12:13]
	s_set_vgpr_msb 5                        ;  msbs: dst=0 src0=1 src1=1 src2=0
	v_mul_i32_i24_e32 v91, v228 /*v484*/, v61 /*v317*/
	v_mul_i32_i24_e32 v93, v229 /*v485*/, v62 /*v318*/
	s_set_vgpr_msb 0                        ;  msbs: dst=0 src0=0 src1=0 src2=0
	v_add3_u32 v58, v58, v122, v148
	s_set_vgpr_msb 5                        ;  msbs: dst=0 src0=1 src1=1 src2=0
	v_mul_i32_i24_e32 v96, v230 /*v486*/, v63 /*v319*/
	s_set_vgpr_msb 0                        ;  msbs: dst=0 src0=0 src1=0 src2=0
	v_cvt_f32_i32_e32 v99, v43
	s_set_vgpr_msb 1                        ;  msbs: dst=0 src0=1 src1=0 src2=0
	v_mul_i32_i24_e32 v43, v161 /*v417*/, v109
	s_set_vgpr_msb 5                        ;  msbs: dst=0 src0=1 src1=1 src2=0
	v_mul_i32_i24_e32 v104, v69 /*v325*/, v237 /*v493*/
	s_set_vgpr_msb 0                        ;  msbs: dst=0 src0=0 src1=0 src2=0
	v_add3_u32 v58, v58, v149, v59
	s_set_vgpr_msb 5                        ;  msbs: dst=0 src0=1 src1=1 src2=0
	v_mul_i32_i24_e32 v59, v246 /*v502*/, v48 /*v304*/
	s_set_vgpr_msb 0                        ;  msbs: dst=0 src0=0 src1=0 src2=0
	v_pk_fma_f32 v[98:99], v[116:117], v[98:99], 0 op_sel_hi:[1,1,0]
	s_set_vgpr_msb 5                        ;  msbs: dst=0 src0=1 src1=1 src2=0
	v_add3_u32 v43, v168 /*v424*/, v167 /*v423*/, v43
	v_mul_i32_i24_e32 v105, v73 /*v329*/, v238 /*v494*/
	s_set_vgpr_msb 0                        ;  msbs: dst=0 src0=0 src1=0 src2=0
	v_mul_lo_u32 v58, v58, v111
	s_set_vgpr_msb 5                        ;  msbs: dst=0 src0=1 src1=1 src2=0
	v_mul_i32_i24_e32 v106, v71 /*v327*/, v239 /*v495*/
	v_mul_i32_i24_e32 v107, v240 /*v496*/, v77 /*v333*/
	s_set_vgpr_msb 0                        ;  msbs: dst=0 src0=0 src1=0 src2=0
	v_mul_lo_u32 v43, v43, v111
	s_set_vgpr_msb 5                        ;  msbs: dst=0 src0=1 src1=1 src2=0
	v_mul_i32_i24_e32 v109, v241 /*v497*/, v79 /*v335*/
	v_mul_i32_i24_e32 v111, v242 /*v498*/, v80 /*v336*/
	;; [unrolled: 1-line block ×5, first 2 shown]
	s_set_vgpr_msb 0                        ;  msbs: dst=0 src0=0 src1=0 src2=0
	v_cvt_f32_i32_e32 v103, v58
	s_set_vgpr_msb 5                        ;  msbs: dst=0 src0=1 src1=1 src2=0
	v_mul_i32_i24_e32 v58, v245 /*v501*/, v47 /*v303*/
	s_set_vgpr_msb 0                        ;  msbs: dst=0 src0=0 src1=0 src2=0
	v_cvt_f32_i32_e32 v102, v43
	s_set_vgpr_msb 5                        ;  msbs: dst=0 src0=1 src1=1 src2=0
	v_mul_i32_i24_e32 v43, v244 /*v500*/, v46 /*v302*/
	s_set_vgpr_msb 0                        ;  msbs: dst=0 src0=0 src1=0 src2=0
	s_delay_alu instid0(VALU_DEP_2) | instskip(SKIP_1) | instid1(VALU_DEP_2)
	v_pk_fma_f32 v[98:99], v[112:113], v[102:103], v[98:99]
	s_set_vgpr_msb 5                        ;  msbs: dst=0 src0=1 src1=1 src2=0
	v_mad_i32_i24 v43, v215 /*v471*/, v45 /*v301*/, v43
	v_mul_i32_i24_e32 v102, v67 /*v323*/, v235 /*v491*/
	v_mul_i32_i24_e32 v103, v70 /*v326*/, v236 /*v492*/
	s_set_vgpr_msb 0                        ;  msbs: dst=0 src0=0 src1=0 src2=0
	v_pk_fma_f32 v[98:99], v[98:99], v[4:5], v[100:101] neg_lo:[0,0,1] neg_hi:[0,0,1]
	v_add3_u32 v43, v43, v58, v59
	s_set_vgpr_msb 5                        ;  msbs: dst=0 src0=1 src1=1 src2=0
	v_mul_i32_i24_e32 v58, v216 /*v472*/, v49 /*v305*/
	v_mul_i32_i24_e32 v59, v217 /*v473*/, v50 /*v306*/
	;; [unrolled: 1-line block ×3, first 2 shown]
	s_set_vgpr_msb 0                        ;  msbs: dst=0 src0=0 src1=0 src2=0
	v_pk_add_f32 v[18:19], v[18:19], v[98:99]
	s_set_vgpr_msb 5                        ;  msbs: dst=0 src0=1 src1=1 src2=0
	v_mul_i32_i24_e32 v98, v231 /*v487*/, v64 /*v320*/
	v_mul_i32_i24_e32 v99, v66 /*v322*/, v232 /*v488*/
	s_set_vgpr_msb 0                        ;  msbs: dst=0 src0=0 src1=0 src2=0
	v_add3_u32 v43, v43, v58, v59
	s_set_vgpr_msb 5                        ;  msbs: dst=0 src0=1 src1=1 src2=0
	v_mul_i32_i24_e32 v58, v212 /*v468*/, v75 /*v331*/
	v_mul_i32_i24_e32 v59, v213 /*v469*/, v72 /*v328*/
	;; [unrolled: 1-line block ×3, first 2 shown]
	s_set_vgpr_msb 0                        ;  msbs: dst=0 src0=0 src1=0 src2=0
	v_add3_u32 v43, v43, v60, v61
	s_set_vgpr_msb 5                        ;  msbs: dst=0 src0=1 src1=1 src2=0
	v_mul_i32_i24_e32 v60, v214 /*v470*/, v78 /*v334*/
	v_mad_i32_i24 v58, v184 /*v440*/, v74 /*v330*/, v58
	v_mul_i32_i24_e32 v61, v187 /*v443*/, v76 /*v332*/
	s_set_vgpr_msb 0                        ;  msbs: dst=0 src0=0 src1=0 src2=0
	v_add3_u32 v43, v43, v62, v64
	s_set_vgpr_msb 5                        ;  msbs: dst=0 src0=1 src1=1 src2=0
	v_mul_i32_i24_e32 v62, v188 /*v444*/, v85 /*v341*/
	s_set_vgpr_msb 0                        ;  msbs: dst=0 src0=0 src1=0 src2=0
	v_add3_u32 v58, v58, v59, v60
	s_set_vgpr_msb 5                        ;  msbs: dst=0 src0=1 src1=1 src2=0
	v_mul_i32_i24_e32 v59, v185 /*v441*/, v81 /*v337*/
	v_mul_i32_i24_e32 v60, v186 /*v442*/, v83 /*v339*/
	s_set_vgpr_msb 0                        ;  msbs: dst=0 src0=0 src1=0 src2=0
	v_add3_u32 v43, v43, v65, v66
	s_set_vgpr_msb 5                        ;  msbs: dst=0 src0=1 src1=1 src2=0
	v_mul_i32_i24_e32 v64, v189 /*v445*/, v86 /*v342*/
	v_mul_i32_i24_e32 v65, v190 /*v446*/, v87 /*v343*/
	;; [unrolled: 1-line block ×3, first 2 shown]
	s_set_vgpr_msb 0                        ;  msbs: dst=0 src0=0 src1=0 src2=0
	v_add3_u32 v58, v58, v59, v60
	v_add3_u32 v43, v43, v68, v69
	s_set_vgpr_msb 21                       ;  msbs: dst=0 src0=1 src1=1 src2=1
	v_mul_i32_i24_e32 v68, v192 /*v448*/, v89 /*v345*/
	v_mul_i32_i24_e32 v69, v193 /*v449*/, v90 /*v346*/
	v_add3_u32 v59, v166 /*v422*/, v164 /*v420*/, v165 /*v421*/
	s_set_vgpr_msb 0                        ;  msbs: dst=0 src0=0 src1=0 src2=0
	v_add3_u32 v58, v58, v61, v62
	v_add3_u32 v43, v43, v70, v72
	s_set_vgpr_msb 5                        ;  msbs: dst=0 src0=1 src1=1 src2=0
	v_mul_i32_i24_e32 v70, v194 /*v450*/, v91 /*v347*/
	v_mul_i32_i24_e32 v72, v195 /*v451*/, v88 /*v344*/
	s_set_vgpr_msb 4                        ;  msbs: dst=0 src0=0 src1=1 src2=0
	v_mul_lo_u32 v59, v59, v44 /*v300*/
	s_set_vgpr_msb 0                        ;  msbs: dst=0 src0=0 src1=0 src2=0
	v_add3_u32 v58, v58, v64, v65
	v_add3_u32 v43, v43, v91, v93
	s_set_vgpr_msb 5                        ;  msbs: dst=0 src0=1 src1=1 src2=0
	v_mul_i32_i24_e32 v91, v196 /*v452*/, v92 /*v348*/
	v_mul_i32_i24_e32 v93, v197 /*v453*/, v93 /*v349*/
	s_set_vgpr_msb 0                        ;  msbs: dst=0 src0=0 src1=0 src2=0
	v_add3_u32 v58, v58, v66, v68
	v_add3_u32 v43, v43, v96, v98
	s_set_vgpr_msb 5                        ;  msbs: dst=0 src0=1 src1=1 src2=0
	v_mul_i32_i24_e32 v96, v198 /*v454*/, v94 /*v350*/
	v_mul_i32_i24_e32 v98, v96 /*v352*/, v199 /*v455*/
	;; [unrolled: 6-line block ×6, first 2 shown]
	s_set_vgpr_msb 0                        ;  msbs: dst=0 src0=0 src1=0 src2=0
	v_cvt_f32_i32_e32 v98, v59
	v_add3_u32 v58, v58, v100, v101
	v_add3_u32 v43, v43, v107, v109
	s_set_vgpr_msb 5                        ;  msbs: dst=0 src0=1 src1=1 src2=0
	v_mul_i32_i24_e32 v107, v103 /*v359*/, v208 /*v464*/
	v_mul_i32_i24_e32 v109, v209 /*v465*/, v105 /*v361*/
	;; [unrolled: 1-line block ×3, first 2 shown]
	s_set_vgpr_msb 0                        ;  msbs: dst=0 src0=0 src1=0 src2=0
	v_add3_u32 v58, v58, v102, v103
	v_add3_u32 v43, v43, v111, v120
	v_pk_fma_f32 v[100:101], v[110:111], v[114:115], 0 op_sel_hi:[0,1,0]
	s_delay_alu instid0(VALU_DEP_3) | instskip(SKIP_1) | instid1(VALU_DEP_3)
	v_add3_u32 v58, v58, v104, v105
	s_set_vgpr_msb 4                        ;  msbs: dst=0 src0=0 src1=1 src2=0
	v_mul_lo_u32 v43, v43, v44 /*v300*/
	s_set_vgpr_msb 0                        ;  msbs: dst=0 src0=0 src1=0 src2=0
	v_pk_fma_f32 v[100:101], v[108:109], v[118:119], v[100:101] op_sel_hi:[0,1,1]
	v_add3_u32 v58, v58, v106, v107
	s_delay_alu instid0(VALU_DEP_2) | instskip(NEXT) | instid1(VALU_DEP_2)
	v_pk_mul_f32 v[100:101], v[100:101], v[14:15]
	v_add3_u32 v58, v58, v109, v121
	v_cvt_f32_i32_e32 v99, v43
	s_set_vgpr_msb 5                        ;  msbs: dst=0 src0=1 src1=1 src2=0
	v_mul_i32_i24_e32 v43, v161 /*v417*/, v42 /*v298*/
	s_set_vgpr_msb 0                        ;  msbs: dst=0 src0=0 src1=0 src2=0
	v_add3_u32 v58, v58, v122, v59
	v_pk_fma_f32 v[98:99], v[116:117], v[98:99], 0 op_sel_hi:[1,1,0]
	s_set_vgpr_msb 5                        ;  msbs: dst=0 src0=1 src1=1 src2=0
	v_add3_u32 v43, v163 /*v419*/, v162 /*v418*/, v43
	s_set_vgpr_msb 4                        ;  msbs: dst=0 src0=0 src1=1 src2=0
	v_mul_lo_u32 v58, v58, v43 /*v299*/
	s_delay_alu instid0(VALU_DEP_2) | instskip(NEXT) | instid1(VALU_DEP_2)
	v_mul_lo_u32 v43, v43, v43 /*v299*/
	v_cvt_f32_i32_e32 v103, v58
	s_delay_alu instid0(VALU_DEP_2) | instskip(SKIP_1) | instid1(VALU_DEP_1)
	v_cvt_f32_i32_e32 v102, v43
	s_set_vgpr_msb 0                        ;  msbs: dst=0 src0=0 src1=0 src2=0
	v_pk_fma_f32 v[98:99], v[112:113], v[102:103], v[98:99]
	s_delay_alu instid0(VALU_DEP_1) | instskip(NEXT) | instid1(VALU_DEP_1)
	v_pk_fma_f32 v[98:99], v[98:99], v[6:7], v[100:101] neg_lo:[0,0,1] neg_hi:[0,0,1]
	v_pk_add_f32 v[16:17], v[16:17], v[98:99]
	s_cbranch_vccnz .LBB172_6
; %bb.7:                                ;   in Loop: Header=BB172_5 Depth=1
	v_add_nc_u32_e32 v8, s4, v89
	v_add_nc_u32_e32 v43, 4, v97
	s_barrier_signal -1
	s_barrier_wait -1
	s_delay_alu instid0(VALU_DEP_2) | instskip(SKIP_2) | instid1(VALU_DEP_3)
	v_dual_add_nc_u32 v6, v8, v87 :: v_dual_add_nc_u32 v10, v8, v81
	v_dual_add_nc_u32 v0, v8, v73 :: v_dual_add_nc_u32 v2, v8, v75
	;; [unrolled: 1-line block ×3, first 2 shown]
	v_mad_nc_i64_i32 v[6:7], v6, 36, v[52:53]
	s_delay_alu instid0(VALU_DEP_3)
	v_mad_nc_i64_i32 v[0:1], v0, 36, v[52:53]
	v_dual_add_nc_u32 v12, v8, v83 :: v_dual_add_nc_u32 v14, v8, v85
	v_mad_nc_i64_i32 v[2:3], v2, 36, v[52:53]
	v_mad_nc_i64_i32 v[4:5], v4, 36, v[52:53]
	;; [unrolled: 1-line block ×6, first 2 shown]
	v_mad_nc_u64_u32 v[96:97], v43, 36, s[10:11]
	s_clause 0x8
	global_load_b32 v43, v[6:7], off offset:4
	global_load_b32 v58, v[0:1], off offset:4
	;; [unrolled: 1-line block ×8, first 2 shown]
	global_load_b32 v66, v[96:97], off
	s_mov_b32 s4, 16
	s_wait_loadcnt 0x8
	ds_store_b32 v131, v43
	s_wait_loadcnt 0x7
	ds_store_b32 v95, v58
	;; [unrolled: 2-line block ×9, first 2 shown]
	s_wait_dscnt 0x0
	s_barrier_signal -1
	s_barrier_wait -1
	ds_load_b32 v0, v133
	ds_load_b32 v1, v134 offset:128
	ds_load_b32 v2, v135 offset:256
	;; [unrolled: 1-line block ×3, first 2 shown]
	s_wait_dscnt 0x3
	v_cvt_f32_f16_e32 v96, v0
	v_lshrrev_b32_e32 v0, 16, v0
	s_wait_dscnt 0x2
	v_cvt_f32_f16_e32 v98, v1
	s_wait_dscnt 0x0
	v_dual_lshrrev_b32 v1, 16, v1 :: v_dual_lshrrev_b32 v4, 16, v3
	v_cvt_f32_f16_e32 v100, v2
	v_lshrrev_b32_e32 v2, 16, v2
	v_cvt_f32_f16_e32 v102, v3
	v_cvt_f32_f16_e32 v104, v0
	;; [unrolled: 1-line block ×5, first 2 shown]
	v_dual_mov_b32 v97, v96 :: v_dual_mov_b32 v99, v98
	v_dual_mov_b32 v101, v100 :: v_dual_mov_b32 v103, v102
	;; [unrolled: 1-line block ×3, first 2 shown]
	s_delay_alu instid0(VALU_DEP_4)
	v_dual_mov_b32 v109, v108 :: v_dual_mov_b32 v111, v110
.LBB172_8:                              ;   Parent Loop BB172_5 Depth=1
                                        ; =>  This Inner Loop Header: Depth=2
	s_lshr_b32 s5, s4, 2
	s_lshl_b32 s8, s4, 2
	s_and_b32 s9, s5, 0x3ffffffe
	s_lshl_b32 s5, s4, 1
	s_addk_co_i32 s9, 0x6200
	s_and_b32 s5, s5, 16
	v_add3_u32 v43, s9, v171, v164
	v_or_b32_e32 v0, s5, v63
	s_delay_alu instid0(VALU_DEP_1)
	v_lshlrev_b32_e32 v1, 2, v0
	s_set_vgpr_msb 64                       ;  msbs: dst=1 src0=0 src1=0 src2=0
	v_lshrrev_b32_e32 v167 /*v423*/, 1, v0
	s_set_vgpr_msb 0                        ;  msbs: dst=0 src0=0 src1=0 src2=0
	ds_load_b128 v[8:11], v1 offset:16896
	ds_load_b128 v[4:7], v1 offset:16912
	;; [unrolled: 1-line block ×4, first 2 shown]
	s_wait_dscnt 0x3
	v_bfe_i32 v192, v10, 0, 8
	s_wait_dscnt 0x2
	v_bfe_i32 v200, v4, 0, 8
	v_bfe_i32 v201, v4, 8, 8
	;; [unrolled: 1-line block ×3, first 2 shown]
	v_dual_ashrrev_i32 v204, 24, v4 :: v_dual_ashrrev_i32 v182, 24, v5
	v_dual_ashrrev_i32 v178, 24, v6 :: v_dual_add_nc_u32 v4, s8, v167
	v_bfe_i32 v193, v10, 8, 8
	v_bfe_i32 v194, v10, 16, 8
	v_dual_ashrrev_i32 v195, 24, v10 :: v_dual_ashrrev_i32 v199, 24, v11
	v_bfe_i32 v196, v11, 0, 8
	v_bfe_i32 v197, v11, 8, 8
	;; [unrolled: 1-line block ×3, first 2 shown]
	ds_load_2addr_b32 v[10:11], v4 offset1:1
	v_bfe_i32 v183, v8, 0, 8
	s_wait_dscnt 0x1
	s_set_vgpr_msb 64                       ;  msbs: dst=1 src0=0 src1=0 src2=0
	v_ashrrev_i32_e32 v176 /*v432*/, 24, v1
	s_set_vgpr_msb 0                        ;  msbs: dst=0 src0=0 src1=0 src2=0
	v_bfe_i32 v187, v8, 8, 8
	v_bfe_i32 v186, v8, 16, 8
	v_ashrrev_i32_e32 v202, 24, v8
	s_set_vgpr_msb 64                       ;  msbs: dst=1 src0=0 src1=0 src2=0
	v_dual_ashrrev_i32 v179 /*v435*/, 24, v15 :: v_dual_ashrrev_i32 v177 /*v433*/, 24, v0
	v_bfe_i32 v170 /*v426*/, v0, 0, 8
	v_bfe_i32 v171 /*v427*/, v0, 8, 8
	;; [unrolled: 1-line block ×3, first 2 shown]
	s_set_vgpr_msb 0                        ;  msbs: dst=0 src0=0 src1=0 src2=0
	v_bfe_i32 v188, v9, 0, 8
	v_bfe_i32 v189, v9, 8, 8
	;; [unrolled: 1-line block ×5, first 2 shown]
	s_set_vgpr_msb 64                       ;  msbs: dst=1 src0=0 src1=0 src2=0
	v_bfe_i32 v173 /*v429*/, v1, 0, 8
	v_bfe_i32 v174 /*v430*/, v1, 8, 8
	;; [unrolled: 1-line block ×3, first 2 shown]
	s_set_vgpr_msb 0                        ;  msbs: dst=0 src0=0 src1=0 src2=0
	v_bfe_i32 v190, v9, 16, 8
	s_wait_dscnt 0x0
	s_set_vgpr_msb 64                       ;  msbs: dst=1 src0=0 src1=0 src2=0
	v_and_b32_e32 v118 /*v374*/, 15, v10
	v_bfe_u32 v117 /*v373*/, v10, 8, 4
	v_bfe_u32 v119 /*v375*/, v10, 16, 4
	v_bfe_u32 v120 /*v376*/, v10, 24, 4
	v_dual_lshrrev_b32 v150 /*v406*/, 28, v10 :: v_dual_bitop2_b32 v121 /*v377*/, 15, v11 bitop3:0x40
	s_set_vgpr_msb 1                        ;  msbs: dst=0 src0=1 src1=0 src2=0
	v_mul_i32_i24_e32 v0, v118 /*v374*/, v183
	v_mul_i32_i24_e32 v1, v119 /*v375*/, v186
	v_mul_i32_i24_e32 v5, v120 /*v376*/, v202
	s_set_vgpr_msb 64                       ;  msbs: dst=1 src0=0 src1=0 src2=0
	v_bfe_u32 v122 /*v378*/, v11, 8, 4
	s_set_vgpr_msb 1                        ;  msbs: dst=0 src0=1 src1=0 src2=0
	v_ashrrev_i32_e32 v191, 24, v9
	v_mad_i32_i24 v0, v117 /*v373*/, v187, v0
	s_set_vgpr_msb 64                       ;  msbs: dst=1 src0=0 src1=0 src2=0
	v_bfe_u32 v123 /*v379*/, v11, 16, 4
	v_bfe_u32 v124 /*v380*/, v11, 24, 4
	s_set_vgpr_msb 0                        ;  msbs: dst=0 src0=0 src1=0 src2=0
	v_bfe_i32 v179, v6, 0, 8
	v_bfe_i32 v180, v6, 8, 8
	v_add3_u32 v0, v0, v1, v5
	s_set_vgpr_msb 1                        ;  msbs: dst=0 src0=1 src1=0 src2=0
	v_mul_i32_i24_e32 v1, v121 /*v377*/, v188
	v_mul_i32_i24_e32 v5, v122 /*v378*/, v189
	v_mul_i32_i24_e32 v8, v123 /*v379*/, v190
	v_mul_i32_i24_e32 v9, v124 /*v380*/, v191
	s_set_vgpr_msb 0                        ;  msbs: dst=0 src0=0 src1=0 src2=0
	v_bfe_i32 v177, v6, 16, 8
	s_set_vgpr_msb 64                       ;  msbs: dst=1 src0=0 src1=0 src2=0
	v_bfe_i32 v168 /*v424*/, v15, 0, 8
	s_set_vgpr_msb 0                        ;  msbs: dst=0 src0=0 src1=0 src2=0
	v_add3_u32 v0, v0, v5, v1
	s_set_vgpr_msb 64                       ;  msbs: dst=1 src0=0 src1=0 src2=0
	v_bfe_i32 v169 /*v425*/, v15, 8, 8
	v_bfe_i32 v178 /*v434*/, v15, 16, 8
	s_set_vgpr_msb 0                        ;  msbs: dst=0 src0=0 src1=0 src2=0
	v_ashrrev_i32_e32 v15, 24, v2
	s_set_vgpr_msb 64                       ;  msbs: dst=1 src0=0 src1=0 src2=0
	v_bfe_i32 v159 /*v415*/, v12, 0, 8
	s_set_vgpr_msb 0                        ;  msbs: dst=0 src0=0 src1=0 src2=0
	v_add3_u32 v0, v0, v8, v9
	ds_load_2addr_b32 v[8:9], v4 offset0:2 offset1:3
	s_set_vgpr_msb 64                       ;  msbs: dst=1 src0=0 src1=0 src2=0
	v_bfe_i32 v158 /*v414*/, v12, 8, 8
	v_bfe_i32 v160 /*v416*/, v12, 16, 8
	v_dual_ashrrev_i32 v182 /*v438*/, 24, v12 :: v_dual_ashrrev_i32 v180 /*v436*/, 24, v14
	v_bfe_i32 v161 /*v417*/, v13, 0, 8
	v_lshrrev_b32_e32 v142 /*v398*/, 28, v11
	v_bfe_i32 v162 /*v418*/, v13, 8, 8
	v_bfe_i32 v163 /*v419*/, v13, 16, 8
	v_ashrrev_i32_e32 v181 /*v437*/, 24, v13
	v_bfe_i32 v164 /*v420*/, v14, 0, 8
	v_bfe_i32 v165 /*v421*/, v14, 8, 8
	;; [unrolled: 1-line block ×3, first 2 shown]
	s_set_vgpr_msb 0                        ;  msbs: dst=0 src0=0 src1=0 src2=0
	v_bfe_i32 v12, v2, 0, 8
	v_bfe_i32 v13, v2, 8, 8
	;; [unrolled: 1-line block ×7, first 2 shown]
	s_wait_dscnt 0x0
	s_set_vgpr_msb 64                       ;  msbs: dst=1 src0=0 src1=0 src2=0
	v_and_b32_e32 v125 /*v381*/, 15, v8
	v_bfe_u32 v126 /*v382*/, v8, 8, 4
	v_bfe_u32 v127 /*v383*/, v8, 16, 4
	;; [unrolled: 1-line block ×3, first 2 shown]
	v_dual_lshrrev_b32 v143 /*v399*/, 28, v8 :: v_dual_bitop2_b32 v129 /*v385*/, 15, v9 bitop3:0x40
	s_set_vgpr_msb 1                        ;  msbs: dst=0 src0=1 src1=0 src2=0
	v_mul_i32_i24_e32 v1, v125 /*v381*/, v192
	v_mul_i32_i24_e32 v5, v126 /*v382*/, v193
	;; [unrolled: 1-line block ×4, first 2 shown]
	s_set_vgpr_msb 64                       ;  msbs: dst=1 src0=0 src1=0 src2=0
	v_bfe_u32 v130 /*v386*/, v9, 8, 4
	v_bfe_u32 v131 /*v387*/, v9, 16, 4
	s_set_vgpr_msb 0                        ;  msbs: dst=0 src0=0 src1=0 src2=0
	v_add3_u32 v0, v0, v5, v1
	s_set_vgpr_msb 1                        ;  msbs: dst=0 src0=1 src1=0 src2=0
	v_mul_i32_i24_e32 v1, v129 /*v385*/, v196
	s_set_vgpr_msb 64                       ;  msbs: dst=1 src0=0 src1=0 src2=0
	v_bfe_u32 v132 /*v388*/, v9, 24, 4
	s_set_vgpr_msb 1                        ;  msbs: dst=0 src0=1 src1=0 src2=0
	v_mul_i32_i24_e32 v5, v130 /*v386*/, v197
	s_set_vgpr_msb 0                        ;  msbs: dst=0 src0=0 src1=0 src2=0
	v_bfe_i32 v2, v3, 8, 8
	v_add3_u32 v0, v0, v58, v59
	s_set_vgpr_msb 1                        ;  msbs: dst=0 src0=1 src1=0 src2=0
	v_mul_i32_i24_e32 v58, v131 /*v387*/, v198
	v_mul_i32_i24_e32 v59, v132 /*v388*/, v199
	s_set_vgpr_msb 64                       ;  msbs: dst=1 src0=0 src1=0 src2=0
	v_bfe_i32 v251 /*v507*/, v3, 16, 8
	v_lshrrev_b32_e32 v144 /*v400*/, 28, v9
	s_set_vgpr_msb 0                        ;  msbs: dst=0 src0=0 src1=0 src2=0
	v_add3_u32 v0, v0, v5, v1
	v_ashrrev_i32_e32 v7, 24, v7
	s_delay_alu instid0(VALU_DEP_2)
	v_add3_u32 v5, v0, v58, v59
	ds_load_2addr_b32 v[0:1], v4 offset0:4 offset1:5
	s_wait_dscnt 0x0
	s_set_vgpr_msb 64                       ;  msbs: dst=1 src0=0 src1=0 src2=0
	v_and_b32_e32 v133 /*v389*/, 15, v0
	v_bfe_u32 v134 /*v390*/, v0, 8, 4
	v_bfe_u32 v135 /*v391*/, v0, 24, 4
	;; [unrolled: 1-line block ×4, first 2 shown]
	s_set_vgpr_msb 1                        ;  msbs: dst=0 src0=1 src1=0 src2=0
	v_mul_i32_i24_e32 v58, v133 /*v389*/, v200
	v_mul_i32_i24_e32 v59, v134 /*v390*/, v201
	s_set_vgpr_msb 4                        ;  msbs: dst=0 src0=0 src1=1 src2=0
	v_mul_i32_i24_e32 v60, v204, v135 /*v391*/
	v_mul_i32_i24_e32 v61, v203, v136 /*v392*/
	s_set_vgpr_msb 64                       ;  msbs: dst=1 src0=0 src1=0 src2=0
	v_dual_lshrrev_b32 v145 /*v401*/, 28, v0 :: v_dual_bitop2_b32 v138 /*v394*/, 15, v1 bitop3:0x40
	s_set_vgpr_msb 0                        ;  msbs: dst=0 src0=0 src1=0 src2=0
	v_add3_u32 v5, v5, v59, v58
	s_set_vgpr_msb 4                        ;  msbs: dst=0 src0=0 src1=1 src2=0
	v_mul_i32_i24_e32 v59, v206, v137 /*v393*/
	s_set_vgpr_msb 64                       ;  msbs: dst=1 src0=0 src1=0 src2=0
	v_bfe_u32 v139 /*v395*/, v1, 24, 4
	s_set_vgpr_msb 4                        ;  msbs: dst=0 src0=0 src1=1 src2=0
	v_mul_i32_i24_e32 v58, v205, v138 /*v394*/
	s_set_vgpr_msb 64                       ;  msbs: dst=1 src0=0 src1=0 src2=0
	v_bfe_u32 v140 /*v396*/, v1, 16, 4
	s_set_vgpr_msb 0                        ;  msbs: dst=0 src0=0 src1=0 src2=0
	v_add3_u32 v5, v5, v61, v60
	s_set_vgpr_msb 64                       ;  msbs: dst=1 src0=0 src1=0 src2=0
	v_lshrrev_b32_e32 v146 /*v402*/, 28, v1
	s_set_vgpr_msb 4                        ;  msbs: dst=0 src0=0 src1=1 src2=0
	v_mul_i32_i24_e32 v60, v182, v139 /*v395*/
	v_mul_i32_i24_e32 v61, v181, v140 /*v396*/
	s_set_vgpr_msb 0                        ;  msbs: dst=0 src0=0 src1=0 src2=0
	v_add3_u32 v5, v5, v59, v58
	s_delay_alu instid0(VALU_DEP_1)
	v_add3_u32 v58, v5, v61, v60
	ds_load_2addr_b32 v[4:5], v4 offset0:6 offset1:7
	s_wait_dscnt 0x0
	s_set_vgpr_msb 64                       ;  msbs: dst=1 src0=0 src1=0 src2=0
	v_bfe_u32 v141 /*v397*/, v4, 8, 4
	v_and_b32_e32 v148 /*v404*/, 15, v4
	v_bfe_u32 v149 /*v405*/, v4, 24, 4
	v_bfe_u32 v152 /*v408*/, v4, 16, 4
	v_dual_lshrrev_b32 v147 /*v403*/, 28, v4 :: v_dual_bitop2_b32 v153 /*v409*/, 15, v5 bitop3:0x40
	s_set_vgpr_msb 4                        ;  msbs: dst=0 src0=0 src1=1 src2=0
	v_mul_i32_i24_e32 v59, v179, v148 /*v404*/
	v_mul_i32_i24_e32 v60, v180, v141 /*v397*/
	;; [unrolled: 1-line block ×4, first 2 shown]
	s_set_vgpr_msb 64                       ;  msbs: dst=1 src0=0 src1=0 src2=0
	v_bfe_u32 v154 /*v410*/, v5, 8, 4
	v_bfe_u32 v50 /*v306*/, v5, 16, 4
	s_set_vgpr_msb 0                        ;  msbs: dst=0 src0=0 src1=0 src2=0
	v_add3_u32 v58, v58, v60, v59
	s_set_vgpr_msb 64                       ;  msbs: dst=1 src0=0 src1=0 src2=0
	v_bfe_u32 v49 /*v305*/, v5, 24, 4
	v_bfe_u32 v151 /*v407*/, v5, 4, 4
	;; [unrolled: 1-line block ×4, first 2 shown]
	v_add3_u32 v185 /*v441*/, v58, v62, v61
	s_set_vgpr_msb 0                        ;  msbs: dst=0 src0=0 src1=0 src2=0
	ds_load_u16 v58, v43
	ds_load_u16 v43, v43 offset:8
	s_set_vgpr_msb 64                       ;  msbs: dst=1 src0=0 src1=0 src2=0
	v_lshrrev_b32_e32 v52 /*v308*/, 28, v5
	s_set_vgpr_msb 0                        ;  msbs: dst=0 src0=0 src1=0 src2=0
	v_add_nc_u32_e32 v5, s8, v168
	s_set_vgpr_msb 0x41                     ;  msbs: dst=1 src0=1 src1=0 src2=0
	v_mul_i32_i24_e32 v187 /*v443*/, v154 /*v410*/, v118
	v_mul_i32_i24_e32 v183 /*v439*/, v151 /*v407*/, v116
	;; [unrolled: 1-line block ×3, first 2 shown]
	s_set_vgpr_msb 0x44                     ;  msbs: dst=1 src0=0 src1=1 src2=0
	v_mul_i32_i24_e32 v255 /*v511*/, v2, v54 /*v310*/
	s_set_vgpr_msb 0                        ;  msbs: dst=0 src0=0 src1=0 src2=0
	ds_load_2addr_b32 v[112:113], v5 offset1:1
	ds_load_2addr_b32 v[114:115], v5 offset0:2 offset1:3
	ds_load_2addr_b32 v[120:121], v5 offset0:4 offset1:5
	;; [unrolled: 1-line block ×3, first 2 shown]
	s_set_vgpr_msb 5                        ;  msbs: dst=0 src0=1 src1=1 src2=0
	v_mul_i32_i24_e32 v76, v53 /*v309*/, v251 /*v507*/
	s_wait_dscnt 0x5
	s_set_vgpr_msb 0                        ;  msbs: dst=0 src0=0 src1=0 src2=0
	v_lshrrev_b16 v59, 8, v58
	s_set_vgpr_msb 64                       ;  msbs: dst=1 src0=0 src1=0 src2=0
	v_and_b32_e32 v48 /*v304*/, 0xff, v58
	s_set_vgpr_msb 0                        ;  msbs: dst=0 src0=0 src1=0 src2=0
	v_lshrrev_b32_e32 v58, 4, v10
	s_wait_dscnt 0x4
	v_cvt_f32_ubyte0_e32 v122, v43
	v_cvt_f32_ubyte1_e32 v124, v43
	s_set_vgpr_msb 64                       ;  msbs: dst=1 src0=0 src1=0 src2=0
	v_and_b32_e32 v51 /*v307*/, 0xffff, v59
	s_set_vgpr_msb 0                        ;  msbs: dst=0 src0=0 src1=0 src2=0
	v_add3_u32 v43, s9, v172, v144
	v_lshrrev_b16 v58, 8, v58
	s_wait_dscnt 0x3
	s_set_vgpr_msb 64                       ;  msbs: dst=1 src0=0 src1=0 src2=0
	v_and_b32_e32 v59 /*v315*/, 15, v112
	s_wait_dscnt 0x1
	v_dual_lshrrev_b32 v110 /*v366*/, 28, v121 :: v_dual_bitop2_b32 v66 /*v322*/, 15, v114 bitop3:0x40
	v_bfe_u32 v78 /*v334*/, v121, 8, 4
	v_dual_lshrrev_b32 v91 /*v347*/, 28, v112 :: v_dual_bitop2_b32 v155 /*v411*/, 15, v58 bitop3:0x40
	s_set_vgpr_msb 0                        ;  msbs: dst=0 src0=0 src1=0 src2=0
	v_lshrrev_b32_e32 v58, 4, v11
	s_set_vgpr_msb 64                       ;  msbs: dst=1 src0=0 src1=0 src2=0
	v_and_b32_e32 v79 /*v335*/, 15, v121
	v_bfe_u32 v80 /*v336*/, v121, 24, 4
	v_bfe_u32 v81 /*v337*/, v121, 16, 4
	;; [unrolled: 1-line block ×3, first 2 shown]
	s_set_vgpr_msb 0                        ;  msbs: dst=0 src0=0 src1=0 src2=0
	v_lshrrev_b16 v58, 8, v58
	s_set_vgpr_msb 64                       ;  msbs: dst=1 src0=0 src1=0 src2=0
	v_bfe_u32 v109 /*v365*/, v121, 12, 4
	v_bfe_u32 v111 /*v367*/, v121, 20, 4
	s_wait_dscnt 0x0
	s_set_vgpr_msb 0                        ;  msbs: dst=0 src0=0 src1=0 src2=0
	v_lshrrev_b32_e32 v121, 28, v175
	s_set_vgpr_msb 64                       ;  msbs: dst=1 src0=0 src1=0 src2=0
	v_bfe_u32 v58 /*v314*/, v112, 8, 4
	v_dual_lshrrev_b32 v96 /*v352*/, 28, v113 :: v_dual_bitop2_b32 v192 /*v448*/, 15, v58 bitop3:0x40
	s_set_vgpr_msb 0                        ;  msbs: dst=0 src0=0 src1=0 src2=0
	v_lshrrev_b32_e32 v58, 4, v8
	s_set_vgpr_msb 64                       ;  msbs: dst=1 src0=0 src1=0 src2=0
	v_bfe_u32 v60 /*v316*/, v112, 16, 4
	v_bfe_u32 v61 /*v317*/, v112, 24, 4
	v_dual_lshrrev_b32 v100 /*v356*/, 28, v114 :: v_dual_bitop2_b32 v62 /*v318*/, 15, v113 bitop3:0x40
	s_set_vgpr_msb 1                        ;  msbs: dst=0 src0=1 src1=0 src2=0
	v_lshrrev_b16 v58, 8, v58
	v_mul_i32_i24_e32 v59, v60 /*v316*/, v186
	v_mul_i32_i24_e32 v60, v61 /*v317*/, v202
	s_set_vgpr_msb 64                       ;  msbs: dst=1 src0=0 src1=0 src2=0
	v_bfe_u32 v63 /*v319*/, v113, 8, 4
	v_bfe_u32 v64 /*v320*/, v113, 16, 4
	v_dual_lshrrev_b32 v103 /*v359*/, 28, v115 :: v_dual_bitop2_b32 v191 /*v447*/, 15, v58 bitop3:0x40
	s_set_vgpr_msb 0                        ;  msbs: dst=0 src0=0 src1=0 src2=0
	v_lshrrev_b32_e32 v58, 4, v9
	s_set_vgpr_msb 64                       ;  msbs: dst=1 src0=0 src1=0 src2=0
	v_bfe_u32 v65 /*v321*/, v113, 24, 4
	s_set_vgpr_msb 1                        ;  msbs: dst=0 src0=1 src1=0 src2=0
	v_mul_i32_i24_e32 v61, v64 /*v320*/, v190
	s_set_vgpr_msb 64                       ;  msbs: dst=1 src0=0 src1=0 src2=0
	v_bfe_u32 v67 /*v323*/, v114, 8, 4
	v_bfe_u32 v68 /*v324*/, v114, 16, 4
	s_set_vgpr_msb 1                        ;  msbs: dst=0 src0=1 src1=0 src2=0
	v_lshrrev_b16 v58, 8, v58
	v_mul_i32_i24_e32 v62, v65 /*v321*/, v191
	s_set_vgpr_msb 64                       ;  msbs: dst=1 src0=0 src1=0 src2=0
	v_bfe_u32 v69 /*v325*/, v114, 24, 4
	v_dual_lshrrev_b32 v114 /*v370*/, 28, v174 :: v_dual_bitop2_b32 v70 /*v326*/, 15, v115 bitop3:0x40
	v_dual_lshrrev_b32 v106 /*v362*/, 28, v120 :: v_dual_bitop2_b32 v190 /*v446*/, 15, v58 bitop3:0x40
	s_set_vgpr_msb 0                        ;  msbs: dst=0 src0=0 src1=0 src2=0
	v_lshrrev_b32_e32 v58, 4, v0
	s_set_vgpr_msb 64                       ;  msbs: dst=1 src0=0 src1=0 src2=0
	v_bfe_u32 v71 /*v327*/, v115, 8, 4
	v_bfe_u32 v72 /*v328*/, v115, 16, 4
	;; [unrolled: 1-line block ×3, first 2 shown]
	v_and_b32_e32 v74 /*v330*/, 15, v120
	s_set_vgpr_msb 0                        ;  msbs: dst=0 src0=0 src1=0 src2=0
	v_lshrrev_b16 v58, 8, v58
	s_set_vgpr_msb 64                       ;  msbs: dst=1 src0=0 src1=0 src2=0
	v_bfe_u32 v75 /*v331*/, v120, 8, 4
	v_bfe_u32 v76 /*v332*/, v120, 24, 4
	;; [unrolled: 1-line block ×4, first 2 shown]
	v_and_b32_e32 v189 /*v445*/, 15, v58
	s_set_vgpr_msb 0                        ;  msbs: dst=0 src0=0 src1=0 src2=0
	v_lshrrev_b32_e32 v58, 4, v1
	s_set_vgpr_msb 64                       ;  msbs: dst=1 src0=0 src1=0 src2=0
	v_and_b32_e32 v83 /*v339*/, 15, v174
	v_bfe_u32 v84 /*v340*/, v174, 24, 4
	v_bfe_u32 v86 /*v342*/, v174, 16, 4
	;; [unrolled: 1-line block ×3, first 2 shown]
	s_set_vgpr_msb 0                        ;  msbs: dst=0 src0=0 src1=0 src2=0
	v_lshrrev_b16 v58, 8, v58
	s_set_vgpr_msb 4                        ;  msbs: dst=0 src0=0 src1=1 src2=0
	v_mul_i32_i24_e32 v5, v179, v83 /*v339*/
	s_set_vgpr_msb 64                       ;  msbs: dst=1 src0=0 src1=0 src2=0
	v_bfe_u32 v85 /*v341*/, v112, 20, 4
	v_bfe_u32 v87 /*v343*/, v112, 12, 4
	;; [unrolled: 1-line block ×3, first 2 shown]
	v_and_b32_e32 v188 /*v444*/, 15, v58
	s_set_vgpr_msb 0                        ;  msbs: dst=0 src0=0 src1=0 src2=0
	v_lshrrev_b32_e32 v58, 4, v4
	s_set_vgpr_msb 64                       ;  msbs: dst=1 src0=0 src1=0 src2=0
	v_bfe_u32 v94 /*v350*/, v113, 12, 4
	v_bfe_u32 v89 /*v345*/, v113, 20, 4
	s_set_vgpr_msb 5                        ;  msbs: dst=0 src0=1 src1=1 src2=0
	v_mul_i32_i24_e32 v65, v96 /*v352*/, v181 /*v437*/
	s_set_vgpr_msb 64                       ;  msbs: dst=1 src0=0 src1=0 src2=0
	v_bfe_u32 v97 /*v353*/, v114, 4, 4
	s_set_vgpr_msb 0                        ;  msbs: dst=0 src0=0 src1=0 src2=0
	v_lshrrev_b16 v58, 8, v58
	s_set_vgpr_msb 64                       ;  msbs: dst=1 src0=0 src1=0 src2=0
	v_bfe_u32 v98 /*v354*/, v114, 12, 4
	s_set_vgpr_msb 5                        ;  msbs: dst=0 src0=1 src1=1 src2=0
	v_mul_i32_i24_e32 v64, v89 /*v345*/, v163 /*v419*/
	s_set_vgpr_msb 64                       ;  msbs: dst=1 src0=0 src1=0 src2=0
	v_bfe_u32 v95 /*v351*/, v114, 20, 4
	s_set_vgpr_msb 5                        ;  msbs: dst=0 src0=1 src1=1 src2=0
	v_mul_i32_i24_e32 v66, v97 /*v353*/, v164 /*v420*/
	s_set_vgpr_msb 64                       ;  msbs: dst=1 src0=0 src1=0 src2=0
	v_and_b32_e32 v184 /*v440*/, 15, v58
	s_set_vgpr_msb 1                        ;  msbs: dst=0 src0=1 src1=0 src2=0
	v_mul_i32_i24_e32 v58, v59 /*v315*/, v183
	s_set_vgpr_msb 5                        ;  msbs: dst=0 src0=1 src1=1 src2=0
	v_mul_i32_i24_e32 v68, v98 /*v354*/, v165 /*v421*/
	v_mul_i32_i24_e32 v69, v95 /*v351*/, v166 /*v422*/
	;; [unrolled: 1-line block ×3, first 2 shown]
	s_set_vgpr_msb 64                       ;  msbs: dst=1 src0=0 src1=0 src2=0
	v_bfe_u32 v101 /*v357*/, v115, 4, 4
	s_set_vgpr_msb 1                        ;  msbs: dst=0 src0=1 src1=0 src2=0
	v_mad_i32_i24 v58, v58 /*v314*/, v187, v58
	s_set_vgpr_msb 64                       ;  msbs: dst=1 src0=0 src1=0 src2=0
	v_bfe_u32 v102 /*v358*/, v115, 12, 4
	v_bfe_u32 v99 /*v355*/, v115, 20, 4
	s_set_vgpr_msb 5                        ;  msbs: dst=0 src0=1 src1=1 src2=0
	v_mul_i32_i24_e32 v112, v103 /*v359*/, v179 /*v435*/
	v_mul_i32_i24_e32 v72, v101 /*v357*/, v168 /*v424*/
	s_set_vgpr_msb 0                        ;  msbs: dst=0 src0=0 src1=0 src2=0
	v_add3_u32 v58, v58, v59, v60
	s_set_vgpr_msb 1                        ;  msbs: dst=0 src0=1 src1=0 src2=0
	v_mul_i32_i24_e32 v59, v62 /*v318*/, v188
	v_mul_i32_i24_e32 v60, v63 /*v319*/, v189
	s_set_vgpr_msb 5                        ;  msbs: dst=0 src0=1 src1=1 src2=0
	v_mul_i32_i24_e32 v91, v102 /*v358*/, v169 /*v425*/
	v_mul_i32_i24_e32 v93, v99 /*v355*/, v178 /*v434*/
	s_set_vgpr_msb 64                       ;  msbs: dst=1 src0=0 src1=0 src2=0
	v_bfe_u32 v104 /*v360*/, v120, 4, 4
	v_bfe_u32 v105 /*v361*/, v120, 12, 4
	s_set_vgpr_msb 0                        ;  msbs: dst=0 src0=0 src1=0 src2=0
	v_add3_u32 v58, v58, v60, v59
	s_set_vgpr_msb 1                        ;  msbs: dst=0 src0=1 src1=0 src2=0
	v_mul_i32_i24_e32 v59, v66 /*v322*/, v192
	v_mul_i32_i24_e32 v60, v67 /*v323*/, v193
	s_set_vgpr_msb 5                        ;  msbs: dst=0 src0=1 src1=1 src2=0
	v_mul_i32_i24_e32 v114, v170 /*v426*/, v104 /*v360*/
	v_mul_i32_i24_e32 v113, v171 /*v427*/, v105 /*v361*/
	s_set_vgpr_msb 0                        ;  msbs: dst=0 src0=0 src1=0 src2=0
	v_add3_u32 v58, v58, v61, v62
	s_set_vgpr_msb 1                        ;  msbs: dst=0 src0=1 src1=0 src2=0
	v_mul_i32_i24_e32 v61, v68 /*v324*/, v194
	v_mul_i32_i24_e32 v62, v69 /*v325*/, v195
	s_set_vgpr_msb 64                       ;  msbs: dst=1 src0=0 src1=0 src2=0
	v_bfe_u32 v107 /*v363*/, v120, 20, 4
	s_set_vgpr_msb 5                        ;  msbs: dst=0 src0=1 src1=1 src2=0
	v_mul_i32_i24_e32 v115, v177 /*v433*/, v106 /*v362*/
	s_set_vgpr_msb 0                        ;  msbs: dst=0 src0=0 src1=0 src2=0
	v_add3_u32 v58, v58, v60, v59
	s_set_vgpr_msb 1                        ;  msbs: dst=0 src0=1 src1=0 src2=0
	v_mul_i32_i24_e32 v59, v70 /*v326*/, v196
	v_mul_i32_i24_e32 v60, v71 /*v327*/, v197
	s_set_vgpr_msb 5                        ;  msbs: dst=0 src0=1 src1=1 src2=0
	v_mul_i32_i24_e32 v117, v172 /*v428*/, v107 /*v363*/
	v_mul_i32_i24_e32 v119, v174 /*v430*/, v109 /*v365*/
	s_set_vgpr_msb 0                        ;  msbs: dst=0 src0=0 src1=0 src2=0
	v_add3_u32 v58, v58, v61, v62
	s_set_vgpr_msb 1                        ;  msbs: dst=0 src0=1 src1=0 src2=0
	v_mul_i32_i24_e32 v61, v72 /*v328*/, v198
	v_mul_i32_i24_e32 v62, v73 /*v329*/, v199
	s_set_vgpr_msb 5                        ;  msbs: dst=0 src0=1 src1=1 src2=0
	v_mul_i32_i24_e32 v120, v173 /*v429*/, v108 /*v364*/
	;; [unrolled: 8-line block ×3, first 2 shown]
	s_set_vgpr_msb 64                       ;  msbs: dst=1 src0=0 src1=0 src2=0
	v_bfe_u32 v112 /*v368*/, v174, 4, 4
	s_set_vgpr_msb 0                        ;  msbs: dst=0 src0=0 src1=0 src2=0
	v_add3_u32 v58, v58, v61, v62
	s_set_vgpr_msb 4                        ;  msbs: dst=0 src0=0 src1=1 src2=0
	v_mul_i32_i24_e32 v61, v204, v76 /*v332*/
	v_mul_i32_i24_e32 v62, v203, v77 /*v333*/
	s_set_vgpr_msb 64                       ;  msbs: dst=1 src0=0 src1=0 src2=0
	v_bfe_u32 v113 /*v369*/, v174, 12, 4
	s_set_vgpr_msb 4                        ;  msbs: dst=0 src0=0 src1=1 src2=0
	v_mul_i32_i24_e32 v151, v12, v112 /*v368*/
	s_set_vgpr_msb 0                        ;  msbs: dst=0 src0=0 src1=0 src2=0
	v_add3_u32 v58, v58, v60, v59
	s_set_vgpr_msb 4                        ;  msbs: dst=0 src0=0 src1=1 src2=0
	v_mul_i32_i24_e32 v59, v205, v79 /*v335*/
	v_mul_i32_i24_e32 v60, v206, v78 /*v334*/
	;; [unrolled: 1-line block ×3, first 2 shown]
	s_set_vgpr_msb 64                       ;  msbs: dst=1 src0=0 src1=0 src2=0
	v_bfe_u32 v115 /*v371*/, v174, 20, 4
	s_set_vgpr_msb 0                        ;  msbs: dst=0 src0=0 src1=0 src2=0
	v_add3_u32 v58, v58, v62, v61
	s_set_vgpr_msb 4                        ;  msbs: dst=0 src0=0 src1=1 src2=0
	v_mul_i32_i24_e32 v61, v182, v80 /*v336*/
	v_mul_i32_i24_e32 v62, v181, v81 /*v337*/
	;; [unrolled: 1-line block ×4, first 2 shown]
	s_set_vgpr_msb 0                        ;  msbs: dst=0 src0=0 src1=0 src2=0
	v_add3_u32 v58, v58, v60, v59
	s_set_vgpr_msb 4                        ;  msbs: dst=0 src0=0 src1=1 src2=0
	v_mul_i32_i24_e32 v59, v180, v82 /*v338*/
	v_mul_i32_i24_e32 v60, v178, v84 /*v340*/
	s_set_vgpr_msb 64                       ;  msbs: dst=1 src0=0 src1=0 src2=0
	v_bfe_u32 v92 /*v348*/, v175, 8, 4
	v_bfe_u32 v57 /*v313*/, v175, 16, 4
	s_set_vgpr_msb 0                        ;  msbs: dst=0 src0=0 src1=0 src2=0
	v_add3_u32 v58, v58, v62, v61
	s_set_vgpr_msb 4                        ;  msbs: dst=0 src0=0 src1=1 src2=0
	v_mul_i32_i24_e32 v61, v177, v86 /*v342*/
	s_set_vgpr_msb 5                        ;  msbs: dst=0 src0=1 src1=1 src2=0
	v_mul_i32_i24_e32 v62, v91 /*v347*/, v182 /*v438*/
	s_set_vgpr_msb 64                       ;  msbs: dst=1 src0=0 src1=0 src2=0
	v_bfe_u32 v56 /*v312*/, v175, 24, 4
	v_bfe_u32 v116 /*v372*/, v175, 4, 4
	s_set_vgpr_msb 0                        ;  msbs: dst=0 src0=0 src1=0 src2=0
	v_add3_u32 v5, v58, v59, v5
	ds_load_u16 v58, v43
	ds_load_u16 v43, v43 offset:8
	v_bfe_u32 v174, v175, 12, 4
	v_bfe_u32 v173, v175, 20, 4
	s_set_vgpr_msb 0x41                     ;  msbs: dst=1 src0=1 src1=0 src2=0
	v_mul_i32_i24_e32 v193 /*v449*/, v92 /*v348*/, v118
	s_set_vgpr_msb 0                        ;  msbs: dst=0 src0=0 src1=0 src2=0
	v_add3_u32 v5, v5, v61, v60
	s_set_vgpr_msb 5                        ;  msbs: dst=0 src0=1 src1=1 src2=0
	v_mul_i32_i24_e32 v61, v85 /*v341*/, v160 /*v416*/
	s_set_vgpr_msb 0x41                     ;  msbs: dst=1 src0=1 src1=0 src2=0
	v_mul_i32_i24_e32 v194 /*v450*/, v116 /*v372*/, v116
	s_set_vgpr_msb 0x44                     ;  msbs: dst=1 src0=0 src1=1 src2=0
	v_and_b32_e32 v155 /*v411*/, 0xffff, v155 /*v411*/
	s_wait_dscnt 0x1
	s_set_vgpr_msb 0                        ;  msbs: dst=0 src0=0 src1=0 src2=0
	v_lshrrev_b16 v60, 8, v58
	s_set_vgpr_msb 64                       ;  msbs: dst=1 src0=0 src1=0 src2=0
	v_and_b32_e32 v55 /*v311*/, 0xff, v58
	s_set_vgpr_msb 5                        ;  msbs: dst=0 src0=1 src1=1 src2=0
	v_mul_i32_i24_e32 v58, v88 /*v344*/, v159 /*v415*/
	s_wait_dscnt 0x0
	s_set_vgpr_msb 0                        ;  msbs: dst=0 src0=0 src1=0 src2=0
	v_cvt_f32_ubyte0_e32 v126, v43
	s_set_vgpr_msb 5                        ;  msbs: dst=0 src0=1 src1=1 src2=0
	v_mad_i32_i24 v58, v87 /*v343*/, v158 /*v414*/, v58
	s_set_vgpr_msb 0                        ;  msbs: dst=0 src0=0 src1=0 src2=0
	s_delay_alu instid0(VALU_DEP_1) | instskip(SKIP_4) | instid1(VALU_DEP_1)
	v_add3_u32 v58, v58, v61, v62
	s_set_vgpr_msb 5                        ;  msbs: dst=0 src0=1 src1=1 src2=0
	v_mul_i32_i24_e32 v61, v93 /*v349*/, v161 /*v417*/
	v_mul_i32_i24_e32 v62, v94 /*v350*/, v162 /*v418*/
	s_set_vgpr_msb 0                        ;  msbs: dst=0 src0=0 src1=0 src2=0
	v_add3_u32 v58, v58, v61, v62
	s_delay_alu instid0(VALU_DEP_1) | instskip(NEXT) | instid1(VALU_DEP_1)
	v_add3_u32 v58, v58, v64, v65
	v_add3_u32 v58, v58, v66, v68
	s_delay_alu instid0(VALU_DEP_1) | instskip(NEXT) | instid1(VALU_DEP_1)
	v_add3_u32 v58, v58, v69, v70
	;; [unrolled: 3-line block ×4, first 2 shown]
	v_add3_u32 v58, v58, v120, v119
	v_cvt_f32_ubyte1_e32 v120, v43
	v_add3_u32 v43, s9, v165, v145
	s_delay_alu instid0(VALU_DEP_3) | instskip(NEXT) | instid1(VALU_DEP_1)
	v_add3_u32 v58, v58, v149, v148
	v_add3_u32 v58, v58, v151, v150
	s_set_vgpr_msb 64                       ;  msbs: dst=1 src0=0 src1=0 src2=0
	s_delay_alu instid0(VALU_DEP_1)
	v_add3_u32 v195 /*v451*/, v58, v153, v152
	s_set_vgpr_msb 0                        ;  msbs: dst=0 src0=0 src1=0 src2=0
	v_add_nc_u32_e32 v58, s8, v169
	ds_load_2addr_b32 v[114:115], v58 offset1:1
	ds_load_2addr_b32 v[184:185], v58 offset0:2 offset1:3
	ds_load_2addr_b32 v[208:209], v58 offset0:4 offset1:5
	;; [unrolled: 1-line block ×3, first 2 shown]
	s_set_vgpr_msb 64                       ;  msbs: dst=1 src0=0 src1=0 src2=0
	v_and_b32_e32 v90 /*v346*/, 15, v175
	s_set_vgpr_msb 0                        ;  msbs: dst=0 src0=0 src1=0 src2=0
	v_and_b32_e32 v175, 0xffff, v60
	s_wait_dscnt 0x3
	v_and_b32_e32 v246, 15, v114
	v_bfe_u32 v245, v114, 8, 4
	v_bfe_u32 v247, v114, 16, 4
	;; [unrolled: 1-line block ×3, first 2 shown]
	v_and_b32_e32 v249, 15, v115
	v_mul_i32_i24_e32 v60, v246, v183
	v_bfe_u32 v250, v115, 8, 4
	v_mul_i32_i24_e32 v61, v247, v186
	v_mul_i32_i24_e32 v62, v248, v202
	v_bfe_u32 v251, v115, 16, 4
	v_mad_i32_i24 v60, v245, v187, v60
	v_bfe_u32 v252, v115, 24, 4
	s_wait_dscnt 0x2
	v_and_b32_e32 v253, 15, v184
	v_bfe_u32 v254, v184, 8, 4
	v_mul_i32_i24_e32 v64, v251, v190
	v_add3_u32 v60, v60, v61, v62
	v_mul_i32_i24_e32 v61, v249, v188
	v_mul_i32_i24_e32 v62, v250, v189
	;; [unrolled: 1-line block ×3, first 2 shown]
	v_bfe_u32 v255, v184, 16, 4
	s_set_vgpr_msb 64                       ;  msbs: dst=1 src0=0 src1=0 src2=0
	v_bfe_u32 v0 /*v256*/, v184, 24, 4
	v_and_b32_e32 v1 /*v257*/, 15, v185
	s_set_vgpr_msb 0                        ;  msbs: dst=0 src0=0 src1=0 src2=0
	v_add3_u32 v60, v60, v62, v61
	v_mul_i32_i24_e32 v61, v253, v192
	v_mul_i32_i24_e32 v62, v254, v193
	s_set_vgpr_msb 64                       ;  msbs: dst=1 src0=0 src1=0 src2=0
	v_bfe_u32 v2 /*v258*/, v185, 8, 4
	v_bfe_u32 v3 /*v259*/, v185, 16, 4
	s_set_vgpr_msb 0                        ;  msbs: dst=0 src0=0 src1=0 src2=0
	v_add3_u32 v60, v60, v64, v65
	v_mul_i32_i24_e32 v64, v255, v194
	s_set_vgpr_msb 1                        ;  msbs: dst=0 src0=1 src1=0 src2=0
	v_mul_i32_i24_e32 v65, v0 /*v256*/, v195
	s_set_vgpr_msb 64                       ;  msbs: dst=1 src0=0 src1=0 src2=0
	v_bfe_u32 v4 /*v260*/, v185, 24, 4
	s_wait_dscnt 0x1
	v_and_b32_e32 v5 /*v261*/, 15, v208
	s_set_vgpr_msb 0                        ;  msbs: dst=0 src0=0 src1=0 src2=0
	v_add3_u32 v60, v60, v62, v61
	s_set_vgpr_msb 1                        ;  msbs: dst=0 src0=1 src1=0 src2=0
	v_mul_i32_i24_e32 v61, v1 /*v257*/, v196
	v_mul_i32_i24_e32 v62, v2 /*v258*/, v197
	s_set_vgpr_msb 64                       ;  msbs: dst=1 src0=0 src1=0 src2=0
	v_bfe_u32 v6 /*v262*/, v208, 8, 4
	v_bfe_u32 v7 /*v263*/, v208, 24, 4
	s_set_vgpr_msb 0                        ;  msbs: dst=0 src0=0 src1=0 src2=0
	v_add3_u32 v60, v60, v64, v65
	s_set_vgpr_msb 1                        ;  msbs: dst=0 src0=1 src1=0 src2=0
	v_mul_i32_i24_e32 v64, v3 /*v259*/, v198
	v_mul_i32_i24_e32 v65, v4 /*v260*/, v199
	s_set_vgpr_msb 64                       ;  msbs: dst=1 src0=0 src1=0 src2=0
	v_bfe_u32 v8 /*v264*/, v208, 16, 4
	v_bfe_u32 v9 /*v265*/, v209, 8, 4
	s_set_vgpr_msb 0                        ;  msbs: dst=0 src0=0 src1=0 src2=0
	v_add3_u32 v60, v60, v62, v61
	s_set_vgpr_msb 1                        ;  msbs: dst=0 src0=1 src1=0 src2=0
	v_mul_i32_i24_e32 v61, v5 /*v261*/, v200
	v_mul_i32_i24_e32 v62, v6 /*v262*/, v201
	s_set_vgpr_msb 64                       ;  msbs: dst=1 src0=0 src1=0 src2=0
	v_and_b32_e32 v10 /*v266*/, 15, v209
	v_bfe_u32 v11 /*v267*/, v209, 24, 4
	s_set_vgpr_msb 0                        ;  msbs: dst=0 src0=0 src1=0 src2=0
	v_add3_u32 v60, v60, v64, v65
	s_set_vgpr_msb 4                        ;  msbs: dst=0 src0=0 src1=1 src2=0
	v_mul_i32_i24_e32 v64, v204, v7 /*v263*/
	v_mul_i32_i24_e32 v65, v203, v8 /*v264*/
	s_set_vgpr_msb 64                       ;  msbs: dst=1 src0=0 src1=0 src2=0
	v_bfe_u32 v12 /*v268*/, v209, 16, 4
	s_wait_dscnt 0x0
	v_bfe_u32 v13 /*v269*/, v210, 8, 4
	s_set_vgpr_msb 0                        ;  msbs: dst=0 src0=0 src1=0 src2=0
	v_add3_u32 v60, v60, v62, v61
	s_set_vgpr_msb 4                        ;  msbs: dst=0 src0=0 src1=1 src2=0
	v_mul_i32_i24_e32 v61, v205, v10 /*v266*/
	v_mul_i32_i24_e32 v62, v206, v9 /*v265*/
	s_set_vgpr_msb 64                       ;  msbs: dst=1 src0=0 src1=0 src2=0
	v_and_b32_e32 v14 /*v270*/, 15, v210
	v_bfe_u32 v15 /*v271*/, v210, 24, 4
	s_set_vgpr_msb 0                        ;  msbs: dst=0 src0=0 src1=0 src2=0
	v_add3_u32 v60, v60, v65, v64
	s_set_vgpr_msb 4                        ;  msbs: dst=0 src0=0 src1=1 src2=0
	v_mul_i32_i24_e32 v64, v182, v11 /*v267*/
	v_mul_i32_i24_e32 v65, v181, v12 /*v268*/
	;; [unrolled: 1-line block ×3, first 2 shown]
	s_set_vgpr_msb 64                       ;  msbs: dst=1 src0=0 src1=0 src2=0
	v_bfe_u32 v17 /*v273*/, v210, 16, 4
	s_set_vgpr_msb 0                        ;  msbs: dst=0 src0=0 src1=0 src2=0
	v_add3_u32 v60, v60, v62, v61
	s_set_vgpr_msb 4                        ;  msbs: dst=0 src0=0 src1=1 src2=0
	v_mul_i32_i24_e32 v61, v180, v13 /*v269*/
	v_mul_i32_i24_e32 v62, v178, v15 /*v271*/
	s_set_vgpr_msb 64                       ;  msbs: dst=1 src0=0 src1=0 src2=0
	v_bfe_u32 v19 /*v275*/, v114, 4, 4
	v_bfe_u32 v16 /*v272*/, v114, 20, 4
	s_set_vgpr_msb 0                        ;  msbs: dst=0 src0=0 src1=0 src2=0
	v_add3_u32 v60, v60, v65, v64
	s_set_vgpr_msb 4                        ;  msbs: dst=0 src0=0 src1=1 src2=0
	v_mul_i32_i24_e32 v64, v177, v17 /*v273*/
	s_set_vgpr_msb 64                       ;  msbs: dst=1 src0=0 src1=0 src2=0
	v_bfe_u32 v18 /*v274*/, v114, 12, 4
	v_lshrrev_b32_e32 v22 /*v278*/, 28, v114
	v_bfe_u32 v24 /*v280*/, v115, 4, 4
	s_set_vgpr_msb 0                        ;  msbs: dst=0 src0=0 src1=0 src2=0
	v_add3_u32 v58, v60, v61, v58
	s_set_vgpr_msb 5                        ;  msbs: dst=0 src0=1 src1=1 src2=0
	v_mul_i32_i24_e32 v61, v16 /*v272*/, v160 /*v416*/
	s_set_vgpr_msb 64                       ;  msbs: dst=1 src0=0 src1=0 src2=0
	v_bfe_u32 v25 /*v281*/, v115, 12, 4
	v_bfe_u32 v20 /*v276*/, v115, 20, 4
	v_lshrrev_b32_e32 v27 /*v283*/, 28, v115
	v_add3_u32 v196 /*v452*/, v58, v64, v62
	s_set_vgpr_msb 0                        ;  msbs: dst=0 src0=0 src1=0 src2=0
	ds_load_u16 v58, v43
	ds_load_u16 v43, v43 offset:8
	s_set_vgpr_msb 5                        ;  msbs: dst=0 src0=1 src1=1 src2=0
	v_mul_i32_i24_e32 v62, v22 /*v278*/, v182 /*v438*/
	v_mul_i32_i24_e32 v64, v20 /*v276*/, v163 /*v419*/
	;; [unrolled: 1-line block ×3, first 2 shown]
	s_set_vgpr_msb 64                       ;  msbs: dst=1 src0=0 src1=0 src2=0
	v_bfe_u32 v28 /*v284*/, v184, 4, 4
	v_bfe_u32 v29 /*v285*/, v184, 12, 4
	;; [unrolled: 1-line block ×3, first 2 shown]
	v_lshrrev_b32_e32 v31 /*v287*/, 28, v184
	v_bfe_u32 v32 /*v288*/, v185, 4, 4
	s_set_vgpr_msb 5                        ;  msbs: dst=0 src0=1 src1=1 src2=0
	v_mul_i32_i24_e32 v66, v28 /*v284*/, v164 /*v420*/
	v_mul_i32_i24_e32 v68, v29 /*v285*/, v165 /*v421*/
	;; [unrolled: 1-line block ×4, first 2 shown]
	s_set_vgpr_msb 64                       ;  msbs: dst=1 src0=0 src1=0 src2=0
	v_bfe_u32 v33 /*v289*/, v185, 12, 4
	v_bfe_u32 v30 /*v286*/, v185, 20, 4
	s_set_vgpr_msb 5                        ;  msbs: dst=0 src0=1 src1=1 src2=0
	v_mul_i32_i24_e32 v72, v32 /*v288*/, v168 /*v424*/
	s_set_vgpr_msb 64                       ;  msbs: dst=1 src0=0 src1=0 src2=0
	v_lshrrev_b32_e32 v34 /*v290*/, 28, v185
	v_bfe_u32 v35 /*v291*/, v208, 4, 4
	s_set_vgpr_msb 5                        ;  msbs: dst=0 src0=1 src1=1 src2=0
	v_mul_i32_i24_e32 v91, v33 /*v289*/, v169 /*v425*/
	s_wait_dscnt 0x1
	s_set_vgpr_msb 0                        ;  msbs: dst=0 src0=0 src1=0 src2=0
	v_lshrrev_b16 v60, 8, v58
	v_and_b32_e32 v242, 0xff, v58
	s_set_vgpr_msb 5                        ;  msbs: dst=0 src0=1 src1=1 src2=0
	v_mul_i32_i24_e32 v58, v19 /*v275*/, v159 /*v415*/
	v_mul_i32_i24_e32 v93, v30 /*v286*/, v178 /*v434*/
	;; [unrolled: 1-line block ×3, first 2 shown]
	s_set_vgpr_msb 64                       ;  msbs: dst=1 src0=0 src1=0 src2=0
	v_bfe_u32 v36 /*v292*/, v208, 12, 4
	s_set_vgpr_msb 5                        ;  msbs: dst=0 src0=1 src1=1 src2=0
	v_mul_i32_i24_e32 v148, v170 /*v426*/, v35 /*v291*/
	v_mad_i32_i24 v58, v18 /*v274*/, v158 /*v414*/, v58
	s_set_vgpr_msb 64                       ;  msbs: dst=1 src0=0 src1=0 src2=0
	v_lshrrev_b32_e32 v37 /*v293*/, 28, v208
	v_bfe_u32 v38 /*v294*/, v208, 20, 4
	s_set_vgpr_msb 5                        ;  msbs: dst=0 src0=1 src1=1 src2=0
	v_mul_i32_i24_e32 v119, v171 /*v427*/, v36 /*v292*/
	s_set_vgpr_msb 64                       ;  msbs: dst=1 src0=0 src1=0 src2=0
	v_bfe_u32 v39 /*v295*/, v209, 4, 4
	s_set_vgpr_msb 0                        ;  msbs: dst=0 src0=0 src1=0 src2=0
	v_add3_u32 v58, v58, v61, v62
	s_set_vgpr_msb 5                        ;  msbs: dst=0 src0=1 src1=1 src2=0
	v_mul_i32_i24_e32 v61, v24 /*v280*/, v161 /*v417*/
	v_mul_i32_i24_e32 v62, v25 /*v281*/, v162 /*v418*/
	;; [unrolled: 1-line block ×4, first 2 shown]
	s_set_vgpr_msb 64                       ;  msbs: dst=1 src0=0 src1=0 src2=0
	v_bfe_u32 v40 /*v296*/, v209, 12, 4
	s_set_vgpr_msb 5                        ;  msbs: dst=0 src0=1 src1=1 src2=0
	v_mul_i32_i24_e32 v152, v173 /*v429*/, v39 /*v295*/
	s_set_vgpr_msb 0                        ;  msbs: dst=0 src0=0 src1=0 src2=0
	v_add3_u32 v58, v58, v61, v62
	s_set_vgpr_msb 64                       ;  msbs: dst=1 src0=0 src1=0 src2=0
	v_lshrrev_b32_e32 v41 /*v297*/, 28, v209
	v_bfe_u32 v42 /*v298*/, v209, 20, 4
	s_set_vgpr_msb 5                        ;  msbs: dst=0 src0=1 src1=1 src2=0
	v_mul_i32_i24_e32 v151, v174 /*v430*/, v40 /*v296*/
	s_set_vgpr_msb 64                       ;  msbs: dst=1 src0=0 src1=0 src2=0
	v_bfe_u32 v43 /*v299*/, v210, 4, 4
	s_set_vgpr_msb 0                        ;  msbs: dst=0 src0=0 src1=0 src2=0
	v_add3_u32 v58, v58, v64, v65
	s_set_vgpr_msb 5                        ;  msbs: dst=0 src0=1 src1=1 src2=0
	v_mul_i32_i24_e32 v153, v176 /*v432*/, v41 /*v297*/
	v_mul_i32_i24_e32 v154, v175 /*v431*/, v42 /*v298*/
	s_set_vgpr_msb 64                       ;  msbs: dst=1 src0=0 src1=0 src2=0
	v_bfe_u32 v44 /*v300*/, v210, 12, 4
	s_set_vgpr_msb 4                        ;  msbs: dst=0 src0=0 src1=1 src2=0
	v_mul_i32_i24_e32 v156, v12, v43 /*v299*/
	s_set_vgpr_msb 0                        ;  msbs: dst=0 src0=0 src1=0 src2=0
	v_add3_u32 v58, v58, v66, v68
	s_set_vgpr_msb 64                       ;  msbs: dst=1 src0=0 src1=0 src2=0
	v_lshrrev_b32_e32 v45 /*v301*/, 28, v210
	v_bfe_u32 v46 /*v302*/, v210, 20, 4
	s_set_vgpr_msb 4                        ;  msbs: dst=0 src0=0 src1=1 src2=0
	v_mul_i32_i24_e32 v155, v13, v44 /*v300*/
	s_set_vgpr_msb 64                       ;  msbs: dst=1 src0=0 src1=0 src2=0
	v_and_b32_e32 v21 /*v277*/, 15, v211
	s_set_vgpr_msb 0                        ;  msbs: dst=0 src0=0 src1=0 src2=0
	v_add3_u32 v58, v58, v69, v70
	s_set_vgpr_msb 4                        ;  msbs: dst=0 src0=0 src1=1 src2=0
	v_mul_i32_i24_e32 v157, v15, v45 /*v301*/
	v_mul_i32_i24_e32 v158, v14, v46 /*v302*/
	s_set_vgpr_msb 64                       ;  msbs: dst=1 src0=0 src1=0 src2=0
	v_bfe_u32 v23 /*v279*/, v211, 8, 4
	s_set_vgpr_msb 0                        ;  msbs: dst=0 src0=0 src1=0 src2=0
	v_bfe_u32 v244, v211, 16, 4
	v_add3_u32 v58, v58, v72, v91
	v_bfe_u32 v243, v211, 24, 4
	s_set_vgpr_msb 64                       ;  msbs: dst=1 src0=0 src1=0 src2=0
	v_bfe_u32 v47 /*v303*/, v211, 4, 4
	s_set_vgpr_msb 0                        ;  msbs: dst=0 src0=0 src1=0 src2=0
	v_bfe_u32 v117, v211, 12, 4
	v_bfe_u32 v115, v211, 20, 4
	v_add3_u32 v58, v58, v93, v114
	v_lshrrev_b32_e32 v113, 28, v211
	s_wait_dscnt 0x0
	v_cvt_f32_ubyte0_e32 v112, v43
	v_cvt_f32_ubyte1_e32 v114, v43
	v_add3_u32 v43, s9, v166, v146
	v_add3_u32 v58, v58, v148, v119
	v_and_b32_e32 v119, 0xffff, v60
	s_set_vgpr_msb 0x41                     ;  msbs: dst=1 src0=1 src1=0 src2=0
	v_mul_i32_i24_e32 v198 /*v454*/, v23 /*v279*/, v118
	v_mul_i32_i24_e32 v199 /*v455*/, v47 /*v303*/, v116
	s_set_vgpr_msb 1                        ;  msbs: dst=0 src0=1 src1=0 src2=0
	v_mul_i32_i24_e32 v59, v90 /*v346*/, v176
	s_set_vgpr_msb 0                        ;  msbs: dst=0 src0=0 src1=0 src2=0
	v_add3_u32 v58, v58, v150, v149
	s_set_vgpr_msb 0x41                     ;  msbs: dst=1 src0=1 src1=0 src2=0
	v_mul_i32_i24_e32 v197 /*v453*/, v21 /*v277*/, v176
	s_set_vgpr_msb 4                        ;  msbs: dst=0 src0=0 src1=1 src2=0
	v_add3_u32 v5, v5, v193 /*v449*/, v59
	s_set_vgpr_msb 0                        ;  msbs: dst=0 src0=0 src1=0 src2=0
	v_add3_u32 v58, v58, v152, v151
	s_delay_alu instid0(VALU_DEP_1) | instskip(NEXT) | instid1(VALU_DEP_1)
	v_add3_u32 v58, v58, v154, v153
	v_add3_u32 v58, v58, v156, v155
	s_set_vgpr_msb 64                       ;  msbs: dst=1 src0=0 src1=0 src2=0
	s_delay_alu instid0(VALU_DEP_1)
	v_add3_u32 v200 /*v456*/, v58, v158, v157
	s_set_vgpr_msb 0                        ;  msbs: dst=0 src0=0 src1=0 src2=0
	v_add_nc_u32_e32 v58, s8, v170
	ds_load_2addr_b32 v[220:221], v58 offset1:1
	ds_load_2addr_b32 v[228:229], v58 offset0:2 offset1:3
	ds_load_2addr_b32 v[236:237], v58 offset0:4 offset1:5
	s_set_vgpr_msb 64                       ;  msbs: dst=1 src0=0 src1=0 src2=0
	ds_load_2addr_b32 v[156:157] /*v[412:413]*/, v58 offset0:6 offset1:7
	s_wait_dscnt 0x3
	s_set_vgpr_msb 0                        ;  msbs: dst=0 src0=0 src1=0 src2=0
	v_and_b32_e32 v184, 15, v220
	v_bfe_u32 v185, v220, 16, 4
	v_bfe_u32 v214, v221, 20, 4
	;; [unrolled: 1-line block ×4, first 2 shown]
	v_mul_i32_i24_e32 v60, v184, v183
	v_bfe_u32 v183, v220, 8, 4
	v_mul_i32_i24_e32 v61, v185, v186
	v_bfe_u32 v186, v220, 24, 4
	v_lshrrev_b32_e32 v216, 28, v220
	v_bfe_u32 v210, v220, 20, 4
	v_mad_i32_i24 v60, v183, v187, v60
	v_and_b32_e32 v187, 15, v221
	v_mul_i32_i24_e32 v62, v186, v202
	v_bfe_u32 v213, v220, 4, 4
	v_bfe_u32 v212, v220, 12, 4
	s_wait_dscnt 0x2
	v_bfe_u32 v220, v228, 20, 4
	v_bfe_u32 v222, v228, 4, 4
	v_add3_u32 v60, v60, v61, v62
	v_mul_i32_i24_e32 v61, v187, v188
	v_bfe_u32 v188, v221, 8, 4
	v_bfe_u32 v223, v228, 12, 4
	s_wait_dscnt 0x1
	v_dual_lshrrev_b32 v225, 28, v228 :: v_dual_lshrrev_b32 v235, 28, v237
	v_bfe_u32 v202, v236, 16, 4
	v_mul_i32_i24_e32 v62, v188, v189
	v_bfe_u32 v189, v221, 16, 4
	v_lshrrev_b32_e32 v231, 28, v236
	s_wait_dscnt 0x0
	s_set_vgpr_msb 1                        ;  msbs: dst=0 src0=1 src1=0 src2=0
	v_bfe_u32 v207, v156 /*v412*/, 8, 4
	s_set_vgpr_msb 4                        ;  msbs: dst=0 src0=0 src1=1 src2=0
	v_dual_lshrrev_b32 v239, 28, v156 /*v412*/ :: v_dual_bitop2_b32 v208, 15, v156 /*v412*/ bitop3:0x40
	s_set_vgpr_msb 0                        ;  msbs: dst=0 src0=0 src1=0 src2=0
	v_mul_i32_i24_e32 v64, v189, v190
	v_bfe_u32 v190, v221, 24, 4
	v_add3_u32 v60, v60, v62, v61
	v_lshrrev_b32_e32 v221, 28, v221
	v_mul_i32_i24_e32 v58, v179, v208
	s_set_vgpr_msb 1                        ;  msbs: dst=0 src0=1 src1=0 src2=0
	v_bfe_u32 v209, v156 /*v412*/, 24, 4
	s_set_vgpr_msb 0                        ;  msbs: dst=0 src0=0 src1=0 src2=0
	v_mul_i32_i24_e32 v65, v190, v191
	v_and_b32_e32 v191, 15, v228
	s_set_vgpr_msb 1                        ;  msbs: dst=0 src0=1 src1=0 src2=0
	v_bfe_u32 v211, v156 /*v412*/, 16, 4
	s_set_vgpr_msb 4                        ;  msbs: dst=0 src0=0 src1=1 src2=0
	v_mul_i32_i24_e32 v66, v222, v164 /*v420*/
	v_mul_i32_i24_e32 v68, v223, v165 /*v421*/
	s_set_vgpr_msb 0                        ;  msbs: dst=0 src0=0 src1=0 src2=0
	v_add3_u32 v60, v60, v64, v65
	v_mul_i32_i24_e32 v61, v191, v192
	v_bfe_u32 v192, v228, 8, 4
	s_set_vgpr_msb 4                        ;  msbs: dst=0 src0=0 src1=1 src2=0
	v_mul_i32_i24_e32 v69, v220, v166 /*v422*/
	v_mul_i32_i24_e32 v70, v225, v180 /*v436*/
	v_bfe_u32 v226, v229, 4, 4
	v_bfe_u32 v227, v229, 12, 4
	s_set_vgpr_msb 0                        ;  msbs: dst=0 src0=0 src1=0 src2=0
	v_mul_i32_i24_e32 v62, v192, v193
	v_bfe_u32 v193, v228, 16, 4
	v_bfe_u32 v224, v229, 20, 4
	s_set_vgpr_msb 4                        ;  msbs: dst=0 src0=0 src1=1 src2=0
	v_mul_i32_i24_e32 v72, v226, v168 /*v424*/
	v_mul_i32_i24_e32 v91, v227, v169 /*v425*/
	s_set_vgpr_msb 0                        ;  msbs: dst=0 src0=0 src1=0 src2=0
	v_add3_u32 v60, v60, v62, v61
	v_mul_i32_i24_e32 v64, v193, v194
	v_bfe_u32 v194, v228, 24, 4
	v_lshrrev_b32_e32 v228, 28, v229
	s_set_vgpr_msb 4                        ;  msbs: dst=0 src0=0 src1=1 src2=0
	v_mul_i32_i24_e32 v93, v224, v178 /*v434*/
	v_bfe_u32 v230, v236, 12, 4
	v_bfe_u32 v232, v236, 20, 4
	s_set_vgpr_msb 0                        ;  msbs: dst=0 src0=0 src1=0 src2=0
	v_mul_i32_i24_e32 v65, v194, v195
	v_and_b32_e32 v195, 15, v229
	s_set_vgpr_msb 4                        ;  msbs: dst=0 src0=0 src1=1 src2=0
	v_mul_i32_i24_e32 v148, v228, v179 /*v435*/
	s_set_vgpr_msb 1                        ;  msbs: dst=0 src0=1 src1=0 src2=0
	v_mul_i32_i24_e32 v149, v171 /*v427*/, v230
	v_mul_i32_i24_e32 v151, v177 /*v433*/, v231
	s_set_vgpr_msb 0                        ;  msbs: dst=0 src0=0 src1=0 src2=0
	v_add3_u32 v60, v60, v64, v65
	v_mul_i32_i24_e32 v61, v195, v196
	v_bfe_u32 v196, v229, 8, 4
	s_set_vgpr_msb 1                        ;  msbs: dst=0 src0=1 src1=0 src2=0
	v_mul_i32_i24_e32 v152, v172 /*v428*/, v232
	s_set_vgpr_msb 0                        ;  msbs: dst=0 src0=0 src1=0 src2=0
	v_bfe_u32 v233, v237, 4, 4
	v_bfe_u32 v234, v237, 12, 4
	s_set_vgpr_msb 1                        ;  msbs: dst=0 src0=1 src1=0 src2=0
	v_mul_i32_i24_e32 v155, v176 /*v432*/, v235
	s_set_vgpr_msb 0                        ;  msbs: dst=0 src0=0 src1=0 src2=0
	v_mul_i32_i24_e32 v62, v196, v197
	v_bfe_u32 v197, v229, 16, 4
	s_set_vgpr_msb 1                        ;  msbs: dst=0 src0=1 src1=0 src2=0
	v_mul_i32_i24_e32 v154, v173 /*v429*/, v233
	v_mul_i32_i24_e32 v153, v174 /*v430*/, v234
	v_bfe_u32 v238, v156 /*v412*/, 12, 4
	s_set_vgpr_msb 0                        ;  msbs: dst=0 src0=0 src1=0 src2=0
	v_add3_u32 v60, v60, v62, v61
	v_mul_i32_i24_e32 v64, v197, v198
	v_bfe_u32 v198, v229, 24, 4
	v_bfe_u32 v229, v236, 4, 4
	s_set_vgpr_msb 1                        ;  msbs: dst=0 src0=1 src1=0 src2=0
	v_bfe_u32 v217, v157 /*v413*/, 8, 4
	s_set_vgpr_msb 0                        ;  msbs: dst=0 src0=0 src1=0 src2=0
	v_mul_i32_i24_e32 v157, v13, v238
	s_set_vgpr_msb 1                        ;  msbs: dst=0 src0=1 src1=0 src2=0
	v_bfe_u32 v240, v156 /*v412*/, 20, 4
	s_set_vgpr_msb 0                        ;  msbs: dst=0 src0=0 src1=0 src2=0
	v_mul_i32_i24_e32 v65, v198, v199
	v_and_b32_e32 v199, 15, v236
	s_set_vgpr_msb 1                        ;  msbs: dst=0 src0=1 src1=0 src2=0
	v_mul_i32_i24_e32 v150, v170 /*v426*/, v229
	v_bfe_u32 v241, v157 /*v413*/, 4, 4
	s_set_vgpr_msb 64                       ;  msbs: dst=1 src0=0 src1=0 src2=0
	v_mul_i32_i24_e32 v203 /*v459*/, v217, v118
	s_set_vgpr_msb 0                        ;  msbs: dst=0 src0=0 src1=0 src2=0
	v_add3_u32 v60, v60, v64, v65
	v_mul_i32_i24_e32 v61, v199, v200
	v_bfe_u32 v200, v236, 8, 4
	v_mul_i32_i24_e32 v65, v203, v202
	v_bfe_u32 v203, v237, 8, 4
	v_mul_i32_i24_e32 v159, v15, v239
	v_mul_i32_i24_e32 v160, v14, v240
	;; [unrolled: 1-line block ×3, first 2 shown]
	v_bfe_u32 v201, v236, 24, 4
	v_bfe_u32 v236, v237, 20, 4
	s_set_vgpr_msb 64                       ;  msbs: dst=1 src0=0 src1=0 src2=0
	v_mul_i32_i24_e32 v204 /*v460*/, v241, v116
	s_set_vgpr_msb 4                        ;  msbs: dst=0 src0=0 src1=1 src2=0
	v_and_b32_e32 v215, 15, v157 /*v413*/
	s_set_vgpr_msb 0                        ;  msbs: dst=0 src0=0 src1=0 src2=0
	v_add3_u32 v60, v60, v62, v61
	v_mul_i32_i24_e32 v64, v204, v201
	v_and_b32_e32 v204, 15, v237
	v_mul_i32_i24_e32 v62, v206, v203
	v_bfe_u32 v206, v237, 16, 4
	s_set_vgpr_msb 1                        ;  msbs: dst=0 src0=1 src1=0 src2=0
	v_mul_i32_i24_e32 v156, v175 /*v431*/, v236
	s_set_vgpr_msb 0                        ;  msbs: dst=0 src0=0 src1=0 src2=0
	v_add3_u32 v60, v60, v65, v64
	v_mul_i32_i24_e32 v61, v205, v204
	v_bfe_u32 v205, v237, 24, 4
	v_mul_i32_i24_e32 v65, v181, v206
	s_set_vgpr_msb 1                        ;  msbs: dst=0 src0=1 src1=0 src2=0
	v_bfe_u32 v237, v156 /*v412*/, 4, 4
	s_set_vgpr_msb 64                       ;  msbs: dst=1 src0=0 src1=0 src2=0
	v_mul_i32_i24_e32 v202 /*v458*/, v215, v176
	s_set_vgpr_msb 0                        ;  msbs: dst=0 src0=0 src1=0 src2=0
	v_add3_u32 v60, v60, v62, v61
	v_mul_i32_i24_e32 v64, v182, v205
	v_mul_i32_i24_e32 v61, v180, v207
	;; [unrolled: 1-line block ×4, first 2 shown]
	s_set_vgpr_msb 1                        ;  msbs: dst=0 src0=1 src1=0 src2=0
	v_bfe_u32 v182, v157 /*v413*/, 16, 4
	s_set_vgpr_msb 0                        ;  msbs: dst=0 src0=0 src1=0 src2=0
	v_add3_u32 v60, v60, v65, v64
	v_mul_i32_i24_e32 v64, v177, v211
	s_set_vgpr_msb 4                        ;  msbs: dst=0 src0=0 src1=1 src2=0
	v_mul_i32_i24_e32 v65, v221, v181 /*v437*/
	s_set_vgpr_msb 1                        ;  msbs: dst=0 src0=1 src1=0 src2=0
	v_bfe_u32 v181, v157 /*v413*/, 24, 4
	v_bfe_u32 v178, v157 /*v413*/, 12, 4
	s_set_vgpr_msb 0                        ;  msbs: dst=0 src0=0 src1=0 src2=0
	v_add3_u32 v58, v60, v61, v58
	s_set_vgpr_msb 4                        ;  msbs: dst=0 src0=0 src1=1 src2=0
	v_mul_i32_i24_e32 v61, v210, v160 /*v416*/
	s_set_vgpr_msb 1                        ;  msbs: dst=0 src0=1 src1=0 src2=0
	v_bfe_u32 v177, v157 /*v413*/, 20, 4
	s_set_vgpr_msb 4                        ;  msbs: dst=0 src0=0 src1=1 src2=0
	v_lshrrev_b32_e32 v176, 28, v157 /*v413*/
	s_set_vgpr_msb 64                       ;  msbs: dst=1 src0=0 src1=0 src2=0
	v_add3_u32 v201 /*v457*/, v58, v64, v62
	s_set_vgpr_msb 4                        ;  msbs: dst=0 src0=0 src1=1 src2=0
	ds_load_u16 v58, v43
	ds_load_u16 v43, v43 offset:8
	v_mul_i32_i24_e32 v62, v216, v182 /*v438*/
	v_mul_i32_i24_e32 v64, v214, v163 /*v419*/
	s_wait_dscnt 0x1
	s_set_vgpr_msb 0                        ;  msbs: dst=0 src0=0 src1=0 src2=0
	v_lshrrev_b16 v60, 8, v58
	v_and_b32_e32 v180, 0xff, v58
	s_set_vgpr_msb 4                        ;  msbs: dst=0 src0=0 src1=1 src2=0
	v_mul_i32_i24_e32 v58, v213, v159 /*v415*/
	s_wait_dscnt 0x0
	v_cvt_f32_ubyte0_e32 v118, v43
	v_cvt_f32_ubyte1_e32 v116, v43
	s_set_vgpr_msb 0                        ;  msbs: dst=0 src0=0 src1=0 src2=0
	v_or_b32_e32 v43, s5, v137
	v_and_b32_e32 v179, 0xffff, v60
	s_set_vgpr_msb 4                        ;  msbs: dst=0 src0=0 src1=1 src2=0
	v_mad_i32_i24 v58, v212, v158 /*v414*/, v58
	s_set_vgpr_msb 0                        ;  msbs: dst=0 src0=0 src1=0 src2=0
	s_delay_alu instid0(VALU_DEP_1) | instskip(SKIP_4) | instid1(VALU_DEP_1)
	v_add3_u32 v58, v58, v61, v62
	s_set_vgpr_msb 4                        ;  msbs: dst=0 src0=0 src1=1 src2=0
	v_mul_i32_i24_e32 v61, v218, v161 /*v417*/
	v_mul_i32_i24_e32 v62, v219, v162 /*v418*/
	s_set_vgpr_msb 0                        ;  msbs: dst=0 src0=0 src1=0 src2=0
	v_add3_u32 v58, v58, v61, v62
	s_delay_alu instid0(VALU_DEP_1) | instskip(NEXT) | instid1(VALU_DEP_1)
	v_add3_u32 v58, v58, v64, v65
	v_add3_u32 v58, v58, v66, v68
	s_delay_alu instid0(VALU_DEP_1) | instskip(NEXT) | instid1(VALU_DEP_1)
	v_add3_u32 v58, v58, v69, v70
	;; [unrolled: 3-line block ×5, first 2 shown]
	v_add3_u32 v58, v58, v158, v157
	s_set_vgpr_msb 64                       ;  msbs: dst=1 src0=0 src1=0 src2=0
	s_delay_alu instid0(VALU_DEP_1)
	v_add3_u32 v205 /*v461*/, v58, v160, v159
	s_set_vgpr_msb 0                        ;  msbs: dst=0 src0=0 src1=0 src2=0
	v_dual_lshlrev_b32 v58, 2, v43 :: v_dual_lshrrev_b32 v43, 1, v43
	s_set_vgpr_msb 64                       ;  msbs: dst=1 src0=0 src1=0 src2=0
	ds_load_b128 v[206:209] /*v[462:465]*/, v58 offset:16896
	ds_load_b128 v[210:213] /*v[466:469]*/, v58 offset:16912
	ds_load_b128 v[214:217] /*v[470:473]*/, v58 offset:16928
	ds_load_b128 v[218:221] /*v[474:477]*/, v58 offset:16944
	s_wait_dscnt 0x3
	s_set_vgpr_msb 1                        ;  msbs: dst=0 src0=1 src1=0 src2=0
	v_bfe_i32 v58, v206 /*v462*/, 0, 8
	v_bfe_i32 v60, v206 /*v462*/, 8, 8
	;; [unrolled: 1-line block ×3, first 2 shown]
	s_set_vgpr_msb 4                        ;  msbs: dst=0 src0=0 src1=1 src2=0
	v_dual_ashrrev_i32 v62, 24, v206 /*v462*/ :: v_dual_ashrrev_i32 v68, 24, v207 /*v463*/
	s_set_vgpr_msb 0x44                     ;  msbs: dst=1 src0=0 src1=1 src2=0
	v_mul_i32_i24_e32 v156 /*v412*/, v58, v118 /*v374*/
	s_set_vgpr_msb 1                        ;  msbs: dst=0 src0=1 src1=0 src2=0
	v_bfe_i32 v64, v207 /*v463*/, 0, 8
	v_bfe_i32 v65, v207 /*v463*/, 8, 8
	;; [unrolled: 1-line block ×5, first 2 shown]
	s_set_vgpr_msb 4                        ;  msbs: dst=0 src0=0 src1=1 src2=0
	v_dual_ashrrev_i32 v91, 24, v208 /*v464*/ :: v_dual_ashrrev_i32 v150, 24, v209 /*v465*/
	s_set_vgpr_msb 0x54                     ;  msbs: dst=1 src0=0 src1=1 src2=1
	v_mul_i32_i24_e32 v157 /*v413*/, v61, v119 /*v375*/
	v_mul_i32_i24_e32 v208 /*v464*/, v62, v120 /*v376*/
	v_mad_i32_i24 v156 /*v412*/, v60, v117 /*v373*/, v156 /*v412*/
	s_set_vgpr_msb 1                        ;  msbs: dst=0 src0=1 src1=0 src2=0
	v_bfe_i32 v66, v207 /*v463*/, 16, 8
	v_bfe_i32 v93, v209 /*v465*/, 0, 8
	;; [unrolled: 1-line block ×4, first 2 shown]
	s_set_vgpr_msb 0x55                     ;  msbs: dst=1 src0=1 src1=1 src2=1
	v_add3_u32 v156 /*v412*/, v156 /*v412*/, v157 /*v413*/, v208 /*v464*/
	s_set_vgpr_msb 0x44                     ;  msbs: dst=1 src0=0 src1=1 src2=0
	v_mul_i32_i24_e32 v157 /*v413*/, v64, v121 /*v377*/
	v_mul_i32_i24_e32 v208 /*v464*/, v65, v122 /*v378*/
	s_wait_dscnt 0x2
	s_set_vgpr_msb 1                        ;  msbs: dst=0 src0=1 src1=0 src2=0
	v_bfe_i32 v151, v210 /*v466*/, 0, 8
	v_bfe_i32 v152, v210 /*v466*/, 8, 8
	;; [unrolled: 1-line block ×3, first 2 shown]
	s_set_vgpr_msb 4                        ;  msbs: dst=0 src0=0 src1=1 src2=0
	v_dual_ashrrev_i32 v154, 24, v210 /*v466*/ :: v_dual_ashrrev_i32 v158, 24, v211 /*v467*/
	s_set_vgpr_msb 0x44                     ;  msbs: dst=1 src0=0 src1=1 src2=0
	v_mul_i32_i24_e32 v209 /*v465*/, v66, v123 /*v379*/
	v_mul_i32_i24_e32 v210 /*v466*/, v68, v124 /*v380*/
	s_set_vgpr_msb 0x55                     ;  msbs: dst=1 src0=1 src1=1 src2=1
	v_add3_u32 v156 /*v412*/, v156 /*v412*/, v157 /*v413*/, v208 /*v464*/
	s_set_vgpr_msb 1                        ;  msbs: dst=0 src0=1 src1=0 src2=0
	v_bfe_i32 v155, v211 /*v467*/, 0, 8
	v_bfe_i32 v156, v211 /*v467*/, 8, 8
	;; [unrolled: 1-line block ×6, first 2 shown]
	s_set_vgpr_msb 4                        ;  msbs: dst=0 src0=0 src1=1 src2=0
	v_ashrrev_i32_e32 v162, 24, v212 /*v468*/
	s_set_vgpr_msb 0x44                     ;  msbs: dst=1 src0=0 src1=1 src2=0
	v_mul_i32_i24_e32 v211 /*v467*/, v69, v125 /*v381*/
	v_mul_i32_i24_e32 v212 /*v468*/, v70, v126 /*v382*/
	s_set_vgpr_msb 0x55                     ;  msbs: dst=1 src0=1 src1=1 src2=1
	v_add3_u32 v156 /*v412*/, v156 /*v412*/, v209 /*v465*/, v210 /*v466*/
	s_set_vgpr_msb 0x44                     ;  msbs: dst=1 src0=0 src1=1 src2=0
	v_mul_i32_i24_e32 v222 /*v478*/, v72, v127 /*v383*/
	v_mul_i32_i24_e32 v223 /*v479*/, v91, v128 /*v384*/
	;; [unrolled: 1-line block ×4, first 2 shown]
	s_set_vgpr_msb 0x55                     ;  msbs: dst=1 src0=1 src1=1 src2=1
	v_add3_u32 v156 /*v412*/, v156 /*v412*/, v211 /*v467*/, v212 /*v468*/
	s_set_vgpr_msb 0x44                     ;  msbs: dst=1 src0=0 src1=1 src2=0
	v_mul_i32_i24_e32 v226 /*v482*/, v149, v131 /*v387*/
	v_mul_i32_i24_e32 v227 /*v483*/, v150, v132 /*v388*/
	;; [unrolled: 1-line block ×4, first 2 shown]
	s_set_vgpr_msb 0x55                     ;  msbs: dst=1 src0=1 src1=1 src2=1
	v_add3_u32 v156 /*v412*/, v156 /*v412*/, v222 /*v478*/, v223 /*v479*/
	s_set_vgpr_msb 0x41                     ;  msbs: dst=1 src0=1 src1=0 src2=0
	v_mul_i32_i24_e32 v230 /*v486*/, v136 /*v392*/, v153
	v_mul_i32_i24_e32 v231 /*v487*/, v135 /*v391*/, v154
	;; [unrolled: 1-line block ×4, first 2 shown]
	s_set_vgpr_msb 0x55                     ;  msbs: dst=1 src0=1 src1=1 src2=1
	v_add3_u32 v156 /*v412*/, v156 /*v412*/, v224 /*v480*/, v225 /*v481*/
	s_set_vgpr_msb 0x41                     ;  msbs: dst=1 src0=1 src1=0 src2=0
	v_mul_i32_i24_e32 v234 /*v490*/, v140 /*v396*/, v157
	v_mul_i32_i24_e32 v235 /*v491*/, v139 /*v395*/, v158
	;; [unrolled: 1-line block ×4, first 2 shown]
	s_set_vgpr_msb 0x55                     ;  msbs: dst=1 src0=1 src1=1 src2=1
	v_add3_u32 v156 /*v412*/, v156 /*v412*/, v226 /*v482*/, v227 /*v483*/
	s_set_vgpr_msb 0x41                     ;  msbs: dst=1 src0=1 src1=0 src2=0
	v_mul_i32_i24_e32 v238 /*v494*/, v152 /*v408*/, v161
	v_mul_i32_i24_e32 v239 /*v495*/, v149 /*v405*/, v162
	s_set_vgpr_msb 64                       ;  msbs: dst=1 src0=0 src1=0 src2=0
	v_bfe_u32 v157 /*v413*/, v10, 4, 4
	s_set_vgpr_msb 1                        ;  msbs: dst=0 src0=1 src1=0 src2=0
	v_bfe_i32 v163, v213 /*v469*/, 0, 8
	s_set_vgpr_msb 0x55                     ;  msbs: dst=1 src0=1 src1=1 src2=1
	v_add3_u32 v156 /*v412*/, v156 /*v412*/, v228 /*v484*/, v229 /*v485*/
	v_bfe_i32 v206 /*v462*/, v213 /*v469*/, 8, 8
	v_bfe_i32 v207 /*v463*/, v213 /*v469*/, 16, 8
	v_ashrrev_i32_e32 v213 /*v469*/, 24, v213 /*v469*/
	s_set_vgpr_msb 0x44                     ;  msbs: dst=1 src0=0 src1=1 src2=0
	v_mul_i32_i24_e32 v240 /*v496*/, v163, v153 /*v409*/
	s_set_vgpr_msb 0x55                     ;  msbs: dst=1 src0=1 src1=1 src2=1
	v_add3_u32 v156 /*v412*/, v156 /*v412*/, v230 /*v486*/, v231 /*v487*/
	v_mul_i32_i24_e32 v241 /*v497*/, v206 /*v462*/, v154 /*v410*/
	s_wait_dscnt 0x1
	v_lshrrev_b16 v209 /*v465*/, 8, v216 /*v472*/
	v_lshrrev_b16 v210 /*v466*/, 8, v217 /*v473*/
	v_ashrrev_i32_e32 v212 /*v468*/, 24, v214 /*v470*/
	v_add3_u32 v156 /*v412*/, v156 /*v412*/, v232 /*v488*/, v233 /*v489*/
	v_bfe_i32 v222 /*v478*/, v214 /*v470*/, 16, 8
	v_bfe_i32 v226 /*v482*/, v215 /*v471*/, 16, 8
	v_ashrrev_i32_e32 v231 /*v487*/, 24, v216 /*v472*/
	v_bfe_i32 v232 /*v488*/, v216 /*v472*/, 16, 8
	v_add3_u32 v156 /*v412*/, v156 /*v412*/, v234 /*v490*/, v235 /*v491*/
	v_bfe_i32 v216 /*v472*/, v216 /*v472*/, 0, 8
	v_bfe_i32 v209 /*v465*/, v209 /*v465*/, 0, 8
	;; [unrolled: 1-line block ×3, first 2 shown]
	s_wait_dscnt 0x0
	v_lshrrev_b16 v246 /*v502*/, 8, v219 /*v475*/
	v_add3_u32 v156 /*v412*/, v156 /*v412*/, v236 /*v492*/, v237 /*v493*/
	v_ashrrev_i32_e32 v237 /*v493*/, 24, v217 /*v473*/
	v_mul_i32_i24_e32 v236 /*v492*/, v231 /*v487*/, v143 /*v399*/
	v_lshrrev_b16 v247 /*v503*/, 8, v220 /*v476*/
	v_bfe_i32 v248 /*v504*/, v221 /*v477*/, 0, 8
	v_add3_u32 v208 /*v464*/, v156 /*v412*/, v238 /*v494*/, v239 /*v495*/
	s_set_vgpr_msb 64                       ;  msbs: dst=1 src0=0 src1=0 src2=0
	v_bfe_u32 v156 /*v412*/, v10, 20, 4
	s_set_vgpr_msb 5                        ;  msbs: dst=0 src0=1 src1=1 src2=0
	v_mul_i32_i24_e32 v10, v157 /*v413*/, v159 /*v415*/
	s_set_vgpr_msb 0x45                     ;  msbs: dst=1 src0=1 src1=1 src2=0
	v_bfe_i32 v238 /*v494*/, v217 /*v473*/, 16, 8
	v_bfe_i32 v217 /*v473*/, v217 /*v473*/, 0, 8
	v_mul_i32_i24_e32 v245 /*v501*/, v237 /*v493*/, v144 /*v400*/
	v_mul_i32_i24_e32 v159 /*v415*/, v156 /*v412*/, v160 /*v416*/
	;; [unrolled: 1-line block ×3, first 2 shown]
	s_set_vgpr_msb 5                        ;  msbs: dst=0 src0=1 src1=1 src2=0
	v_mad_i32_i24 v10, v155 /*v411*/, v158 /*v414*/, v10
	s_set_vgpr_msb 0x44                     ;  msbs: dst=1 src0=0 src1=1 src2=0
	v_lshrrev_b16 v158 /*v414*/, 8, v214 /*v470*/
	v_lshrrev_b16 v182 /*v438*/, 8, v215 /*v471*/
	s_set_vgpr_msb 0x45                     ;  msbs: dst=1 src0=1 src1=1 src2=0
	v_bfe_i32 v214 /*v470*/, v214 /*v470*/, 0, 8
	v_mul_i32_i24_e32 v224 /*v480*/, v222 /*v478*/, v156 /*v412*/
	s_set_vgpr_msb 20                       ;  msbs: dst=0 src0=0 src1=1 src2=1
	v_add3_u32 v10, v10, v159 /*v415*/, v160 /*v416*/
	s_set_vgpr_msb 0x44                     ;  msbs: dst=1 src0=0 src1=1 src2=0
	v_and_b32_e32 v159 /*v415*/, 0xffff, v192 /*v448*/
	v_bfe_u32 v160 /*v416*/, v11, 4, 4
	s_set_vgpr_msb 0x41                     ;  msbs: dst=1 src0=1 src1=0 src2=0
	v_bfe_i32 v211 /*v467*/, v158 /*v414*/, 0, 8
	s_set_vgpr_msb 0x44                     ;  msbs: dst=1 src0=0 src1=1 src2=0
	v_bfe_u32 v158 /*v414*/, v11, 20, 4
	v_ashrrev_i32_e32 v192 /*v448*/, 24, v215 /*v471*/
	s_set_vgpr_msb 0x41                     ;  msbs: dst=1 src0=1 src1=0 src2=0
	v_bfe_i32 v182 /*v438*/, v182 /*v438*/, 0, 8
	s_set_vgpr_msb 5                        ;  msbs: dst=0 src0=1 src1=1 src2=0
	v_mul_i32_i24_e32 v11, v160 /*v416*/, v161 /*v417*/
	s_set_vgpr_msb 0x45                     ;  msbs: dst=1 src0=1 src1=1 src2=0
	v_mul_i32_i24_e32 v161 /*v417*/, v159 /*v415*/, v162 /*v418*/
	v_mul_i32_i24_e32 v162 /*v418*/, v158 /*v414*/, v163 /*v419*/
	;; [unrolled: 1-line block ×3, first 2 shown]
	v_bfe_i32 v215 /*v471*/, v215 /*v471*/, 0, 8
	v_mul_i32_i24_e32 v223 /*v479*/, v214 /*v470*/, v157 /*v413*/
	s_set_vgpr_msb 16                       ;  msbs: dst=0 src0=0 src1=0 src2=1
	v_add3_u32 v10, v10, v11, v161 /*v417*/
	s_set_vgpr_msb 64                       ;  msbs: dst=1 src0=0 src1=0 src2=0
	v_bfe_u32 v161 /*v417*/, v8, 20, 4
	s_set_vgpr_msb 0x45                     ;  msbs: dst=1 src0=1 src1=1 src2=0
	v_mul_i32_i24_e32 v225 /*v481*/, v212 /*v468*/, v150 /*v406*/
	v_mul_i32_i24_e32 v227 /*v483*/, v215 /*v471*/, v160 /*v416*/
	;; [unrolled: 1-line block ×3, first 2 shown]
	s_set_vgpr_msb 20                       ;  msbs: dst=0 src0=0 src1=1 src2=1
	v_add3_u32 v10, v10, v162 /*v418*/, v163 /*v419*/
	s_set_vgpr_msb 0x44                     ;  msbs: dst=1 src0=0 src1=1 src2=0
	v_and_b32_e32 v162 /*v418*/, 0xffff, v191 /*v447*/
	v_bfe_u32 v163 /*v419*/, v8, 4, 4
	s_set_vgpr_msb 0x45                     ;  msbs: dst=1 src0=1 src1=1 src2=0
	v_mul_i32_i24_e32 v230 /*v486*/, v192 /*v448*/, v142 /*v398*/
	v_mul_i32_i24_e32 v229 /*v485*/, v226 /*v482*/, v158 /*v414*/
	;; [unrolled: 1-line block ×3, first 2 shown]
	s_set_vgpr_msb 5                        ;  msbs: dst=0 src0=1 src1=1 src2=0
	v_mul_i32_i24_e32 v11, v162 /*v418*/, v165 /*v421*/
	v_mul_i32_i24_e32 v8, v163 /*v419*/, v164 /*v420*/
	s_set_vgpr_msb 0x45                     ;  msbs: dst=1 src0=1 src1=1 src2=0
	v_mul_i32_i24_e32 v164 /*v420*/, v161 /*v417*/, v166 /*v422*/
	v_mul_i32_i24_e32 v165 /*v421*/, v143 /*v399*/, v180 /*v436*/
	s_set_vgpr_msb 64                       ;  msbs: dst=1 src0=0 src1=0 src2=0
	v_bfe_u32 v166 /*v422*/, v9, 4, 4
	s_set_vgpr_msb 0x45                     ;  msbs: dst=1 src0=1 src1=1 src2=0
	v_mul_i32_i24_e32 v233 /*v489*/, v216 /*v472*/, v163 /*v419*/
	s_set_vgpr_msb 0                        ;  msbs: dst=0 src0=0 src1=0 src2=0
	v_add3_u32 v8, v10, v8, v11
	s_set_vgpr_msb 0x45                     ;  msbs: dst=1 src0=1 src1=1 src2=0
	v_mul_i32_i24_e32 v234 /*v490*/, v209 /*v465*/, v162 /*v418*/
	v_bfe_i32 v249 /*v505*/, v221 /*v477*/, 8, 8
	v_mul_i32_i24_e32 v242 /*v498*/, v217 /*v473*/, v166 /*v422*/
	v_bfe_i32 v250 /*v506*/, v221 /*v477*/, 16, 8
	s_set_vgpr_msb 20                       ;  msbs: dst=0 src0=0 src1=1 src2=1
	v_add3_u32 v8, v8, v164 /*v420*/, v165 /*v421*/
	s_set_vgpr_msb 0x44                     ;  msbs: dst=1 src0=0 src1=1 src2=0
	v_and_b32_e32 v165 /*v421*/, 0xffff, v190 /*v446*/
	v_bfe_u32 v164 /*v420*/, v9, 20, 4
	s_set_vgpr_msb 5                        ;  msbs: dst=0 src0=1 src1=1 src2=0
	v_mul_i32_i24_e32 v9, v166 /*v422*/, v168 /*v424*/
	s_set_vgpr_msb 0x45                     ;  msbs: dst=1 src0=1 src1=1 src2=0
	v_mul_i32_i24_e32 v168 /*v424*/, v144 /*v400*/, v179 /*v435*/
	v_ashrrev_i32_e32 v221 /*v477*/, 24, v221 /*v477*/
	s_set_vgpr_msb 5                        ;  msbs: dst=0 src0=1 src1=1 src2=0
	v_mul_i32_i24_e32 v10, v165 /*v421*/, v169 /*v425*/
	v_mul_i32_i24_e32 v11, v164 /*v420*/, v178 /*v434*/
	s_set_vgpr_msb 0x55                     ;  msbs: dst=1 src0=1 src1=1 src2=1
	v_add3_u32 v169 /*v425*/, v185 /*v441*/, v187 /*v443*/, v186 /*v442*/
	v_add3_u32 v185 /*v441*/, v208 /*v464*/, v240 /*v496*/, v241 /*v497*/
	v_mul_i32_i24_e32 v243 /*v499*/, v210 /*v466*/, v165 /*v421*/
	s_set_vgpr_msb 0                        ;  msbs: dst=0 src0=0 src1=0 src2=0
	v_add3_u32 v8, v8, v9, v10
	s_set_vgpr_msb 0x55                     ;  msbs: dst=1 src0=1 src1=1 src2=1
	v_bfe_i32 v241 /*v497*/, v246 /*v502*/, 0, 8
	v_mad_i32_i24 v228 /*v484*/, v211 /*v467*/, v155 /*v411*/, v228 /*v484*/
	v_add3_u32 v223 /*v479*/, v223 /*v479*/, v227 /*v483*/, v233 /*v489*/
	v_add3_u32 v225 /*v481*/, v225 /*v481*/, v230 /*v486*/, v236 /*v492*/
	s_set_vgpr_msb 0x50                     ;  msbs: dst=1 src0=0 src1=0 src2=1
	v_add3_u32 v239 /*v495*/, v8, v11, v168 /*v424*/
	s_set_vgpr_msb 1                        ;  msbs: dst=0 src0=1 src1=0 src2=0
	ds_load_b64 v[8:9], v167 /*v423*/ offset:27200
	s_set_vgpr_msb 0                        ;  msbs: dst=0 src0=0 src1=0 src2=0
	ds_load_b64 v[10:11], v43 offset:27200
	v_ashrrev_i32_e32 v3, 24, v3
	s_set_vgpr_msb 0x41                     ;  msbs: dst=1 src0=1 src1=0 src2=0
	v_mul_i32_i24_e32 v167 /*v423*/, v49 /*v305*/, v7
	s_set_vgpr_msb 0x45                     ;  msbs: dst=1 src0=1 src1=1 src2=0
	v_mul_i32_i24_e32 v168 /*v424*/, v49 /*v305*/, v213 /*v469*/
	s_set_vgpr_msb 4                        ;  msbs: dst=0 src0=0 src1=1 src2=0
	v_lshrrev_b16 v43, 8, v218 /*v474*/
	s_set_vgpr_msb 0x55                     ;  msbs: dst=1 src0=1 src1=1 src2=1
	v_mul_i32_i24_e32 v244 /*v500*/, v238 /*v494*/, v164 /*v420*/
	v_bfe_i32 v247 /*v503*/, v247 /*v503*/, 0, 8
	v_add3_u32 v224 /*v480*/, v224 /*v480*/, v229 /*v485*/, v235 /*v491*/
	v_add3_u32 v227 /*v483*/, v228 /*v484*/, v234 /*v490*/, v243 /*v499*/
	s_set_vgpr_msb 0                        ;  msbs: dst=0 src0=0 src1=0 src2=0
	v_bfe_i32 v43, v43, 0, 8
	s_set_vgpr_msb 0x45                     ;  msbs: dst=1 src0=1 src1=1 src2=0
	v_mul_i32_i24_e32 v254 /*v510*/, v248 /*v504*/, v151 /*v407*/
	s_set_vgpr_msb 5                        ;  msbs: dst=0 src0=1 src1=1 src2=0
	v_mul_i32_i24_e32 v74, v249 /*v505*/, v54 /*v310*/
	v_mul_i32_i24_e32 v78, v53 /*v309*/, v250 /*v506*/
	s_set_vgpr_msb 0x41                     ;  msbs: dst=1 src0=1 src1=0 src2=0
	v_mul_i32_i24_e32 v228 /*v484*/, v82 /*v338*/, v160
	v_mul_i32_i24_e32 v229 /*v485*/, v86 /*v342*/, v161
	;; [unrolled: 1-line block ×3, first 2 shown]
	s_set_vgpr_msb 0x44                     ;  msbs: dst=1 src0=0 src1=1 src2=0
	v_mul_i32_i24_e32 v233 /*v489*/, v163, v90 /*v346*/
	s_set_vgpr_msb 0x45                     ;  msbs: dst=1 src0=1 src1=1 src2=0
	v_mul_i32_i24_e32 v234 /*v490*/, v206 /*v462*/, v92 /*v348*/
	v_mul_i32_i24_e32 v236 /*v492*/, v248 /*v504*/, v116 /*v372*/
	s_wait_dscnt 0x1
	s_set_vgpr_msb 64                       ;  msbs: dst=1 src0=0 src1=0 src2=0
	v_cvt_f32_f16_e64 v178 /*v434*/, v8
	s_wait_dscnt 0x0
	v_cvt_f32_f16_e64 v179 /*v435*/, v10
	s_set_vgpr_msb 0                        ;  msbs: dst=0 src0=0 src1=0 src2=0
	v_dual_lshrrev_b32 v8, 16, v8 :: v_dual_lshrrev_b32 v10, 16, v10
	s_set_vgpr_msb 64                       ;  msbs: dst=1 src0=0 src1=0 src2=0
	v_cvt_f32_f16_e64 v191 /*v447*/, v11
	v_cvt_f32_f16_e64 v190 /*v446*/, v9
	s_set_vgpr_msb 0x41                     ;  msbs: dst=1 src0=1 src1=0 src2=0
	v_mul_i32_i24_e32 v193 /*v449*/, v9 /*v265*/, v156
	s_set_vgpr_msb 64                       ;  msbs: dst=1 src0=0 src1=0 src2=0
	v_cvt_f32_f16_e64 v180 /*v436*/, v8
	v_cvt_f32_f16_e64 v181 /*v437*/, v10
	s_set_vgpr_msb 0                        ;  msbs: dst=0 src0=0 src1=0 src2=0
	v_dual_lshrrev_b32 v8, 16, v9 :: v_dual_lshrrev_b32 v9, 16, v11
	s_set_vgpr_msb 4                        ;  msbs: dst=0 src0=0 src1=1 src2=0
	v_mul_i32_i24_e32 v10, v6, v50 /*v306*/
	s_set_vgpr_msb 5                        ;  msbs: dst=0 src0=1 src1=1 src2=0
	v_mul_i32_i24_e32 v11, v207 /*v463*/, v50 /*v306*/
	s_set_vgpr_msb 1                        ;  msbs: dst=0 src0=1 src1=0 src2=0
	v_mul_i32_i24_e32 v80, v52 /*v308*/, v3
	s_set_vgpr_msb 0                        ;  msbs: dst=0 src0=0 src1=0 src2=0
	v_cvt_f32_f16_e32 v8, v8
	v_cvt_f32_f16_e32 v9, v9
	s_set_vgpr_msb 17                       ;  msbs: dst=0 src0=1 src1=0 src2=1
	v_add3_u32 v10, v169 /*v425*/, v10, v167 /*v423*/
	v_add3_u32 v11, v185 /*v441*/, v11, v168 /*v424*/
	s_set_vgpr_msb 0x44                     ;  msbs: dst=1 src0=0 src1=1 src2=0
	v_and_b32_e32 v168 /*v424*/, 0xffff, v189 /*v445*/
	v_bfe_u32 v169 /*v425*/, v0, 4, 4
	v_bfe_u32 v167 /*v423*/, v0, 20, 4
	s_set_vgpr_msb 0x41                     ;  msbs: dst=1 src0=1 src1=0 src2=0
	v_bfe_i32 v189 /*v445*/, v218 /*v474*/, 0, 8
	v_bfe_i32 v185 /*v441*/, v218 /*v474*/, 16, 8
	s_set_vgpr_msb 4                        ;  msbs: dst=0 src0=0 src1=1 src2=0
	v_mul_lo_u32 v10, v10, v48 /*v304*/
	s_set_vgpr_msb 5                        ;  msbs: dst=0 src0=1 src1=1 src2=0
	v_mul_i32_i24_e32 v0, v169 /*v425*/, v170 /*v426*/
	s_set_vgpr_msb 0x45                     ;  msbs: dst=1 src0=1 src1=1 src2=0
	v_mul_i32_i24_e32 v170 /*v426*/, v168 /*v424*/, v171 /*v427*/
	v_mul_i32_i24_e32 v171 /*v427*/, v167 /*v423*/, v172 /*v428*/
	;; [unrolled: 1-line block ×3, first 2 shown]
	v_ashrrev_i32_e32 v177 /*v433*/, 24, v218 /*v474*/
	v_mul_i32_i24_e32 v208 /*v464*/, v189 /*v445*/, v169 /*v425*/
	s_set_vgpr_msb 17                       ;  msbs: dst=0 src0=1 src1=0 src2=1
	v_add3_u32 v0, v239 /*v495*/, v0, v170 /*v426*/
	s_set_vgpr_msb 0x44                     ;  msbs: dst=1 src0=0 src1=1 src2=0
	v_bfe_u32 v170 /*v426*/, v1, 20, 4
	v_mul_i32_i24_e32 v218 /*v474*/, v43, v168 /*v424*/
	s_set_vgpr_msb 0x45                     ;  msbs: dst=1 src0=1 src1=1 src2=0
	v_mul_i32_i24_e32 v240 /*v496*/, v177 /*v433*/, v145 /*v401*/
	v_mul_i32_i24_e32 v239 /*v495*/, v185 /*v441*/, v167 /*v423*/
	s_set_vgpr_msb 20                       ;  msbs: dst=0 src0=0 src1=1 src2=1
	v_add3_u32 v0, v0, v171 /*v427*/, v172 /*v428*/
	s_set_vgpr_msb 0x44                     ;  msbs: dst=1 src0=0 src1=1 src2=0
	v_and_b32_e32 v171 /*v427*/, 0xffff, v188 /*v444*/
	v_bfe_u32 v172 /*v428*/, v1, 4, 4
	s_set_vgpr_msb 0x55                     ;  msbs: dst=1 src0=1 src1=1 src2=1
	v_bfe_i32 v188 /*v444*/, v219 /*v475*/, 16, 8
	v_add3_u32 v225 /*v481*/, v225 /*v481*/, v245 /*v501*/, v240 /*v496*/
	v_add3_u32 v208 /*v464*/, v223 /*v479*/, v242 /*v498*/, v208 /*v464*/
	v_mul_i32_i24_e32 v246 /*v502*/, v241 /*v497*/, v171 /*v427*/
	s_set_vgpr_msb 5                        ;  msbs: dst=0 src0=1 src1=1 src2=0
	v_mul_i32_i24_e32 v1, v172 /*v428*/, v173 /*v429*/
	s_set_vgpr_msb 0x45                     ;  msbs: dst=1 src0=1 src1=1 src2=0
	v_mul_i32_i24_e32 v173 /*v429*/, v171 /*v427*/, v174 /*v430*/
	v_mul_i32_i24_e32 v174 /*v430*/, v170 /*v426*/, v175 /*v431*/
	;; [unrolled: 1-line block ×3, first 2 shown]
	v_ashrrev_i32_e32 v176 /*v432*/, 24, v219 /*v475*/
	v_bfe_i32 v219 /*v475*/, v219 /*v475*/, 0, 8
	s_set_vgpr_msb 16                       ;  msbs: dst=0 src0=0 src1=0 src2=1
	v_add3_u32 v0, v0, v1, v173 /*v429*/
	s_set_vgpr_msb 64                       ;  msbs: dst=1 src0=0 src1=0 src2=0
	v_bfe_u32 v173 /*v429*/, v4, 20, 4
	s_set_vgpr_msb 0x45                     ;  msbs: dst=1 src0=1 src1=1 src2=0
	v_mul_i32_i24_e32 v252 /*v508*/, v188 /*v444*/, v170 /*v426*/
	v_mul_i32_i24_e32 v253 /*v509*/, v176 /*v432*/, v146 /*v402*/
	s_set_vgpr_msb 5                        ;  msbs: dst=0 src0=1 src1=1 src2=0
	v_mul_i32_i24_e32 v1, v219 /*v475*/, v172 /*v428*/
	s_set_vgpr_msb 20                       ;  msbs: dst=0 src0=0 src1=1 src2=1
	v_add3_u32 v0, v0, v174 /*v430*/, v175 /*v431*/
	s_set_vgpr_msb 0x44                     ;  msbs: dst=1 src0=0 src1=1 src2=0
	v_and_b32_e32 v174 /*v430*/, 0xffff, v184 /*v440*/
	v_bfe_u32 v175 /*v431*/, v4, 4, 4
	s_set_vgpr_msb 0x55                     ;  msbs: dst=1 src0=1 src1=1 src2=1
	v_bfe_i32 v184 /*v440*/, v220 /*v476*/, 16, 8
	v_add3_u32 v223 /*v479*/, v224 /*v480*/, v244 /*v500*/, v239 /*v495*/
	v_add3_u32 v218 /*v474*/, v227 /*v483*/, v218 /*v474*/, v246 /*v502*/
	s_set_vgpr_msb 5                        ;  msbs: dst=0 src0=1 src1=1 src2=0
	v_mul_i32_i24_e32 v82, v52 /*v308*/, v221 /*v477*/
	s_set_vgpr_msb 1                        ;  msbs: dst=0 src0=1 src1=0 src2=0
	v_mul_i32_i24_e32 v4, v175 /*v431*/, v12
	v_mul_i32_i24_e32 v12, v174 /*v430*/, v13
	;; [unrolled: 1-line block ×4, first 2 shown]
	s_set_vgpr_msb 4                        ;  msbs: dst=0 src0=0 src1=1 src2=0
	v_ashrrev_i32_e32 v15, 24, v220 /*v476*/
	s_set_vgpr_msb 0x41                     ;  msbs: dst=1 src0=1 src1=0 src2=0
	v_bfe_i32 v220 /*v476*/, v220 /*v476*/, 0, 8
	s_set_vgpr_msb 0                        ;  msbs: dst=0 src0=0 src1=0 src2=0
	v_add3_u32 v0, v0, v4, v12
	s_set_vgpr_msb 5                        ;  msbs: dst=0 src0=1 src1=1 src2=0
	v_mul_i32_i24_e32 v12, v247 /*v503*/, v174 /*v430*/
	s_set_vgpr_msb 4                        ;  msbs: dst=0 src0=0 src1=1 src2=0
	v_mul_lo_u32 v11, v11, v48 /*v304*/
	v_cvt_f32_i32_e32 v10, v10
	s_set_vgpr_msb 5                        ;  msbs: dst=0 src0=1 src1=1 src2=0
	v_mul_i32_i24_e32 v4, v220 /*v476*/, v175 /*v431*/
	s_set_vgpr_msb 0                        ;  msbs: dst=0 src0=0 src1=0 src2=0
	v_add3_u32 v0, v0, v13, v14
	s_set_vgpr_msb 4                        ;  msbs: dst=0 src0=0 src1=1 src2=0
	v_mul_i32_i24_e32 v14, v15, v147 /*v403*/
	s_set_vgpr_msb 5                        ;  msbs: dst=0 src0=1 src1=1 src2=0
	v_mul_i32_i24_e32 v13, v184 /*v440*/, v173 /*v429*/
	s_set_vgpr_msb 0x44                     ;  msbs: dst=1 src0=0 src1=1 src2=0
	v_pk_fma_f32 v[186:187] /*v[442:443]*/, v[122:123], v[180:181] /*v[436:437]*/, 0 op_sel_hi:[0,1,0]
	s_set_vgpr_msb 1                        ;  msbs: dst=0 src0=1 src1=0 src2=0
	v_add3_u32 v1, v208 /*v464*/, v1, v4
	s_set_vgpr_msb 20                       ;  msbs: dst=0 src0=0 src1=1 src2=1
	v_add3_u32 v0, v0, v183 /*v439*/, v255 /*v511*/
	s_set_vgpr_msb 5                        ;  msbs: dst=0 src0=1 src1=1 src2=0
	v_add3_u32 v4, v225 /*v481*/, v253 /*v509*/, v14
	v_add3_u32 v13, v223 /*v479*/, v252 /*v508*/, v13
	s_set_vgpr_msb 4                        ;  msbs: dst=0 src0=0 src1=1 src2=0
	v_cvt_f32_i32_e32 v11, v11
	v_mul_i32_i24_e32 v14, v72, v68 /*v324*/
	s_set_vgpr_msb 0                        ;  msbs: dst=0 src0=0 src1=0 src2=0
	v_add3_u32 v0, v0, v76, v80
	s_set_vgpr_msb 1                        ;  msbs: dst=0 src0=1 src1=0 src2=0
	v_add3_u32 v4, v218 /*v474*/, v12, v4
	s_set_vgpr_msb 4                        ;  msbs: dst=0 src0=0 src1=1 src2=0
	v_mul_i32_i24_e32 v12, v69, v66 /*v322*/
	s_set_vgpr_msb 1                        ;  msbs: dst=0 src0=1 src1=0 src2=0
	v_pk_fma_f32 v[10:11], v[178:179] /*v[434:435]*/, v[10:11], 0 op_sel_hi:[1,1,0]
	s_set_vgpr_msb 4                        ;  msbs: dst=0 src0=0 src1=1 src2=0
	v_mul_i32_i24_e32 v76, v93, v70 /*v326*/
	v_mul_lo_u32 v0, v0, v51 /*v307*/
	s_set_vgpr_msb 0                        ;  msbs: dst=0 src0=0 src1=0 src2=0
	v_add3_u32 v1, v1, v13, v4
	s_set_vgpr_msb 4                        ;  msbs: dst=0 src0=0 src1=1 src2=0
	v_mul_i32_i24_e32 v4, v62, v61 /*v317*/
	v_mul_i32_i24_e32 v13, v70, v67 /*v323*/
	v_mul_i32_i24_e32 v80, v149, v72 /*v328*/
	s_set_vgpr_msb 0x44                     ;  msbs: dst=1 src0=0 src1=1 src2=0
	v_mul_i32_i24_e32 v183 /*v439*/, v151, v74 /*v330*/
	s_set_vgpr_msb 4                        ;  msbs: dst=0 src0=0 src1=1 src2=0
	v_add3_u32 v1, v1, v254 /*v510*/, v74
	v_mul_i32_i24_e32 v74, v91, v69 /*v325*/
	s_set_vgpr_msb 0x41                     ;  msbs: dst=1 src0=1 src1=0 src2=0
	v_mul_i32_i24_e32 v208 /*v464*/, v76 /*v332*/, v154
	v_mul_i32_i24_e32 v218 /*v474*/, v79 /*v335*/, v155
	;; [unrolled: 1-line block ×3, first 2 shown]
	s_set_vgpr_msb 0                        ;  msbs: dst=0 src0=0 src1=0 src2=0
	v_add3_u32 v1, v1, v78, v82
	v_cvt_f32_i32_e32 v0, v0
	s_set_vgpr_msb 4                        ;  msbs: dst=0 src0=0 src1=1 src2=0
	v_mul_i32_i24_e32 v78, v148, v71 /*v327*/
	v_mul_i32_i24_e32 v82, v150, v73 /*v329*/
	s_set_vgpr_msb 0x41                     ;  msbs: dst=1 src0=1 src1=0 src2=0
	v_mul_i32_i24_e32 v224 /*v480*/, v81 /*v337*/, v157
	s_set_vgpr_msb 4                        ;  msbs: dst=0 src0=0 src1=1 src2=0
	v_mul_lo_u32 v1, v1, v51 /*v307*/
	s_set_vgpr_msb 0x41                     ;  msbs: dst=1 src0=1 src1=0 src2=0
	v_mul_i32_i24_e32 v225 /*v481*/, v80 /*v336*/, v158
	v_mul_i32_i24_e32 v227 /*v483*/, v83 /*v339*/, v159
	s_set_vgpr_msb 0x44                     ;  msbs: dst=1 src0=0 src1=1 src2=0
	v_mul_i32_i24_e32 v235 /*v491*/, v15, v114 /*v370*/
	s_set_vgpr_msb 4                        ;  msbs: dst=0 src0=0 src1=1 src2=0
	v_mul_i32_i24_e32 v59, v121, v221 /*v477*/
	v_cvt_f32_i32_e32 v1, v1
	s_set_vgpr_msb 1                        ;  msbs: dst=0 src0=1 src1=0 src2=0
	s_delay_alu instid0(VALU_DEP_1)
	v_pk_fma_f32 v[0:1], v[190:191] /*v[446:447]*/, v[0:1], v[10:11]
	s_set_vgpr_msb 16                       ;  msbs: dst=0 src0=0 src1=0 src2=1
	v_pk_fma_f32 v[10:11], v[124:125], v[8:9], v[186:187] /*v[442:443]*/ op_sel_hi:[0,1,1]
	s_set_vgpr_msb 0x44                     ;  msbs: dst=1 src0=0 src1=1 src2=0
	v_mul_i32_i24_e32 v186 /*v442*/, v152, v75 /*v331*/
	s_set_vgpr_msb 0x41                     ;  msbs: dst=1 src0=1 src1=0 src2=0
	v_mul_i32_i24_e32 v187 /*v443*/, v77 /*v333*/, v153
	s_set_vgpr_msb 0                        ;  msbs: dst=0 src0=0 src1=0 src2=0
	v_pk_mul_f32 v[10:11], v[10:11], v[104:105]
	s_delay_alu instid0(VALU_DEP_1)
	v_pk_fma_f32 v[0:1], v[0:1], v[96:97], v[10:11] neg_lo:[0,0,1] neg_hi:[0,0,1]
	s_set_vgpr_msb 4                        ;  msbs: dst=0 src0=0 src1=1 src2=0
	v_mul_i32_i24_e32 v10, v66, v64 /*v320*/
	v_mul_i32_i24_e32 v11, v68, v65 /*v321*/
	s_set_vgpr_msb 0                        ;  msbs: dst=0 src0=0 src1=0 src2=0
	v_pk_add_f32 v[50:51], v[50:51], v[0:1]
	s_set_vgpr_msb 4                        ;  msbs: dst=0 src0=0 src1=1 src2=0
	v_mul_i32_i24_e32 v0, v58, v59 /*v315*/
	v_mul_i32_i24_e32 v1, v61, v60 /*v316*/
	s_delay_alu instid0(VALU_DEP_2) | instskip(SKIP_1) | instid1(VALU_DEP_1)
	v_mad_i32_i24 v0, v60, v58 /*v314*/, v0
	s_set_vgpr_msb 0                        ;  msbs: dst=0 src0=0 src1=0 src2=0
	v_add3_u32 v0, v0, v1, v4
	s_set_vgpr_msb 4                        ;  msbs: dst=0 src0=0 src1=1 src2=0
	v_mul_i32_i24_e32 v1, v64, v62 /*v318*/
	v_mul_i32_i24_e32 v4, v65, v63 /*v319*/
	s_set_vgpr_msb 0                        ;  msbs: dst=0 src0=0 src1=0 src2=0
	s_delay_alu instid0(VALU_DEP_1)
	v_add3_u32 v0, v0, v1, v4
	s_set_vgpr_msb 5                        ;  msbs: dst=0 src0=1 src1=1 src2=0
	v_mul_i32_i24_e32 v1, v214 /*v470*/, v88 /*v344*/
	v_mul_i32_i24_e32 v4, v222 /*v478*/, v85 /*v341*/
	s_set_vgpr_msb 0                        ;  msbs: dst=0 src0=0 src1=0 src2=0
	v_add3_u32 v0, v0, v10, v11
	s_set_vgpr_msb 5                        ;  msbs: dst=0 src0=1 src1=1 src2=0
	v_mul_i32_i24_e32 v10, v212 /*v468*/, v91 /*v347*/
	v_mad_i32_i24 v1, v211 /*v467*/, v87 /*v343*/, v1
	v_mul_i32_i24_e32 v11, v226 /*v482*/, v89 /*v345*/
	s_set_vgpr_msb 0                        ;  msbs: dst=0 src0=0 src1=0 src2=0
	v_add3_u32 v0, v0, v12, v13
	s_set_vgpr_msb 5                        ;  msbs: dst=0 src0=1 src1=1 src2=0
	v_mul_i32_i24_e32 v12, v192 /*v448*/, v96 /*v352*/
	s_set_vgpr_msb 0                        ;  msbs: dst=0 src0=0 src1=0 src2=0
	v_add3_u32 v1, v1, v4, v10
	s_set_vgpr_msb 5                        ;  msbs: dst=0 src0=1 src1=1 src2=0
	v_mul_i32_i24_e32 v4, v215 /*v471*/, v93 /*v349*/
	v_mul_i32_i24_e32 v10, v182 /*v438*/, v94 /*v350*/
	s_set_vgpr_msb 0                        ;  msbs: dst=0 src0=0 src1=0 src2=0
	v_add3_u32 v0, v0, v14, v74
	s_set_vgpr_msb 5                        ;  msbs: dst=0 src0=1 src1=1 src2=0
	v_mul_i32_i24_e32 v13, v216 /*v472*/, v97 /*v353*/
	v_mul_i32_i24_e32 v14, v209 /*v465*/, v98 /*v354*/
	;; [unrolled: 1-line block ×3, first 2 shown]
	s_set_vgpr_msb 0                        ;  msbs: dst=0 src0=0 src1=0 src2=0
	v_add3_u32 v1, v1, v4, v10
	v_add3_u32 v0, v0, v76, v78
	s_set_vgpr_msb 5                        ;  msbs: dst=0 src0=1 src1=1 src2=0
	v_mul_i32_i24_e32 v76, v231 /*v487*/, v100 /*v356*/
	v_mul_i32_i24_e32 v78, v217 /*v473*/, v101 /*v357*/
	;; [unrolled: 1-line block ×3, first 2 shown]
	s_set_vgpr_msb 0                        ;  msbs: dst=0 src0=0 src1=0 src2=0
	v_add3_u32 v1, v1, v11, v12
	v_add3_u32 v0, v0, v80, v82
	s_set_vgpr_msb 5                        ;  msbs: dst=0 src0=1 src1=1 src2=0
	v_mul_i32_i24_e32 v80, v210 /*v466*/, v102 /*v358*/
	v_mul_i32_i24_e32 v82, v238 /*v494*/, v99 /*v355*/
	s_set_vgpr_msb 1                        ;  msbs: dst=0 src0=1 src1=0 src2=0
	v_mul_i32_i24_e32 v11, v56 /*v312*/, v7
	s_set_vgpr_msb 0                        ;  msbs: dst=0 src0=0 src1=0 src2=0
	v_add3_u32 v1, v1, v13, v14
	s_set_vgpr_msb 20                       ;  msbs: dst=0 src0=0 src1=1 src2=1
	v_add3_u32 v0, v0, v183 /*v439*/, v186 /*v442*/
	s_set_vgpr_msb 0x45                     ;  msbs: dst=1 src0=1 src1=1 src2=0
	v_mul_i32_i24_e32 v183 /*v439*/, v237 /*v493*/, v103 /*v359*/
	v_mul_i32_i24_e32 v186 /*v442*/, v189 /*v445*/, v104 /*v360*/
	s_set_vgpr_msb 5                        ;  msbs: dst=0 src0=1 src1=1 src2=0
	v_mul_i32_i24_e32 v12, v56 /*v312*/, v213 /*v469*/
	s_set_vgpr_msb 0                        ;  msbs: dst=0 src0=0 src1=0 src2=0
	v_add3_u32 v1, v1, v74, v76
	s_set_vgpr_msb 20                       ;  msbs: dst=0 src0=0 src1=1 src2=1
	v_add3_u32 v0, v0, v187 /*v443*/, v208 /*v464*/
	s_set_vgpr_msb 0x44                     ;  msbs: dst=1 src0=0 src1=1 src2=0
	v_mul_i32_i24_e32 v187 /*v443*/, v43, v105 /*v361*/
	s_set_vgpr_msb 0x45                     ;  msbs: dst=1 src0=1 src1=1 src2=0
	v_mul_i32_i24_e32 v208 /*v464*/, v185 /*v441*/, v107 /*v363*/
	s_set_vgpr_msb 4                        ;  msbs: dst=0 src0=0 src1=1 src2=0
	v_mul_i32_i24_e32 v13, v173, v250 /*v506*/
	s_set_vgpr_msb 0                        ;  msbs: dst=0 src0=0 src1=0 src2=0
	v_add3_u32 v1, v1, v78, v80
	s_set_vgpr_msb 20                       ;  msbs: dst=0 src0=0 src1=1 src2=1
	v_add3_u32 v0, v0, v218 /*v474*/, v223 /*v479*/
	s_set_vgpr_msb 0x45                     ;  msbs: dst=1 src0=1 src1=1 src2=0
	v_mul_i32_i24_e32 v218 /*v474*/, v177 /*v433*/, v106 /*v362*/
	v_mul_i32_i24_e32 v223 /*v479*/, v219 /*v475*/, v108 /*v364*/
	s_set_vgpr_msb 4                        ;  msbs: dst=0 src0=0 src1=1 src2=0
	v_mul_i32_i24_e32 v14, v173, v251 /*v507*/
	s_set_vgpr_msb 16                       ;  msbs: dst=0 src0=0 src1=0 src2=1
	v_add3_u32 v1, v1, v82, v183 /*v439*/
	s_set_vgpr_msb 20                       ;  msbs: dst=0 src0=0 src1=1 src2=1
	v_add3_u32 v0, v0, v224 /*v480*/, v225 /*v481*/
	s_set_vgpr_msb 0x45                     ;  msbs: dst=1 src0=1 src1=1 src2=0
	v_mul_i32_i24_e32 v224 /*v480*/, v241 /*v497*/, v109 /*v365*/
	v_mul_i32_i24_e32 v225 /*v481*/, v188 /*v444*/, v111 /*v367*/
	s_set_vgpr_msb 0                        ;  msbs: dst=0 src0=0 src1=0 src2=0
	v_mul_i32_i24_e32 v74, v121, v3
	s_set_vgpr_msb 20                       ;  msbs: dst=0 src0=0 src1=1 src2=1
	v_add3_u32 v1, v1, v186 /*v442*/, v187 /*v443*/
	v_add3_u32 v0, v0, v227 /*v483*/, v228 /*v484*/
	s_set_vgpr_msb 0x45                     ;  msbs: dst=1 src0=1 src1=1 src2=0
	v_mul_i32_i24_e32 v227 /*v483*/, v176 /*v432*/, v110 /*v366*/
	v_mul_i32_i24_e32 v228 /*v484*/, v220 /*v476*/, v112 /*v368*/
	s_set_vgpr_msb 20                       ;  msbs: dst=0 src0=0 src1=1 src2=1
	v_mul_i32_i24_e32 v76, v149, v3 /*v259*/
	v_add3_u32 v1, v1, v208 /*v464*/, v218 /*v474*/
	v_add3_u32 v0, v0, v229 /*v485*/, v230 /*v486*/
	s_set_vgpr_msb 0x45                     ;  msbs: dst=1 src0=1 src1=1 src2=0
	v_mul_i32_i24_e32 v229 /*v485*/, v247 /*v503*/, v113 /*v369*/
	v_mul_i32_i24_e32 v230 /*v486*/, v184 /*v440*/, v115 /*v371*/
	s_set_vgpr_msb 20                       ;  msbs: dst=0 src0=0 src1=1 src2=1
	v_mul_i32_i24_e32 v78, v150, v4 /*v260*/
	v_add3_u32 v1, v1, v223 /*v479*/, v224 /*v480*/
	v_add3_u32 v0, v0, v233 /*v489*/, v234 /*v490*/
	v_mul_i32_i24_e32 v80, v151, v5 /*v261*/
	v_mul_i32_i24_e32 v82, v152, v6 /*v262*/
	s_set_vgpr_msb 0x41                     ;  msbs: dst=1 src0=1 src1=0 src2=0
	v_mul_i32_i24_e32 v183 /*v439*/, v8 /*v264*/, v153
	s_set_vgpr_msb 20                       ;  msbs: dst=0 src0=0 src1=1 src2=1
	v_add3_u32 v1, v1, v225 /*v481*/, v227 /*v483*/
	s_set_vgpr_msb 0                        ;  msbs: dst=0 src0=0 src1=0 src2=0
	v_add3_u32 v0, v0, v4, v12
	s_set_vgpr_msb 1                        ;  msbs: dst=0 src0=1 src1=0 src2=0
	v_mul_i32_i24_e32 v12, v249 /*v505*/, v174
	s_set_vgpr_msb 0x41                     ;  msbs: dst=1 src0=1 src1=0 src2=0
	v_mul_i32_i24_e32 v186 /*v442*/, v7 /*v263*/, v154
	v_mul_i32_i24_e32 v187 /*v443*/, v10 /*v266*/, v155
	s_set_vgpr_msb 20                       ;  msbs: dst=0 src0=0 src1=1 src2=1
	v_add3_u32 v1, v1, v228 /*v484*/, v229 /*v485*/
	v_mul_lo_u32 v0, v0, v55 /*v311*/
	s_set_vgpr_msb 0x41                     ;  msbs: dst=1 src0=1 src1=0 src2=0
	v_mul_i32_i24_e32 v208 /*v464*/, v14 /*v270*/, v159
	v_mul_i32_i24_e32 v218 /*v474*/, v13 /*v269*/, v160
	;; [unrolled: 1-line block ×3, first 2 shown]
	s_set_vgpr_msb 20                       ;  msbs: dst=0 src0=0 src1=1 src2=1
	v_add3_u32 v10, v1, v230 /*v486*/, v235 /*v491*/
	v_mul_i32_i24_e32 v1, v6, v57 /*v313*/
	s_set_vgpr_msb 0x41                     ;  msbs: dst=1 src0=1 src1=0 src2=0
	v_mul_i32_i24_e32 v224 /*v480*/, v15 /*v271*/, v162
	s_set_vgpr_msb 0x44                     ;  msbs: dst=1 src0=0 src1=1 src2=0
	v_mul_i32_i24_e32 v225 /*v481*/, v163, v21 /*v277*/
	s_set_vgpr_msb 0x45                     ;  msbs: dst=1 src0=1 src1=1 src2=0
	v_mul_i32_i24_e32 v227 /*v483*/, v206 /*v462*/, v23 /*v279*/
	s_set_vgpr_msb 4                        ;  msbs: dst=0 src0=0 src1=1 src2=0
	v_add3_u32 v10, v10, v236 /*v492*/, v12
	s_set_vgpr_msb 0                        ;  msbs: dst=0 src0=0 src1=0 src2=0
	v_add3_u32 v1, v5, v1, v11
	v_mul_i32_i24_e32 v11, v2, v174
	s_set_vgpr_msb 0x44                     ;  msbs: dst=1 src0=0 src1=1 src2=0
	v_mul_i32_i24_e32 v228 /*v484*/, v15, v45 /*v301*/
	s_set_vgpr_msb 0x45                     ;  msbs: dst=1 src0=1 src1=1 src2=0
	v_mul_i32_i24_e32 v229 /*v485*/, v248 /*v504*/, v47 /*v303*/
	s_set_vgpr_msb 0                        ;  msbs: dst=0 src0=0 src1=0 src2=0
	v_add3_u32 v10, v10, v13, v59
	s_set_vgpr_msb 4                        ;  msbs: dst=0 src0=0 src1=1 src2=0
	v_mul_lo_u32 v4, v1, v55 /*v311*/
	s_set_vgpr_msb 5                        ;  msbs: dst=0 src0=1 src1=1 src2=0
	v_add3_u32 v11, v195 /*v451*/, v194 /*v450*/, v11
	s_set_vgpr_msb 0                        ;  msbs: dst=0 src0=0 src1=0 src2=0
	v_cvt_f32_i32_e32 v1, v0
	v_mul_i32_i24_e32 v13, v72, v255
	v_mul_lo_u32 v12, v10, v175
	s_set_vgpr_msb 4                        ;  msbs: dst=0 src0=0 src1=1 src2=0
	v_mul_i32_i24_e32 v59, v93, v1 /*v257*/
	s_set_vgpr_msb 0                        ;  msbs: dst=0 src0=0 src1=0 src2=0
	v_add3_u32 v11, v11, v14, v74
	s_set_vgpr_msb 4                        ;  msbs: dst=0 src0=0 src1=1 src2=0
	v_mul_i32_i24_e32 v14, v91, v0 /*v256*/
	v_mul_i32_i24_e32 v74, v148, v2 /*v258*/
	s_set_vgpr_msb 0x41                     ;  msbs: dst=1 src0=1 src1=0 src2=0
	v_mul_i32_i24_e32 v194 /*v450*/, v12 /*v268*/, v157
	v_mul_i32_i24_e32 v195 /*v451*/, v11 /*v267*/, v158
	s_set_vgpr_msb 0                        ;  msbs: dst=0 src0=0 src1=0 src2=0
	v_mul_lo_u32 v10, v11, v175
	v_cvt_f32_i32_e32 v0, v4
	s_set_vgpr_msb 4                        ;  msbs: dst=0 src0=0 src1=1 src2=0
	v_pk_fma_f32 v[4:5], v[126:127], v[180:181] /*v[436:437]*/, 0 op_sel_hi:[0,1,0]
	s_set_vgpr_msb 0                        ;  msbs: dst=0 src0=0 src1=0 src2=0
	v_mul_i32_i24_e32 v15, v15, v239
	v_cvt_f32_i32_e32 v11, v12
	v_mul_i32_i24_e32 v12, v70, v254
	s_set_vgpr_msb 1                        ;  msbs: dst=0 src0=1 src1=0 src2=0
	v_pk_fma_f32 v[0:1], v[178:179] /*v[434:435]*/, v[0:1], 0 op_sel_hi:[1,1,0]
	s_set_vgpr_msb 0                        ;  msbs: dst=0 src0=0 src1=0 src2=0
	v_pk_fma_f32 v[4:5], v[120:121], v[8:9], v[4:5] op_sel_hi:[0,1,1]
	v_cvt_f32_i32_e32 v10, v10
	s_delay_alu instid0(VALU_DEP_2) | instskip(SKIP_1) | instid1(VALU_DEP_2)
	v_pk_mul_f32 v[4:5], v[4:5], v[106:107]
	s_set_vgpr_msb 1                        ;  msbs: dst=0 src0=1 src1=0 src2=0
	v_pk_fma_f32 v[0:1], v[190:191] /*v[446:447]*/, v[10:11], v[0:1]
	s_set_vgpr_msb 0                        ;  msbs: dst=0 src0=0 src1=0 src2=0
	v_mul_i32_i24_e32 v10, v68, v252
	v_mul_i32_i24_e32 v11, v69, v253
	s_delay_alu instid0(VALU_DEP_3) | instskip(SKIP_2) | instid1(VALU_DEP_3)
	v_pk_fma_f32 v[0:1], v[0:1], v[98:99], v[4:5] neg_lo:[0,0,1] neg_hi:[0,0,1]
	v_mul_i32_i24_e32 v4, v62, v248
	v_mul_i32_i24_e32 v5, v66, v251
	v_pk_add_f32 v[48:49], v[48:49], v[0:1]
	v_mul_i32_i24_e32 v0, v58, v246
	v_mul_i32_i24_e32 v1, v61, v247
	s_delay_alu instid0(VALU_DEP_2) | instskip(NEXT) | instid1(VALU_DEP_1)
	v_mad_i32_i24 v0, v60, v245, v0
	v_add3_u32 v0, v0, v1, v4
	v_mul_i32_i24_e32 v1, v64, v249
	v_mul_i32_i24_e32 v4, v65, v250
	s_delay_alu instid0(VALU_DEP_1)
	v_add3_u32 v0, v0, v1, v4
	s_set_vgpr_msb 5                        ;  msbs: dst=0 src0=1 src1=1 src2=0
	v_mul_i32_i24_e32 v1, v214 /*v470*/, v19 /*v275*/
	v_mul_i32_i24_e32 v4, v222 /*v478*/, v16 /*v272*/
	s_set_vgpr_msb 0                        ;  msbs: dst=0 src0=0 src1=0 src2=0
	v_add3_u32 v0, v0, v5, v10
	s_set_vgpr_msb 5                        ;  msbs: dst=0 src0=1 src1=1 src2=0
	v_mul_i32_i24_e32 v5, v212 /*v468*/, v22 /*v278*/
	v_mad_i32_i24 v1, v211 /*v467*/, v18 /*v274*/, v1
	v_mul_i32_i24_e32 v10, v226 /*v482*/, v20 /*v276*/
	s_set_vgpr_msb 0                        ;  msbs: dst=0 src0=0 src1=0 src2=0
	v_add3_u32 v0, v0, v11, v12
	s_set_vgpr_msb 5                        ;  msbs: dst=0 src0=1 src1=1 src2=0
	v_mul_i32_i24_e32 v11, v192 /*v448*/, v27 /*v283*/
	s_set_vgpr_msb 0                        ;  msbs: dst=0 src0=0 src1=0 src2=0
	v_add3_u32 v1, v1, v4, v5
	s_set_vgpr_msb 5                        ;  msbs: dst=0 src0=1 src1=1 src2=0
	v_mul_i32_i24_e32 v4, v215 /*v471*/, v24 /*v280*/
	v_mul_i32_i24_e32 v5, v182 /*v438*/, v25 /*v281*/
	s_set_vgpr_msb 0                        ;  msbs: dst=0 src0=0 src1=0 src2=0
	v_add3_u32 v0, v0, v13, v14
	s_set_vgpr_msb 5                        ;  msbs: dst=0 src0=1 src1=1 src2=0
	v_mul_i32_i24_e32 v12, v216 /*v472*/, v28 /*v284*/
	v_mul_i32_i24_e32 v13, v209 /*v465*/, v29 /*v285*/
	;; [unrolled: 1-line block ×3, first 2 shown]
	s_set_vgpr_msb 0                        ;  msbs: dst=0 src0=0 src1=0 src2=0
	v_add3_u32 v1, v1, v4, v5
	v_add3_u32 v0, v0, v59, v74
	s_set_vgpr_msb 5                        ;  msbs: dst=0 src0=1 src1=1 src2=0
	v_mul_i32_i24_e32 v59, v231 /*v487*/, v31 /*v287*/
	v_mul_i32_i24_e32 v74, v217 /*v473*/, v32 /*v288*/
	s_set_vgpr_msb 1                        ;  msbs: dst=0 src0=1 src1=0 src2=0
	v_mul_i32_i24_e32 v4, v207 /*v463*/, v244
	s_set_vgpr_msb 0                        ;  msbs: dst=0 src0=0 src1=0 src2=0
	v_add3_u32 v1, v1, v10, v11
	v_add3_u32 v0, v0, v76, v78
	s_set_vgpr_msb 5                        ;  msbs: dst=0 src0=1 src1=1 src2=0
	v_mul_i32_i24_e32 v76, v210 /*v466*/, v33 /*v289*/
	v_mul_i32_i24_e32 v78, v238 /*v494*/, v30 /*v286*/
	s_set_vgpr_msb 0                        ;  msbs: dst=0 src0=0 src1=0 src2=0
	v_mul_i32_i24_e32 v5, v243, v7
	v_add3_u32 v1, v1, v12, v13
	v_add3_u32 v0, v0, v80, v82
	s_set_vgpr_msb 5                        ;  msbs: dst=0 src0=1 src1=1 src2=0
	v_mul_i32_i24_e32 v80, v237 /*v493*/, v34 /*v290*/
	v_mul_i32_i24_e32 v82, v189 /*v445*/, v35 /*v291*/
	s_set_vgpr_msb 4                        ;  msbs: dst=0 src0=0 src1=1 src2=0
	v_mul_i32_i24_e32 v11, v243, v213 /*v469*/
	s_set_vgpr_msb 0                        ;  msbs: dst=0 src0=0 src1=0 src2=0
	v_add3_u32 v1, v1, v14, v59
	s_set_vgpr_msb 20                       ;  msbs: dst=0 src0=0 src1=1 src2=1
	v_add3_u32 v0, v0, v183 /*v439*/, v186 /*v442*/
	s_set_vgpr_msb 0x44                     ;  msbs: dst=1 src0=0 src1=1 src2=0
	v_mul_i32_i24_e32 v183 /*v439*/, v43, v36 /*v292*/
	s_set_vgpr_msb 0x45                     ;  msbs: dst=1 src0=1 src1=1 src2=0
	v_mul_i32_i24_e32 v186 /*v442*/, v185 /*v441*/, v38 /*v294*/
	s_set_vgpr_msb 21                       ;  msbs: dst=0 src0=1 src1=1 src2=1
	v_add3_u32 v12, v196 /*v452*/, v198 /*v454*/, v197 /*v453*/
	s_set_vgpr_msb 0                        ;  msbs: dst=0 src0=0 src1=0 src2=0
	v_add3_u32 v1, v1, v74, v76
	s_set_vgpr_msb 20                       ;  msbs: dst=0 src0=0 src1=1 src2=1
	v_add3_u32 v0, v0, v187 /*v443*/, v193 /*v449*/
	s_set_vgpr_msb 0x45                     ;  msbs: dst=1 src0=1 src1=1 src2=0
	v_mul_i32_i24_e32 v187 /*v443*/, v177 /*v433*/, v37 /*v293*/
	v_mul_i32_i24_e32 v193 /*v449*/, v219 /*v475*/, v39 /*v295*/
	s_set_vgpr_msb 4                        ;  msbs: dst=0 src0=0 src1=1 src2=0
	v_mul_i32_i24_e32 v13, v115, v250 /*v506*/
	s_set_vgpr_msb 0                        ;  msbs: dst=0 src0=0 src1=0 src2=0
	v_add3_u32 v1, v1, v78, v80
	s_set_vgpr_msb 20                       ;  msbs: dst=0 src0=0 src1=1 src2=1
	v_add3_u32 v0, v0, v194 /*v450*/, v195 /*v451*/
	s_set_vgpr_msb 0x45                     ;  msbs: dst=1 src0=1 src1=1 src2=0
	v_mul_i32_i24_e32 v194 /*v450*/, v241 /*v497*/, v40 /*v296*/
	v_mul_i32_i24_e32 v195 /*v451*/, v188 /*v444*/, v42 /*v298*/
	s_set_vgpr_msb 4                        ;  msbs: dst=0 src0=0 src1=1 src2=0
	v_mul_i32_i24_e32 v14, v115, v251 /*v507*/
	s_set_vgpr_msb 16                       ;  msbs: dst=0 src0=0 src1=0 src2=1
	v_add3_u32 v1, v1, v82, v183 /*v439*/
	s_set_vgpr_msb 20                       ;  msbs: dst=0 src0=0 src1=1 src2=1
	v_add3_u32 v0, v0, v208 /*v464*/, v218 /*v474*/
	s_set_vgpr_msb 0x45                     ;  msbs: dst=1 src0=1 src1=1 src2=0
	v_mul_i32_i24_e32 v208 /*v464*/, v176 /*v432*/, v41 /*v297*/
	v_mul_i32_i24_e32 v218 /*v474*/, v220 /*v476*/, v43 /*v299*/
	s_set_vgpr_msb 20                       ;  msbs: dst=0 src0=0 src1=1 src2=1
	v_mul_i32_i24_e32 v59, v113, v221 /*v477*/
	v_add3_u32 v1, v1, v186 /*v442*/, v187 /*v443*/
	v_add3_u32 v0, v0, v223 /*v479*/, v224 /*v480*/
	s_set_vgpr_msb 0x45                     ;  msbs: dst=1 src0=1 src1=1 src2=0
	v_mul_i32_i24_e32 v223 /*v479*/, v247 /*v503*/, v44 /*v300*/
	v_mul_i32_i24_e32 v224 /*v480*/, v184 /*v440*/, v46 /*v302*/
	s_set_vgpr_msb 0                        ;  msbs: dst=0 src0=0 src1=0 src2=0
	v_mul_i32_i24_e32 v74, v113, v3
	s_set_vgpr_msb 20                       ;  msbs: dst=0 src0=0 src1=1 src2=1
	v_add3_u32 v1, v1, v193 /*v449*/, v194 /*v450*/
	v_add3_u32 v0, v0, v225 /*v481*/, v227 /*v483*/
	s_set_vgpr_msb 0                        ;  msbs: dst=0 src0=0 src1=0 src2=0
	v_mul_i32_i24_e32 v43, v43, v230
	v_mul_i32_i24_e32 v76, v207, v160
	;; [unrolled: 1-line block ×3, first 2 shown]
	s_set_vgpr_msb 20                       ;  msbs: dst=0 src0=0 src1=1 src2=1
	v_add3_u32 v1, v1, v195 /*v451*/, v208 /*v464*/
	s_set_vgpr_msb 0                        ;  msbs: dst=0 src0=0 src1=0 src2=0
	v_add3_u32 v0, v0, v4, v11
	v_mul_i32_i24_e32 v11, v2, v117
	v_mul_i32_i24_e32 v80, v209, v162
	;; [unrolled: 1-line block ×3, first 2 shown]
	s_set_vgpr_msb 20                       ;  msbs: dst=0 src0=0 src1=1 src2=1
	v_add3_u32 v1, v1, v218 /*v474*/, v223 /*v479*/
	s_set_vgpr_msb 0                        ;  msbs: dst=0 src0=0 src1=0 src2=0
	v_mul_lo_u32 v0, v0, v242
	s_set_vgpr_msb 5                        ;  msbs: dst=0 src0=1 src1=1 src2=0
	v_add3_u32 v11, v200 /*v456*/, v199 /*v455*/, v11
	s_set_vgpr_msb 0                        ;  msbs: dst=0 src0=0 src1=0 src2=0
	v_mul_i32_i24_e32 v2, v2, v178
	v_mul_i32_i24_e32 v3, v176, v3
	s_set_vgpr_msb 20                       ;  msbs: dst=0 src0=0 src1=1 src2=1
	v_add3_u32 v10, v1, v224 /*v480*/, v228 /*v484*/
	s_set_vgpr_msb 0                        ;  msbs: dst=0 src0=0 src1=0 src2=0
	v_mul_i32_i24_e32 v1, v6, v244
	v_add3_u32 v11, v11, v14, v74
	v_mul_i32_i24_e32 v14, v91, v194
	v_mul_i32_i24_e32 v74, v208, v159
	s_set_vgpr_msb 1                        ;  msbs: dst=0 src0=1 src1=0 src2=0
	v_mul_i32_i24_e32 v91, v206 /*v462*/, v217
	s_set_vgpr_msb 0                        ;  msbs: dst=0 src0=0 src1=0 src2=0
	v_add3_u32 v1, v12, v1, v5
	s_set_vgpr_msb 1                        ;  msbs: dst=0 src0=1 src1=0 src2=0
	v_mul_i32_i24_e32 v12, v249 /*v505*/, v117
	s_set_vgpr_msb 5                        ;  msbs: dst=0 src0=1 src1=1 src2=0
	v_add3_u32 v2, v205 /*v461*/, v204 /*v460*/, v2
	s_set_vgpr_msb 0                        ;  msbs: dst=0 src0=0 src1=0 src2=0
	v_mul_lo_u32 v4, v1, v242
	s_set_vgpr_msb 4                        ;  msbs: dst=0 src0=0 src1=1 src2=0
	v_add3_u32 v10, v10, v229 /*v485*/, v12
	v_cvt_f32_i32_e32 v1, v0
	s_set_vgpr_msb 0                        ;  msbs: dst=0 src0=0 src1=0 src2=0
	s_delay_alu instid0(VALU_DEP_2) | instskip(SKIP_3) | instid1(VALU_DEP_4)
	v_add3_u32 v10, v10, v13, v59
	v_mul_i32_i24_e32 v13, v72, v193
	v_mul_i32_i24_e32 v59, v148, v196
	;; [unrolled: 1-line block ×3, first 2 shown]
	v_mul_lo_u32 v12, v10, v119
	v_mul_lo_u32 v10, v11, v119
	v_cvt_f32_i32_e32 v0, v4
	s_set_vgpr_msb 4                        ;  msbs: dst=0 src0=0 src1=1 src2=0
	v_pk_fma_f32 v[4:5], v[112:113], v[180:181] /*v[436:437]*/, 0 op_sel_hi:[0,1,0]
	s_set_vgpr_msb 1                        ;  msbs: dst=0 src0=1 src1=0 src2=0
	s_delay_alu instid0(VALU_DEP_2) | instskip(SKIP_1) | instid1(VALU_DEP_2)
	v_pk_fma_f32 v[0:1], v[178:179] /*v[434:435]*/, v[0:1], 0 op_sel_hi:[1,1,0]
	s_set_vgpr_msb 0                        ;  msbs: dst=0 src0=0 src1=0 src2=0
	v_pk_fma_f32 v[4:5], v[114:115], v[8:9], v[4:5] op_sel_hi:[0,1,1]
	v_cvt_f32_i32_e32 v11, v12
	v_cvt_f32_i32_e32 v10, v10
	s_delay_alu instid0(VALU_DEP_3)
	v_pk_mul_f32 v[4:5], v[4:5], v[108:109]
	v_mul_i32_i24_e32 v12, v70, v192
	v_mul_i32_i24_e32 v70, v206, v157
	s_set_vgpr_msb 1                        ;  msbs: dst=0 src0=1 src1=0 src2=0
	v_pk_fma_f32 v[0:1], v[190:191] /*v[446:447]*/, v[10:11], v[0:1]
	s_set_vgpr_msb 0                        ;  msbs: dst=0 src0=0 src1=0 src2=0
	v_mul_i32_i24_e32 v10, v68, v190
	v_mul_i32_i24_e32 v11, v69, v191
	;; [unrolled: 1-line block ×4, first 2 shown]
	v_pk_fma_f32 v[0:1], v[0:1], v[100:101], v[4:5] neg_lo:[0,0,1] neg_hi:[0,0,1]
	v_mul_i32_i24_e32 v4, v62, v186
	v_mul_i32_i24_e32 v5, v66, v189
	;; [unrolled: 1-line block ×4, first 2 shown]
	v_pk_add_f32 v[46:47], v[46:47], v[0:1]
	v_mul_i32_i24_e32 v0, v58, v184
	v_mul_i32_i24_e32 v1, v61, v185
	;; [unrolled: 1-line block ×4, first 2 shown]
	s_delay_alu instid0(VALU_DEP_4) | instskip(SKIP_1) | instid1(VALU_DEP_2)
	v_mad_i32_i24 v0, v60, v183, v0
	v_mul_i32_i24_e32 v60, v149, v197
	v_add3_u32 v0, v0, v1, v4
	v_mul_i32_i24_e32 v1, v64, v187
	v_mul_i32_i24_e32 v4, v65, v188
	;; [unrolled: 1-line block ×4, first 2 shown]
	s_delay_alu instid0(VALU_DEP_3)
	v_add3_u32 v0, v0, v1, v4
	s_set_vgpr_msb 1                        ;  msbs: dst=0 src0=1 src1=0 src2=0
	v_mul_i32_i24_e32 v1, v214 /*v470*/, v213
	v_mul_i32_i24_e32 v4, v222 /*v478*/, v210
	s_set_vgpr_msb 0                        ;  msbs: dst=0 src0=0 src1=0 src2=0
	v_add3_u32 v0, v0, v5, v10
	s_set_vgpr_msb 1                        ;  msbs: dst=0 src0=1 src1=0 src2=0
	v_mul_i32_i24_e32 v5, v212 /*v468*/, v216
	v_mad_i32_i24 v1, v211 /*v467*/, v212, v1
	v_mul_i32_i24_e32 v10, v226 /*v482*/, v214
	s_set_vgpr_msb 0                        ;  msbs: dst=0 src0=0 src1=0 src2=0
	v_add3_u32 v0, v0, v11, v12
	s_set_vgpr_msb 1                        ;  msbs: dst=0 src0=1 src1=0 src2=0
	v_mul_i32_i24_e32 v11, v192 /*v448*/, v221
	s_set_vgpr_msb 0                        ;  msbs: dst=0 src0=0 src1=0 src2=0
	v_add3_u32 v1, v1, v4, v5
	s_set_vgpr_msb 1                        ;  msbs: dst=0 src0=1 src1=0 src2=0
	v_mul_i32_i24_e32 v4, v215 /*v471*/, v218
	v_mul_i32_i24_e32 v5, v182 /*v438*/, v219
	s_set_vgpr_msb 0                        ;  msbs: dst=0 src0=0 src1=0 src2=0
	v_add3_u32 v0, v0, v13, v14
	s_set_vgpr_msb 1                        ;  msbs: dst=0 src0=1 src1=0 src2=0
	v_mul_i32_i24_e32 v12, v216 /*v472*/, v222
	v_mul_i32_i24_e32 v13, v209 /*v465*/, v223
	;; [unrolled: 1-line block ×3, first 2 shown]
	s_set_vgpr_msb 0                        ;  msbs: dst=0 src0=0 src1=0 src2=0
	v_add3_u32 v1, v1, v4, v5
	v_add3_u32 v0, v0, v58, v59
	s_set_vgpr_msb 1                        ;  msbs: dst=0 src0=1 src1=0 src2=0
	v_mul_i32_i24_e32 v58, v231 /*v487*/, v225
	v_mul_i32_i24_e32 v59, v217 /*v473*/, v226
	;; [unrolled: 1-line block ×3, first 2 shown]
	s_set_vgpr_msb 0                        ;  msbs: dst=0 src0=0 src1=0 src2=0
	v_add3_u32 v1, v1, v10, v11
	v_add3_u32 v0, v0, v60, v61
	s_set_vgpr_msb 1                        ;  msbs: dst=0 src0=1 src1=0 src2=0
	v_mul_i32_i24_e32 v60, v210 /*v466*/, v227
	v_mul_i32_i24_e32 v61, v238 /*v494*/, v224
	s_set_vgpr_msb 0                        ;  msbs: dst=0 src0=0 src1=0 src2=0
	v_mul_i32_i24_e32 v5, v181, v7
	v_add3_u32 v1, v1, v12, v13
	v_add3_u32 v0, v0, v62, v64
	s_set_vgpr_msb 1                        ;  msbs: dst=0 src0=1 src1=0 src2=0
	v_mul_i32_i24_e32 v62, v237 /*v493*/, v228
	v_mul_i32_i24_e32 v64, v189 /*v445*/, v229
	s_set_vgpr_msb 21                       ;  msbs: dst=0 src0=1 src1=1 src2=1
	v_add3_u32 v7, v201 /*v457*/, v203 /*v459*/, v202 /*v458*/
	s_set_vgpr_msb 0                        ;  msbs: dst=0 src0=0 src1=0 src2=0
	v_add3_u32 v1, v1, v14, v58
	v_add3_u32 v0, v0, v65, v66
	s_set_vgpr_msb 1                        ;  msbs: dst=0 src0=1 src1=0 src2=0
	v_mul_i32_i24_e32 v65, v185 /*v441*/, v232
	v_mul_i32_i24_e32 v66, v177 /*v433*/, v231
	s_set_vgpr_msb 4                        ;  msbs: dst=0 src0=0 src1=1 src2=0
	v_mul_i32_i24_e32 v11, v177, v251 /*v507*/
	s_set_vgpr_msb 0                        ;  msbs: dst=0 src0=0 src1=0 src2=0
	v_add3_u32 v1, v1, v59, v60
	v_add3_u32 v0, v0, v68, v69
	s_set_vgpr_msb 1                        ;  msbs: dst=0 src0=1 src1=0 src2=0
	v_mul_i32_i24_e32 v68, v219 /*v475*/, v233
	v_mul_i32_i24_e32 v69, v241 /*v497*/, v234
	s_set_vgpr_msb 4                        ;  msbs: dst=0 src0=0 src1=1 src2=0
	v_mul_i32_i24_e32 v12, v176, v221 /*v477*/
	s_set_vgpr_msb 0                        ;  msbs: dst=0 src0=0 src1=0 src2=0
	v_add3_u32 v1, v1, v61, v62
	v_add3_u32 v0, v0, v70, v72
	s_set_vgpr_msb 1                        ;  msbs: dst=0 src0=1 src1=0 src2=0
	v_mul_i32_i24_e32 v70, v188 /*v444*/, v236
	v_mul_i32_i24_e32 v72, v176 /*v432*/, v235
	s_set_vgpr_msb 0                        ;  msbs: dst=0 src0=0 src1=0 src2=0
	v_add3_u32 v2, v2, v11, v3
	v_add3_u32 v1, v1, v64, v43
	v_add3_u32 v0, v0, v74, v76
	s_set_vgpr_msb 1                        ;  msbs: dst=0 src0=1 src1=0 src2=0
	v_mul_i32_i24_e32 v74, v220 /*v476*/, v237
	v_mul_i32_i24_e32 v76, v247 /*v503*/, v238
	s_set_vgpr_msb 0                        ;  msbs: dst=0 src0=0 src1=0 src2=0
	v_mul_lo_u32 v2, v2, v179
	v_add3_u32 v1, v1, v65, v66
	v_add3_u32 v0, v0, v78, v80
	s_set_vgpr_msb 1                        ;  msbs: dst=0 src0=1 src1=0 src2=0
	v_mul_i32_i24_e32 v78, v184 /*v440*/, v240
	v_mul_i32_i24_e32 v80, v248 /*v504*/, v241
	s_set_vgpr_msb 0                        ;  msbs: dst=0 src0=0 src1=0 src2=0
	v_add3_u32 v1, v1, v68, v69
	v_add3_u32 v0, v0, v82, v91
	s_delay_alu instid0(VALU_DEP_2) | instskip(SKIP_1) | instid1(VALU_DEP_2)
	v_add3_u32 v1, v1, v70, v72
	v_cvt_f32_i32_e32 v2, v2
	v_add3_u32 v1, v1, v74, v76
	s_delay_alu instid0(VALU_DEP_1) | instskip(SKIP_4) | instid1(VALU_DEP_2)
	v_add3_u32 v10, v1, v78, v15
	v_mul_i32_i24_e32 v1, v6, v182
	s_set_vgpr_msb 4                        ;  msbs: dst=0 src0=0 src1=1 src2=0
	v_mul_i32_i24_e32 v6, v181, v213 /*v469*/
	s_set_vgpr_msb 0                        ;  msbs: dst=0 src0=0 src1=0 src2=0
	v_add3_u32 v1, v7, v1, v5
	s_delay_alu instid0(VALU_DEP_2)
	v_add3_u32 v0, v0, v4, v6
	s_set_vgpr_msb 1                        ;  msbs: dst=0 src0=1 src1=0 src2=0
	v_mul_i32_i24_e32 v6, v249 /*v505*/, v178
	s_set_vgpr_msb 4                        ;  msbs: dst=0 src0=0 src1=1 src2=0
	v_mul_i32_i24_e32 v7, v177, v250 /*v506*/
	s_set_vgpr_msb 0                        ;  msbs: dst=0 src0=0 src1=0 src2=0
	v_mul_lo_u32 v4, v1, v180
	v_mul_lo_u32 v0, v0, v180
	v_add3_u32 v6, v10, v80, v6
	s_delay_alu instid0(VALU_DEP_1) | instskip(NEXT) | instid1(VALU_DEP_1)
	v_add3_u32 v3, v6, v7, v12
	v_mul_lo_u32 v3, v3, v179
	s_delay_alu instid0(VALU_DEP_4) | instskip(SKIP_4) | instid1(VALU_DEP_2)
	v_cvt_f32_i32_e32 v1, v0
	v_cvt_f32_i32_e32 v0, v4
	s_set_vgpr_msb 4                        ;  msbs: dst=0 src0=0 src1=1 src2=0
	v_pk_fma_f32 v[4:5], v[118:119], v[180:181] /*v[436:437]*/, 0 op_sel_hi:[0,1,0]
	s_set_vgpr_msb 1                        ;  msbs: dst=0 src0=1 src1=0 src2=0
	v_pk_fma_f32 v[0:1], v[178:179] /*v[434:435]*/, v[0:1], 0 op_sel_hi:[1,1,0]
	s_set_vgpr_msb 0                        ;  msbs: dst=0 src0=0 src1=0 src2=0
	v_cvt_f32_i32_e32 v3, v3
	s_set_vgpr_msb 1                        ;  msbs: dst=0 src0=1 src1=0 src2=0
	s_delay_alu instid0(VALU_DEP_1) | instskip(SKIP_2) | instid1(VALU_DEP_1)
	v_pk_fma_f32 v[0:1], v[190:191] /*v[446:447]*/, v[2:3], v[0:1]
	s_set_vgpr_msb 0                        ;  msbs: dst=0 src0=0 src1=0 src2=0
	v_pk_fma_f32 v[2:3], v[116:117], v[8:9], v[4:5] op_sel_hi:[0,1,1]
	v_pk_mul_f32 v[2:3], v[2:3], v[110:111]
	s_delay_alu instid0(VALU_DEP_1) | instskip(NEXT) | instid1(VALU_DEP_1)
	v_pk_fma_f32 v[0:1], v[0:1], v[102:103], v[2:3] neg_lo:[0,0,1] neg_hi:[0,0,1]
	v_pk_add_f32 v[40:41], v[40:41], v[0:1]
	v_or_b32_e32 v0, s5, v138
	s_delay_alu instid0(VALU_DEP_1)
	v_dual_lshlrev_b32 v1, 2, v0 :: v_dual_lshrrev_b32 v8, 1, v0
	ds_load_b128 v[10:13], v1 offset:16896
	ds_load_b128 v[4:7], v1 offset:16912
	s_set_vgpr_msb 64                       ;  msbs: dst=1 src0=0 src1=0 src2=0
	ds_load_b128 v[176:179] /*v[432:435]*/, v1 offset:16928
	s_set_vgpr_msb 0                        ;  msbs: dst=0 src0=0 src1=0 src2=0
	ds_load_b128 v[0:3], v1 offset:16944
	s_wait_dscnt 0x3
	v_bfe_i32 v43, v10, 0, 8
	v_bfe_i32 v58, v10, 8, 8
	;; [unrolled: 1-line block ×3, first 2 shown]
	v_ashrrev_i32_e32 v61, 24, v10
	s_wait_dscnt 0x0
	s_set_vgpr_msb 64                       ;  msbs: dst=1 src0=0 src1=0 src2=0
	v_bfe_i32 v196 /*v452*/, v1, 0, 8
	v_bfe_i32 v197 /*v453*/, v1, 8, 8
	;; [unrolled: 1-line block ×3, first 2 shown]
	v_ashrrev_i32_e32 v199 /*v455*/, 24, v1
	s_set_vgpr_msb 4                        ;  msbs: dst=0 src0=0 src1=1 src2=0
	v_mul_i32_i24_e32 v1, v43, v118 /*v374*/
	v_bfe_i32 v62, v11, 0, 8
	v_bfe_i32 v64, v11, 8, 8
	;; [unrolled: 1-line block ×3, first 2 shown]
	s_set_vgpr_msb 0                        ;  msbs: dst=0 src0=0 src1=0 src2=0
	v_ashrrev_i32_e32 v11, 24, v11
	s_set_vgpr_msb 64                       ;  msbs: dst=1 src0=0 src1=0 src2=0
	v_bfe_i32 v200 /*v456*/, v2, 0, 8
	v_bfe_i32 v201 /*v457*/, v2, 8, 8
	;; [unrolled: 1-line block ×3, first 2 shown]
	v_ashrrev_i32_e32 v203 /*v459*/, 24, v2
	s_set_vgpr_msb 4                        ;  msbs: dst=0 src0=0 src1=1 src2=0
	v_mul_i32_i24_e32 v2, v60, v119 /*v375*/
	v_mul_i32_i24_e32 v9, v61, v120 /*v376*/
	v_mad_i32_i24 v1, v58, v117 /*v373*/, v1
	v_bfe_i32 v66, v12, 0, 8
	v_bfe_i32 v68, v12, 8, 8
	;; [unrolled: 1-line block ×3, first 2 shown]
	s_set_vgpr_msb 0                        ;  msbs: dst=0 src0=0 src1=0 src2=0
	v_dual_ashrrev_i32 v70, 24, v12 :: v_dual_ashrrev_i32 v78, 24, v13
	v_add3_u32 v1, v1, v2, v9
	s_set_vgpr_msb 4                        ;  msbs: dst=0 src0=0 src1=1 src2=0
	v_mul_i32_i24_e32 v2, v62, v121 /*v377*/
	v_mul_i32_i24_e32 v9, v64, v122 /*v378*/
	v_mul_i32_i24_e32 v10, v65, v123 /*v379*/
	v_mul_i32_i24_e32 v12, v11, v124 /*v380*/
	v_bfe_i32 v72, v13, 0, 8
	v_bfe_i32 v74, v13, 8, 8
	s_set_vgpr_msb 0                        ;  msbs: dst=0 src0=0 src1=0 src2=0
	v_add3_u32 v1, v1, v2, v9
	v_bfe_i32 v76, v13, 16, 8
	s_set_vgpr_msb 4                        ;  msbs: dst=0 src0=0 src1=1 src2=0
	v_mul_i32_i24_e32 v13, v66, v125 /*v381*/
	v_mul_i32_i24_e32 v14, v68, v126 /*v382*/
	;; [unrolled: 1-line block ×3, first 2 shown]
	s_set_vgpr_msb 0                        ;  msbs: dst=0 src0=0 src1=0 src2=0
	v_add3_u32 v1, v1, v10, v12
	s_set_vgpr_msb 4                        ;  msbs: dst=0 src0=0 src1=1 src2=0
	v_mul_i32_i24_e32 v59, v70, v128 /*v384*/
	s_set_vgpr_msb 1                        ;  msbs: dst=0 src0=1 src1=0 src2=0
	v_bfe_i32 v156, v176 /*v432*/, 0, 8
	v_bfe_i32 v157, v176 /*v432*/, 8, 8
	;; [unrolled: 1-line block ×3, first 2 shown]
	s_set_vgpr_msb 0                        ;  msbs: dst=0 src0=0 src1=0 src2=0
	v_add3_u32 v1, v1, v13, v14
	s_set_vgpr_msb 4                        ;  msbs: dst=0 src0=0 src1=1 src2=0
	v_ashrrev_i32_e32 v159, 24, v176 /*v432*/
	s_set_vgpr_msb 1                        ;  msbs: dst=0 src0=1 src1=0 src2=0
	v_bfe_i32 v160, v177 /*v433*/, 0, 8
	v_bfe_i32 v161, v177 /*v433*/, 8, 8
	;; [unrolled: 1-line block ×3, first 2 shown]
	s_set_vgpr_msb 4                        ;  msbs: dst=0 src0=0 src1=1 src2=0
	v_ashrrev_i32_e32 v163, 24, v177 /*v433*/
	s_set_vgpr_msb 0x44                     ;  msbs: dst=1 src0=0 src1=1 src2=0
	v_mul_i32_i24_e32 v176 /*v432*/, v72, v129 /*v385*/
	v_mul_i32_i24_e32 v177 /*v433*/, v74, v130 /*v386*/
	s_set_vgpr_msb 0                        ;  msbs: dst=0 src0=0 src1=0 src2=0
	v_add3_u32 v1, v1, v15, v59
	v_bfe_i32 v80, v4, 0, 8
	v_bfe_i32 v82, v4, 8, 8
	s_set_vgpr_msb 0x44                     ;  msbs: dst=1 src0=0 src1=1 src2=0
	v_mul_i32_i24_e32 v180 /*v436*/, v76, v131 /*v387*/
	v_mul_i32_i24_e32 v181 /*v437*/, v78, v132 /*v388*/
	s_set_vgpr_msb 20                       ;  msbs: dst=0 src0=0 src1=1 src2=1
	v_add3_u32 v1, v1, v176 /*v432*/, v177 /*v433*/
	v_bfe_i32 v91, v4, 16, 8
	s_set_vgpr_msb 0                        ;  msbs: dst=0 src0=0 src1=0 src2=0
	v_ashrrev_i32_e32 v93, 24, v4
	s_set_vgpr_msb 0x44                     ;  msbs: dst=1 src0=0 src1=1 src2=0
	v_mul_i32_i24_e32 v182 /*v438*/, v80, v133 /*v389*/
	v_mul_i32_i24_e32 v183 /*v439*/, v82, v134 /*v390*/
	s_set_vgpr_msb 20                       ;  msbs: dst=0 src0=0 src1=1 src2=1
	v_add3_u32 v1, v1, v180 /*v436*/, v181 /*v437*/
	v_bfe_i32 v148, v5, 0, 8
	v_bfe_i32 v149, v5, 8, 8
	;; [unrolled: 1-line block ×3, first 2 shown]
	s_set_vgpr_msb 0                        ;  msbs: dst=0 src0=0 src1=0 src2=0
	v_ashrrev_i32_e32 v5, 24, v5
	s_set_vgpr_msb 0x41                     ;  msbs: dst=1 src0=1 src1=0 src2=0
	v_mul_i32_i24_e32 v205 /*v461*/, v136 /*v392*/, v91
	v_mul_i32_i24_e32 v206 /*v462*/, v135 /*v391*/, v93
	s_set_vgpr_msb 20                       ;  msbs: dst=0 src0=0 src1=1 src2=1
	v_add3_u32 v1, v1, v182 /*v438*/, v183 /*v439*/
	s_set_vgpr_msb 0x41                     ;  msbs: dst=1 src0=1 src1=0 src2=0
	v_mul_i32_i24_e32 v207 /*v463*/, v138 /*v394*/, v148
	v_mul_i32_i24_e32 v208 /*v464*/, v137 /*v393*/, v149
	s_set_vgpr_msb 20                       ;  msbs: dst=0 src0=0 src1=1 src2=1
	v_bfe_i32 v151, v6, 0, 8
	v_bfe_i32 v152, v6, 8, 8
	v_add3_u32 v1, v1, v205 /*v461*/, v206 /*v462*/
	s_set_vgpr_msb 0x41                     ;  msbs: dst=1 src0=1 src1=0 src2=0
	v_mul_i32_i24_e32 v209 /*v465*/, v140 /*v396*/, v150
	v_mul_i32_i24_e32 v210 /*v466*/, v139 /*v395*/, v5
	s_set_vgpr_msb 0                        ;  msbs: dst=0 src0=0 src1=0 src2=0
	v_bfe_i32 v153, v6, 16, 8
	v_ashrrev_i32_e32 v6, 24, v6
	s_set_vgpr_msb 20                       ;  msbs: dst=0 src0=0 src1=1 src2=1
	v_add3_u32 v1, v1, v207 /*v463*/, v208 /*v464*/
	s_set_vgpr_msb 0x41                     ;  msbs: dst=1 src0=1 src1=0 src2=0
	v_mul_i32_i24_e32 v211 /*v467*/, v148 /*v404*/, v151
	v_mul_i32_i24_e32 v212 /*v468*/, v141 /*v397*/, v152
	;; [unrolled: 1-line block ×4, first 2 shown]
	s_set_vgpr_msb 20                       ;  msbs: dst=0 src0=0 src1=1 src2=1
	v_add3_u32 v1, v1, v209 /*v465*/, v210 /*v466*/
	s_set_vgpr_msb 1                        ;  msbs: dst=0 src0=1 src1=0 src2=0
	v_mul_i32_i24_e32 v2, v156 /*v412*/, v158
	v_mul_i32_i24_e32 v9, v150 /*v406*/, v159
	s_set_vgpr_msb 0x41                     ;  msbs: dst=1 src0=1 src1=0 src2=0
	v_bfe_i32 v184 /*v440*/, v178 /*v434*/, 0, 8
	v_bfe_i32 v185 /*v441*/, v178 /*v434*/, 8, 8
	s_set_vgpr_msb 20                       ;  msbs: dst=0 src0=0 src1=1 src2=1
	v_add3_u32 v1, v1, v211 /*v467*/, v212 /*v468*/
	s_set_vgpr_msb 1                        ;  msbs: dst=0 src0=1 src1=0 src2=0
	v_mul_i32_i24_e32 v10, v158 /*v414*/, v162
	v_mul_i32_i24_e32 v12, v142 /*v398*/, v163
	s_set_vgpr_msb 0x41                     ;  msbs: dst=1 src0=1 src1=0 src2=0
	v_bfe_i32 v186 /*v442*/, v178 /*v434*/, 16, 8
	s_set_vgpr_msb 0x54                     ;  msbs: dst=1 src0=0 src1=1 src2=1
	v_dual_ashrrev_i32 v187 /*v443*/, 24, v178 /*v434*/ :: v_dual_ashrrev_i32 v191 /*v447*/, 24, v179 /*v435*/
	v_add3_u32 v181 /*v437*/, v1, v213 /*v469*/, v214 /*v470*/
	s_set_vgpr_msb 1                        ;  msbs: dst=0 src0=1 src1=0 src2=0
	v_mul_i32_i24_e32 v1, v157 /*v413*/, v156
	s_set_vgpr_msb 5                        ;  msbs: dst=0 src0=1 src1=1 src2=0
	v_mul_i32_i24_e32 v13, v163 /*v419*/, v184 /*v440*/
	v_mul_i32_i24_e32 v14, v162 /*v418*/, v185 /*v441*/
	s_set_vgpr_msb 0x41                     ;  msbs: dst=1 src0=1 src1=0 src2=0
	v_bfe_i32 v188 /*v444*/, v179 /*v435*/, 0, 8
	v_bfe_i32 v189 /*v445*/, v179 /*v435*/, 8, 8
	s_set_vgpr_msb 1                        ;  msbs: dst=0 src0=1 src1=0 src2=0
	v_mad_i32_i24 v1, v155 /*v411*/, v157, v1
	s_set_vgpr_msb 5                        ;  msbs: dst=0 src0=1 src1=1 src2=0
	v_mul_i32_i24_e32 v15, v161 /*v417*/, v186 /*v442*/
	v_mul_i32_i24_e32 v59, v143 /*v399*/, v187 /*v443*/
	s_set_vgpr_msb 0x45                     ;  msbs: dst=1 src0=1 src1=1 src2=0
	v_bfe_i32 v190 /*v446*/, v179 /*v435*/, 16, 8
	v_mul_i32_i24_e32 v176 /*v432*/, v166 /*v422*/, v188 /*v444*/
	s_set_vgpr_msb 0                        ;  msbs: dst=0 src0=0 src1=0 src2=0
	v_add3_u32 v1, v1, v2, v9
	s_set_vgpr_msb 1                        ;  msbs: dst=0 src0=1 src1=0 src2=0
	v_mul_i32_i24_e32 v2, v160 /*v416*/, v160
	v_mul_i32_i24_e32 v9, v159 /*v415*/, v161
	s_set_vgpr_msb 0x45                     ;  msbs: dst=1 src0=1 src1=1 src2=0
	v_mul_i32_i24_e32 v177 /*v433*/, v165 /*v421*/, v189 /*v445*/
	s_set_vgpr_msb 64                       ;  msbs: dst=1 src0=0 src1=0 src2=0
	v_bfe_i32 v192 /*v448*/, v0, 0, 8
	v_bfe_i32 v193 /*v449*/, v0, 8, 8
	s_set_vgpr_msb 0x45                     ;  msbs: dst=1 src0=1 src1=1 src2=0
	v_mul_i32_i24_e32 v180 /*v436*/, v164 /*v420*/, v190 /*v446*/
	s_set_vgpr_msb 0                        ;  msbs: dst=0 src0=0 src1=0 src2=0
	v_add3_u32 v1, v1, v2, v9
	s_set_vgpr_msb 0x45                     ;  msbs: dst=1 src0=1 src1=1 src2=0
	v_mul_i32_i24_e32 v183 /*v439*/, v144 /*v400*/, v191 /*v447*/
	s_set_vgpr_msb 64                       ;  msbs: dst=1 src0=0 src1=0 src2=0
	v_bfe_i32 v194 /*v450*/, v0, 16, 8
	v_ashrrev_i32_e32 v195 /*v451*/, 24, v0
	s_set_vgpr_msb 0x45                     ;  msbs: dst=1 src0=1 src1=1 src2=0
	v_mul_i32_i24_e32 v205 /*v461*/, v169 /*v425*/, v192 /*v448*/
	s_set_vgpr_msb 0                        ;  msbs: dst=0 src0=0 src1=0 src2=0
	v_add3_u32 v1, v1, v10, v12
	s_set_vgpr_msb 0x45                     ;  msbs: dst=1 src0=1 src1=1 src2=0
	v_mul_i32_i24_e32 v206 /*v462*/, v168 /*v424*/, v193 /*v449*/
	v_mul_i32_i24_e32 v207 /*v463*/, v167 /*v423*/, v194 /*v450*/
	v_mul_i32_i24_e32 v208 /*v464*/, v145 /*v401*/, v195 /*v451*/
	v_mul_i32_i24_e32 v209 /*v465*/, v172 /*v428*/, v196 /*v452*/
	s_set_vgpr_msb 0                        ;  msbs: dst=0 src0=0 src1=0 src2=0
	v_add3_u32 v1, v1, v13, v14
	s_set_vgpr_msb 0x45                     ;  msbs: dst=1 src0=1 src1=1 src2=0
	v_mul_i32_i24_e32 v210 /*v466*/, v171 /*v427*/, v197 /*v453*/
	v_mul_i32_i24_e32 v211 /*v467*/, v170 /*v426*/, v198 /*v454*/
	v_mul_i32_i24_e32 v212 /*v468*/, v146 /*v402*/, v199 /*v455*/
	;; [unrolled: 7-line block ×3, first 2 shown]
	s_set_vgpr_msb 20                       ;  msbs: dst=0 src0=0 src1=1 src2=1
	v_mul_i32_i24_e32 v2, v60, v60 /*v316*/
	v_add3_u32 v1, v1, v176 /*v432*/, v177 /*v433*/
	v_mul_i32_i24_e32 v9, v61, v61 /*v317*/
	v_mul_i32_i24_e32 v10, v65, v64 /*v320*/
	;; [unrolled: 1-line block ×4, first 2 shown]
	v_add3_u32 v1, v1, v180 /*v436*/, v183 /*v439*/
	v_mul_i32_i24_e32 v59, v68, v67 /*v323*/
	s_set_vgpr_msb 0x44                     ;  msbs: dst=1 src0=0 src1=1 src2=0
	v_mul_i32_i24_e32 v176 /*v432*/, v69, v68 /*v324*/
	v_mul_i32_i24_e32 v177 /*v433*/, v70, v69 /*v325*/
	;; [unrolled: 1-line block ×3, first 2 shown]
	s_set_vgpr_msb 20                       ;  msbs: dst=0 src0=0 src1=1 src2=1
	v_add3_u32 v1, v1, v205 /*v461*/, v206 /*v462*/
	s_set_vgpr_msb 0x44                     ;  msbs: dst=1 src0=0 src1=1 src2=0
	v_mul_i32_i24_e32 v205 /*v461*/, v74, v71 /*v327*/
	v_mul_i32_i24_e32 v206 /*v462*/, v76, v72 /*v328*/
	s_set_vgpr_msb 0x41                     ;  msbs: dst=1 src0=1 src1=0 src2=0
	v_mul_i32_i24_e32 v217 /*v473*/, v82 /*v338*/, v152
	v_mul_i32_i24_e32 v218 /*v474*/, v86 /*v342*/, v153
	s_set_vgpr_msb 20                       ;  msbs: dst=0 src0=0 src1=1 src2=1
	v_add3_u32 v1, v1, v207 /*v463*/, v208 /*v464*/
	s_set_vgpr_msb 0x44                     ;  msbs: dst=1 src0=0 src1=1 src2=0
	v_mul_i32_i24_e32 v207 /*v463*/, v78, v73 /*v329*/
	v_mul_i32_i24_e32 v208 /*v464*/, v80, v74 /*v330*/
	s_set_vgpr_msb 0x41                     ;  msbs: dst=1 src0=1 src1=0 src2=0
	v_mul_i32_i24_e32 v219 /*v475*/, v84 /*v340*/, v6
	s_set_vgpr_msb 0x45                     ;  msbs: dst=1 src0=1 src1=1 src2=0
	v_mul_i32_i24_e32 v220 /*v476*/, v115 /*v371*/, v202 /*v458*/
	s_set_vgpr_msb 20                       ;  msbs: dst=0 src0=0 src1=1 src2=1
	v_add3_u32 v1, v1, v209 /*v465*/, v210 /*v466*/
	s_set_vgpr_msb 0x44                     ;  msbs: dst=1 src0=0 src1=1 src2=0
	v_mul_i32_i24_e32 v209 /*v465*/, v82, v75 /*v331*/
	s_set_vgpr_msb 0x41                     ;  msbs: dst=1 src0=1 src1=0 src2=0
	v_mul_i32_i24_e32 v210 /*v466*/, v77 /*v333*/, v91
	s_set_vgpr_msb 0x45                     ;  msbs: dst=1 src0=1 src1=1 src2=0
	v_mul_i32_i24_e32 v221 /*v477*/, v114 /*v370*/, v203 /*v459*/
	s_set_vgpr_msb 0x41                     ;  msbs: dst=1 src0=1 src1=0 src2=0
	v_mul_i32_i24_e32 v222 /*v478*/, v13 /*v269*/, v152
	s_set_vgpr_msb 20                       ;  msbs: dst=0 src0=0 src1=1 src2=1
	v_add3_u32 v1, v1, v211 /*v467*/, v212 /*v468*/
	s_set_vgpr_msb 0x41                     ;  msbs: dst=1 src0=1 src1=0 src2=0
	v_mul_i32_i24_e32 v211 /*v467*/, v76 /*v332*/, v93
	v_mul_i32_i24_e32 v212 /*v468*/, v79 /*v335*/, v148
	;; [unrolled: 1-line block ×4, first 2 shown]
	s_set_vgpr_msb 20                       ;  msbs: dst=0 src0=0 src1=1 src2=1
	v_add3_u32 v1, v1, v213 /*v469*/, v214 /*v470*/
	s_set_vgpr_msb 0x41                     ;  msbs: dst=1 src0=1 src1=0 src2=0
	v_mul_i32_i24_e32 v213 /*v469*/, v78 /*v334*/, v149
	v_mul_i32_i24_e32 v214 /*v470*/, v81 /*v337*/, v150
	s_set_vgpr_msb 0x45                     ;  msbs: dst=1 src0=1 src1=1 src2=0
	v_mul_i32_i24_e32 v225 /*v481*/, v46 /*v302*/, v202 /*v458*/
	v_mul_i32_i24_e32 v226 /*v482*/, v45 /*v301*/, v203 /*v459*/
	s_set_vgpr_msb 0x54                     ;  msbs: dst=1 src0=0 src1=1 src2=1
	v_add3_u32 v183 /*v439*/, v1, v215 /*v471*/, v216 /*v472*/
	s_set_vgpr_msb 4                        ;  msbs: dst=0 src0=0 src1=1 src2=0
	v_mul_i32_i24_e32 v1, v43, v59 /*v315*/
	s_set_vgpr_msb 0x41                     ;  msbs: dst=1 src0=1 src1=0 src2=0
	v_mul_i32_i24_e32 v215 /*v471*/, v80 /*v336*/, v5
	v_mul_i32_i24_e32 v216 /*v472*/, v83 /*v339*/, v151
	s_set_vgpr_msb 0                        ;  msbs: dst=0 src0=0 src1=0 src2=0
	v_mul_i32_i24_e32 v6, v209, v6
	v_bfe_i32 v154, v7, 0, 8
	s_set_vgpr_msb 4                        ;  msbs: dst=0 src0=0 src1=1 src2=0
	v_mad_i32_i24 v1, v58, v58 /*v314*/, v1
	v_bfe_i32 v155, v7, 8, 8
	s_set_vgpr_msb 64                       ;  msbs: dst=1 src0=0 src1=0 src2=0
	v_bfe_i32 v204 /*v460*/, v3, 0, 8
	s_set_vgpr_msb 0                        ;  msbs: dst=0 src0=0 src1=0 src2=0
	v_bfe_i32 v4, v7, 16, 8
	s_set_vgpr_msb 0x44                     ;  msbs: dst=1 src0=0 src1=1 src2=0
	v_mul_i32_i24_e32 v178 /*v434*/, v154, v153 /*v409*/
	s_set_vgpr_msb 0                        ;  msbs: dst=0 src0=0 src1=0 src2=0
	v_add3_u32 v1, v1, v2, v9
	s_set_vgpr_msb 4                        ;  msbs: dst=0 src0=0 src1=1 src2=0
	v_mul_i32_i24_e32 v2, v62, v62 /*v318*/
	v_mul_i32_i24_e32 v9, v64, v63 /*v319*/
	s_set_vgpr_msb 0x44                     ;  msbs: dst=1 src0=0 src1=1 src2=0
	v_mul_i32_i24_e32 v179 /*v435*/, v155, v154 /*v410*/
	s_set_vgpr_msb 4                        ;  msbs: dst=0 src0=0 src1=1 src2=0
	v_mul_i32_i24_e32 v14, v154, v90 /*v346*/
	v_mul_i32_i24_e32 v15, v155, v92 /*v348*/
	s_set_vgpr_msb 0x45                     ;  msbs: dst=1 src0=1 src1=1 src2=0
	v_mul_i32_i24_e32 v182 /*v438*/, v204 /*v460*/, v151 /*v407*/
	s_set_vgpr_msb 0                        ;  msbs: dst=0 src0=0 src1=0 src2=0
	v_add3_u32 v1, v1, v2, v9
	s_set_vgpr_msb 4                        ;  msbs: dst=0 src0=0 src1=1 src2=0
	v_mul_i32_i24_e32 v2, v158, v85 /*v341*/
	v_mul_i32_i24_e32 v9, v159, v91 /*v347*/
	v_bfe_i32 v0, v3, 8, 8
	s_set_vgpr_msb 0                        ;  msbs: dst=0 src0=0 src1=0 src2=0
	v_ashrrev_i32_e32 v7, 24, v7
	v_add3_u32 v1, v1, v10, v12
	s_set_vgpr_msb 4                        ;  msbs: dst=0 src0=0 src1=1 src2=0
	v_mul_i32_i24_e32 v10, v162, v89 /*v345*/
	v_mul_i32_i24_e32 v12, v163, v96 /*v352*/
	s_set_vgpr_msb 0x55                     ;  msbs: dst=1 src0=1 src1=1 src2=1
	v_add3_u32 v178 /*v434*/, v181 /*v437*/, v178 /*v434*/, v179 /*v435*/
	s_set_vgpr_msb 0                        ;  msbs: dst=0 src0=0 src1=0 src2=0
	v_add3_u32 v1, v1, v13, v59
	s_set_vgpr_msb 5                        ;  msbs: dst=0 src0=1 src1=1 src2=0
	v_mul_i32_i24_e32 v13, v184 /*v440*/, v97 /*v353*/
	v_mul_i32_i24_e32 v59, v185 /*v441*/, v98 /*v354*/
	s_set_vgpr_msb 20                       ;  msbs: dst=0 src0=0 src1=1 src2=1
	v_add3_u32 v1, v1, v176 /*v432*/, v177 /*v433*/
	s_set_vgpr_msb 0x45                     ;  msbs: dst=1 src0=1 src1=1 src2=0
	v_mul_i32_i24_e32 v177 /*v433*/, v204 /*v460*/, v116 /*v372*/
	s_set_vgpr_msb 20                       ;  msbs: dst=0 src0=0 src1=1 src2=1
	s_delay_alu instid0(VALU_DEP_2)
	v_add3_u32 v1, v1, v180 /*v436*/, v205 /*v461*/
	s_set_vgpr_msb 0x45                     ;  msbs: dst=1 src0=1 src1=1 src2=0
	v_mul_i32_i24_e32 v180 /*v436*/, v186 /*v442*/, v95 /*v351*/
	v_mul_i32_i24_e32 v205 /*v461*/, v187 /*v443*/, v100 /*v356*/
	s_set_vgpr_msb 20                       ;  msbs: dst=0 src0=0 src1=1 src2=1
	v_add3_u32 v1, v1, v206 /*v462*/, v207 /*v463*/
	s_set_vgpr_msb 0x45                     ;  msbs: dst=1 src0=1 src1=1 src2=0
	v_mul_i32_i24_e32 v206 /*v462*/, v188 /*v444*/, v101 /*v357*/
	v_mul_i32_i24_e32 v207 /*v463*/, v189 /*v445*/, v102 /*v358*/
	s_set_vgpr_msb 20                       ;  msbs: dst=0 src0=0 src1=1 src2=1
	;; [unrolled: 5-line block ×6, first 2 shown]
	v_add3_u32 v1, v1, v216 /*v472*/, v217 /*v473*/
	s_set_vgpr_msb 0x45                     ;  msbs: dst=1 src0=1 src1=1 src2=0
	v_mul_i32_i24_e32 v216 /*v472*/, v111 /*v367*/, v198 /*v454*/
	v_mul_i32_i24_e32 v217 /*v473*/, v110 /*v366*/, v199 /*v455*/
	s_set_vgpr_msb 0x54                     ;  msbs: dst=1 src0=0 src1=1 src2=1
	v_add3_u32 v176 /*v432*/, v1, v218 /*v474*/, v219 /*v475*/
	s_set_vgpr_msb 4                        ;  msbs: dst=0 src0=0 src1=1 src2=0
	v_mul_i32_i24_e32 v1, v156, v88 /*v344*/
	s_set_vgpr_msb 0x45                     ;  msbs: dst=1 src0=1 src1=1 src2=0
	v_mul_i32_i24_e32 v218 /*v474*/, v112 /*v368*/, v200 /*v456*/
	v_mul_i32_i24_e32 v219 /*v475*/, v113 /*v369*/, v201 /*v457*/
	s_set_vgpr_msb 1                        ;  msbs: dst=0 src0=1 src1=0 src2=0
	v_add3_u32 v14, v176 /*v432*/, v14, v15
	s_set_vgpr_msb 4                        ;  msbs: dst=0 src0=0 src1=1 src2=0
	v_mad_i32_i24 v1, v157, v87 /*v343*/, v1
	s_set_vgpr_msb 64                       ;  msbs: dst=1 src0=0 src1=0 src2=0
	v_mul_i32_i24_e32 v176 /*v432*/, v0, v174
	s_set_vgpr_msb 0                        ;  msbs: dst=0 src0=0 src1=0 src2=0
	s_delay_alu instid0(VALU_DEP_2) | instskip(SKIP_4) | instid1(VALU_DEP_1)
	v_add3_u32 v1, v1, v2, v9
	s_set_vgpr_msb 4                        ;  msbs: dst=0 src0=0 src1=1 src2=0
	v_mul_i32_i24_e32 v2, v160, v93 /*v349*/
	v_mul_i32_i24_e32 v9, v161, v94 /*v350*/
	s_set_vgpr_msb 0                        ;  msbs: dst=0 src0=0 src1=0 src2=0
	v_add3_u32 v1, v1, v2, v9
	v_mul_i32_i24_e32 v2, v60, v247
	v_mul_i32_i24_e32 v9, v61, v248
	s_delay_alu instid0(VALU_DEP_3)
	v_add3_u32 v1, v1, v10, v12
	v_mul_i32_i24_e32 v12, v64, v250
	s_set_vgpr_msb 4                        ;  msbs: dst=0 src0=0 src1=1 src2=0
	v_mul_i32_i24_e32 v10, v155, v23 /*v279*/
	s_set_vgpr_msb 0                        ;  msbs: dst=0 src0=0 src1=0 src2=0
	v_add3_u32 v1, v1, v13, v59
	v_mul_i32_i24_e32 v13, v65, v251
	v_mul_i32_i24_e32 v59, v11, v252
	;; [unrolled: 1-line block ×3, first 2 shown]
	s_set_vgpr_msb 20                       ;  msbs: dst=0 src0=0 src1=1 src2=1
	v_add3_u32 v1, v1, v180 /*v436*/, v205 /*v461*/
	s_set_vgpr_msb 64                       ;  msbs: dst=1 src0=0 src1=0 src2=0
	v_mul_i32_i24_e32 v205 /*v461*/, v66, v253
	s_set_vgpr_msb 20                       ;  msbs: dst=0 src0=0 src1=1 src2=1
	s_delay_alu instid0(VALU_DEP_2)
	v_add3_u32 v1, v1, v206 /*v462*/, v207 /*v463*/
	s_set_vgpr_msb 64                       ;  msbs: dst=1 src0=0 src1=0 src2=0
	v_mul_i32_i24_e32 v206 /*v462*/, v68, v254
	v_mul_i32_i24_e32 v207 /*v463*/, v69, v255
	s_set_vgpr_msb 20                       ;  msbs: dst=0 src0=0 src1=1 src2=1
	v_add3_u32 v1, v1, v208 /*v464*/, v209 /*v465*/
	s_set_vgpr_msb 0x44                     ;  msbs: dst=1 src0=0 src1=1 src2=0
	v_mul_i32_i24_e32 v208 /*v464*/, v70, v0 /*v256*/
	v_mul_i32_i24_e32 v209 /*v465*/, v72, v1 /*v257*/
	s_set_vgpr_msb 20                       ;  msbs: dst=0 src0=0 src1=1 src2=1
	v_add3_u32 v1, v1, v210 /*v466*/, v211 /*v467*/
	s_set_vgpr_msb 0x44                     ;  msbs: dst=1 src0=0 src1=1 src2=0
	v_mul_i32_i24_e32 v210 /*v466*/, v74, v2 /*v258*/
	v_mul_i32_i24_e32 v211 /*v467*/, v76, v3 /*v259*/
	;; [unrolled: 5-line block ×3, first 2 shown]
	s_set_vgpr_msb 20                       ;  msbs: dst=0 src0=0 src1=1 src2=1
	v_add3_u32 v1, v1, v214 /*v470*/, v215 /*v471*/
	s_set_vgpr_msb 0x44                     ;  msbs: dst=1 src0=0 src1=1 src2=0
	v_mul_i32_i24_e32 v214 /*v470*/, v82, v6 /*v262*/
	s_set_vgpr_msb 0x41                     ;  msbs: dst=1 src0=1 src1=0 src2=0
	v_mul_i32_i24_e32 v215 /*v471*/, v8 /*v264*/, v91
	s_set_vgpr_msb 20                       ;  msbs: dst=0 src0=0 src1=1 src2=1
	v_add3_u32 v1, v1, v216 /*v472*/, v217 /*v473*/
	s_set_vgpr_msb 0x41                     ;  msbs: dst=1 src0=1 src1=0 src2=0
	v_mul_i32_i24_e32 v216 /*v472*/, v7 /*v263*/, v93
	v_mul_i32_i24_e32 v217 /*v473*/, v10 /*v266*/, v148
	s_set_vgpr_msb 20                       ;  msbs: dst=0 src0=0 src1=1 src2=1
	v_add3_u32 v1, v1, v218 /*v474*/, v219 /*v475*/
	s_set_vgpr_msb 0x41                     ;  msbs: dst=1 src0=1 src1=0 src2=0
	v_mul_i32_i24_e32 v218 /*v474*/, v9 /*v265*/, v149
	v_mul_i32_i24_e32 v219 /*v475*/, v12 /*v268*/, v150
	s_set_vgpr_msb 0x54                     ;  msbs: dst=1 src0=0 src1=1 src2=1
	v_add3_u32 v180 /*v436*/, v1, v220 /*v476*/, v221 /*v477*/
	s_set_vgpr_msb 0                        ;  msbs: dst=0 src0=0 src1=0 src2=0
	v_mul_i32_i24_e32 v1, v43, v246
	s_set_vgpr_msb 0x41                     ;  msbs: dst=1 src0=1 src1=0 src2=0
	v_mul_i32_i24_e32 v220 /*v476*/, v11 /*v267*/, v5
	v_mul_i32_i24_e32 v221 /*v477*/, v14 /*v270*/, v151
	s_set_vgpr_msb 0                        ;  msbs: dst=0 src0=0 src1=0 src2=0
	v_mul_i32_i24_e32 v5, v205, v5
	s_set_vgpr_msb 0x55                     ;  msbs: dst=1 src0=1 src1=1 src2=1
	v_add3_u32 v176 /*v432*/, v180 /*v436*/, v177 /*v433*/, v176 /*v432*/
	s_set_vgpr_msb 0                        ;  msbs: dst=0 src0=0 src1=0 src2=0
	v_mad_i32_i24 v1, v58, v245, v1
	s_delay_alu instid0(VALU_DEP_1) | instskip(SKIP_4) | instid1(VALU_DEP_2)
	v_add3_u32 v1, v1, v2, v9
	v_mul_i32_i24_e32 v2, v62, v249
	s_set_vgpr_msb 4                        ;  msbs: dst=0 src0=0 src1=1 src2=0
	v_mul_i32_i24_e32 v9, v154, v21 /*v277*/
	s_set_vgpr_msb 0                        ;  msbs: dst=0 src0=0 src1=0 src2=0
	v_add3_u32 v1, v1, v2, v12
	s_set_vgpr_msb 4                        ;  msbs: dst=0 src0=0 src1=1 src2=0
	v_mul_i32_i24_e32 v2, v158, v16 /*v272*/
	s_set_vgpr_msb 0                        ;  msbs: dst=0 src0=0 src1=0 src2=0
	s_delay_alu instid0(VALU_DEP_2) | instskip(SKIP_3) | instid1(VALU_DEP_3)
	v_add3_u32 v1, v1, v13, v59
	s_set_vgpr_msb 20                       ;  msbs: dst=0 src0=0 src1=1 src2=1
	v_mul_i32_i24_e32 v13, v159, v22 /*v278*/
	v_mul_i32_i24_e32 v59, v161, v25 /*v281*/
	v_add3_u32 v1, v1, v205 /*v461*/, v206 /*v462*/
	s_set_vgpr_msb 0x44                     ;  msbs: dst=1 src0=0 src1=1 src2=0
	v_mul_i32_i24_e32 v205 /*v461*/, v162, v20 /*v276*/
	v_mul_i32_i24_e32 v206 /*v462*/, v163, v27 /*v283*/
	s_set_vgpr_msb 20                       ;  msbs: dst=0 src0=0 src1=1 src2=1
	v_add3_u32 v1, v1, v207 /*v463*/, v208 /*v464*/
	s_set_vgpr_msb 0x45                     ;  msbs: dst=1 src0=1 src1=1 src2=0
	v_mul_i32_i24_e32 v207 /*v463*/, v184 /*v440*/, v28 /*v284*/
	v_mul_i32_i24_e32 v208 /*v464*/, v185 /*v441*/, v29 /*v285*/
	s_set_vgpr_msb 20                       ;  msbs: dst=0 src0=0 src1=1 src2=1
	v_add3_u32 v1, v1, v209 /*v465*/, v210 /*v466*/
	s_set_vgpr_msb 0x45                     ;  msbs: dst=1 src0=1 src1=1 src2=0
	v_mul_i32_i24_e32 v209 /*v465*/, v186 /*v442*/, v26 /*v282*/
	v_mul_i32_i24_e32 v210 /*v466*/, v187 /*v443*/, v31 /*v287*/
	;; [unrolled: 5-line block ×8, first 2 shown]
	s_set_vgpr_msb 20                       ;  msbs: dst=0 src0=0 src1=1 src2=1
	v_add3_u32 v12, v1, v223 /*v479*/, v224 /*v480*/
	v_mul_i32_i24_e32 v1, v156, v19 /*v275*/
	s_set_vgpr_msb 0x45                     ;  msbs: dst=1 src0=1 src1=1 src2=0
	v_mul_i32_i24_e32 v223 /*v479*/, v43 /*v299*/, v200 /*v456*/
	v_mul_i32_i24_e32 v224 /*v480*/, v44 /*v300*/, v201 /*v457*/
	s_set_vgpr_msb 0                        ;  msbs: dst=0 src0=0 src1=0 src2=0
	v_add3_u32 v9, v12, v9, v10
	s_set_vgpr_msb 4                        ;  msbs: dst=0 src0=0 src1=1 src2=0
	v_mad_i32_i24 v1, v157, v18 /*v274*/, v1
	s_set_vgpr_msb 0                        ;  msbs: dst=0 src0=0 src1=0 src2=0
	v_mul_i32_i24_e32 v10, v0, v117
	s_delay_alu instid0(VALU_DEP_2)
	v_add3_u32 v1, v1, v2, v13
	s_set_vgpr_msb 4                        ;  msbs: dst=0 src0=0 src1=1 src2=0
	v_mul_i32_i24_e32 v2, v160, v24 /*v280*/
	s_set_vgpr_msb 5                        ;  msbs: dst=0 src0=1 src1=1 src2=0
	v_mul_i32_i24_e32 v13, v204 /*v460*/, v47 /*v303*/
	s_set_vgpr_msb 0                        ;  msbs: dst=0 src0=0 src1=0 src2=0
	s_delay_alu instid0(VALU_DEP_2)
	v_add3_u32 v1, v1, v2, v59
	v_mul_i32_i24_e32 v2, v60, v185
	v_mul_i32_i24_e32 v60, v64, v188
	;; [unrolled: 1-line block ×4, first 2 shown]
	s_set_vgpr_msb 20                       ;  msbs: dst=0 src0=0 src1=1 src2=1
	v_add3_u32 v1, v1, v205 /*v461*/, v206 /*v462*/
	s_set_vgpr_msb 0                        ;  msbs: dst=0 src0=0 src1=0 src2=0
	v_mul_i32_i24_e32 v72, v78, v198
	v_mul_i32_i24_e32 v78, v202, v91
	;; [unrolled: 1-line block ×4, first 2 shown]
	s_set_vgpr_msb 20                       ;  msbs: dst=0 src0=0 src1=1 src2=1
	v_add3_u32 v1, v1, v207 /*v463*/, v208 /*v464*/
	v_mul_i32_i24_e32 v152, v239, v203 /*v459*/
	s_delay_alu instid0(VALU_DEP_2) | instskip(NEXT) | instid1(VALU_DEP_1)
	v_add3_u32 v1, v1, v209 /*v465*/, v210 /*v466*/
	v_add3_u32 v1, v1, v211 /*v467*/, v212 /*v468*/
	s_delay_alu instid0(VALU_DEP_1) | instskip(NEXT) | instid1(VALU_DEP_1)
	v_add3_u32 v1, v1, v213 /*v469*/, v214 /*v470*/
	v_add3_u32 v1, v1, v215 /*v471*/, v216 /*v472*/
	s_delay_alu instid0(VALU_DEP_1) | instskip(NEXT) | instid1(VALU_DEP_1)
	;; [unrolled: 3-line block ×3, first 2 shown]
	v_add3_u32 v1, v1, v221 /*v477*/, v222 /*v478*/
	v_add3_u32 v1, v1, v223 /*v479*/, v224 /*v480*/
	s_delay_alu instid0(VALU_DEP_1)
	v_add3_u32 v59, v1, v225 /*v481*/, v226 /*v482*/
	s_set_vgpr_msb 0                        ;  msbs: dst=0 src0=0 src1=0 src2=0
	v_mul_i32_i24_e32 v1, v43, v184
	v_mul_i32_i24_e32 v43, v61, v186
	;; [unrolled: 1-line block ×5, first 2 shown]
	v_mad_i32_i24 v1, v58, v183, v1
	v_mul_i32_i24_e32 v58, v62, v187
	v_mul_i32_i24_e32 v62, v66, v191
	v_mul_i32_i24_e32 v66, v70, v194
	v_mul_i32_i24_e32 v70, v76, v197
	v_add3_u32 v43, v1, v2, v43
	v_mul_i32_i24_e32 v74, v80, v199
	v_mul_i32_i24_e32 v76, v82, v200
	v_mul_i32_i24_e32 v80, v201, v93
	v_mul_i32_i24_e32 v82, v204, v148
	v_add3_u32 v43, v43, v58, v60
	;; [unrolled: 5-line block ×3, first 2 shown]
	v_mul_i32_i24_e32 v43, v159, v216
	v_mul_i32_i24_e32 v60, v162, v214
	;; [unrolled: 1-line block ×3, first 2 shown]
	s_set_vgpr_msb 4                        ;  msbs: dst=0 src0=0 src1=1 src2=0
	v_mul_i32_i24_e32 v151, v240, v202 /*v458*/
	s_set_vgpr_msb 0                        ;  msbs: dst=0 src0=0 src1=0 src2=0
	v_add3_u32 v11, v11, v62, v64
	s_set_vgpr_msb 1                        ;  msbs: dst=0 src0=1 src1=0 src2=0
	v_mul_i32_i24_e32 v62, v184 /*v440*/, v222
	v_mul_i32_i24_e32 v64, v185 /*v441*/, v223
	s_set_vgpr_msb 0                        ;  msbs: dst=0 src0=0 src1=0 src2=0
	v_mul_i32_i24_e32 v1, v154, v215
	v_mul_i32_i24_e32 v2, v155, v217
	v_add3_u32 v11, v11, v65, v66
	s_set_vgpr_msb 1                        ;  msbs: dst=0 src0=1 src1=0 src2=0
	v_mul_i32_i24_e32 v65, v186 /*v442*/, v220
	v_mul_i32_i24_e32 v66, v187 /*v443*/, v225
	s_set_vgpr_msb 0                        ;  msbs: dst=0 src0=0 src1=0 src2=0
	v_add3_u32 v10, v59, v13, v10
	v_add3_u32 v11, v11, v68, v69
	s_set_vgpr_msb 1                        ;  msbs: dst=0 src0=1 src1=0 src2=0
	v_mul_i32_i24_e32 v68, v188 /*v444*/, v226
	v_mul_i32_i24_e32 v69, v189 /*v445*/, v227
	s_set_vgpr_msb 0                        ;  msbs: dst=0 src0=0 src1=0 src2=0
	v_add3_u32 v11, v11, v70, v72
	s_set_vgpr_msb 1                        ;  msbs: dst=0 src0=1 src1=0 src2=0
	v_mul_i32_i24_e32 v70, v190 /*v446*/, v224
	v_mul_i32_i24_e32 v72, v191 /*v447*/, v228
	s_set_vgpr_msb 0                        ;  msbs: dst=0 src0=0 src1=0 src2=0
	v_add3_u32 v11, v11, v74, v76
	s_set_vgpr_msb 4                        ;  msbs: dst=0 src0=0 src1=1 src2=0
	v_mul_i32_i24_e32 v74, v229, v192 /*v448*/
	v_mul_i32_i24_e32 v76, v230, v193 /*v449*/
	s_set_vgpr_msb 0                        ;  msbs: dst=0 src0=0 src1=0 src2=0
	v_add3_u32 v11, v11, v78, v80
	s_set_vgpr_msb 4                        ;  msbs: dst=0 src0=0 src1=1 src2=0
	v_mul_i32_i24_e32 v78, v232, v194 /*v450*/
	v_mul_i32_i24_e32 v80, v231, v195 /*v451*/
	s_set_vgpr_msb 0                        ;  msbs: dst=0 src0=0 src1=0 src2=0
	v_add3_u32 v11, v11, v82, v91
	s_set_vgpr_msb 4                        ;  msbs: dst=0 src0=0 src1=1 src2=0
	v_mul_i32_i24_e32 v82, v233, v196 /*v452*/
	v_mul_i32_i24_e32 v91, v234, v197 /*v453*/
	s_set_vgpr_msb 0                        ;  msbs: dst=0 src0=0 src1=0 src2=0
	v_add3_u32 v5, v11, v93, v5
	v_mul_i32_i24_e32 v11, v158, v210
	s_set_vgpr_msb 4                        ;  msbs: dst=0 src0=0 src1=1 src2=0
	v_mul_i32_i24_e32 v93, v236, v198 /*v454*/
	s_set_vgpr_msb 0                        ;  msbs: dst=0 src0=0 src1=0 src2=0
	v_add3_u32 v5, v5, v148, v149
	s_set_vgpr_msb 4                        ;  msbs: dst=0 src0=0 src1=1 src2=0
	v_mul_i32_i24_e32 v148, v235, v199 /*v455*/
	v_mul_i32_i24_e32 v149, v237, v200 /*v456*/
	s_set_vgpr_msb 0                        ;  msbs: dst=0 src0=0 src1=0 src2=0
	v_add3_u32 v5, v5, v150, v6
	v_mul_i32_i24_e32 v6, v156, v213
	s_set_vgpr_msb 4                        ;  msbs: dst=0 src0=0 src1=1 src2=0
	v_mul_i32_i24_e32 v150, v238, v201 /*v457*/
	s_set_vgpr_msb 0                        ;  msbs: dst=0 src0=0 src1=0 src2=0
	v_add3_u32 v1, v5, v1, v2
	v_mad_i32_i24 v6, v157, v212, v6
	s_delay_alu instid0(VALU_DEP_1) | instskip(SKIP_4) | instid1(VALU_DEP_2)
	v_add3_u32 v11, v6, v11, v43
	v_mul_i32_i24_e32 v43, v160, v218
	s_set_vgpr_msb 1                        ;  msbs: dst=0 src0=1 src1=0 src2=0
	v_mul_i32_i24_e32 v6, v204 /*v460*/, v241
	s_set_vgpr_msb 0                        ;  msbs: dst=0 src0=0 src1=0 src2=0
	v_add3_u32 v11, v11, v43, v58
	v_or_b32_e32 v43, s5, v139
	s_delay_alu instid0(VALU_DEP_2) | instskip(NEXT) | instid1(VALU_DEP_2)
	v_add3_u32 v11, v11, v60, v61
	v_dual_lshlrev_b32 v58, 2, v43 :: v_dual_lshrrev_b32 v43, 1, v43
	s_set_vgpr_msb 64                       ;  msbs: dst=1 src0=0 src1=0 src2=0
	ds_load_b128 v[184:187] /*v[440:443]*/, v58 offset:16896
	ds_load_b128 v[188:191] /*v[444:447]*/, v58 offset:16912
	;; [unrolled: 1-line block ×4, first 2 shown]
	s_set_vgpr_msb 0                        ;  msbs: dst=0 src0=0 src1=0 src2=0
	v_add3_u32 v11, v11, v62, v64
	s_delay_alu instid0(VALU_DEP_1) | instskip(NEXT) | instid1(VALU_DEP_1)
	v_add3_u32 v11, v11, v65, v66
	v_add3_u32 v11, v11, v68, v69
	s_delay_alu instid0(VALU_DEP_1)
	v_add3_u32 v11, v11, v70, v72
	s_wait_dscnt 0x3
	s_set_vgpr_msb 1                        ;  msbs: dst=0 src0=1 src1=0 src2=0
	v_bfe_i32 v58, v184 /*v440*/, 0, 8
	v_bfe_i32 v60, v184 /*v440*/, 8, 8
	;; [unrolled: 1-line block ×3, first 2 shown]
	s_set_vgpr_msb 4                        ;  msbs: dst=0 src0=0 src1=1 src2=0
	v_ashrrev_i32_e32 v62, 24, v184 /*v440*/
	s_set_vgpr_msb 0                        ;  msbs: dst=0 src0=0 src1=0 src2=0
	v_add3_u32 v11, v11, v74, v76
	s_set_vgpr_msb 0x44                     ;  msbs: dst=1 src0=0 src1=1 src2=0
	v_mul_i32_i24_e32 v184 /*v440*/, v58, v118 /*v374*/
	s_set_vgpr_msb 1                        ;  msbs: dst=0 src0=1 src1=0 src2=0
	v_bfe_i32 v64, v185 /*v441*/, 0, 8
	v_bfe_i32 v65, v185 /*v441*/, 8, 8
	;; [unrolled: 1-line block ×3, first 2 shown]
	s_set_vgpr_msb 0                        ;  msbs: dst=0 src0=0 src1=0 src2=0
	v_add3_u32 v11, v11, v78, v80
	s_set_vgpr_msb 4                        ;  msbs: dst=0 src0=0 src1=1 src2=0
	v_ashrrev_i32_e32 v68, 24, v185 /*v441*/
	s_set_vgpr_msb 1                        ;  msbs: dst=0 src0=1 src1=0 src2=0
	v_bfe_i32 v69, v186 /*v442*/, 0, 8
	v_bfe_i32 v70, v186 /*v442*/, 8, 8
	;; [unrolled: 1-line block ×3, first 2 shown]
	s_set_vgpr_msb 0                        ;  msbs: dst=0 src0=0 src1=0 src2=0
	v_add3_u32 v11, v11, v82, v91
	s_set_vgpr_msb 4                        ;  msbs: dst=0 src0=0 src1=1 src2=0
	v_dual_ashrrev_i32 v74, 24, v186 /*v442*/ :: v_dual_ashrrev_i32 v82, 24, v187 /*v443*/
	s_set_vgpr_msb 0x54                     ;  msbs: dst=1 src0=0 src1=1 src2=1
	v_mul_i32_i24_e32 v185 /*v441*/, v61, v119 /*v375*/
	v_mul_i32_i24_e32 v186 /*v442*/, v62, v120 /*v376*/
	v_mad_i32_i24 v184 /*v440*/, v60, v117 /*v373*/, v184 /*v440*/
	s_set_vgpr_msb 0                        ;  msbs: dst=0 src0=0 src1=0 src2=0
	v_add3_u32 v11, v11, v93, v148
	s_set_vgpr_msb 1                        ;  msbs: dst=0 src0=1 src1=0 src2=0
	v_bfe_i32 v76, v187 /*v443*/, 0, 8
	v_bfe_i32 v78, v187 /*v443*/, 8, 8
	;; [unrolled: 1-line block ×3, first 2 shown]
	s_set_vgpr_msb 0x55                     ;  msbs: dst=1 src0=1 src1=1 src2=1
	v_add3_u32 v184 /*v440*/, v184 /*v440*/, v185 /*v441*/, v186 /*v442*/
	s_set_vgpr_msb 0x44                     ;  msbs: dst=1 src0=0 src1=1 src2=0
	v_mul_i32_i24_e32 v185 /*v441*/, v64, v121 /*v377*/
	v_mul_i32_i24_e32 v186 /*v442*/, v65, v122 /*v378*/
	s_set_vgpr_msb 0                        ;  msbs: dst=0 src0=0 src1=0 src2=0
	v_add3_u32 v11, v11, v149, v150
	s_wait_dscnt 0x2
	s_set_vgpr_msb 1                        ;  msbs: dst=0 src0=1 src1=0 src2=0
	v_bfe_i32 v91, v188 /*v444*/, 0, 8
	v_bfe_i32 v93, v188 /*v444*/, 8, 8
	;; [unrolled: 1-line block ×3, first 2 shown]
	s_set_vgpr_msb 4                        ;  msbs: dst=0 src0=0 src1=1 src2=0
	v_dual_ashrrev_i32 v149, 24, v188 /*v444*/ :: v_dual_ashrrev_i32 v153, 24, v189 /*v445*/
	s_set_vgpr_msb 0x44                     ;  msbs: dst=1 src0=0 src1=1 src2=0
	v_mul_i32_i24_e32 v187 /*v443*/, v66, v123 /*v379*/
	v_mul_i32_i24_e32 v188 /*v444*/, v68, v124 /*v380*/
	s_set_vgpr_msb 0x55                     ;  msbs: dst=1 src0=1 src1=1 src2=1
	v_add3_u32 v184 /*v440*/, v184 /*v440*/, v185 /*v441*/, v186 /*v442*/
	s_set_vgpr_msb 0                        ;  msbs: dst=0 src0=0 src1=0 src2=0
	v_add3_u32 v11, v11, v151, v152
	s_set_vgpr_msb 1                        ;  msbs: dst=0 src0=1 src1=0 src2=0
	v_bfe_i32 v150, v189 /*v445*/, 0, 8
	v_bfe_i32 v151, v189 /*v445*/, 8, 8
	v_bfe_i32 v152, v189 /*v445*/, 16, 8
	v_bfe_i32 v154, v190 /*v446*/, 0, 8
	v_bfe_i32 v155, v190 /*v446*/, 8, 8
	v_bfe_i32 v156, v190 /*v446*/, 16, 8
	s_set_vgpr_msb 4                        ;  msbs: dst=0 src0=0 src1=1 src2=0
	v_ashrrev_i32_e32 v157, 24, v190 /*v446*/
	s_set_vgpr_msb 0x44                     ;  msbs: dst=1 src0=0 src1=1 src2=0
	v_mul_i32_i24_e32 v189 /*v445*/, v69, v125 /*v381*/
	v_mul_i32_i24_e32 v190 /*v446*/, v70, v126 /*v382*/
	s_set_vgpr_msb 0x55                     ;  msbs: dst=1 src0=1 src1=1 src2=1
	v_add3_u32 v184 /*v440*/, v184 /*v440*/, v187 /*v443*/, v188 /*v444*/
	s_wait_dscnt 0x1
	s_set_vgpr_msb 1                        ;  msbs: dst=0 src0=1 src1=0 src2=0
	v_bfe_i32 v161, v192 /*v448*/, 0, 8
	v_bfe_i32 v162, v192 /*v448*/, 8, 8
	;; [unrolled: 1-line block ×3, first 2 shown]
	s_set_vgpr_msb 0x44                     ;  msbs: dst=1 src0=0 src1=1 src2=0
	v_dual_ashrrev_i32 v200 /*v456*/, 24, v192 /*v448*/ :: v_dual_ashrrev_i32 v204 /*v460*/, 24, v193 /*v449*/
	s_set_vgpr_msb 0x41                     ;  msbs: dst=1 src0=1 src1=0 src2=0
	v_bfe_i32 v201 /*v457*/, v193 /*v449*/, 0, 8
	v_bfe_i32 v202 /*v458*/, v193 /*v449*/, 8, 8
	;; [unrolled: 1-line block ×3, first 2 shown]
	s_set_vgpr_msb 0x44                     ;  msbs: dst=1 src0=0 src1=1 src2=0
	v_mul_i32_i24_e32 v192 /*v448*/, v72, v127 /*v383*/
	v_mul_i32_i24_e32 v193 /*v449*/, v74, v128 /*v384*/
	s_set_vgpr_msb 0x55                     ;  msbs: dst=1 src0=1 src1=1 src2=1
	v_add3_u32 v184 /*v440*/, v184 /*v440*/, v189 /*v445*/, v190 /*v446*/
	s_set_vgpr_msb 0x44                     ;  msbs: dst=1 src0=0 src1=1 src2=0
	v_mul_i32_i24_e32 v222 /*v478*/, v76, v129 /*v385*/
	v_mul_i32_i24_e32 v223 /*v479*/, v78, v130 /*v386*/
	;; [unrolled: 1-line block ×4, first 2 shown]
	s_set_vgpr_msb 0x55                     ;  msbs: dst=1 src0=1 src1=1 src2=1
	v_add3_u32 v184 /*v440*/, v184 /*v440*/, v192 /*v448*/, v193 /*v449*/
	s_set_vgpr_msb 0x44                     ;  msbs: dst=1 src0=0 src1=1 src2=0
	v_mul_i32_i24_e32 v226 /*v482*/, v91, v133 /*v389*/
	v_mul_i32_i24_e32 v227 /*v483*/, v93, v134 /*v390*/
	s_set_vgpr_msb 0x41                     ;  msbs: dst=1 src0=1 src1=0 src2=0
	v_mul_i32_i24_e32 v228 /*v484*/, v136 /*v392*/, v148
	v_mul_i32_i24_e32 v229 /*v485*/, v135 /*v391*/, v149
	s_set_vgpr_msb 0x55                     ;  msbs: dst=1 src0=1 src1=1 src2=1
	v_add3_u32 v184 /*v440*/, v184 /*v440*/, v222 /*v478*/, v223 /*v479*/
	s_set_vgpr_msb 0x41                     ;  msbs: dst=1 src0=1 src1=0 src2=0
	v_mul_i32_i24_e32 v230 /*v486*/, v138 /*v394*/, v150
	v_mul_i32_i24_e32 v231 /*v487*/, v137 /*v393*/, v151
	;; [unrolled: 1-line block ×4, first 2 shown]
	s_set_vgpr_msb 0x55                     ;  msbs: dst=1 src0=1 src1=1 src2=1
	v_add3_u32 v184 /*v440*/, v184 /*v440*/, v224 /*v480*/, v225 /*v481*/
	s_set_vgpr_msb 0x41                     ;  msbs: dst=1 src0=1 src1=0 src2=0
	v_mul_i32_i24_e32 v234 /*v490*/, v148 /*v404*/, v154
	v_mul_i32_i24_e32 v235 /*v491*/, v141 /*v397*/, v155
	;; [unrolled: 1-line block ×4, first 2 shown]
	s_set_vgpr_msb 0x55                     ;  msbs: dst=1 src0=1 src1=1 src2=1
	v_add3_u32 v184 /*v440*/, v184 /*v440*/, v226 /*v482*/, v227 /*v483*/
	s_set_vgpr_msb 0x41                     ;  msbs: dst=1 src0=1 src1=0 src2=0
	v_mul_i32_i24_e32 v185 /*v441*/, v156 /*v412*/, v163
	s_set_vgpr_msb 0x55                     ;  msbs: dst=1 src0=1 src1=1 src2=1
	v_mul_i32_i24_e32 v186 /*v442*/, v150 /*v406*/, v200 /*v456*/
	v_bfe_i32 v205 /*v461*/, v194 /*v450*/, 0, 8
	v_bfe_i32 v206 /*v462*/, v194 /*v450*/, 8, 8
	v_add3_u32 v184 /*v440*/, v184 /*v440*/, v228 /*v484*/, v229 /*v485*/
	v_mul_i32_i24_e32 v187 /*v443*/, v158 /*v414*/, v203 /*v459*/
	v_mul_i32_i24_e32 v188 /*v444*/, v142 /*v398*/, v204 /*v460*/
	v_bfe_i32 v207 /*v463*/, v194 /*v450*/, 16, 8
	v_ashrrev_i32_e32 v194 /*v450*/, 24, v194 /*v450*/
	v_add3_u32 v184 /*v440*/, v184 /*v440*/, v230 /*v486*/, v231 /*v487*/
	v_mul_i32_i24_e32 v189 /*v445*/, v163 /*v419*/, v205 /*v461*/
	v_mul_i32_i24_e32 v190 /*v446*/, v162 /*v418*/, v206 /*v462*/
	v_bfe_i32 v208 /*v464*/, v195 /*v451*/, 0, 8
	v_bfe_i32 v209 /*v465*/, v195 /*v451*/, 8, 8
	v_add3_u32 v184 /*v440*/, v184 /*v440*/, v232 /*v488*/, v233 /*v489*/
	v_bfe_i32 v210 /*v466*/, v195 /*v451*/, 16, 8
	v_ashrrev_i32_e32 v195 /*v451*/, 24, v195 /*v451*/
	v_mul_i32_i24_e32 v192 /*v448*/, v161 /*v417*/, v207 /*v463*/
	v_mul_i32_i24_e32 v193 /*v449*/, v143 /*v399*/, v194 /*v450*/
	v_add3_u32 v184 /*v440*/, v184 /*v440*/, v234 /*v490*/, v235 /*v491*/
	v_mul_i32_i24_e32 v223 /*v479*/, v166 /*v422*/, v208 /*v464*/
	v_mul_i32_i24_e32 v224 /*v480*/, v165 /*v421*/, v209 /*v465*/
	s_wait_dscnt 0x0
	v_bfe_i32 v211 /*v467*/, v196 /*v452*/, 0, 8
	v_bfe_i32 v212 /*v468*/, v196 /*v452*/, 8, 8
	v_add3_u32 v222 /*v478*/, v184 /*v440*/, v236 /*v492*/, v237 /*v493*/
	s_set_vgpr_msb 0x41                     ;  msbs: dst=1 src0=1 src1=0 src2=0
	v_mul_i32_i24_e32 v184 /*v440*/, v157 /*v413*/, v161
	s_set_vgpr_msb 0x45                     ;  msbs: dst=1 src0=1 src1=1 src2=0
	v_mul_i32_i24_e32 v225 /*v481*/, v164 /*v420*/, v210 /*v466*/
	v_mul_i32_i24_e32 v226 /*v482*/, v144 /*v400*/, v195 /*v451*/
	v_bfe_i32 v213 /*v469*/, v196 /*v452*/, 16, 8
	v_ashrrev_i32_e32 v196 /*v452*/, 24, v196 /*v452*/
	s_set_vgpr_msb 0x51                     ;  msbs: dst=1 src0=1 src1=0 src2=1
	v_mad_i32_i24 v184 /*v440*/, v155 /*v411*/, v162, v184 /*v440*/
	s_set_vgpr_msb 0x55                     ;  msbs: dst=1 src0=1 src1=1 src2=1
	v_mul_i32_i24_e32 v227 /*v483*/, v169 /*v425*/, v211 /*v467*/
	v_mul_i32_i24_e32 v228 /*v484*/, v168 /*v424*/, v212 /*v468*/
	v_bfe_i32 v214 /*v470*/, v197 /*v453*/, 0, 8
	v_bfe_i32 v215 /*v471*/, v197 /*v453*/, 8, 8
	v_add3_u32 v184 /*v440*/, v184 /*v440*/, v185 /*v441*/, v186 /*v442*/
	v_mul_i32_i24_e32 v185 /*v441*/, v160 /*v416*/, v201 /*v457*/
	v_mul_i32_i24_e32 v186 /*v442*/, v159 /*v415*/, v202 /*v458*/
	v_bfe_i32 v216 /*v472*/, v197 /*v453*/, 16, 8
	v_ashrrev_i32_e32 v197 /*v453*/, 24, v197 /*v453*/
	v_mul_i32_i24_e32 v229 /*v485*/, v167 /*v423*/, v213 /*v469*/
	v_mul_i32_i24_e32 v230 /*v486*/, v145 /*v401*/, v196 /*v452*/
	v_add3_u32 v184 /*v440*/, v184 /*v440*/, v185 /*v441*/, v186 /*v442*/
	v_mul_i32_i24_e32 v231 /*v487*/, v172 /*v428*/, v214 /*v470*/
	v_mul_i32_i24_e32 v232 /*v488*/, v171 /*v427*/, v215 /*v471*/
	v_bfe_i32 v217 /*v473*/, v198 /*v454*/, 0, 8
	v_bfe_i32 v218 /*v474*/, v198 /*v454*/, 8, 8
	v_add3_u32 v184 /*v440*/, v184 /*v440*/, v187 /*v443*/, v188 /*v444*/
	v_mul_i32_i24_e32 v233 /*v489*/, v170 /*v426*/, v216 /*v472*/
	v_mul_i32_i24_e32 v234 /*v490*/, v146 /*v402*/, v197 /*v453*/
	v_bfe_i32 v219 /*v475*/, v198 /*v454*/, 16, 8
	v_ashrrev_i32_e32 v198 /*v454*/, 24, v198 /*v454*/
	v_add3_u32 v184 /*v440*/, v184 /*v440*/, v189 /*v445*/, v190 /*v446*/
	v_mul_i32_i24_e32 v235 /*v491*/, v175 /*v431*/, v217 /*v473*/
	v_mul_i32_i24_e32 v236 /*v492*/, v174 /*v430*/, v218 /*v474*/
	;; [unrolled: 1-line block ×3, first 2 shown]
	s_set_vgpr_msb 64                       ;  msbs: dst=1 src0=0 src1=0 src2=0
	ds_load_b64 v[186:187] /*v[442:443]*/, v43 offset:27200
	s_set_vgpr_msb 0x55                     ;  msbs: dst=1 src0=1 src1=1 src2=1
	v_add3_u32 v184 /*v440*/, v184 /*v440*/, v192 /*v448*/, v193 /*v449*/
	s_set_vgpr_msb 1                        ;  msbs: dst=0 src0=1 src1=0 src2=0
	v_bfe_i32 v158, v191 /*v447*/, 0, 8
	v_bfe_i32 v159, v191 /*v447*/, 8, 8
	;; [unrolled: 1-line block ×3, first 2 shown]
	s_set_vgpr_msb 0x55                     ;  msbs: dst=1 src0=1 src1=1 src2=1
	v_bfe_i32 v220 /*v476*/, v199 /*v455*/, 0, 8
	v_add3_u32 v184 /*v440*/, v184 /*v440*/, v223 /*v479*/, v224 /*v480*/
	v_ashrrev_i32_e32 v224 /*v480*/, 24, v191 /*v447*/
	v_mul_i32_i24_e32 v240 /*v496*/, v147 /*v403*/, v198 /*v454*/
	s_set_vgpr_msb 0x44                     ;  msbs: dst=1 src0=0 src1=1 src2=0
	v_mul_i32_i24_e32 v238 /*v494*/, v158, v153 /*v409*/
	v_mul_i32_i24_e32 v239 /*v495*/, v159, v154 /*v410*/
	s_set_vgpr_msb 0x55                     ;  msbs: dst=1 src0=1 src1=1 src2=1
	v_add3_u32 v184 /*v440*/, v184 /*v440*/, v225 /*v481*/, v226 /*v482*/
	s_set_vgpr_msb 64                       ;  msbs: dst=1 src0=0 src1=0 src2=0
	v_bfe_i32 v225 /*v481*/, v3, 16, 8
	v_ashrrev_i32_e32 v226 /*v482*/, 24, v3
	s_set_vgpr_msb 0x55                     ;  msbs: dst=1 src0=1 src1=1 src2=1
	v_bfe_i32 v221 /*v477*/, v199 /*v455*/, 8, 8
	v_add3_u32 v179 /*v435*/, v222 /*v478*/, v238 /*v494*/, v239 /*v495*/
	v_add3_u32 v184 /*v440*/, v184 /*v440*/, v227 /*v483*/, v228 /*v484*/
	v_mul_i32_i24_e32 v241 /*v497*/, v220 /*v476*/, v151 /*v407*/
	v_mul_i32_i24_e32 v181 /*v437*/, v53 /*v309*/, v225 /*v481*/
	;; [unrolled: 1-line block ×3, first 2 shown]
	s_wait_dscnt 0x0
	v_cvt_f32_f16_e64 v189 /*v445*/, v186 /*v442*/
	v_add3_u32 v184 /*v440*/, v184 /*v440*/, v229 /*v485*/, v230 /*v486*/
	v_cvt_f32_f16_e64 v193 /*v449*/, v187 /*v443*/
	s_set_vgpr_msb 0x44                     ;  msbs: dst=1 src0=0 src1=1 src2=0
	v_mul_i32_i24_e32 v229 /*v485*/, v91, v74 /*v330*/
	v_mul_i32_i24_e32 v230 /*v486*/, v93, v75 /*v331*/
	s_set_vgpr_msb 0x41                     ;  msbs: dst=1 src0=1 src1=0 src2=0
	v_mul_i32_i24_e32 v238 /*v494*/, v82 /*v338*/, v155
	s_set_vgpr_msb 0x55                     ;  msbs: dst=1 src0=1 src1=1 src2=1
	v_add3_u32 v184 /*v440*/, v184 /*v440*/, v231 /*v487*/, v232 /*v488*/
	s_set_vgpr_msb 0x41                     ;  msbs: dst=1 src0=1 src1=0 src2=0
	v_mul_i32_i24_e32 v231 /*v487*/, v77 /*v333*/, v148
	v_mul_i32_i24_e32 v232 /*v488*/, v76 /*v332*/, v149
	;; [unrolled: 1-line block ×3, first 2 shown]
	s_set_vgpr_msb 0x44                     ;  msbs: dst=1 src0=0 src1=1 src2=0
	v_mul_i32_i24_e32 v242 /*v498*/, v159, v92 /*v348*/
	s_set_vgpr_msb 0x55                     ;  msbs: dst=1 src0=1 src1=1 src2=1
	v_add3_u32 v184 /*v440*/, v184 /*v440*/, v233 /*v489*/, v234 /*v490*/
	s_set_vgpr_msb 0x41                     ;  msbs: dst=1 src0=1 src1=0 src2=0
	v_mul_i32_i24_e32 v233 /*v489*/, v79 /*v335*/, v150
	v_mul_i32_i24_e32 v234 /*v490*/, v78 /*v334*/, v151
	s_set_vgpr_msb 0x55                     ;  msbs: dst=1 src0=1 src1=1 src2=1
	v_mul_i32_i24_e32 v243 /*v499*/, v114 /*v370*/, v198 /*v454*/
	v_mul_i32_i24_e32 v244 /*v500*/, v220 /*v476*/, v116 /*v372*/
	v_add3_u32 v184 /*v440*/, v184 /*v440*/, v235 /*v491*/, v236 /*v492*/
	s_set_vgpr_msb 0x41                     ;  msbs: dst=1 src0=1 src1=0 src2=0
	v_mul_i32_i24_e32 v235 /*v491*/, v81 /*v337*/, v152
	v_mul_i32_i24_e32 v236 /*v492*/, v80 /*v336*/, v153
	s_set_vgpr_msb 0x44                     ;  msbs: dst=1 src0=0 src1=1 src2=0
	v_mul_i32_i24_e32 v180 /*v436*/, v74, v0 /*v256*/
	s_set_vgpr_msb 4                        ;  msbs: dst=0 src0=0 src1=1 src2=0
	v_mul_i32_i24_e32 v12, v115, v225 /*v481*/
	s_set_vgpr_msb 0x55                     ;  msbs: dst=1 src0=1 src1=1 src2=1
	v_add3_u32 v223 /*v479*/, v184 /*v440*/, v237 /*v493*/, v240 /*v496*/
	s_set_vgpr_msb 64                       ;  msbs: dst=1 src0=0 src1=0 src2=0
	ds_load_b64 v[184:185] /*v[440:441]*/, v8 offset:27200
	s_set_vgpr_msb 4                        ;  msbs: dst=0 src0=0 src1=1 src2=0
	v_lshrrev_b32_e32 v43, 16, v186 /*v442*/
	s_set_vgpr_msb 0x41                     ;  msbs: dst=1 src0=1 src1=0 src2=0
	v_mul_i32_i24_e32 v186 /*v442*/, v49 /*v305*/, v7
	v_mul_i32_i24_e32 v237 /*v493*/, v83 /*v339*/, v154
	s_set_vgpr_msb 0                        ;  msbs: dst=0 src0=0 src1=0 src2=0
	v_mul_i32_i24_e32 v59, v76, v195
	s_wait_dscnt 0x0
	s_set_vgpr_msb 4                        ;  msbs: dst=0 src0=0 src1=1 src2=0
	v_dual_lshrrev_b32 v8, 16, v184 /*v440*/ :: v_dual_lshrrev_b32 v3, 16, v185 /*v441*/
	s_set_vgpr_msb 0x41                     ;  msbs: dst=1 src0=1 src1=0 src2=0
	v_cvt_f32_f16_e64 v188 /*v444*/, v184 /*v440*/
	v_cvt_f32_f16_e64 v192 /*v448*/, v185 /*v441*/
	s_set_vgpr_msb 64                       ;  msbs: dst=1 src0=0 src1=0 src2=0
	v_cvt_f32_f16_e64 v191 /*v447*/, v43
	v_cvt_f32_f16_e64 v190 /*v446*/, v8
	s_set_vgpr_msb 4                        ;  msbs: dst=0 src0=0 src1=1 src2=0
	v_lshrrev_b32_e32 v8, 16, v187 /*v443*/
	s_set_vgpr_msb 64                       ;  msbs: dst=1 src0=0 src1=0 src2=0
	v_cvt_f32_f16_e64 v184 /*v440*/, v3
	s_set_vgpr_msb 4                        ;  msbs: dst=0 src0=0 src1=1 src2=0
	v_mul_i32_i24_e32 v3, v4, v50 /*v306*/
	s_set_vgpr_msb 0x45                     ;  msbs: dst=1 src0=1 src1=1 src2=0
	v_mul_i32_i24_e32 v187 /*v443*/, v49 /*v305*/, v224 /*v480*/
	s_set_vgpr_msb 1                        ;  msbs: dst=0 src0=1 src1=0 src2=0
	v_bfe_i32 v43, v199 /*v455*/, 16, 8
	s_set_vgpr_msb 64                       ;  msbs: dst=1 src0=0 src1=0 src2=0
	v_cvt_f32_f16_e64 v185 /*v441*/, v8
	s_set_vgpr_msb 4                        ;  msbs: dst=0 src0=0 src1=1 src2=0
	v_mul_i32_i24_e32 v8, v160, v50 /*v306*/
	s_set_vgpr_msb 17                       ;  msbs: dst=0 src0=1 src1=0 src2=1
	v_add3_u32 v3, v178 /*v434*/, v3, v186 /*v442*/
	s_set_vgpr_msb 0x44                     ;  msbs: dst=1 src0=0 src1=1 src2=0
	v_ashrrev_i32_e32 v199 /*v455*/, 24, v199 /*v455*/
	s_set_vgpr_msb 0x41                     ;  msbs: dst=1 src0=1 src1=0 src2=0
	v_mul_i32_i24_e32 v222 /*v478*/, v53 /*v309*/, v43
	v_mul_i32_i24_e32 v240 /*v496*/, v84 /*v340*/, v157
	s_set_vgpr_msb 17                       ;  msbs: dst=0 src0=1 src1=0 src2=1
	v_add3_u32 v8, v179 /*v435*/, v8, v187 /*v443*/
	s_set_vgpr_msb 4                        ;  msbs: dst=0 src0=0 src1=1 src2=0
	v_mul_lo_u32 v3, v3, v48 /*v304*/
	s_set_vgpr_msb 0x45                     ;  msbs: dst=1 src0=1 src1=1 src2=0
	v_mul_i32_i24_e32 v228 /*v484*/, v52 /*v308*/, v199 /*v455*/
	s_set_vgpr_msb 0x44                     ;  msbs: dst=1 src0=0 src1=1 src2=0
	v_pk_fma_f32 v[186:187] /*v[442:443]*/, v[122:123], v[190:191] /*v[446:447]*/, 0 op_sel_hi:[0,1,0]
	s_set_vgpr_msb 4                        ;  msbs: dst=0 src0=0 src1=1 src2=0
	v_mul_lo_u32 v8, v8, v48 /*v304*/
	s_set_vgpr_msb 64                       ;  msbs: dst=1 src0=0 src1=0 src2=0
	s_delay_alu instid0(VALU_DEP_4) | instskip(SKIP_3) | instid1(VALU_DEP_3)
	v_cvt_f32_i32_e32 v178 /*v434*/, v3
	s_set_vgpr_msb 5                        ;  msbs: dst=0 src0=1 src1=1 src2=0
	v_mul_i32_i24_e32 v3, v221 /*v477*/, v54 /*v310*/
	s_set_vgpr_msb 64                       ;  msbs: dst=1 src0=0 src1=0 src2=0
	v_cvt_f32_i32_e32 v179 /*v435*/, v8
	s_set_vgpr_msb 4                        ;  msbs: dst=0 src0=0 src1=1 src2=0
	v_mul_i32_i24_e32 v8, v0, v54 /*v310*/
	s_set_vgpr_msb 5                        ;  msbs: dst=0 src0=1 src1=1 src2=0
	v_add3_u32 v3, v223 /*v479*/, v241 /*v497*/, v3
	s_set_vgpr_msb 0x44                     ;  msbs: dst=1 src0=0 src1=1 src2=0
	v_mul_i32_i24_e32 v223 /*v479*/, v78, v71 /*v327*/
	v_mul_i32_i24_e32 v241 /*v497*/, v158, v90 /*v346*/
	s_set_vgpr_msb 0x45                     ;  msbs: dst=1 src0=1 src1=1 src2=0
	v_pk_fma_f32 v[178:179] /*v[434:435]*/, v[188:189] /*v[444:445]*/, v[178:179] /*v[434:435]*/, 0 op_sel_hi:[1,1,0]
	s_set_vgpr_msb 5                        ;  msbs: dst=0 src0=1 src1=1 src2=0
	v_add3_u32 v8, v183 /*v439*/, v182 /*v438*/, v8
	s_set_vgpr_msb 20                       ;  msbs: dst=0 src0=0 src1=1 src2=1
	v_add3_u32 v3, v3, v222 /*v478*/, v228 /*v484*/
	s_set_vgpr_msb 0x44                     ;  msbs: dst=1 src0=0 src1=1 src2=0
	v_mul_i32_i24_e32 v222 /*v478*/, v76, v70 /*v326*/
	v_mul_i32_i24_e32 v228 /*v484*/, v82, v73 /*v329*/
	s_set_vgpr_msb 0                        ;  msbs: dst=0 src0=0 src1=0 src2=0
	v_mul_i32_i24_e32 v0, v0, v178
	s_set_vgpr_msb 20                       ;  msbs: dst=0 src0=0 src1=1 src2=1
	v_add3_u32 v8, v8, v181 /*v437*/, v227 /*v483*/
	v_mul_lo_u32 v3, v3, v51 /*v307*/
	s_set_vgpr_msb 0x44                     ;  msbs: dst=1 src0=0 src1=1 src2=0
	v_mul_i32_i24_e32 v181 /*v437*/, v68, v65 /*v321*/
	v_mul_i32_i24_e32 v227 /*v483*/, v80, v72 /*v328*/
	s_set_vgpr_msb 0                        ;  msbs: dst=0 src0=0 src1=0 src2=0
	v_add3_u32 v0, v11, v6, v0
	s_set_vgpr_msb 4                        ;  msbs: dst=0 src0=0 src1=1 src2=0
	v_mul_lo_u32 v8, v8, v51 /*v307*/
	s_set_vgpr_msb 64                       ;  msbs: dst=1 src0=0 src1=0 src2=0
	v_cvt_f32_i32_e32 v183 /*v439*/, v3
	s_set_vgpr_msb 4                        ;  msbs: dst=0 src0=0 src1=1 src2=0
	v_mul_i32_i24_e32 v3, v58, v59 /*v315*/
	s_set_vgpr_msb 64                       ;  msbs: dst=1 src0=0 src1=0 src2=0
	s_delay_alu instid0(VALU_DEP_3)
	v_cvt_f32_i32_e32 v182 /*v438*/, v8
	s_set_vgpr_msb 4                        ;  msbs: dst=0 src0=0 src1=1 src2=0
	v_mul_i32_i24_e32 v8, v61, v60 /*v316*/
	v_mad_i32_i24 v3, v60, v58 /*v314*/, v3
	s_set_vgpr_msb 0x55                     ;  msbs: dst=1 src0=1 src1=1 src2=1
	v_pk_fma_f32 v[178:179] /*v[434:435]*/, v[192:193] /*v[448:449]*/, v[182:183] /*v[438:439]*/, v[178:179] /*v[434:435]*/
	s_set_vgpr_msb 0x54                     ;  msbs: dst=1 src0=0 src1=1 src2=1
	v_pk_fma_f32 v[182:183] /*v[438:439]*/, v[124:125], v[184:185] /*v[440:441]*/, v[186:187] /*v[442:443]*/ op_sel_hi:[0,1,1]
	v_mul_i32_i24_e32 v186 /*v442*/, v72, v68 /*v324*/
	v_mul_i32_i24_e32 v187 /*v443*/, v74, v69 /*v325*/
	s_set_vgpr_msb 0x51                     ;  msbs: dst=1 src0=1 src1=0 src2=1
	s_delay_alu instid0(VALU_DEP_3) | instskip(NEXT) | instid1(VALU_DEP_1)
	v_pk_mul_f32 v[182:183] /*v[438:439]*/, v[182:183] /*v[438:439]*/, v[104:105]
	v_pk_fma_f32 v[178:179] /*v[434:435]*/, v[178:179] /*v[434:435]*/, v[96:97], v[182:183] /*v[438:439]*/ neg_lo:[0,0,1] neg_hi:[0,0,1]
	s_set_vgpr_msb 0x44                     ;  msbs: dst=1 src0=0 src1=1 src2=0
	v_mul_i32_i24_e32 v182 /*v438*/, v69, v66 /*v322*/
	v_mul_i32_i24_e32 v183 /*v439*/, v70, v67 /*v323*/
	s_set_vgpr_msb 4                        ;  msbs: dst=0 src0=0 src1=1 src2=0
	v_pk_add_f32 v[38:39], v[38:39], v[178:179] /*v[434:435]*/
	s_set_vgpr_msb 0x44                     ;  msbs: dst=1 src0=0 src1=1 src2=0
	v_mul_i32_i24_e32 v178 /*v434*/, v62, v61 /*v317*/
	v_mul_i32_i24_e32 v179 /*v435*/, v66, v64 /*v320*/
	s_set_vgpr_msb 16                       ;  msbs: dst=0 src0=0 src1=0 src2=1
	s_delay_alu instid0(VALU_DEP_2)
	v_add3_u32 v3, v3, v8, v178 /*v434*/
	s_set_vgpr_msb 4                        ;  msbs: dst=0 src0=0 src1=1 src2=0
	v_mul_i32_i24_e32 v8, v64, v62 /*v318*/
	s_set_vgpr_msb 0x44                     ;  msbs: dst=1 src0=0 src1=1 src2=0
	v_mul_i32_i24_e32 v178 /*v434*/, v65, v63 /*v319*/
	s_set_vgpr_msb 16                       ;  msbs: dst=0 src0=0 src1=0 src2=1
	s_delay_alu instid0(VALU_DEP_1)
	v_add3_u32 v3, v3, v8, v178 /*v434*/
	s_set_vgpr_msb 4                        ;  msbs: dst=0 src0=0 src1=1 src2=0
	v_mul_i32_i24_e32 v8, v161, v88 /*v344*/
	s_set_vgpr_msb 0x44                     ;  msbs: dst=1 src0=0 src1=1 src2=0
	v_mul_i32_i24_e32 v178 /*v434*/, v163, v85 /*v341*/
	s_set_vgpr_msb 20                       ;  msbs: dst=0 src0=0 src1=1 src2=1
	v_add3_u32 v3, v3, v179 /*v435*/, v181 /*v437*/
	s_set_vgpr_msb 0x45                     ;  msbs: dst=1 src0=1 src1=1 src2=0
	v_mul_i32_i24_e32 v179 /*v435*/, v200 /*v456*/, v91 /*v347*/
	s_set_vgpr_msb 4                        ;  msbs: dst=0 src0=0 src1=1 src2=0
	v_mad_i32_i24 v8, v162, v87 /*v343*/, v8
	s_set_vgpr_msb 0x45                     ;  msbs: dst=1 src0=1 src1=1 src2=0
	v_mul_i32_i24_e32 v181 /*v437*/, v203 /*v459*/, v89 /*v345*/
	s_set_vgpr_msb 20                       ;  msbs: dst=0 src0=0 src1=1 src2=1
	v_add3_u32 v3, v3, v182 /*v438*/, v183 /*v439*/
	s_set_vgpr_msb 0x45                     ;  msbs: dst=1 src0=1 src1=1 src2=0
	v_mul_i32_i24_e32 v182 /*v438*/, v204 /*v460*/, v96 /*v352*/
	s_set_vgpr_msb 20                       ;  msbs: dst=0 src0=0 src1=1 src2=1
	v_add3_u32 v8, v8, v178 /*v434*/, v179 /*v435*/
	s_set_vgpr_msb 0x45                     ;  msbs: dst=1 src0=1 src1=1 src2=0
	v_mul_i32_i24_e32 v178 /*v434*/, v201 /*v457*/, v93 /*v349*/
	v_mul_i32_i24_e32 v179 /*v435*/, v202 /*v458*/, v94 /*v350*/
	s_set_vgpr_msb 20                       ;  msbs: dst=0 src0=0 src1=1 src2=1
	v_add3_u32 v3, v3, v186 /*v442*/, v187 /*v443*/
	s_set_vgpr_msb 0x45                     ;  msbs: dst=1 src0=1 src1=1 src2=0
	v_mul_i32_i24_e32 v183 /*v439*/, v205 /*v461*/, v97 /*v353*/
	v_mul_i32_i24_e32 v186 /*v442*/, v206 /*v462*/, v98 /*v354*/
	;; [unrolled: 1-line block ×3, first 2 shown]
	s_set_vgpr_msb 20                       ;  msbs: dst=0 src0=0 src1=1 src2=1
	v_add3_u32 v8, v8, v178 /*v434*/, v179 /*v435*/
	v_add3_u32 v3, v3, v222 /*v478*/, v223 /*v479*/
	s_set_vgpr_msb 0x45                     ;  msbs: dst=1 src0=1 src1=1 src2=0
	v_mul_i32_i24_e32 v222 /*v478*/, v194 /*v450*/, v100 /*v356*/
	v_mul_i32_i24_e32 v223 /*v479*/, v208 /*v464*/, v101 /*v357*/
	s_set_vgpr_msb 0x44                     ;  msbs: dst=1 src0=0 src1=1 src2=0
	v_mul_i32_i24_e32 v179 /*v435*/, v160, v57 /*v313*/
	s_set_vgpr_msb 20                       ;  msbs: dst=0 src0=0 src1=1 src2=1
	v_add3_u32 v8, v8, v181 /*v437*/, v182 /*v438*/
	v_add3_u32 v3, v3, v227 /*v483*/, v228 /*v484*/
	s_set_vgpr_msb 0x45                     ;  msbs: dst=1 src0=1 src1=1 src2=0
	v_mul_i32_i24_e32 v227 /*v483*/, v209 /*v465*/, v102 /*v358*/
	v_mul_i32_i24_e32 v228 /*v484*/, v210 /*v466*/, v99 /*v355*/
	;; [unrolled: 1-line block ×3, first 2 shown]
	s_set_vgpr_msb 20                       ;  msbs: dst=0 src0=0 src1=1 src2=1
	v_add3_u32 v8, v8, v183 /*v439*/, v186 /*v442*/
	v_add3_u32 v3, v3, v229 /*v485*/, v230 /*v486*/
	s_set_vgpr_msb 0x45                     ;  msbs: dst=1 src0=1 src1=1 src2=0
	v_mul_i32_i24_e32 v229 /*v485*/, v195 /*v451*/, v103 /*v359*/
	v_mul_i32_i24_e32 v230 /*v486*/, v104 /*v360*/, v211 /*v467*/
	s_set_vgpr_msb 0x44                     ;  msbs: dst=1 src0=0 src1=1 src2=0
	v_mul_i32_i24_e32 v178 /*v434*/, v4, v57 /*v313*/
	s_set_vgpr_msb 20                       ;  msbs: dst=0 src0=0 src1=1 src2=1
	v_add3_u32 v8, v8, v187 /*v443*/, v222 /*v478*/
	v_add3_u32 v3, v3, v231 /*v487*/, v232 /*v488*/
	s_set_vgpr_msb 0x45                     ;  msbs: dst=1 src0=1 src1=1 src2=0
	v_mul_i32_i24_e32 v231 /*v487*/, v105 /*v361*/, v212 /*v468*/
	v_mul_i32_i24_e32 v232 /*v488*/, v107 /*v363*/, v213 /*v469*/
	s_set_vgpr_msb 0x41                     ;  msbs: dst=1 src0=1 src1=0 src2=0
	v_mul_i32_i24_e32 v181 /*v437*/, v56 /*v312*/, v7
	s_set_vgpr_msb 20                       ;  msbs: dst=0 src0=0 src1=1 src2=1
	v_add3_u32 v8, v8, v223 /*v479*/, v227 /*v483*/
	v_add3_u32 v3, v3, v233 /*v489*/, v234 /*v490*/
	s_set_vgpr_msb 0x45                     ;  msbs: dst=1 src0=1 src1=1 src2=0
	v_mul_i32_i24_e32 v233 /*v489*/, v106 /*v362*/, v196 /*v452*/
	v_mul_i32_i24_e32 v234 /*v490*/, v108 /*v364*/, v214 /*v470*/
	s_set_vgpr_msb 20                       ;  msbs: dst=0 src0=0 src1=1 src2=1
	v_add3_u32 v14, v14, v178 /*v434*/, v181 /*v437*/
	v_add3_u32 v8, v8, v228 /*v484*/, v229 /*v485*/
	;; [unrolled: 1-line block ×3, first 2 shown]
	s_set_vgpr_msb 0x45                     ;  msbs: dst=1 src0=1 src1=1 src2=0
	v_mul_i32_i24_e32 v235 /*v491*/, v109 /*v365*/, v215 /*v471*/
	v_mul_i32_i24_e32 v236 /*v492*/, v111 /*v367*/, v216 /*v472*/
	s_set_vgpr_msb 0x44                     ;  msbs: dst=1 src0=0 src1=1 src2=0
	v_mul_i32_i24_e32 v181 /*v437*/, v173, v225 /*v481*/
	s_set_vgpr_msb 20                       ;  msbs: dst=0 src0=0 src1=1 src2=1
	v_add3_u32 v8, v8, v230 /*v486*/, v231 /*v487*/
	v_add3_u32 v3, v3, v237 /*v493*/, v238 /*v494*/
	s_set_vgpr_msb 0x45                     ;  msbs: dst=1 src0=1 src1=1 src2=0
	v_mul_i32_i24_e32 v237 /*v493*/, v110 /*v366*/, v197 /*v453*/
	v_mul_i32_i24_e32 v238 /*v494*/, v112 /*v368*/, v217 /*v473*/
	s_set_vgpr_msb 0x44                     ;  msbs: dst=1 src0=0 src1=1 src2=0
	v_mul_i32_i24_e32 v183 /*v439*/, v121, v226 /*v482*/
	s_set_vgpr_msb 20                       ;  msbs: dst=0 src0=0 src1=1 src2=1
	v_add3_u32 v8, v8, v232 /*v488*/, v233 /*v489*/
	v_add3_u32 v3, v3, v239 /*v495*/, v240 /*v496*/
	;; [unrolled: 8-line block ×3, first 2 shown]
	v_mul_lo_u32 v14, v14, v55 /*v311*/
	s_set_vgpr_msb 0x44                     ;  msbs: dst=1 src0=0 src1=1 src2=0
	v_mul_i32_i24_e32 v187 /*v443*/, v91, v5 /*v261*/
	v_mul_i32_i24_e32 v222 /*v478*/, v93, v6 /*v262*/
	s_set_vgpr_msb 20                       ;  msbs: dst=0 src0=0 src1=1 src2=1
	v_add3_u32 v8, v8, v236 /*v492*/, v237 /*v493*/
	v_add3_u32 v3, v3, v179 /*v435*/, v182 /*v438*/
	s_set_vgpr_msb 64                       ;  msbs: dst=1 src0=0 src1=0 src2=0
	v_mul_i32_i24_e32 v182 /*v438*/, v173, v43
	s_set_vgpr_msb 0x44                     ;  msbs: dst=1 src0=0 src1=1 src2=0
	v_pk_fma_f32 v[178:179] /*v[434:435]*/, v[126:127], v[190:191] /*v[446:447]*/, 0 op_sel_hi:[0,1,0]
	s_set_vgpr_msb 0x41                     ;  msbs: dst=1 src0=1 src1=0 src2=0
	v_mul_i32_i24_e32 v223 /*v479*/, v8 /*v264*/, v148
	s_set_vgpr_msb 20                       ;  msbs: dst=0 src0=0 src1=1 src2=1
	v_add3_u32 v8, v8, v238 /*v494*/, v239 /*v495*/
	v_mul_lo_u32 v3, v3, v55 /*v311*/
	s_set_vgpr_msb 0x41                     ;  msbs: dst=1 src0=1 src1=0 src2=0
	v_mul_i32_i24_e32 v227 /*v483*/, v7 /*v263*/, v149
	s_set_vgpr_msb 0                        ;  msbs: dst=0 src0=0 src1=0 src2=0
	v_cvt_f32_i32_e32 v14, v14
	s_set_vgpr_msb 0x41                     ;  msbs: dst=1 src0=1 src1=0 src2=0
	v_mul_i32_i24_e32 v228 /*v484*/, v10 /*v266*/, v150
	s_set_vgpr_msb 20                       ;  msbs: dst=0 src0=0 src1=1 src2=1
	v_add3_u32 v8, v8, v240 /*v496*/, v243 /*v499*/
	s_set_vgpr_msb 0x41                     ;  msbs: dst=1 src0=1 src1=0 src2=0
	v_mul_i32_i24_e32 v229 /*v485*/, v9 /*v265*/, v151
	v_mul_i32_i24_e32 v230 /*v486*/, v12 /*v268*/, v152
	;; [unrolled: 1-line block ×6, first 2 shown]
	s_set_vgpr_msb 0                        ;  msbs: dst=0 src0=0 src1=0 src2=0
	v_cvt_f32_i32_e32 v15, v3
	s_set_vgpr_msb 1                        ;  msbs: dst=0 src0=1 src1=0 src2=0
	v_mul_i32_i24_e32 v3, v221 /*v477*/, v174
	s_set_vgpr_msb 0x41                     ;  msbs: dst=1 src0=1 src1=0 src2=0
	v_mul_i32_i24_e32 v235 /*v491*/, v15 /*v271*/, v157
	s_set_vgpr_msb 0x44                     ;  msbs: dst=1 src0=0 src1=1 src2=0
	v_mul_i32_i24_e32 v236 /*v492*/, v158, v21 /*v277*/
	v_mul_i32_i24_e32 v237 /*v493*/, v159, v23 /*v279*/
	s_set_vgpr_msb 1                        ;  msbs: dst=0 src0=1 src1=0 src2=0
	v_pk_fma_f32 v[14:15], v[188:189] /*v[444:445]*/, v[14:15], 0 op_sel_hi:[1,1,0]
	s_set_vgpr_msb 4                        ;  msbs: dst=0 src0=0 src1=1 src2=0
	v_add3_u32 v3, v8, v244 /*v500*/, v3
	s_set_vgpr_msb 21                       ;  msbs: dst=0 src0=1 src1=1 src2=1
	v_add3_u32 v8, v176 /*v432*/, v181 /*v437*/, v183 /*v439*/
	s_set_vgpr_msb 0x44                     ;  msbs: dst=1 src0=0 src1=1 src2=0
	v_mul_i32_i24_e32 v181 /*v437*/, v76, v1 /*v257*/
	v_mul_i32_i24_e32 v183 /*v439*/, v80, v3 /*v259*/
	s_set_vgpr_msb 0x45                     ;  msbs: dst=1 src0=1 src1=1 src2=0
	v_mul_i32_i24_e32 v238 /*v494*/, v45 /*v301*/, v198 /*v454*/
	s_set_vgpr_msb 20                       ;  msbs: dst=0 src0=0 src1=1 src2=1
	v_add3_u32 v3, v3, v182 /*v438*/, v186 /*v442*/
	s_set_vgpr_msb 0                        ;  msbs: dst=0 src0=0 src1=0 src2=0
	v_mul_lo_u32 v8, v8, v175
	s_set_vgpr_msb 0x44                     ;  msbs: dst=1 src0=0 src1=1 src2=0
	v_mul_i32_i24_e32 v182 /*v438*/, v78, v2 /*v258*/
	v_mul_i32_i24_e32 v186 /*v442*/, v82, v4 /*v260*/
	s_set_vgpr_msb 0x45                     ;  msbs: dst=1 src0=1 src1=1 src2=0
	v_mul_i32_i24_e32 v239 /*v495*/, v220 /*v476*/, v47 /*v303*/
	s_set_vgpr_msb 0                        ;  msbs: dst=0 src0=0 src1=0 src2=0
	v_mul_lo_u32 v3, v3, v175
	v_mul_i32_i24_e32 v76, v208, v154
	s_set_vgpr_msb 64                       ;  msbs: dst=1 src0=0 src1=0 src2=0
	v_cvt_f32_i32_e32 v176 /*v432*/, v8
	s_set_vgpr_msb 0                        ;  msbs: dst=0 src0=0 src1=0 src2=0
	v_mul_i32_i24_e32 v8, v61, v247
	s_set_vgpr_msb 64                       ;  msbs: dst=1 src0=0 src1=0 src2=0
	s_delay_alu instid0(VALU_DEP_4) | instskip(SKIP_3) | instid1(VALU_DEP_2)
	v_cvt_f32_i32_e32 v177 /*v433*/, v3
	s_set_vgpr_msb 0                        ;  msbs: dst=0 src0=0 src1=0 src2=0
	v_mul_i32_i24_e32 v3, v58, v246
	s_set_vgpr_msb 5                        ;  msbs: dst=0 src0=1 src1=1 src2=0
	v_pk_fma_f32 v[14:15], v[192:193] /*v[448:449]*/, v[176:177] /*v[432:433]*/, v[14:15]
	s_set_vgpr_msb 0x54                     ;  msbs: dst=1 src0=0 src1=1 src2=1
	v_pk_fma_f32 v[176:177] /*v[432:433]*/, v[120:121], v[184:185] /*v[440:441]*/, v[178:179] /*v[434:435]*/ op_sel_hi:[0,1,1]
	s_set_vgpr_msb 0                        ;  msbs: dst=0 src0=0 src1=0 src2=0
	v_mad_i32_i24 v3, v60, v245, v3
	s_set_vgpr_msb 64                       ;  msbs: dst=1 src0=0 src1=0 src2=0
	v_mul_i32_i24_e32 v178 /*v434*/, v70, v254
	v_mul_i32_i24_e32 v179 /*v435*/, v72, v255
	s_set_vgpr_msb 0x41                     ;  msbs: dst=1 src0=1 src1=0 src2=0
	v_pk_mul_f32 v[176:177] /*v[432:433]*/, v[176:177] /*v[432:433]*/, v[106:107]
	s_set_vgpr_msb 16                       ;  msbs: dst=0 src0=0 src1=0 src2=1
	s_delay_alu instid0(VALU_DEP_1)
	v_pk_fma_f32 v[14:15], v[14:15], v[98:99], v[176:177] /*v[432:433]*/ neg_lo:[0,0,1] neg_hi:[0,0,1]
	s_set_vgpr_msb 64                       ;  msbs: dst=1 src0=0 src1=0 src2=0
	v_mul_i32_i24_e32 v176 /*v432*/, v68, v252
	v_mul_i32_i24_e32 v177 /*v433*/, v69, v253
	s_set_vgpr_msb 0                        ;  msbs: dst=0 src0=0 src1=0 src2=0
	v_pk_add_f32 v[36:37], v[36:37], v[14:15]
	v_mul_i32_i24_e32 v14, v62, v248
	v_mul_i32_i24_e32 v15, v66, v251
	s_delay_alu instid0(VALU_DEP_2) | instskip(SKIP_2) | instid1(VALU_DEP_1)
	v_add3_u32 v3, v3, v8, v14
	v_mul_i32_i24_e32 v8, v64, v249
	v_mul_i32_i24_e32 v14, v65, v250
	v_add3_u32 v3, v3, v8, v14
	s_set_vgpr_msb 4                        ;  msbs: dst=0 src0=0 src1=1 src2=0
	v_mul_i32_i24_e32 v8, v161, v19 /*v275*/
	v_mul_i32_i24_e32 v14, v163, v16 /*v272*/
	s_set_vgpr_msb 16                       ;  msbs: dst=0 src0=0 src1=0 src2=1
	v_add3_u32 v3, v3, v15, v176 /*v432*/
	s_set_vgpr_msb 5                        ;  msbs: dst=0 src0=1 src1=1 src2=0
	v_mul_i32_i24_e32 v15, v200 /*v456*/, v22 /*v278*/
	s_set_vgpr_msb 4                        ;  msbs: dst=0 src0=0 src1=1 src2=0
	v_mad_i32_i24 v8, v162, v18 /*v274*/, v8
	s_set_vgpr_msb 0x45                     ;  msbs: dst=1 src0=1 src1=1 src2=0
	v_mul_i32_i24_e32 v176 /*v432*/, v203 /*v459*/, v20 /*v276*/
	s_set_vgpr_msb 20                       ;  msbs: dst=0 src0=0 src1=1 src2=1
	v_add3_u32 v3, v3, v177 /*v433*/, v178 /*v434*/
	s_set_vgpr_msb 0x45                     ;  msbs: dst=1 src0=1 src1=1 src2=0
	v_mul_i32_i24_e32 v177 /*v433*/, v204 /*v460*/, v27 /*v283*/
	s_set_vgpr_msb 0                        ;  msbs: dst=0 src0=0 src1=0 src2=0
	v_add3_u32 v8, v8, v14, v15
	s_set_vgpr_msb 5                        ;  msbs: dst=0 src0=1 src1=1 src2=0
	v_mul_i32_i24_e32 v14, v201 /*v457*/, v24 /*v280*/
	v_mul_i32_i24_e32 v15, v202 /*v458*/, v25 /*v281*/
	s_set_vgpr_msb 20                       ;  msbs: dst=0 src0=0 src1=1 src2=1
	v_add3_u32 v3, v3, v179 /*v435*/, v180 /*v436*/
	s_set_vgpr_msb 0x45                     ;  msbs: dst=1 src0=1 src1=1 src2=0
	v_mul_i32_i24_e32 v178 /*v434*/, v205 /*v461*/, v28 /*v284*/
	v_mul_i32_i24_e32 v179 /*v435*/, v206 /*v462*/, v29 /*v285*/
	;; [unrolled: 1-line block ×3, first 2 shown]
	s_set_vgpr_msb 0                        ;  msbs: dst=0 src0=0 src1=0 src2=0
	v_add3_u32 v8, v8, v14, v15
	s_set_vgpr_msb 20                       ;  msbs: dst=0 src0=0 src1=1 src2=1
	v_add3_u32 v3, v3, v181 /*v437*/, v182 /*v438*/
	s_set_vgpr_msb 0x45                     ;  msbs: dst=1 src0=1 src1=1 src2=0
	v_mul_i32_i24_e32 v181 /*v437*/, v194 /*v450*/, v31 /*v287*/
	v_mul_i32_i24_e32 v182 /*v438*/, v208 /*v464*/, v32 /*v288*/
	s_set_vgpr_msb 0                        ;  msbs: dst=0 src0=0 src1=0 src2=0
	v_mul_i32_i24_e32 v14, v160, v244
	s_set_vgpr_msb 20                       ;  msbs: dst=0 src0=0 src1=1 src2=1
	v_add3_u32 v8, v8, v176 /*v432*/, v177 /*v433*/
	v_add3_u32 v3, v3, v183 /*v439*/, v186 /*v442*/
	s_set_vgpr_msb 0x45                     ;  msbs: dst=1 src0=1 src1=1 src2=0
	v_mul_i32_i24_e32 v183 /*v439*/, v209 /*v465*/, v33 /*v289*/
	v_mul_i32_i24_e32 v186 /*v442*/, v210 /*v466*/, v30 /*v286*/
	s_set_vgpr_msb 0x44                     ;  msbs: dst=1 src0=0 src1=1 src2=0
	v_mul_i32_i24_e32 v177 /*v433*/, v243, v224 /*v480*/
	s_set_vgpr_msb 20                       ;  msbs: dst=0 src0=0 src1=1 src2=1
	v_add3_u32 v8, v8, v178 /*v434*/, v179 /*v435*/
	v_add3_u32 v3, v3, v187 /*v443*/, v222 /*v478*/
	s_set_vgpr_msb 0x45                     ;  msbs: dst=1 src0=1 src1=1 src2=0
	v_mul_i32_i24_e32 v187 /*v443*/, v195 /*v451*/, v34 /*v290*/
	v_mul_i32_i24_e32 v222 /*v478*/, v35 /*v291*/, v211 /*v467*/
	s_set_vgpr_msb 0                        ;  msbs: dst=0 src0=0 src1=0 src2=0
	v_mul_i32_i24_e32 v15, v243, v7
	s_set_vgpr_msb 20                       ;  msbs: dst=0 src0=0 src1=1 src2=1
	v_add3_u32 v8, v8, v180 /*v436*/, v181 /*v437*/
	v_add3_u32 v3, v3, v223 /*v479*/, v227 /*v483*/
	s_set_vgpr_msb 0x45                     ;  msbs: dst=1 src0=1 src1=1 src2=0
	v_mul_i32_i24_e32 v223 /*v479*/, v36 /*v292*/, v212 /*v468*/
	v_mul_i32_i24_e32 v227 /*v483*/, v38 /*v294*/, v213 /*v469*/
	s_set_vgpr_msb 0x44                     ;  msbs: dst=1 src0=0 src1=1 src2=0
	v_mul_i32_i24_e32 v178 /*v434*/, v113, v226 /*v482*/
	s_set_vgpr_msb 20                       ;  msbs: dst=0 src0=0 src1=1 src2=1
	v_add3_u32 v8, v8, v182 /*v438*/, v183 /*v439*/
	v_add3_u32 v3, v3, v228 /*v484*/, v229 /*v485*/
	s_set_vgpr_msb 0x45                     ;  msbs: dst=1 src0=1 src1=1 src2=0
	v_mul_i32_i24_e32 v228 /*v484*/, v37 /*v293*/, v196 /*v452*/
	v_mul_i32_i24_e32 v229 /*v485*/, v39 /*v295*/, v214 /*v470*/
	s_set_vgpr_msb 0x44                     ;  msbs: dst=1 src0=0 src1=1 src2=0
	v_mul_i32_i24_e32 v179 /*v435*/, v113, v199 /*v455*/
	s_set_vgpr_msb 20                       ;  msbs: dst=0 src0=0 src1=1 src2=1
	v_add3_u32 v8, v8, v186 /*v442*/, v187 /*v443*/
	v_add3_u32 v3, v3, v230 /*v486*/, v231 /*v487*/
	s_set_vgpr_msb 0x45                     ;  msbs: dst=1 src0=1 src1=1 src2=0
	v_mul_i32_i24_e32 v230 /*v486*/, v40 /*v296*/, v215 /*v471*/
	v_mul_i32_i24_e32 v231 /*v487*/, v42 /*v298*/, v216 /*v472*/
	s_set_vgpr_msb 16                       ;  msbs: dst=0 src0=0 src1=0 src2=1
	v_add3_u32 v10, v10, v12, v178 /*v434*/
	s_set_vgpr_msb 20                       ;  msbs: dst=0 src0=0 src1=1 src2=1
	v_add3_u32 v8, v8, v222 /*v478*/, v223 /*v479*/
	v_add3_u32 v3, v3, v232 /*v488*/, v233 /*v489*/
	s_set_vgpr_msb 0x45                     ;  msbs: dst=1 src0=1 src1=1 src2=0
	v_mul_i32_i24_e32 v232 /*v488*/, v41 /*v297*/, v197 /*v453*/
	v_mul_i32_i24_e32 v233 /*v489*/, v43 /*v299*/, v217 /*v473*/
	s_set_vgpr_msb 0                        ;  msbs: dst=0 src0=0 src1=0 src2=0
	v_mul_lo_u32 v10, v10, v119
	s_set_vgpr_msb 20                       ;  msbs: dst=0 src0=0 src1=1 src2=1
	v_add3_u32 v8, v8, v227 /*v483*/, v228 /*v484*/
	v_add3_u32 v3, v3, v234 /*v490*/, v235 /*v491*/
	s_set_vgpr_msb 0x45                     ;  msbs: dst=1 src0=1 src1=1 src2=0
	v_mul_i32_i24_e32 v234 /*v490*/, v44 /*v300*/, v218 /*v474*/
	v_mul_i32_i24_e32 v235 /*v491*/, v46 /*v302*/, v219 /*v475*/
	s_set_vgpr_msb 0                        ;  msbs: dst=0 src0=0 src1=0 src2=0
	v_mul_i32_i24_e32 v7, v181, v7
	s_set_vgpr_msb 20                       ;  msbs: dst=0 src0=0 src1=1 src2=1
	v_add3_u32 v8, v8, v229 /*v485*/, v230 /*v486*/
	v_add3_u32 v3, v3, v236 /*v492*/, v237 /*v493*/
	s_delay_alu instid0(VALU_DEP_2) | instskip(SKIP_1) | instid1(VALU_DEP_2)
	v_add3_u32 v8, v8, v231 /*v487*/, v232 /*v488*/
	s_set_vgpr_msb 16                       ;  msbs: dst=0 src0=0 src1=0 src2=1
	v_add3_u32 v3, v3, v14, v177 /*v433*/
	s_set_vgpr_msb 64                       ;  msbs: dst=1 src0=0 src1=0 src2=0
	v_mul_i32_i24_e32 v177 /*v433*/, v115, v43
	s_set_vgpr_msb 0                        ;  msbs: dst=0 src0=0 src1=0 src2=0
	v_cvt_f32_i32_e32 v12, v10
	v_mul_i32_i24_e32 v10, v66, v189
	s_set_vgpr_msb 20                       ;  msbs: dst=0 src0=0 src1=1 src2=1
	v_add3_u32 v8, v8, v233 /*v489*/, v234 /*v490*/
	s_set_vgpr_msb 0                        ;  msbs: dst=0 src0=0 src1=0 src2=0
	v_mul_lo_u32 v3, v3, v242
	v_mul_i32_i24_e32 v66, v202, v148
	s_set_vgpr_msb 4                        ;  msbs: dst=0 src0=0 src1=1 src2=0
	v_mul_i32_i24_e32 v148, v239, v198 /*v454*/
	s_set_vgpr_msb 0x54                     ;  msbs: dst=1 src0=0 src1=1 src2=1
	v_add3_u32 v176 /*v432*/, v8, v235 /*v491*/, v238 /*v494*/
	s_set_vgpr_msb 0                        ;  msbs: dst=0 src0=0 src1=0 src2=0
	v_mul_i32_i24_e32 v8, v4, v244
	v_mul_i32_i24_e32 v4, v4, v182
	s_delay_alu instid0(VALU_DEP_2)
	v_add3_u32 v8, v9, v8, v15
	v_cvt_f32_i32_e32 v9, v3
	s_set_vgpr_msb 1                        ;  msbs: dst=0 src0=1 src1=0 src2=0
	v_mul_i32_i24_e32 v3, v221 /*v477*/, v117
	s_set_vgpr_msb 4                        ;  msbs: dst=0 src0=0 src1=1 src2=0
	v_pk_fma_f32 v[14:15], v[112:113], v[190:191] /*v[446:447]*/, 0 op_sel_hi:[0,1,0]
	s_set_vgpr_msb 0                        ;  msbs: dst=0 src0=0 src1=0 src2=0
	v_add3_u32 v1, v1, v4, v7
	v_mul_lo_u32 v8, v8, v242
	s_set_vgpr_msb 4                        ;  msbs: dst=0 src0=0 src1=1 src2=0
	v_mul_i32_i24_e32 v7, v177, v225 /*v481*/
	s_set_vgpr_msb 5                        ;  msbs: dst=0 src0=1 src1=1 src2=0
	v_add3_u32 v3, v176 /*v432*/, v239 /*v495*/, v3
	s_set_vgpr_msb 4                        ;  msbs: dst=0 src0=0 src1=1 src2=0
	v_pk_fma_f32 v[4:5], v[118:119], v[190:191] /*v[446:447]*/, 0 op_sel_hi:[0,1,0]
	s_set_vgpr_msb 0                        ;  msbs: dst=0 src0=0 src1=0 src2=0
	v_mul_lo_u32 v1, v1, v180
	s_set_vgpr_msb 20                       ;  msbs: dst=0 src0=0 src1=1 src2=1
	v_add3_u32 v3, v3, v177 /*v433*/, v179 /*v435*/
	v_cvt_f32_i32_e32 v8, v8
	s_set_vgpr_msb 0                        ;  msbs: dst=0 src0=0 src1=0 src2=0
	s_delay_alu instid0(VALU_DEP_2) | instskip(SKIP_1) | instid1(VALU_DEP_2)
	v_mul_lo_u32 v3, v3, v119
	s_set_vgpr_msb 1                        ;  msbs: dst=0 src0=1 src1=0 src2=0
	v_pk_fma_f32 v[8:9], v[188:189] /*v[444:445]*/, v[8:9], 0 op_sel_hi:[1,1,0]
	s_set_vgpr_msb 0                        ;  msbs: dst=0 src0=0 src1=0 src2=0
	s_delay_alu instid0(VALU_DEP_2)
	v_cvt_f32_i32_e32 v13, v3
	v_mul_i32_i24_e32 v3, v58, v184
	v_mul_i32_i24_e32 v58, v74, v194
	;; [unrolled: 1-line block ×3, first 2 shown]
	s_set_vgpr_msb 1                        ;  msbs: dst=0 src0=1 src1=0 src2=0
	v_pk_fma_f32 v[8:9], v[192:193] /*v[448:449]*/, v[12:13], v[8:9]
	s_set_vgpr_msb 4                        ;  msbs: dst=0 src0=0 src1=1 src2=0
	v_pk_fma_f32 v[12:13], v[114:115], v[184:185] /*v[440:441]*/, v[14:15] op_sel_hi:[0,1,1]
	s_set_vgpr_msb 0                        ;  msbs: dst=0 src0=0 src1=0 src2=0
	v_mad_i32_i24 v3, v60, v183, v3
	v_mul_i32_i24_e32 v14, v70, v192
	v_mul_i32_i24_e32 v15, v72, v193
	;; [unrolled: 1-line block ×3, first 2 shown]
	v_pk_mul_f32 v[12:13], v[12:13], v[108:109]
	v_mul_i32_i24_e32 v70, v203, v151
	v_mul_i32_i24_e32 v72, v206, v152
	;; [unrolled: 1-line block ×3, first 2 shown]
	s_delay_alu instid0(VALU_DEP_4)
	v_pk_fma_f32 v[8:9], v[8:9], v[100:101], v[12:13] neg_lo:[0,0,1] neg_hi:[0,0,1]
	v_mul_i32_i24_e32 v12, v68, v190
	v_mul_i32_i24_e32 v13, v69, v191
	;; [unrolled: 1-line block ×4, first 2 shown]
	v_pk_add_f32 v[34:35], v[34:35], v[8:9]
	v_mul_i32_i24_e32 v8, v61, v185
	v_mul_i32_i24_e32 v9, v62, v186
	;; [unrolled: 1-line block ×6, first 2 shown]
	v_add3_u32 v3, v3, v8, v9
	v_mul_i32_i24_e32 v8, v64, v187
	v_mul_i32_i24_e32 v9, v65, v188
	;; [unrolled: 1-line block ×6, first 2 shown]
	v_add3_u32 v3, v3, v8, v9
	v_mul_i32_i24_e32 v8, v161, v213
	v_mul_i32_i24_e32 v9, v163, v210
	s_set_vgpr_msb 1                        ;  msbs: dst=0 src0=1 src1=0 src2=0
	v_mul_i32_i24_e32 v149, v220 /*v476*/, v241
	s_set_vgpr_msb 0                        ;  msbs: dst=0 src0=0 src1=0 src2=0
	v_add3_u32 v3, v3, v10, v12
	s_set_vgpr_msb 1                        ;  msbs: dst=0 src0=1 src1=0 src2=0
	v_mul_i32_i24_e32 v10, v200 /*v456*/, v216
	s_set_vgpr_msb 0                        ;  msbs: dst=0 src0=0 src1=0 src2=0
	v_mad_i32_i24 v8, v162, v212, v8
	s_set_vgpr_msb 1                        ;  msbs: dst=0 src0=1 src1=0 src2=0
	v_mul_i32_i24_e32 v12, v203 /*v459*/, v214
	s_set_vgpr_msb 0                        ;  msbs: dst=0 src0=0 src1=0 src2=0
	v_add3_u32 v3, v3, v13, v14
	s_set_vgpr_msb 1                        ;  msbs: dst=0 src0=1 src1=0 src2=0
	v_mul_i32_i24_e32 v13, v204 /*v460*/, v221
	s_set_vgpr_msb 0                        ;  msbs: dst=0 src0=0 src1=0 src2=0
	v_add3_u32 v8, v8, v9, v10
	s_set_vgpr_msb 1                        ;  msbs: dst=0 src0=1 src1=0 src2=0
	v_mul_i32_i24_e32 v9, v201 /*v457*/, v218
	v_mul_i32_i24_e32 v10, v202 /*v458*/, v219
	s_set_vgpr_msb 0                        ;  msbs: dst=0 src0=0 src1=0 src2=0
	v_add3_u32 v3, v3, v15, v58
	s_set_vgpr_msb 1                        ;  msbs: dst=0 src0=1 src1=0 src2=0
	v_mul_i32_i24_e32 v14, v205 /*v461*/, v222
	v_mul_i32_i24_e32 v15, v206 /*v462*/, v223
	;; [unrolled: 1-line block ×3, first 2 shown]
	s_set_vgpr_msb 0                        ;  msbs: dst=0 src0=0 src1=0 src2=0
	v_add3_u32 v8, v8, v9, v10
	v_add3_u32 v3, v3, v59, v60
	s_set_vgpr_msb 1                        ;  msbs: dst=0 src0=1 src1=0 src2=0
	v_mul_i32_i24_e32 v59, v194 /*v450*/, v225
	v_mul_i32_i24_e32 v60, v208 /*v464*/, v226
	s_set_vgpr_msb 0                        ;  msbs: dst=0 src0=0 src1=0 src2=0
	v_mul_i32_i24_e32 v9, v160, v182
	v_add3_u32 v8, v8, v12, v13
	v_add3_u32 v3, v3, v61, v62
	s_set_vgpr_msb 1                        ;  msbs: dst=0 src0=1 src1=0 src2=0
	v_mul_i32_i24_e32 v61, v209 /*v465*/, v227
	v_mul_i32_i24_e32 v62, v210 /*v466*/, v224
	s_set_vgpr_msb 4                        ;  msbs: dst=0 src0=0 src1=1 src2=0
	v_mul_i32_i24_e32 v10, v181, v224 /*v480*/
	s_set_vgpr_msb 0                        ;  msbs: dst=0 src0=0 src1=0 src2=0
	v_add3_u32 v8, v8, v14, v15
	v_add3_u32 v3, v3, v64, v65
	s_set_vgpr_msb 1                        ;  msbs: dst=0 src0=1 src1=0 src2=0
	v_mul_i32_i24_e32 v64, v195 /*v451*/, v228
	s_set_vgpr_msb 4                        ;  msbs: dst=0 src0=0 src1=1 src2=0
	v_mul_i32_i24_e32 v65, v229, v211 /*v467*/
	v_mul_i32_i24_e32 v12, v176, v199 /*v455*/
	s_set_vgpr_msb 0                        ;  msbs: dst=0 src0=0 src1=0 src2=0
	v_add3_u32 v8, v8, v58, v59
	v_add3_u32 v3, v3, v66, v68
	s_set_vgpr_msb 4                        ;  msbs: dst=0 src0=0 src1=1 src2=0
	v_mul_i32_i24_e32 v66, v230, v212 /*v468*/
	v_mul_i32_i24_e32 v68, v232, v213 /*v469*/
	s_set_vgpr_msb 0                        ;  msbs: dst=0 src0=0 src1=0 src2=0
	v_add3_u32 v8, v8, v60, v61
	v_add3_u32 v3, v3, v69, v70
	;; [unrolled: 6-line block ×6, first 2 shown]
	s_delay_alu instid0(VALU_DEP_2) | instskip(NEXT) | instid1(VALU_DEP_2)
	v_add3_u32 v8, v8, v74, v76
	v_add3_u32 v2, v2, v9, v10
	v_mul_i32_i24_e32 v9, v177, v43
	s_set_vgpr_msb 4                        ;  msbs: dst=0 src0=0 src1=1 src2=0
	v_mul_i32_i24_e32 v10, v176, v226 /*v482*/
	s_set_vgpr_msb 0                        ;  msbs: dst=0 src0=0 src1=0 src2=0
	v_add3_u32 v8, v8, v78, v80
	v_mul_lo_u32 v2, v2, v180
	s_delay_alu instid0(VALU_DEP_3) | instskip(NEXT) | instid1(VALU_DEP_3)
	v_add3_u32 v0, v0, v7, v10
	v_add3_u32 v8, v8, v82, v148
	s_delay_alu instid0(VALU_DEP_2) | instskip(NEXT) | instid1(VALU_DEP_4)
	v_mul_lo_u32 v0, v0, v179
	v_cvt_f32_i32_e32 v3, v2
	v_cvt_f32_i32_e32 v2, v1
	s_set_vgpr_msb 1                        ;  msbs: dst=0 src0=1 src1=0 src2=0
	v_mul_i32_i24_e32 v1, v221 /*v477*/, v178
	s_delay_alu instid0(VALU_DEP_2) | instskip(SKIP_1) | instid1(VALU_DEP_2)
	v_pk_fma_f32 v[2:3], v[188:189] /*v[444:445]*/, v[2:3], 0 op_sel_hi:[1,1,0]
	s_set_vgpr_msb 0                        ;  msbs: dst=0 src0=0 src1=0 src2=0
	v_add3_u32 v1, v8, v149, v1
	v_cvt_f32_i32_e32 v0, v0
	s_delay_alu instid0(VALU_DEP_2) | instskip(NEXT) | instid1(VALU_DEP_1)
	v_add3_u32 v1, v1, v9, v12
	v_mul_lo_u32 v1, v1, v179
	s_delay_alu instid0(VALU_DEP_1) | instskip(SKIP_1) | instid1(VALU_DEP_1)
	v_cvt_f32_i32_e32 v1, v1
	s_set_vgpr_msb 1                        ;  msbs: dst=0 src0=1 src1=0 src2=0
	v_pk_fma_f32 v[0:1], v[192:193] /*v[448:449]*/, v[0:1], v[2:3]
	s_set_vgpr_msb 4                        ;  msbs: dst=0 src0=0 src1=1 src2=0
	v_pk_fma_f32 v[2:3], v[116:117], v[184:185] /*v[440:441]*/, v[4:5] op_sel_hi:[0,1,1]
	s_set_vgpr_msb 0                        ;  msbs: dst=0 src0=0 src1=0 src2=0
	s_delay_alu instid0(VALU_DEP_1) | instskip(NEXT) | instid1(VALU_DEP_1)
	v_pk_mul_f32 v[2:3], v[2:3], v[110:111]
	v_pk_fma_f32 v[0:1], v[0:1], v[102:103], v[2:3] neg_lo:[0,0,1] neg_hi:[0,0,1]
	s_delay_alu instid0(VALU_DEP_1) | instskip(SKIP_1) | instid1(VALU_DEP_1)
	v_pk_add_f32 v[32:33], v[32:33], v[0:1]
	v_or_b32_e32 v0, s5, v140
	v_dual_lshlrev_b32 v1, 2, v0 :: v_dual_lshrrev_b32 v8, 1, v0
	ds_load_b128 v[10:13], v1 offset:16896
	ds_load_b128 v[4:7], v1 offset:16912
	s_set_vgpr_msb 64                       ;  msbs: dst=1 src0=0 src1=0 src2=0
	ds_load_b128 v[176:179] /*v[432:435]*/, v1 offset:16928
	s_set_vgpr_msb 0                        ;  msbs: dst=0 src0=0 src1=0 src2=0
	ds_load_b128 v[0:3], v1 offset:16944
	s_wait_dscnt 0x3
	v_bfe_i32 v43, v10, 0, 8
	v_bfe_i32 v58, v10, 8, 8
	;; [unrolled: 1-line block ×3, first 2 shown]
	v_ashrrev_i32_e32 v61, 24, v10
	s_wait_dscnt 0x0
	s_set_vgpr_msb 64                       ;  msbs: dst=1 src0=0 src1=0 src2=0
	v_bfe_i32 v196 /*v452*/, v1, 0, 8
	v_bfe_i32 v197 /*v453*/, v1, 8, 8
	;; [unrolled: 1-line block ×3, first 2 shown]
	v_dual_ashrrev_i32 v199 /*v455*/, 24, v1 :: v_dual_ashrrev_i32 v203 /*v459*/, 24, v2
	s_set_vgpr_msb 4                        ;  msbs: dst=0 src0=0 src1=1 src2=0
	v_mul_i32_i24_e32 v1, v43, v118 /*v374*/
	v_bfe_i32 v62, v11, 0, 8
	v_bfe_i32 v64, v11, 8, 8
	;; [unrolled: 1-line block ×3, first 2 shown]
	s_set_vgpr_msb 0                        ;  msbs: dst=0 src0=0 src1=0 src2=0
	v_ashrrev_i32_e32 v11, 24, v11
	s_set_vgpr_msb 64                       ;  msbs: dst=1 src0=0 src1=0 src2=0
	v_bfe_i32 v200 /*v456*/, v2, 0, 8
	v_bfe_i32 v201 /*v457*/, v2, 8, 8
	v_bfe_i32 v202 /*v458*/, v2, 16, 8
	s_set_vgpr_msb 4                        ;  msbs: dst=0 src0=0 src1=1 src2=0
	v_mul_i32_i24_e32 v2, v60, v119 /*v375*/
	v_mul_i32_i24_e32 v9, v61, v120 /*v376*/
	v_mad_i32_i24 v1, v58, v117 /*v373*/, v1
	v_bfe_i32 v66, v12, 0, 8
	v_bfe_i32 v68, v12, 8, 8
	;; [unrolled: 1-line block ×3, first 2 shown]
	s_set_vgpr_msb 0                        ;  msbs: dst=0 src0=0 src1=0 src2=0
	v_dual_ashrrev_i32 v70, 24, v12 :: v_dual_ashrrev_i32 v78, 24, v13
	v_add3_u32 v1, v1, v2, v9
	s_set_vgpr_msb 4                        ;  msbs: dst=0 src0=0 src1=1 src2=0
	v_mul_i32_i24_e32 v2, v62, v121 /*v377*/
	v_mul_i32_i24_e32 v9, v64, v122 /*v378*/
	v_mul_i32_i24_e32 v10, v65, v123 /*v379*/
	v_mul_i32_i24_e32 v12, v11, v124 /*v380*/
	v_bfe_i32 v72, v13, 0, 8
	v_bfe_i32 v74, v13, 8, 8
	s_set_vgpr_msb 0                        ;  msbs: dst=0 src0=0 src1=0 src2=0
	v_add3_u32 v1, v1, v2, v9
	v_bfe_i32 v76, v13, 16, 8
	s_set_vgpr_msb 4                        ;  msbs: dst=0 src0=0 src1=1 src2=0
	v_mul_i32_i24_e32 v13, v66, v125 /*v381*/
	v_mul_i32_i24_e32 v14, v68, v126 /*v382*/
	;; [unrolled: 1-line block ×3, first 2 shown]
	s_set_vgpr_msb 0                        ;  msbs: dst=0 src0=0 src1=0 src2=0
	v_add3_u32 v1, v1, v10, v12
	s_set_vgpr_msb 4                        ;  msbs: dst=0 src0=0 src1=1 src2=0
	v_mul_i32_i24_e32 v59, v70, v128 /*v384*/
	s_set_vgpr_msb 1                        ;  msbs: dst=0 src0=1 src1=0 src2=0
	v_bfe_i32 v156, v176 /*v432*/, 0, 8
	v_bfe_i32 v157, v176 /*v432*/, 8, 8
	;; [unrolled: 1-line block ×3, first 2 shown]
	s_set_vgpr_msb 0                        ;  msbs: dst=0 src0=0 src1=0 src2=0
	v_add3_u32 v1, v1, v13, v14
	s_set_vgpr_msb 4                        ;  msbs: dst=0 src0=0 src1=1 src2=0
	v_ashrrev_i32_e32 v159, 24, v176 /*v432*/
	s_set_vgpr_msb 1                        ;  msbs: dst=0 src0=1 src1=0 src2=0
	v_bfe_i32 v160, v177 /*v433*/, 0, 8
	v_bfe_i32 v161, v177 /*v433*/, 8, 8
	;; [unrolled: 1-line block ×3, first 2 shown]
	s_set_vgpr_msb 4                        ;  msbs: dst=0 src0=0 src1=1 src2=0
	v_ashrrev_i32_e32 v163, 24, v177 /*v433*/
	s_set_vgpr_msb 0x44                     ;  msbs: dst=1 src0=0 src1=1 src2=0
	v_mul_i32_i24_e32 v176 /*v432*/, v72, v129 /*v385*/
	v_mul_i32_i24_e32 v177 /*v433*/, v74, v130 /*v386*/
	s_set_vgpr_msb 0                        ;  msbs: dst=0 src0=0 src1=0 src2=0
	v_add3_u32 v1, v1, v15, v59
	v_bfe_i32 v80, v4, 0, 8
	v_bfe_i32 v82, v4, 8, 8
	s_set_vgpr_msb 0x44                     ;  msbs: dst=1 src0=0 src1=1 src2=0
	v_mul_i32_i24_e32 v180 /*v436*/, v76, v131 /*v387*/
	v_mul_i32_i24_e32 v181 /*v437*/, v78, v132 /*v388*/
	s_set_vgpr_msb 20                       ;  msbs: dst=0 src0=0 src1=1 src2=1
	v_add3_u32 v1, v1, v176 /*v432*/, v177 /*v433*/
	v_bfe_i32 v91, v4, 16, 8
	s_set_vgpr_msb 0                        ;  msbs: dst=0 src0=0 src1=0 src2=0
	v_ashrrev_i32_e32 v93, 24, v4
	s_set_vgpr_msb 0x44                     ;  msbs: dst=1 src0=0 src1=1 src2=0
	v_mul_i32_i24_e32 v182 /*v438*/, v80, v133 /*v389*/
	v_mul_i32_i24_e32 v183 /*v439*/, v82, v134 /*v390*/
	s_set_vgpr_msb 20                       ;  msbs: dst=0 src0=0 src1=1 src2=1
	v_add3_u32 v1, v1, v180 /*v436*/, v181 /*v437*/
	v_bfe_i32 v148, v5, 0, 8
	v_bfe_i32 v149, v5, 8, 8
	;; [unrolled: 1-line block ×3, first 2 shown]
	s_set_vgpr_msb 0                        ;  msbs: dst=0 src0=0 src1=0 src2=0
	v_ashrrev_i32_e32 v5, 24, v5
	s_set_vgpr_msb 0x41                     ;  msbs: dst=1 src0=1 src1=0 src2=0
	v_mul_i32_i24_e32 v205 /*v461*/, v136 /*v392*/, v91
	v_mul_i32_i24_e32 v206 /*v462*/, v135 /*v391*/, v93
	s_set_vgpr_msb 20                       ;  msbs: dst=0 src0=0 src1=1 src2=1
	v_add3_u32 v1, v1, v182 /*v438*/, v183 /*v439*/
	s_set_vgpr_msb 0x41                     ;  msbs: dst=1 src0=1 src1=0 src2=0
	v_mul_i32_i24_e32 v207 /*v463*/, v138 /*v394*/, v148
	v_mul_i32_i24_e32 v208 /*v464*/, v137 /*v393*/, v149
	s_set_vgpr_msb 20                       ;  msbs: dst=0 src0=0 src1=1 src2=1
	v_bfe_i32 v151, v6, 0, 8
	v_bfe_i32 v152, v6, 8, 8
	v_add3_u32 v1, v1, v205 /*v461*/, v206 /*v462*/
	s_set_vgpr_msb 0x41                     ;  msbs: dst=1 src0=1 src1=0 src2=0
	v_mul_i32_i24_e32 v209 /*v465*/, v140 /*v396*/, v150
	v_mul_i32_i24_e32 v210 /*v466*/, v139 /*v395*/, v5
	s_set_vgpr_msb 0                        ;  msbs: dst=0 src0=0 src1=0 src2=0
	v_bfe_i32 v153, v6, 16, 8
	v_ashrrev_i32_e32 v6, 24, v6
	s_set_vgpr_msb 20                       ;  msbs: dst=0 src0=0 src1=1 src2=1
	v_add3_u32 v1, v1, v207 /*v463*/, v208 /*v464*/
	s_set_vgpr_msb 0x41                     ;  msbs: dst=1 src0=1 src1=0 src2=0
	v_mul_i32_i24_e32 v211 /*v467*/, v148 /*v404*/, v151
	v_mul_i32_i24_e32 v212 /*v468*/, v141 /*v397*/, v152
	;; [unrolled: 1-line block ×4, first 2 shown]
	s_set_vgpr_msb 20                       ;  msbs: dst=0 src0=0 src1=1 src2=1
	v_add3_u32 v1, v1, v209 /*v465*/, v210 /*v466*/
	s_set_vgpr_msb 1                        ;  msbs: dst=0 src0=1 src1=0 src2=0
	v_mul_i32_i24_e32 v2, v156 /*v412*/, v158
	v_mul_i32_i24_e32 v9, v150 /*v406*/, v159
	s_set_vgpr_msb 0x41                     ;  msbs: dst=1 src0=1 src1=0 src2=0
	v_bfe_i32 v184 /*v440*/, v178 /*v434*/, 0, 8
	v_bfe_i32 v185 /*v441*/, v178 /*v434*/, 8, 8
	s_set_vgpr_msb 20                       ;  msbs: dst=0 src0=0 src1=1 src2=1
	v_add3_u32 v1, v1, v211 /*v467*/, v212 /*v468*/
	s_set_vgpr_msb 1                        ;  msbs: dst=0 src0=1 src1=0 src2=0
	v_mul_i32_i24_e32 v10, v158 /*v414*/, v162
	v_mul_i32_i24_e32 v12, v142 /*v398*/, v163
	s_set_vgpr_msb 0x41                     ;  msbs: dst=1 src0=1 src1=0 src2=0
	v_bfe_i32 v186 /*v442*/, v178 /*v434*/, 16, 8
	s_set_vgpr_msb 0x54                     ;  msbs: dst=1 src0=0 src1=1 src2=1
	v_ashrrev_i32_e32 v187 /*v443*/, 24, v178 /*v434*/
	v_add3_u32 v181 /*v437*/, v1, v213 /*v469*/, v214 /*v470*/
	s_set_vgpr_msb 1                        ;  msbs: dst=0 src0=1 src1=0 src2=0
	v_mul_i32_i24_e32 v1, v157 /*v413*/, v156
	s_set_vgpr_msb 5                        ;  msbs: dst=0 src0=1 src1=1 src2=0
	v_mul_i32_i24_e32 v13, v163 /*v419*/, v184 /*v440*/
	v_mul_i32_i24_e32 v14, v162 /*v418*/, v185 /*v441*/
	s_set_vgpr_msb 0x41                     ;  msbs: dst=1 src0=1 src1=0 src2=0
	v_bfe_i32 v188 /*v444*/, v179 /*v435*/, 0, 8
	v_bfe_i32 v189 /*v445*/, v179 /*v435*/, 8, 8
	s_set_vgpr_msb 1                        ;  msbs: dst=0 src0=1 src1=0 src2=0
	v_mad_i32_i24 v1, v155 /*v411*/, v157, v1
	s_set_vgpr_msb 5                        ;  msbs: dst=0 src0=1 src1=1 src2=0
	v_mul_i32_i24_e32 v15, v161 /*v417*/, v186 /*v442*/
	v_mul_i32_i24_e32 v59, v143 /*v399*/, v187 /*v443*/
	s_set_vgpr_msb 0x41                     ;  msbs: dst=1 src0=1 src1=0 src2=0
	v_bfe_i32 v190 /*v446*/, v179 /*v435*/, 16, 8
	s_set_vgpr_msb 0x44                     ;  msbs: dst=1 src0=0 src1=1 src2=0
	v_ashrrev_i32_e32 v191 /*v447*/, 24, v179 /*v435*/
	s_set_vgpr_msb 0                        ;  msbs: dst=0 src0=0 src1=0 src2=0
	v_add3_u32 v1, v1, v2, v9
	s_set_vgpr_msb 1                        ;  msbs: dst=0 src0=1 src1=0 src2=0
	v_mul_i32_i24_e32 v2, v160 /*v416*/, v160
	v_mul_i32_i24_e32 v9, v159 /*v415*/, v161
	s_set_vgpr_msb 0x45                     ;  msbs: dst=1 src0=1 src1=1 src2=0
	v_mul_i32_i24_e32 v176 /*v432*/, v166 /*v422*/, v188 /*v444*/
	v_mul_i32_i24_e32 v177 /*v433*/, v165 /*v421*/, v189 /*v445*/
	s_set_vgpr_msb 64                       ;  msbs: dst=1 src0=0 src1=0 src2=0
	v_bfe_i32 v192 /*v448*/, v0, 0, 8
	v_bfe_i32 v193 /*v449*/, v0, 8, 8
	s_set_vgpr_msb 0                        ;  msbs: dst=0 src0=0 src1=0 src2=0
	v_add3_u32 v1, v1, v2, v9
	s_set_vgpr_msb 0x45                     ;  msbs: dst=1 src0=1 src1=1 src2=0
	v_mul_i32_i24_e32 v180 /*v436*/, v164 /*v420*/, v190 /*v446*/
	v_mul_i32_i24_e32 v183 /*v439*/, v144 /*v400*/, v191 /*v447*/
	s_set_vgpr_msb 64                       ;  msbs: dst=1 src0=0 src1=0 src2=0
	v_bfe_i32 v194 /*v450*/, v0, 16, 8
	v_ashrrev_i32_e32 v195 /*v451*/, 24, v0
	s_set_vgpr_msb 0                        ;  msbs: dst=0 src0=0 src1=0 src2=0
	v_add3_u32 v1, v1, v10, v12
	s_set_vgpr_msb 0x45                     ;  msbs: dst=1 src0=1 src1=1 src2=0
	v_mul_i32_i24_e32 v205 /*v461*/, v169 /*v425*/, v192 /*v448*/
	v_mul_i32_i24_e32 v206 /*v462*/, v168 /*v424*/, v193 /*v449*/
	v_mul_i32_i24_e32 v207 /*v463*/, v167 /*v423*/, v194 /*v450*/
	v_mul_i32_i24_e32 v208 /*v464*/, v145 /*v401*/, v195 /*v451*/
	s_set_vgpr_msb 0                        ;  msbs: dst=0 src0=0 src1=0 src2=0
	v_add3_u32 v1, v1, v13, v14
	s_set_vgpr_msb 0x45                     ;  msbs: dst=1 src0=1 src1=1 src2=0
	v_mul_i32_i24_e32 v209 /*v465*/, v172 /*v428*/, v196 /*v452*/
	v_mul_i32_i24_e32 v210 /*v466*/, v171 /*v427*/, v197 /*v453*/
	v_mul_i32_i24_e32 v211 /*v467*/, v170 /*v426*/, v198 /*v454*/
	v_mul_i32_i24_e32 v212 /*v468*/, v146 /*v402*/, v199 /*v455*/
	s_set_vgpr_msb 0                        ;  msbs: dst=0 src0=0 src1=0 src2=0
	v_add3_u32 v1, v1, v15, v59
	s_set_vgpr_msb 0x45                     ;  msbs: dst=1 src0=1 src1=1 src2=0
	v_mul_i32_i24_e32 v213 /*v469*/, v175 /*v431*/, v200 /*v456*/
	v_mul_i32_i24_e32 v214 /*v470*/, v174 /*v430*/, v201 /*v457*/
	v_mul_i32_i24_e32 v215 /*v471*/, v173 /*v429*/, v202 /*v458*/
	v_mul_i32_i24_e32 v216 /*v472*/, v147 /*v403*/, v203 /*v459*/
	s_set_vgpr_msb 20                       ;  msbs: dst=0 src0=0 src1=1 src2=1
	v_add3_u32 v1, v1, v176 /*v432*/, v177 /*v433*/
	v_mul_i32_i24_e32 v2, v60, v60 /*v316*/
	v_mul_i32_i24_e32 v9, v61, v61 /*v317*/
	;; [unrolled: 1-line block ×4, first 2 shown]
	v_add3_u32 v1, v1, v180 /*v436*/, v183 /*v439*/
	v_mul_i32_i24_e32 v13, v66, v66 /*v322*/
	v_mul_i32_i24_e32 v59, v68, v67 /*v323*/
	s_set_vgpr_msb 0x44                     ;  msbs: dst=1 src0=0 src1=1 src2=0
	v_mul_i32_i24_e32 v176 /*v432*/, v69, v68 /*v324*/
	v_mul_i32_i24_e32 v177 /*v433*/, v70, v69 /*v325*/
	s_set_vgpr_msb 20                       ;  msbs: dst=0 src0=0 src1=1 src2=1
	v_add3_u32 v1, v1, v205 /*v461*/, v206 /*v462*/
	s_set_vgpr_msb 0x44                     ;  msbs: dst=1 src0=0 src1=1 src2=0
	v_mul_i32_i24_e32 v180 /*v436*/, v72, v70 /*v326*/
	v_mul_i32_i24_e32 v205 /*v461*/, v74, v71 /*v327*/
	v_mul_i32_i24_e32 v206 /*v462*/, v76, v72 /*v328*/
	s_set_vgpr_msb 0x41                     ;  msbs: dst=1 src0=1 src1=0 src2=0
	v_mul_i32_i24_e32 v217 /*v473*/, v82 /*v338*/, v152
	s_set_vgpr_msb 20                       ;  msbs: dst=0 src0=0 src1=1 src2=1
	v_add3_u32 v1, v1, v207 /*v463*/, v208 /*v464*/
	s_set_vgpr_msb 0x44                     ;  msbs: dst=1 src0=0 src1=1 src2=0
	v_mul_i32_i24_e32 v207 /*v463*/, v78, v73 /*v329*/
	v_mul_i32_i24_e32 v208 /*v464*/, v80, v74 /*v330*/
	s_set_vgpr_msb 0x41                     ;  msbs: dst=1 src0=1 src1=0 src2=0
	v_mul_i32_i24_e32 v218 /*v474*/, v86 /*v342*/, v153
	v_mul_i32_i24_e32 v219 /*v475*/, v84 /*v340*/, v6
	s_set_vgpr_msb 20                       ;  msbs: dst=0 src0=0 src1=1 src2=1
	v_add3_u32 v1, v1, v209 /*v465*/, v210 /*v466*/
	s_set_vgpr_msb 0x44                     ;  msbs: dst=1 src0=0 src1=1 src2=0
	v_mul_i32_i24_e32 v209 /*v465*/, v82, v75 /*v331*/
	s_set_vgpr_msb 0x41                     ;  msbs: dst=1 src0=1 src1=0 src2=0
	v_mul_i32_i24_e32 v210 /*v466*/, v77 /*v333*/, v91
	s_set_vgpr_msb 0x45                     ;  msbs: dst=1 src0=1 src1=1 src2=0
	v_mul_i32_i24_e32 v220 /*v476*/, v115 /*v371*/, v202 /*v458*/
	v_mul_i32_i24_e32 v221 /*v477*/, v114 /*v370*/, v203 /*v459*/
	s_set_vgpr_msb 20                       ;  msbs: dst=0 src0=0 src1=1 src2=1
	v_add3_u32 v1, v1, v211 /*v467*/, v212 /*v468*/
	s_set_vgpr_msb 0x41                     ;  msbs: dst=1 src0=1 src1=0 src2=0
	v_mul_i32_i24_e32 v211 /*v467*/, v76 /*v332*/, v93
	v_mul_i32_i24_e32 v212 /*v468*/, v79 /*v335*/, v148
	;; [unrolled: 1-line block ×4, first 2 shown]
	s_set_vgpr_msb 20                       ;  msbs: dst=0 src0=0 src1=1 src2=1
	v_add3_u32 v1, v1, v213 /*v469*/, v214 /*v470*/
	s_set_vgpr_msb 0x41                     ;  msbs: dst=1 src0=1 src1=0 src2=0
	v_mul_i32_i24_e32 v213 /*v469*/, v78 /*v334*/, v149
	v_mul_i32_i24_e32 v214 /*v470*/, v81 /*v337*/, v150
	;; [unrolled: 1-line block ×3, first 2 shown]
	s_set_vgpr_msb 0x45                     ;  msbs: dst=1 src0=1 src1=1 src2=0
	v_mul_i32_i24_e32 v225 /*v481*/, v46 /*v302*/, v202 /*v458*/
	s_set_vgpr_msb 0x54                     ;  msbs: dst=1 src0=0 src1=1 src2=1
	v_add3_u32 v183 /*v439*/, v1, v215 /*v471*/, v216 /*v472*/
	s_set_vgpr_msb 4                        ;  msbs: dst=0 src0=0 src1=1 src2=0
	v_mul_i32_i24_e32 v1, v43, v59 /*v315*/
	s_set_vgpr_msb 0x41                     ;  msbs: dst=1 src0=1 src1=0 src2=0
	v_mul_i32_i24_e32 v215 /*v471*/, v80 /*v336*/, v5
	v_mul_i32_i24_e32 v216 /*v472*/, v83 /*v339*/, v151
	s_set_vgpr_msb 0x45                     ;  msbs: dst=1 src0=1 src1=1 src2=0
	v_mul_i32_i24_e32 v226 /*v482*/, v45 /*v301*/, v203 /*v459*/
	s_set_vgpr_msb 0                        ;  msbs: dst=0 src0=0 src1=0 src2=0
	v_mul_i32_i24_e32 v6, v209, v6
	s_set_vgpr_msb 4                        ;  msbs: dst=0 src0=0 src1=1 src2=0
	v_mad_i32_i24 v1, v58, v58 /*v314*/, v1
	v_bfe_i32 v154, v7, 0, 8
	v_bfe_i32 v155, v7, 8, 8
	s_set_vgpr_msb 64                       ;  msbs: dst=1 src0=0 src1=0 src2=0
	v_bfe_i32 v204 /*v460*/, v3, 0, 8
	s_set_vgpr_msb 0                        ;  msbs: dst=0 src0=0 src1=0 src2=0
	v_bfe_i32 v4, v7, 16, 8
	v_add3_u32 v1, v1, v2, v9
	s_set_vgpr_msb 4                        ;  msbs: dst=0 src0=0 src1=1 src2=0
	v_mul_i32_i24_e32 v2, v62, v62 /*v318*/
	v_mul_i32_i24_e32 v9, v64, v63 /*v319*/
	s_set_vgpr_msb 0x44                     ;  msbs: dst=1 src0=0 src1=1 src2=0
	v_mul_i32_i24_e32 v178 /*v434*/, v154, v153 /*v409*/
	v_mul_i32_i24_e32 v179 /*v435*/, v155, v154 /*v410*/
	s_set_vgpr_msb 4                        ;  msbs: dst=0 src0=0 src1=1 src2=0
	v_mul_i32_i24_e32 v14, v154, v90 /*v346*/
	v_mul_i32_i24_e32 v15, v155, v92 /*v348*/
	s_set_vgpr_msb 0                        ;  msbs: dst=0 src0=0 src1=0 src2=0
	v_add3_u32 v1, v1, v2, v9
	s_set_vgpr_msb 4                        ;  msbs: dst=0 src0=0 src1=1 src2=0
	v_mul_i32_i24_e32 v2, v158, v85 /*v341*/
	v_mul_i32_i24_e32 v9, v159, v91 /*v347*/
	s_set_vgpr_msb 0x45                     ;  msbs: dst=1 src0=1 src1=1 src2=0
	v_mul_i32_i24_e32 v182 /*v438*/, v204 /*v460*/, v151 /*v407*/
	s_set_vgpr_msb 0                        ;  msbs: dst=0 src0=0 src1=0 src2=0
	v_bfe_i32 v0, v3, 8, 8
	v_add3_u32 v1, v1, v10, v12
	s_set_vgpr_msb 4                        ;  msbs: dst=0 src0=0 src1=1 src2=0
	v_mul_i32_i24_e32 v10, v162, v89 /*v345*/
	v_mul_i32_i24_e32 v12, v163, v96 /*v352*/
	s_set_vgpr_msb 0                        ;  msbs: dst=0 src0=0 src1=0 src2=0
	v_ashrrev_i32_e32 v7, 24, v7
	s_set_vgpr_msb 0x55                     ;  msbs: dst=1 src0=1 src1=1 src2=1
	v_add3_u32 v178 /*v434*/, v181 /*v437*/, v178 /*v434*/, v179 /*v435*/
	s_set_vgpr_msb 0                        ;  msbs: dst=0 src0=0 src1=0 src2=0
	v_add3_u32 v1, v1, v13, v59
	s_set_vgpr_msb 5                        ;  msbs: dst=0 src0=1 src1=1 src2=0
	v_mul_i32_i24_e32 v13, v184 /*v440*/, v97 /*v353*/
	v_mul_i32_i24_e32 v59, v185 /*v441*/, v98 /*v354*/
	s_set_vgpr_msb 20                       ;  msbs: dst=0 src0=0 src1=1 src2=1
	v_add3_u32 v1, v1, v176 /*v432*/, v177 /*v433*/
	s_set_vgpr_msb 0x45                     ;  msbs: dst=1 src0=1 src1=1 src2=0
	v_mul_i32_i24_e32 v177 /*v433*/, v204 /*v460*/, v116 /*v372*/
	s_set_vgpr_msb 20                       ;  msbs: dst=0 src0=0 src1=1 src2=1
	s_delay_alu instid0(VALU_DEP_2)
	v_add3_u32 v1, v1, v180 /*v436*/, v205 /*v461*/
	s_set_vgpr_msb 0x45                     ;  msbs: dst=1 src0=1 src1=1 src2=0
	v_mul_i32_i24_e32 v180 /*v436*/, v186 /*v442*/, v95 /*v351*/
	v_mul_i32_i24_e32 v205 /*v461*/, v187 /*v443*/, v100 /*v356*/
	s_set_vgpr_msb 20                       ;  msbs: dst=0 src0=0 src1=1 src2=1
	v_add3_u32 v1, v1, v206 /*v462*/, v207 /*v463*/
	s_set_vgpr_msb 0x45                     ;  msbs: dst=1 src0=1 src1=1 src2=0
	v_mul_i32_i24_e32 v206 /*v462*/, v188 /*v444*/, v101 /*v357*/
	v_mul_i32_i24_e32 v207 /*v463*/, v189 /*v445*/, v102 /*v358*/
	s_set_vgpr_msb 20                       ;  msbs: dst=0 src0=0 src1=1 src2=1
	;; [unrolled: 5-line block ×6, first 2 shown]
	v_add3_u32 v1, v1, v216 /*v472*/, v217 /*v473*/
	s_set_vgpr_msb 0x45                     ;  msbs: dst=1 src0=1 src1=1 src2=0
	v_mul_i32_i24_e32 v216 /*v472*/, v111 /*v367*/, v198 /*v454*/
	v_mul_i32_i24_e32 v217 /*v473*/, v110 /*v366*/, v199 /*v455*/
	s_set_vgpr_msb 0x54                     ;  msbs: dst=1 src0=0 src1=1 src2=1
	v_add3_u32 v176 /*v432*/, v1, v218 /*v474*/, v219 /*v475*/
	s_set_vgpr_msb 4                        ;  msbs: dst=0 src0=0 src1=1 src2=0
	v_mul_i32_i24_e32 v1, v156, v88 /*v344*/
	s_set_vgpr_msb 0x45                     ;  msbs: dst=1 src0=1 src1=1 src2=0
	v_mul_i32_i24_e32 v218 /*v474*/, v112 /*v368*/, v200 /*v456*/
	v_mul_i32_i24_e32 v219 /*v475*/, v113 /*v369*/, v201 /*v457*/
	s_set_vgpr_msb 1                        ;  msbs: dst=0 src0=1 src1=0 src2=0
	v_add3_u32 v14, v176 /*v432*/, v14, v15
	s_set_vgpr_msb 4                        ;  msbs: dst=0 src0=0 src1=1 src2=0
	v_mad_i32_i24 v1, v157, v87 /*v343*/, v1
	s_set_vgpr_msb 64                       ;  msbs: dst=1 src0=0 src1=0 src2=0
	v_mul_i32_i24_e32 v176 /*v432*/, v0, v174
	s_set_vgpr_msb 0                        ;  msbs: dst=0 src0=0 src1=0 src2=0
	s_delay_alu instid0(VALU_DEP_2) | instskip(SKIP_4) | instid1(VALU_DEP_1)
	v_add3_u32 v1, v1, v2, v9
	s_set_vgpr_msb 4                        ;  msbs: dst=0 src0=0 src1=1 src2=0
	v_mul_i32_i24_e32 v2, v160, v93 /*v349*/
	v_mul_i32_i24_e32 v9, v161, v94 /*v350*/
	s_set_vgpr_msb 0                        ;  msbs: dst=0 src0=0 src1=0 src2=0
	v_add3_u32 v1, v1, v2, v9
	v_mul_i32_i24_e32 v2, v60, v247
	v_mul_i32_i24_e32 v9, v61, v248
	s_delay_alu instid0(VALU_DEP_3)
	v_add3_u32 v1, v1, v10, v12
	v_mul_i32_i24_e32 v12, v64, v250
	s_set_vgpr_msb 4                        ;  msbs: dst=0 src0=0 src1=1 src2=0
	v_mul_i32_i24_e32 v10, v155, v23 /*v279*/
	s_set_vgpr_msb 0                        ;  msbs: dst=0 src0=0 src1=0 src2=0
	v_add3_u32 v1, v1, v13, v59
	v_mul_i32_i24_e32 v13, v65, v251
	v_mul_i32_i24_e32 v59, v11, v252
	;; [unrolled: 1-line block ×3, first 2 shown]
	s_set_vgpr_msb 20                       ;  msbs: dst=0 src0=0 src1=1 src2=1
	v_add3_u32 v1, v1, v180 /*v436*/, v205 /*v461*/
	s_set_vgpr_msb 64                       ;  msbs: dst=1 src0=0 src1=0 src2=0
	v_mul_i32_i24_e32 v205 /*v461*/, v66, v253
	s_set_vgpr_msb 20                       ;  msbs: dst=0 src0=0 src1=1 src2=1
	s_delay_alu instid0(VALU_DEP_2)
	v_add3_u32 v1, v1, v206 /*v462*/, v207 /*v463*/
	s_set_vgpr_msb 64                       ;  msbs: dst=1 src0=0 src1=0 src2=0
	v_mul_i32_i24_e32 v206 /*v462*/, v68, v254
	v_mul_i32_i24_e32 v207 /*v463*/, v69, v255
	s_set_vgpr_msb 20                       ;  msbs: dst=0 src0=0 src1=1 src2=1
	v_add3_u32 v1, v1, v208 /*v464*/, v209 /*v465*/
	s_set_vgpr_msb 0x44                     ;  msbs: dst=1 src0=0 src1=1 src2=0
	v_mul_i32_i24_e32 v208 /*v464*/, v70, v0 /*v256*/
	v_mul_i32_i24_e32 v209 /*v465*/, v72, v1 /*v257*/
	s_set_vgpr_msb 20                       ;  msbs: dst=0 src0=0 src1=1 src2=1
	v_add3_u32 v1, v1, v210 /*v466*/, v211 /*v467*/
	s_set_vgpr_msb 0x44                     ;  msbs: dst=1 src0=0 src1=1 src2=0
	v_mul_i32_i24_e32 v210 /*v466*/, v74, v2 /*v258*/
	v_mul_i32_i24_e32 v211 /*v467*/, v76, v3 /*v259*/
	;; [unrolled: 5-line block ×3, first 2 shown]
	s_set_vgpr_msb 20                       ;  msbs: dst=0 src0=0 src1=1 src2=1
	v_add3_u32 v1, v1, v214 /*v470*/, v215 /*v471*/
	s_set_vgpr_msb 0x44                     ;  msbs: dst=1 src0=0 src1=1 src2=0
	v_mul_i32_i24_e32 v214 /*v470*/, v82, v6 /*v262*/
	s_set_vgpr_msb 0x41                     ;  msbs: dst=1 src0=1 src1=0 src2=0
	v_mul_i32_i24_e32 v215 /*v471*/, v8 /*v264*/, v91
	s_set_vgpr_msb 20                       ;  msbs: dst=0 src0=0 src1=1 src2=1
	v_add3_u32 v1, v1, v216 /*v472*/, v217 /*v473*/
	s_set_vgpr_msb 0x41                     ;  msbs: dst=1 src0=1 src1=0 src2=0
	v_mul_i32_i24_e32 v216 /*v472*/, v7 /*v263*/, v93
	v_mul_i32_i24_e32 v217 /*v473*/, v10 /*v266*/, v148
	s_set_vgpr_msb 20                       ;  msbs: dst=0 src0=0 src1=1 src2=1
	v_add3_u32 v1, v1, v218 /*v474*/, v219 /*v475*/
	s_set_vgpr_msb 0x41                     ;  msbs: dst=1 src0=1 src1=0 src2=0
	v_mul_i32_i24_e32 v218 /*v474*/, v9 /*v265*/, v149
	v_mul_i32_i24_e32 v219 /*v475*/, v12 /*v268*/, v150
	s_set_vgpr_msb 0x54                     ;  msbs: dst=1 src0=0 src1=1 src2=1
	v_add3_u32 v180 /*v436*/, v1, v220 /*v476*/, v221 /*v477*/
	s_set_vgpr_msb 0                        ;  msbs: dst=0 src0=0 src1=0 src2=0
	v_mul_i32_i24_e32 v1, v43, v246
	s_set_vgpr_msb 0x41                     ;  msbs: dst=1 src0=1 src1=0 src2=0
	v_mul_i32_i24_e32 v220 /*v476*/, v11 /*v267*/, v5
	v_mul_i32_i24_e32 v221 /*v477*/, v14 /*v270*/, v151
	s_set_vgpr_msb 0                        ;  msbs: dst=0 src0=0 src1=0 src2=0
	v_mul_i32_i24_e32 v5, v205, v5
	s_set_vgpr_msb 0x55                     ;  msbs: dst=1 src0=1 src1=1 src2=1
	v_add3_u32 v176 /*v432*/, v180 /*v436*/, v177 /*v433*/, v176 /*v432*/
	s_set_vgpr_msb 0                        ;  msbs: dst=0 src0=0 src1=0 src2=0
	v_mad_i32_i24 v1, v58, v245, v1
	s_delay_alu instid0(VALU_DEP_1) | instskip(SKIP_4) | instid1(VALU_DEP_2)
	v_add3_u32 v1, v1, v2, v9
	v_mul_i32_i24_e32 v2, v62, v249
	s_set_vgpr_msb 4                        ;  msbs: dst=0 src0=0 src1=1 src2=0
	v_mul_i32_i24_e32 v9, v154, v21 /*v277*/
	s_set_vgpr_msb 0                        ;  msbs: dst=0 src0=0 src1=0 src2=0
	v_add3_u32 v1, v1, v2, v12
	s_set_vgpr_msb 4                        ;  msbs: dst=0 src0=0 src1=1 src2=0
	v_mul_i32_i24_e32 v2, v158, v16 /*v272*/
	s_set_vgpr_msb 0                        ;  msbs: dst=0 src0=0 src1=0 src2=0
	s_delay_alu instid0(VALU_DEP_2) | instskip(SKIP_3) | instid1(VALU_DEP_3)
	v_add3_u32 v1, v1, v13, v59
	s_set_vgpr_msb 20                       ;  msbs: dst=0 src0=0 src1=1 src2=1
	v_mul_i32_i24_e32 v13, v159, v22 /*v278*/
	v_mul_i32_i24_e32 v59, v161, v25 /*v281*/
	v_add3_u32 v1, v1, v205 /*v461*/, v206 /*v462*/
	s_set_vgpr_msb 0x44                     ;  msbs: dst=1 src0=0 src1=1 src2=0
	v_mul_i32_i24_e32 v205 /*v461*/, v162, v20 /*v276*/
	v_mul_i32_i24_e32 v206 /*v462*/, v163, v27 /*v283*/
	s_set_vgpr_msb 20                       ;  msbs: dst=0 src0=0 src1=1 src2=1
	v_add3_u32 v1, v1, v207 /*v463*/, v208 /*v464*/
	s_set_vgpr_msb 0x45                     ;  msbs: dst=1 src0=1 src1=1 src2=0
	v_mul_i32_i24_e32 v207 /*v463*/, v184 /*v440*/, v28 /*v284*/
	v_mul_i32_i24_e32 v208 /*v464*/, v185 /*v441*/, v29 /*v285*/
	s_set_vgpr_msb 20                       ;  msbs: dst=0 src0=0 src1=1 src2=1
	v_add3_u32 v1, v1, v209 /*v465*/, v210 /*v466*/
	s_set_vgpr_msb 0x45                     ;  msbs: dst=1 src0=1 src1=1 src2=0
	v_mul_i32_i24_e32 v209 /*v465*/, v186 /*v442*/, v26 /*v282*/
	v_mul_i32_i24_e32 v210 /*v466*/, v187 /*v443*/, v31 /*v287*/
	;; [unrolled: 5-line block ×8, first 2 shown]
	s_set_vgpr_msb 20                       ;  msbs: dst=0 src0=0 src1=1 src2=1
	v_add3_u32 v12, v1, v223 /*v479*/, v224 /*v480*/
	v_mul_i32_i24_e32 v1, v156, v19 /*v275*/
	s_set_vgpr_msb 0x45                     ;  msbs: dst=1 src0=1 src1=1 src2=0
	v_mul_i32_i24_e32 v223 /*v479*/, v43 /*v299*/, v200 /*v456*/
	v_mul_i32_i24_e32 v224 /*v480*/, v44 /*v300*/, v201 /*v457*/
	s_set_vgpr_msb 0                        ;  msbs: dst=0 src0=0 src1=0 src2=0
	v_add3_u32 v9, v12, v9, v10
	s_set_vgpr_msb 4                        ;  msbs: dst=0 src0=0 src1=1 src2=0
	v_mad_i32_i24 v1, v157, v18 /*v274*/, v1
	s_set_vgpr_msb 0                        ;  msbs: dst=0 src0=0 src1=0 src2=0
	v_mul_i32_i24_e32 v10, v0, v117
	s_delay_alu instid0(VALU_DEP_2)
	v_add3_u32 v1, v1, v2, v13
	s_set_vgpr_msb 4                        ;  msbs: dst=0 src0=0 src1=1 src2=0
	v_mul_i32_i24_e32 v2, v160, v24 /*v280*/
	s_set_vgpr_msb 5                        ;  msbs: dst=0 src0=1 src1=1 src2=0
	v_mul_i32_i24_e32 v13, v204 /*v460*/, v47 /*v303*/
	s_set_vgpr_msb 0                        ;  msbs: dst=0 src0=0 src1=0 src2=0
	s_delay_alu instid0(VALU_DEP_2)
	v_add3_u32 v1, v1, v2, v59
	v_mul_i32_i24_e32 v2, v60, v185
	v_mul_i32_i24_e32 v60, v64, v188
	;; [unrolled: 1-line block ×4, first 2 shown]
	s_set_vgpr_msb 20                       ;  msbs: dst=0 src0=0 src1=1 src2=1
	v_add3_u32 v1, v1, v205 /*v461*/, v206 /*v462*/
	s_set_vgpr_msb 0                        ;  msbs: dst=0 src0=0 src1=0 src2=0
	v_mul_i32_i24_e32 v72, v78, v198
	v_mul_i32_i24_e32 v78, v202, v91
	;; [unrolled: 1-line block ×4, first 2 shown]
	s_set_vgpr_msb 20                       ;  msbs: dst=0 src0=0 src1=1 src2=1
	v_add3_u32 v1, v1, v207 /*v463*/, v208 /*v464*/
	v_mul_i32_i24_e32 v152, v239, v203 /*v459*/
	s_delay_alu instid0(VALU_DEP_2) | instskip(NEXT) | instid1(VALU_DEP_1)
	v_add3_u32 v1, v1, v209 /*v465*/, v210 /*v466*/
	v_add3_u32 v1, v1, v211 /*v467*/, v212 /*v468*/
	s_delay_alu instid0(VALU_DEP_1) | instskip(NEXT) | instid1(VALU_DEP_1)
	v_add3_u32 v1, v1, v213 /*v469*/, v214 /*v470*/
	v_add3_u32 v1, v1, v215 /*v471*/, v216 /*v472*/
	s_delay_alu instid0(VALU_DEP_1) | instskip(NEXT) | instid1(VALU_DEP_1)
	;; [unrolled: 3-line block ×3, first 2 shown]
	v_add3_u32 v1, v1, v221 /*v477*/, v222 /*v478*/
	v_add3_u32 v1, v1, v223 /*v479*/, v224 /*v480*/
	s_delay_alu instid0(VALU_DEP_1)
	v_add3_u32 v59, v1, v225 /*v481*/, v226 /*v482*/
	s_set_vgpr_msb 0                        ;  msbs: dst=0 src0=0 src1=0 src2=0
	v_mul_i32_i24_e32 v1, v43, v184
	v_mul_i32_i24_e32 v43, v61, v186
	;; [unrolled: 1-line block ×5, first 2 shown]
	v_mad_i32_i24 v1, v58, v183, v1
	v_mul_i32_i24_e32 v58, v62, v187
	v_mul_i32_i24_e32 v62, v66, v191
	v_mul_i32_i24_e32 v66, v70, v194
	v_mul_i32_i24_e32 v70, v76, v197
	v_add3_u32 v43, v1, v2, v43
	v_mul_i32_i24_e32 v74, v80, v199
	v_mul_i32_i24_e32 v76, v82, v200
	v_mul_i32_i24_e32 v80, v201, v93
	v_mul_i32_i24_e32 v82, v204, v148
	v_add3_u32 v43, v43, v58, v60
	;; [unrolled: 5-line block ×3, first 2 shown]
	v_mul_i32_i24_e32 v43, v159, v216
	v_mul_i32_i24_e32 v60, v162, v214
	v_mul_i32_i24_e32 v61, v163, v221
	s_set_vgpr_msb 4                        ;  msbs: dst=0 src0=0 src1=1 src2=0
	v_mul_i32_i24_e32 v151, v240, v202 /*v458*/
	s_set_vgpr_msb 0                        ;  msbs: dst=0 src0=0 src1=0 src2=0
	v_add3_u32 v11, v11, v62, v64
	s_set_vgpr_msb 1                        ;  msbs: dst=0 src0=1 src1=0 src2=0
	v_mul_i32_i24_e32 v62, v184 /*v440*/, v222
	v_mul_i32_i24_e32 v64, v185 /*v441*/, v223
	s_set_vgpr_msb 0                        ;  msbs: dst=0 src0=0 src1=0 src2=0
	v_mul_i32_i24_e32 v1, v154, v215
	v_mul_i32_i24_e32 v2, v155, v217
	v_add3_u32 v11, v11, v65, v66
	s_set_vgpr_msb 1                        ;  msbs: dst=0 src0=1 src1=0 src2=0
	v_mul_i32_i24_e32 v65, v186 /*v442*/, v220
	v_mul_i32_i24_e32 v66, v187 /*v443*/, v225
	s_set_vgpr_msb 0                        ;  msbs: dst=0 src0=0 src1=0 src2=0
	v_add3_u32 v10, v59, v13, v10
	v_add3_u32 v11, v11, v68, v69
	s_set_vgpr_msb 1                        ;  msbs: dst=0 src0=1 src1=0 src2=0
	v_mul_i32_i24_e32 v68, v188 /*v444*/, v226
	v_mul_i32_i24_e32 v69, v189 /*v445*/, v227
	s_set_vgpr_msb 0                        ;  msbs: dst=0 src0=0 src1=0 src2=0
	v_add3_u32 v11, v11, v70, v72
	s_set_vgpr_msb 1                        ;  msbs: dst=0 src0=1 src1=0 src2=0
	v_mul_i32_i24_e32 v70, v190 /*v446*/, v224
	v_mul_i32_i24_e32 v72, v191 /*v447*/, v228
	s_set_vgpr_msb 0                        ;  msbs: dst=0 src0=0 src1=0 src2=0
	v_add3_u32 v11, v11, v74, v76
	s_set_vgpr_msb 4                        ;  msbs: dst=0 src0=0 src1=1 src2=0
	v_mul_i32_i24_e32 v74, v229, v192 /*v448*/
	v_mul_i32_i24_e32 v76, v230, v193 /*v449*/
	s_set_vgpr_msb 0                        ;  msbs: dst=0 src0=0 src1=0 src2=0
	v_add3_u32 v11, v11, v78, v80
	s_set_vgpr_msb 4                        ;  msbs: dst=0 src0=0 src1=1 src2=0
	v_mul_i32_i24_e32 v78, v232, v194 /*v450*/
	v_mul_i32_i24_e32 v80, v231, v195 /*v451*/
	;; [unrolled: 5-line block ×3, first 2 shown]
	s_set_vgpr_msb 0                        ;  msbs: dst=0 src0=0 src1=0 src2=0
	v_add3_u32 v5, v11, v93, v5
	v_mul_i32_i24_e32 v11, v158, v210
	s_set_vgpr_msb 4                        ;  msbs: dst=0 src0=0 src1=1 src2=0
	v_mul_i32_i24_e32 v93, v236, v198 /*v454*/
	s_set_vgpr_msb 0                        ;  msbs: dst=0 src0=0 src1=0 src2=0
	v_add3_u32 v5, v5, v148, v149
	s_set_vgpr_msb 4                        ;  msbs: dst=0 src0=0 src1=1 src2=0
	v_mul_i32_i24_e32 v148, v235, v199 /*v455*/
	v_mul_i32_i24_e32 v149, v237, v200 /*v456*/
	s_set_vgpr_msb 0                        ;  msbs: dst=0 src0=0 src1=0 src2=0
	v_add3_u32 v5, v5, v150, v6
	v_mul_i32_i24_e32 v6, v156, v213
	s_set_vgpr_msb 4                        ;  msbs: dst=0 src0=0 src1=1 src2=0
	v_mul_i32_i24_e32 v150, v238, v201 /*v457*/
	s_set_vgpr_msb 0                        ;  msbs: dst=0 src0=0 src1=0 src2=0
	v_add3_u32 v1, v5, v1, v2
	v_mad_i32_i24 v6, v157, v212, v6
	s_delay_alu instid0(VALU_DEP_1) | instskip(SKIP_4) | instid1(VALU_DEP_2)
	v_add3_u32 v11, v6, v11, v43
	v_mul_i32_i24_e32 v43, v160, v218
	s_set_vgpr_msb 1                        ;  msbs: dst=0 src0=1 src1=0 src2=0
	v_mul_i32_i24_e32 v6, v204 /*v460*/, v241
	s_set_vgpr_msb 0                        ;  msbs: dst=0 src0=0 src1=0 src2=0
	v_add3_u32 v11, v11, v43, v58
	v_or_b32_e32 v43, s5, v141
	s_delay_alu instid0(VALU_DEP_2) | instskip(NEXT) | instid1(VALU_DEP_2)
	v_add3_u32 v11, v11, v60, v61
	v_dual_lshlrev_b32 v58, 2, v43 :: v_dual_lshrrev_b32 v43, 1, v43
	s_set_vgpr_msb 64                       ;  msbs: dst=1 src0=0 src1=0 src2=0
	ds_load_b128 v[184:187] /*v[440:443]*/, v58 offset:16896
	ds_load_b128 v[188:191] /*v[444:447]*/, v58 offset:16912
	;; [unrolled: 1-line block ×4, first 2 shown]
	s_set_vgpr_msb 0                        ;  msbs: dst=0 src0=0 src1=0 src2=0
	v_add3_u32 v11, v11, v62, v64
	s_delay_alu instid0(VALU_DEP_1) | instskip(NEXT) | instid1(VALU_DEP_1)
	v_add3_u32 v11, v11, v65, v66
	v_add3_u32 v11, v11, v68, v69
	s_delay_alu instid0(VALU_DEP_1)
	v_add3_u32 v11, v11, v70, v72
	s_wait_dscnt 0x3
	s_set_vgpr_msb 1                        ;  msbs: dst=0 src0=1 src1=0 src2=0
	v_bfe_i32 v58, v184 /*v440*/, 0, 8
	v_bfe_i32 v60, v184 /*v440*/, 8, 8
	;; [unrolled: 1-line block ×3, first 2 shown]
	s_set_vgpr_msb 4                        ;  msbs: dst=0 src0=0 src1=1 src2=0
	v_ashrrev_i32_e32 v62, 24, v184 /*v440*/
	s_set_vgpr_msb 0                        ;  msbs: dst=0 src0=0 src1=0 src2=0
	v_add3_u32 v11, v11, v74, v76
	s_set_vgpr_msb 0x44                     ;  msbs: dst=1 src0=0 src1=1 src2=0
	v_mul_i32_i24_e32 v184 /*v440*/, v58, v118 /*v374*/
	s_set_vgpr_msb 1                        ;  msbs: dst=0 src0=1 src1=0 src2=0
	v_bfe_i32 v64, v185 /*v441*/, 0, 8
	v_bfe_i32 v65, v185 /*v441*/, 8, 8
	;; [unrolled: 1-line block ×3, first 2 shown]
	s_set_vgpr_msb 0                        ;  msbs: dst=0 src0=0 src1=0 src2=0
	v_add3_u32 v11, v11, v78, v80
	s_set_vgpr_msb 4                        ;  msbs: dst=0 src0=0 src1=1 src2=0
	v_dual_ashrrev_i32 v68, 24, v185 /*v441*/ :: v_dual_ashrrev_i32 v74, 24, v186 /*v442*/
	s_set_vgpr_msb 1                        ;  msbs: dst=0 src0=1 src1=0 src2=0
	v_bfe_i32 v69, v186 /*v442*/, 0, 8
	v_bfe_i32 v70, v186 /*v442*/, 8, 8
	s_set_vgpr_msb 0                        ;  msbs: dst=0 src0=0 src1=0 src2=0
	v_add3_u32 v11, v11, v82, v91
	s_set_vgpr_msb 1                        ;  msbs: dst=0 src0=1 src1=0 src2=0
	v_bfe_i32 v72, v186 /*v442*/, 16, 8
	s_set_vgpr_msb 0x54                     ;  msbs: dst=1 src0=0 src1=1 src2=1
	v_mul_i32_i24_e32 v185 /*v441*/, v61, v119 /*v375*/
	v_mul_i32_i24_e32 v186 /*v442*/, v62, v120 /*v376*/
	v_mad_i32_i24 v184 /*v440*/, v60, v117 /*v373*/, v184 /*v440*/
	s_set_vgpr_msb 0                        ;  msbs: dst=0 src0=0 src1=0 src2=0
	v_add3_u32 v11, v11, v93, v148
	s_set_vgpr_msb 1                        ;  msbs: dst=0 src0=1 src1=0 src2=0
	v_bfe_i32 v76, v187 /*v443*/, 0, 8
	v_bfe_i32 v78, v187 /*v443*/, 8, 8
	;; [unrolled: 1-line block ×3, first 2 shown]
	s_set_vgpr_msb 0x55                     ;  msbs: dst=1 src0=1 src1=1 src2=1
	v_add3_u32 v184 /*v440*/, v184 /*v440*/, v185 /*v441*/, v186 /*v442*/
	s_set_vgpr_msb 0x44                     ;  msbs: dst=1 src0=0 src1=1 src2=0
	v_mul_i32_i24_e32 v185 /*v441*/, v64, v121 /*v377*/
	v_mul_i32_i24_e32 v186 /*v442*/, v65, v122 /*v378*/
	s_set_vgpr_msb 0                        ;  msbs: dst=0 src0=0 src1=0 src2=0
	v_add3_u32 v11, v11, v149, v150
	s_wait_dscnt 0x2
	s_set_vgpr_msb 4                        ;  msbs: dst=0 src0=0 src1=1 src2=0
	v_dual_ashrrev_i32 v82, 24, v187 /*v443*/ :: v_dual_ashrrev_i32 v149, 24, v188 /*v444*/
	s_set_vgpr_msb 1                        ;  msbs: dst=0 src0=1 src1=0 src2=0
	v_bfe_i32 v91, v188 /*v444*/, 0, 8
	v_bfe_i32 v93, v188 /*v444*/, 8, 8
	;; [unrolled: 1-line block ×3, first 2 shown]
	s_set_vgpr_msb 0x44                     ;  msbs: dst=1 src0=0 src1=1 src2=0
	v_mul_i32_i24_e32 v187 /*v443*/, v66, v123 /*v379*/
	v_mul_i32_i24_e32 v188 /*v444*/, v68, v124 /*v380*/
	s_set_vgpr_msb 0x55                     ;  msbs: dst=1 src0=1 src1=1 src2=1
	v_add3_u32 v184 /*v440*/, v184 /*v440*/, v185 /*v441*/, v186 /*v442*/
	s_set_vgpr_msb 0                        ;  msbs: dst=0 src0=0 src1=0 src2=0
	v_add3_u32 v11, v11, v151, v152
	s_set_vgpr_msb 1                        ;  msbs: dst=0 src0=1 src1=0 src2=0
	v_bfe_i32 v150, v189 /*v445*/, 0, 8
	v_bfe_i32 v151, v189 /*v445*/, 8, 8
	;; [unrolled: 1-line block ×3, first 2 shown]
	s_set_vgpr_msb 4                        ;  msbs: dst=0 src0=0 src1=1 src2=0
	v_dual_ashrrev_i32 v153, 24, v189 /*v445*/ :: v_dual_ashrrev_i32 v157, 24, v190 /*v446*/
	s_set_vgpr_msb 1                        ;  msbs: dst=0 src0=1 src1=0 src2=0
	v_bfe_i32 v154, v190 /*v446*/, 0, 8
	v_bfe_i32 v155, v190 /*v446*/, 8, 8
	;; [unrolled: 1-line block ×3, first 2 shown]
	s_set_vgpr_msb 0x44                     ;  msbs: dst=1 src0=0 src1=1 src2=0
	v_mul_i32_i24_e32 v189 /*v445*/, v69, v125 /*v381*/
	v_mul_i32_i24_e32 v190 /*v446*/, v70, v126 /*v382*/
	s_set_vgpr_msb 0x55                     ;  msbs: dst=1 src0=1 src1=1 src2=1
	v_add3_u32 v184 /*v440*/, v184 /*v440*/, v187 /*v443*/, v188 /*v444*/
	s_wait_dscnt 0x1
	s_set_vgpr_msb 1                        ;  msbs: dst=0 src0=1 src1=0 src2=0
	v_bfe_i32 v161, v192 /*v448*/, 0, 8
	v_bfe_i32 v162, v192 /*v448*/, 8, 8
	;; [unrolled: 1-line block ×3, first 2 shown]
	s_set_vgpr_msb 0x44                     ;  msbs: dst=1 src0=0 src1=1 src2=0
	v_ashrrev_i32_e32 v200 /*v456*/, 24, v192 /*v448*/
	s_set_vgpr_msb 0x41                     ;  msbs: dst=1 src0=1 src1=0 src2=0
	v_bfe_i32 v201 /*v457*/, v193 /*v449*/, 0, 8
	v_bfe_i32 v202 /*v458*/, v193 /*v449*/, 8, 8
	;; [unrolled: 1-line block ×3, first 2 shown]
	s_set_vgpr_msb 0x44                     ;  msbs: dst=1 src0=0 src1=1 src2=0
	v_ashrrev_i32_e32 v204 /*v460*/, 24, v193 /*v449*/
	v_mul_i32_i24_e32 v192 /*v448*/, v72, v127 /*v383*/
	v_mul_i32_i24_e32 v193 /*v449*/, v74, v128 /*v384*/
	s_set_vgpr_msb 0x55                     ;  msbs: dst=1 src0=1 src1=1 src2=1
	v_add3_u32 v184 /*v440*/, v184 /*v440*/, v189 /*v445*/, v190 /*v446*/
	s_set_vgpr_msb 0x44                     ;  msbs: dst=1 src0=0 src1=1 src2=0
	v_mul_i32_i24_e32 v222 /*v478*/, v76, v129 /*v385*/
	v_mul_i32_i24_e32 v223 /*v479*/, v78, v130 /*v386*/
	v_mul_i32_i24_e32 v224 /*v480*/, v80, v131 /*v387*/
	v_mul_i32_i24_e32 v225 /*v481*/, v82, v132 /*v388*/
	s_set_vgpr_msb 0x55                     ;  msbs: dst=1 src0=1 src1=1 src2=1
	v_add3_u32 v184 /*v440*/, v184 /*v440*/, v192 /*v448*/, v193 /*v449*/
	s_set_vgpr_msb 0x44                     ;  msbs: dst=1 src0=0 src1=1 src2=0
	v_mul_i32_i24_e32 v226 /*v482*/, v91, v133 /*v389*/
	v_mul_i32_i24_e32 v227 /*v483*/, v93, v134 /*v390*/
	s_set_vgpr_msb 0x41                     ;  msbs: dst=1 src0=1 src1=0 src2=0
	v_mul_i32_i24_e32 v228 /*v484*/, v136 /*v392*/, v148
	v_mul_i32_i24_e32 v229 /*v485*/, v135 /*v391*/, v149
	s_set_vgpr_msb 0x55                     ;  msbs: dst=1 src0=1 src1=1 src2=1
	v_add3_u32 v184 /*v440*/, v184 /*v440*/, v222 /*v478*/, v223 /*v479*/
	s_set_vgpr_msb 0x41                     ;  msbs: dst=1 src0=1 src1=0 src2=0
	v_mul_i32_i24_e32 v230 /*v486*/, v138 /*v394*/, v150
	v_mul_i32_i24_e32 v231 /*v487*/, v137 /*v393*/, v151
	;; [unrolled: 1-line block ×4, first 2 shown]
	s_set_vgpr_msb 0x55                     ;  msbs: dst=1 src0=1 src1=1 src2=1
	v_add3_u32 v184 /*v440*/, v184 /*v440*/, v224 /*v480*/, v225 /*v481*/
	s_set_vgpr_msb 0x41                     ;  msbs: dst=1 src0=1 src1=0 src2=0
	v_mul_i32_i24_e32 v234 /*v490*/, v148 /*v404*/, v154
	v_mul_i32_i24_e32 v235 /*v491*/, v141 /*v397*/, v155
	;; [unrolled: 1-line block ×4, first 2 shown]
	s_set_vgpr_msb 0x55                     ;  msbs: dst=1 src0=1 src1=1 src2=1
	v_add3_u32 v184 /*v440*/, v184 /*v440*/, v226 /*v482*/, v227 /*v483*/
	s_set_vgpr_msb 0x41                     ;  msbs: dst=1 src0=1 src1=0 src2=0
	v_mul_i32_i24_e32 v185 /*v441*/, v156 /*v412*/, v163
	s_set_vgpr_msb 0x55                     ;  msbs: dst=1 src0=1 src1=1 src2=1
	v_mul_i32_i24_e32 v186 /*v442*/, v150 /*v406*/, v200 /*v456*/
	v_bfe_i32 v205 /*v461*/, v194 /*v450*/, 0, 8
	v_bfe_i32 v206 /*v462*/, v194 /*v450*/, 8, 8
	v_add3_u32 v184 /*v440*/, v184 /*v440*/, v228 /*v484*/, v229 /*v485*/
	v_bfe_i32 v207 /*v463*/, v194 /*v450*/, 16, 8
	v_ashrrev_i32_e32 v194 /*v450*/, 24, v194 /*v450*/
	v_mul_i32_i24_e32 v187 /*v443*/, v158 /*v414*/, v203 /*v459*/
	v_mul_i32_i24_e32 v188 /*v444*/, v142 /*v398*/, v204 /*v460*/
	v_add3_u32 v184 /*v440*/, v184 /*v440*/, v230 /*v486*/, v231 /*v487*/
	v_mul_i32_i24_e32 v189 /*v445*/, v163 /*v419*/, v205 /*v461*/
	v_mul_i32_i24_e32 v190 /*v446*/, v162 /*v418*/, v206 /*v462*/
	v_bfe_i32 v208 /*v464*/, v195 /*v451*/, 0, 8
	v_bfe_i32 v209 /*v465*/, v195 /*v451*/, 8, 8
	v_add3_u32 v184 /*v440*/, v184 /*v440*/, v232 /*v488*/, v233 /*v489*/
	v_mul_i32_i24_e32 v192 /*v448*/, v161 /*v417*/, v207 /*v463*/
	v_mul_i32_i24_e32 v193 /*v449*/, v143 /*v399*/, v194 /*v450*/
	v_bfe_i32 v210 /*v466*/, v195 /*v451*/, 16, 8
	v_ashrrev_i32_e32 v195 /*v451*/, 24, v195 /*v451*/
	v_add3_u32 v184 /*v440*/, v184 /*v440*/, v234 /*v490*/, v235 /*v491*/
	v_mul_i32_i24_e32 v223 /*v479*/, v166 /*v422*/, v208 /*v464*/
	v_mul_i32_i24_e32 v224 /*v480*/, v165 /*v421*/, v209 /*v465*/
	s_wait_dscnt 0x0
	v_bfe_i32 v211 /*v467*/, v196 /*v452*/, 0, 8
	v_bfe_i32 v212 /*v468*/, v196 /*v452*/, 8, 8
	v_add3_u32 v222 /*v478*/, v184 /*v440*/, v236 /*v492*/, v237 /*v493*/
	s_set_vgpr_msb 0x41                     ;  msbs: dst=1 src0=1 src1=0 src2=0
	v_mul_i32_i24_e32 v184 /*v440*/, v157 /*v413*/, v161
	v_bfe_i32 v213 /*v469*/, v196 /*v452*/, 16, 8
	s_set_vgpr_msb 0x45                     ;  msbs: dst=1 src0=1 src1=1 src2=0
	v_ashrrev_i32_e32 v196 /*v452*/, 24, v196 /*v452*/
	v_mul_i32_i24_e32 v225 /*v481*/, v164 /*v420*/, v210 /*v466*/
	v_mul_i32_i24_e32 v226 /*v482*/, v144 /*v400*/, v195 /*v451*/
	s_set_vgpr_msb 0x51                     ;  msbs: dst=1 src0=1 src1=0 src2=1
	v_mad_i32_i24 v184 /*v440*/, v155 /*v411*/, v162, v184 /*v440*/
	s_set_vgpr_msb 0x55                     ;  msbs: dst=1 src0=1 src1=1 src2=1
	v_mul_i32_i24_e32 v227 /*v483*/, v169 /*v425*/, v211 /*v467*/
	v_mul_i32_i24_e32 v228 /*v484*/, v168 /*v424*/, v212 /*v468*/
	v_bfe_i32 v214 /*v470*/, v197 /*v453*/, 0, 8
	v_bfe_i32 v215 /*v471*/, v197 /*v453*/, 8, 8
	v_add3_u32 v184 /*v440*/, v184 /*v440*/, v185 /*v441*/, v186 /*v442*/
	v_mul_i32_i24_e32 v185 /*v441*/, v160 /*v416*/, v201 /*v457*/
	v_mul_i32_i24_e32 v186 /*v442*/, v159 /*v415*/, v202 /*v458*/
	;; [unrolled: 1-line block ×4, first 2 shown]
	v_bfe_i32 v216 /*v472*/, v197 /*v453*/, 16, 8
	v_ashrrev_i32_e32 v197 /*v453*/, 24, v197 /*v453*/
	v_add3_u32 v184 /*v440*/, v184 /*v440*/, v185 /*v441*/, v186 /*v442*/
	v_mul_i32_i24_e32 v231 /*v487*/, v172 /*v428*/, v214 /*v470*/
	v_mul_i32_i24_e32 v232 /*v488*/, v171 /*v427*/, v215 /*v471*/
	v_bfe_i32 v217 /*v473*/, v198 /*v454*/, 0, 8
	v_bfe_i32 v218 /*v474*/, v198 /*v454*/, 8, 8
	v_add3_u32 v184 /*v440*/, v184 /*v440*/, v187 /*v443*/, v188 /*v444*/
	v_bfe_i32 v219 /*v475*/, v198 /*v454*/, 16, 8
	v_ashrrev_i32_e32 v198 /*v454*/, 24, v198 /*v454*/
	v_mul_i32_i24_e32 v233 /*v489*/, v170 /*v426*/, v216 /*v472*/
	v_mul_i32_i24_e32 v234 /*v490*/, v146 /*v402*/, v197 /*v453*/
	v_add3_u32 v184 /*v440*/, v184 /*v440*/, v189 /*v445*/, v190 /*v446*/
	v_mul_i32_i24_e32 v235 /*v491*/, v175 /*v431*/, v217 /*v473*/
	v_mul_i32_i24_e32 v236 /*v492*/, v174 /*v430*/, v218 /*v474*/
	;; [unrolled: 1-line block ×4, first 2 shown]
	v_add3_u32 v184 /*v440*/, v184 /*v440*/, v192 /*v448*/, v193 /*v449*/
	s_set_vgpr_msb 64                       ;  msbs: dst=1 src0=0 src1=0 src2=0
	ds_load_b64 v[186:187] /*v[442:443]*/, v43 offset:27200
	s_set_vgpr_msb 1                        ;  msbs: dst=0 src0=1 src1=0 src2=0
	v_bfe_i32 v158, v191 /*v447*/, 0, 8
	v_bfe_i32 v159, v191 /*v447*/, 8, 8
	;; [unrolled: 1-line block ×3, first 2 shown]
	s_set_vgpr_msb 0x55                     ;  msbs: dst=1 src0=1 src1=1 src2=1
	v_add3_u32 v184 /*v440*/, v184 /*v440*/, v223 /*v479*/, v224 /*v480*/
	v_ashrrev_i32_e32 v224 /*v480*/, 24, v191 /*v447*/
	s_set_vgpr_msb 0x44                     ;  msbs: dst=1 src0=0 src1=1 src2=0
	v_mul_i32_i24_e32 v238 /*v494*/, v158, v153 /*v409*/
	v_mul_i32_i24_e32 v239 /*v495*/, v159, v154 /*v410*/
	s_set_vgpr_msb 0x55                     ;  msbs: dst=1 src0=1 src1=1 src2=1
	v_bfe_i32 v220 /*v476*/, v199 /*v455*/, 0, 8
	v_add3_u32 v184 /*v440*/, v184 /*v440*/, v225 /*v481*/, v226 /*v482*/
	s_set_vgpr_msb 64                       ;  msbs: dst=1 src0=0 src1=0 src2=0
	v_bfe_i32 v225 /*v481*/, v3, 16, 8
	v_ashrrev_i32_e32 v226 /*v482*/, 24, v3
	s_set_vgpr_msb 0x55                     ;  msbs: dst=1 src0=1 src1=1 src2=1
	v_add3_u32 v179 /*v435*/, v222 /*v478*/, v238 /*v494*/, v239 /*v495*/
	v_bfe_i32 v221 /*v477*/, v199 /*v455*/, 8, 8
	v_add3_u32 v184 /*v440*/, v184 /*v440*/, v227 /*v483*/, v228 /*v484*/
	v_mul_i32_i24_e32 v241 /*v497*/, v220 /*v476*/, v151 /*v407*/
	v_mul_i32_i24_e32 v181 /*v437*/, v53 /*v309*/, v225 /*v481*/
	;; [unrolled: 1-line block ×3, first 2 shown]
	s_set_vgpr_msb 0x41                     ;  msbs: dst=1 src0=1 src1=0 src2=0
	v_mul_i32_i24_e32 v238 /*v494*/, v82 /*v338*/, v155
	s_set_vgpr_msb 0x55                     ;  msbs: dst=1 src0=1 src1=1 src2=1
	v_add3_u32 v184 /*v440*/, v184 /*v440*/, v229 /*v485*/, v230 /*v486*/
	s_wait_dscnt 0x0
	s_set_vgpr_msb 4                        ;  msbs: dst=0 src0=0 src1=1 src2=0
	v_lshrrev_b32_e32 v43, 16, v186 /*v442*/
	s_set_vgpr_msb 0x41                     ;  msbs: dst=1 src0=1 src1=0 src2=0
	v_cvt_f32_f16_e64 v189 /*v445*/, v186 /*v442*/
	v_cvt_f32_f16_e64 v193 /*v449*/, v187 /*v443*/
	v_mul_i32_i24_e32 v186 /*v442*/, v49 /*v305*/, v7
	s_set_vgpr_msb 0x55                     ;  msbs: dst=1 src0=1 src1=1 src2=1
	v_add3_u32 v184 /*v440*/, v184 /*v440*/, v231 /*v487*/, v232 /*v488*/
	s_set_vgpr_msb 64                       ;  msbs: dst=1 src0=0 src1=0 src2=0
	v_cvt_f32_f16_e64 v191 /*v447*/, v43
	s_set_vgpr_msb 1                        ;  msbs: dst=0 src0=1 src1=0 src2=0
	v_bfe_i32 v43, v199 /*v455*/, 16, 8
	s_set_vgpr_msb 0x44                     ;  msbs: dst=1 src0=0 src1=1 src2=0
	v_ashrrev_i32_e32 v199 /*v455*/, 24, v199 /*v455*/
	v_mul_i32_i24_e32 v229 /*v485*/, v91, v74 /*v330*/
	s_set_vgpr_msb 0x55                     ;  msbs: dst=1 src0=1 src1=1 src2=1
	v_add3_u32 v184 /*v440*/, v184 /*v440*/, v233 /*v489*/, v234 /*v490*/
	s_set_vgpr_msb 0x44                     ;  msbs: dst=1 src0=0 src1=1 src2=0
	v_mul_i32_i24_e32 v230 /*v486*/, v93, v75 /*v331*/
	s_set_vgpr_msb 0x41                     ;  msbs: dst=1 src0=1 src1=0 src2=0
	v_mul_i32_i24_e32 v222 /*v478*/, v53 /*v309*/, v43
	s_set_vgpr_msb 0x45                     ;  msbs: dst=1 src0=1 src1=1 src2=0
	v_mul_i32_i24_e32 v228 /*v484*/, v52 /*v308*/, v199 /*v455*/
	s_set_vgpr_msb 0x41                     ;  msbs: dst=1 src0=1 src1=0 src2=0
	v_mul_i32_i24_e32 v231 /*v487*/, v77 /*v333*/, v148
	s_set_vgpr_msb 0x55                     ;  msbs: dst=1 src0=1 src1=1 src2=1
	v_add3_u32 v184 /*v440*/, v184 /*v440*/, v235 /*v491*/, v236 /*v492*/
	s_set_vgpr_msb 0x41                     ;  msbs: dst=1 src0=1 src1=0 src2=0
	v_mul_i32_i24_e32 v232 /*v488*/, v76 /*v332*/, v149
	v_mul_i32_i24_e32 v233 /*v489*/, v79 /*v335*/, v150
	v_mul_i32_i24_e32 v234 /*v490*/, v78 /*v334*/, v151
	v_mul_i32_i24_e32 v235 /*v491*/, v81 /*v337*/, v152
	s_set_vgpr_msb 0x55                     ;  msbs: dst=1 src0=1 src1=1 src2=1
	v_add3_u32 v223 /*v479*/, v184 /*v440*/, v237 /*v493*/, v240 /*v496*/
	s_set_vgpr_msb 64                       ;  msbs: dst=1 src0=0 src1=0 src2=0
	ds_load_b64 v[184:185] /*v[440:441]*/, v8 offset:27200
	s_set_vgpr_msb 0x41                     ;  msbs: dst=1 src0=1 src1=0 src2=0
	v_mul_i32_i24_e32 v236 /*v492*/, v80 /*v336*/, v153
	v_mul_i32_i24_e32 v237 /*v493*/, v83 /*v339*/, v154
	;; [unrolled: 1-line block ×4, first 2 shown]
	s_set_vgpr_msb 0x44                     ;  msbs: dst=1 src0=0 src1=1 src2=0
	v_mul_i32_i24_e32 v242 /*v498*/, v159, v92 /*v348*/
	s_set_vgpr_msb 0x45                     ;  msbs: dst=1 src0=1 src1=1 src2=0
	v_mul_i32_i24_e32 v243 /*v499*/, v114 /*v370*/, v198 /*v454*/
	v_mul_i32_i24_e32 v244 /*v500*/, v220 /*v476*/, v116 /*v372*/
	s_set_vgpr_msb 0x44                     ;  msbs: dst=1 src0=0 src1=1 src2=0
	v_mul_i32_i24_e32 v180 /*v436*/, v74, v0 /*v256*/
	s_set_vgpr_msb 4                        ;  msbs: dst=0 src0=0 src1=1 src2=0
	v_mul_i32_i24_e32 v12, v115, v225 /*v481*/
	s_set_vgpr_msb 0                        ;  msbs: dst=0 src0=0 src1=0 src2=0
	v_mul_i32_i24_e32 v59, v76, v195
	s_wait_dscnt 0x0
	s_set_vgpr_msb 4                        ;  msbs: dst=0 src0=0 src1=1 src2=0
	v_dual_lshrrev_b32 v8, 16, v184 /*v440*/ :: v_dual_lshrrev_b32 v3, 16, v185 /*v441*/
	s_set_vgpr_msb 0x41                     ;  msbs: dst=1 src0=1 src1=0 src2=0
	v_cvt_f32_f16_e64 v188 /*v444*/, v184 /*v440*/
	v_cvt_f32_f16_e64 v192 /*v448*/, v185 /*v441*/
	s_set_vgpr_msb 64                       ;  msbs: dst=1 src0=0 src1=0 src2=0
	v_cvt_f32_f16_e64 v190 /*v446*/, v8
	s_set_vgpr_msb 4                        ;  msbs: dst=0 src0=0 src1=1 src2=0
	v_lshrrev_b32_e32 v8, 16, v187 /*v443*/
	s_set_vgpr_msb 64                       ;  msbs: dst=1 src0=0 src1=0 src2=0
	v_cvt_f32_f16_e64 v184 /*v440*/, v3
	s_set_vgpr_msb 4                        ;  msbs: dst=0 src0=0 src1=1 src2=0
	v_mul_i32_i24_e32 v3, v4, v50 /*v306*/
	s_set_vgpr_msb 0x45                     ;  msbs: dst=1 src0=1 src1=1 src2=0
	v_mul_i32_i24_e32 v187 /*v443*/, v49 /*v305*/, v224 /*v480*/
	s_set_vgpr_msb 64                       ;  msbs: dst=1 src0=0 src1=0 src2=0
	v_cvt_f32_f16_e64 v185 /*v441*/, v8
	s_set_vgpr_msb 4                        ;  msbs: dst=0 src0=0 src1=1 src2=0
	v_mul_i32_i24_e32 v8, v160, v50 /*v306*/
	s_set_vgpr_msb 17                       ;  msbs: dst=0 src0=1 src1=0 src2=1
	v_add3_u32 v3, v178 /*v434*/, v3, v186 /*v442*/
	s_delay_alu instid0(VALU_DEP_2) | instskip(SKIP_1) | instid1(VALU_DEP_2)
	v_add3_u32 v8, v179 /*v435*/, v8, v187 /*v443*/
	s_set_vgpr_msb 4                        ;  msbs: dst=0 src0=0 src1=1 src2=0
	v_mul_lo_u32 v3, v3, v48 /*v304*/
	s_set_vgpr_msb 0x44                     ;  msbs: dst=1 src0=0 src1=1 src2=0
	v_pk_fma_f32 v[186:187] /*v[442:443]*/, v[122:123], v[190:191] /*v[446:447]*/, 0 op_sel_hi:[0,1,0]
	s_set_vgpr_msb 4                        ;  msbs: dst=0 src0=0 src1=1 src2=0
	v_mul_lo_u32 v8, v8, v48 /*v304*/
	s_set_vgpr_msb 64                       ;  msbs: dst=1 src0=0 src1=0 src2=0
	s_delay_alu instid0(VALU_DEP_3) | instskip(SKIP_3) | instid1(VALU_DEP_3)
	v_cvt_f32_i32_e32 v178 /*v434*/, v3
	s_set_vgpr_msb 5                        ;  msbs: dst=0 src0=1 src1=1 src2=0
	v_mul_i32_i24_e32 v3, v221 /*v477*/, v54 /*v310*/
	s_set_vgpr_msb 64                       ;  msbs: dst=1 src0=0 src1=0 src2=0
	v_cvt_f32_i32_e32 v179 /*v435*/, v8
	s_set_vgpr_msb 4                        ;  msbs: dst=0 src0=0 src1=1 src2=0
	v_mul_i32_i24_e32 v8, v0, v54 /*v310*/
	s_set_vgpr_msb 5                        ;  msbs: dst=0 src0=1 src1=1 src2=0
	v_add3_u32 v3, v223 /*v479*/, v241 /*v497*/, v3
	s_set_vgpr_msb 0x44                     ;  msbs: dst=1 src0=0 src1=1 src2=0
	v_mul_i32_i24_e32 v223 /*v479*/, v78, v71 /*v327*/
	v_mul_i32_i24_e32 v241 /*v497*/, v158, v90 /*v346*/
	s_set_vgpr_msb 0x45                     ;  msbs: dst=1 src0=1 src1=1 src2=0
	v_pk_fma_f32 v[178:179] /*v[434:435]*/, v[188:189] /*v[444:445]*/, v[178:179] /*v[434:435]*/, 0 op_sel_hi:[1,1,0]
	s_set_vgpr_msb 5                        ;  msbs: dst=0 src0=1 src1=1 src2=0
	v_add3_u32 v8, v183 /*v439*/, v182 /*v438*/, v8
	s_set_vgpr_msb 20                       ;  msbs: dst=0 src0=0 src1=1 src2=1
	v_add3_u32 v3, v3, v222 /*v478*/, v228 /*v484*/
	s_set_vgpr_msb 0x44                     ;  msbs: dst=1 src0=0 src1=1 src2=0
	v_mul_i32_i24_e32 v222 /*v478*/, v76, v70 /*v326*/
	v_mul_i32_i24_e32 v228 /*v484*/, v82, v73 /*v329*/
	s_set_vgpr_msb 0                        ;  msbs: dst=0 src0=0 src1=0 src2=0
	v_mul_i32_i24_e32 v0, v0, v178
	s_set_vgpr_msb 20                       ;  msbs: dst=0 src0=0 src1=1 src2=1
	v_add3_u32 v8, v8, v181 /*v437*/, v227 /*v483*/
	v_mul_lo_u32 v3, v3, v51 /*v307*/
	s_set_vgpr_msb 0x44                     ;  msbs: dst=1 src0=0 src1=1 src2=0
	v_mul_i32_i24_e32 v181 /*v437*/, v68, v65 /*v321*/
	v_mul_i32_i24_e32 v227 /*v483*/, v80, v72 /*v328*/
	s_set_vgpr_msb 0                        ;  msbs: dst=0 src0=0 src1=0 src2=0
	v_add3_u32 v0, v11, v6, v0
	s_set_vgpr_msb 4                        ;  msbs: dst=0 src0=0 src1=1 src2=0
	v_mul_lo_u32 v8, v8, v51 /*v307*/
	s_set_vgpr_msb 64                       ;  msbs: dst=1 src0=0 src1=0 src2=0
	v_cvt_f32_i32_e32 v183 /*v439*/, v3
	s_set_vgpr_msb 4                        ;  msbs: dst=0 src0=0 src1=1 src2=0
	v_mul_i32_i24_e32 v3, v58, v59 /*v315*/
	s_set_vgpr_msb 64                       ;  msbs: dst=1 src0=0 src1=0 src2=0
	s_delay_alu instid0(VALU_DEP_3)
	v_cvt_f32_i32_e32 v182 /*v438*/, v8
	s_set_vgpr_msb 4                        ;  msbs: dst=0 src0=0 src1=1 src2=0
	v_mul_i32_i24_e32 v8, v61, v60 /*v316*/
	v_mad_i32_i24 v3, v60, v58 /*v314*/, v3
	s_set_vgpr_msb 0x55                     ;  msbs: dst=1 src0=1 src1=1 src2=1
	v_pk_fma_f32 v[178:179] /*v[434:435]*/, v[192:193] /*v[448:449]*/, v[182:183] /*v[438:439]*/, v[178:179] /*v[434:435]*/
	s_set_vgpr_msb 0x54                     ;  msbs: dst=1 src0=0 src1=1 src2=1
	v_pk_fma_f32 v[182:183] /*v[438:439]*/, v[124:125], v[184:185] /*v[440:441]*/, v[186:187] /*v[442:443]*/ op_sel_hi:[0,1,1]
	v_mul_i32_i24_e32 v186 /*v442*/, v72, v68 /*v324*/
	v_mul_i32_i24_e32 v187 /*v443*/, v74, v69 /*v325*/
	s_set_vgpr_msb 0x51                     ;  msbs: dst=1 src0=1 src1=0 src2=1
	s_delay_alu instid0(VALU_DEP_3) | instskip(NEXT) | instid1(VALU_DEP_1)
	v_pk_mul_f32 v[182:183] /*v[438:439]*/, v[182:183] /*v[438:439]*/, v[104:105]
	v_pk_fma_f32 v[178:179] /*v[434:435]*/, v[178:179] /*v[434:435]*/, v[96:97], v[182:183] /*v[438:439]*/ neg_lo:[0,0,1] neg_hi:[0,0,1]
	s_set_vgpr_msb 0x44                     ;  msbs: dst=1 src0=0 src1=1 src2=0
	v_mul_i32_i24_e32 v182 /*v438*/, v69, v66 /*v322*/
	v_mul_i32_i24_e32 v183 /*v439*/, v70, v67 /*v323*/
	s_set_vgpr_msb 4                        ;  msbs: dst=0 src0=0 src1=1 src2=0
	v_pk_add_f32 v[30:31], v[30:31], v[178:179] /*v[434:435]*/
	s_set_vgpr_msb 0x44                     ;  msbs: dst=1 src0=0 src1=1 src2=0
	v_mul_i32_i24_e32 v178 /*v434*/, v62, v61 /*v317*/
	v_mul_i32_i24_e32 v179 /*v435*/, v66, v64 /*v320*/
	s_set_vgpr_msb 16                       ;  msbs: dst=0 src0=0 src1=0 src2=1
	s_delay_alu instid0(VALU_DEP_2)
	v_add3_u32 v3, v3, v8, v178 /*v434*/
	s_set_vgpr_msb 4                        ;  msbs: dst=0 src0=0 src1=1 src2=0
	v_mul_i32_i24_e32 v8, v64, v62 /*v318*/
	s_set_vgpr_msb 0x44                     ;  msbs: dst=1 src0=0 src1=1 src2=0
	v_mul_i32_i24_e32 v178 /*v434*/, v65, v63 /*v319*/
	s_set_vgpr_msb 16                       ;  msbs: dst=0 src0=0 src1=0 src2=1
	s_delay_alu instid0(VALU_DEP_1)
	v_add3_u32 v3, v3, v8, v178 /*v434*/
	s_set_vgpr_msb 4                        ;  msbs: dst=0 src0=0 src1=1 src2=0
	v_mul_i32_i24_e32 v8, v161, v88 /*v344*/
	s_set_vgpr_msb 0x44                     ;  msbs: dst=1 src0=0 src1=1 src2=0
	v_mul_i32_i24_e32 v178 /*v434*/, v163, v85 /*v341*/
	s_set_vgpr_msb 20                       ;  msbs: dst=0 src0=0 src1=1 src2=1
	v_add3_u32 v3, v3, v179 /*v435*/, v181 /*v437*/
	s_set_vgpr_msb 0x45                     ;  msbs: dst=1 src0=1 src1=1 src2=0
	v_mul_i32_i24_e32 v179 /*v435*/, v200 /*v456*/, v91 /*v347*/
	s_set_vgpr_msb 4                        ;  msbs: dst=0 src0=0 src1=1 src2=0
	v_mad_i32_i24 v8, v162, v87 /*v343*/, v8
	s_set_vgpr_msb 0x45                     ;  msbs: dst=1 src0=1 src1=1 src2=0
	v_mul_i32_i24_e32 v181 /*v437*/, v203 /*v459*/, v89 /*v345*/
	s_set_vgpr_msb 20                       ;  msbs: dst=0 src0=0 src1=1 src2=1
	v_add3_u32 v3, v3, v182 /*v438*/, v183 /*v439*/
	s_set_vgpr_msb 0x45                     ;  msbs: dst=1 src0=1 src1=1 src2=0
	v_mul_i32_i24_e32 v182 /*v438*/, v204 /*v460*/, v96 /*v352*/
	s_set_vgpr_msb 20                       ;  msbs: dst=0 src0=0 src1=1 src2=1
	v_add3_u32 v8, v8, v178 /*v434*/, v179 /*v435*/
	s_set_vgpr_msb 0x45                     ;  msbs: dst=1 src0=1 src1=1 src2=0
	v_mul_i32_i24_e32 v178 /*v434*/, v201 /*v457*/, v93 /*v349*/
	v_mul_i32_i24_e32 v179 /*v435*/, v202 /*v458*/, v94 /*v350*/
	s_set_vgpr_msb 20                       ;  msbs: dst=0 src0=0 src1=1 src2=1
	v_add3_u32 v3, v3, v186 /*v442*/, v187 /*v443*/
	s_set_vgpr_msb 0x45                     ;  msbs: dst=1 src0=1 src1=1 src2=0
	v_mul_i32_i24_e32 v183 /*v439*/, v205 /*v461*/, v97 /*v353*/
	v_mul_i32_i24_e32 v186 /*v442*/, v206 /*v462*/, v98 /*v354*/
	;; [unrolled: 1-line block ×3, first 2 shown]
	s_set_vgpr_msb 20                       ;  msbs: dst=0 src0=0 src1=1 src2=1
	v_add3_u32 v8, v8, v178 /*v434*/, v179 /*v435*/
	v_add3_u32 v3, v3, v222 /*v478*/, v223 /*v479*/
	s_set_vgpr_msb 0x45                     ;  msbs: dst=1 src0=1 src1=1 src2=0
	v_mul_i32_i24_e32 v222 /*v478*/, v194 /*v450*/, v100 /*v356*/
	v_mul_i32_i24_e32 v223 /*v479*/, v208 /*v464*/, v101 /*v357*/
	s_set_vgpr_msb 0x44                     ;  msbs: dst=1 src0=0 src1=1 src2=0
	v_mul_i32_i24_e32 v179 /*v435*/, v160, v57 /*v313*/
	s_set_vgpr_msb 20                       ;  msbs: dst=0 src0=0 src1=1 src2=1
	v_add3_u32 v8, v8, v181 /*v437*/, v182 /*v438*/
	v_add3_u32 v3, v3, v227 /*v483*/, v228 /*v484*/
	s_set_vgpr_msb 0x45                     ;  msbs: dst=1 src0=1 src1=1 src2=0
	v_mul_i32_i24_e32 v227 /*v483*/, v209 /*v465*/, v102 /*v358*/
	v_mul_i32_i24_e32 v228 /*v484*/, v210 /*v466*/, v99 /*v355*/
	;; [unrolled: 1-line block ×3, first 2 shown]
	s_set_vgpr_msb 20                       ;  msbs: dst=0 src0=0 src1=1 src2=1
	v_add3_u32 v8, v8, v183 /*v439*/, v186 /*v442*/
	v_add3_u32 v3, v3, v229 /*v485*/, v230 /*v486*/
	s_set_vgpr_msb 0x45                     ;  msbs: dst=1 src0=1 src1=1 src2=0
	v_mul_i32_i24_e32 v229 /*v485*/, v195 /*v451*/, v103 /*v359*/
	v_mul_i32_i24_e32 v230 /*v486*/, v104 /*v360*/, v211 /*v467*/
	s_set_vgpr_msb 0x44                     ;  msbs: dst=1 src0=0 src1=1 src2=0
	v_mul_i32_i24_e32 v178 /*v434*/, v4, v57 /*v313*/
	s_set_vgpr_msb 20                       ;  msbs: dst=0 src0=0 src1=1 src2=1
	v_add3_u32 v8, v8, v187 /*v443*/, v222 /*v478*/
	v_add3_u32 v3, v3, v231 /*v487*/, v232 /*v488*/
	s_set_vgpr_msb 0x45                     ;  msbs: dst=1 src0=1 src1=1 src2=0
	v_mul_i32_i24_e32 v231 /*v487*/, v105 /*v361*/, v212 /*v468*/
	v_mul_i32_i24_e32 v232 /*v488*/, v107 /*v363*/, v213 /*v469*/
	s_set_vgpr_msb 0x41                     ;  msbs: dst=1 src0=1 src1=0 src2=0
	v_mul_i32_i24_e32 v181 /*v437*/, v56 /*v312*/, v7
	s_set_vgpr_msb 20                       ;  msbs: dst=0 src0=0 src1=1 src2=1
	v_add3_u32 v8, v8, v223 /*v479*/, v227 /*v483*/
	v_add3_u32 v3, v3, v233 /*v489*/, v234 /*v490*/
	s_set_vgpr_msb 0x45                     ;  msbs: dst=1 src0=1 src1=1 src2=0
	v_mul_i32_i24_e32 v233 /*v489*/, v106 /*v362*/, v196 /*v452*/
	v_mul_i32_i24_e32 v234 /*v490*/, v108 /*v364*/, v214 /*v470*/
	s_set_vgpr_msb 20                       ;  msbs: dst=0 src0=0 src1=1 src2=1
	v_add3_u32 v14, v14, v178 /*v434*/, v181 /*v437*/
	v_add3_u32 v8, v8, v228 /*v484*/, v229 /*v485*/
	;; [unrolled: 1-line block ×3, first 2 shown]
	s_set_vgpr_msb 0x45                     ;  msbs: dst=1 src0=1 src1=1 src2=0
	v_mul_i32_i24_e32 v235 /*v491*/, v109 /*v365*/, v215 /*v471*/
	v_mul_i32_i24_e32 v236 /*v492*/, v111 /*v367*/, v216 /*v472*/
	s_set_vgpr_msb 0x44                     ;  msbs: dst=1 src0=0 src1=1 src2=0
	v_mul_i32_i24_e32 v181 /*v437*/, v173, v225 /*v481*/
	s_set_vgpr_msb 20                       ;  msbs: dst=0 src0=0 src1=1 src2=1
	v_add3_u32 v8, v8, v230 /*v486*/, v231 /*v487*/
	v_add3_u32 v3, v3, v237 /*v493*/, v238 /*v494*/
	s_set_vgpr_msb 0x45                     ;  msbs: dst=1 src0=1 src1=1 src2=0
	v_mul_i32_i24_e32 v237 /*v493*/, v110 /*v366*/, v197 /*v453*/
	v_mul_i32_i24_e32 v238 /*v494*/, v112 /*v368*/, v217 /*v473*/
	s_set_vgpr_msb 0x44                     ;  msbs: dst=1 src0=0 src1=1 src2=0
	v_mul_i32_i24_e32 v183 /*v439*/, v121, v226 /*v482*/
	s_set_vgpr_msb 20                       ;  msbs: dst=0 src0=0 src1=1 src2=1
	v_add3_u32 v8, v8, v232 /*v488*/, v233 /*v489*/
	v_add3_u32 v3, v3, v239 /*v495*/, v240 /*v496*/
	;; [unrolled: 8-line block ×3, first 2 shown]
	v_mul_lo_u32 v14, v14, v55 /*v311*/
	s_set_vgpr_msb 0x44                     ;  msbs: dst=1 src0=0 src1=1 src2=0
	v_mul_i32_i24_e32 v187 /*v443*/, v91, v5 /*v261*/
	v_mul_i32_i24_e32 v222 /*v478*/, v93, v6 /*v262*/
	s_set_vgpr_msb 20                       ;  msbs: dst=0 src0=0 src1=1 src2=1
	v_add3_u32 v8, v8, v236 /*v492*/, v237 /*v493*/
	v_add3_u32 v3, v3, v179 /*v435*/, v182 /*v438*/
	s_set_vgpr_msb 64                       ;  msbs: dst=1 src0=0 src1=0 src2=0
	v_mul_i32_i24_e32 v182 /*v438*/, v173, v43
	s_set_vgpr_msb 0x44                     ;  msbs: dst=1 src0=0 src1=1 src2=0
	v_pk_fma_f32 v[178:179] /*v[434:435]*/, v[126:127], v[190:191] /*v[446:447]*/, 0 op_sel_hi:[0,1,0]
	s_set_vgpr_msb 0x41                     ;  msbs: dst=1 src0=1 src1=0 src2=0
	v_mul_i32_i24_e32 v223 /*v479*/, v8 /*v264*/, v148
	s_set_vgpr_msb 20                       ;  msbs: dst=0 src0=0 src1=1 src2=1
	v_add3_u32 v8, v8, v238 /*v494*/, v239 /*v495*/
	v_mul_lo_u32 v3, v3, v55 /*v311*/
	s_set_vgpr_msb 0x41                     ;  msbs: dst=1 src0=1 src1=0 src2=0
	v_mul_i32_i24_e32 v227 /*v483*/, v7 /*v263*/, v149
	s_set_vgpr_msb 0                        ;  msbs: dst=0 src0=0 src1=0 src2=0
	v_cvt_f32_i32_e32 v14, v14
	s_set_vgpr_msb 0x41                     ;  msbs: dst=1 src0=1 src1=0 src2=0
	v_mul_i32_i24_e32 v228 /*v484*/, v10 /*v266*/, v150
	s_set_vgpr_msb 20                       ;  msbs: dst=0 src0=0 src1=1 src2=1
	v_add3_u32 v8, v8, v240 /*v496*/, v243 /*v499*/
	s_set_vgpr_msb 0x41                     ;  msbs: dst=1 src0=1 src1=0 src2=0
	v_mul_i32_i24_e32 v229 /*v485*/, v9 /*v265*/, v151
	v_mul_i32_i24_e32 v230 /*v486*/, v12 /*v268*/, v152
	;; [unrolled: 1-line block ×6, first 2 shown]
	s_set_vgpr_msb 0                        ;  msbs: dst=0 src0=0 src1=0 src2=0
	v_cvt_f32_i32_e32 v15, v3
	s_set_vgpr_msb 1                        ;  msbs: dst=0 src0=1 src1=0 src2=0
	v_mul_i32_i24_e32 v3, v221 /*v477*/, v174
	s_set_vgpr_msb 0x41                     ;  msbs: dst=1 src0=1 src1=0 src2=0
	v_mul_i32_i24_e32 v235 /*v491*/, v15 /*v271*/, v157
	s_set_vgpr_msb 0x44                     ;  msbs: dst=1 src0=0 src1=1 src2=0
	v_mul_i32_i24_e32 v236 /*v492*/, v158, v21 /*v277*/
	v_mul_i32_i24_e32 v237 /*v493*/, v159, v23 /*v279*/
	s_set_vgpr_msb 1                        ;  msbs: dst=0 src0=1 src1=0 src2=0
	v_pk_fma_f32 v[14:15], v[188:189] /*v[444:445]*/, v[14:15], 0 op_sel_hi:[1,1,0]
	s_set_vgpr_msb 4                        ;  msbs: dst=0 src0=0 src1=1 src2=0
	v_add3_u32 v3, v8, v244 /*v500*/, v3
	s_set_vgpr_msb 21                       ;  msbs: dst=0 src0=1 src1=1 src2=1
	v_add3_u32 v8, v176 /*v432*/, v181 /*v437*/, v183 /*v439*/
	s_set_vgpr_msb 0x44                     ;  msbs: dst=1 src0=0 src1=1 src2=0
	v_mul_i32_i24_e32 v181 /*v437*/, v76, v1 /*v257*/
	v_mul_i32_i24_e32 v183 /*v439*/, v80, v3 /*v259*/
	s_set_vgpr_msb 0x45                     ;  msbs: dst=1 src0=1 src1=1 src2=0
	v_mul_i32_i24_e32 v238 /*v494*/, v45 /*v301*/, v198 /*v454*/
	s_set_vgpr_msb 20                       ;  msbs: dst=0 src0=0 src1=1 src2=1
	v_add3_u32 v3, v3, v182 /*v438*/, v186 /*v442*/
	s_set_vgpr_msb 0                        ;  msbs: dst=0 src0=0 src1=0 src2=0
	v_mul_lo_u32 v8, v8, v175
	s_set_vgpr_msb 0x44                     ;  msbs: dst=1 src0=0 src1=1 src2=0
	v_mul_i32_i24_e32 v182 /*v438*/, v78, v2 /*v258*/
	v_mul_i32_i24_e32 v186 /*v442*/, v82, v4 /*v260*/
	s_set_vgpr_msb 0x45                     ;  msbs: dst=1 src0=1 src1=1 src2=0
	v_mul_i32_i24_e32 v239 /*v495*/, v220 /*v476*/, v47 /*v303*/
	s_set_vgpr_msb 0                        ;  msbs: dst=0 src0=0 src1=0 src2=0
	v_mul_lo_u32 v3, v3, v175
	v_mul_i32_i24_e32 v76, v208, v154
	s_set_vgpr_msb 64                       ;  msbs: dst=1 src0=0 src1=0 src2=0
	v_cvt_f32_i32_e32 v176 /*v432*/, v8
	s_set_vgpr_msb 0                        ;  msbs: dst=0 src0=0 src1=0 src2=0
	v_mul_i32_i24_e32 v8, v61, v247
	s_set_vgpr_msb 64                       ;  msbs: dst=1 src0=0 src1=0 src2=0
	s_delay_alu instid0(VALU_DEP_4) | instskip(SKIP_3) | instid1(VALU_DEP_2)
	v_cvt_f32_i32_e32 v177 /*v433*/, v3
	s_set_vgpr_msb 0                        ;  msbs: dst=0 src0=0 src1=0 src2=0
	v_mul_i32_i24_e32 v3, v58, v246
	s_set_vgpr_msb 5                        ;  msbs: dst=0 src0=1 src1=1 src2=0
	v_pk_fma_f32 v[14:15], v[192:193] /*v[448:449]*/, v[176:177] /*v[432:433]*/, v[14:15]
	s_set_vgpr_msb 0x54                     ;  msbs: dst=1 src0=0 src1=1 src2=1
	v_pk_fma_f32 v[176:177] /*v[432:433]*/, v[120:121], v[184:185] /*v[440:441]*/, v[178:179] /*v[434:435]*/ op_sel_hi:[0,1,1]
	s_set_vgpr_msb 0                        ;  msbs: dst=0 src0=0 src1=0 src2=0
	v_mad_i32_i24 v3, v60, v245, v3
	s_set_vgpr_msb 64                       ;  msbs: dst=1 src0=0 src1=0 src2=0
	v_mul_i32_i24_e32 v178 /*v434*/, v70, v254
	v_mul_i32_i24_e32 v179 /*v435*/, v72, v255
	s_set_vgpr_msb 0x41                     ;  msbs: dst=1 src0=1 src1=0 src2=0
	v_pk_mul_f32 v[176:177] /*v[432:433]*/, v[176:177] /*v[432:433]*/, v[106:107]
	s_set_vgpr_msb 16                       ;  msbs: dst=0 src0=0 src1=0 src2=1
	s_delay_alu instid0(VALU_DEP_1)
	v_pk_fma_f32 v[14:15], v[14:15], v[98:99], v[176:177] /*v[432:433]*/ neg_lo:[0,0,1] neg_hi:[0,0,1]
	s_set_vgpr_msb 64                       ;  msbs: dst=1 src0=0 src1=0 src2=0
	v_mul_i32_i24_e32 v176 /*v432*/, v68, v252
	v_mul_i32_i24_e32 v177 /*v433*/, v69, v253
	s_set_vgpr_msb 0                        ;  msbs: dst=0 src0=0 src1=0 src2=0
	v_pk_add_f32 v[28:29], v[28:29], v[14:15]
	v_mul_i32_i24_e32 v14, v62, v248
	v_mul_i32_i24_e32 v15, v66, v251
	s_delay_alu instid0(VALU_DEP_2) | instskip(SKIP_2) | instid1(VALU_DEP_1)
	v_add3_u32 v3, v3, v8, v14
	v_mul_i32_i24_e32 v8, v64, v249
	v_mul_i32_i24_e32 v14, v65, v250
	v_add3_u32 v3, v3, v8, v14
	s_set_vgpr_msb 4                        ;  msbs: dst=0 src0=0 src1=1 src2=0
	v_mul_i32_i24_e32 v8, v161, v19 /*v275*/
	v_mul_i32_i24_e32 v14, v163, v16 /*v272*/
	s_set_vgpr_msb 16                       ;  msbs: dst=0 src0=0 src1=0 src2=1
	v_add3_u32 v3, v3, v15, v176 /*v432*/
	s_set_vgpr_msb 5                        ;  msbs: dst=0 src0=1 src1=1 src2=0
	v_mul_i32_i24_e32 v15, v200 /*v456*/, v22 /*v278*/
	s_set_vgpr_msb 4                        ;  msbs: dst=0 src0=0 src1=1 src2=0
	v_mad_i32_i24 v8, v162, v18 /*v274*/, v8
	s_set_vgpr_msb 0x45                     ;  msbs: dst=1 src0=1 src1=1 src2=0
	v_mul_i32_i24_e32 v176 /*v432*/, v203 /*v459*/, v20 /*v276*/
	s_set_vgpr_msb 20                       ;  msbs: dst=0 src0=0 src1=1 src2=1
	v_add3_u32 v3, v3, v177 /*v433*/, v178 /*v434*/
	s_set_vgpr_msb 0x45                     ;  msbs: dst=1 src0=1 src1=1 src2=0
	v_mul_i32_i24_e32 v177 /*v433*/, v204 /*v460*/, v27 /*v283*/
	s_set_vgpr_msb 0                        ;  msbs: dst=0 src0=0 src1=0 src2=0
	v_add3_u32 v8, v8, v14, v15
	s_set_vgpr_msb 5                        ;  msbs: dst=0 src0=1 src1=1 src2=0
	v_mul_i32_i24_e32 v14, v201 /*v457*/, v24 /*v280*/
	v_mul_i32_i24_e32 v15, v202 /*v458*/, v25 /*v281*/
	s_set_vgpr_msb 20                       ;  msbs: dst=0 src0=0 src1=1 src2=1
	v_add3_u32 v3, v3, v179 /*v435*/, v180 /*v436*/
	s_set_vgpr_msb 0x45                     ;  msbs: dst=1 src0=1 src1=1 src2=0
	v_mul_i32_i24_e32 v178 /*v434*/, v205 /*v461*/, v28 /*v284*/
	v_mul_i32_i24_e32 v179 /*v435*/, v206 /*v462*/, v29 /*v285*/
	;; [unrolled: 1-line block ×3, first 2 shown]
	s_set_vgpr_msb 0                        ;  msbs: dst=0 src0=0 src1=0 src2=0
	v_add3_u32 v8, v8, v14, v15
	s_set_vgpr_msb 20                       ;  msbs: dst=0 src0=0 src1=1 src2=1
	v_add3_u32 v3, v3, v181 /*v437*/, v182 /*v438*/
	s_set_vgpr_msb 0x45                     ;  msbs: dst=1 src0=1 src1=1 src2=0
	v_mul_i32_i24_e32 v181 /*v437*/, v194 /*v450*/, v31 /*v287*/
	v_mul_i32_i24_e32 v182 /*v438*/, v208 /*v464*/, v32 /*v288*/
	s_set_vgpr_msb 0                        ;  msbs: dst=0 src0=0 src1=0 src2=0
	v_mul_i32_i24_e32 v14, v160, v244
	s_set_vgpr_msb 20                       ;  msbs: dst=0 src0=0 src1=1 src2=1
	v_add3_u32 v8, v8, v176 /*v432*/, v177 /*v433*/
	v_add3_u32 v3, v3, v183 /*v439*/, v186 /*v442*/
	s_set_vgpr_msb 0x45                     ;  msbs: dst=1 src0=1 src1=1 src2=0
	v_mul_i32_i24_e32 v183 /*v439*/, v209 /*v465*/, v33 /*v289*/
	v_mul_i32_i24_e32 v186 /*v442*/, v210 /*v466*/, v30 /*v286*/
	s_set_vgpr_msb 0x44                     ;  msbs: dst=1 src0=0 src1=1 src2=0
	v_mul_i32_i24_e32 v177 /*v433*/, v243, v224 /*v480*/
	s_set_vgpr_msb 20                       ;  msbs: dst=0 src0=0 src1=1 src2=1
	v_add3_u32 v8, v8, v178 /*v434*/, v179 /*v435*/
	v_add3_u32 v3, v3, v187 /*v443*/, v222 /*v478*/
	s_set_vgpr_msb 0x45                     ;  msbs: dst=1 src0=1 src1=1 src2=0
	v_mul_i32_i24_e32 v187 /*v443*/, v195 /*v451*/, v34 /*v290*/
	v_mul_i32_i24_e32 v222 /*v478*/, v35 /*v291*/, v211 /*v467*/
	s_set_vgpr_msb 0                        ;  msbs: dst=0 src0=0 src1=0 src2=0
	v_mul_i32_i24_e32 v15, v243, v7
	s_set_vgpr_msb 20                       ;  msbs: dst=0 src0=0 src1=1 src2=1
	v_add3_u32 v8, v8, v180 /*v436*/, v181 /*v437*/
	v_add3_u32 v3, v3, v223 /*v479*/, v227 /*v483*/
	s_set_vgpr_msb 0x45                     ;  msbs: dst=1 src0=1 src1=1 src2=0
	v_mul_i32_i24_e32 v223 /*v479*/, v36 /*v292*/, v212 /*v468*/
	v_mul_i32_i24_e32 v227 /*v483*/, v38 /*v294*/, v213 /*v469*/
	s_set_vgpr_msb 0x44                     ;  msbs: dst=1 src0=0 src1=1 src2=0
	v_mul_i32_i24_e32 v178 /*v434*/, v113, v226 /*v482*/
	s_set_vgpr_msb 20                       ;  msbs: dst=0 src0=0 src1=1 src2=1
	v_add3_u32 v8, v8, v182 /*v438*/, v183 /*v439*/
	v_add3_u32 v3, v3, v228 /*v484*/, v229 /*v485*/
	s_set_vgpr_msb 0x45                     ;  msbs: dst=1 src0=1 src1=1 src2=0
	v_mul_i32_i24_e32 v228 /*v484*/, v37 /*v293*/, v196 /*v452*/
	v_mul_i32_i24_e32 v229 /*v485*/, v39 /*v295*/, v214 /*v470*/
	s_set_vgpr_msb 0x44                     ;  msbs: dst=1 src0=0 src1=1 src2=0
	v_mul_i32_i24_e32 v179 /*v435*/, v113, v199 /*v455*/
	s_set_vgpr_msb 20                       ;  msbs: dst=0 src0=0 src1=1 src2=1
	v_add3_u32 v8, v8, v186 /*v442*/, v187 /*v443*/
	v_add3_u32 v3, v3, v230 /*v486*/, v231 /*v487*/
	s_set_vgpr_msb 0x45                     ;  msbs: dst=1 src0=1 src1=1 src2=0
	v_mul_i32_i24_e32 v230 /*v486*/, v40 /*v296*/, v215 /*v471*/
	v_mul_i32_i24_e32 v231 /*v487*/, v42 /*v298*/, v216 /*v472*/
	s_set_vgpr_msb 16                       ;  msbs: dst=0 src0=0 src1=0 src2=1
	v_add3_u32 v10, v10, v12, v178 /*v434*/
	s_set_vgpr_msb 20                       ;  msbs: dst=0 src0=0 src1=1 src2=1
	v_add3_u32 v8, v8, v222 /*v478*/, v223 /*v479*/
	v_add3_u32 v3, v3, v232 /*v488*/, v233 /*v489*/
	s_set_vgpr_msb 0x45                     ;  msbs: dst=1 src0=1 src1=1 src2=0
	v_mul_i32_i24_e32 v232 /*v488*/, v41 /*v297*/, v197 /*v453*/
	v_mul_i32_i24_e32 v233 /*v489*/, v43 /*v299*/, v217 /*v473*/
	s_set_vgpr_msb 0                        ;  msbs: dst=0 src0=0 src1=0 src2=0
	v_mul_lo_u32 v10, v10, v119
	s_set_vgpr_msb 20                       ;  msbs: dst=0 src0=0 src1=1 src2=1
	v_add3_u32 v8, v8, v227 /*v483*/, v228 /*v484*/
	v_add3_u32 v3, v3, v234 /*v490*/, v235 /*v491*/
	s_set_vgpr_msb 0x45                     ;  msbs: dst=1 src0=1 src1=1 src2=0
	v_mul_i32_i24_e32 v234 /*v490*/, v44 /*v300*/, v218 /*v474*/
	v_mul_i32_i24_e32 v235 /*v491*/, v46 /*v302*/, v219 /*v475*/
	s_set_vgpr_msb 0                        ;  msbs: dst=0 src0=0 src1=0 src2=0
	v_mul_i32_i24_e32 v7, v181, v7
	s_set_vgpr_msb 20                       ;  msbs: dst=0 src0=0 src1=1 src2=1
	v_add3_u32 v8, v8, v229 /*v485*/, v230 /*v486*/
	v_add3_u32 v3, v3, v236 /*v492*/, v237 /*v493*/
	s_delay_alu instid0(VALU_DEP_2) | instskip(SKIP_1) | instid1(VALU_DEP_2)
	v_add3_u32 v8, v8, v231 /*v487*/, v232 /*v488*/
	s_set_vgpr_msb 16                       ;  msbs: dst=0 src0=0 src1=0 src2=1
	v_add3_u32 v3, v3, v14, v177 /*v433*/
	s_set_vgpr_msb 64                       ;  msbs: dst=1 src0=0 src1=0 src2=0
	v_mul_i32_i24_e32 v177 /*v433*/, v115, v43
	s_set_vgpr_msb 0                        ;  msbs: dst=0 src0=0 src1=0 src2=0
	v_cvt_f32_i32_e32 v12, v10
	v_mul_i32_i24_e32 v10, v66, v189
	s_set_vgpr_msb 20                       ;  msbs: dst=0 src0=0 src1=1 src2=1
	v_add3_u32 v8, v8, v233 /*v489*/, v234 /*v490*/
	s_set_vgpr_msb 0                        ;  msbs: dst=0 src0=0 src1=0 src2=0
	v_mul_lo_u32 v3, v3, v242
	v_mul_i32_i24_e32 v66, v202, v148
	s_set_vgpr_msb 4                        ;  msbs: dst=0 src0=0 src1=1 src2=0
	v_mul_i32_i24_e32 v148, v239, v198 /*v454*/
	s_set_vgpr_msb 0x54                     ;  msbs: dst=1 src0=0 src1=1 src2=1
	v_add3_u32 v176 /*v432*/, v8, v235 /*v491*/, v238 /*v494*/
	s_set_vgpr_msb 0                        ;  msbs: dst=0 src0=0 src1=0 src2=0
	v_mul_i32_i24_e32 v8, v4, v244
	v_mul_i32_i24_e32 v4, v4, v182
	s_delay_alu instid0(VALU_DEP_2)
	v_add3_u32 v8, v9, v8, v15
	v_cvt_f32_i32_e32 v9, v3
	s_set_vgpr_msb 1                        ;  msbs: dst=0 src0=1 src1=0 src2=0
	v_mul_i32_i24_e32 v3, v221 /*v477*/, v117
	s_set_vgpr_msb 4                        ;  msbs: dst=0 src0=0 src1=1 src2=0
	v_pk_fma_f32 v[14:15], v[112:113], v[190:191] /*v[446:447]*/, 0 op_sel_hi:[0,1,0]
	s_set_vgpr_msb 0                        ;  msbs: dst=0 src0=0 src1=0 src2=0
	v_add3_u32 v1, v1, v4, v7
	v_mul_lo_u32 v8, v8, v242
	s_set_vgpr_msb 4                        ;  msbs: dst=0 src0=0 src1=1 src2=0
	v_mul_i32_i24_e32 v7, v177, v225 /*v481*/
	s_set_vgpr_msb 5                        ;  msbs: dst=0 src0=1 src1=1 src2=0
	v_add3_u32 v3, v176 /*v432*/, v239 /*v495*/, v3
	s_set_vgpr_msb 4                        ;  msbs: dst=0 src0=0 src1=1 src2=0
	v_pk_fma_f32 v[4:5], v[118:119], v[190:191] /*v[446:447]*/, 0 op_sel_hi:[0,1,0]
	s_set_vgpr_msb 0                        ;  msbs: dst=0 src0=0 src1=0 src2=0
	v_mul_lo_u32 v1, v1, v180
	s_set_vgpr_msb 20                       ;  msbs: dst=0 src0=0 src1=1 src2=1
	v_add3_u32 v3, v3, v177 /*v433*/, v179 /*v435*/
	v_cvt_f32_i32_e32 v8, v8
	s_set_vgpr_msb 0                        ;  msbs: dst=0 src0=0 src1=0 src2=0
	s_delay_alu instid0(VALU_DEP_2) | instskip(SKIP_1) | instid1(VALU_DEP_2)
	v_mul_lo_u32 v3, v3, v119
	s_set_vgpr_msb 1                        ;  msbs: dst=0 src0=1 src1=0 src2=0
	v_pk_fma_f32 v[8:9], v[188:189] /*v[444:445]*/, v[8:9], 0 op_sel_hi:[1,1,0]
	s_set_vgpr_msb 0                        ;  msbs: dst=0 src0=0 src1=0 src2=0
	s_delay_alu instid0(VALU_DEP_2)
	v_cvt_f32_i32_e32 v13, v3
	v_mul_i32_i24_e32 v3, v58, v184
	v_mul_i32_i24_e32 v58, v74, v194
	;; [unrolled: 1-line block ×3, first 2 shown]
	s_set_vgpr_msb 1                        ;  msbs: dst=0 src0=1 src1=0 src2=0
	v_pk_fma_f32 v[8:9], v[192:193] /*v[448:449]*/, v[12:13], v[8:9]
	s_set_vgpr_msb 4                        ;  msbs: dst=0 src0=0 src1=1 src2=0
	v_pk_fma_f32 v[12:13], v[114:115], v[184:185] /*v[440:441]*/, v[14:15] op_sel_hi:[0,1,1]
	s_set_vgpr_msb 0                        ;  msbs: dst=0 src0=0 src1=0 src2=0
	v_mad_i32_i24 v3, v60, v183, v3
	v_mul_i32_i24_e32 v14, v70, v192
	v_mul_i32_i24_e32 v15, v72, v193
	;; [unrolled: 1-line block ×3, first 2 shown]
	v_pk_mul_f32 v[12:13], v[12:13], v[108:109]
	v_mul_i32_i24_e32 v70, v203, v151
	v_mul_i32_i24_e32 v72, v206, v152
	;; [unrolled: 1-line block ×3, first 2 shown]
	s_delay_alu instid0(VALU_DEP_4)
	v_pk_fma_f32 v[8:9], v[8:9], v[100:101], v[12:13] neg_lo:[0,0,1] neg_hi:[0,0,1]
	v_mul_i32_i24_e32 v12, v68, v190
	v_mul_i32_i24_e32 v13, v69, v191
	;; [unrolled: 1-line block ×4, first 2 shown]
	v_pk_add_f32 v[26:27], v[26:27], v[8:9]
	v_mul_i32_i24_e32 v8, v61, v185
	v_mul_i32_i24_e32 v9, v62, v186
	;; [unrolled: 1-line block ×6, first 2 shown]
	v_add3_u32 v3, v3, v8, v9
	v_mul_i32_i24_e32 v8, v64, v187
	v_mul_i32_i24_e32 v9, v65, v188
	;; [unrolled: 1-line block ×6, first 2 shown]
	v_add3_u32 v3, v3, v8, v9
	v_mul_i32_i24_e32 v8, v161, v213
	v_mul_i32_i24_e32 v9, v163, v210
	s_set_vgpr_msb 1                        ;  msbs: dst=0 src0=1 src1=0 src2=0
	v_mul_i32_i24_e32 v149, v220 /*v476*/, v241
	s_set_vgpr_msb 0                        ;  msbs: dst=0 src0=0 src1=0 src2=0
	v_add3_u32 v3, v3, v10, v12
	s_set_vgpr_msb 1                        ;  msbs: dst=0 src0=1 src1=0 src2=0
	v_mul_i32_i24_e32 v10, v200 /*v456*/, v216
	s_set_vgpr_msb 0                        ;  msbs: dst=0 src0=0 src1=0 src2=0
	v_mad_i32_i24 v8, v162, v212, v8
	s_set_vgpr_msb 1                        ;  msbs: dst=0 src0=1 src1=0 src2=0
	v_mul_i32_i24_e32 v12, v203 /*v459*/, v214
	s_set_vgpr_msb 0                        ;  msbs: dst=0 src0=0 src1=0 src2=0
	v_add3_u32 v3, v3, v13, v14
	s_set_vgpr_msb 1                        ;  msbs: dst=0 src0=1 src1=0 src2=0
	v_mul_i32_i24_e32 v13, v204 /*v460*/, v221
	s_set_vgpr_msb 0                        ;  msbs: dst=0 src0=0 src1=0 src2=0
	v_add3_u32 v8, v8, v9, v10
	s_set_vgpr_msb 1                        ;  msbs: dst=0 src0=1 src1=0 src2=0
	v_mul_i32_i24_e32 v9, v201 /*v457*/, v218
	v_mul_i32_i24_e32 v10, v202 /*v458*/, v219
	s_set_vgpr_msb 0                        ;  msbs: dst=0 src0=0 src1=0 src2=0
	v_add3_u32 v3, v3, v15, v58
	s_set_vgpr_msb 1                        ;  msbs: dst=0 src0=1 src1=0 src2=0
	v_mul_i32_i24_e32 v14, v205 /*v461*/, v222
	v_mul_i32_i24_e32 v15, v206 /*v462*/, v223
	;; [unrolled: 1-line block ×3, first 2 shown]
	s_set_vgpr_msb 0                        ;  msbs: dst=0 src0=0 src1=0 src2=0
	v_add3_u32 v8, v8, v9, v10
	v_add3_u32 v3, v3, v59, v60
	s_set_vgpr_msb 1                        ;  msbs: dst=0 src0=1 src1=0 src2=0
	v_mul_i32_i24_e32 v59, v194 /*v450*/, v225
	v_mul_i32_i24_e32 v60, v208 /*v464*/, v226
	s_set_vgpr_msb 0                        ;  msbs: dst=0 src0=0 src1=0 src2=0
	v_mul_i32_i24_e32 v9, v160, v182
	v_add3_u32 v8, v8, v12, v13
	v_add3_u32 v3, v3, v61, v62
	s_set_vgpr_msb 1                        ;  msbs: dst=0 src0=1 src1=0 src2=0
	v_mul_i32_i24_e32 v61, v209 /*v465*/, v227
	v_mul_i32_i24_e32 v62, v210 /*v466*/, v224
	s_set_vgpr_msb 4                        ;  msbs: dst=0 src0=0 src1=1 src2=0
	v_mul_i32_i24_e32 v10, v181, v224 /*v480*/
	s_set_vgpr_msb 0                        ;  msbs: dst=0 src0=0 src1=0 src2=0
	v_add3_u32 v8, v8, v14, v15
	v_add3_u32 v3, v3, v64, v65
	s_set_vgpr_msb 1                        ;  msbs: dst=0 src0=1 src1=0 src2=0
	v_mul_i32_i24_e32 v64, v195 /*v451*/, v228
	s_set_vgpr_msb 4                        ;  msbs: dst=0 src0=0 src1=1 src2=0
	v_mul_i32_i24_e32 v65, v229, v211 /*v467*/
	v_mul_i32_i24_e32 v12, v176, v199 /*v455*/
	s_set_vgpr_msb 0                        ;  msbs: dst=0 src0=0 src1=0 src2=0
	v_add3_u32 v8, v8, v58, v59
	v_add3_u32 v3, v3, v66, v68
	s_set_vgpr_msb 4                        ;  msbs: dst=0 src0=0 src1=1 src2=0
	v_mul_i32_i24_e32 v66, v230, v212 /*v468*/
	v_mul_i32_i24_e32 v68, v232, v213 /*v469*/
	s_set_vgpr_msb 0                        ;  msbs: dst=0 src0=0 src1=0 src2=0
	v_add3_u32 v8, v8, v60, v61
	v_add3_u32 v3, v3, v69, v70
	;; [unrolled: 6-line block ×6, first 2 shown]
	s_delay_alu instid0(VALU_DEP_2) | instskip(NEXT) | instid1(VALU_DEP_2)
	v_add3_u32 v8, v8, v74, v76
	v_add3_u32 v2, v2, v9, v10
	v_mul_i32_i24_e32 v9, v177, v43
	s_set_vgpr_msb 4                        ;  msbs: dst=0 src0=0 src1=1 src2=0
	v_mul_i32_i24_e32 v10, v176, v226 /*v482*/
	s_set_vgpr_msb 0                        ;  msbs: dst=0 src0=0 src1=0 src2=0
	v_add3_u32 v8, v8, v78, v80
	v_mul_lo_u32 v2, v2, v180
	s_delay_alu instid0(VALU_DEP_3) | instskip(NEXT) | instid1(VALU_DEP_3)
	v_add3_u32 v0, v0, v7, v10
	v_add3_u32 v8, v8, v82, v148
	s_delay_alu instid0(VALU_DEP_2) | instskip(NEXT) | instid1(VALU_DEP_4)
	v_mul_lo_u32 v0, v0, v179
	v_cvt_f32_i32_e32 v3, v2
	v_cvt_f32_i32_e32 v2, v1
	s_set_vgpr_msb 1                        ;  msbs: dst=0 src0=1 src1=0 src2=0
	v_mul_i32_i24_e32 v1, v221 /*v477*/, v178
	s_delay_alu instid0(VALU_DEP_2) | instskip(SKIP_1) | instid1(VALU_DEP_2)
	v_pk_fma_f32 v[2:3], v[188:189] /*v[444:445]*/, v[2:3], 0 op_sel_hi:[1,1,0]
	s_set_vgpr_msb 0                        ;  msbs: dst=0 src0=0 src1=0 src2=0
	v_add3_u32 v1, v8, v149, v1
	v_cvt_f32_i32_e32 v0, v0
	s_delay_alu instid0(VALU_DEP_2) | instskip(NEXT) | instid1(VALU_DEP_1)
	v_add3_u32 v1, v1, v9, v12
	v_mul_lo_u32 v1, v1, v179
	s_delay_alu instid0(VALU_DEP_1) | instskip(SKIP_1) | instid1(VALU_DEP_1)
	v_cvt_f32_i32_e32 v1, v1
	s_set_vgpr_msb 1                        ;  msbs: dst=0 src0=1 src1=0 src2=0
	v_pk_fma_f32 v[0:1], v[192:193] /*v[448:449]*/, v[0:1], v[2:3]
	s_set_vgpr_msb 4                        ;  msbs: dst=0 src0=0 src1=1 src2=0
	v_pk_fma_f32 v[2:3], v[116:117], v[184:185] /*v[440:441]*/, v[4:5] op_sel_hi:[0,1,1]
	s_set_vgpr_msb 0                        ;  msbs: dst=0 src0=0 src1=0 src2=0
	s_delay_alu instid0(VALU_DEP_1) | instskip(NEXT) | instid1(VALU_DEP_1)
	v_pk_mul_f32 v[2:3], v[2:3], v[110:111]
	v_pk_fma_f32 v[0:1], v[0:1], v[102:103], v[2:3] neg_lo:[0,0,1] neg_hi:[0,0,1]
	s_delay_alu instid0(VALU_DEP_1) | instskip(SKIP_1) | instid1(VALU_DEP_1)
	v_pk_add_f32 v[24:25], v[24:25], v[0:1]
	v_or_b32_e32 v0, s5, v142
	v_lshlrev_b32_e32 v1, 2, v0
	s_set_vgpr_msb 64                       ;  msbs: dst=1 src0=0 src1=0 src2=0
	v_lshrrev_b32_e32 v248 /*v504*/, 1, v0
	s_set_vgpr_msb 0                        ;  msbs: dst=0 src0=0 src1=0 src2=0
	ds_load_b128 v[8:11], v1 offset:16896
	ds_load_b128 v[4:7], v1 offset:16912
	;; [unrolled: 1-line block ×4, first 2 shown]
	s_wait_dscnt 0x3
	v_bfe_i32 v43, v8, 0, 8
	v_bfe_i32 v58, v8, 8, 8
	;; [unrolled: 1-line block ×3, first 2 shown]
	v_ashrrev_i32_e32 v8, 24, v8
	v_bfe_i32 v61, v9, 0, 8
	s_set_vgpr_msb 4                        ;  msbs: dst=0 src0=0 src1=1 src2=0
	v_mul_i32_i24_e32 v59, v43, v118 /*v374*/
	v_bfe_i32 v62, v9, 8, 8
	v_bfe_i32 v65, v10, 0, 8
	;; [unrolled: 1-line block ×4, first 2 shown]
	s_set_vgpr_msb 0                        ;  msbs: dst=0 src0=0 src1=0 src2=0
	v_ashrrev_i32_e32 v10, 24, v10
	s_set_vgpr_msb 0x44                     ;  msbs: dst=1 src0=0 src1=1 src2=0
	v_mul_i32_i24_e32 v180 /*v436*/, v60, v119 /*v375*/
	v_mul_i32_i24_e32 v181 /*v437*/, v8, v120 /*v376*/
	s_set_vgpr_msb 4                        ;  msbs: dst=0 src0=0 src1=1 src2=0
	v_mad_i32_i24 v59, v58, v117 /*v373*/, v59
	v_bfe_i32 v64, v9, 16, 8
	s_set_vgpr_msb 0                        ;  msbs: dst=0 src0=0 src1=0 src2=0
	v_ashrrev_i32_e32 v9, 24, v9
	s_set_vgpr_msb 0x44                     ;  msbs: dst=1 src0=0 src1=1 src2=0
	v_mul_i32_i24_e32 v184 /*v440*/, v65, v125 /*v381*/
	v_mul_i32_i24_e32 v185 /*v441*/, v66, v126 /*v382*/
	s_set_vgpr_msb 20                       ;  msbs: dst=0 src0=0 src1=1 src2=1
	v_add3_u32 v59, v59, v180 /*v436*/, v181 /*v437*/
	s_set_vgpr_msb 0x44                     ;  msbs: dst=1 src0=0 src1=1 src2=0
	v_mul_i32_i24_e32 v180 /*v436*/, v61, v121 /*v377*/
	v_mul_i32_i24_e32 v181 /*v437*/, v62, v122 /*v378*/
	;; [unrolled: 1-line block ×4, first 2 shown]
	s_set_vgpr_msb 20                       ;  msbs: dst=0 src0=0 src1=1 src2=1
	v_bfe_i32 v69, v11, 0, 8
	v_bfe_i32 v70, v11, 8, 8
	v_add3_u32 v59, v59, v180 /*v436*/, v181 /*v437*/
	s_set_vgpr_msb 0x44                     ;  msbs: dst=1 src0=0 src1=1 src2=0
	v_mul_i32_i24_e32 v186 /*v442*/, v68, v127 /*v383*/
	v_mul_i32_i24_e32 v187 /*v443*/, v10, v128 /*v384*/
	s_set_vgpr_msb 0                        ;  msbs: dst=0 src0=0 src1=0 src2=0
	v_bfe_i32 v72, v11, 16, 8
	v_ashrrev_i32_e32 v11, 24, v11
	s_set_vgpr_msb 20                       ;  msbs: dst=0 src0=0 src1=1 src2=1
	v_add3_u32 v59, v59, v182 /*v438*/, v183 /*v439*/
	s_set_vgpr_msb 0x44                     ;  msbs: dst=1 src0=0 src1=1 src2=0
	v_mul_i32_i24_e32 v188 /*v444*/, v69, v129 /*v385*/
	v_mul_i32_i24_e32 v189 /*v445*/, v70, v130 /*v386*/
	s_wait_dscnt 0x2
	s_set_vgpr_msb 20                       ;  msbs: dst=0 src0=0 src1=1 src2=1
	v_bfe_i32 v74, v4, 0, 8
	v_bfe_i32 v76, v4, 8, 8
	v_add3_u32 v59, v59, v184 /*v440*/, v185 /*v441*/
	v_bfe_i32 v78, v4, 16, 8
	s_set_vgpr_msb 0                        ;  msbs: dst=0 src0=0 src1=0 src2=0
	v_ashrrev_i32_e32 v4, 24, v4
	s_set_vgpr_msb 0x44                     ;  msbs: dst=1 src0=0 src1=1 src2=0
	v_mul_i32_i24_e32 v198 /*v454*/, v72, v131 /*v387*/
	v_mul_i32_i24_e32 v199 /*v455*/, v11, v132 /*v388*/
	s_set_vgpr_msb 20                       ;  msbs: dst=0 src0=0 src1=1 src2=1
	v_add3_u32 v59, v59, v186 /*v442*/, v187 /*v443*/
	s_set_vgpr_msb 0x44                     ;  msbs: dst=1 src0=0 src1=1 src2=0
	v_mul_i32_i24_e32 v200 /*v456*/, v74, v133 /*v389*/
	v_mul_i32_i24_e32 v201 /*v457*/, v76, v134 /*v390*/
	s_set_vgpr_msb 20                       ;  msbs: dst=0 src0=0 src1=1 src2=1
	v_bfe_i32 v80, v5, 0, 8
	v_bfe_i32 v82, v5, 8, 8
	v_add3_u32 v59, v59, v188 /*v444*/, v189 /*v445*/
	s_set_vgpr_msb 0x41                     ;  msbs: dst=1 src0=1 src1=0 src2=0
	v_mul_i32_i24_e32 v202 /*v458*/, v136 /*v392*/, v78
	v_mul_i32_i24_e32 v203 /*v459*/, v135 /*v391*/, v4
	s_set_vgpr_msb 0                        ;  msbs: dst=0 src0=0 src1=0 src2=0
	v_bfe_i32 v91, v5, 16, 8
	v_ashrrev_i32_e32 v5, 24, v5
	s_set_vgpr_msb 20                       ;  msbs: dst=0 src0=0 src1=1 src2=1
	v_add3_u32 v59, v59, v198 /*v454*/, v199 /*v455*/
	s_set_vgpr_msb 0x41                     ;  msbs: dst=1 src0=1 src1=0 src2=0
	v_mul_i32_i24_e32 v204 /*v460*/, v138 /*v394*/, v80
	v_mul_i32_i24_e32 v205 /*v461*/, v137 /*v393*/, v82
	s_set_vgpr_msb 20                       ;  msbs: dst=0 src0=0 src1=1 src2=1
	v_bfe_i32 v93, v6, 0, 8
	v_bfe_i32 v148, v6, 8, 8
	v_add3_u32 v59, v59, v200 /*v456*/, v201 /*v457*/
	v_bfe_i32 v149, v6, 16, 8
	s_set_vgpr_msb 0                        ;  msbs: dst=0 src0=0 src1=0 src2=0
	v_ashrrev_i32_e32 v6, 24, v6
	s_set_vgpr_msb 0x41                     ;  msbs: dst=1 src0=1 src1=0 src2=0
	v_mul_i32_i24_e32 v206 /*v462*/, v140 /*v396*/, v91
	v_mul_i32_i24_e32 v207 /*v463*/, v139 /*v395*/, v5
	s_set_vgpr_msb 20                       ;  msbs: dst=0 src0=0 src1=1 src2=1
	v_add3_u32 v59, v59, v202 /*v458*/, v203 /*v459*/
	s_set_vgpr_msb 0x41                     ;  msbs: dst=1 src0=1 src1=0 src2=0
	v_mul_i32_i24_e32 v208 /*v464*/, v148 /*v404*/, v93
	v_mul_i32_i24_e32 v209 /*v465*/, v141 /*v397*/, v148
	s_wait_dscnt 0x1
	s_set_vgpr_msb 0                        ;  msbs: dst=0 src0=0 src1=0 src2=0
	v_bfe_i32 v152, v12, 0, 8
	s_set_vgpr_msb 0x41                     ;  msbs: dst=1 src0=1 src1=0 src2=0
	v_mul_i32_i24_e32 v210 /*v466*/, v152 /*v408*/, v149
	s_set_vgpr_msb 20                       ;  msbs: dst=0 src0=0 src1=1 src2=1
	v_add3_u32 v59, v59, v204 /*v460*/, v205 /*v461*/
	s_set_vgpr_msb 0x41                     ;  msbs: dst=1 src0=1 src1=0 src2=0
	v_mul_i32_i24_e32 v211 /*v467*/, v149 /*v405*/, v6
	s_set_vgpr_msb 0                        ;  msbs: dst=0 src0=0 src1=0 src2=0
	v_bfe_i32 v153, v12, 8, 8
	v_bfe_i32 v154, v12, 16, 8
	v_ashrrev_i32_e32 v12, 24, v12
	s_set_vgpr_msb 20                       ;  msbs: dst=0 src0=0 src1=1 src2=1
	v_add3_u32 v59, v59, v206 /*v462*/, v207 /*v463*/
	v_bfe_i32 v155, v13, 0, 8
	v_bfe_i32 v156, v13, 8, 8
	v_bfe_i32 v157, v13, 16, 8
	s_set_vgpr_msb 0                        ;  msbs: dst=0 src0=0 src1=0 src2=0
	v_ashrrev_i32_e32 v13, 24, v13
	s_set_vgpr_msb 20                       ;  msbs: dst=0 src0=0 src1=1 src2=1
	v_add3_u32 v59, v59, v208 /*v464*/, v209 /*v465*/
	s_set_vgpr_msb 0x41                     ;  msbs: dst=1 src0=1 src1=0 src2=0
	v_mul_i32_i24_e32 v180 /*v436*/, v156 /*v412*/, v154
	v_mul_i32_i24_e32 v181 /*v437*/, v150 /*v406*/, v12
	;; [unrolled: 1-line block ×4, first 2 shown]
	s_set_vgpr_msb 0x54                     ;  msbs: dst=1 src0=0 src1=1 src2=1
	v_add3_u32 v254 /*v510*/, v59, v210 /*v466*/, v211 /*v467*/
	s_set_vgpr_msb 1                        ;  msbs: dst=0 src0=1 src1=0 src2=0
	v_mul_i32_i24_e32 v59, v157 /*v413*/, v152
	s_set_vgpr_msb 0                        ;  msbs: dst=0 src0=0 src1=0 src2=0
	v_bfe_i32 v158, v14, 0, 8
	v_bfe_i32 v159, v14, 8, 8
	;; [unrolled: 1-line block ×3, first 2 shown]
	v_ashrrev_i32_e32 v14, 24, v14
	s_set_vgpr_msb 1                        ;  msbs: dst=0 src0=1 src1=0 src2=0
	v_mad_i32_i24 v59, v155 /*v411*/, v153, v59
	s_set_vgpr_msb 0x41                     ;  msbs: dst=1 src0=1 src1=0 src2=0
	v_mul_i32_i24_e32 v184 /*v440*/, v163 /*v419*/, v158
	v_mul_i32_i24_e32 v185 /*v441*/, v162 /*v418*/, v159
	s_set_vgpr_msb 20                       ;  msbs: dst=0 src0=0 src1=1 src2=1
	v_bfe_i32 v161, v15, 0, 8
	v_bfe_i32 v162, v15, 8, 8
	v_add3_u32 v59, v59, v180 /*v436*/, v181 /*v437*/
	s_set_vgpr_msb 0x41                     ;  msbs: dst=1 src0=1 src1=0 src2=0
	v_mul_i32_i24_e32 v180 /*v436*/, v160 /*v416*/, v155
	v_mul_i32_i24_e32 v181 /*v437*/, v159 /*v415*/, v156
	s_set_vgpr_msb 0                        ;  msbs: dst=0 src0=0 src1=0 src2=0
	v_bfe_i32 v163, v15, 16, 8
	v_ashrrev_i32_e32 v15, 24, v15
	s_set_vgpr_msb 0x41                     ;  msbs: dst=1 src0=1 src1=0 src2=0
	v_mul_i32_i24_e32 v186 /*v442*/, v161 /*v417*/, v160
	v_mul_i32_i24_e32 v187 /*v443*/, v143 /*v399*/, v14
	s_set_vgpr_msb 20                       ;  msbs: dst=0 src0=0 src1=1 src2=1
	v_add3_u32 v59, v59, v180 /*v436*/, v181 /*v437*/
	s_set_vgpr_msb 0x44                     ;  msbs: dst=1 src0=0 src1=1 src2=0
	v_mul_i32_i24_e32 v180 /*v436*/, v43, v59 /*v315*/
	v_mul_i32_i24_e32 v181 /*v437*/, v60, v60 /*v316*/
	s_set_vgpr_msb 0x41                     ;  msbs: dst=1 src0=1 src1=0 src2=0
	v_mul_i32_i24_e32 v188 /*v444*/, v166 /*v422*/, v161
	v_mul_i32_i24_e32 v189 /*v445*/, v165 /*v421*/, v162
	s_set_vgpr_msb 20                       ;  msbs: dst=0 src0=0 src1=1 src2=1
	v_add3_u32 v59, v59, v182 /*v438*/, v183 /*v439*/
	s_set_vgpr_msb 0x54                     ;  msbs: dst=1 src0=0 src1=1 src2=1
	v_mul_i32_i24_e32 v182 /*v438*/, v8, v61 /*v317*/
	v_mad_i32_i24 v180 /*v436*/, v58, v58 /*v314*/, v180 /*v436*/
	v_mul_i32_i24_e32 v183 /*v439*/, v64, v64 /*v320*/
	s_wait_dscnt 0x0
	v_bfe_i32 v177 /*v433*/, v0, 0, 8
	s_set_vgpr_msb 20                       ;  msbs: dst=0 src0=0 src1=1 src2=1
	v_add3_u32 v59, v59, v184 /*v440*/, v185 /*v441*/
	s_set_vgpr_msb 0x44                     ;  msbs: dst=1 src0=0 src1=1 src2=0
	v_mul_i32_i24_e32 v184 /*v440*/, v9, v65 /*v321*/
	s_set_vgpr_msb 0x55                     ;  msbs: dst=1 src0=1 src1=1 src2=1
	v_add3_u32 v180 /*v436*/, v180 /*v436*/, v181 /*v437*/, v182 /*v438*/
	s_set_vgpr_msb 0x44                     ;  msbs: dst=1 src0=0 src1=1 src2=0
	v_mul_i32_i24_e32 v181 /*v437*/, v61, v62 /*v318*/
	v_mul_i32_i24_e32 v182 /*v438*/, v62, v63 /*v319*/
	s_set_vgpr_msb 20                       ;  msbs: dst=0 src0=0 src1=1 src2=1
	v_add3_u32 v59, v59, v186 /*v442*/, v187 /*v443*/
	s_set_vgpr_msb 0x44                     ;  msbs: dst=1 src0=0 src1=1 src2=0
	v_mul_i32_i24_e32 v185 /*v441*/, v65, v66 /*v322*/
	v_mul_i32_i24_e32 v186 /*v442*/, v66, v67 /*v323*/
	v_bfe_i32 v178 /*v434*/, v0, 8, 8
	s_set_vgpr_msb 0x55                     ;  msbs: dst=1 src0=1 src1=1 src2=1
	v_add3_u32 v180 /*v436*/, v180 /*v436*/, v181 /*v437*/, v182 /*v438*/
	s_set_vgpr_msb 0x41                     ;  msbs: dst=1 src0=1 src1=0 src2=0
	v_mul_i32_i24_e32 v198 /*v454*/, v164 /*v420*/, v163
	v_mul_i32_i24_e32 v199 /*v455*/, v144 /*v400*/, v15
	s_set_vgpr_msb 20                       ;  msbs: dst=0 src0=0 src1=1 src2=1
	v_add3_u32 v59, v59, v188 /*v444*/, v189 /*v445*/
	s_set_vgpr_msb 0x44                     ;  msbs: dst=1 src0=0 src1=1 src2=0
	v_mul_i32_i24_e32 v187 /*v443*/, v68, v68 /*v324*/
	s_set_vgpr_msb 0x55                     ;  msbs: dst=1 src0=1 src1=1 src2=1
	v_add3_u32 v180 /*v436*/, v180 /*v436*/, v183 /*v439*/, v184 /*v440*/
	s_set_vgpr_msb 0x44                     ;  msbs: dst=1 src0=0 src1=1 src2=0
	v_mul_i32_i24_e32 v188 /*v444*/, v10, v69 /*v325*/
	v_bfe_i32 v190 /*v446*/, v0, 16, 8
	s_set_vgpr_msb 0                        ;  msbs: dst=0 src0=0 src1=0 src2=0
	v_ashrrev_i32_e32 v0, 24, v0
	s_set_vgpr_msb 0x55                     ;  msbs: dst=1 src0=1 src1=1 src2=1
	v_mul_i32_i24_e32 v200 /*v456*/, v169 /*v425*/, v177 /*v433*/
	v_add3_u32 v180 /*v436*/, v180 /*v436*/, v185 /*v441*/, v186 /*v442*/
	v_mul_i32_i24_e32 v201 /*v457*/, v168 /*v424*/, v178 /*v434*/
	s_set_vgpr_msb 20                       ;  msbs: dst=0 src0=0 src1=1 src2=1
	v_add3_u32 v59, v59, v198 /*v454*/, v199 /*v455*/
	s_set_vgpr_msb 0x44                     ;  msbs: dst=1 src0=0 src1=1 src2=0
	v_mul_i32_i24_e32 v189 /*v445*/, v69, v70 /*v326*/
	v_mul_i32_i24_e32 v198 /*v454*/, v70, v71 /*v327*/
	s_set_vgpr_msb 0x55                     ;  msbs: dst=1 src0=1 src1=1 src2=1
	v_add3_u32 v180 /*v436*/, v180 /*v436*/, v187 /*v443*/, v188 /*v444*/
	s_set_vgpr_msb 64                       ;  msbs: dst=1 src0=0 src1=0 src2=0
	v_bfe_i32 v191 /*v447*/, v1, 0, 8
	v_bfe_i32 v192 /*v448*/, v1, 8, 8
	;; [unrolled: 1-line block ×3, first 2 shown]
	s_set_vgpr_msb 0                        ;  msbs: dst=0 src0=0 src1=0 src2=0
	v_ashrrev_i32_e32 v1, 24, v1
	s_set_vgpr_msb 0x45                     ;  msbs: dst=1 src0=1 src1=1 src2=0
	v_mul_i32_i24_e32 v202 /*v458*/, v167 /*v423*/, v190 /*v446*/
	s_set_vgpr_msb 0x41                     ;  msbs: dst=1 src0=1 src1=0 src2=0
	v_mul_i32_i24_e32 v203 /*v459*/, v145 /*v401*/, v0
	s_set_vgpr_msb 20                       ;  msbs: dst=0 src0=0 src1=1 src2=1
	v_add3_u32 v59, v59, v200 /*v456*/, v201 /*v457*/
	s_set_vgpr_msb 0x44                     ;  msbs: dst=1 src0=0 src1=1 src2=0
	v_mul_i32_i24_e32 v199 /*v455*/, v72, v72 /*v328*/
	v_mul_i32_i24_e32 v200 /*v456*/, v11, v73 /*v329*/
	s_set_vgpr_msb 0x55                     ;  msbs: dst=1 src0=1 src1=1 src2=1
	v_add3_u32 v180 /*v436*/, v180 /*v436*/, v189 /*v445*/, v198 /*v454*/
	v_mul_i32_i24_e32 v204 /*v460*/, v172 /*v428*/, v191 /*v447*/
	v_mul_i32_i24_e32 v205 /*v461*/, v171 /*v427*/, v192 /*v448*/
	s_set_vgpr_msb 20                       ;  msbs: dst=0 src0=0 src1=1 src2=1
	v_add3_u32 v59, v59, v202 /*v458*/, v203 /*v459*/
	s_set_vgpr_msb 0x44                     ;  msbs: dst=1 src0=0 src1=1 src2=0
	v_mul_i32_i24_e32 v201 /*v457*/, v74, v74 /*v330*/
	v_mul_i32_i24_e32 v202 /*v458*/, v76, v75 /*v331*/
	s_set_vgpr_msb 0x55                     ;  msbs: dst=1 src0=1 src1=1 src2=1
	v_add3_u32 v180 /*v436*/, v180 /*v436*/, v199 /*v455*/, v200 /*v456*/
	s_set_vgpr_msb 64                       ;  msbs: dst=1 src0=0 src1=0 src2=0
	v_bfe_i32 v194 /*v450*/, v2, 0, 8
	v_bfe_i32 v195 /*v451*/, v2, 8, 8
	s_set_vgpr_msb 0x45                     ;  msbs: dst=1 src0=1 src1=1 src2=0
	v_mul_i32_i24_e32 v206 /*v462*/, v170 /*v426*/, v193 /*v449*/
	s_set_vgpr_msb 0x41                     ;  msbs: dst=1 src0=1 src1=0 src2=0
	v_mul_i32_i24_e32 v207 /*v463*/, v146 /*v402*/, v1
	s_set_vgpr_msb 20                       ;  msbs: dst=0 src0=0 src1=1 src2=1
	v_add3_u32 v59, v59, v204 /*v460*/, v205 /*v461*/
	s_set_vgpr_msb 0x41                     ;  msbs: dst=1 src0=1 src1=0 src2=0
	v_mul_i32_i24_e32 v203 /*v459*/, v77 /*v333*/, v78
	v_mul_i32_i24_e32 v204 /*v460*/, v76 /*v332*/, v4
	s_set_vgpr_msb 0x55                     ;  msbs: dst=1 src0=1 src1=1 src2=1
	v_add3_u32 v180 /*v436*/, v180 /*v436*/, v201 /*v457*/, v202 /*v458*/
	s_set_vgpr_msb 64                       ;  msbs: dst=1 src0=0 src1=0 src2=0
	v_bfe_i32 v196 /*v452*/, v2, 16, 8
	s_set_vgpr_msb 0                        ;  msbs: dst=0 src0=0 src1=0 src2=0
	v_ashrrev_i32_e32 v2, 24, v2
	s_set_vgpr_msb 0x45                     ;  msbs: dst=1 src0=1 src1=1 src2=0
	v_mul_i32_i24_e32 v208 /*v464*/, v175 /*v431*/, v194 /*v450*/
	v_mul_i32_i24_e32 v209 /*v465*/, v174 /*v430*/, v195 /*v451*/
	s_set_vgpr_msb 20                       ;  msbs: dst=0 src0=0 src1=1 src2=1
	v_add3_u32 v59, v59, v206 /*v462*/, v207 /*v463*/
	s_set_vgpr_msb 0x41                     ;  msbs: dst=1 src0=1 src1=0 src2=0
	v_mul_i32_i24_e32 v205 /*v461*/, v79 /*v335*/, v80
	v_mul_i32_i24_e32 v206 /*v462*/, v78 /*v334*/, v82
	s_set_vgpr_msb 0x55                     ;  msbs: dst=1 src0=1 src1=1 src2=1
	v_add3_u32 v180 /*v436*/, v180 /*v436*/, v203 /*v459*/, v204 /*v460*/
	v_mul_i32_i24_e32 v210 /*v466*/, v173 /*v429*/, v196 /*v452*/
	s_set_vgpr_msb 0x41                     ;  msbs: dst=1 src0=1 src1=0 src2=0
	v_mul_i32_i24_e32 v211 /*v467*/, v147 /*v403*/, v2
	s_set_vgpr_msb 20                       ;  msbs: dst=0 src0=0 src1=1 src2=1
	v_add3_u32 v59, v59, v208 /*v464*/, v209 /*v465*/
	s_set_vgpr_msb 0x41                     ;  msbs: dst=1 src0=1 src1=0 src2=0
	v_mul_i32_i24_e32 v207 /*v463*/, v81 /*v337*/, v91
	v_mul_i32_i24_e32 v208 /*v464*/, v80 /*v336*/, v5
	s_set_vgpr_msb 0x55                     ;  msbs: dst=1 src0=1 src1=1 src2=1
	v_add3_u32 v180 /*v436*/, v180 /*v436*/, v205 /*v461*/, v206 /*v462*/
	s_set_vgpr_msb 0x41                     ;  msbs: dst=1 src0=1 src1=0 src2=0
	v_mul_i32_i24_e32 v209 /*v465*/, v83 /*v339*/, v93
	s_set_vgpr_msb 20                       ;  msbs: dst=0 src0=0 src1=1 src2=1
	v_add3_u32 v59, v59, v210 /*v466*/, v211 /*v467*/
	s_set_vgpr_msb 0x41                     ;  msbs: dst=1 src0=1 src1=0 src2=0
	v_mul_i32_i24_e32 v210 /*v466*/, v82 /*v338*/, v148
	v_mul_i32_i24_e32 v211 /*v467*/, v86 /*v342*/, v149
	s_set_vgpr_msb 0x55                     ;  msbs: dst=1 src0=1 src1=1 src2=1
	v_add3_u32 v180 /*v436*/, v180 /*v436*/, v207 /*v463*/, v208 /*v464*/
	s_set_vgpr_msb 0x41                     ;  msbs: dst=1 src0=1 src1=0 src2=0
	v_mul_i32_i24_e32 v212 /*v468*/, v84 /*v340*/, v6
	s_set_vgpr_msb 0x44                     ;  msbs: dst=1 src0=0 src1=1 src2=0
	v_mul_i32_i24_e32 v181 /*v437*/, v154, v85 /*v341*/
	v_mul_i32_i24_e32 v182 /*v438*/, v12, v91 /*v347*/
	;; [unrolled: 1-line block ×3, first 2 shown]
	s_set_vgpr_msb 0x55                     ;  msbs: dst=1 src0=1 src1=1 src2=1
	v_add3_u32 v180 /*v436*/, v180 /*v436*/, v209 /*v465*/, v210 /*v466*/
	s_set_vgpr_msb 0x44                     ;  msbs: dst=1 src0=0 src1=1 src2=0
	v_mul_i32_i24_e32 v184 /*v440*/, v13, v96 /*v352*/
	v_mul_i32_i24_e32 v185 /*v441*/, v158, v97 /*v353*/
	;; [unrolled: 1-line block ×4, first 2 shown]
	s_set_vgpr_msb 0x55                     ;  msbs: dst=1 src0=1 src1=1 src2=1
	v_add3_u32 v251 /*v507*/, v180 /*v436*/, v211 /*v467*/, v212 /*v468*/
	s_set_vgpr_msb 0x54                     ;  msbs: dst=1 src0=0 src1=1 src2=1
	v_mul_i32_i24_e32 v180 /*v436*/, v152, v88 /*v344*/
	v_mul_i32_i24_e32 v189 /*v445*/, v14, v100 /*v356*/
	;; [unrolled: 1-line block ×5, first 2 shown]
	v_mad_i32_i24 v180 /*v436*/, v153, v87 /*v343*/, v180 /*v436*/
	v_mul_i32_i24_e32 v201 /*v457*/, v15, v103 /*v359*/
	s_set_vgpr_msb 0x55                     ;  msbs: dst=1 src0=1 src1=1 src2=1
	v_mul_i32_i24_e32 v202 /*v458*/, v104 /*v360*/, v177 /*v433*/
	v_mul_i32_i24_e32 v203 /*v459*/, v105 /*v361*/, v178 /*v434*/
	;; [unrolled: 1-line block ×3, first 2 shown]
	v_add3_u32 v180 /*v436*/, v180 /*v436*/, v181 /*v437*/, v182 /*v438*/
	s_set_vgpr_msb 0x44                     ;  msbs: dst=1 src0=0 src1=1 src2=0
	v_mul_i32_i24_e32 v181 /*v437*/, v155, v93 /*v349*/
	v_mul_i32_i24_e32 v182 /*v438*/, v156, v94 /*v350*/
	s_set_vgpr_msb 0x41                     ;  msbs: dst=1 src0=1 src1=0 src2=0
	v_mul_i32_i24_e32 v205 /*v461*/, v106 /*v362*/, v0
	s_set_vgpr_msb 0x55                     ;  msbs: dst=1 src0=1 src1=1 src2=1
	v_mul_i32_i24_e32 v206 /*v462*/, v108 /*v364*/, v191 /*v447*/
	v_mul_i32_i24_e32 v207 /*v463*/, v109 /*v365*/, v192 /*v448*/
	v_mul_i32_i24_e32 v208 /*v464*/, v111 /*v367*/, v193 /*v449*/
	v_add3_u32 v180 /*v436*/, v180 /*v436*/, v181 /*v437*/, v182 /*v438*/
	s_set_vgpr_msb 0x41                     ;  msbs: dst=1 src0=1 src1=0 src2=0
	v_mul_i32_i24_e32 v209 /*v465*/, v110 /*v366*/, v1
	s_set_vgpr_msb 0x55                     ;  msbs: dst=1 src0=1 src1=1 src2=1
	v_mul_i32_i24_e32 v210 /*v466*/, v112 /*v368*/, v194 /*v450*/
	v_mul_i32_i24_e32 v211 /*v467*/, v113 /*v369*/, v195 /*v451*/
	;; [unrolled: 1-line block ×3, first 2 shown]
	v_add3_u32 v180 /*v436*/, v180 /*v436*/, v183 /*v439*/, v184 /*v440*/
	s_set_vgpr_msb 0x41                     ;  msbs: dst=1 src0=1 src1=0 src2=0
	v_mul_i32_i24_e32 v213 /*v469*/, v114 /*v370*/, v2
	s_set_vgpr_msb 64                       ;  msbs: dst=1 src0=0 src1=0 src2=0
	v_mul_i32_i24_e32 v181 /*v437*/, v60, v247
	v_mul_i32_i24_e32 v182 /*v438*/, v8, v248
	;; [unrolled: 1-line block ×3, first 2 shown]
	s_set_vgpr_msb 0x55                     ;  msbs: dst=1 src0=1 src1=1 src2=1
	v_add3_u32 v180 /*v436*/, v180 /*v436*/, v185 /*v441*/, v186 /*v442*/
	s_set_vgpr_msb 64                       ;  msbs: dst=1 src0=0 src1=0 src2=0
	v_mul_i32_i24_e32 v184 /*v440*/, v9, v252
	s_set_vgpr_msb 0                        ;  msbs: dst=0 src0=0 src1=0 src2=0
	v_mul_i32_i24_e32 v60, v60, v185
	v_mul_i32_i24_e32 v8, v8, v186
	;; [unrolled: 1-line block ×3, first 2 shown]
	s_set_vgpr_msb 0x55                     ;  msbs: dst=1 src0=1 src1=1 src2=1
	v_add3_u32 v180 /*v436*/, v180 /*v436*/, v187 /*v443*/, v189 /*v445*/
	s_set_vgpr_msb 64                       ;  msbs: dst=1 src0=0 src1=0 src2=0
	v_mul_i32_i24_e32 v187 /*v443*/, v65, v253
	s_set_vgpr_msb 0x41                     ;  msbs: dst=1 src0=1 src1=0 src2=0
	v_mul_i32_i24_e32 v214 /*v470*/, v13 /*v269*/, v148
	v_mul_i32_i24_e32 v215 /*v471*/, v17 /*v273*/, v149
	;; [unrolled: 1-line block ×3, first 2 shown]
	s_set_vgpr_msb 0x55                     ;  msbs: dst=1 src0=1 src1=1 src2=1
	v_add3_u32 v180 /*v436*/, v180 /*v436*/, v198 /*v454*/, v199 /*v455*/
	s_set_vgpr_msb 64                       ;  msbs: dst=1 src0=0 src1=0 src2=0
	v_mul_i32_i24_e32 v198 /*v454*/, v66, v254
	v_mul_i32_i24_e32 v199 /*v455*/, v68, v255
	s_set_vgpr_msb 0                        ;  msbs: dst=0 src0=0 src1=0 src2=0
	v_mul_i32_i24_e32 v6, v209, v6
	s_set_vgpr_msb 0x41                     ;  msbs: dst=1 src0=1 src1=0 src2=0
	v_mul_i32_i24_e32 v218 /*v474*/, v45 /*v301*/, v2
	s_set_vgpr_msb 0x55                     ;  msbs: dst=1 src0=1 src1=1 src2=1
	v_add3_u32 v180 /*v436*/, v180 /*v436*/, v200 /*v456*/, v201 /*v457*/
	s_set_vgpr_msb 0x44                     ;  msbs: dst=1 src0=0 src1=1 src2=0
	v_mul_i32_i24_e32 v200 /*v456*/, v10, v0 /*v256*/
	v_mul_i32_i24_e32 v201 /*v457*/, v69, v1 /*v257*/
	s_set_vgpr_msb 0                        ;  msbs: dst=0 src0=0 src1=0 src2=0
	v_mul_i32_i24_e32 v10, v10, v194
	v_mul_i32_i24_e32 v2, v239, v2
	s_set_vgpr_msb 0x55                     ;  msbs: dst=1 src0=1 src1=1 src2=1
	v_add3_u32 v180 /*v436*/, v180 /*v436*/, v202 /*v458*/, v203 /*v459*/
	s_set_vgpr_msb 0x44                     ;  msbs: dst=1 src0=0 src1=1 src2=0
	v_mul_i32_i24_e32 v202 /*v458*/, v70, v2 /*v258*/
	v_mul_i32_i24_e32 v203 /*v459*/, v72, v3 /*v259*/
	s_set_vgpr_msb 0x45                     ;  msbs: dst=1 src0=1 src1=1 src2=0
	v_mul_i32_i24_e32 v217 /*v473*/, v46 /*v302*/, v196 /*v452*/
	s_set_vgpr_msb 64                       ;  msbs: dst=1 src0=0 src1=0 src2=0
	v_bfe_i32 v197 /*v453*/, v3, 0, 8
	s_set_vgpr_msb 0x55                     ;  msbs: dst=1 src0=1 src1=1 src2=1
	v_add3_u32 v180 /*v436*/, v180 /*v436*/, v204 /*v460*/, v205 /*v461*/
	s_set_vgpr_msb 0x44                     ;  msbs: dst=1 src0=0 src1=1 src2=0
	v_mul_i32_i24_e32 v204 /*v460*/, v11, v4 /*v260*/
	v_mul_i32_i24_e32 v205 /*v461*/, v74, v5 /*v261*/
	s_set_vgpr_msb 0                        ;  msbs: dst=0 src0=0 src1=0 src2=0
	v_mul_i32_i24_e32 v11, v11, v198
	s_set_vgpr_msb 0x55                     ;  msbs: dst=1 src0=1 src1=1 src2=1
	v_mul_i32_i24_e32 v255 /*v511*/, v197 /*v453*/, v151 /*v407*/
	v_add3_u32 v180 /*v436*/, v180 /*v436*/, v206 /*v462*/, v207 /*v463*/
	s_set_vgpr_msb 0x44                     ;  msbs: dst=1 src0=0 src1=1 src2=0
	v_mul_i32_i24_e32 v206 /*v462*/, v76, v6 /*v262*/
	s_set_vgpr_msb 0x41                     ;  msbs: dst=1 src0=1 src1=0 src2=0
	v_mul_i32_i24_e32 v207 /*v463*/, v8 /*v264*/, v78
	s_set_vgpr_msb 0x45                     ;  msbs: dst=1 src0=1 src1=1 src2=0
	v_mul_i32_i24_e32 v188 /*v444*/, v197 /*v453*/, v116 /*v372*/
	s_set_vgpr_msb 0                        ;  msbs: dst=0 src0=0 src1=0 src2=0
	v_bfe_i32 v150, v7, 0, 8
	s_set_vgpr_msb 0x55                     ;  msbs: dst=1 src0=1 src1=1 src2=1
	v_add3_u32 v180 /*v436*/, v180 /*v436*/, v208 /*v464*/, v209 /*v465*/
	s_set_vgpr_msb 0x41                     ;  msbs: dst=1 src0=1 src1=0 src2=0
	v_mul_i32_i24_e32 v208 /*v464*/, v7 /*v263*/, v4
	v_mul_i32_i24_e32 v209 /*v465*/, v10 /*v266*/, v80
	s_set_vgpr_msb 0                        ;  msbs: dst=0 src0=0 src1=0 src2=0
	v_mul_i32_i24_e32 v4, v201, v4
	v_bfe_i32 v151, v7, 8, 8
	s_set_vgpr_msb 0x55                     ;  msbs: dst=1 src0=1 src1=1 src2=1
	v_add3_u32 v180 /*v436*/, v180 /*v436*/, v210 /*v466*/, v211 /*v467*/
	s_set_vgpr_msb 0x41                     ;  msbs: dst=1 src0=1 src1=0 src2=0
	v_mul_i32_i24_e32 v210 /*v466*/, v9 /*v265*/, v82
	v_mul_i32_i24_e32 v211 /*v467*/, v12 /*v268*/, v91
	s_set_vgpr_msb 0x44                     ;  msbs: dst=1 src0=0 src1=1 src2=0
	v_bfe_i32 v179 /*v435*/, v7, 16, 8
	v_mul_i32_i24_e32 v252 /*v508*/, v150, v153 /*v409*/
	s_set_vgpr_msb 0x55                     ;  msbs: dst=1 src0=1 src1=1 src2=1
	v_add3_u32 v189 /*v445*/, v180 /*v436*/, v212 /*v468*/, v213 /*v469*/
	s_set_vgpr_msb 64                       ;  msbs: dst=1 src0=0 src1=0 src2=0
	v_mul_i32_i24_e32 v180 /*v436*/, v43, v246
	s_set_vgpr_msb 0                        ;  msbs: dst=0 src0=0 src1=0 src2=0
	v_mul_i32_i24_e32 v43, v43, v184
	s_set_vgpr_msb 0x41                     ;  msbs: dst=1 src0=1 src1=0 src2=0
	v_mul_i32_i24_e32 v212 /*v468*/, v11 /*v267*/, v5
	v_mul_i32_i24_e32 v213 /*v469*/, v14 /*v270*/, v93
	s_set_vgpr_msb 0                        ;  msbs: dst=0 src0=0 src1=0 src2=0
	v_mul_i32_i24_e32 v5, v205, v5
	s_set_vgpr_msb 0x50                     ;  msbs: dst=1 src0=0 src1=0 src2=1
	v_mad_i32_i24 v180 /*v436*/, v58, v245, v180 /*v436*/
	s_set_vgpr_msb 0                        ;  msbs: dst=0 src0=0 src1=0 src2=0
	v_mad_i32_i24 v43, v58, v183, v43
	v_mul_i32_i24_e32 v58, v62, v188
	s_set_vgpr_msb 0x44                     ;  msbs: dst=1 src0=0 src1=1 src2=0
	v_mul_i32_i24_e32 v253 /*v509*/, v151, v154 /*v410*/
	v_bfe_i32 v176 /*v432*/, v3, 8, 8
	s_set_vgpr_msb 0x55                     ;  msbs: dst=1 src0=1 src1=1 src2=1
	v_add3_u32 v180 /*v436*/, v180 /*v436*/, v181 /*v437*/, v182 /*v438*/
	s_set_vgpr_msb 64                       ;  msbs: dst=1 src0=0 src1=0 src2=0
	v_mul_i32_i24_e32 v181 /*v437*/, v61, v249
	v_mul_i32_i24_e32 v182 /*v438*/, v62, v250
	s_set_vgpr_msb 0                        ;  msbs: dst=0 src0=0 src1=0 src2=0
	v_add3_u32 v8, v43, v60, v8
	v_mul_i32_i24_e32 v43, v61, v187
	v_mul_i32_i24_e32 v60, v64, v189
	;; [unrolled: 1-line block ×3, first 2 shown]
	s_set_vgpr_msb 0x55                     ;  msbs: dst=1 src0=1 src1=1 src2=1
	v_add3_u32 v180 /*v436*/, v180 /*v436*/, v181 /*v437*/, v182 /*v438*/
	s_set_vgpr_msb 0                        ;  msbs: dst=0 src0=0 src1=0 src2=0
	v_mul_i32_i24_e32 v62, v66, v192
	v_add3_u32 v8, v8, v43, v58
	v_mul_i32_i24_e32 v64, v68, v193
	v_mul_i32_i24_e32 v65, v69, v195
	s_set_vgpr_msb 0x55                     ;  msbs: dst=1 src0=1 src1=1 src2=1
	v_add3_u32 v180 /*v436*/, v180 /*v436*/, v183 /*v439*/, v184 /*v440*/
	s_set_vgpr_msb 0                        ;  msbs: dst=0 src0=0 src1=0 src2=0
	v_mul_i32_i24_e32 v66, v70, v196
	v_add3_u32 v8, v8, v60, v9
	v_mul_i32_i24_e32 v68, v72, v197
	v_mul_i32_i24_e32 v69, v74, v199
	;; [unrolled: 7-line block ×3, first 2 shown]
	s_set_vgpr_msb 0x55                     ;  msbs: dst=1 src0=1 src1=1 src2=1
	v_add3_u32 v180 /*v436*/, v180 /*v436*/, v199 /*v455*/, v200 /*v456*/
	s_set_vgpr_msb 0                        ;  msbs: dst=0 src0=0 src1=0 src2=0
	v_mul_i32_i24_e32 v76, v203, v82
	v_add3_u32 v8, v8, v64, v10
	v_mul_i32_i24_e32 v78, v206, v91
	s_set_vgpr_msb 0x44                     ;  msbs: dst=1 src0=0 src1=1 src2=0
	v_mul_i32_i24_e32 v181 /*v437*/, v154, v16 /*v272*/
	s_set_vgpr_msb 0x55                     ;  msbs: dst=1 src0=1 src1=1 src2=1
	v_add3_u32 v180 /*v436*/, v180 /*v436*/, v201 /*v457*/, v202 /*v458*/
	s_set_vgpr_msb 0x44                     ;  msbs: dst=1 src0=0 src1=1 src2=0
	v_mul_i32_i24_e32 v182 /*v438*/, v12, v22 /*v278*/
	s_set_vgpr_msb 0                        ;  msbs: dst=0 src0=0 src1=0 src2=0
	v_add3_u32 v8, v8, v65, v66
	v_mul_i32_i24_e32 v80, v208, v93
	v_mul_i32_i24_e32 v82, v207, v148
	s_set_vgpr_msb 0x55                     ;  msbs: dst=1 src0=1 src1=1 src2=1
	v_add3_u32 v180 /*v436*/, v180 /*v436*/, v203 /*v459*/, v204 /*v460*/
	s_set_vgpr_msb 0                        ;  msbs: dst=0 src0=0 src1=0 src2=0
	v_mul_i32_i24_e32 v91, v211, v149
	v_add3_u32 v8, v8, v68, v11
	v_mul_i32_i24_e32 v9, v13, v221
	v_mul_i32_i24_e32 v10, v158, v222
	s_set_vgpr_msb 0x55                     ;  msbs: dst=1 src0=1 src1=1 src2=1
	v_add3_u32 v180 /*v436*/, v180 /*v436*/, v205 /*v461*/, v206 /*v462*/
	s_set_vgpr_msb 0                        ;  msbs: dst=0 src0=0 src1=0 src2=0
	v_mul_i32_i24_e32 v11, v159, v223
	v_add3_u32 v8, v8, v69, v70
	s_set_vgpr_msb 0x44                     ;  msbs: dst=1 src0=0 src1=1 src2=0
	v_mul_i32_i24_e32 v198 /*v454*/, v13, v27 /*v283*/
	s_set_vgpr_msb 0                        ;  msbs: dst=0 src0=0 src1=0 src2=0
	v_mul_i32_i24_e32 v13, v14, v225
	s_set_vgpr_msb 0x55                     ;  msbs: dst=1 src0=1 src1=1 src2=1
	v_add3_u32 v180 /*v436*/, v180 /*v436*/, v207 /*v463*/, v208 /*v464*/
	s_set_vgpr_msb 0x44                     ;  msbs: dst=1 src0=0 src1=1 src2=0
	v_mul_i32_i24_e32 v202 /*v458*/, v14, v31 /*v287*/
	s_set_vgpr_msb 0                        ;  msbs: dst=0 src0=0 src1=0 src2=0
	v_add3_u32 v4, v8, v72, v4
	v_mul_i32_i24_e32 v8, v157, v214
	v_mul_i32_i24_e32 v14, v161, v226
	s_set_vgpr_msb 0x55                     ;  msbs: dst=1 src0=1 src1=1 src2=1
	v_add3_u32 v180 /*v436*/, v180 /*v436*/, v209 /*v465*/, v210 /*v466*/
	s_set_vgpr_msb 0                        ;  msbs: dst=0 src0=0 src1=0 src2=0
	v_mul_i32_i24_e32 v43, v162, v227
	v_add3_u32 v4, v4, v74, v76
	s_set_vgpr_msb 0x44                     ;  msbs: dst=1 src0=0 src1=1 src2=0
	v_mul_i32_i24_e32 v206 /*v462*/, v15, v34 /*v290*/
	s_set_vgpr_msb 0                        ;  msbs: dst=0 src0=0 src1=0 src2=0
	v_mul_i32_i24_e32 v58, v163, v224
	s_set_vgpr_msb 0x55                     ;  msbs: dst=1 src0=1 src1=1 src2=1
	v_add3_u32 v180 /*v436*/, v180 /*v436*/, v211 /*v467*/, v212 /*v468*/
	s_set_vgpr_msb 0                        ;  msbs: dst=0 src0=0 src1=0 src2=0
	v_mul_i32_i24_e32 v15, v15, v228
	v_add3_u32 v4, v4, v78, v5
	v_mul_i32_i24_e32 v5, v154, v210
	s_set_vgpr_msb 4                        ;  msbs: dst=0 src0=0 src1=1 src2=0
	v_mul_i32_i24_e32 v60, v229, v177 /*v433*/
	s_set_vgpr_msb 0x55                     ;  msbs: dst=1 src0=1 src1=1 src2=1
	v_add3_u32 v180 /*v436*/, v180 /*v436*/, v213 /*v469*/, v214 /*v470*/
	s_set_vgpr_msb 4                        ;  msbs: dst=0 src0=0 src1=1 src2=0
	v_mul_i32_i24_e32 v61, v230, v178 /*v434*/
	s_set_vgpr_msb 0                        ;  msbs: dst=0 src0=0 src1=0 src2=0
	v_add3_u32 v4, v4, v80, v82
	s_set_vgpr_msb 0x41                     ;  msbs: dst=1 src0=1 src1=0 src2=0
	v_mul_i32_i24_e32 v210 /*v466*/, v37 /*v293*/, v0
	s_set_vgpr_msb 4                        ;  msbs: dst=0 src0=0 src1=1 src2=0
	v_mul_i32_i24_e32 v62, v232, v190 /*v446*/
	s_set_vgpr_msb 0x55                     ;  msbs: dst=1 src0=1 src1=1 src2=1
	v_add3_u32 v187 /*v443*/, v180 /*v436*/, v215 /*v471*/, v216 /*v472*/
	s_set_vgpr_msb 0x44                     ;  msbs: dst=1 src0=0 src1=1 src2=0
	v_mul_i32_i24_e32 v180 /*v436*/, v152, v19 /*v275*/
	s_set_vgpr_msb 0                        ;  msbs: dst=0 src0=0 src1=0 src2=0
	v_mul_i32_i24_e32 v0, v231, v0
	s_set_vgpr_msb 0x44                     ;  msbs: dst=1 src0=0 src1=1 src2=0
	v_mul_i32_i24_e32 v184 /*v440*/, v157, v20 /*v276*/
	s_set_vgpr_msb 4                        ;  msbs: dst=0 src0=0 src1=1 src2=0
	v_mul_i32_i24_e32 v64, v233, v191 /*v447*/
	v_mul_i32_i24_e32 v65, v234, v192 /*v448*/
	s_set_vgpr_msb 0x54                     ;  msbs: dst=1 src0=0 src1=1 src2=1
	v_mad_i32_i24 v180 /*v436*/, v153, v18 /*v274*/, v180 /*v436*/
	v_mul_i32_i24_e32 v199 /*v455*/, v158, v28 /*v284*/
	v_mul_i32_i24_e32 v200 /*v456*/, v159, v29 /*v285*/
	s_set_vgpr_msb 0x41                     ;  msbs: dst=1 src0=1 src1=0 src2=0
	v_mul_i32_i24_e32 v214 /*v470*/, v41 /*v297*/, v1
	s_set_vgpr_msb 4                        ;  msbs: dst=0 src0=0 src1=1 src2=0
	v_mul_i32_i24_e32 v66, v236, v193 /*v449*/
	s_set_vgpr_msb 0x55                     ;  msbs: dst=1 src0=1 src1=1 src2=1
	v_add3_u32 v180 /*v436*/, v180 /*v436*/, v181 /*v437*/, v182 /*v438*/
	s_set_vgpr_msb 0x44                     ;  msbs: dst=1 src0=0 src1=1 src2=0
	v_mul_i32_i24_e32 v181 /*v437*/, v155, v24 /*v280*/
	v_mul_i32_i24_e32 v182 /*v438*/, v156, v25 /*v281*/
	s_set_vgpr_msb 0                        ;  msbs: dst=0 src0=0 src1=0 src2=0
	v_mul_i32_i24_e32 v1, v235, v1
	s_set_vgpr_msb 0x44                     ;  msbs: dst=1 src0=0 src1=1 src2=0
	v_mul_i32_i24_e32 v201 /*v457*/, v160, v26 /*v282*/
	s_set_vgpr_msb 4                        ;  msbs: dst=0 src0=0 src1=1 src2=0
	v_mul_i32_i24_e32 v68, v237, v194 /*v450*/
	v_mul_i32_i24_e32 v69, v238, v195 /*v451*/
	s_set_vgpr_msb 0x55                     ;  msbs: dst=1 src0=1 src1=1 src2=1
	v_add3_u32 v180 /*v436*/, v180 /*v436*/, v181 /*v437*/, v182 /*v438*/
	s_set_vgpr_msb 64                       ;  msbs: dst=1 src0=0 src1=0 src2=0
	v_add3_u32 v182 /*v438*/, v4, v91, v6
	s_set_vgpr_msb 0                        ;  msbs: dst=0 src0=0 src1=0 src2=0
	v_mul_i32_i24_e32 v4, v152, v213
	v_mul_i32_i24_e32 v6, v12, v216
	;; [unrolled: 1-line block ×3, first 2 shown]
	s_set_vgpr_msb 0x55                     ;  msbs: dst=1 src0=1 src1=1 src2=1
	v_add3_u32 v180 /*v436*/, v180 /*v436*/, v184 /*v440*/, v198 /*v454*/
	s_set_vgpr_msb 0x44                     ;  msbs: dst=1 src0=0 src1=1 src2=0
	v_mul_i32_i24_e32 v203 /*v459*/, v161, v32 /*v288*/
	s_set_vgpr_msb 0                        ;  msbs: dst=0 src0=0 src1=0 src2=0
	v_mad_i32_i24 v4, v153, v212, v4
	s_set_vgpr_msb 0x44                     ;  msbs: dst=1 src0=0 src1=1 src2=0
	v_mul_i32_i24_e32 v204 /*v460*/, v162, v33 /*v289*/
	s_set_vgpr_msb 4                        ;  msbs: dst=0 src0=0 src1=1 src2=0
	v_mul_i32_i24_e32 v70, v240, v196 /*v452*/
	s_set_vgpr_msb 0x55                     ;  msbs: dst=1 src0=1 src1=1 src2=1
	v_add3_u32 v180 /*v436*/, v180 /*v436*/, v199 /*v455*/, v200 /*v456*/
	s_set_vgpr_msb 0x44                     ;  msbs: dst=1 src0=0 src1=1 src2=0
	v_mul_i32_i24_e32 v205 /*v461*/, v163, v30 /*v286*/
	s_set_vgpr_msb 0                        ;  msbs: dst=0 src0=0 src1=0 src2=0
	v_add3_u32 v4, v4, v5, v6
	v_mul_i32_i24_e32 v5, v155, v218
	v_mul_i32_i24_e32 v6, v156, v219
	s_set_vgpr_msb 0x55                     ;  msbs: dst=1 src0=1 src1=1 src2=1
	v_add3_u32 v180 /*v436*/, v180 /*v436*/, v201 /*v457*/, v202 /*v458*/
	v_mul_i32_i24_e32 v208 /*v464*/, v36 /*v292*/, v178 /*v434*/
	v_mul_i32_i24_e32 v207 /*v463*/, v35 /*v291*/, v177 /*v433*/
	v_mul_i32_i24_e32 v209 /*v465*/, v38 /*v294*/, v190 /*v446*/
	s_set_vgpr_msb 0                        ;  msbs: dst=0 src0=0 src1=0 src2=0
	v_add3_u32 v4, v4, v5, v6
	s_set_vgpr_msb 0x55                     ;  msbs: dst=1 src0=1 src1=1 src2=1
	v_add3_u32 v180 /*v436*/, v180 /*v436*/, v203 /*v459*/, v204 /*v460*/
	v_mul_i32_i24_e32 v211 /*v467*/, v39 /*v295*/, v191 /*v447*/
	v_mul_i32_i24_e32 v212 /*v468*/, v40 /*v296*/, v192 /*v448*/
	v_mul_i32_i24_e32 v213 /*v469*/, v42 /*v298*/, v193 /*v449*/
	s_set_vgpr_msb 0                        ;  msbs: dst=0 src0=0 src1=0 src2=0
	v_add3_u32 v4, v4, v8, v9
	;; [unrolled: 7-line block ×3, first 2 shown]
	s_set_vgpr_msb 0x55                     ;  msbs: dst=1 src0=1 src1=1 src2=1
	v_add3_u32 v180 /*v436*/, v180 /*v436*/, v207 /*v463*/, v208 /*v464*/
	s_set_vgpr_msb 0x41                     ;  msbs: dst=1 src0=1 src1=0 src2=0
	v_mul_i32_i24_e32 v177 /*v433*/, v197 /*v453*/, v241
	s_set_vgpr_msb 0x44                     ;  msbs: dst=1 src0=0 src1=1 src2=0
	v_mul_i32_i24_e32 v249 /*v505*/, v150, v90 /*v346*/
	v_mul_i32_i24_e32 v250 /*v506*/, v151, v92 /*v348*/
	s_set_vgpr_msb 0                        ;  msbs: dst=0 src0=0 src1=0 src2=0
	v_add3_u32 v4, v4, v12, v13
	s_set_vgpr_msb 0x55                     ;  msbs: dst=1 src0=1 src1=1 src2=1
	v_add3_u32 v180 /*v436*/, v180 /*v436*/, v209 /*v465*/, v210 /*v466*/
	s_set_vgpr_msb 0x44                     ;  msbs: dst=1 src0=0 src1=1 src2=0
	v_mul_i32_i24_e32 v185 /*v441*/, v150, v21 /*v277*/
	v_mul_i32_i24_e32 v186 /*v442*/, v151, v23 /*v279*/
	s_set_vgpr_msb 64                       ;  msbs: dst=1 src0=0 src1=0 src2=0
	v_mul_i32_i24_e32 v181 /*v437*/, v151, v217
	s_set_vgpr_msb 0                        ;  msbs: dst=0 src0=0 src1=0 src2=0
	v_add3_u32 v4, v4, v14, v43
	s_set_vgpr_msb 0x55                     ;  msbs: dst=1 src0=1 src1=1 src2=1
	v_add3_u32 v180 /*v436*/, v180 /*v436*/, v211 /*v467*/, v212 /*v468*/
	s_set_vgpr_msb 0                        ;  msbs: dst=0 src0=0 src1=0 src2=0
	s_delay_alu instid0(VALU_DEP_2) | instskip(SKIP_1) | instid1(VALU_DEP_2)
	v_add3_u32 v4, v4, v58, v15
	s_set_vgpr_msb 0x55                     ;  msbs: dst=1 src0=1 src1=1 src2=1
	v_add3_u32 v180 /*v436*/, v180 /*v436*/, v213 /*v469*/, v214 /*v470*/
	s_set_vgpr_msb 0                        ;  msbs: dst=0 src0=0 src1=0 src2=0
	s_delay_alu instid0(VALU_DEP_2) | instskip(SKIP_1) | instid1(VALU_DEP_2)
	v_add3_u32 v4, v4, v60, v61
	s_set_vgpr_msb 0x55                     ;  msbs: dst=1 src0=1 src1=1 src2=1
	v_add3_u32 v180 /*v436*/, v180 /*v436*/, v215 /*v471*/, v216 /*v472*/
	s_set_vgpr_msb 0                        ;  msbs: dst=0 src0=0 src1=0 src2=0
	s_delay_alu instid0(VALU_DEP_2) | instskip(SKIP_1) | instid1(VALU_DEP_2)
	v_add3_u32 v0, v4, v62, v0
	s_set_vgpr_msb 0x55                     ;  msbs: dst=1 src0=1 src1=1 src2=1
	v_add3_u32 v184 /*v440*/, v180 /*v436*/, v217 /*v473*/, v218 /*v474*/
	s_set_vgpr_msb 64                       ;  msbs: dst=1 src0=0 src1=0 src2=0
	v_mul_i32_i24_e32 v180 /*v436*/, v150, v215
	s_set_vgpr_msb 0                        ;  msbs: dst=0 src0=0 src1=0 src2=0
	v_add3_u32 v0, v0, v64, v65
	s_delay_alu instid0(VALU_DEP_1) | instskip(NEXT) | instid1(VALU_DEP_1)
	v_add3_u32 v0, v0, v66, v1
	v_add3_u32 v0, v0, v68, v69
	s_set_vgpr_msb 64                       ;  msbs: dst=1 src0=0 src1=0 src2=0
	s_delay_alu instid0(VALU_DEP_1)
	v_add3_u32 v178 /*v434*/, v0, v70, v2
	s_set_vgpr_msb 0                        ;  msbs: dst=0 src0=0 src1=0 src2=0
	v_or_b32_e32 v0, s5, v143
	s_add_co_i32 s5, s4, 8
	s_cmp_lt_u32 s4, 24
	s_mov_b32 s4, s5
	s_delay_alu instid0(VALU_DEP_1)
	v_dual_lshlrev_b32 v1, 2, v0 :: v_dual_lshrrev_b32 v0, 1, v0
	s_set_vgpr_msb 64                       ;  msbs: dst=1 src0=0 src1=0 src2=0
	ds_load_b128 v[190:193] /*v[446:449]*/, v1 offset:16896
	s_set_vgpr_msb 0                        ;  msbs: dst=0 src0=0 src1=0 src2=0
	ds_load_b128 v[12:15], v1 offset:16912
	s_set_vgpr_msb 64                       ;  msbs: dst=1 src0=0 src1=0 src2=0
	ds_load_b128 v[198:201] /*v[454:457]*/, v1 offset:16928
	s_set_vgpr_msb 0                        ;  msbs: dst=0 src0=0 src1=0 src2=0
	ds_load_b128 v[8:11], v1 offset:16944
	s_wait_dscnt 0x3
	s_set_vgpr_msb 0x41                     ;  msbs: dst=1 src0=1 src1=0 src2=0
	v_bfe_i32 v245 /*v501*/, v190 /*v446*/, 0, 8
	v_bfe_i32 v218 /*v474*/, v190 /*v446*/, 8, 8
	;; [unrolled: 1-line block ×3, first 2 shown]
	s_set_vgpr_msb 0x44                     ;  msbs: dst=1 src0=0 src1=1 src2=0
	v_ashrrev_i32_e32 v247 /*v503*/, 24, v190 /*v446*/
	s_set_vgpr_msb 0x41                     ;  msbs: dst=1 src0=1 src1=0 src2=0
	v_bfe_i32 v219 /*v475*/, v191 /*v447*/, 0, 8
	s_set_vgpr_msb 5                        ;  msbs: dst=0 src0=1 src1=1 src2=0
	v_mul_i32_i24_e32 v1, v245 /*v501*/, v118 /*v374*/
	s_set_vgpr_msb 0x41                     ;  msbs: dst=1 src0=1 src1=0 src2=0
	v_bfe_i32 v220 /*v476*/, v191 /*v447*/, 8, 8
	s_set_vgpr_msb 5                        ;  msbs: dst=0 src0=1 src1=1 src2=0
	v_mul_i32_i24_e32 v2, v246 /*v502*/, v119 /*v375*/
	v_mul_i32_i24_e32 v4, v247 /*v503*/, v120 /*v376*/
	s_set_vgpr_msb 0x41                     ;  msbs: dst=1 src0=1 src1=0 src2=0
	v_bfe_i32 v221 /*v477*/, v191 /*v447*/, 16, 8
	s_set_vgpr_msb 5                        ;  msbs: dst=0 src0=1 src1=1 src2=0
	v_mad_i32_i24 v1, v218 /*v474*/, v117 /*v373*/, v1
	s_set_vgpr_msb 0x44                     ;  msbs: dst=1 src0=0 src1=1 src2=0
	v_dual_ashrrev_i32 v222 /*v478*/, 24, v191 /*v447*/ :: v_dual_ashrrev_i32 v230 /*v486*/, 24, v193 /*v449*/
	s_set_vgpr_msb 0x41                     ;  msbs: dst=1 src0=1 src1=0 src2=0
	v_bfe_i32 v223 /*v479*/, v192 /*v448*/, 0, 8
	v_bfe_i32 v224 /*v480*/, v192 /*v448*/, 8, 8
	s_set_vgpr_msb 0                        ;  msbs: dst=0 src0=0 src1=0 src2=0
	v_add3_u32 v1, v1, v2, v4
	s_set_vgpr_msb 5                        ;  msbs: dst=0 src0=1 src1=1 src2=0
	v_mul_i32_i24_e32 v2, v219 /*v475*/, v121 /*v377*/
	v_mul_i32_i24_e32 v4, v220 /*v476*/, v122 /*v378*/
	;; [unrolled: 1-line block ×4, first 2 shown]
	s_set_vgpr_msb 0x41                     ;  msbs: dst=1 src0=1 src1=0 src2=0
	v_bfe_i32 v225 /*v481*/, v192 /*v448*/, 16, 8
	s_set_vgpr_msb 0x44                     ;  msbs: dst=1 src0=0 src1=1 src2=0
	v_ashrrev_i32_e32 v226 /*v482*/, 24, v192 /*v448*/
	s_set_vgpr_msb 0                        ;  msbs: dst=0 src0=0 src1=0 src2=0
	v_add3_u32 v1, v1, v2, v4
	s_wait_dscnt 0x0
	s_set_vgpr_msb 64                       ;  msbs: dst=1 src0=0 src1=0 src2=0
	v_dual_ashrrev_i32 v242 /*v498*/, 24, v14 :: v_dual_ashrrev_i32 v205 /*v461*/, 24, v8
	v_bfe_i32 v202 /*v458*/, v8, 0, 8
	v_bfe_i32 v203 /*v459*/, v8, 8, 8
	;; [unrolled: 1-line block ×6, first 2 shown]
	v_dual_ashrrev_i32 v209 /*v465*/, 24, v9 :: v_dual_ashrrev_i32 v213 /*v469*/, 24, v10
	s_set_vgpr_msb 5                        ;  msbs: dst=0 src0=1 src1=1 src2=0
	v_mul_i32_i24_e32 v8, v223 /*v479*/, v125 /*v381*/
	v_mul_i32_i24_e32 v9, v224 /*v480*/, v126 /*v382*/
	s_set_vgpr_msb 0                        ;  msbs: dst=0 src0=0 src1=0 src2=0
	v_add3_u32 v1, v1, v5, v6
	s_set_vgpr_msb 0x41                     ;  msbs: dst=1 src0=1 src1=0 src2=0
	v_bfe_i32 v227 /*v483*/, v193 /*v449*/, 0, 8
	v_bfe_i32 v228 /*v484*/, v193 /*v449*/, 8, 8
	s_set_vgpr_msb 64                       ;  msbs: dst=1 src0=0 src1=0 src2=0
	v_bfe_i32 v210 /*v466*/, v10, 0, 8
	v_bfe_i32 v211 /*v467*/, v10, 8, 8
	v_bfe_i32 v212 /*v468*/, v10, 16, 8
	s_set_vgpr_msb 5                        ;  msbs: dst=0 src0=1 src1=1 src2=0
	v_mul_i32_i24_e32 v10, v225 /*v481*/, v127 /*v383*/
	v_mul_i32_i24_e32 v43, v226 /*v482*/, v128 /*v384*/
	s_set_vgpr_msb 0                        ;  msbs: dst=0 src0=0 src1=0 src2=0
	v_add3_u32 v1, v1, v8, v9
	s_set_vgpr_msb 0x41                     ;  msbs: dst=1 src0=1 src1=0 src2=0
	v_bfe_i32 v229 /*v485*/, v193 /*v449*/, 16, 8
	s_set_vgpr_msb 5                        ;  msbs: dst=0 src0=1 src1=1 src2=0
	v_mul_i32_i24_e32 v58, v227 /*v483*/, v129 /*v385*/
	v_mul_i32_i24_e32 v60, v228 /*v484*/, v130 /*v386*/
	s_set_vgpr_msb 64                       ;  msbs: dst=1 src0=0 src1=0 src2=0
	v_bfe_i32 v231 /*v487*/, v12, 0, 8
	s_set_vgpr_msb 0                        ;  msbs: dst=0 src0=0 src1=0 src2=0
	v_add3_u32 v1, v1, v10, v43
	s_set_vgpr_msb 64                       ;  msbs: dst=1 src0=0 src1=0 src2=0
	v_bfe_i32 v232 /*v488*/, v12, 8, 8
	s_set_vgpr_msb 5                        ;  msbs: dst=0 src0=1 src1=1 src2=0
	v_mul_i32_i24_e32 v61, v229 /*v485*/, v131 /*v387*/
	v_mul_i32_i24_e32 v62, v230 /*v486*/, v132 /*v388*/
	s_set_vgpr_msb 64                       ;  msbs: dst=1 src0=0 src1=0 src2=0
	v_bfe_i32 v233 /*v489*/, v12, 16, 8
	s_set_vgpr_msb 0                        ;  msbs: dst=0 src0=0 src1=0 src2=0
	v_add3_u32 v1, v1, v58, v60
	s_set_vgpr_msb 64                       ;  msbs: dst=1 src0=0 src1=0 src2=0
	v_dual_ashrrev_i32 v234 /*v490*/, 24, v12 :: v_dual_ashrrev_i32 v238 /*v494*/, 24, v13
	s_set_vgpr_msb 5                        ;  msbs: dst=0 src0=1 src1=1 src2=0
	v_mul_i32_i24_e32 v64, v231 /*v487*/, v133 /*v389*/
	v_mul_i32_i24_e32 v65, v232 /*v488*/, v134 /*v390*/
	s_set_vgpr_msb 0                        ;  msbs: dst=0 src0=0 src1=0 src2=0
	v_add3_u32 v1, v1, v61, v62
	s_set_vgpr_msb 64                       ;  msbs: dst=1 src0=0 src1=0 src2=0
	v_bfe_i32 v235 /*v491*/, v13, 0, 8
	v_bfe_i32 v236 /*v492*/, v13, 8, 8
	s_set_vgpr_msb 5                        ;  msbs: dst=0 src0=1 src1=1 src2=0
	v_mul_i32_i24_e32 v66, v136 /*v392*/, v233 /*v489*/
	v_mul_i32_i24_e32 v68, v135 /*v391*/, v234 /*v490*/
	s_set_vgpr_msb 0                        ;  msbs: dst=0 src0=0 src1=0 src2=0
	v_add3_u32 v1, v1, v64, v65
	s_set_vgpr_msb 64                       ;  msbs: dst=1 src0=0 src1=0 src2=0
	v_bfe_i32 v237 /*v493*/, v13, 16, 8
	s_set_vgpr_msb 5                        ;  msbs: dst=0 src0=1 src1=1 src2=0
	v_mul_i32_i24_e32 v69, v138 /*v394*/, v235 /*v491*/
	v_mul_i32_i24_e32 v70, v137 /*v393*/, v236 /*v492*/
	s_set_vgpr_msb 64                       ;  msbs: dst=1 src0=0 src1=0 src2=0
	v_bfe_i32 v239 /*v495*/, v14, 0, 8
	s_set_vgpr_msb 0                        ;  msbs: dst=0 src0=0 src1=0 src2=0
	v_add3_u32 v1, v1, v66, v68
	s_set_vgpr_msb 64                       ;  msbs: dst=1 src0=0 src1=0 src2=0
	v_bfe_i32 v240 /*v496*/, v14, 8, 8
	s_set_vgpr_msb 5                        ;  msbs: dst=0 src0=1 src1=1 src2=0
	v_mul_i32_i24_e32 v72, v140 /*v396*/, v237 /*v493*/
	v_mul_i32_i24_e32 v74, v139 /*v395*/, v238 /*v494*/
	s_set_vgpr_msb 64                       ;  msbs: dst=1 src0=0 src1=0 src2=0
	v_bfe_i32 v241 /*v497*/, v14, 16, 8
	s_set_vgpr_msb 0                        ;  msbs: dst=0 src0=0 src1=0 src2=0
	v_add3_u32 v1, v1, v69, v70
	s_set_vgpr_msb 5                        ;  msbs: dst=0 src0=1 src1=1 src2=0
	v_mul_i32_i24_e32 v76, v148 /*v404*/, v239 /*v495*/
	v_mul_i32_i24_e32 v78, v141 /*v397*/, v240 /*v496*/
	s_set_vgpr_msb 0x41                     ;  msbs: dst=1 src0=1 src1=0 src2=0
	v_bfe_i32 v215 /*v471*/, v198 /*v454*/, 0, 8
	s_set_vgpr_msb 5                        ;  msbs: dst=0 src0=1 src1=1 src2=0
	v_mul_i32_i24_e32 v80, v152 /*v408*/, v241 /*v497*/
	s_set_vgpr_msb 0                        ;  msbs: dst=0 src0=0 src1=0 src2=0
	v_add3_u32 v1, v1, v72, v74
	s_set_vgpr_msb 5                        ;  msbs: dst=0 src0=1 src1=1 src2=0
	v_mul_i32_i24_e32 v82, v149 /*v405*/, v242 /*v498*/
	v_bfe_i32 v14, v198 /*v454*/, 8, 8
	s_set_vgpr_msb 0x41                     ;  msbs: dst=1 src0=1 src1=0 src2=0
	v_bfe_i32 v216 /*v472*/, v198 /*v454*/, 16, 8
	s_set_vgpr_msb 0x44                     ;  msbs: dst=1 src0=0 src1=1 src2=0
	v_dual_ashrrev_i32 v217 /*v473*/, 24, v198 /*v454*/ :: v_dual_ashrrev_i32 v193 /*v449*/, 24, v199 /*v455*/
	s_set_vgpr_msb 0                        ;  msbs: dst=0 src0=0 src1=0 src2=0
	v_add3_u32 v1, v1, v76, v78
	s_set_vgpr_msb 0x41                     ;  msbs: dst=1 src0=1 src1=0 src2=0
	v_bfe_i32 v190 /*v446*/, v199 /*v455*/, 0, 8
	v_bfe_i32 v191 /*v447*/, v199 /*v455*/, 8, 8
	s_set_vgpr_msb 5                        ;  msbs: dst=0 src0=1 src1=1 src2=0
	v_mul_i32_i24_e32 v2, v156 /*v412*/, v216 /*v472*/
	v_mul_i32_i24_e32 v4, v150 /*v406*/, v217 /*v473*/
	s_set_vgpr_msb 0                        ;  msbs: dst=0 src0=0 src1=0 src2=0
	v_add3_u32 v10, v1, v80, v82
	s_set_vgpr_msb 5                        ;  msbs: dst=0 src0=1 src1=1 src2=0
	v_mul_i32_i24_e32 v1, v157 /*v413*/, v215 /*v471*/
	s_set_vgpr_msb 0x41                     ;  msbs: dst=1 src0=1 src1=0 src2=0
	v_bfe_i32 v192 /*v448*/, v199 /*v455*/, 16, 8
	v_bfe_i32 v194 /*v450*/, v200 /*v456*/, 0, 8
	;; [unrolled: 1-line block ×3, first 2 shown]
	s_set_vgpr_msb 5                        ;  msbs: dst=0 src0=1 src1=1 src2=0
	v_mul_i32_i24_e32 v6, v142 /*v398*/, v193 /*v449*/
	s_set_vgpr_msb 1                        ;  msbs: dst=0 src0=1 src1=0 src2=0
	v_mad_i32_i24 v1, v155 /*v411*/, v14, v1
	s_set_vgpr_msb 5                        ;  msbs: dst=0 src0=1 src1=1 src2=0
	v_mul_i32_i24_e32 v5, v158 /*v414*/, v192 /*v448*/
	s_set_vgpr_msb 0x41                     ;  msbs: dst=1 src0=1 src1=0 src2=0
	v_bfe_i32 v196 /*v452*/, v200 /*v456*/, 16, 8
	s_set_vgpr_msb 0x44                     ;  msbs: dst=1 src0=0 src1=1 src2=0
	v_ashrrev_i32_e32 v197 /*v453*/, 24, v200 /*v456*/
	s_set_vgpr_msb 5                        ;  msbs: dst=0 src0=1 src1=1 src2=0
	v_mul_i32_i24_e32 v8, v163 /*v419*/, v194 /*v450*/
	s_set_vgpr_msb 0                        ;  msbs: dst=0 src0=0 src1=0 src2=0
	v_add3_u32 v1, v1, v2, v4
	s_set_vgpr_msb 5                        ;  msbs: dst=0 src0=1 src1=1 src2=0
	v_mul_i32_i24_e32 v2, v160 /*v416*/, v190 /*v446*/
	v_mul_i32_i24_e32 v4, v159 /*v415*/, v191 /*v447*/
	;; [unrolled: 1-line block ×3, first 2 shown]
	s_set_vgpr_msb 0x41                     ;  msbs: dst=1 src0=1 src1=0 src2=0
	v_bfe_i32 v198 /*v454*/, v201 /*v457*/, 0, 8
	v_bfe_i32 v199 /*v455*/, v201 /*v457*/, 8, 8
	v_bfe_i32 v200 /*v456*/, v201 /*v457*/, 16, 8
	s_set_vgpr_msb 0                        ;  msbs: dst=0 src0=0 src1=0 src2=0
	v_add3_u32 v1, v1, v2, v4
	s_set_vgpr_msb 0x44                     ;  msbs: dst=1 src0=0 src1=1 src2=0
	v_ashrrev_i32_e32 v201 /*v457*/, 24, v201 /*v457*/
	s_set_vgpr_msb 5                        ;  msbs: dst=0 src0=1 src1=1 src2=0
	v_mul_i32_i24_e32 v43, v161 /*v417*/, v196 /*v452*/
	v_mul_i32_i24_e32 v58, v143 /*v399*/, v197 /*v453*/
	;; [unrolled: 1-line block ×3, first 2 shown]
	s_set_vgpr_msb 0                        ;  msbs: dst=0 src0=0 src1=0 src2=0
	v_add3_u32 v1, v1, v5, v6
	s_set_vgpr_msb 5                        ;  msbs: dst=0 src0=1 src1=1 src2=0
	v_mul_i32_i24_e32 v61, v165 /*v421*/, v199 /*v455*/
	v_mul_i32_i24_e32 v62, v164 /*v420*/, v200 /*v456*/
	;; [unrolled: 1-line block ×4, first 2 shown]
	s_set_vgpr_msb 0                        ;  msbs: dst=0 src0=0 src1=0 src2=0
	v_add3_u32 v1, v1, v8, v9
	s_set_vgpr_msb 5                        ;  msbs: dst=0 src0=1 src1=1 src2=0
	v_mul_i32_i24_e32 v66, v168 /*v424*/, v203 /*v459*/
	ds_load_b64 v[8:9], v248 /*v504*/ offset:27200
	s_set_vgpr_msb 64                       ;  msbs: dst=1 src0=0 src1=0 src2=0
	ds_load_b64 v[122:123] /*v[378:379]*/, v0 offset:27200
	s_set_vgpr_msb 5                        ;  msbs: dst=0 src0=1 src1=1 src2=0
	v_mul_i32_i24_e32 v68, v167 /*v423*/, v204 /*v460*/
	s_set_vgpr_msb 0                        ;  msbs: dst=0 src0=0 src1=0 src2=0
	v_add3_u32 v1, v1, v43, v58
	s_set_vgpr_msb 5                        ;  msbs: dst=0 src0=1 src1=1 src2=0
	v_mul_i32_i24_e32 v69, v145 /*v401*/, v205 /*v461*/
	v_mul_i32_i24_e32 v70, v172 /*v428*/, v206 /*v462*/
	;; [unrolled: 1-line block ×3, first 2 shown]
	s_set_vgpr_msb 64                       ;  msbs: dst=1 src0=0 src1=0 src2=0
	v_bfe_i32 v243 /*v499*/, v15, 0, 8
	s_set_vgpr_msb 0                        ;  msbs: dst=0 src0=0 src1=0 src2=0
	v_add3_u32 v1, v1, v60, v61
	s_set_vgpr_msb 64                       ;  msbs: dst=1 src0=0 src1=0 src2=0
	v_bfe_i32 v244 /*v500*/, v15, 8, 8
	s_set_vgpr_msb 5                        ;  msbs: dst=0 src0=1 src1=1 src2=0
	v_mul_i32_i24_e32 v74, v170 /*v426*/, v208 /*v464*/
	v_mul_i32_i24_e32 v76, v146 /*v402*/, v209 /*v465*/
	s_set_vgpr_msb 0                        ;  msbs: dst=0 src0=0 src1=0 src2=0
	v_bfe_i32 v13, v15, 16, 8
	v_add3_u32 v1, v1, v62, v64
	s_set_vgpr_msb 5                        ;  msbs: dst=0 src0=1 src1=1 src2=0
	v_mul_i32_i24_e32 v91, v243 /*v499*/, v153 /*v409*/
	v_mul_i32_i24_e32 v93, v244 /*v500*/, v154 /*v410*/
	;; [unrolled: 1-line block ×4, first 2 shown]
	s_set_vgpr_msb 0                        ;  msbs: dst=0 src0=0 src1=0 src2=0
	v_add3_u32 v1, v1, v65, v66
	s_set_vgpr_msb 64                       ;  msbs: dst=1 src0=0 src1=0 src2=0
	v_ashrrev_i32_e32 v120 /*v376*/, 24, v15
	v_ashrrev_i32_e32 v121 /*v377*/, 24, v7
	s_wait_dscnt 0x1
	s_set_vgpr_msb 0                        ;  msbs: dst=0 src0=0 src1=0 src2=0
	v_dual_lshrrev_b32 v0, 16, v8 :: v_dual_lshrrev_b32 v2, 16, v9
	v_add3_u32 v1, v1, v68, v69
	s_set_vgpr_msb 64                       ;  msbs: dst=1 src0=0 src1=0 src2=0
	v_bfe_i32 v214 /*v470*/, v11, 0, 8
	s_set_vgpr_msb 0                        ;  msbs: dst=0 src0=0 src1=0 src2=0
	v_bfe_i32 v12, v11, 8, 8
	s_set_vgpr_msb 5                        ;  msbs: dst=0 src0=1 src1=1 src2=0
	v_mul_i32_i24_e32 v82, v173 /*v429*/, v212 /*v468*/
	v_mul_i32_i24_e32 v148, v147 /*v403*/, v213 /*v469*/
	s_set_vgpr_msb 0                        ;  msbs: dst=0 src0=0 src1=0 src2=0
	v_add3_u32 v1, v1, v70, v72
	v_cvt_f32_f16_e32 v6, v8
	v_cvt_f32_f16_e32 v4, v0
	v_bfe_i32 v15, v11, 16, 8
	s_set_vgpr_msb 64                       ;  msbs: dst=1 src0=0 src1=0 src2=0
	v_ashrrev_i32_e32 v117 /*v373*/, 24, v11
	s_set_vgpr_msb 0                        ;  msbs: dst=0 src0=0 src1=0 src2=0
	v_add3_u32 v1, v1, v74, v76
	v_cvt_f32_f16_e32 v0, v9
	s_set_vgpr_msb 5                        ;  msbs: dst=0 src0=1 src1=1 src2=0
	v_mul_i32_i24_e32 v8, v179 /*v435*/, v50 /*v306*/
	s_set_vgpr_msb 4                        ;  msbs: dst=0 src0=0 src1=1 src2=0
	v_mul_i32_i24_e32 v9, v13, v50 /*v306*/
	s_set_vgpr_msb 5                        ;  msbs: dst=0 src0=1 src1=1 src2=0
	v_mul_i32_i24_e32 v11, v49 /*v305*/, v121 /*v377*/
	s_set_vgpr_msb 0                        ;  msbs: dst=0 src0=0 src1=0 src2=0
	v_add3_u32 v1, v1, v78, v80
	s_set_vgpr_msb 21                       ;  msbs: dst=0 src0=1 src1=1 src2=1
	v_mul_i32_i24_e32 v58, v49 /*v305*/, v120 /*v376*/
	v_add3_u32 v60, v254 /*v510*/, v252 /*v508*/, v253 /*v509*/
	s_set_vgpr_msb 0                        ;  msbs: dst=0 src0=0 src1=0 src2=0
	v_add3_u32 v10, v10, v91, v93
	s_set_vgpr_msb 5                        ;  msbs: dst=0 src0=1 src1=1 src2=0
	v_mul_i32_i24_e32 v149, v214 /*v470*/, v151 /*v407*/
	s_set_vgpr_msb 0                        ;  msbs: dst=0 src0=0 src1=0 src2=0
	v_add3_u32 v43, v1, v82, v148
	s_set_vgpr_msb 64                       ;  msbs: dst=1 src0=0 src1=0 src2=0
	v_bfe_i32 v118 /*v374*/, v3, 16, 8
	v_ashrrev_i32_e32 v119 /*v375*/, 24, v3
	s_set_vgpr_msb 0                        ;  msbs: dst=0 src0=0 src1=0 src2=0
	v_add3_u32 v9, v10, v9, v58
	v_add3_u32 v8, v60, v8, v11
	s_set_vgpr_msb 4                        ;  msbs: dst=0 src0=0 src1=1 src2=0
	v_mul_i32_i24_e32 v58, v12, v54 /*v310*/
	s_set_vgpr_msb 5                        ;  msbs: dst=0 src0=1 src1=1 src2=0
	v_mul_i32_i24_e32 v60, v176 /*v432*/, v54 /*v310*/
	v_mul_i32_i24_e32 v61, v53 /*v309*/, v118 /*v374*/
	s_set_vgpr_msb 1                        ;  msbs: dst=0 src0=1 src1=0 src2=0
	v_mul_i32_i24_e32 v62, v53 /*v309*/, v15
	s_set_vgpr_msb 5                        ;  msbs: dst=0 src0=1 src1=1 src2=0
	v_mul_i32_i24_e32 v64, v52 /*v308*/, v119 /*v375*/
	v_mul_i32_i24_e32 v65, v52 /*v308*/, v117 /*v373*/
	s_set_vgpr_msb 4                        ;  msbs: dst=0 src0=0 src1=1 src2=0
	v_add3_u32 v59, v59, v255 /*v511*/, v60
	s_set_vgpr_msb 0                        ;  msbs: dst=0 src0=0 src1=0 src2=0
	v_add3_u32 v43, v43, v149, v58
	s_set_vgpr_msb 4                        ;  msbs: dst=0 src0=0 src1=1 src2=0
	v_mul_lo_u32 v8, v8, v48 /*v304*/
	v_mul_lo_u32 v9, v9, v48 /*v304*/
	s_wait_dscnt 0x0
	v_dual_lshrrev_b32 v1, 16, v122 /*v378*/ :: v_dual_lshrrev_b32 v3, 16, v123 /*v379*/
	s_set_vgpr_msb 0                        ;  msbs: dst=0 src0=0 src1=0 src2=0
	v_add3_u32 v43, v43, v62, v65
	v_add3_u32 v58, v59, v61, v64
	s_set_vgpr_msb 1                        ;  msbs: dst=0 src0=1 src1=0 src2=0
	v_cvt_f32_f16_e64 v7, v122 /*v378*/
	s_set_vgpr_msb 4                        ;  msbs: dst=0 src0=0 src1=1 src2=0
	v_cvt_f32_f16_e32 v5, v1
	v_cvt_f32_f16_e32 v3, v3
	v_mul_lo_u32 v43, v43, v51 /*v307*/
	v_mul_lo_u32 v58, v58, v51 /*v307*/
	v_cvt_f32_f16_e32 v2, v2
	v_cvt_f32_i32_e32 v9, v9
	v_cvt_f32_i32_e32 v8, v8
	s_set_vgpr_msb 0                        ;  msbs: dst=0 src0=0 src1=0 src2=0
	v_pk_fma_f32 v[10:11], v[122:123], v[4:5], 0 op_sel_hi:[0,1,0]
	s_set_vgpr_msb 5                        ;  msbs: dst=0 src0=1 src1=1 src2=0
	v_cvt_f32_f16_e64 v1, v123 /*v379*/
	v_mul_i32_i24_e32 v59, v224 /*v480*/, v67 /*v323*/
	v_mul_i32_i24_e32 v60, v225 /*v481*/, v68 /*v324*/
	s_set_vgpr_msb 0                        ;  msbs: dst=0 src0=0 src1=0 src2=0
	v_pk_fma_f32 v[8:9], v[6:7], v[8:9], 0 op_sel_hi:[1,1,0]
	v_pk_fma_f32 v[10:11], v[124:125], v[2:3], v[10:11] op_sel_hi:[0,1,1]
	s_set_vgpr_msb 64                       ;  msbs: dst=1 src0=0 src1=0 src2=0
	v_cvt_f32_i32_e32 v49 /*v305*/, v43
	v_cvt_f32_i32_e32 v48 /*v304*/, v58
	s_set_vgpr_msb 5                        ;  msbs: dst=0 src0=1 src1=1 src2=0
	v_mul_i32_i24_e32 v43, v222 /*v478*/, v65 /*v321*/
	v_mul_i32_i24_e32 v58, v223 /*v479*/, v66 /*v322*/
	s_set_vgpr_msb 0                        ;  msbs: dst=0 src0=0 src1=0 src2=0
	v_pk_mul_f32 v[10:11], v[10:11], v[104:105]
	s_set_vgpr_msb 5                        ;  msbs: dst=0 src0=1 src1=1 src2=0
	v_mul_i32_i24_e32 v61, v226 /*v482*/, v69 /*v325*/
	s_set_vgpr_msb 4                        ;  msbs: dst=0 src0=0 src1=1 src2=0
	v_pk_fma_f32 v[8:9], v[0:1], v[48:49] /*v[304:305]*/, v[8:9]
	s_set_vgpr_msb 5                        ;  msbs: dst=0 src0=1 src1=1 src2=0
	v_mul_i32_i24_e32 v62, v227 /*v483*/, v70 /*v326*/
	v_mul_i32_i24_e32 v64, v228 /*v484*/, v71 /*v327*/
	;; [unrolled: 1-line block ×4, first 2 shown]
	s_set_vgpr_msb 0                        ;  msbs: dst=0 src0=0 src1=0 src2=0
	v_pk_fma_f32 v[8:9], v[8:9], v[96:97], v[10:11] neg_lo:[0,0,1] neg_hi:[0,0,1]
	s_set_vgpr_msb 5                        ;  msbs: dst=0 src0=1 src1=1 src2=0
	v_mul_i32_i24_e32 v10, v247 /*v503*/, v61 /*v317*/
	v_mul_i32_i24_e32 v11, v221 /*v477*/, v64 /*v320*/
	v_mul_i32_i24_e32 v68, v231 /*v487*/, v74 /*v330*/
	v_mul_i32_i24_e32 v69, v232 /*v488*/, v75 /*v331*/
	s_set_vgpr_msb 0                        ;  msbs: dst=0 src0=0 src1=0 src2=0
	v_pk_add_f32 v[22:23], v[22:23], v[8:9]
	s_set_vgpr_msb 5                        ;  msbs: dst=0 src0=1 src1=1 src2=0
	v_mul_i32_i24_e32 v8, v245 /*v501*/, v59 /*v315*/
	v_mul_i32_i24_e32 v9, v246 /*v502*/, v60 /*v316*/
	;; [unrolled: 1-line block ×5, first 2 shown]
	v_mad_i32_i24 v8, v218 /*v474*/, v58 /*v314*/, v8
	v_mul_i32_i24_e32 v76, v78 /*v334*/, v236 /*v492*/
	v_mul_i32_i24_e32 v78, v81 /*v337*/, v237 /*v493*/
	v_mul_i32_i24_e32 v80, v80 /*v336*/, v238 /*v494*/
	v_mul_i32_i24_e32 v82, v83 /*v339*/, v239 /*v495*/
	s_set_vgpr_msb 0                        ;  msbs: dst=0 src0=0 src1=0 src2=0
	v_add3_u32 v8, v8, v9, v10
	s_set_vgpr_msb 5                        ;  msbs: dst=0 src0=1 src1=1 src2=0
	v_mul_i32_i24_e32 v9, v219 /*v475*/, v62 /*v318*/
	v_mul_i32_i24_e32 v10, v220 /*v476*/, v63 /*v319*/
	;; [unrolled: 1-line block ×6, first 2 shown]
	s_set_vgpr_msb 0                        ;  msbs: dst=0 src0=0 src1=0 src2=0
	v_add3_u32 v8, v8, v9, v10
	s_set_vgpr_msb 5                        ;  msbs: dst=0 src0=1 src1=1 src2=0
	v_mul_i32_i24_e32 v9, v215 /*v471*/, v88 /*v344*/
	v_mul_i32_i24_e32 v10, v216 /*v472*/, v85 /*v341*/
	;; [unrolled: 1-line block ×4, first 2 shown]
	s_set_vgpr_msb 0                        ;  msbs: dst=0 src0=0 src1=0 src2=0
	v_add3_u32 v8, v8, v11, v43
	s_set_vgpr_msb 5                        ;  msbs: dst=0 src0=1 src1=1 src2=0
	v_mul_i32_i24_e32 v11, v217 /*v473*/, v91 /*v347*/
	s_set_vgpr_msb 4                        ;  msbs: dst=0 src0=0 src1=1 src2=0
	v_mad_i32_i24 v9, v14, v87 /*v343*/, v9
	s_set_vgpr_msb 5                        ;  msbs: dst=0 src0=1 src1=1 src2=0
	v_mul_i32_i24_e32 v43, v192 /*v448*/, v89 /*v345*/
	v_mul_i32_i24_e32 v150, v114 /*v370*/, v213 /*v469*/
	s_set_vgpr_msb 0                        ;  msbs: dst=0 src0=0 src1=0 src2=0
	v_add3_u32 v8, v8, v58, v59
	s_set_vgpr_msb 5                        ;  msbs: dst=0 src0=1 src1=1 src2=0
	v_mul_i32_i24_e32 v58, v193 /*v449*/, v96 /*v352*/
	s_set_vgpr_msb 0                        ;  msbs: dst=0 src0=0 src1=0 src2=0
	v_add3_u32 v9, v9, v10, v11
	s_set_vgpr_msb 5                        ;  msbs: dst=0 src0=1 src1=1 src2=0
	v_mul_i32_i24_e32 v10, v190 /*v446*/, v93 /*v349*/
	v_mul_i32_i24_e32 v11, v191 /*v447*/, v94 /*v350*/
	s_set_vgpr_msb 0                        ;  msbs: dst=0 src0=0 src1=0 src2=0
	v_add3_u32 v8, v8, v60, v61
	s_set_vgpr_msb 5                        ;  msbs: dst=0 src0=1 src1=1 src2=0
	v_mul_i32_i24_e32 v60, v194 /*v450*/, v97 /*v353*/
	v_mul_i32_i24_e32 v61, v195 /*v451*/, v98 /*v354*/
	;; [unrolled: 1-line block ×3, first 2 shown]
	s_set_vgpr_msb 0                        ;  msbs: dst=0 src0=0 src1=0 src2=0
	v_add3_u32 v9, v9, v10, v11
	v_add3_u32 v8, v8, v62, v64
	s_set_vgpr_msb 5                        ;  msbs: dst=0 src0=1 src1=1 src2=0
	v_mul_i32_i24_e32 v62, v196 /*v452*/, v95 /*v351*/
	v_mul_i32_i24_e32 v64, v197 /*v453*/, v100 /*v356*/
	s_set_vgpr_msb 4                        ;  msbs: dst=0 src0=0 src1=1 src2=0
	v_mul_i32_i24_e32 v10, v13, v57 /*v313*/
	s_set_vgpr_msb 0                        ;  msbs: dst=0 src0=0 src1=0 src2=0
	v_add3_u32 v9, v9, v43, v58
	v_add3_u32 v8, v8, v65, v66
	s_set_vgpr_msb 5                        ;  msbs: dst=0 src0=1 src1=1 src2=0
	v_mul_i32_i24_e32 v65, v198 /*v454*/, v101 /*v357*/
	v_mul_i32_i24_e32 v66, v199 /*v455*/, v102 /*v358*/
	;; [unrolled: 1-line block ×3, first 2 shown]
	s_set_vgpr_msb 0                        ;  msbs: dst=0 src0=0 src1=0 src2=0
	v_add3_u32 v9, v9, v60, v61
	v_add3_u32 v8, v8, v68, v69
	s_set_vgpr_msb 5                        ;  msbs: dst=0 src0=1 src1=1 src2=0
	v_mul_i32_i24_e32 v68, v200 /*v456*/, v99 /*v355*/
	v_mul_i32_i24_e32 v69, v201 /*v457*/, v103 /*v359*/
	;; [unrolled: 1-line block ×3, first 2 shown]
	s_set_vgpr_msb 0                        ;  msbs: dst=0 src0=0 src1=0 src2=0
	v_add3_u32 v9, v9, v62, v64
	v_add3_u32 v8, v8, v70, v72
	s_set_vgpr_msb 21                       ;  msbs: dst=0 src0=1 src1=1 src2=1
	v_mul_i32_i24_e32 v70, v104 /*v360*/, v202 /*v458*/
	v_mul_i32_i24_e32 v72, v105 /*v361*/, v203 /*v459*/
	v_add3_u32 v58, v251 /*v507*/, v249 /*v505*/, v250 /*v506*/
	s_set_vgpr_msb 0                        ;  msbs: dst=0 src0=0 src1=0 src2=0
	v_add3_u32 v9, v9, v65, v66
	v_add3_u32 v8, v8, v74, v76
	s_set_vgpr_msb 5                        ;  msbs: dst=0 src0=1 src1=1 src2=0
	v_mul_i32_i24_e32 v74, v107 /*v363*/, v204 /*v460*/
	v_mul_i32_i24_e32 v76, v106 /*v362*/, v205 /*v461*/
	s_set_vgpr_msb 4                        ;  msbs: dst=0 src0=0 src1=1 src2=0
	v_mul_i32_i24_e32 v60, v173, v118 /*v374*/
	s_set_vgpr_msb 0                        ;  msbs: dst=0 src0=0 src1=0 src2=0
	v_add3_u32 v9, v9, v68, v69
	v_add3_u32 v8, v8, v78, v80
	s_set_vgpr_msb 5                        ;  msbs: dst=0 src0=1 src1=1 src2=0
	v_mul_i32_i24_e32 v78, v108 /*v364*/, v206 /*v462*/
	v_mul_i32_i24_e32 v80, v109 /*v365*/, v207 /*v463*/
	s_set_vgpr_msb 0                        ;  msbs: dst=0 src0=0 src1=0 src2=0
	v_mul_i32_i24_e32 v61, v173, v15
	v_add3_u32 v9, v9, v70, v72
	v_add3_u32 v8, v8, v82, v91
	s_set_vgpr_msb 5                        ;  msbs: dst=0 src0=1 src1=1 src2=0
	v_mul_i32_i24_e32 v82, v111 /*v367*/, v208 /*v464*/
	v_mul_i32_i24_e32 v91, v110 /*v366*/, v209 /*v465*/
	s_set_vgpr_msb 4                        ;  msbs: dst=0 src0=0 src1=1 src2=0
	v_mul_i32_i24_e32 v62, v121, v119 /*v375*/
	s_set_vgpr_msb 0                        ;  msbs: dst=0 src0=0 src1=0 src2=0
	v_add3_u32 v9, v9, v74, v76
	v_add3_u32 v8, v8, v93, v122
	s_set_vgpr_msb 5                        ;  msbs: dst=0 src0=1 src1=1 src2=0
	v_mul_i32_i24_e32 v93, v112 /*v368*/, v210 /*v466*/
	v_mul_i32_i24_e32 v122, v113 /*v369*/, v211 /*v467*/
	s_set_vgpr_msb 4                        ;  msbs: dst=0 src0=0 src1=1 src2=0
	v_mul_i32_i24_e32 v64, v121, v117 /*v373*/
	s_set_vgpr_msb 0                        ;  msbs: dst=0 src0=0 src1=0 src2=0
	v_add3_u32 v9, v9, v78, v80
	v_add3_u32 v8, v8, v124, v148
	s_set_vgpr_msb 5                        ;  msbs: dst=0 src0=1 src1=1 src2=0
	v_mul_i32_i24_e32 v65, v229 /*v485*/, v3 /*v259*/
	v_mul_i32_i24_e32 v66, v230 /*v486*/, v4 /*v260*/
	;; [unrolled: 1-line block ×3, first 2 shown]
	s_set_vgpr_msb 0                        ;  msbs: dst=0 src0=0 src1=0 src2=0
	v_add3_u32 v9, v9, v82, v91
	v_add3_u32 v8, v8, v10, v43
	v_mul_i32_i24_e32 v43, v12, v174
	s_set_vgpr_msb 5                        ;  msbs: dst=0 src0=1 src1=1 src2=0
	v_mul_i32_i24_e32 v69, v232 /*v488*/, v6 /*v262*/
	v_mul_i32_i24_e32 v70, v8 /*v264*/, v233 /*v489*/
	s_set_vgpr_msb 0                        ;  msbs: dst=0 src0=0 src1=0 src2=0
	v_add3_u32 v9, v9, v93, v122
	s_set_vgpr_msb 4                        ;  msbs: dst=0 src0=0 src1=1 src2=0
	v_mul_lo_u32 v8, v8, v55 /*v311*/
	s_set_vgpr_msb 5                        ;  msbs: dst=0 src0=1 src1=1 src2=0
	v_mul_i32_i24_e32 v72, v7 /*v263*/, v234 /*v490*/
	v_mul_i32_i24_e32 v74, v10 /*v266*/, v235 /*v491*/
	;; [unrolled: 1-line block ×3, first 2 shown]
	s_set_vgpr_msb 0                        ;  msbs: dst=0 src0=0 src1=0 src2=0
	v_add3_u32 v122, v9, v149, v150
	s_set_vgpr_msb 5                        ;  msbs: dst=0 src0=1 src1=1 src2=0
	v_mul_i32_i24_e32 v9, v179 /*v435*/, v57 /*v313*/
	v_mul_i32_i24_e32 v78, v12 /*v268*/, v237 /*v493*/
	;; [unrolled: 1-line block ×4, first 2 shown]
	s_set_vgpr_msb 0                        ;  msbs: dst=0 src0=0 src1=0 src2=0
	v_add3_u32 v43, v122, v59, v43
	v_add3_u32 v9, v58, v9, v11
	s_set_vgpr_msb 1                        ;  msbs: dst=0 src0=1 src1=0 src2=0
	v_mul_i32_i24_e32 v58, v176 /*v432*/, v174
	v_mul_i32_i24_e32 v59, v224 /*v480*/, v254
	s_set_vgpr_msb 5                        ;  msbs: dst=0 src0=1 src1=1 src2=0
	v_mul_i32_i24_e32 v91, v13 /*v269*/, v240 /*v496*/
	s_set_vgpr_msb 0                        ;  msbs: dst=0 src0=0 src1=0 src2=0
	v_add3_u32 v43, v43, v61, v64
	s_set_vgpr_msb 4                        ;  msbs: dst=0 src0=0 src1=1 src2=0
	v_mul_lo_u32 v10, v9, v55 /*v311*/
	s_set_vgpr_msb 5                        ;  msbs: dst=0 src0=1 src1=1 src2=0
	v_add3_u32 v58, v189 /*v445*/, v188 /*v444*/, v58
	s_set_vgpr_msb 0                        ;  msbs: dst=0 src0=0 src1=0 src2=0
	v_cvt_f32_i32_e32 v9, v8
	s_set_vgpr_msb 5                        ;  msbs: dst=0 src0=1 src1=1 src2=0
	v_mul_i32_i24_e32 v61, v226 /*v482*/, v0 /*v256*/
	s_set_vgpr_msb 0                        ;  msbs: dst=0 src0=0 src1=0 src2=0
	v_mul_lo_u32 v43, v43, v175
	s_set_vgpr_msb 5                        ;  msbs: dst=0 src0=1 src1=1 src2=0
	v_mul_i32_i24_e32 v64, v228 /*v484*/, v2 /*v258*/
	s_set_vgpr_msb 0                        ;  msbs: dst=0 src0=0 src1=0 src2=0
	v_add3_u32 v58, v58, v60, v62
	s_set_vgpr_msb 1                        ;  msbs: dst=0 src0=1 src1=0 src2=0
	v_mul_i32_i24_e32 v60, v225 /*v481*/, v255
	s_set_vgpr_msb 5                        ;  msbs: dst=0 src0=1 src1=1 src2=0
	v_mul_i32_i24_e32 v62, v227 /*v483*/, v1 /*v257*/
	v_mul_i32_i24_e32 v93, v17 /*v273*/, v241 /*v497*/
	;; [unrolled: 1-line block ×3, first 2 shown]
	s_set_vgpr_msb 0                        ;  msbs: dst=0 src0=0 src1=0 src2=0
	v_mul_lo_u32 v58, v58, v175
	v_cvt_f32_i32_e32 v8, v10
	v_pk_fma_f32 v[10:11], v[126:127], v[4:5], 0 op_sel_hi:[0,1,0]
	s_set_vgpr_msb 5                        ;  msbs: dst=0 src0=1 src1=1 src2=0
	v_mul_i32_i24_e32 v124, v45 /*v301*/, v213 /*v469*/
	s_set_vgpr_msb 0                        ;  msbs: dst=0 src0=0 src1=0 src2=0
	v_cvt_f32_i32_e32 v175, v43
	s_set_vgpr_msb 1                        ;  msbs: dst=0 src0=1 src1=0 src2=0
	v_mul_i32_i24_e32 v43, v222 /*v478*/, v252
	s_set_vgpr_msb 0                        ;  msbs: dst=0 src0=0 src1=0 src2=0
	v_pk_fma_f32 v[8:9], v[6:7], v[8:9], 0 op_sel_hi:[1,1,0]
	v_pk_fma_f32 v[10:11], v[120:121], v[2:3], v[10:11] op_sel_hi:[0,1,1]
	s_set_vgpr_msb 5                        ;  msbs: dst=0 src0=1 src1=1 src2=0
	v_mul_i32_i24_e32 v120, v15 /*v271*/, v242 /*v498*/
	v_mul_i32_i24_e32 v121, v243 /*v499*/, v21 /*v277*/
	;; [unrolled: 1-line block ×3, first 2 shown]
	s_set_vgpr_msb 0                        ;  msbs: dst=0 src0=0 src1=0 src2=0
	v_cvt_f32_i32_e32 v174, v58
	v_pk_mul_f32 v[10:11], v[10:11], v[106:107]
	s_set_vgpr_msb 1                        ;  msbs: dst=0 src0=1 src1=0 src2=0
	v_mul_i32_i24_e32 v58, v223 /*v479*/, v253
	s_set_vgpr_msb 0                        ;  msbs: dst=0 src0=0 src1=0 src2=0
	v_pk_fma_f32 v[8:9], v[0:1], v[174:175], v[8:9]
	s_delay_alu instid0(VALU_DEP_1)
	v_pk_fma_f32 v[8:9], v[8:9], v[98:99], v[10:11] neg_lo:[0,0,1] neg_hi:[0,0,1]
	s_set_vgpr_msb 1                        ;  msbs: dst=0 src0=1 src1=0 src2=0
	v_mul_i32_i24_e32 v10, v247 /*v503*/, v248
	v_mul_i32_i24_e32 v11, v221 /*v477*/, v251
	s_set_vgpr_msb 0                        ;  msbs: dst=0 src0=0 src1=0 src2=0
	v_pk_add_f32 v[20:21], v[20:21], v[8:9]
	s_set_vgpr_msb 1                        ;  msbs: dst=0 src0=1 src1=0 src2=0
	v_mul_i32_i24_e32 v8, v245 /*v501*/, v246
	v_mul_i32_i24_e32 v9, v246 /*v502*/, v247
	s_delay_alu instid0(VALU_DEP_2) | instskip(SKIP_1) | instid1(VALU_DEP_1)
	v_mad_i32_i24 v8, v218 /*v474*/, v245, v8
	s_set_vgpr_msb 0                        ;  msbs: dst=0 src0=0 src1=0 src2=0
	v_add3_u32 v8, v8, v9, v10
	s_set_vgpr_msb 1                        ;  msbs: dst=0 src0=1 src1=0 src2=0
	v_mul_i32_i24_e32 v9, v219 /*v475*/, v249
	v_mul_i32_i24_e32 v10, v220 /*v476*/, v250
	s_set_vgpr_msb 0                        ;  msbs: dst=0 src0=0 src1=0 src2=0
	s_delay_alu instid0(VALU_DEP_1)
	v_add3_u32 v8, v8, v9, v10
	s_set_vgpr_msb 5                        ;  msbs: dst=0 src0=1 src1=1 src2=0
	v_mul_i32_i24_e32 v9, v215 /*v471*/, v19 /*v275*/
	v_mul_i32_i24_e32 v10, v216 /*v472*/, v16 /*v272*/
	s_set_vgpr_msb 0                        ;  msbs: dst=0 src0=0 src1=0 src2=0
	v_add3_u32 v8, v8, v11, v43
	s_set_vgpr_msb 5                        ;  msbs: dst=0 src0=1 src1=1 src2=0
	v_mul_i32_i24_e32 v11, v217 /*v473*/, v22 /*v278*/
	s_set_vgpr_msb 4                        ;  msbs: dst=0 src0=0 src1=1 src2=0
	v_mad_i32_i24 v9, v14, v18 /*v274*/, v9
	s_set_vgpr_msb 5                        ;  msbs: dst=0 src0=1 src1=1 src2=0
	v_mul_i32_i24_e32 v43, v192 /*v448*/, v20 /*v276*/
	s_set_vgpr_msb 0                        ;  msbs: dst=0 src0=0 src1=0 src2=0
	v_add3_u32 v8, v8, v58, v59
	s_set_vgpr_msb 5                        ;  msbs: dst=0 src0=1 src1=1 src2=0
	v_mul_i32_i24_e32 v58, v193 /*v449*/, v27 /*v283*/
	s_set_vgpr_msb 0                        ;  msbs: dst=0 src0=0 src1=0 src2=0
	v_add3_u32 v9, v9, v10, v11
	s_set_vgpr_msb 5                        ;  msbs: dst=0 src0=1 src1=1 src2=0
	v_mul_i32_i24_e32 v10, v190 /*v446*/, v24 /*v280*/
	v_mul_i32_i24_e32 v11, v191 /*v447*/, v25 /*v281*/
	s_set_vgpr_msb 0                        ;  msbs: dst=0 src0=0 src1=0 src2=0
	v_add3_u32 v8, v8, v60, v61
	s_set_vgpr_msb 5                        ;  msbs: dst=0 src0=1 src1=1 src2=0
	v_mul_i32_i24_e32 v59, v194 /*v450*/, v28 /*v284*/
	v_mul_i32_i24_e32 v60, v195 /*v451*/, v29 /*v285*/
	v_mul_i32_i24_e32 v61, v196 /*v452*/, v26 /*v282*/
	s_set_vgpr_msb 0                        ;  msbs: dst=0 src0=0 src1=0 src2=0
	v_add3_u32 v9, v9, v10, v11
	v_add3_u32 v8, v8, v62, v64
	s_set_vgpr_msb 5                        ;  msbs: dst=0 src0=1 src1=1 src2=0
	v_mul_i32_i24_e32 v62, v197 /*v453*/, v31 /*v287*/
	v_mul_i32_i24_e32 v64, v198 /*v454*/, v32 /*v288*/
	s_set_vgpr_msb 0                        ;  msbs: dst=0 src0=0 src1=0 src2=0
	v_mul_i32_i24_e32 v10, v13, v244
	v_add3_u32 v9, v9, v43, v58
	v_add3_u32 v8, v8, v65, v66
	s_set_vgpr_msb 5                        ;  msbs: dst=0 src0=1 src1=1 src2=0
	v_mul_i32_i24_e32 v65, v199 /*v455*/, v33 /*v289*/
	v_mul_i32_i24_e32 v66, v200 /*v456*/, v30 /*v286*/
	s_set_vgpr_msb 4                        ;  msbs: dst=0 src0=0 src1=1 src2=0
	v_mul_i32_i24_e32 v11, v243, v121 /*v377*/
	s_set_vgpr_msb 0                        ;  msbs: dst=0 src0=0 src1=0 src2=0
	v_add3_u32 v9, v9, v59, v60
	v_add3_u32 v8, v8, v68, v69
	s_set_vgpr_msb 5                        ;  msbs: dst=0 src0=1 src1=1 src2=0
	v_mul_i32_i24_e32 v68, v201 /*v457*/, v34 /*v290*/
	v_mul_i32_i24_e32 v69, v35 /*v291*/, v202 /*v458*/
	s_set_vgpr_msb 4                        ;  msbs: dst=0 src0=0 src1=1 src2=0
	v_mul_i32_i24_e32 v58, v243, v120 /*v376*/
	s_set_vgpr_msb 0                        ;  msbs: dst=0 src0=0 src1=0 src2=0
	v_add3_u32 v9, v9, v61, v62
	v_add3_u32 v8, v8, v70, v72
	s_set_vgpr_msb 21                       ;  msbs: dst=0 src0=1 src1=1 src2=1
	v_mul_i32_i24_e32 v70, v36 /*v292*/, v203 /*v459*/
	v_mul_i32_i24_e32 v72, v38 /*v294*/, v204 /*v460*/
	v_add3_u32 v59, v187 /*v443*/, v185 /*v441*/, v186 /*v442*/
	s_set_vgpr_msb 0                        ;  msbs: dst=0 src0=0 src1=0 src2=0
	v_add3_u32 v9, v9, v64, v65
	v_add3_u32 v8, v8, v74, v76
	s_set_vgpr_msb 5                        ;  msbs: dst=0 src0=1 src1=1 src2=0
	v_mul_i32_i24_e32 v74, v37 /*v293*/, v205 /*v461*/
	v_mul_i32_i24_e32 v76, v39 /*v295*/, v206 /*v462*/
	s_set_vgpr_msb 4                        ;  msbs: dst=0 src0=0 src1=1 src2=0
	v_mul_i32_i24_e32 v60, v115, v118 /*v374*/
	s_set_vgpr_msb 0                        ;  msbs: dst=0 src0=0 src1=0 src2=0
	v_add3_u32 v9, v9, v66, v68
	v_add3_u32 v8, v8, v78, v80
	s_set_vgpr_msb 5                        ;  msbs: dst=0 src0=1 src1=1 src2=0
	v_mul_i32_i24_e32 v78, v40 /*v296*/, v207 /*v463*/
	v_mul_i32_i24_e32 v80, v42 /*v298*/, v208 /*v464*/
	s_set_vgpr_msb 0                        ;  msbs: dst=0 src0=0 src1=0 src2=0
	v_mul_i32_i24_e32 v61, v115, v15
	v_add3_u32 v9, v9, v69, v70
	v_add3_u32 v8, v8, v82, v91
	s_set_vgpr_msb 5                        ;  msbs: dst=0 src0=1 src1=1 src2=0
	v_mul_i32_i24_e32 v82, v41 /*v297*/, v209 /*v465*/
	v_mul_i32_i24_e32 v91, v43 /*v299*/, v210 /*v466*/
	s_set_vgpr_msb 4                        ;  msbs: dst=0 src0=0 src1=1 src2=0
	v_mul_i32_i24_e32 v62, v113, v119 /*v375*/
	s_set_vgpr_msb 0                        ;  msbs: dst=0 src0=0 src1=0 src2=0
	v_add3_u32 v9, v9, v72, v74
	v_add3_u32 v8, v8, v93, v120
	s_set_vgpr_msb 5                        ;  msbs: dst=0 src0=1 src1=1 src2=0
	v_mul_i32_i24_e32 v93, v44 /*v300*/, v211 /*v467*/
	v_mul_i32_i24_e32 v120, v46 /*v302*/, v212 /*v468*/
	s_set_vgpr_msb 4                        ;  msbs: dst=0 src0=0 src1=1 src2=0
	v_mul_i32_i24_e32 v64, v113, v117 /*v373*/
	s_set_vgpr_msb 0                        ;  msbs: dst=0 src0=0 src1=0 src2=0
	v_add3_u32 v9, v9, v76, v78
	v_add3_u32 v8, v8, v121, v122
	s_set_vgpr_msb 1                        ;  msbs: dst=0 src0=1 src1=0 src2=0
	v_mul_i32_i24_e32 v65, v229 /*v485*/, v197
	v_mul_i32_i24_e32 v66, v230 /*v486*/, v198
	;; [unrolled: 1-line block ×3, first 2 shown]
	s_set_vgpr_msb 0                        ;  msbs: dst=0 src0=0 src1=0 src2=0
	v_add3_u32 v9, v9, v80, v82
	v_add3_u32 v8, v8, v10, v58
	v_mul_i32_i24_e32 v58, v12, v117
	s_set_vgpr_msb 1                        ;  msbs: dst=0 src0=1 src1=0 src2=0
	v_mul_i32_i24_e32 v69, v232 /*v488*/, v200
	s_set_vgpr_msb 4                        ;  msbs: dst=0 src0=0 src1=1 src2=0
	v_mul_i32_i24_e32 v70, v202, v233 /*v489*/
	s_set_vgpr_msb 0                        ;  msbs: dst=0 src0=0 src1=0 src2=0
	v_add3_u32 v9, v9, v91, v93
	v_mul_lo_u32 v8, v8, v242
	s_set_vgpr_msb 4                        ;  msbs: dst=0 src0=0 src1=1 src2=0
	v_mul_i32_i24_e32 v72, v201, v234 /*v490*/
	v_mul_i32_i24_e32 v74, v204, v235 /*v491*/
	;; [unrolled: 1-line block ×3, first 2 shown]
	s_set_vgpr_msb 0                        ;  msbs: dst=0 src0=0 src1=0 src2=0
	v_add3_u32 v43, v9, v120, v124
	s_set_vgpr_msb 1                        ;  msbs: dst=0 src0=1 src1=0 src2=0
	v_mul_i32_i24_e32 v9, v179 /*v435*/, v244
	s_set_vgpr_msb 4                        ;  msbs: dst=0 src0=0 src1=1 src2=0
	v_mul_i32_i24_e32 v78, v206, v237 /*v493*/
	v_mul_i32_i24_e32 v80, v205, v238 /*v494*/
	;; [unrolled: 1-line block ×3, first 2 shown]
	s_set_vgpr_msb 0                        ;  msbs: dst=0 src0=0 src1=0 src2=0
	v_add3_u32 v43, v43, v126, v58
	v_add3_u32 v9, v59, v9, v11
	s_set_vgpr_msb 1                        ;  msbs: dst=0 src0=1 src1=0 src2=0
	v_mul_i32_i24_e32 v59, v176 /*v432*/, v117
	s_set_vgpr_msb 4                        ;  msbs: dst=0 src0=0 src1=1 src2=0
	v_mul_i32_i24_e32 v91, v207, v240 /*v496*/
	v_mul_i32_i24_e32 v93, v211, v241 /*v497*/
	s_set_vgpr_msb 0                        ;  msbs: dst=0 src0=0 src1=0 src2=0
	v_add3_u32 v43, v43, v61, v64
	v_mul_lo_u32 v10, v9, v242
	s_set_vgpr_msb 5                        ;  msbs: dst=0 src0=1 src1=1 src2=0
	v_add3_u32 v59, v184 /*v440*/, v183 /*v439*/, v59
	s_set_vgpr_msb 0                        ;  msbs: dst=0 src0=0 src1=0 src2=0
	v_cvt_f32_i32_e32 v9, v8
	s_set_vgpr_msb 1                        ;  msbs: dst=0 src0=1 src1=0 src2=0
	v_mul_i32_i24_e32 v61, v226 /*v482*/, v194
	s_set_vgpr_msb 0                        ;  msbs: dst=0 src0=0 src1=0 src2=0
	v_mul_lo_u32 v43, v43, v119
	s_set_vgpr_msb 1                        ;  msbs: dst=0 src0=1 src1=0 src2=0
	v_mul_i32_i24_e32 v64, v228 /*v484*/, v196
	s_set_vgpr_msb 0                        ;  msbs: dst=0 src0=0 src1=0 src2=0
	v_add3_u32 v58, v59, v60, v62
	s_set_vgpr_msb 1                        ;  msbs: dst=0 src0=1 src1=0 src2=0
	v_mul_i32_i24_e32 v59, v224 /*v480*/, v192
	v_mul_i32_i24_e32 v60, v225 /*v481*/, v193
	;; [unrolled: 1-line block ×3, first 2 shown]
	s_set_vgpr_msb 0                        ;  msbs: dst=0 src0=0 src1=0 src2=0
	v_mul_lo_u32 v58, v58, v119
	v_cvt_f32_i32_e32 v8, v10
	v_pk_fma_f32 v[10:11], v[112:113], v[4:5], 0 op_sel_hi:[0,1,0]
	v_pk_fma_f32 v[4:5], v[118:119], v[4:5], 0 op_sel_hi:[0,1,0]
	v_cvt_f32_i32_e32 v113, v43
	s_set_vgpr_msb 1                        ;  msbs: dst=0 src0=1 src1=0 src2=0
	v_mul_i32_i24_e32 v43, v222 /*v478*/, v190
	s_set_vgpr_msb 0                        ;  msbs: dst=0 src0=0 src1=0 src2=0
	v_pk_fma_f32 v[8:9], v[6:7], v[8:9], 0 op_sel_hi:[1,1,0]
	v_pk_fma_f32 v[10:11], v[114:115], v[2:3], v[10:11] op_sel_hi:[0,1,1]
	s_set_vgpr_msb 1                        ;  msbs: dst=0 src0=1 src1=0 src2=0
	v_mul_i32_i24_e32 v114, v244 /*v500*/, v217
	v_mul_i32_i24_e32 v115, v214 /*v470*/, v241
	s_set_vgpr_msb 0                        ;  msbs: dst=0 src0=0 src1=0 src2=0
	v_pk_fma_f32 v[2:3], v[116:117], v[2:3], v[4:5] op_sel_hi:[0,1,1]
	v_cvt_f32_i32_e32 v112, v58
	v_pk_mul_f32 v[10:11], v[10:11], v[108:109]
	s_set_vgpr_msb 1                        ;  msbs: dst=0 src0=1 src1=0 src2=0
	v_mul_i32_i24_e32 v58, v223 /*v479*/, v191
	s_set_vgpr_msb 0                        ;  msbs: dst=0 src0=0 src1=0 src2=0
	v_pk_mul_f32 v[2:3], v[2:3], v[110:111]
	v_pk_fma_f32 v[8:9], v[0:1], v[112:113], v[8:9]
	s_set_vgpr_msb 4                        ;  msbs: dst=0 src0=0 src1=1 src2=0
	v_mul_i32_i24_e32 v112, v209, v242 /*v498*/
	s_set_vgpr_msb 1                        ;  msbs: dst=0 src0=1 src1=0 src2=0
	v_mul_i32_i24_e32 v113, v243 /*v499*/, v215
	s_set_vgpr_msb 0                        ;  msbs: dst=0 src0=0 src1=0 src2=0
	v_pk_fma_f32 v[8:9], v[8:9], v[100:101], v[10:11] neg_lo:[0,0,1] neg_hi:[0,0,1]
	s_set_vgpr_msb 1                        ;  msbs: dst=0 src0=1 src1=0 src2=0
	v_mul_i32_i24_e32 v10, v247 /*v503*/, v186
	v_mul_i32_i24_e32 v11, v221 /*v477*/, v189
	s_set_vgpr_msb 0                        ;  msbs: dst=0 src0=0 src1=0 src2=0
	v_pk_add_f32 v[18:19], v[18:19], v[8:9]
	s_set_vgpr_msb 1                        ;  msbs: dst=0 src0=1 src1=0 src2=0
	v_mul_i32_i24_e32 v8, v245 /*v501*/, v184
	v_mul_i32_i24_e32 v9, v246 /*v502*/, v185
	s_delay_alu instid0(VALU_DEP_2) | instskip(SKIP_1) | instid1(VALU_DEP_1)
	v_mad_i32_i24 v8, v218 /*v474*/, v183, v8
	s_set_vgpr_msb 0                        ;  msbs: dst=0 src0=0 src1=0 src2=0
	v_add3_u32 v8, v8, v9, v10
	s_set_vgpr_msb 1                        ;  msbs: dst=0 src0=1 src1=0 src2=0
	v_mul_i32_i24_e32 v9, v219 /*v475*/, v187
	v_mul_i32_i24_e32 v10, v220 /*v476*/, v188
	s_set_vgpr_msb 0                        ;  msbs: dst=0 src0=0 src1=0 src2=0
	s_delay_alu instid0(VALU_DEP_1)
	v_add3_u32 v8, v8, v9, v10
	s_set_vgpr_msb 1                        ;  msbs: dst=0 src0=1 src1=0 src2=0
	v_mul_i32_i24_e32 v9, v215 /*v471*/, v213
	v_mul_i32_i24_e32 v10, v216 /*v472*/, v210
	s_set_vgpr_msb 0                        ;  msbs: dst=0 src0=0 src1=0 src2=0
	v_add3_u32 v8, v8, v11, v43
	s_set_vgpr_msb 1                        ;  msbs: dst=0 src0=1 src1=0 src2=0
	v_mul_i32_i24_e32 v11, v217 /*v473*/, v216
	s_set_vgpr_msb 0                        ;  msbs: dst=0 src0=0 src1=0 src2=0
	v_mad_i32_i24 v9, v14, v212, v9
	s_set_vgpr_msb 1                        ;  msbs: dst=0 src0=1 src1=0 src2=0
	v_mul_i32_i24_e32 v14, v192 /*v448*/, v214
	v_mul_i32_i24_e32 v43, v193 /*v449*/, v221
	s_set_vgpr_msb 0                        ;  msbs: dst=0 src0=0 src1=0 src2=0
	v_add3_u32 v8, v8, v58, v59
	s_set_vgpr_msb 1                        ;  msbs: dst=0 src0=1 src1=0 src2=0
	v_mul_i32_i24_e32 v58, v194 /*v450*/, v222
	s_set_vgpr_msb 0                        ;  msbs: dst=0 src0=0 src1=0 src2=0
	v_add3_u32 v9, v9, v10, v11
	s_set_vgpr_msb 1                        ;  msbs: dst=0 src0=1 src1=0 src2=0
	v_mul_i32_i24_e32 v10, v190 /*v446*/, v218
	v_mul_i32_i24_e32 v11, v191 /*v447*/, v219
	;; [unrolled: 1-line block ×3, first 2 shown]
	s_set_vgpr_msb 0                        ;  msbs: dst=0 src0=0 src1=0 src2=0
	v_add3_u32 v8, v8, v60, v61
	s_set_vgpr_msb 1                        ;  msbs: dst=0 src0=1 src1=0 src2=0
	v_mul_i32_i24_e32 v60, v196 /*v452*/, v220
	v_mul_i32_i24_e32 v61, v197 /*v453*/, v225
	s_set_vgpr_msb 0                        ;  msbs: dst=0 src0=0 src1=0 src2=0
	v_add3_u32 v9, v9, v10, v11
	v_mul_i32_i24_e32 v11, v13, v182
	v_add3_u32 v8, v8, v62, v64
	s_set_vgpr_msb 1                        ;  msbs: dst=0 src0=1 src1=0 src2=0
	v_mul_i32_i24_e32 v62, v198 /*v454*/, v226
	v_mul_i32_i24_e32 v64, v199 /*v455*/, v227
	s_set_vgpr_msb 0                        ;  msbs: dst=0 src0=0 src1=0 src2=0
	v_add3_u32 v9, v9, v14, v43
	s_set_vgpr_msb 4                        ;  msbs: dst=0 src0=0 src1=1 src2=0
	v_mul_i32_i24_e32 v13, v181, v121 /*v377*/
	s_set_vgpr_msb 0                        ;  msbs: dst=0 src0=0 src1=0 src2=0
	v_add3_u32 v8, v8, v65, v66
	s_set_vgpr_msb 1                        ;  msbs: dst=0 src0=1 src1=0 src2=0
	v_mul_i32_i24_e32 v65, v200 /*v456*/, v224
	v_mul_i32_i24_e32 v66, v201 /*v457*/, v228
	s_set_vgpr_msb 0                        ;  msbs: dst=0 src0=0 src1=0 src2=0
	v_add3_u32 v9, v9, v58, v59
	s_set_vgpr_msb 4                        ;  msbs: dst=0 src0=0 src1=1 src2=0
	v_mul_i32_i24_e32 v14, v181, v120 /*v376*/
	s_set_vgpr_msb 0                        ;  msbs: dst=0 src0=0 src1=0 src2=0
	v_add3_u32 v8, v8, v68, v69
	s_set_vgpr_msb 4                        ;  msbs: dst=0 src0=0 src1=1 src2=0
	v_mul_i32_i24_e32 v68, v229, v202 /*v458*/
	v_mul_i32_i24_e32 v69, v230, v203 /*v459*/
	s_set_vgpr_msb 0                        ;  msbs: dst=0 src0=0 src1=0 src2=0
	v_add3_u32 v9, v9, v60, v61
	s_set_vgpr_msb 21                       ;  msbs: dst=0 src0=1 src1=1 src2=1
	v_add3_u32 v43, v182 /*v438*/, v180 /*v436*/, v181 /*v437*/
	s_set_vgpr_msb 0                        ;  msbs: dst=0 src0=0 src1=0 src2=0
	v_add3_u32 v8, v8, v70, v72
	s_set_vgpr_msb 4                        ;  msbs: dst=0 src0=0 src1=1 src2=0
	v_mul_i32_i24_e32 v70, v232, v204 /*v460*/
	v_mul_i32_i24_e32 v72, v231, v205 /*v461*/
	s_set_vgpr_msb 0                        ;  msbs: dst=0 src0=0 src1=0 src2=0
	v_add3_u32 v9, v9, v62, v64
	v_add3_u32 v8, v8, v74, v76
	s_set_vgpr_msb 4                        ;  msbs: dst=0 src0=0 src1=1 src2=0
	v_mul_i32_i24_e32 v74, v233, v206 /*v462*/
	v_mul_i32_i24_e32 v76, v234, v207 /*v463*/
	s_set_vgpr_msb 0                        ;  msbs: dst=0 src0=0 src1=0 src2=0
	v_add3_u32 v9, v9, v65, v66
	;; [unrolled: 6-line block ×5, first 2 shown]
	v_add3_u32 v8, v8, v113, v114
	s_delay_alu instid0(VALU_DEP_2) | instskip(NEXT) | instid1(VALU_DEP_2)
	v_add3_u32 v9, v9, v78, v80
	v_add3_u32 v8, v8, v11, v14
	s_set_vgpr_msb 4                        ;  msbs: dst=0 src0=0 src1=1 src2=0
	v_mul_i32_i24_e32 v14, v176, v117 /*v373*/
	s_set_vgpr_msb 0                        ;  msbs: dst=0 src0=0 src1=0 src2=0
	v_add3_u32 v9, v9, v82, v91
	v_mul_lo_u32 v8, v8, v180
	s_delay_alu instid0(VALU_DEP_2) | instskip(SKIP_3) | instid1(VALU_DEP_1)
	v_add3_u32 v10, v9, v93, v112
	s_set_vgpr_msb 1                        ;  msbs: dst=0 src0=1 src1=0 src2=0
	v_mul_i32_i24_e32 v9, v179 /*v435*/, v182
	s_set_vgpr_msb 0                        ;  msbs: dst=0 src0=0 src1=0 src2=0
	v_add3_u32 v9, v43, v9, v13
	s_set_vgpr_msb 4                        ;  msbs: dst=0 src0=0 src1=1 src2=0
	v_mul_i32_i24_e32 v13, v176, v119 /*v375*/
	s_set_vgpr_msb 0                        ;  msbs: dst=0 src0=0 src1=0 src2=0
	s_delay_alu instid0(VALU_DEP_2) | instskip(SKIP_1) | instid1(VALU_DEP_2)
	v_mul_lo_u32 v11, v9, v180
	v_cvt_f32_i32_e32 v9, v8
	v_cvt_f32_i32_e32 v8, v11
	s_set_vgpr_msb 4                        ;  msbs: dst=0 src0=0 src1=1 src2=0
	v_mul_i32_i24_e32 v11, v177, v118 /*v374*/
	s_set_vgpr_msb 0                        ;  msbs: dst=0 src0=0 src1=0 src2=0
	s_delay_alu instid0(VALU_DEP_2)
	v_pk_fma_f32 v[6:7], v[6:7], v[8:9], 0 op_sel_hi:[1,1,0]
	v_mul_i32_i24_e32 v8, v12, v178
	s_set_vgpr_msb 1                        ;  msbs: dst=0 src0=1 src1=0 src2=0
	v_mul_i32_i24_e32 v9, v176 /*v432*/, v178
	s_set_vgpr_msb 0                        ;  msbs: dst=0 src0=0 src1=0 src2=0
	v_mul_i32_i24_e32 v12, v177, v15
	v_add3_u32 v8, v10, v115, v8
	s_set_vgpr_msb 5                        ;  msbs: dst=0 src0=1 src1=1 src2=0
	v_add3_u32 v9, v178 /*v434*/, v177 /*v433*/, v9
	s_set_vgpr_msb 0                        ;  msbs: dst=0 src0=0 src1=0 src2=0
	s_delay_alu instid0(VALU_DEP_2) | instskip(NEXT) | instid1(VALU_DEP_2)
	v_add3_u32 v8, v8, v12, v14
	v_add3_u32 v9, v9, v11, v13
	s_delay_alu instid0(VALU_DEP_2) | instskip(NEXT) | instid1(VALU_DEP_2)
	v_mul_lo_u32 v8, v8, v179
	v_mul_lo_u32 v10, v9, v179
	s_delay_alu instid0(VALU_DEP_2) | instskip(NEXT) | instid1(VALU_DEP_2)
	v_cvt_f32_i32_e32 v9, v8
	v_cvt_f32_i32_e32 v8, v10
	s_delay_alu instid0(VALU_DEP_1) | instskip(NEXT) | instid1(VALU_DEP_1)
	v_pk_fma_f32 v[0:1], v[0:1], v[8:9], v[6:7]
	v_pk_fma_f32 v[0:1], v[0:1], v[102:103], v[2:3] neg_lo:[0,0,1] neg_hi:[0,0,1]
	s_delay_alu instid0(VALU_DEP_1)
	v_pk_add_f32 v[16:17], v[16:17], v[0:1]
	s_cbranch_scc1 .LBB172_8
; %bb.9:                                ;   in Loop: Header=BB172_5 Depth=1
	s_add_co_i32 s0, s0, 1
	s_delay_alu instid0(SALU_CYCLE_1)
	s_cmp_eq_u32 s0, s7
	s_barrier_signal -1
	s_barrier_wait -1
	s_cbranch_scc0 .LBB172_5
; %bb.10:
	s_clause 0x2
	scratch_load_b32 v1, off, off offset:184 th:TH_LOAD_LU
	scratch_load_b32 v2, off, off offset:188 th:TH_LOAD_LU
	scratch_load_b32 v3, off, off offset:192
.LBB172_11:
	s_wait_xcnt 0x0
	s_mov_b32 s0, exec_lo
	s_wait_loadcnt 0x0
	v_cmpx_gt_u32_e64 s6, v3
	s_cbranch_execz .LBB172_62
; %bb.12:
	v_mul_lo_u32 v5, v3, s14
	v_add_nc_u32_e32 v0, s16, v2
	s_delay_alu instid0(VALU_DEP_1)
	v_cmp_gt_u32_e32 vcc_lo, s14, v0
	s_and_saveexec_b32 s1, vcc_lo
	s_cbranch_execz .LBB172_14
; %bb.13:
	v_bfe_u32 v2, v50, 16, 1
	v_cmp_o_f32_e64 s0, v50, v50
	v_add_nc_u32_e32 v3, v0, v5
	s_delay_alu instid0(VALU_DEP_3) | instskip(NEXT) | instid1(VALU_DEP_1)
	v_add3_u32 v2, v50, v2, 0x7fff
	v_lshrrev_b32_e32 v2, 16, v2
	s_delay_alu instid0(VALU_DEP_1)
	v_cndmask_b32_e64 v2, 0x7fc0, v2, s0
	s_wait_kmcnt 0x0
	global_store_b16 v3, v2, s[12:13] scale_offset
.LBB172_14:
	s_wait_xcnt 0x0
	s_or_b32 exec_lo, exec_lo, s1
	v_add_nc_u32_e32 v2, 32, v0
	s_delay_alu instid0(VALU_DEP_1)
	v_cmp_gt_u32_e64 s0, s14, v2
	s_and_saveexec_b32 s2, s0
	s_cbranch_execz .LBB172_16
; %bb.15:
	v_bfe_u32 v3, v48, 16, 1
	v_cmp_o_f32_e64 s1, v48, v48
	v_add_nc_u32_e32 v4, v2, v5
	s_delay_alu instid0(VALU_DEP_3) | instskip(NEXT) | instid1(VALU_DEP_1)
	v_add3_u32 v3, v48, v3, 0x7fff
	v_lshrrev_b32_e32 v3, 16, v3
	s_delay_alu instid0(VALU_DEP_1)
	v_cndmask_b32_e64 v3, 0x7fc0, v3, s1
	s_wait_kmcnt 0x0
	global_store_b16 v4, v3, s[12:13] scale_offset
.LBB172_16:
	s_wait_xcnt 0x0
	s_or_b32 exec_lo, exec_lo, s2
	v_add_nc_u32_e32 v3, 64, v0
	s_delay_alu instid0(VALU_DEP_1)
	v_cmp_gt_u32_e64 s1, s14, v3
	s_and_saveexec_b32 s3, s1
	;; [unrolled: 19-line block ×3, first 2 shown]
	s_cbranch_execz .LBB172_20
; %bb.19:
	v_bfe_u32 v6, v40, 16, 1
	v_cmp_o_f32_e64 s3, v40, v40
	v_add_nc_u32_e32 v5, v4, v5
	s_delay_alu instid0(VALU_DEP_3) | instskip(NEXT) | instid1(VALU_DEP_1)
	v_add3_u32 v6, v40, v6, 0x7fff
	v_lshrrev_b32_e32 v6, 16, v6
	s_delay_alu instid0(VALU_DEP_1)
	v_cndmask_b32_e64 v6, 0x7fc0, v6, s3
	s_wait_kmcnt 0x0
	global_store_b16 v5, v6, s[12:13] scale_offset
.LBB172_20:
	s_wait_xcnt 0x0
	s_or_b32 exec_lo, exec_lo, s4
	v_add3_u32 v5, v1, s15, 8
	s_delay_alu instid0(VALU_DEP_1)
	v_cmp_gt_u32_e64 s3, s6, v5
	s_and_b32 exec_lo, exec_lo, s3
	s_cbranch_execz .LBB172_62
; %bb.21:
	v_mul_lo_u32 v5, v5, s14
	s_and_saveexec_b32 s4, vcc_lo
	s_cbranch_execnz .LBB172_63
; %bb.22:
	s_or_b32 exec_lo, exec_lo, s4
	s_and_saveexec_b32 s4, s0
	s_cbranch_execnz .LBB172_64
.LBB172_23:
	s_or_b32 exec_lo, exec_lo, s4
	s_and_saveexec_b32 s4, s1
	s_cbranch_execnz .LBB172_65
.LBB172_24:
	s_or_b32 exec_lo, exec_lo, s4
	s_and_saveexec_b32 s4, s2
	s_cbranch_execz .LBB172_26
.LBB172_25:
	v_bfe_u32 v6, v41, 16, 1
	v_cmp_o_f32_e64 s3, v41, v41
	v_add_nc_u32_e32 v5, v5, v4
	s_delay_alu instid0(VALU_DEP_3) | instskip(NEXT) | instid1(VALU_DEP_1)
	v_add3_u32 v6, v41, v6, 0x7fff
	v_lshrrev_b32_e32 v6, 16, v6
	s_delay_alu instid0(VALU_DEP_1)
	v_cndmask_b32_e64 v6, 0x7fc0, v6, s3
	s_wait_kmcnt 0x0
	global_store_b16 v5, v6, s[12:13] scale_offset
.LBB172_26:
	s_wait_xcnt 0x0
	s_or_b32 exec_lo, exec_lo, s4
	v_add3_u32 v5, v1, s15, 16
	s_delay_alu instid0(VALU_DEP_1)
	v_cmp_gt_u32_e64 s3, s6, v5
	s_and_b32 exec_lo, exec_lo, s3
	s_cbranch_execz .LBB172_62
; %bb.27:
	v_mul_lo_u32 v5, v5, s14
	s_and_saveexec_b32 s4, vcc_lo
	s_cbranch_execnz .LBB172_66
; %bb.28:
	s_or_b32 exec_lo, exec_lo, s4
	s_and_saveexec_b32 s4, s0
	s_cbranch_execnz .LBB172_67
.LBB172_29:
	s_or_b32 exec_lo, exec_lo, s4
	s_and_saveexec_b32 s4, s1
	s_cbranch_execnz .LBB172_68
.LBB172_30:
	s_or_b32 exec_lo, exec_lo, s4
	s_and_saveexec_b32 s4, s2
	s_cbranch_execz .LBB172_32
.LBB172_31:
	v_bfe_u32 v6, v32, 16, 1
	v_cmp_o_f32_e64 s3, v32, v32
	v_add_nc_u32_e32 v5, v5, v4
	s_delay_alu instid0(VALU_DEP_3) | instskip(NEXT) | instid1(VALU_DEP_1)
	v_add3_u32 v6, v32, v6, 0x7fff
	v_lshrrev_b32_e32 v6, 16, v6
	s_delay_alu instid0(VALU_DEP_1)
	v_cndmask_b32_e64 v6, 0x7fc0, v6, s3
	s_wait_kmcnt 0x0
	global_store_b16 v5, v6, s[12:13] scale_offset
.LBB172_32:
	s_wait_xcnt 0x0
	s_or_b32 exec_lo, exec_lo, s4
	v_add3_u32 v5, v1, s15, 24
	s_delay_alu instid0(VALU_DEP_1)
	v_cmp_gt_u32_e64 s3, s6, v5
	s_and_b32 exec_lo, exec_lo, s3
	s_cbranch_execz .LBB172_62
; %bb.33:
	v_mul_lo_u32 v5, v5, s14
	s_and_saveexec_b32 s4, vcc_lo
	s_cbranch_execnz .LBB172_69
; %bb.34:
	s_or_b32 exec_lo, exec_lo, s4
	s_and_saveexec_b32 s4, s0
	s_cbranch_execnz .LBB172_70
.LBB172_35:
	s_or_b32 exec_lo, exec_lo, s4
	s_and_saveexec_b32 s4, s1
	s_cbranch_execnz .LBB172_71
.LBB172_36:
	s_or_b32 exec_lo, exec_lo, s4
	s_and_saveexec_b32 s4, s2
	s_cbranch_execz .LBB172_38
.LBB172_37:
	v_bfe_u32 v6, v33, 16, 1
	v_cmp_o_f32_e64 s3, v33, v33
	v_add_nc_u32_e32 v5, v5, v4
	s_delay_alu instid0(VALU_DEP_3) | instskip(NEXT) | instid1(VALU_DEP_1)
	v_add3_u32 v6, v33, v6, 0x7fff
	v_lshrrev_b32_e32 v6, 16, v6
	s_delay_alu instid0(VALU_DEP_1)
	v_cndmask_b32_e64 v6, 0x7fc0, v6, s3
	s_wait_kmcnt 0x0
	global_store_b16 v5, v6, s[12:13] scale_offset
.LBB172_38:
	s_wait_xcnt 0x0
	s_or_b32 exec_lo, exec_lo, s4
	v_add3_u32 v5, v1, s15, 32
	s_delay_alu instid0(VALU_DEP_1)
	v_cmp_gt_u32_e64 s3, s6, v5
	s_and_b32 exec_lo, exec_lo, s3
	s_cbranch_execz .LBB172_62
; %bb.39:
	v_mul_lo_u32 v5, v5, s14
	s_and_saveexec_b32 s4, vcc_lo
	s_cbranch_execnz .LBB172_72
; %bb.40:
	s_or_b32 exec_lo, exec_lo, s4
	s_and_saveexec_b32 s4, s0
	s_cbranch_execnz .LBB172_73
.LBB172_41:
	s_or_b32 exec_lo, exec_lo, s4
	s_and_saveexec_b32 s4, s1
	s_cbranch_execnz .LBB172_74
.LBB172_42:
	s_or_b32 exec_lo, exec_lo, s4
	s_and_saveexec_b32 s4, s2
	s_cbranch_execz .LBB172_44
.LBB172_43:
	v_bfe_u32 v6, v24, 16, 1
	v_cmp_o_f32_e64 s3, v24, v24
	v_add_nc_u32_e32 v5, v5, v4
	s_delay_alu instid0(VALU_DEP_3) | instskip(NEXT) | instid1(VALU_DEP_1)
	v_add3_u32 v6, v24, v6, 0x7fff
	v_lshrrev_b32_e32 v6, 16, v6
	s_delay_alu instid0(VALU_DEP_1)
	v_cndmask_b32_e64 v6, 0x7fc0, v6, s3
	s_wait_kmcnt 0x0
	global_store_b16 v5, v6, s[12:13] scale_offset
.LBB172_44:
	s_wait_xcnt 0x0
	s_or_b32 exec_lo, exec_lo, s4
	v_add3_u32 v5, v1, s15, 40
	s_delay_alu instid0(VALU_DEP_1)
	v_cmp_gt_u32_e64 s3, s6, v5
	s_and_b32 exec_lo, exec_lo, s3
	s_cbranch_execz .LBB172_62
; %bb.45:
	v_mul_lo_u32 v5, v5, s14
	s_and_saveexec_b32 s4, vcc_lo
	s_cbranch_execnz .LBB172_75
; %bb.46:
	s_or_b32 exec_lo, exec_lo, s4
	s_and_saveexec_b32 s4, s0
	s_cbranch_execnz .LBB172_76
.LBB172_47:
	s_or_b32 exec_lo, exec_lo, s4
	s_and_saveexec_b32 s4, s1
	s_cbranch_execnz .LBB172_77
.LBB172_48:
	s_or_b32 exec_lo, exec_lo, s4
	s_and_saveexec_b32 s4, s2
	s_cbranch_execz .LBB172_50
.LBB172_49:
	v_bfe_u32 v6, v25, 16, 1
	v_cmp_o_f32_e64 s3, v25, v25
	v_add_nc_u32_e32 v5, v5, v4
	s_delay_alu instid0(VALU_DEP_3) | instskip(NEXT) | instid1(VALU_DEP_1)
	v_add3_u32 v6, v25, v6, 0x7fff
	v_lshrrev_b32_e32 v6, 16, v6
	s_delay_alu instid0(VALU_DEP_1)
	v_cndmask_b32_e64 v6, 0x7fc0, v6, s3
	s_wait_kmcnt 0x0
	global_store_b16 v5, v6, s[12:13] scale_offset
.LBB172_50:
	s_wait_xcnt 0x0
	s_or_b32 exec_lo, exec_lo, s4
	v_add3_u32 v5, v1, s15, 48
	s_delay_alu instid0(VALU_DEP_1)
	v_cmp_gt_u32_e64 s3, s6, v5
	s_and_b32 exec_lo, exec_lo, s3
	s_cbranch_execz .LBB172_62
; %bb.51:
	v_mul_lo_u32 v5, v5, s14
	s_and_saveexec_b32 s4, vcc_lo
	s_cbranch_execnz .LBB172_78
; %bb.52:
	s_or_b32 exec_lo, exec_lo, s4
	s_and_saveexec_b32 s4, s0
	s_cbranch_execnz .LBB172_79
.LBB172_53:
	s_or_b32 exec_lo, exec_lo, s4
	s_and_saveexec_b32 s4, s1
	s_cbranch_execnz .LBB172_80
.LBB172_54:
	s_or_b32 exec_lo, exec_lo, s4
	s_and_saveexec_b32 s4, s2
	s_cbranch_execz .LBB172_56
.LBB172_55:
	v_bfe_u32 v6, v16, 16, 1
	v_cmp_o_f32_e64 s3, v16, v16
	v_add_nc_u32_e32 v5, v5, v4
	s_delay_alu instid0(VALU_DEP_3) | instskip(NEXT) | instid1(VALU_DEP_1)
	v_add3_u32 v6, v16, v6, 0x7fff
	v_lshrrev_b32_e32 v6, 16, v6
	s_delay_alu instid0(VALU_DEP_1)
	v_cndmask_b32_e64 v6, 0x7fc0, v6, s3
	s_wait_kmcnt 0x0
	global_store_b16 v5, v6, s[12:13] scale_offset
.LBB172_56:
	s_wait_xcnt 0x0
	s_or_b32 exec_lo, exec_lo, s4
	v_add3_u32 v1, v1, s15, 56
	s_delay_alu instid0(VALU_DEP_1)
	v_cmp_gt_u32_e64 s3, s6, v1
	s_and_b32 exec_lo, exec_lo, s3
	s_cbranch_execz .LBB172_62
; %bb.57:
	v_mul_lo_u32 v1, v1, s14
	s_and_saveexec_b32 s3, vcc_lo
	s_cbranch_execnz .LBB172_81
; %bb.58:
	s_or_b32 exec_lo, exec_lo, s3
	s_and_saveexec_b32 s3, s0
	s_cbranch_execnz .LBB172_82
.LBB172_59:
	s_or_b32 exec_lo, exec_lo, s3
	s_and_saveexec_b32 s0, s1
	s_cbranch_execnz .LBB172_83
.LBB172_60:
	s_or_b32 exec_lo, exec_lo, s0
	s_delay_alu instid0(SALU_CYCLE_1)
	s_and_b32 exec_lo, exec_lo, s2
	s_cbranch_execz .LBB172_62
.LBB172_61:
	v_bfe_u32 v0, v17, 16, 1
	v_cmp_o_f32_e32 vcc_lo, v17, v17
	v_add_nc_u32_e32 v1, v1, v4
	s_delay_alu instid0(VALU_DEP_3) | instskip(NEXT) | instid1(VALU_DEP_1)
	v_add3_u32 v0, v17, v0, 0x7fff
	v_lshrrev_b32_e32 v0, 16, v0
	s_delay_alu instid0(VALU_DEP_1)
	v_cndmask_b32_e32 v0, 0x7fc0, v0, vcc_lo
	s_wait_kmcnt 0x0
	global_store_b16 v1, v0, s[12:13] scale_offset
.LBB172_62:
	s_sendmsg sendmsg(MSG_DEALLOC_VGPRS)
	s_endpgm
.LBB172_63:
	v_bfe_u32 v6, v51, 16, 1
	v_cmp_o_f32_e64 s3, v51, v51
	s_delay_alu instid0(VALU_DEP_3) | instskip(NEXT) | instid1(VALU_DEP_3)
	v_add_nc_u32_e32 v7, v5, v0
	v_add3_u32 v6, v51, v6, 0x7fff
	s_delay_alu instid0(VALU_DEP_1) | instskip(NEXT) | instid1(VALU_DEP_1)
	v_lshrrev_b32_e32 v6, 16, v6
	v_cndmask_b32_e64 v6, 0x7fc0, v6, s3
	s_wait_kmcnt 0x0
	global_store_b16 v7, v6, s[12:13] scale_offset
	s_wait_xcnt 0x0
	s_or_b32 exec_lo, exec_lo, s4
	s_and_saveexec_b32 s4, s0
	s_cbranch_execz .LBB172_23
.LBB172_64:
	v_bfe_u32 v6, v49, 16, 1
	v_cmp_o_f32_e64 s3, v49, v49
	s_delay_alu instid0(VALU_DEP_3) | instskip(NEXT) | instid1(VALU_DEP_3)
	v_add_nc_u32_e32 v7, v5, v2
	v_add3_u32 v6, v49, v6, 0x7fff
	s_delay_alu instid0(VALU_DEP_1) | instskip(NEXT) | instid1(VALU_DEP_1)
	v_lshrrev_b32_e32 v6, 16, v6
	v_cndmask_b32_e64 v6, 0x7fc0, v6, s3
	s_wait_kmcnt 0x0
	global_store_b16 v7, v6, s[12:13] scale_offset
	s_wait_xcnt 0x0
	s_or_b32 exec_lo, exec_lo, s4
	s_and_saveexec_b32 s4, s1
	s_cbranch_execz .LBB172_24
.LBB172_65:
	v_bfe_u32 v6, v47, 16, 1
	v_cmp_o_f32_e64 s3, v47, v47
	v_add_nc_u32_e32 v7, v5, v3
	s_delay_alu instid0(VALU_DEP_3) | instskip(NEXT) | instid1(VALU_DEP_1)
	v_add3_u32 v6, v47, v6, 0x7fff
	v_lshrrev_b32_e32 v6, 16, v6
	s_delay_alu instid0(VALU_DEP_1)
	v_cndmask_b32_e64 v6, 0x7fc0, v6, s3
	s_wait_kmcnt 0x0
	global_store_b16 v7, v6, s[12:13] scale_offset
	s_wait_xcnt 0x0
	s_or_b32 exec_lo, exec_lo, s4
	s_and_saveexec_b32 s4, s2
	s_cbranch_execnz .LBB172_25
	s_branch .LBB172_26
.LBB172_66:
	v_bfe_u32 v6, v38, 16, 1
	v_cmp_o_f32_e64 s3, v38, v38
	s_delay_alu instid0(VALU_DEP_3) | instskip(NEXT) | instid1(VALU_DEP_3)
	v_add_nc_u32_e32 v7, v5, v0
	v_add3_u32 v6, v38, v6, 0x7fff
	s_delay_alu instid0(VALU_DEP_1) | instskip(NEXT) | instid1(VALU_DEP_1)
	v_lshrrev_b32_e32 v6, 16, v6
	v_cndmask_b32_e64 v6, 0x7fc0, v6, s3
	s_wait_kmcnt 0x0
	global_store_b16 v7, v6, s[12:13] scale_offset
	s_wait_xcnt 0x0
	s_or_b32 exec_lo, exec_lo, s4
	s_and_saveexec_b32 s4, s0
	s_cbranch_execz .LBB172_29
.LBB172_67:
	v_bfe_u32 v6, v36, 16, 1
	v_cmp_o_f32_e64 s3, v36, v36
	s_delay_alu instid0(VALU_DEP_3) | instskip(NEXT) | instid1(VALU_DEP_3)
	v_add_nc_u32_e32 v7, v5, v2
	v_add3_u32 v6, v36, v6, 0x7fff
	s_delay_alu instid0(VALU_DEP_1) | instskip(NEXT) | instid1(VALU_DEP_1)
	v_lshrrev_b32_e32 v6, 16, v6
	v_cndmask_b32_e64 v6, 0x7fc0, v6, s3
	s_wait_kmcnt 0x0
	global_store_b16 v7, v6, s[12:13] scale_offset
	s_wait_xcnt 0x0
	s_or_b32 exec_lo, exec_lo, s4
	s_and_saveexec_b32 s4, s1
	s_cbranch_execz .LBB172_30
.LBB172_68:
	v_bfe_u32 v6, v34, 16, 1
	v_cmp_o_f32_e64 s3, v34, v34
	v_add_nc_u32_e32 v7, v5, v3
	s_delay_alu instid0(VALU_DEP_3) | instskip(NEXT) | instid1(VALU_DEP_1)
	v_add3_u32 v6, v34, v6, 0x7fff
	v_lshrrev_b32_e32 v6, 16, v6
	s_delay_alu instid0(VALU_DEP_1)
	v_cndmask_b32_e64 v6, 0x7fc0, v6, s3
	s_wait_kmcnt 0x0
	global_store_b16 v7, v6, s[12:13] scale_offset
	s_wait_xcnt 0x0
	s_or_b32 exec_lo, exec_lo, s4
	s_and_saveexec_b32 s4, s2
	s_cbranch_execnz .LBB172_31
	s_branch .LBB172_32
.LBB172_69:
	v_bfe_u32 v6, v39, 16, 1
	v_cmp_o_f32_e64 s3, v39, v39
	s_delay_alu instid0(VALU_DEP_3) | instskip(NEXT) | instid1(VALU_DEP_3)
	v_add_nc_u32_e32 v7, v5, v0
	v_add3_u32 v6, v39, v6, 0x7fff
	s_delay_alu instid0(VALU_DEP_1) | instskip(NEXT) | instid1(VALU_DEP_1)
	v_lshrrev_b32_e32 v6, 16, v6
	v_cndmask_b32_e64 v6, 0x7fc0, v6, s3
	s_wait_kmcnt 0x0
	global_store_b16 v7, v6, s[12:13] scale_offset
	s_wait_xcnt 0x0
	s_or_b32 exec_lo, exec_lo, s4
	s_and_saveexec_b32 s4, s0
	s_cbranch_execz .LBB172_35
.LBB172_70:
	v_bfe_u32 v6, v37, 16, 1
	v_cmp_o_f32_e64 s3, v37, v37
	s_delay_alu instid0(VALU_DEP_3) | instskip(NEXT) | instid1(VALU_DEP_3)
	v_add_nc_u32_e32 v7, v5, v2
	v_add3_u32 v6, v37, v6, 0x7fff
	s_delay_alu instid0(VALU_DEP_1) | instskip(NEXT) | instid1(VALU_DEP_1)
	v_lshrrev_b32_e32 v6, 16, v6
	v_cndmask_b32_e64 v6, 0x7fc0, v6, s3
	s_wait_kmcnt 0x0
	global_store_b16 v7, v6, s[12:13] scale_offset
	s_wait_xcnt 0x0
	s_or_b32 exec_lo, exec_lo, s4
	s_and_saveexec_b32 s4, s1
	s_cbranch_execz .LBB172_36
.LBB172_71:
	v_bfe_u32 v6, v35, 16, 1
	v_cmp_o_f32_e64 s3, v35, v35
	v_add_nc_u32_e32 v7, v5, v3
	s_delay_alu instid0(VALU_DEP_3) | instskip(NEXT) | instid1(VALU_DEP_1)
	v_add3_u32 v6, v35, v6, 0x7fff
	v_lshrrev_b32_e32 v6, 16, v6
	s_delay_alu instid0(VALU_DEP_1)
	v_cndmask_b32_e64 v6, 0x7fc0, v6, s3
	s_wait_kmcnt 0x0
	global_store_b16 v7, v6, s[12:13] scale_offset
	s_wait_xcnt 0x0
	s_or_b32 exec_lo, exec_lo, s4
	s_and_saveexec_b32 s4, s2
	s_cbranch_execnz .LBB172_37
	s_branch .LBB172_38
.LBB172_72:
	v_bfe_u32 v6, v30, 16, 1
	v_cmp_o_f32_e64 s3, v30, v30
	s_delay_alu instid0(VALU_DEP_3) | instskip(NEXT) | instid1(VALU_DEP_3)
	v_add_nc_u32_e32 v7, v5, v0
	v_add3_u32 v6, v30, v6, 0x7fff
	s_delay_alu instid0(VALU_DEP_1) | instskip(NEXT) | instid1(VALU_DEP_1)
	v_lshrrev_b32_e32 v6, 16, v6
	v_cndmask_b32_e64 v6, 0x7fc0, v6, s3
	s_wait_kmcnt 0x0
	global_store_b16 v7, v6, s[12:13] scale_offset
	s_wait_xcnt 0x0
	s_or_b32 exec_lo, exec_lo, s4
	s_and_saveexec_b32 s4, s0
	s_cbranch_execz .LBB172_41
.LBB172_73:
	v_bfe_u32 v6, v28, 16, 1
	v_cmp_o_f32_e64 s3, v28, v28
	s_delay_alu instid0(VALU_DEP_3) | instskip(NEXT) | instid1(VALU_DEP_3)
	v_add_nc_u32_e32 v7, v5, v2
	v_add3_u32 v6, v28, v6, 0x7fff
	s_delay_alu instid0(VALU_DEP_1) | instskip(NEXT) | instid1(VALU_DEP_1)
	v_lshrrev_b32_e32 v6, 16, v6
	v_cndmask_b32_e64 v6, 0x7fc0, v6, s3
	s_wait_kmcnt 0x0
	global_store_b16 v7, v6, s[12:13] scale_offset
	s_wait_xcnt 0x0
	s_or_b32 exec_lo, exec_lo, s4
	s_and_saveexec_b32 s4, s1
	s_cbranch_execz .LBB172_42
.LBB172_74:
	v_bfe_u32 v6, v26, 16, 1
	v_cmp_o_f32_e64 s3, v26, v26
	v_add_nc_u32_e32 v7, v5, v3
	s_delay_alu instid0(VALU_DEP_3) | instskip(NEXT) | instid1(VALU_DEP_1)
	v_add3_u32 v6, v26, v6, 0x7fff
	v_lshrrev_b32_e32 v6, 16, v6
	s_delay_alu instid0(VALU_DEP_1)
	v_cndmask_b32_e64 v6, 0x7fc0, v6, s3
	s_wait_kmcnt 0x0
	global_store_b16 v7, v6, s[12:13] scale_offset
	s_wait_xcnt 0x0
	s_or_b32 exec_lo, exec_lo, s4
	s_and_saveexec_b32 s4, s2
	s_cbranch_execnz .LBB172_43
	s_branch .LBB172_44
.LBB172_75:
	v_bfe_u32 v6, v31, 16, 1
	v_cmp_o_f32_e64 s3, v31, v31
	s_delay_alu instid0(VALU_DEP_3) | instskip(NEXT) | instid1(VALU_DEP_3)
	v_add_nc_u32_e32 v7, v5, v0
	v_add3_u32 v6, v31, v6, 0x7fff
	s_delay_alu instid0(VALU_DEP_1) | instskip(NEXT) | instid1(VALU_DEP_1)
	v_lshrrev_b32_e32 v6, 16, v6
	v_cndmask_b32_e64 v6, 0x7fc0, v6, s3
	s_wait_kmcnt 0x0
	global_store_b16 v7, v6, s[12:13] scale_offset
	s_wait_xcnt 0x0
	s_or_b32 exec_lo, exec_lo, s4
	s_and_saveexec_b32 s4, s0
	s_cbranch_execz .LBB172_47
.LBB172_76:
	v_bfe_u32 v6, v29, 16, 1
	v_cmp_o_f32_e64 s3, v29, v29
	s_delay_alu instid0(VALU_DEP_3) | instskip(NEXT) | instid1(VALU_DEP_3)
	v_add_nc_u32_e32 v7, v5, v2
	v_add3_u32 v6, v29, v6, 0x7fff
	s_delay_alu instid0(VALU_DEP_1) | instskip(NEXT) | instid1(VALU_DEP_1)
	v_lshrrev_b32_e32 v6, 16, v6
	v_cndmask_b32_e64 v6, 0x7fc0, v6, s3
	s_wait_kmcnt 0x0
	global_store_b16 v7, v6, s[12:13] scale_offset
	s_wait_xcnt 0x0
	s_or_b32 exec_lo, exec_lo, s4
	s_and_saveexec_b32 s4, s1
	s_cbranch_execz .LBB172_48
.LBB172_77:
	v_bfe_u32 v6, v27, 16, 1
	v_cmp_o_f32_e64 s3, v27, v27
	v_add_nc_u32_e32 v7, v5, v3
	s_delay_alu instid0(VALU_DEP_3) | instskip(NEXT) | instid1(VALU_DEP_1)
	v_add3_u32 v6, v27, v6, 0x7fff
	v_lshrrev_b32_e32 v6, 16, v6
	s_delay_alu instid0(VALU_DEP_1)
	v_cndmask_b32_e64 v6, 0x7fc0, v6, s3
	s_wait_kmcnt 0x0
	global_store_b16 v7, v6, s[12:13] scale_offset
	s_wait_xcnt 0x0
	s_or_b32 exec_lo, exec_lo, s4
	s_and_saveexec_b32 s4, s2
	s_cbranch_execnz .LBB172_49
	s_branch .LBB172_50
.LBB172_78:
	v_bfe_u32 v6, v22, 16, 1
	v_cmp_o_f32_e64 s3, v22, v22
	s_delay_alu instid0(VALU_DEP_3) | instskip(NEXT) | instid1(VALU_DEP_3)
	v_add_nc_u32_e32 v7, v5, v0
	v_add3_u32 v6, v22, v6, 0x7fff
	s_delay_alu instid0(VALU_DEP_1) | instskip(NEXT) | instid1(VALU_DEP_1)
	v_lshrrev_b32_e32 v6, 16, v6
	v_cndmask_b32_e64 v6, 0x7fc0, v6, s3
	s_wait_kmcnt 0x0
	global_store_b16 v7, v6, s[12:13] scale_offset
	s_wait_xcnt 0x0
	s_or_b32 exec_lo, exec_lo, s4
	s_and_saveexec_b32 s4, s0
	s_cbranch_execz .LBB172_53
.LBB172_79:
	v_bfe_u32 v6, v20, 16, 1
	v_cmp_o_f32_e64 s3, v20, v20
	s_delay_alu instid0(VALU_DEP_3) | instskip(NEXT) | instid1(VALU_DEP_3)
	v_add_nc_u32_e32 v7, v5, v2
	v_add3_u32 v6, v20, v6, 0x7fff
	s_delay_alu instid0(VALU_DEP_1) | instskip(NEXT) | instid1(VALU_DEP_1)
	v_lshrrev_b32_e32 v6, 16, v6
	v_cndmask_b32_e64 v6, 0x7fc0, v6, s3
	s_wait_kmcnt 0x0
	global_store_b16 v7, v6, s[12:13] scale_offset
	s_wait_xcnt 0x0
	s_or_b32 exec_lo, exec_lo, s4
	s_and_saveexec_b32 s4, s1
	s_cbranch_execz .LBB172_54
.LBB172_80:
	v_bfe_u32 v6, v18, 16, 1
	v_cmp_o_f32_e64 s3, v18, v18
	v_add_nc_u32_e32 v7, v5, v3
	s_delay_alu instid0(VALU_DEP_3) | instskip(NEXT) | instid1(VALU_DEP_1)
	v_add3_u32 v6, v18, v6, 0x7fff
	v_lshrrev_b32_e32 v6, 16, v6
	s_delay_alu instid0(VALU_DEP_1)
	v_cndmask_b32_e64 v6, 0x7fc0, v6, s3
	s_wait_kmcnt 0x0
	global_store_b16 v7, v6, s[12:13] scale_offset
	s_wait_xcnt 0x0
	s_or_b32 exec_lo, exec_lo, s4
	s_and_saveexec_b32 s4, s2
	s_cbranch_execnz .LBB172_55
	s_branch .LBB172_56
.LBB172_81:
	v_bfe_u32 v5, v23, 16, 1
	v_cmp_o_f32_e32 vcc_lo, v23, v23
	s_delay_alu instid0(VALU_DEP_3) | instskip(NEXT) | instid1(VALU_DEP_3)
	v_add_nc_u32_e32 v0, v1, v0
	v_add3_u32 v5, v23, v5, 0x7fff
	s_delay_alu instid0(VALU_DEP_1) | instskip(NEXT) | instid1(VALU_DEP_1)
	v_lshrrev_b32_e32 v5, 16, v5
	v_cndmask_b32_e32 v5, 0x7fc0, v5, vcc_lo
	s_wait_kmcnt 0x0
	global_store_b16 v0, v5, s[12:13] scale_offset
	s_wait_xcnt 0x0
	s_or_b32 exec_lo, exec_lo, s3
	s_and_saveexec_b32 s3, s0
	s_cbranch_execz .LBB172_59
.LBB172_82:
	v_bfe_u32 v0, v21, 16, 1
	v_cmp_o_f32_e32 vcc_lo, v21, v21
	s_delay_alu instid0(VALU_DEP_3) | instskip(NEXT) | instid1(VALU_DEP_3)
	v_add_nc_u32_e32 v2, v1, v2
	v_add3_u32 v0, v21, v0, 0x7fff
	s_delay_alu instid0(VALU_DEP_1) | instskip(NEXT) | instid1(VALU_DEP_1)
	v_lshrrev_b32_e32 v0, 16, v0
	v_cndmask_b32_e32 v0, 0x7fc0, v0, vcc_lo
	s_wait_kmcnt 0x0
	global_store_b16 v2, v0, s[12:13] scale_offset
	s_wait_xcnt 0x0
	s_or_b32 exec_lo, exec_lo, s3
	s_and_saveexec_b32 s0, s1
	s_cbranch_execz .LBB172_60
.LBB172_83:
	v_bfe_u32 v0, v19, 16, 1
	v_cmp_o_f32_e32 vcc_lo, v19, v19
	v_add_nc_u32_e32 v2, v1, v3
	s_delay_alu instid0(VALU_DEP_3) | instskip(NEXT) | instid1(VALU_DEP_1)
	v_add3_u32 v0, v19, v0, 0x7fff
	v_lshrrev_b32_e32 v0, 16, v0
	s_delay_alu instid0(VALU_DEP_1) | instskip(SKIP_4) | instid1(SALU_CYCLE_1)
	v_cndmask_b32_e32 v0, 0x7fc0, v0, vcc_lo
	s_wait_kmcnt 0x0
	global_store_b16 v2, v0, s[12:13] scale_offset
	s_wait_xcnt 0x0
	s_or_b32 exec_lo, exec_lo, s0
	s_and_b32 exec_lo, exec_lo, s2
	s_cbranch_execnz .LBB172_61
	s_branch .LBB172_62
	.section	.rodata,"a",@progbits
	.p2align	6, 0x0
	.amdhsa_kernel _ZL12mul_mat_q4_KIN3c108BFloat16ELb1EEvPKvS3_PT_iiiii
		.amdhsa_group_segment_fixed_size 28752
		.amdhsa_private_segment_fixed_size 200
		.amdhsa_kernarg_size 44
		.amdhsa_user_sgpr_count 2
		.amdhsa_user_sgpr_dispatch_ptr 0
		.amdhsa_user_sgpr_queue_ptr 0
		.amdhsa_user_sgpr_kernarg_segment_ptr 1
		.amdhsa_user_sgpr_dispatch_id 0
		.amdhsa_user_sgpr_kernarg_preload_length 0
		.amdhsa_user_sgpr_kernarg_preload_offset 0
		.amdhsa_user_sgpr_private_segment_size 0
		.amdhsa_wavefront_size32 1
		.amdhsa_uses_dynamic_stack 0
		.amdhsa_enable_private_segment 1
		.amdhsa_system_sgpr_workgroup_id_x 1
		.amdhsa_system_sgpr_workgroup_id_y 1
		.amdhsa_system_sgpr_workgroup_id_z 0
		.amdhsa_system_sgpr_workgroup_info 0
		.amdhsa_system_vgpr_workitem_id 1
		.amdhsa_next_free_vgpr 512
		.amdhsa_next_free_sgpr 18
		.amdhsa_named_barrier_count 0
		.amdhsa_reserve_vcc 1
		.amdhsa_float_round_mode_32 0
		.amdhsa_float_round_mode_16_64 0
		.amdhsa_float_denorm_mode_32 3
		.amdhsa_float_denorm_mode_16_64 3
		.amdhsa_fp16_overflow 0
		.amdhsa_memory_ordered 1
		.amdhsa_forward_progress 1
		.amdhsa_inst_pref_size 255
		.amdhsa_round_robin_scheduling 0
		.amdhsa_exception_fp_ieee_invalid_op 0
		.amdhsa_exception_fp_denorm_src 0
		.amdhsa_exception_fp_ieee_div_zero 0
		.amdhsa_exception_fp_ieee_overflow 0
		.amdhsa_exception_fp_ieee_underflow 0
		.amdhsa_exception_fp_ieee_inexact 0
		.amdhsa_exception_int_div_zero 0
	.end_amdhsa_kernel
	.section	.text._ZL12mul_mat_q4_KIN3c108BFloat16ELb1EEvPKvS3_PT_iiiii,"axG",@progbits,_ZL12mul_mat_q4_KIN3c108BFloat16ELb1EEvPKvS3_PT_iiiii,comdat
.Lfunc_end172:
	.size	_ZL12mul_mat_q4_KIN3c108BFloat16ELb1EEvPKvS3_PT_iiiii, .Lfunc_end172-_ZL12mul_mat_q4_KIN3c108BFloat16ELb1EEvPKvS3_PT_iiiii
                                        ; -- End function
	.set _ZL12mul_mat_q4_KIN3c108BFloat16ELb1EEvPKvS3_PT_iiiii.num_vgpr, 512
	.set _ZL12mul_mat_q4_KIN3c108BFloat16ELb1EEvPKvS3_PT_iiiii.num_agpr, 0
	.set _ZL12mul_mat_q4_KIN3c108BFloat16ELb1EEvPKvS3_PT_iiiii.numbered_sgpr, 18
	.set _ZL12mul_mat_q4_KIN3c108BFloat16ELb1EEvPKvS3_PT_iiiii.num_named_barrier, 0
	.set _ZL12mul_mat_q4_KIN3c108BFloat16ELb1EEvPKvS3_PT_iiiii.private_seg_size, 200
	.set _ZL12mul_mat_q4_KIN3c108BFloat16ELb1EEvPKvS3_PT_iiiii.uses_vcc, 1
	.set _ZL12mul_mat_q4_KIN3c108BFloat16ELb1EEvPKvS3_PT_iiiii.uses_flat_scratch, 1
	.set _ZL12mul_mat_q4_KIN3c108BFloat16ELb1EEvPKvS3_PT_iiiii.has_dyn_sized_stack, 0
	.set _ZL12mul_mat_q4_KIN3c108BFloat16ELb1EEvPKvS3_PT_iiiii.has_recursion, 0
	.set _ZL12mul_mat_q4_KIN3c108BFloat16ELb1EEvPKvS3_PT_iiiii.has_indirect_call, 0
	.section	.AMDGPU.csdata,"",@progbits
; Kernel info:
; codeLenInByte = 77252
; TotalNumSgprs: 20
; NumVgprs: 512
; ScratchSize: 200
; MemoryBound: 0
; FloatMode: 240
; IeeeMode: 1
; LDSByteSize: 28752 bytes/workgroup (compile time only)
; SGPRBlocks: 0
; VGPRBlocks: 31
; NumSGPRsForWavesPerEU: 20
; NumVGPRsForWavesPerEU: 512
; NamedBarCnt: 0
; Occupancy: 2
; WaveLimiterHint : 0
; COMPUTE_PGM_RSRC2:SCRATCH_EN: 1
; COMPUTE_PGM_RSRC2:USER_SGPR: 2
; COMPUTE_PGM_RSRC2:TRAP_HANDLER: 0
; COMPUTE_PGM_RSRC2:TGID_X_EN: 1
; COMPUTE_PGM_RSRC2:TGID_Y_EN: 1
; COMPUTE_PGM_RSRC2:TGID_Z_EN: 0
; COMPUTE_PGM_RSRC2:TIDIG_COMP_CNT: 1
	.section	.text._ZL12mul_mat_q5_KIN3c108BFloat16ELb0EEvPKvS3_PT_iiiii,"axG",@progbits,_ZL12mul_mat_q5_KIN3c108BFloat16ELb0EEvPKvS3_PT_iiiii,comdat
	.globl	_ZL12mul_mat_q5_KIN3c108BFloat16ELb0EEvPKvS3_PT_iiiii ; -- Begin function _ZL12mul_mat_q5_KIN3c108BFloat16ELb0EEvPKvS3_PT_iiiii
	.p2align	8
	.type	_ZL12mul_mat_q5_KIN3c108BFloat16ELb0EEvPKvS3_PT_iiiii,@function
_ZL12mul_mat_q5_KIN3c108BFloat16ELb0EEvPKvS3_PT_iiiii: ; @_ZL12mul_mat_q5_KIN3c108BFloat16ELb0EEvPKvS3_PT_iiiii
; %bb.0:
	s_clause 0x1
	s_load_b32 s10, s[0:1], 0x18
	s_load_b96 s[4:6], s[0:1], 0x20
	s_bfe_u32 s2, ttmp6, 0x4000c
	s_bfe_u32 s7, ttmp6, 0x40010
	s_add_co_i32 s2, s2, 1
	s_and_b32 s3, ttmp6, 15
	s_mul_i32 s2, ttmp9, s2
	s_add_co_i32 s7, s7, 1
	s_add_co_i32 s3, s3, s2
	s_mul_i32 s2, ttmp7, s7
	s_bfe_u32 s7, ttmp6, 0x40004
	s_getreg_b32 s8, hwreg(HW_REG_IB_STS2, 6, 4)
	s_add_co_i32 s7, s7, s2
	s_cmp_eq_u32 s8, 0
	v_bfe_u32 v55, v0, 10, 10
	s_cselect_b32 s7, ttmp7, s7
	v_and_b32_e32 v67, 0x3ff, v0
	s_cselect_b32 s2, ttmp9, s3
	s_lshl_b32 s7, s7, 6
	s_mov_b32 s3, 0
	s_wait_kmcnt 0x0
	s_cmp_gt_i32 s10, 0xff
	s_cbranch_scc1 .LBB173_2
; %bb.1:
	v_bfe_u32 v1, v0, 10, 10
	v_and_b32_e32 v2, 0x3ff, v0
	s_delay_alu instid0(VALU_DEP_2)
	v_add_nc_u32_e32 v69, s7, v1
	s_branch .LBB173_3
.LBB173_2:
	s_mov_b32 s3, -1
                                        ; implicit-def: $vgpr1
                                        ; implicit-def: $vgpr2
                                        ; implicit-def: $vgpr69
.LBB173_3:
	s_load_b64 s[8:9], s[0:1], 0x10
	v_dual_mov_b32 v29, 0 :: v_dual_mov_b32 v28, 0
	v_dual_mov_b32 v37, 0 :: v_dual_mov_b32 v36, 0
	;; [unrolled: 1-line block ×16, first 2 shown]
	s_and_not1_b32 vcc_lo, exec_lo, s3
	s_lshl_b32 s14, s2, 7
	s_cbranch_vccnz .LBB173_11
; %bb.4:
	v_dual_add_nc_u32 v69, s7, v55 :: v_dual_bitop2_b32 v20, 7, v0 bitop3:0x40
	s_add_co_i32 s16, s4, -1
	v_mul_u32_u24_e32 v23, 0x41, v55
	v_cvt_f64_i32_e32 v[2:3], s16
	s_delay_alu instid0(VALU_DEP_3) | instskip(SKIP_3) | instid1(VALU_DEP_4)
	v_dual_add_nc_u32 v1, 8, v69 :: v_dual_add_nc_u32 v8, 16, v69
	v_cvt_f64_u32_e32 v[4:5], v69
	v_dual_add_nc_u32 v10, 24, v69 :: v_dual_add_nc_u32 v14, 40, v69
	v_add_nc_u32_e32 v16, 48, v69
	v_cvt_f64_u32_e32 v[6:7], v1
	v_add_nc_u32_e32 v1, 32, v69
	v_cvt_f64_u32_e32 v[8:9], v8
	v_cvt_f64_u32_e32 v[10:11], v10
	;; [unrolled: 1-line block ×3, first 2 shown]
	v_lshlrev_b32_e32 v21, 3, v67
	v_cvt_f64_u32_e32 v[12:13], v1
	v_add_nc_u32_e32 v1, 56, v69
	v_cvt_f64_u32_e32 v[14:15], v14
	v_lshlrev_b32_e32 v20, 2, v20
	v_bfe_u32 v22, v0, 2, 8
	v_dual_lshlrev_b32 v29, 3, v55 :: v_dual_add_nc_u32 v30, 48, v55
	v_cvt_f64_u32_e32 v[18:19], v1
	v_lshlrev_b32_e32 v1, 2, v67
	v_and_or_b32 v20, 0xc0, v21, v20
	s_ashr_i32 s11, s10, 31
	s_ashr_i32 s12, s5, 31
	s_lshr_b32 s11, s11, 24
	v_lshlrev_b32_e32 v77, 5, v55
	v_lshl_add_u32 v75, v23, 2, v20
	v_add_nc_u32_e32 v20, 8, v55
	s_add_co_i32 s10, s10, s11
	s_lshr_b32 s12, s12, 27
	s_ashr_i32 s15, s10, 8
	s_add_co_i32 s5, s5, s12
	v_and_b32_e32 v26, 3, v0
	s_mul_i32 s10, s15, s14
	v_min_num_f64_e32 v[4:5], v[4:5], v[2:3]
	v_add_nc_u32_e32 v31, 56, v55
	s_ashr_i32 s11, s10, 31
	v_cmp_gt_u32_e32 vcc_lo, 2, v26
	v_add_nc_u32_e32 v24, v77, v67
	v_min_num_f64_e32 v[6:7], v[6:7], v[2:3]
	s_mul_u64 s[12:13], s[10:11], 0xb0
	v_min_num_f64_e32 v[10:11], v[10:11], v[2:3]
	s_delay_alu instid0(VALU_DEP_3)
	v_dual_min_num_f64 v[16:17], v[16:17], v[2:3] :: v_dual_lshrrev_b32 v27, 3, v24
	v_min_num_f64_e32 v[12:13], v[12:13], v[2:3]
	v_and_b32_e32 v24, 0x7f, v24
	v_min_num_f64_e32 v[8:9], v[8:9], v[2:3]
	v_min_num_f64_e32 v[14:15], v[14:15], v[2:3]
	s_ashr_i32 s10, s5, 5
	s_lshl_b32 s5, s15, 3
	v_dual_mov_b32 v57, 0 :: v_dual_bitop2_b32 v58, 28, v1 bitop3:0x40
	v_min_num_f64_e32 v[2:3], v[18:19], v[2:3]
	v_dual_lshlrev_b32 v27, 2, v24 :: v_dual_bitop2_b32 v19, 12, v27 bitop3:0x40
	v_mad_i32_i24 v66, s15, v55, s5
	s_delay_alu instid0(VALU_DEP_4) | instskip(SKIP_1) | instid1(VALU_DEP_4)
	v_dual_mov_b32 v59, v57 :: v_dual_bitop2_b32 v71, 6, v22 bitop3:0x40
	v_dual_add_nc_u32 v21, 16, v55 :: v_dual_add_nc_u32 v23, 24, v55
	v_add3_u32 v79, v27, v19, 0xae40
	v_add_nc_u32_e32 v19, v22, v29
	v_and_b32_e32 v27, 4, v1
	v_add_nc_u32_e32 v18, 0xfe, v26
	v_dual_add_nc_u32 v25, 32, v55 :: v_dual_add_nc_u32 v28, 40, v55
	v_cvt_i32_f64_e32 v5, v[4:5]
	v_bfe_u32 v131, v0, 3, 7
	s_delay_alu instid0(VALU_DEP_4)
	v_and_b32_e32 v18, 0xff, v18
	s_wait_xcnt 0x0
	s_load_b128 s[0:3], s[0:1], 0x0
	v_bfe_u32 v54, v0, 5, 5
	v_cvt_i32_f64_e32 v6, v[6:7]
	v_dual_lshlrev_b32 v163, 5, v25 :: v_dual_lshlrev_b32 v164, 5, v28
	v_cndmask_b32_e32 v18, v18, v26, vcc_lo
	v_cmp_ne_u32_e32 vcc_lo, 0, v26
	s_movk_i32 s11, 0x4100
	v_mov_b64_e32 v[64:65], 0
	v_cvt_i32_f64_e32 v7, v[8:9]
	v_cvt_i32_f64_e32 v9, v[12:13]
	v_add_nc_u16 v12, v22, v29
	v_add_co_ci_u32_e64 v4, null, 0, v18, vcc_lo
	v_cvt_i32_f64_e32 v8, v[10:11]
	v_lshlrev_b32_e32 v85, 1, v18
	s_delay_alu instid0(VALU_DEP_4)
	v_lshrrev_b16 v12, 1, v12
	v_and_b32_e32 v10, 0x7f, v19
	v_and_b32_e32 v22, 31, v0
	v_cvt_i32_f64_e32 v2, v[2:3]
	v_cmp_lt_u32_e32 vcc_lo, 1, v26
	v_and_b32_e32 v12, 60, v12
	v_cvt_i32_f64_e32 v13, v[16:17]
	v_and_b32_e32 v16, 63, v19
	s_wait_kmcnt 0x0
	v_add_nc_u64_e32 v[104:105], s[2:3], v[58:59]
	v_cndmask_b32_e32 v83, 0, v27, vcc_lo
	v_cndmask_b32_e64 v0, 0, 1, vcc_lo
	v_mov_b64_e32 v[50:51], 0
	v_or_b32_e32 v18, s7, v16
	v_cvt_i32_f64_e32 v11, v[14:15]
	v_lshlrev_b32_e32 v15, 2, v26
	v_bitop3_b32 v14, v19, 64, 0x7f bitop3:0x6c
	v_mul_lo_u32 v95, s10, v5
	v_dual_lshlrev_b32 v5, 7, v55 :: v_dual_min_i32 v18, s16, v18
	s_delay_alu instid0(VALU_DEP_4) | instskip(NEXT) | instid1(VALU_DEP_4)
	v_lshl_or_b32 v17, v10, 4, v15
	v_lshrrev_b32_e32 v3, 1, v14
	v_lshl_or_b32 v19, v14, 4, v15
	v_mul_lo_u32 v97, s10, v6
	v_lshlrev_b32_e32 v6, 7, v20
	v_add3_u32 v87, v17, v12, 0xa200
	v_add_nc_u32_e32 v12, 32, v67
	v_and_b32_e32 v3, 60, v3
	v_mul_lo_u32 v99, s10, v7
	v_lshlrev_b32_e32 v7, 7, v21
	v_mul_lo_u32 v103, s10, v9
	v_mul_lo_u32 v101, s10, v8
	v_add3_u32 v89, v19, v3, 0xa200
	v_lshl_or_b32 v3, v22, 2, 0x8200
	v_dual_lshlrev_b32 v8, 7, v23 :: v_dual_lshlrev_b32 v9, 7, v25
	v_lshl_or_b32 v15, v16, 4, v15
	v_mul_lo_u32 v127, s10, v2
	v_mad_u32 v91, v18, s10, v26
	v_mul_lo_u32 v109, s10, v13
	v_dual_add_nc_u32 v13, 64, v67 :: v_dual_add_nc_u32 v68, s5, v66
	v_dual_lshlrev_b32 v167, 4, v12 :: v_dual_mov_b32 v73, v57
	v_dual_lshlrev_b32 v16, 7, v30 :: v_dual_lshrrev_b32 v129, 3, v12
	s_delay_alu instid0(VALU_DEP_3)
	v_dual_lshlrev_b32 v168, 4, v13 :: v_dual_add_nc_u32 v70, s5, v68
	v_mul_lo_u32 v107, s10, v11
	v_lshlrev_b32_e32 v11, 7, v28
	v_add_nc_u32_e32 v93, 0xaa40, v15
	v_add_nc_u32_e32 v15, 0x60, v67
	v_dual_add_nc_u32 v74, s5, v70 :: v_dual_add_nc_u32 v172, v3, v7
	v_dual_lshrrev_b32 v2, 3, v13 :: v_dual_lshlrev_b32 v18, 7, v31
	v_lshlrev_b32_e32 v19, 2, v54
	s_delay_alu instid0(VALU_DEP_3) | instskip(SKIP_2) | instid1(VALU_DEP_3)
	v_dual_add_nc_u32 v76, s5, v74 :: v_dual_add_nc_u32 v175, v3, v11
	v_dual_lshlrev_b32 v178, 2, v1 :: v_dual_lshrrev_b32 v17, 3, v15
	v_dual_lshlrev_b32 v160, 5, v20 :: v_dual_bitop2_b32 v22, 60, v129 bitop3:0x40
	v_dual_add_nc_u32 v78, s5, v76 :: v_dual_bitop2_b32 v26, 60, v2 bitop3:0x40
	v_lshlrev_b32_e32 v161, 5, v21
	s_delay_alu instid0(VALU_DEP_4) | instskip(NEXT) | instid1(VALU_DEP_3)
	v_dual_lshlrev_b32 v162, 5, v23 :: v_dual_bitop2_b32 v27, 60, v17 bitop3:0x40
	v_dual_add_nc_u32 v82, s5, v78 :: v_dual_bitop2_b32 v181, 1, v71 bitop3:0x54
	v_dual_lshlrev_b32 v186, 2, v131 :: v_dual_lshlrev_b32 v165, 5, v30
	s_delay_alu instid0(VALU_DEP_2)
	v_dual_lshlrev_b32 v166, 5, v31 :: v_dual_add_nc_u32 v84, s5, v82
	v_lshlrev_b32_e32 v187, 2, v129
	s_movk_i32 s10, 0x2080
	s_movk_i32 s16, 0x6180
	v_mov_b64_e32 v[42:43], 0
	v_add_nc_u32_e32 v92, s5, v84
	v_mov_b64_e32 v[34:35], 0
	v_mov_b64_e32 v[62:63], 0
	v_mov_b64_e32 v[48:49], 0
	v_mov_b64_e32 v[40:41], 0
	v_add_nc_u32_e32 v94, s5, v92
	v_mov_b64_e32 v[32:33], 0
	v_mov_b64_e32 v[60:61], 0
	v_mov_b64_e32 v[46:47], 0
	v_mov_b64_e32 v[38:39], 0
	v_add_nc_u32_e32 v96, s5, v94
	v_mov_b64_e32 v[30:31], 0
	v_mov_b64_e32 v[52:53], 0
	v_mov_b64_e32 v[44:45], 0
	v_mov_b64_e32 v[36:37], 0
	v_add_nc_u32_e32 v98, s5, v96
	v_mov_b64_e32 v[28:29], 0
	v_and_b32_e32 v56, 0x7c, v1
	v_add3_u32 v139, v19, v1, 0xae40
	v_add3_u32 v143, v1, v22, 0xae40
	v_add_nc_u32_e32 v100, s5, v98
	v_add3_u32 v158, v1, v26, 0xae40
	v_add3_u32 v159, v1, v27, 0xae40
	v_dual_lshlrev_b32 v169, 4, v15 :: v_dual_lshlrev_b32 v72, 2, v4
	s_delay_alu instid0(VALU_DEP_4)
	v_dual_add_nc_u32 v102, s5, v100 :: v_dual_add_nc_u32 v170, v3, v5
	v_dual_add_nc_u32 v171, v3, v6 :: v_dual_add_nc_u32 v173, v3, v8
	v_dual_add_nc_u32 v174, v3, v9 :: v_dual_add_nc_u32 v176, v3, v16
	v_dual_add_nc_u32 v177, v3, v18 :: v_dual_lshlrev_b32 v80, 2, v0
	v_dual_mov_b32 v81, v57 :: v_dual_lshlrev_b32 v179, 2, v2
	v_lshlrev_b32_e32 v180, 2, v17
	v_mul_i32_i24_e32 v86, s15, v24
	v_mul_i32_i24_e32 v88, s15, v10
	v_mul_i32_i24_e32 v90, s15, v14
	v_mul_u32_u24_e32 v182, 0x104, v67
	v_mad_u32_u24 v183, 0x104, v67, s10
	v_mad_u32_u24 v184, 0x104, v67, s11
	;; [unrolled: 1-line block ×3, first 2 shown]
	v_add_nc_u32_e32 v188, 0x800, v75
	v_add_nc_u32_e32 v189, 0x1000, v75
	;; [unrolled: 1-line block ×15, first 2 shown]
	v_mul_i32_i24_e32 v106, s15, v55
	v_add_nc_u32_e32 v108, s5, v102
	s_mov_b32 s11, 0
	s_add_nc_u64 s[0:1], s[0:1], s[12:13]
	s_mov_b32 s10, s11
.LBB173_5:                              ; =>This Loop Header: Depth=1
                                        ;     Child Loop BB173_6 Depth 2
                                        ;     Child Loop BB173_8 Depth 2
	s_delay_alu instid0(SALU_CYCLE_1)
	s_mul_u64 s[12:13], s[10:11], 0xb0
	s_lshl_b32 s5, s10, 3
	s_add_nc_u64 s[12:13], s[0:1], s[12:13]
	s_mov_b32 s16, 0
	v_mad_nc_u64_u32 v[0:1], 0xb0, v54, s[12:13]
	v_mad_nc_u64_u32 v[2:3], 0xb0, v88, s[12:13]
	;; [unrolled: 1-line block ×3, first 2 shown]
	s_delay_alu instid0(VALU_DEP_3) | instskip(SKIP_1) | instid1(VALU_DEP_4)
	v_mad_nc_u64_u32 v[6:7], 0xb0, v106, v[0:1]
	v_mad_nc_u64_u32 v[8:9], 0xb0, v66, v[0:1]
	v_add_nc_u64_e32 v[24:25], v[2:3], v[72:73]
	v_add_nc_u64_e32 v[2:3], v[2:3], v[80:81]
	v_add_nc_u64_e32 v[26:27], v[4:5], v[72:73]
	v_add_nc_u64_e32 v[4:5], v[4:5], v[80:81]
	v_mad_nc_u64_u32 v[10:11], 0xb0, v68, v[0:1]
	v_mad_nc_u64_u32 v[12:13], 0xb0, v70, v[0:1]
	s_clause 0x3
	global_load_b32 v118, v[24:25], off offset:4
	global_load_b32 v119, v[26:27], off offset:4
	;; [unrolled: 1-line block ×4, first 2 shown]
	s_wait_xcnt 0x1
	v_add_nc_u64_e32 v[2:3], v[6:7], v[56:57]
	v_add_nc_u64_e32 v[6:7], v[6:7], v[58:59]
	;; [unrolled: 1-line block ×4, first 2 shown]
	v_mad_nc_u64_u32 v[14:15], 0xb0, v74, v[0:1]
	v_mad_nc_u64_u32 v[16:17], 0xb0, v76, v[0:1]
	v_mad_nc_u64_u32 v[18:19], 0xb0, v78, v[0:1]
	s_clause 0x3
	global_load_b32 v122, v[2:3], off offset:48
	global_load_b32 v123, v[6:7], off offset:16
	;; [unrolled: 1-line block ×4, first 2 shown]
	v_add_nc_u64_e32 v[2:3], v[10:11], v[56:57]
	v_add_nc_u64_e32 v[6:7], v[10:11], v[58:59]
	;; [unrolled: 1-line block ×3, first 2 shown]
	s_wait_xcnt 0x0
	v_add_nc_u64_e32 v[8:9], v[12:13], v[58:59]
	v_mad_nc_u64_u32 v[20:21], 0xb0, v82, v[0:1]
	v_mad_nc_u64_u32 v[22:23], 0xb0, v84, v[0:1]
	;; [unrolled: 1-line block ×3, first 2 shown]
	s_clause 0x3
	global_load_b32 v124, v[2:3], off offset:48
	global_load_b32 v125, v[6:7], off offset:16
	;; [unrolled: 1-line block ×4, first 2 shown]
	s_wait_xcnt 0x3
	v_add_nc_u64_e32 v[2:3], v[14:15], v[56:57]
	s_wait_xcnt 0x2
	v_add_nc_u64_e32 v[6:7], v[14:15], v[58:59]
	;; [unrolled: 2-line block ×4, first 2 shown]
	v_mad_nc_u64_u32 v[112:113], 0xb0, v94, v[0:1]
	v_mad_nc_u64_u32 v[114:115], 0xb0, v96, v[0:1]
	;; [unrolled: 1-line block ×3, first 2 shown]
	s_clause 0x3
	global_load_b32 v130, v[2:3], off offset:48
	global_load_b32 v132, v[6:7], off offset:16
	;; [unrolled: 1-line block ×4, first 2 shown]
	s_wait_xcnt 0x3
	v_add_nc_u64_e32 v[2:3], v[18:19], v[56:57]
	s_wait_xcnt 0x2
	v_add_nc_u64_e32 v[6:7], v[18:19], v[58:59]
	;; [unrolled: 2-line block ×4, first 2 shown]
	v_mad_nc_u64_u32 v[4:5], 0xb0, v100, v[0:1]
	v_mad_nc_u64_u32 v[26:27], 0xb0, v102, v[0:1]
	;; [unrolled: 1-line block ×3, first 2 shown]
	s_clause 0x1
	global_load_b32 v20, v[2:3], off offset:48
	global_load_b32 v21, v[6:7], off offset:16
	s_wait_xcnt 0x1
	v_add_nc_u64_e32 v[2:3], v[22:23], v[56:57]
	s_wait_xcnt 0x0
	v_add_nc_u64_e32 v[6:7], v[22:23], v[58:59]
	s_clause 0x1
	global_load_b32 v22, v[10:11], off offset:48
	global_load_b32 v23, v[8:9], off offset:16
	s_wait_xcnt 0x1
	v_add_nc_u64_e32 v[10:11], v[110:111], v[56:57]
	s_wait_xcnt 0x0
	v_add_nc_u64_e32 v[8:9], v[110:111], v[58:59]
	;; [unrolled: 7-line block ×5, first 2 shown]
	s_clause 0x3
	global_load_b32 v24, v[10:11], off offset:48
	global_load_b32 v25, v[8:9], off offset:16
	;; [unrolled: 1-line block ×4, first 2 shown]
	s_wait_xcnt 0x3
	v_add_nc_u64_e32 v[10:11], v[4:5], v[56:57]
	v_add_nc_u64_e32 v[4:5], v[4:5], v[58:59]
	s_wait_xcnt 0x1
	v_add_nc_u64_e32 v[2:3], v[26:27], v[56:57]
	s_wait_xcnt 0x0
	v_add_nc_u64_e32 v[6:7], v[26:27], v[58:59]
	s_clause 0x1
	global_load_b32 v26, v[10:11], off offset:48
	global_load_b32 v27, v[4:5], off offset:16
	v_add_nc_u64_e32 v[8:9], v[0:1], v[56:57]
	v_add_nc_u64_e32 v[0:1], v[0:1], v[58:59]
	s_clause 0x3
	global_load_b32 v138, v[2:3], off offset:48
	global_load_b32 v140, v[6:7], off offset:16
	;; [unrolled: 1-line block ×4, first 2 shown]
	s_wait_xcnt 0x0
	v_add_nc_u32_e32 v0, s5, v131
	v_add_nc_u32_e32 v137, s5, v91
	v_mad_nc_u64_u32 v[8:9], 0xb0, v86, s[12:13]
	s_mov_b32 s12, -1
	s_delay_alu instid0(VALU_DEP_3)
	v_dual_add_nc_u32 v1, v0, v95 :: v_dual_add_nc_u32 v12, v0, v101
	v_dual_add_nc_u32 v2, v0, v99 :: v_dual_add_nc_u32 v6, v0, v109
	;; [unrolled: 1-line block ×3, first 2 shown]
	v_add_nc_u32_e32 v14, v0, v107
	v_add_nc_u32_e32 v16, v0, v127
	v_mad_nc_i64_i32 v[0:1], v1, 36, v[104:105]
	v_mad_nc_i64_i32 v[2:3], v2, 36, v[104:105]
	;; [unrolled: 1-line block ×8, first 2 shown]
	v_mad_nc_u64_u32 v[18:19], v137, 36, s[2:3]
	s_clause 0x3
	global_load_b32 v144, v[0:1], off offset:4
	global_load_b32 v145, v[2:3], off offset:4
	global_load_b32 v146, v[4:5], off offset:4
	global_load_b32 v147, v[6:7], off offset:4
	global_load_b32 v148, v[8:9], off
	s_clause 0x4
	global_load_b32 v149, v[10:11], off offset:4
	global_load_b32 v150, v[12:13], off offset:4
	;; [unrolled: 1-line block ×4, first 2 shown]
	global_load_b32 v153, v[18:19], off
	s_wait_loadcnt 0x2c
	s_wait_xcnt 0x9
	v_dual_ashrrev_i32 v0, v83, v118 :: v_dual_ashrrev_i32 v1, v83, v119
	s_wait_loadcnt 0x2a
	s_wait_xcnt 0x8
	v_dual_ashrrev_i32 v3, v85, v121 :: v_dual_ashrrev_i32 v2, v85, v120
	s_delay_alu instid0(VALU_DEP_2) | instskip(NEXT) | instid1(VALU_DEP_1)
	v_and_b32_e32 v0, 0xf0f0f0f, v0
	v_and_or_b32 v0, 0x30303030, v2, v0
	s_wait_loadcnt 0x28
	s_wait_xcnt 0x7
	v_dual_ashrrev_i32 v4, v71, v123 :: v_dual_ashrrev_i32 v5, v181, v123
	s_wait_loadcnt 0x27
	s_wait_xcnt 0x6
	v_lshrrev_b32_e32 v7, 4, v116
	v_and_b32_e32 v1, 0xf0f0f0f, v1
	s_wait_loadcnt 0x26
	s_wait_xcnt 0x5
	v_dual_ashrrev_i32 v8, v71, v117 :: v_dual_ashrrev_i32 v9, v181, v117
	v_and_b32_e32 v6, 0xf0f0f0f, v116
	v_and_b32_e32 v2, 0xf0f0f0f, v122
	v_and_or_b32 v1, 0x30303030, v3, v1
	s_wait_loadcnt 0x25
	s_wait_xcnt 0x4
	v_dual_lshrrev_b32 v3, 4, v122 :: v_dual_lshrrev_b32 v11, 4, v124
	s_wait_loadcnt 0x24
	s_wait_xcnt 0x3
	v_dual_ashrrev_i32 v12, v71, v125 :: v_dual_ashrrev_i32 v13, v181, v125
	s_wait_loadcnt 0x22
	s_wait_xcnt 0x1
	v_dual_lshrrev_b32 v15, 4, v126 :: v_dual_ashrrev_i32 v16, v71, v128
	v_ashrrev_i32_e32 v17, v181, v128
	v_and_b32_e32 v10, 0xf0f0f0f, v124
	v_and_b32_e32 v14, 0xf0f0f0f, v126
	;; [unrolled: 1-line block ×3, first 2 shown]
	v_dual_lshlrev_b32 v4, 4, v4 :: v_dual_lshlrev_b32 v5, 4, v5
	s_wait_loadcnt 0x20
	s_wait_xcnt 0x0
	v_dual_lshrrev_b32 v19, 4, v130 :: v_dual_ashrrev_i32 v116, v71, v132
	s_wait_loadcnt 0x1f
	v_dual_ashrrev_i32 v117, v181, v132 :: v_dual_lshrrev_b32 v119, 4, v133
	v_and_b32_e32 v18, 0xf0f0f0f, v130
	v_and_b32_e32 v118, 0xf0f0f0f, v133
	s_wait_loadcnt 0x1e
	v_dual_ashrrev_i32 v120, v71, v134 :: v_dual_ashrrev_i32 v121, v181, v134
	v_and_b32_e32 v7, 0xf0f0f0f, v7
	v_dual_lshlrev_b32 v8, 4, v8 :: v_dual_lshlrev_b32 v9, 4, v9
	s_wait_loadcnt 0x1d
	v_and_b32_e32 v122, 0xf0f0f0f, v20
	s_wait_loadcnt 0x1c
	v_dual_lshrrev_b32 v20, 4, v20 :: v_dual_ashrrev_i32 v123, v71, v21
	v_ashrrev_i32_e32 v21, v181, v21
	s_wait_loadcnt 0x1b
	v_and_b32_e32 v124, 0xf0f0f0f, v22
	s_wait_loadcnt 0x1a
	v_dual_lshrrev_b32 v22, 4, v22 :: v_dual_ashrrev_i32 v125, v71, v23
	v_ashrrev_i32_e32 v23, v181, v23
	v_and_b32_e32 v11, 0xf0f0f0f, v11
	s_wait_loadcnt 0x19
	v_and_b32_e32 v126, 0xf0f0f0f, v110
	s_wait_loadcnt 0x18
	v_dual_lshrrev_b32 v110, 4, v110 :: v_dual_ashrrev_i32 v128, v71, v111
	v_ashrrev_i32_e32 v111, v181, v111
	s_wait_loadcnt 0x17
	v_and_b32_e32 v130, 0xf0f0f0f, v112
	s_wait_loadcnt 0x16
	v_dual_lshrrev_b32 v112, 4, v112 :: v_dual_ashrrev_i32 v132, v71, v113
	v_dual_ashrrev_i32 v113, v181, v113 :: v_dual_lshlrev_b32 v12, 4, v12
	v_lshlrev_b32_e32 v13, 4, v13
	s_wait_loadcnt 0x15
	v_and_b32_e32 v133, 0xf0f0f0f, v114
	s_wait_loadcnt 0x14
	v_dual_lshrrev_b32 v114, 4, v114 :: v_dual_ashrrev_i32 v134, v71, v115
	v_ashrrev_i32_e32 v115, v181, v115
	s_wait_loadcnt 0x13
	v_and_b32_e32 v154, 0xf0f0f0f, v24
	s_wait_loadcnt 0x12
	v_dual_lshrrev_b32 v24, 4, v24 :: v_dual_ashrrev_i32 v155, v71, v25
	v_ashrrev_i32_e32 v25, v181, v25
	;; [unrolled: 5-line block ×3, first 2 shown]
	v_and_b32_e32 v15, 0xf0f0f0f, v15
	v_dual_lshlrev_b32 v16, 4, v16 :: v_dual_lshlrev_b32 v17, 4, v17
	v_and_b32_e32 v19, 0xf0f0f0f, v19
	v_dual_lshlrev_b32 v116, 4, v116 :: v_dual_lshlrev_b32 v117, 4, v117
	s_wait_loadcnt 0xf
	v_and_b32_e32 v203, 0xf0f0f0f, v26
	s_wait_loadcnt 0xe
	v_dual_lshrrev_b32 v26, 4, v26 :: v_dual_ashrrev_i32 v204, v71, v27
	v_ashrrev_i32_e32 v27, v181, v27
	s_wait_loadcnt 0xd
	v_and_b32_e32 v205, 0xf0f0f0f, v138
	s_wait_loadcnt 0xc
	v_dual_lshrrev_b32 v138, 4, v138 :: v_dual_ashrrev_i32 v206, v71, v140
	v_ashrrev_i32_e32 v140, v181, v140
	;; [unrolled: 5-line block ×3, first 2 shown]
	v_and_b32_e32 v119, 0xf0f0f0f, v119
	v_dual_lshlrev_b32 v120, 4, v120 :: v_dual_lshlrev_b32 v121, 4, v121
	v_and_b32_e32 v20, 0xf0f0f0f, v20
	v_dual_lshlrev_b32 v123, 4, v123 :: v_dual_lshlrev_b32 v21, 4, v21
	;; [unrolled: 2-line block ×11, first 2 shown]
	v_and_or_b32 v2, 0x10101010, v4, v2
	v_and_or_b32 v3, 0x10101010, v5, v3
	;; [unrolled: 1-line block ×32, first 2 shown]
	ds_store_2addr_b32 v75, v2, v3 offset1:8
	ds_store_2addr_b32 v188, v4, v5 offset0:8 offset1:16
	ds_store_2addr_b32 v189, v6, v7 offset0:16 offset1:24
	;; [unrolled: 1-line block ×15, first 2 shown]
	ds_store_b32 v87, v0
	ds_store_b32 v89, v1
	s_wait_loadcnt 0x9
	ds_store_b32 v170, v144
	s_wait_loadcnt 0x8
	;; [unrolled: 2-line block ×10, first 2 shown]
	ds_store_b32 v93, v153
	s_wait_dscnt 0x0
	s_barrier_signal -1
	s_barrier_wait -1
	ds_load_b32 v0, v139
	ds_load_b32 v1, v143 offset:128
	ds_load_b32 v2, v158 offset:256
	;; [unrolled: 1-line block ×3, first 2 shown]
	s_wait_dscnt 0x3
	v_cvt_f32_f16_e32 v110, v0
	v_lshrrev_b32_e32 v0, 16, v0
	s_wait_dscnt 0x2
	v_cvt_f32_f16_e32 v112, v1
	v_lshrrev_b32_e32 v1, 16, v1
	s_wait_dscnt 0x1
	v_cvt_f32_f16_e32 v114, v2
	s_wait_dscnt 0x0
	v_dual_lshrrev_b32 v2, 16, v2 :: v_dual_lshrrev_b32 v4, 16, v3
	v_cvt_f32_f16_e32 v116, v3
	v_cvt_f32_f16_e32 v118, v0
	;; [unrolled: 1-line block ×3, first 2 shown]
	s_delay_alu instid0(VALU_DEP_4) | instskip(SKIP_4) | instid1(VALU_DEP_4)
	v_cvt_f32_f16_e32 v122, v2
	v_cvt_f32_f16_e32 v124, v4
	v_dual_mov_b32 v111, v110 :: v_dual_mov_b32 v113, v112
	v_dual_mov_b32 v115, v114 :: v_dual_mov_b32 v117, v116
	;; [unrolled: 1-line block ×4, first 2 shown]
.LBB173_6:                              ;   Parent Loop BB173_5 Depth=1
                                        ; =>  This Inner Loop Header: Depth=2
	s_lshl_b32 s13, s16, 1
	s_lshr_b32 s17, s16, 2
	s_lshl_b32 s16, s16, 3
	s_delay_alu instid0(SALU_CYCLE_1) | instskip(SKIP_2) | instid1(VALU_DEP_2)
	v_dual_add_nc_u32 v138, s16, v182 :: v_dual_bitop2_b32 v0, s13, v77 bitop3:0x54
	s_add_co_i32 s17, s17, 0xa200
	v_dual_add_nc_u32 v133, s16, v183 :: v_dual_add_nc_u32 v228, s16, v184
	v_dual_lshlrev_b32 v1, 2, v0 :: v_dual_lshrrev_b32 v126, 1, v0
	v_add3_u32 v20, s17, v186, v178
	v_add3_u32 v132, s17, v187, v167
	ds_load_b128 v[14:17], v1 offset:33280
	ds_load_b128 v[6:9], v1 offset:33296
	;; [unrolled: 1-line block ×4, first 2 shown]
	ds_load_2addr_b32 v[0:1], v138 offset1:1
	s_set_vgpr_msb 64                       ;  msbs: dst=1 src0=0 src1=0 src2=0
	v_add_nc_u32_e32 v32 /*v288*/, s16, v185
	v_add3_u32 v31 /*v287*/, s17, v180, v169
	s_mov_b32 s16, 8
	s_and_b32 vcc_lo, exec_lo, s12
	s_mov_b32 s12, 0
	s_wait_dscnt 0x4
	s_set_vgpr_msb 0                        ;  msbs: dst=0 src0=0 src1=0 src2=0
	v_bfe_i32 v128, v14, 0, 8
	v_perm_b32 v216, v14, v14, 0xc0c0201
	v_perm_b32 v217, v15, v14, 0x6050403
	;; [unrolled: 1-line block ×3, first 2 shown]
	s_wait_dscnt 0x0
	v_bfe_i32 v250, v0, 0, 8
	v_perm_b32 v251, v0, v0, 0xc0c0201
	v_perm_b32 v252, v1, v0, 0x6050403
	;; [unrolled: 1-line block ×4, first 2 shown]
	v_mul_i32_i24_e32 v18, v250, v128
	v_perm_b32 v233, v7, v6, 0xc0c0403
	s_set_vgpr_msb 64                       ;  msbs: dst=1 src0=0 src1=0 src2=0
	v_perm_b32 v1 /*v257*/, v7, v7, 0xc0c0201
	v_perm_b32 v4 /*v260*/, v8, v7, 0xc0c0403
	;; [unrolled: 1-line block ×3, first 2 shown]
	s_set_vgpr_msb 0                        ;  msbs: dst=0 src0=0 src1=0 src2=0
	v_dot4_i32_iu8 v21, v251, v216, v18 neg_lo:[1,1,0]
	ds_load_2addr_b32 v[18:19], v138 offset0:2 offset1:3
	ds_load_b32 v22, v138 offset:16
	ds_load_b96 v[208:210], v138 offset:19
	ds_load_i8 v142, v138 offset:31
	s_set_vgpr_msb 64                       ;  msbs: dst=1 src0=0 src1=0 src2=0
	v_perm_b32 v28 /*v284*/, v9, v8, 0xc0c0403
	v_perm_b32 v44 /*v300*/, v9, v9, 0xc030201
	s_set_vgpr_msb 0                        ;  msbs: dst=0 src0=0 src1=0 src2=0
	v_bfe_i32 v141, v10, 0, 8
	v_dot4_i32_iu8 v0, v252, v217, v21 neg_lo:[1,1,0]
	s_set_vgpr_msb 64                       ;  msbs: dst=1 src0=0 src1=0 src2=0
	v_perm_b32 v46 /*v302*/, v11, v10, 0x6050403
	v_perm_b32 v47 /*v303*/, v2, v13, 0x6050403
	;; [unrolled: 1-line block ×6, first 2 shown]
	s_wait_dscnt 0x3
	s_set_vgpr_msb 0                        ;  msbs: dst=0 src0=0 src1=0 src2=0
	v_perm_b32 v253, v18, v1, 0x6050403
	v_perm_b32 v254, v19, v18, 0x6050403
	s_wait_dscnt 0x2
	v_perm_b32 v255, v22, v19, 0x6050403
	s_wait_dscnt 0x1
	v_perm_b32 v1, v208, v208, 0xc0c0100
	v_bfe_i32 v249, v208, 0, 8
	v_dot4_i32_iu8 v0, v253, v218, v0 neg_lo:[1,1,0]
	s_set_vgpr_msb 64                       ;  msbs: dst=1 src0=0 src1=0 src2=0
	v_perm_b32 v5 /*v261*/, v209, v208, 0x4030201
	v_perm_b32 v6 /*v262*/, v210, v209, 0x4030201
	s_wait_dscnt 0x0
	v_perm_b32 v0 /*v256*/, v142, v210, 0x4030201
	s_set_vgpr_msb 0                        ;  msbs: dst=0 src0=0 src1=0 src2=0
	v_dot4_i32_iu8 v0, v254, v219, v0 neg_lo:[1,1,0]
	s_delay_alu instid0(VALU_DEP_1) | instskip(NEXT) | instid1(VALU_DEP_1)
	v_dot4_i32_iu8 v0, v255, v231, v0 neg_lo:[1,1,0]
	v_dot4_i32_iu8 v0, v233, v1, v0 neg_lo:[1,1,0]
	v_perm_b32 v1, v208, v208, 0xc0c0302
	s_set_vgpr_msb 1                        ;  msbs: dst=0 src0=1 src1=0 src2=0
	s_delay_alu instid0(VALU_DEP_1) | instskip(SKIP_3) | instid1(VALU_DEP_1)
	v_dot4_i32_iu8 v0, v1 /*v257*/, v1, v0 neg_lo:[1,1,0]
	s_set_vgpr_msb 0                        ;  msbs: dst=0 src0=0 src1=0 src2=0
	v_perm_b32 v1, v209, v209, 0xc0c0100
	s_set_vgpr_msb 1                        ;  msbs: dst=0 src0=1 src1=0 src2=0
	v_dot4_i32_iu8 v0, v4 /*v260*/, v1, v0 neg_lo:[1,1,0]
	s_set_vgpr_msb 0                        ;  msbs: dst=0 src0=0 src1=0 src2=0
	v_perm_b32 v1, v209, v209, 0xc0c0302
	s_set_vgpr_msb 1                        ;  msbs: dst=0 src0=1 src1=0 src2=0
	s_delay_alu instid0(VALU_DEP_1) | instskip(SKIP_3) | instid1(VALU_DEP_1)
	v_dot4_i32_iu8 v0, v7 /*v263*/, v1, v0 neg_lo:[1,1,0]
	s_set_vgpr_msb 0                        ;  msbs: dst=0 src0=0 src1=0 src2=0
	v_perm_b32 v1, v210, v210, 0xc0c0100
	s_set_vgpr_msb 1                        ;  msbs: dst=0 src0=1 src1=0 src2=0
	v_dot4_i32_iu8 v150, v28 /*v284*/, v1, v0 neg_lo:[1,1,0]
	s_set_vgpr_msb 0                        ;  msbs: dst=0 src0=0 src1=0 src2=0
	ds_load_u16 v0, v20
	ds_load_u16 v1, v20 offset:8
	ds_load_2addr_b32 v[134:135], v138 offset0:14 offset1:15
	s_wait_dscnt 0x2
	v_lshrrev_b16 v18, 8, v0
	v_and_b32_e32 v203, 0xff, v0
	s_wait_dscnt 0x1
	v_cvt_f32_ubyte0_e32 v136, v1
	v_cvt_f32_ubyte1_e32 v130, v1
	ds_load_2addr_b32 v[0:1], v133 offset1:1
	v_and_b32_e32 v151, 0xffff, v18
	s_wait_dscnt 0x0
	v_bfe_i32 v220, v0, 0, 8
	v_perm_b32 v221, v0, v0, 0xc0c0201
	v_perm_b32 v224, v1, v0, 0x6050403
	s_delay_alu instid0(VALU_DEP_3) | instskip(NEXT) | instid1(VALU_DEP_1)
	v_mul_i32_i24_e32 v18, v220, v128
	v_dot4_i32_iu8 v140, v221, v216, v18 neg_lo:[1,1,0]
	ds_load_2addr_b32 v[26:27], v133 offset0:2 offset1:3
	ds_load_b32 v144, v133 offset:16
	ds_load_b128 v[18:21], v133 offset:19
	ds_load_b128 v[22:25], v133 offset:35
	ds_load_b96 v[246:248], v133 offset:51
	s_set_vgpr_msb 64                       ;  msbs: dst=1 src0=0 src1=0 src2=0
	ds_load_i8 v29 /*v285*/, v133 offset:63
	s_set_vgpr_msb 0                        ;  msbs: dst=0 src0=0 src1=0 src2=0
	v_dot4_i32_iu8 v0, v224, v217, v140 neg_lo:[1,1,0]
	s_wait_dscnt 0x5
	v_perm_b32 v225, v26, v1, 0x6050403
	v_perm_b32 v226, v27, v26, 0x6050403
	s_wait_dscnt 0x4
	v_perm_b32 v227, v144, v27, 0x6050403
	s_wait_dscnt 0x3
	;; [unrolled: 2-line block ×3, first 2 shown]
	v_perm_b32 v205, v22, v21, 0x4030201
	v_dot4_i32_iu8 v0, v225, v218, v0 neg_lo:[1,1,0]
	v_perm_b32 v206, v23, v22, 0x4030201
	v_add3_u32 v26, s17, v179, v168
	v_perm_b32 v242, v24, v23, 0x4030201
	v_perm_b32 v243, v25, v24, 0x4030201
	v_dot4_i32_iu8 v0, v226, v219, v0 neg_lo:[1,1,0]
	s_wait_dscnt 0x1
	v_perm_b32 v244, v246, v25, 0x4030201
	v_perm_b32 v245, v247, v246, 0x4030201
	;; [unrolled: 1-line block ×3, first 2 shown]
	v_bfe_i32 v222, v18, 0, 8
	v_dot4_i32_iu8 v0, v227, v231, v0 neg_lo:[1,1,0]
	s_delay_alu instid0(VALU_DEP_1) | instskip(SKIP_2) | instid1(VALU_DEP_1)
	v_dot4_i32_iu8 v0, v233, v1, v0 neg_lo:[1,1,0]
	v_perm_b32 v1, v18, v18, 0xc0c0302
	s_set_vgpr_msb 1                        ;  msbs: dst=0 src0=1 src1=0 src2=0
	v_dot4_i32_iu8 v0, v1 /*v257*/, v1, v0 neg_lo:[1,1,0]
	s_set_vgpr_msb 0                        ;  msbs: dst=0 src0=0 src1=0 src2=0
	v_perm_b32 v1, v19, v19, 0xc0c0100
	s_set_vgpr_msb 1                        ;  msbs: dst=0 src0=1 src1=0 src2=0
	s_delay_alu instid0(VALU_DEP_1) | instskip(SKIP_3) | instid1(VALU_DEP_1)
	v_dot4_i32_iu8 v0, v4 /*v260*/, v1, v0 neg_lo:[1,1,0]
	s_set_vgpr_msb 0                        ;  msbs: dst=0 src0=0 src1=0 src2=0
	v_perm_b32 v1, v19, v19, 0xc0c0302
	s_set_vgpr_msb 1                        ;  msbs: dst=0 src0=1 src1=0 src2=0
	v_dot4_i32_iu8 v0, v7 /*v263*/, v1, v0 neg_lo:[1,1,0]
	s_set_vgpr_msb 0                        ;  msbs: dst=0 src0=0 src1=0 src2=0
	v_perm_b32 v1, v20, v20, 0xc0c0100
	s_set_vgpr_msb 0x41                     ;  msbs: dst=1 src0=1 src1=0 src2=0
	s_delay_alu instid0(VALU_DEP_1)
	v_dot4_i32_iu8 v30 /*v286*/, v28 /*v284*/, v1, v0 neg_lo:[1,1,0]
	s_set_vgpr_msb 0                        ;  msbs: dst=0 src0=0 src1=0 src2=0
	ds_load_u16 v0, v132
	ds_load_u16 v207, v132 offset:8
	s_wait_dscnt 0x1
	v_lshrrev_b16 v223, 8, v0
	v_and_b32_e32 v204, 0xff, v0
	v_dot4_i32_iu8 v0, v205, v10, 0 neg_lo:[1,1,0]
	s_wait_dscnt 0x0
	v_cvt_f32_ubyte0_e32 v140, v207
	s_delay_alu instid0(VALU_DEP_2) | instskip(SKIP_1) | instid1(VALU_DEP_1)
	v_dot4_i32_iu8 v22, v206, v11, v0 neg_lo:[1,1,0]
	v_or_b32_e32 v0, s13, v160
	v_dual_lshlrev_b32 v156, 2, v0 :: v_dual_lshrrev_b32 v211, 1, v0
	ds_load_b64 v[0:1], v126 offset:43584
	ds_load_2addr_b32 v[148:149], v228 offset1:1
	ds_load_2addr_b32 v[146:147], v228 offset0:2 offset1:3
	ds_load_2addr_b32 v[144:145], v228 offset0:4 offset1:5
	;; [unrolled: 1-line block ×3, first 2 shown]
	ds_load_u16 v126, v26
	s_set_vgpr_msb 64                       ;  msbs: dst=1 src0=0 src1=0 src2=0
	ds_load_u16 v33 /*v289*/, v26 offset:8
	s_set_vgpr_msb 0                        ;  msbs: dst=0 src0=0 src1=0 src2=0
	ds_load_2addr_b32 v[26:27], v228 offset0:8 offset1:9
	ds_load_2addr_b32 v[212:213], v228 offset0:10 offset1:11
	ds_load_2addr_b32 v[152:153], v138 offset0:8 offset1:9
	s_wait_dscnt 0x9
	s_set_vgpr_msb 64                       ;  msbs: dst=1 src0=0 src1=0 src2=0
	v_cvt_f32_f16_e64 v20 /*v276*/, v0
	v_cvt_f32_f16_e64 v24 /*v280*/, v1
	s_wait_dscnt 0x4
	v_lshrrev_b16 v34 /*v290*/, 8, v126
	s_wait_dscnt 0x0
	s_set_vgpr_msb 0                        ;  msbs: dst=0 src0=0 src1=0 src2=0
	v_lshrrev_b16 v154, 8, v153
	v_dot4_i32_iu8 v155, v152, v10, 0 neg_lo:[1,1,0]
	v_bfe_i32 v230, v153, 16, 8
	v_ashrrev_i32_e32 v229, 24, v153
	v_bfe_i32 v234, v153, 0, 8
	v_bfe_i32 v232, v154, 0, 8
	v_dot4_i32_iu8 v157, v153, v11, v155 neg_lo:[1,1,0]
	ds_load_2addr_b32 v[154:155], v138 offset0:10 offset1:11
	ds_load_b128 v[236:239], v156 offset:33280
	s_set_vgpr_msb 64                       ;  msbs: dst=1 src0=0 src1=0 src2=0
	ds_load_b128 v[8:11] /*v[264:267]*/, v156 offset:33296
	ds_load_b128 v[12:15] /*v[268:271]*/, v156 offset:33312
	;; [unrolled: 1-line block ×3, first 2 shown]
	s_wait_dscnt 0x3
	v_bfe_i32 v35 /*v291*/, v236, 0, 8
	v_perm_b32 v36 /*v292*/, v236, v236, 0xc0c0201
	s_set_vgpr_msb 0                        ;  msbs: dst=0 src0=0 src1=0 src2=0
	v_dot4_i32_iu8 v157, v154, v12, v157 neg_lo:[1,1,0]
	s_set_vgpr_msb 64                       ;  msbs: dst=1 src0=0 src1=0 src2=0
	v_perm_b32 v37 /*v293*/, v237, v236, 0x6050403
	v_perm_b32 v41 /*v297*/, v238, v237, 0x6050403
	s_set_vgpr_msb 1                        ;  msbs: dst=0 src0=1 src1=0 src2=0
	v_mul_i32_i24_e32 v156, v35 /*v291*/, v250
	s_set_vgpr_msb 64                       ;  msbs: dst=1 src0=0 src1=0 src2=0
	v_perm_b32 v42 /*v298*/, v239, v238, 0x6050403
	s_set_vgpr_msb 0                        ;  msbs: dst=0 src0=0 src1=0 src2=0
	v_dot4_i32_iu8 v214, v155, v13, v157 neg_lo:[1,1,0]
	s_wait_dscnt 0x2
	s_set_vgpr_msb 0x41                     ;  msbs: dst=1 src0=1 src1=0 src2=0
	v_perm_b32 v43 /*v299*/, v8 /*v264*/, v239, 0x6050403
	s_set_vgpr_msb 0x44                     ;  msbs: dst=1 src0=0 src1=1 src2=0
	v_ashrrev_i32_e32 v38 /*v294*/, 24, v8 /*v264*/
	s_set_vgpr_msb 1                        ;  msbs: dst=0 src0=1 src1=0 src2=0
	v_dot4_i32_iu8 v215, v36 /*v292*/, v251, v156 neg_lo:[1,1,0]
	s_set_vgpr_msb 0                        ;  msbs: dst=0 src0=0 src1=0 src2=0
	ds_load_2addr_b32 v[156:157], v138 offset0:12 offset1:13
	s_wait_dscnt 0x2
	s_set_vgpr_msb 1                        ;  msbs: dst=0 src0=1 src1=0 src2=0
	v_bfe_i32 v241, v13 /*v269*/, 0, 8
	s_set_vgpr_msb 0x41                     ;  msbs: dst=1 src0=1 src1=0 src2=0
	v_bfe_i32 v39 /*v295*/, v12 /*v268*/, 0, 8
	s_wait_dscnt 0x1
	s_set_vgpr_msb 0x44                     ;  msbs: dst=1 src0=0 src1=1 src2=0
	v_ashrrev_i32_e32 v40 /*v296*/, 24, v16 /*v272*/
	s_set_vgpr_msb 1                        ;  msbs: dst=0 src0=1 src1=0 src2=0
	v_dot4_i32_iu8 v235, v37 /*v293*/, v252, v215 neg_lo:[1,1,0]
	s_wait_dscnt 0x0
	s_set_vgpr_msb 0                        ;  msbs: dst=0 src0=0 src1=0 src2=0
	v_dot4_i32_iu8 v138, v156, v2, v214 neg_lo:[1,1,0]
	ds_load_b64 v[214:215], v211 offset:43584
	v_lshrrev_b32_e32 v0, 16, v0
	v_dot4_i32_iu8 v138, v157, v3, v138 neg_lo:[1,1,0]
	s_delay_alu instid0(VALU_DEP_1) | instskip(NEXT) | instid1(VALU_DEP_1)
	v_dot4_i32_iu8 v138, v134, v4, v138 neg_lo:[1,1,0]
	v_dot4_i32_iu8 v138, v5, v135, v138 neg_lo:[1,1,0]
	s_delay_alu instid0(VALU_DEP_1)
	v_mul_lo_u32 v138, v138, v151
	s_wait_dscnt 0x0
	v_lshrrev_b32_e32 v211, 16, v214
	s_set_vgpr_msb 64                       ;  msbs: dst=1 src0=0 src1=0 src2=0
	v_cvt_f32_f16_e64 v22 /*v278*/, v0
	s_set_vgpr_msb 4                        ;  msbs: dst=0 src0=0 src1=1 src2=0
	v_lshrrev_b16 v0, 8, v13 /*v269*/
	s_set_vgpr_msb 64                       ;  msbs: dst=1 src0=0 src1=0 src2=0
	v_cvt_f32_f16_e64 v21 /*v277*/, v214
	s_set_vgpr_msb 1                        ;  msbs: dst=0 src0=1 src1=0 src2=0
	v_bfe_i32 v214, v13 /*v269*/, 16, 8
	s_set_vgpr_msb 64                       ;  msbs: dst=1 src0=0 src1=0 src2=0
	v_cvt_f32_f16_e64 v23 /*v279*/, v211
	s_set_vgpr_msb 4                        ;  msbs: dst=0 src0=0 src1=1 src2=0
	v_ashrrev_i32_e32 v211, 24, v13 /*v269*/
	v_bfe_i32 v240, v0, 0, 8
	s_set_vgpr_msb 0                        ;  msbs: dst=0 src0=0 src1=0 src2=0
	v_dual_lshrrev_b32 v0, 16, v1 :: v_dual_lshrrev_b32 v1, 16, v215
	s_set_vgpr_msb 64                       ;  msbs: dst=1 src0=0 src1=0 src2=0
	v_cvt_f32_f16_e64 v25 /*v281*/, v215
	s_set_vgpr_msb 5                        ;  msbs: dst=0 src0=1 src1=1 src2=0
	v_perm_b32 v215, v14 /*v270*/, v12 /*v268*/, 0xc0c0501
	s_set_vgpr_msb 0                        ;  msbs: dst=0 src0=0 src1=0 src2=0
	v_mul_i32_i24_e32 v211, v211, v229
	s_set_vgpr_msb 64                       ;  msbs: dst=1 src0=0 src1=0 src2=0
	v_cvt_f32_f16_e64 v26 /*v282*/, v0
	s_set_vgpr_msb 1                        ;  msbs: dst=0 src0=1 src1=0 src2=0
	v_dot4_i32_iu8 v0, v41 /*v297*/, v253, v235 neg_lo:[1,1,0]
	s_set_vgpr_msb 64                       ;  msbs: dst=1 src0=0 src1=0 src2=0
	v_cvt_f32_f16_e64 v27 /*v283*/, v1
	s_set_vgpr_msb 0                        ;  msbs: dst=0 src0=0 src1=0 src2=0
	v_perm_b32 v1, v142, v210, 0xc040302
	v_mul_i32_i24_e32 v210, v214, v230
	v_perm_b32 v214, v154, v152, 0xc0c0501
	s_set_vgpr_msb 1                        ;  msbs: dst=0 src0=1 src1=0 src2=0
	v_dot4_i32_iu8 v0, v42 /*v298*/, v254, v0 neg_lo:[1,1,0]
	s_set_vgpr_msb 5                        ;  msbs: dst=0 src0=1 src1=1 src2=0
	v_perm_b32 v229, v18 /*v274*/, v17 /*v273*/, 0x6020c0c
	s_set_vgpr_msb 4                        ;  msbs: dst=0 src0=0 src1=1 src2=0
	v_dot4_i32_iu8 v1, v1, v44 /*v300*/, v150 neg_lo:[1,1,0]
	s_set_vgpr_msb 0                        ;  msbs: dst=0 src0=0 src1=0 src2=0
	v_mul_i32_i24_e32 v150, v240, v232
	s_set_vgpr_msb 4                        ;  msbs: dst=0 src0=0 src1=1 src2=0
	v_pk_fma_f32 v[208:209], v[136:137], v[22:23] /*v[278:279]*/, 0 op_sel_hi:[0,1,0]
	s_set_vgpr_msb 1                        ;  msbs: dst=0 src0=1 src1=0 src2=0
	v_dot4_i32_iu8 v0, v43 /*v299*/, v255, v0 neg_lo:[1,1,0]
	s_set_vgpr_msb 0                        ;  msbs: dst=0 src0=0 src1=0 src2=0
	v_bfe_i32 v240, v26, 0, 8
	v_mul_lo_u32 v142, v1, v203
	v_dot4_i32_iu8 v150, v215, v214, v150 neg_lo:[1,1,0]
	v_perm_b32 v214, v154, v152, 0xc0c0703
	s_set_vgpr_msb 4                        ;  msbs: dst=0 src0=0 src1=1 src2=0
	v_mad_i32_i24 v0, v249, v38 /*v294*/, v0
	s_set_vgpr_msb 5                        ;  msbs: dst=0 src0=1 src1=1 src2=0
	v_perm_b32 v215, v14 /*v270*/, v12 /*v268*/, 0xc0c0703
	s_set_vgpr_msb 4                        ;  msbs: dst=0 src0=0 src1=1 src2=0
	v_pk_fma_f32 v[208:209], v[130:131], v[26:27] /*v[282:283]*/, v[208:209] op_sel_hi:[0,1,1]
	s_set_vgpr_msb 0                        ;  msbs: dst=0 src0=0 src1=0 src2=0
	v_perm_b32 v232, v26, v26, 0xc0c0201
	v_perm_b32 v235, v212, v27, 0x6050403
	s_set_vgpr_msb 5                        ;  msbs: dst=0 src0=1 src1=1 src2=0
	v_dot4_i32_iu8 v0, v5 /*v261*/, v9 /*v265*/, v0 neg_lo:[1,1,0]
	s_set_vgpr_msb 0                        ;  msbs: dst=0 src0=0 src1=0 src2=0
	v_dot4_i32_iu8 v211, v215, v214, v211 neg_lo:[1,1,0]
	v_perm_b32 v214, v154, v152, 0xc0c0400
	s_set_vgpr_msb 5                        ;  msbs: dst=0 src0=1 src1=1 src2=0
	v_perm_b32 v215, v14 /*v270*/, v12 /*v268*/, 0xc0c0400
	s_set_vgpr_msb 0                        ;  msbs: dst=0 src0=0 src1=0 src2=0
	v_pk_mul_f32 v[208:209], v[208:209], v[118:119]
	s_set_vgpr_msb 5                        ;  msbs: dst=0 src0=1 src1=1 src2=0
	v_dot4_i32_iu8 v0, v6 /*v262*/, v10 /*v266*/, v0 neg_lo:[1,1,0]
	s_set_vgpr_msb 0                        ;  msbs: dst=0 src0=0 src1=0 src2=0
	v_perm_b32 v230, v213, v212, 0x6050403
	s_set_vgpr_msb 5                        ;  msbs: dst=0 src0=1 src1=1 src2=0
	s_delay_alu instid0(VALU_DEP_2) | instskip(SKIP_1) | instid1(VALU_DEP_1)
	v_dot4_i32_iu8 v0, v11 /*v267*/, v0 /*v256*/, v0 neg_lo:[1,1,0]
	s_set_vgpr_msb 0                        ;  msbs: dst=0 src0=0 src1=0 src2=0
	v_mul_lo_u32 v0, v0, v203
	s_delay_alu instid0(VALU_DEP_1)
	v_cvt_f32_i32_e32 v1, v0
	v_cvt_f32_i32_e32 v0, v142
	v_mul_i32_i24_e32 v142, v241, v234
	v_and_b32_e32 v241, 0xffff, v223
	v_and_b32_e32 v223, 0xff, v126
	v_perm_b32 v126, v10, v10, 0xc0c0201
	s_set_vgpr_msb 1                        ;  msbs: dst=0 src0=1 src1=0 src2=0
	v_pk_fma_f32 v[0:1], v[20:21] /*v[276:277]*/, v[0:1], 0 op_sel_hi:[1,1,0]
	s_set_vgpr_msb 0                        ;  msbs: dst=0 src0=0 src1=0 src2=0
	v_dot4_i32_iu8 v142, v215, v214, v142 neg_lo:[1,1,0]
	v_perm_b32 v214, v154, v152, 0xc0c0602
	s_set_vgpr_msb 5                        ;  msbs: dst=0 src0=1 src1=1 src2=0
	v_perm_b32 v215, v14 /*v270*/, v12 /*v268*/, 0xc0c0602
	s_set_vgpr_msb 0                        ;  msbs: dst=0 src0=0 src1=0 src2=0
	v_perm_b32 v234, v27, v26, 0x6050403
	v_perm_b32 v26, v12, v11, 0x6050403
	;; [unrolled: 1-line block ×3, first 2 shown]
	v_dot4_i32_iu8 v210, v215, v214, v210 neg_lo:[1,1,0]
	v_perm_b32 v214, v156, v155, 0xc0c0602
	v_perm_b32 v215, v134, v157, 0x6020c0c
	s_delay_alu instid0(VALU_DEP_1) | instskip(SKIP_3) | instid1(VALU_DEP_1)
	v_or_b32_e32 v214, v215, v214
	s_set_vgpr_msb 5                        ;  msbs: dst=0 src0=1 src1=1 src2=0
	v_perm_b32 v215, v16 /*v272*/, v15 /*v271*/, 0xc0c0602
	s_set_vgpr_msb 0                        ;  msbs: dst=0 src0=0 src1=0 src2=0
	v_or_b32_e32 v215, v229, v215
	s_set_vgpr_msb 5                        ;  msbs: dst=0 src0=1 src1=1 src2=0
	v_perm_b32 v229, v18 /*v274*/, v17 /*v273*/, 0x4000c0c
	s_set_vgpr_msb 0                        ;  msbs: dst=0 src0=0 src1=0 src2=0
	s_delay_alu instid0(VALU_DEP_2) | instskip(SKIP_2) | instid1(VALU_DEP_1)
	v_dot4_i32_iu8 v210, v215, v214, v210 neg_lo:[1,1,0]
	v_perm_b32 v214, v156, v155, 0xc0c0400
	v_perm_b32 v215, v134, v157, 0x4000c0c
	v_or_b32_e32 v214, v215, v214
	s_set_vgpr_msb 5                        ;  msbs: dst=0 src0=1 src1=1 src2=0
	v_perm_b32 v215, v16 /*v272*/, v15 /*v271*/, 0xc0c0400
	s_set_vgpr_msb 0                        ;  msbs: dst=0 src0=0 src1=0 src2=0
	s_delay_alu instid0(VALU_DEP_1) | instskip(SKIP_3) | instid1(VALU_DEP_2)
	v_or_b32_e32 v215, v229, v215
	s_set_vgpr_msb 5                        ;  msbs: dst=0 src0=1 src1=1 src2=0
	v_perm_b32 v229, v18 /*v274*/, v17 /*v273*/, 0x7030c0c
	s_set_vgpr_msb 0                        ;  msbs: dst=0 src0=0 src1=0 src2=0
	v_dot4_i32_iu8 v142, v215, v214, v142 neg_lo:[1,1,0]
	v_perm_b32 v214, v156, v155, 0xc0c0703
	v_perm_b32 v215, v134, v157, 0x7030c0c
	s_delay_alu instid0(VALU_DEP_1) | instskip(SKIP_3) | instid1(VALU_DEP_1)
	v_or_b32_e32 v214, v215, v214
	s_set_vgpr_msb 5                        ;  msbs: dst=0 src0=1 src1=1 src2=0
	v_perm_b32 v215, v16 /*v272*/, v15 /*v271*/, 0xc0c0703
	s_set_vgpr_msb 0                        ;  msbs: dst=0 src0=0 src1=0 src2=0
	v_or_b32_e32 v215, v229, v215
	s_set_vgpr_msb 5                        ;  msbs: dst=0 src0=1 src1=1 src2=0
	v_perm_b32 v229, v18 /*v274*/, v17 /*v273*/, 0x5010c0c
	s_set_vgpr_msb 0                        ;  msbs: dst=0 src0=0 src1=0 src2=0
	s_delay_alu instid0(VALU_DEP_2) | instskip(SKIP_2) | instid1(VALU_DEP_1)
	v_dot4_i32_iu8 v211, v215, v214, v211 neg_lo:[1,1,0]
	v_perm_b32 v214, v156, v155, 0xc0c0501
	v_perm_b32 v215, v134, v157, 0x5010c0c
	v_or_b32_e32 v214, v215, v214
	s_set_vgpr_msb 5                        ;  msbs: dst=0 src0=1 src1=1 src2=0
	v_perm_b32 v215, v16 /*v272*/, v15 /*v271*/, 0xc0c0501
	s_set_vgpr_msb 0                        ;  msbs: dst=0 src0=0 src1=0 src2=0
	s_delay_alu instid0(VALU_DEP_1) | instskip(NEXT) | instid1(VALU_DEP_1)
	v_or_b32_e32 v215, v229, v215
	v_dot4_i32_iu8 v150, v215, v214, v150 neg_lo:[1,1,0]
	s_delay_alu instid0(VALU_DEP_1) | instskip(NEXT) | instid1(VALU_DEP_1)
	v_add_nc_u32_e32 v150, v150, v211
	v_add3_u32 v142, v142, v210, v150
	v_cvt_f32_i32_e32 v210, v138
	v_cvt_f32_ubyte1_e32 v150, v207
	s_set_vgpr_msb 1                        ;  msbs: dst=0 src0=1 src1=0 src2=0
	v_cvt_f32_ubyte0_e32 v138, v33 /*v289*/
	v_dot4_i32_iu8 v142, v19 /*v275*/, v135, v142 neg_lo:[1,1,0]
	s_set_vgpr_msb 0                        ;  msbs: dst=0 src0=0 src1=0 src2=0
	s_delay_alu instid0(VALU_DEP_1) | instskip(NEXT) | instid1(VALU_DEP_1)
	v_mul_lo_u32 v142, v142, v151
	v_cvt_f32_i32_e32 v211, v142
	s_set_vgpr_msb 1                        ;  msbs: dst=0 src0=1 src1=0 src2=0
	v_cvt_f32_ubyte1_e32 v142, v33 /*v289*/
	s_delay_alu instid0(VALU_DEP_2) | instskip(SKIP_3) | instid1(VALU_DEP_2)
	v_pk_fma_f32 v[0:1], v[24:25] /*v[280:281]*/, v[210:211], v[0:1]
	s_set_vgpr_msb 4                        ;  msbs: dst=0 src0=0 src1=1 src2=0
	v_and_b32_e32 v210, 0xffff, v34 /*v290*/
	s_set_vgpr_msb 64                       ;  msbs: dst=1 src0=0 src1=0 src2=0
	v_pk_fma_f32 v[2:3] /*v[258:259]*/, v[0:1], v[110:111], v[208:209] neg_lo:[0,0,1] neg_hi:[0,0,1]
	s_set_vgpr_msb 0                        ;  msbs: dst=0 src0=0 src1=0 src2=0
	v_dot4_i32_iu8 v0, v242, v12, v22 neg_lo:[1,1,0]
	s_set_vgpr_msb 4                        ;  msbs: dst=0 src0=0 src1=1 src2=0
	s_delay_alu instid0(VALU_DEP_2) | instskip(SKIP_1) | instid1(VALU_DEP_2)
	v_pk_add_f32 v[64:65], v[64:65], v[2:3] /*v[258:259]*/
	s_set_vgpr_msb 0                        ;  msbs: dst=0 src0=0 src1=0 src2=0
	v_dot4_i32_iu8 v0, v243, v13, v0 neg_lo:[1,1,0]
	s_set_vgpr_msb 64                       ;  msbs: dst=1 src0=0 src1=0 src2=0
	v_perm_b32 v3 /*v259*/, v19, v18, 0x4030201
	s_set_vgpr_msb 1                        ;  msbs: dst=0 src0=1 src1=0 src2=0
	v_dot4_i32_iu8 v18, v12 /*v268*/, v205, 0 neg_lo:[1,1,0]
	s_set_vgpr_msb 0x41                     ;  msbs: dst=1 src0=1 src1=0 src2=0
	v_perm_b32 v2 /*v258*/, v29 /*v285*/, v248, 0x4030201
	s_set_vgpr_msb 0                        ;  msbs: dst=0 src0=0 src1=0 src2=0
	v_dot4_i32_iu8 v0, v244, v2, v0 neg_lo:[1,1,0]
	s_set_vgpr_msb 1                        ;  msbs: dst=0 src0=1 src1=0 src2=0
	v_dot4_i32_iu8 v18, v13 /*v269*/, v206, v18 neg_lo:[1,1,0]
	s_set_vgpr_msb 0                        ;  msbs: dst=0 src0=0 src1=0 src2=0
	s_delay_alu instid0(VALU_DEP_2) | instskip(SKIP_1) | instid1(VALU_DEP_2)
	v_dot4_i32_iu8 v0, v245, v3, v0 neg_lo:[1,1,0]
	s_set_vgpr_msb 1                        ;  msbs: dst=0 src0=1 src1=0 src2=0
	v_dot4_i32_iu8 v18, v14 /*v270*/, v242, v18 neg_lo:[1,1,0]
	s_set_vgpr_msb 0                        ;  msbs: dst=0 src0=0 src1=0 src2=0
	s_delay_alu instid0(VALU_DEP_2)
	v_dot4_i32_iu8 v247, v246, v4, v0 neg_lo:[1,1,0]
	v_dot4_i32_iu8 v0, v148, v14, 0 neg_lo:[1,1,0]
	v_perm_b32 v4, v5, v4, 0xc0c0403
	s_set_vgpr_msb 1                        ;  msbs: dst=0 src0=1 src1=0 src2=0
	v_dot4_i32_iu8 v18, v15 /*v271*/, v243, v18 neg_lo:[1,1,0]
	s_set_vgpr_msb 0                        ;  msbs: dst=0 src0=0 src1=0 src2=0
	v_dot4_i32_iu8 v0, v149, v15, v0 neg_lo:[1,1,0]
	s_set_vgpr_msb 1                        ;  msbs: dst=0 src0=1 src1=0 src2=0
	s_delay_alu instid0(VALU_DEP_2) | instskip(SKIP_1) | instid1(VALU_DEP_2)
	v_dot4_i32_iu8 v18, v16 /*v272*/, v244, v18 neg_lo:[1,1,0]
	s_set_vgpr_msb 0                        ;  msbs: dst=0 src0=0 src1=0 src2=0
	v_dot4_i32_iu8 v0, v146, v16, v0 neg_lo:[1,1,0]
	s_set_vgpr_msb 1                        ;  msbs: dst=0 src0=1 src1=0 src2=0
	s_delay_alu instid0(VALU_DEP_2) | instskip(SKIP_1) | instid1(VALU_DEP_2)
	v_dot4_i32_iu8 v18, v17 /*v273*/, v245, v18 neg_lo:[1,1,0]
	s_set_vgpr_msb 0                        ;  msbs: dst=0 src0=0 src1=0 src2=0
	v_dot4_i32_iu8 v0, v147, v17, v0 neg_lo:[1,1,0]
	s_delay_alu instid0(VALU_DEP_1) | instskip(NEXT) | instid1(VALU_DEP_1)
	v_dot4_i32_iu8 v0, v144, v6, v0 neg_lo:[1,1,0]
	v_dot4_i32_iu8 v0, v145, v7, v0 neg_lo:[1,1,0]
	s_delay_alu instid0(VALU_DEP_1)
	v_dot4_i32_iu8 v17, v132, v8, v0 neg_lo:[1,1,0]
	v_mul_i32_i24_e32 v0, v240, v141
	ds_load_b32 v1, v228 offset:48
	ds_load_b96 v[6:8], v228 offset:51
	s_set_vgpr_msb 64                       ;  msbs: dst=1 src0=0 src1=0 src2=0
	ds_load_i8 v45 /*v301*/, v228 offset:63
	s_set_vgpr_msb 1                        ;  msbs: dst=0 src0=1 src1=0 src2=0
	ds_load_2addr_b32 v[22:23], v32 /*v288*/ offset1:1
	s_set_vgpr_msb 0                        ;  msbs: dst=0 src0=0 src1=0 src2=0
	v_dot4_i32_iu8 v0, v232, v126, v0 neg_lo:[1,1,0]
	s_set_vgpr_msb 4                        ;  msbs: dst=0 src0=0 src1=1 src2=0
	s_delay_alu instid0(VALU_DEP_1) | instskip(SKIP_1) | instid1(VALU_DEP_1)
	v_dot4_i32_iu8 v0, v234, v46 /*v302*/, v0 neg_lo:[1,1,0]
	s_set_vgpr_msb 0                        ;  msbs: dst=0 src0=0 src1=0 src2=0
	v_dot4_i32_iu8 v0, v235, v26, v0 neg_lo:[1,1,0]
	s_wait_dscnt 0x3
	v_perm_b32 v229, v1, v213, 0x6050403
	s_delay_alu instid0(VALU_DEP_2)
	v_dot4_i32_iu8 v0, v230, v27, v0 neg_lo:[1,1,0]
	s_wait_dscnt 0x2
	v_perm_b32 v1, v6, v6, 0xc0c0100
	s_wait_dscnt 0x0
	v_bfe_i32 v207, v22, 0, 8
	v_perm_b32 v208, v22, v22, 0xc0c0201
	v_perm_b32 v211, v23, v22, 0x6050403
	s_set_vgpr_msb 4                        ;  msbs: dst=0 src0=0 src1=1 src2=0
	v_dot4_i32_iu8 v0, v229, v47 /*v303*/, v0 neg_lo:[1,1,0]
	v_bfe_i32 v228, v6, 0, 8
	s_set_vgpr_msb 0                        ;  msbs: dst=0 src0=0 src1=0 src2=0
	v_perm_b32 v248, v8, v7, 0x4030201
	s_set_vgpr_msb 1                        ;  msbs: dst=0 src0=1 src1=0 src2=0
	v_dot4_i32_iu8 v0, v48 /*v304*/, v1, v0 neg_lo:[1,1,0]
	s_set_vgpr_msb 0                        ;  msbs: dst=0 src0=0 src1=0 src2=0
	v_perm_b32 v1, v6, v6, 0xc0c0302
	s_set_vgpr_msb 1                        ;  msbs: dst=0 src0=1 src1=0 src2=0
	s_delay_alu instid0(VALU_DEP_1) | instskip(SKIP_3) | instid1(VALU_DEP_1)
	v_dot4_i32_iu8 v0, v49 /*v305*/, v1, v0 neg_lo:[1,1,0]
	s_set_vgpr_msb 0                        ;  msbs: dst=0 src0=0 src1=0 src2=0
	v_perm_b32 v1, v7, v7, 0xc0c0100
	s_set_vgpr_msb 1                        ;  msbs: dst=0 src0=1 src1=0 src2=0
	v_dot4_i32_iu8 v0, v50 /*v306*/, v1, v0 neg_lo:[1,1,0]
	s_set_vgpr_msb 0                        ;  msbs: dst=0 src0=0 src1=0 src2=0
	v_perm_b32 v1, v7, v7, 0xc0c0302
	s_set_vgpr_msb 1                        ;  msbs: dst=0 src0=1 src1=0 src2=0
	s_delay_alu instid0(VALU_DEP_1) | instskip(SKIP_3) | instid1(VALU_DEP_1)
	v_dot4_i32_iu8 v0, v51 /*v307*/, v1, v0 neg_lo:[1,1,0]
	s_set_vgpr_msb 0                        ;  msbs: dst=0 src0=0 src1=0 src2=0
	v_perm_b32 v1, v8, v8, 0xc0c0100
	s_set_vgpr_msb 64                       ;  msbs: dst=1 src0=0 src1=0 src2=0
	v_dot4_i32_iu8 v52 /*v308*/, v4, v1, v0 neg_lo:[1,1,0]
	s_set_vgpr_msb 0                        ;  msbs: dst=0 src0=0 src1=0 src2=0
	v_mul_i32_i24_e32 v0, v207, v128
	s_delay_alu instid0(VALU_DEP_1)
	v_dot4_i32_iu8 v128, v208, v216, v0 neg_lo:[1,1,0]
	s_set_vgpr_msb 1                        ;  msbs: dst=0 src0=1 src1=0 src2=0
	ds_load_2addr_b32 v[24:25], v32 /*v288*/ offset0:2 offset1:3
	ds_load_b32 v214, v32 /*v288*/ offset:16
	ds_load_b128 v[10:13], v32 /*v288*/ offset:19
	ds_load_b128 v[0:3], v32 /*v288*/ offset:35
	ds_load_b96 v[14:16], v32 /*v288*/ offset:51
	s_set_vgpr_msb 0x41                     ;  msbs: dst=1 src0=1 src1=0 src2=0
	ds_load_i8 v32 /*v288*/, v32 /*v288*/ offset:63
	s_set_vgpr_msb 0                        ;  msbs: dst=0 src0=0 src1=0 src2=0
	v_dot4_i32_iu8 v22, v211, v217, v128 neg_lo:[1,1,0]
	s_wait_dscnt 0x5
	v_perm_b32 v212, v24, v23, 0x6050403
	v_perm_b32 v213, v25, v24, 0x6050403
	s_wait_dscnt 0x4
	v_perm_b32 v215, v214, v25, 0x6050403
	s_wait_dscnt 0x3
	v_perm_b32 v23, v10, v10, 0xc0c0100
	v_bfe_i32 v217, v13, 8, 8
	v_dot4_i32_iu8 v22, v212, v218, v22 neg_lo:[1,1,0]
	v_perm_b32 v218, v13, v13, 0xc0c0302
	v_bfe_i32 v209, v10, 0, 8
	s_wait_dscnt 0x1
	v_bfe_i32 v216, v14, 0, 8
	v_dot4_i32_iu8 v22, v213, v219, v22 neg_lo:[1,1,0]
	s_wait_dscnt 0x0
	s_set_vgpr_msb 1                        ;  msbs: dst=0 src0=1 src1=0 src2=0
	v_perm_b32 v219, v32 /*v288*/, v16, 0x4030201
	s_set_vgpr_msb 0                        ;  msbs: dst=0 src0=0 src1=0 src2=0
	v_dot4_i32_iu8 v22, v215, v231, v22 neg_lo:[1,1,0]
	s_set_vgpr_msb 1                        ;  msbs: dst=0 src0=1 src1=0 src2=0
	v_perm_b32 v231, v45 /*v301*/, v8, 0x4030201
	v_perm_b32 v8, v45 /*v301*/, v8, 0xc040302
	s_set_vgpr_msb 0                        ;  msbs: dst=0 src0=0 src1=0 src2=0
	v_dot4_i32_iu8 v22, v233, v23, v22 neg_lo:[1,1,0]
	v_perm_b32 v23, v10, v10, 0xc0c0302
	v_perm_b32 v233, v11, v10, 0x4030201
	s_set_vgpr_msb 1                        ;  msbs: dst=0 src0=1 src1=0 src2=0
	v_perm_b32 v10, v32 /*v288*/, v16, 0xc040302
	s_delay_alu instid0(VALU_DEP_3)
	v_dot4_i32_iu8 v22, v1 /*v257*/, v23, v22 neg_lo:[1,1,0]
	s_set_vgpr_msb 0                        ;  msbs: dst=0 src0=0 src1=0 src2=0
	v_perm_b32 v23, v11, v11, 0xc0c0100
	s_set_vgpr_msb 64                       ;  msbs: dst=1 src0=0 src1=0 src2=0
	v_perm_b32 v1 /*v257*/, v21, v20, 0x4030201
	s_set_vgpr_msb 1                        ;  msbs: dst=0 src0=1 src1=0 src2=0
	s_delay_alu instid0(VALU_DEP_2)
	v_dot4_i32_iu8 v22, v4 /*v260*/, v23, v22 neg_lo:[1,1,0]
	s_set_vgpr_msb 0                        ;  msbs: dst=0 src0=0 src1=0 src2=0
	v_perm_b32 v23, v11, v11, 0xc0c0302
	s_set_vgpr_msb 64                       ;  msbs: dst=1 src0=0 src1=0 src2=0
	v_perm_b32 v4 /*v260*/, v20, v19, 0x4030201
	s_set_vgpr_msb 1                        ;  msbs: dst=0 src0=1 src1=0 src2=0
	s_delay_alu instid0(VALU_DEP_2) | instskip(SKIP_3) | instid1(VALU_DEP_1)
	v_dot4_i32_iu8 v22, v7 /*v263*/, v23, v22 neg_lo:[1,1,0]
	s_set_vgpr_msb 0                        ;  msbs: dst=0 src0=0 src1=0 src2=0
	v_perm_b32 v23, v12, v12, 0xc0c0100
	s_set_vgpr_msb 1                        ;  msbs: dst=0 src0=1 src1=0 src2=0
	v_dot4_i32_iu8 v24, v28 /*v284*/, v23, v22 neg_lo:[1,1,0]
	ds_load_u16 v22, v31 /*v287*/
	ds_load_u16 v23, v31 /*v287*/ offset:8
	s_wait_dscnt 0x1
	v_lshrrev_b16 v25, 8, v22
	v_and_b32_e32 v214, 0xff, v22
	s_set_vgpr_msb 0                        ;  msbs: dst=0 src0=0 src1=0 src2=0
	v_mul_i32_i24_e32 v22, v217, v141
	s_wait_dscnt 0x0
	v_cvt_f32_ubyte0_e32 v128, v23
	v_and_b32_e32 v141, 0xffff, v25
	s_set_vgpr_msb 5                        ;  msbs: dst=0 src0=1 src1=1 src2=0
	v_perm_b32 v25, v16 /*v272*/, v15 /*v271*/, 0x6050403
	s_set_vgpr_msb 0                        ;  msbs: dst=0 src0=0 src1=0 src2=0
	v_dot4_i32_iu8 v22, v218, v126, v22 neg_lo:[1,1,0]
	v_cvt_f32_ubyte1_e32 v126, v23
	s_set_vgpr_msb 4                        ;  msbs: dst=0 src0=0 src1=1 src2=0
	s_delay_alu instid0(VALU_DEP_2) | instskip(SKIP_1) | instid1(VALU_DEP_1)
	v_dot4_i32_iu8 v22, v0, v46 /*v302*/, v22 neg_lo:[1,1,0]
	s_set_vgpr_msb 0                        ;  msbs: dst=0 src0=0 src1=0 src2=0
	v_dot4_i32_iu8 v22, v1, v26, v22 neg_lo:[1,1,0]
	v_perm_b32 v26, v14, v14, 0xc0c0100
	s_delay_alu instid0(VALU_DEP_2) | instskip(SKIP_1) | instid1(VALU_DEP_1)
	v_dot4_i32_iu8 v22, v2, v27, v22 neg_lo:[1,1,0]
	s_set_vgpr_msb 4                        ;  msbs: dst=0 src0=0 src1=1 src2=0
	v_dot4_i32_iu8 v22, v3, v47 /*v303*/, v22 neg_lo:[1,1,0]
	s_set_vgpr_msb 1                        ;  msbs: dst=0 src0=1 src1=0 src2=0
	s_delay_alu instid0(VALU_DEP_1) | instskip(SKIP_3) | instid1(VALU_DEP_1)
	v_dot4_i32_iu8 v22, v48 /*v304*/, v26, v22 neg_lo:[1,1,0]
	s_set_vgpr_msb 0                        ;  msbs: dst=0 src0=0 src1=0 src2=0
	v_perm_b32 v26, v14, v14, 0xc0c0302
	s_set_vgpr_msb 1                        ;  msbs: dst=0 src0=1 src1=0 src2=0
	v_dot4_i32_iu8 v22, v49 /*v305*/, v26, v22 neg_lo:[1,1,0]
	s_set_vgpr_msb 0                        ;  msbs: dst=0 src0=0 src1=0 src2=0
	v_perm_b32 v26, v15, v15, 0xc0c0100
	s_set_vgpr_msb 1                        ;  msbs: dst=0 src0=1 src1=0 src2=0
	s_delay_alu instid0(VALU_DEP_1) | instskip(SKIP_3) | instid1(VALU_DEP_1)
	v_dot4_i32_iu8 v22, v50 /*v306*/, v26, v22 neg_lo:[1,1,0]
	s_set_vgpr_msb 0                        ;  msbs: dst=0 src0=0 src1=0 src2=0
	v_perm_b32 v26, v15, v15, 0xc0c0302
	s_set_vgpr_msb 1                        ;  msbs: dst=0 src0=1 src1=0 src2=0
	v_dot4_i32_iu8 v22, v51 /*v307*/, v26, v22 neg_lo:[1,1,0]
	s_set_vgpr_msb 0                        ;  msbs: dst=0 src0=0 src1=0 src2=0
	v_perm_b32 v26, v16, v16, 0xc0c0100
	s_delay_alu instid0(VALU_DEP_1)
	v_dot4_i32_iu8 v26, v4, v26, v22 neg_lo:[1,1,0]
	s_set_vgpr_msb 1                        ;  msbs: dst=0 src0=1 src1=0 src2=0
	v_mul_i32_i24_e32 v4, v35 /*v291*/, v220
	v_dot4_i32_iu8 v22, v18 /*v274*/, v246, v18 neg_lo:[1,1,0]
	s_set_vgpr_msb 0                        ;  msbs: dst=0 src0=0 src1=0 src2=0
	v_perm_b32 v18, v21, v20, 0xc040302
	s_set_vgpr_msb 4                        ;  msbs: dst=0 src0=0 src1=1 src2=0
	v_pk_fma_f32 v[20:21], v[140:141], v[22:23] /*v[278:279]*/, 0 op_sel_hi:[0,1,0]
	s_set_vgpr_msb 1                        ;  msbs: dst=0 src0=1 src1=0 src2=0
	v_dot4_i32_iu8 v4, v36 /*v292*/, v221, v4 neg_lo:[1,1,0]
	s_set_vgpr_msb 20                       ;  msbs: dst=0 src0=0 src1=1 src2=1
	v_dot4_i32_iu8 v18, v18, v44 /*v300*/, v30 /*v286*/ neg_lo:[1,1,0]
	s_set_vgpr_msb 4                        ;  msbs: dst=0 src0=0 src1=1 src2=0
	v_pk_fma_f32 v[20:21], v[150:151], v[26:27] /*v[282:283]*/, v[20:21] op_sel_hi:[0,1,1]
	s_set_vgpr_msb 1                        ;  msbs: dst=0 src0=1 src1=0 src2=0
	v_dot4_i32_iu8 v4, v37 /*v293*/, v224, v4 neg_lo:[1,1,0]
	s_set_vgpr_msb 0                        ;  msbs: dst=0 src0=0 src1=0 src2=0
	v_mul_lo_u32 v18, v18, v204
	v_pk_mul_f32 v[20:21], v[20:21], v[120:121]
	s_set_vgpr_msb 1                        ;  msbs: dst=0 src0=1 src1=0 src2=0
	v_dot4_i32_iu8 v4, v41 /*v297*/, v225, v4 neg_lo:[1,1,0]
	s_delay_alu instid0(VALU_DEP_1) | instskip(SKIP_1) | instid1(VALU_DEP_4)
	v_dot4_i32_iu8 v4, v42 /*v298*/, v226, v4 neg_lo:[1,1,0]
	s_set_vgpr_msb 0                        ;  msbs: dst=0 src0=0 src1=0 src2=0
	v_cvt_f32_i32_e32 v18, v18
	s_set_vgpr_msb 1                        ;  msbs: dst=0 src0=1 src1=0 src2=0
	s_delay_alu instid0(VALU_DEP_2) | instskip(SKIP_1) | instid1(VALU_DEP_1)
	v_dot4_i32_iu8 v4, v43 /*v299*/, v227, v4 neg_lo:[1,1,0]
	s_set_vgpr_msb 4                        ;  msbs: dst=0 src0=0 src1=1 src2=0
	v_mad_i32_i24 v4, v222, v38 /*v294*/, v4
	s_set_vgpr_msb 5                        ;  msbs: dst=0 src0=1 src1=1 src2=0
	s_delay_alu instid0(VALU_DEP_1) | instskip(NEXT) | instid1(VALU_DEP_1)
	v_dot4_i32_iu8 v4, v3 /*v259*/, v9 /*v265*/, v4 neg_lo:[1,1,0]
	v_dot4_i32_iu8 v4, v4 /*v260*/, v10 /*v266*/, v4 neg_lo:[1,1,0]
	s_delay_alu instid0(VALU_DEP_1) | instskip(SKIP_1) | instid1(VALU_DEP_1)
	v_dot4_i32_iu8 v4, v11 /*v267*/, v1 /*v257*/, v4 neg_lo:[1,1,0]
	s_set_vgpr_msb 0                        ;  msbs: dst=0 src0=0 src1=0 src2=0
	v_mul_lo_u32 v4, v4, v204
	s_delay_alu instid0(VALU_DEP_1)
	v_cvt_f32_i32_e32 v19, v4
	s_set_vgpr_msb 5                        ;  msbs: dst=0 src0=1 src1=1 src2=0
	v_dot4_i32_iu8 v4, v19 /*v275*/, v2 /*v258*/, v22 neg_lo:[1,1,0]
	s_set_vgpr_msb 4                        ;  msbs: dst=0 src0=0 src1=1 src2=0
	v_dot4_i32_iu8 v22, v5, v2 /*v258*/, v247 neg_lo:[1,1,0]
	s_set_vgpr_msb 0                        ;  msbs: dst=0 src0=0 src1=0 src2=0
	v_perm_b32 v247, v7, v6, 0x4030201
	s_set_vgpr_msb 1                        ;  msbs: dst=0 src0=1 src1=0 src2=0
	v_pk_fma_f32 v[18:19], v[20:21] /*v[276:277]*/, v[18:19], 0 op_sel_hi:[1,1,0]
	s_set_vgpr_msb 0                        ;  msbs: dst=0 src0=0 src1=0 src2=0
	v_mul_lo_u32 v4, v4, v241
	v_mul_lo_u32 v22, v22, v241
	s_delay_alu instid0(VALU_DEP_2) | instskip(NEXT) | instid1(VALU_DEP_2)
	v_cvt_f32_i32_e32 v23, v4
	v_cvt_f32_i32_e32 v22, v22
	v_dot4_i32_iu8 v4, v236, v148, 0 neg_lo:[1,1,0]
	v_perm_b32 v236, v12, v11, 0x4030201
	s_set_vgpr_msb 1                        ;  msbs: dst=0 src0=1 src1=0 src2=0
	s_delay_alu instid0(VALU_DEP_3)
	v_pk_fma_f32 v[18:19], v[24:25] /*v[280:281]*/, v[22:23], v[18:19]
	s_set_vgpr_msb 0                        ;  msbs: dst=0 src0=0 src1=0 src2=0
	v_dot4_i32_iu8 v4, v237, v149, v4 neg_lo:[1,1,0]
	s_set_vgpr_msb 5                        ;  msbs: dst=0 src0=1 src1=1 src2=0
	v_perm_b32 v22, v14 /*v270*/, v13 /*v269*/, 0x6050403
	v_perm_b32 v23, v15 /*v271*/, v14 /*v270*/, 0x6050403
	s_set_vgpr_msb 0                        ;  msbs: dst=0 src0=0 src1=0 src2=0
	v_perm_b32 v237, v15, v14, 0x4030201
	v_pk_fma_f32 v[18:19], v[18:19], v[112:113], v[20:21] neg_lo:[0,0,1] neg_hi:[0,0,1]
	s_set_vgpr_msb 5                        ;  msbs: dst=0 src0=1 src1=1 src2=0
	v_perm_b32 v20, v12 /*v268*/, v12 /*v268*/, 0xc0c0201
	s_set_vgpr_msb 0                        ;  msbs: dst=0 src0=0 src1=0 src2=0
	v_dot4_i32_iu8 v4, v238, v146, v4 neg_lo:[1,1,0]
	s_set_vgpr_msb 5                        ;  msbs: dst=0 src0=1 src1=1 src2=0
	v_perm_b32 v21, v13 /*v269*/, v12 /*v268*/, 0x6050403
	s_set_vgpr_msb 0                        ;  msbs: dst=0 src0=0 src1=0 src2=0
	v_perm_b32 v238, v16, v15, 0x4030201
	v_pk_add_f32 v[62:63], v[62:63], v[18:19]
	s_set_vgpr_msb 1                        ;  msbs: dst=0 src0=1 src1=0 src2=0
	v_mul_i32_i24_e32 v18, v39 /*v295*/, v240
	s_set_vgpr_msb 0                        ;  msbs: dst=0 src0=0 src1=0 src2=0
	v_dot4_i32_iu8 v4, v239, v147, v4 neg_lo:[1,1,0]
	v_perm_b32 v239, v13, v12, 0x4030201
	s_delay_alu instid0(VALU_DEP_3) | instskip(SKIP_1) | instid1(VALU_DEP_3)
	v_dot4_i32_iu8 v18, v20, v232, v18 neg_lo:[1,1,0]
	s_set_vgpr_msb 1                        ;  msbs: dst=0 src0=1 src1=0 src2=0
	v_dot4_i32_iu8 v4, v8 /*v264*/, v144, v4 neg_lo:[1,1,0]
	s_set_vgpr_msb 0                        ;  msbs: dst=0 src0=0 src1=0 src2=0
	s_delay_alu instid0(VALU_DEP_2) | instskip(SKIP_1) | instid1(VALU_DEP_2)
	v_dot4_i32_iu8 v18, v21, v234, v18 neg_lo:[1,1,0]
	s_set_vgpr_msb 1                        ;  msbs: dst=0 src0=1 src1=0 src2=0
	v_dot4_i32_iu8 v4, v9 /*v265*/, v145, v4 neg_lo:[1,1,0]
	s_set_vgpr_msb 0                        ;  msbs: dst=0 src0=0 src1=0 src2=0
	s_delay_alu instid0(VALU_DEP_2) | instskip(SKIP_1) | instid1(VALU_DEP_2)
	;; [unrolled: 5-line block ×3, first 2 shown]
	v_dot4_i32_iu8 v18, v23, v230, v18 neg_lo:[1,1,0]
	s_set_vgpr_msb 1                        ;  msbs: dst=0 src0=1 src1=0 src2=0
	v_dot4_i32_iu8 v4, v11 /*v267*/, v133, v4 neg_lo:[1,1,0]
	s_set_vgpr_msb 0                        ;  msbs: dst=0 src0=0 src1=0 src2=0
	s_delay_alu instid0(VALU_DEP_2) | instskip(NEXT) | instid1(VALU_DEP_2)
	v_dot4_i32_iu8 v18, v25, v229, v18 neg_lo:[1,1,0]
	v_mul_lo_u32 v4, v4, v223
	s_set_vgpr_msb 1                        ;  msbs: dst=0 src0=1 src1=0 src2=0
	s_delay_alu instid0(VALU_DEP_2) | instskip(NEXT) | instid1(VALU_DEP_1)
	v_mad_i32_i24 v18, v40 /*v296*/, v228, v18
	v_dot4_i32_iu8 v6, v17 /*v273*/, v247, v18 neg_lo:[1,1,0]
	s_set_vgpr_msb 4                        ;  msbs: dst=0 src0=0 src1=1 src2=0
	v_pk_fma_f32 v[18:19], v[138:139], v[22:23] /*v[278:279]*/, 0 op_sel_hi:[0,1,0]
	s_delay_alu instid0(VALU_DEP_4)
	v_cvt_f32_i32_e32 v7, v4
	s_set_vgpr_msb 1                        ;  msbs: dst=0 src0=1 src1=0 src2=0
	v_dot4_i32_iu8 v27, v18 /*v274*/, v248, v6 neg_lo:[1,1,0]
	s_set_vgpr_msb 0                        ;  msbs: dst=0 src0=0 src1=0 src2=0
	v_dot4_i32_iu8 v6, v133, v9, v17 neg_lo:[1,1,0]
	v_perm_b32 v9, v5, v5, 0xc030201
	s_set_vgpr_msb 1                        ;  msbs: dst=0 src0=1 src1=0 src2=0
	v_dot4_i32_iu8 v4, v19 /*v275*/, v231, v27 neg_lo:[1,1,0]
	s_set_vgpr_msb 16                       ;  msbs: dst=0 src0=0 src1=0 src2=1
	v_mul_lo_u32 v6, v6, v223
	v_dot4_i32_iu8 v5, v9, v8, v52 /*v308*/ neg_lo:[1,1,0]
	s_set_vgpr_msb 0                        ;  msbs: dst=0 src0=0 src1=0 src2=0
	v_dot4_i32_iu8 v9, v9, v10, v26 neg_lo:[1,1,0]
	v_mul_lo_u32 v4, v4, v210
	s_delay_alu instid0(VALU_DEP_3) | instskip(NEXT) | instid1(VALU_DEP_3)
	v_mul_lo_u32 v8, v5, v210
	v_mul_lo_u32 v10, v9, v141
	v_cvt_f32_i32_e32 v6, v6
	s_delay_alu instid0(VALU_DEP_4) | instskip(SKIP_1) | instid1(VALU_DEP_2)
	v_cvt_f32_i32_e32 v5, v4
	s_set_vgpr_msb 1                        ;  msbs: dst=0 src0=1 src1=0 src2=0
	v_pk_fma_f32 v[6:7], v[20:21] /*v[276:277]*/, v[6:7], 0 op_sel_hi:[1,1,0]
	s_set_vgpr_msb 0                        ;  msbs: dst=0 src0=0 src1=0 src2=0
	v_cvt_f32_i32_e32 v4, v8
	s_set_vgpr_msb 1                        ;  msbs: dst=0 src0=1 src1=0 src2=0
	s_delay_alu instid0(VALU_DEP_1) | instskip(SKIP_3) | instid1(VALU_DEP_1)
	v_pk_fma_f32 v[4:5], v[24:25] /*v[280:281]*/, v[4:5], v[6:7]
	s_set_vgpr_msb 4                        ;  msbs: dst=0 src0=0 src1=1 src2=0
	v_pk_fma_f32 v[6:7], v[142:143], v[26:27] /*v[282:283]*/, v[18:19] op_sel_hi:[0,1,1]
	s_set_vgpr_msb 0                        ;  msbs: dst=0 src0=0 src1=0 src2=0
	v_pk_mul_f32 v[6:7], v[6:7], v[122:123]
	s_delay_alu instid0(VALU_DEP_1) | instskip(NEXT) | instid1(VALU_DEP_1)
	v_pk_fma_f32 v[4:5], v[4:5], v[114:115], v[6:7] neg_lo:[0,0,1] neg_hi:[0,0,1]
	v_pk_add_f32 v[60:61], v[60:61], v[4:5]
	s_set_vgpr_msb 1                        ;  msbs: dst=0 src0=1 src1=0 src2=0
	v_mul_i32_i24_e32 v4, v35 /*v291*/, v207
	v_mul_i32_i24_e32 v5, v39 /*v295*/, v217
	s_delay_alu instid0(VALU_DEP_2) | instskip(SKIP_1) | instid1(VALU_DEP_2)
	v_dot4_i32_iu8 v4, v36 /*v292*/, v208, v4 neg_lo:[1,1,0]
	s_set_vgpr_msb 0                        ;  msbs: dst=0 src0=0 src1=0 src2=0
	v_dot4_i32_iu8 v5, v20, v218, v5 neg_lo:[1,1,0]
	s_set_vgpr_msb 1                        ;  msbs: dst=0 src0=1 src1=0 src2=0
	s_delay_alu instid0(VALU_DEP_2) | instskip(SKIP_1) | instid1(VALU_DEP_2)
	v_dot4_i32_iu8 v4, v37 /*v293*/, v211, v4 neg_lo:[1,1,0]
	s_set_vgpr_msb 0                        ;  msbs: dst=0 src0=0 src1=0 src2=0
	v_dot4_i32_iu8 v5, v21, v0, v5 neg_lo:[1,1,0]
	s_set_vgpr_msb 1                        ;  msbs: dst=0 src0=1 src1=0 src2=0
	;; [unrolled: 5-line block ×5, first 2 shown]
	s_delay_alu instid0(VALU_DEP_2) | instskip(SKIP_1) | instid1(VALU_DEP_2)
	v_mad_i32_i24 v4, v209, v38 /*v294*/, v4
	s_set_vgpr_msb 1                        ;  msbs: dst=0 src0=1 src1=0 src2=0
	v_mad_i32_i24 v5, v40 /*v296*/, v216, v5
	s_set_vgpr_msb 4                        ;  msbs: dst=0 src0=0 src1=1 src2=0
	s_delay_alu instid0(VALU_DEP_2) | instskip(SKIP_1) | instid1(VALU_DEP_2)
	v_dot4_i32_iu8 v4, v233, v9 /*v265*/, v4 neg_lo:[1,1,0]
	s_set_vgpr_msb 1                        ;  msbs: dst=0 src0=1 src1=0 src2=0
	v_dot4_i32_iu8 v5, v17 /*v273*/, v237, v5 neg_lo:[1,1,0]
	s_set_vgpr_msb 4                        ;  msbs: dst=0 src0=0 src1=1 src2=0
	s_delay_alu instid0(VALU_DEP_2) | instskip(SKIP_1) | instid1(VALU_DEP_2)
	v_dot4_i32_iu8 v4, v236, v10 /*v266*/, v4 neg_lo:[1,1,0]
	s_set_vgpr_msb 1                        ;  msbs: dst=0 src0=1 src1=0 src2=0
	v_dot4_i32_iu8 v8, v18 /*v274*/, v238, v5 neg_lo:[1,1,0]
	s_set_vgpr_msb 0                        ;  msbs: dst=0 src0=0 src1=0 src2=0
	v_perm_b32 v5, v13, v12, 0xc040302
	s_set_vgpr_msb 1                        ;  msbs: dst=0 src0=1 src1=0 src2=0
	v_dot4_i32_iu8 v4, v11 /*v267*/, v239, v4 neg_lo:[1,1,0]
	v_dot4_i32_iu8 v8, v19 /*v275*/, v219, v8 neg_lo:[1,1,0]
	s_set_vgpr_msb 4                        ;  msbs: dst=0 src0=0 src1=1 src2=0
	v_dot4_i32_iu8 v5, v5, v44 /*v300*/, v24 neg_lo:[1,1,0]
	s_set_vgpr_msb 0                        ;  msbs: dst=0 src0=0 src1=0 src2=0
	v_mul_lo_u32 v4, v4, v214
	v_mul_lo_u32 v8, v8, v141
	s_delay_alu instid0(VALU_DEP_3) | instskip(NEXT) | instid1(VALU_DEP_3)
	v_mul_lo_u32 v6, v5, v214
	v_cvt_f32_i32_e32 v5, v4
	s_delay_alu instid0(VALU_DEP_3) | instskip(NEXT) | instid1(VALU_DEP_3)
	v_cvt_f32_i32_e32 v9, v8
	v_cvt_f32_i32_e32 v4, v6
	s_set_vgpr_msb 4                        ;  msbs: dst=0 src0=0 src1=1 src2=0
	v_pk_fma_f32 v[6:7], v[128:129], v[22:23] /*v[278:279]*/, 0 op_sel_hi:[0,1,0]
	v_cvt_f32_i32_e32 v8, v10
	s_set_vgpr_msb 1                        ;  msbs: dst=0 src0=1 src1=0 src2=0
	v_pk_fma_f32 v[4:5], v[20:21] /*v[276:277]*/, v[4:5], 0 op_sel_hi:[1,1,0]
	s_set_vgpr_msb 4                        ;  msbs: dst=0 src0=0 src1=1 src2=0
	v_pk_fma_f32 v[6:7], v[126:127], v[26:27] /*v[282:283]*/, v[6:7] op_sel_hi:[0,1,1]
	s_set_vgpr_msb 1                        ;  msbs: dst=0 src0=1 src1=0 src2=0
	s_delay_alu instid0(VALU_DEP_2) | instskip(SKIP_1) | instid1(VALU_DEP_2)
	v_pk_fma_f32 v[4:5], v[24:25] /*v[280:281]*/, v[8:9], v[4:5]
	s_set_vgpr_msb 0                        ;  msbs: dst=0 src0=0 src1=0 src2=0
	v_pk_mul_f32 v[6:7], v[6:7], v[124:125]
	s_delay_alu instid0(VALU_DEP_1) | instskip(NEXT) | instid1(VALU_DEP_1)
	v_pk_fma_f32 v[4:5], v[4:5], v[116:117], v[6:7] neg_lo:[0,0,1] neg_hi:[0,0,1]
	v_pk_add_f32 v[52:53], v[52:53], v[4:5]
	v_or_b32_e32 v4, s13, v161
	s_delay_alu instid0(VALU_DEP_1)
	v_lshlrev_b32_e32 v16, 2, v4
	s_set_vgpr_msb 64                       ;  msbs: dst=1 src0=0 src1=0 src2=0
	v_lshrrev_b32_e32 v7 /*v263*/, 1, v4
	s_set_vgpr_msb 0                        ;  msbs: dst=0 src0=0 src1=0 src2=0
	ds_load_b128 v[4:7], v16 offset:33280
	ds_load_b128 v[8:11], v16 offset:33296
	;; [unrolled: 1-line block ×4, first 2 shown]
	s_wait_dscnt 0x3
	v_bfe_i32 v20, v4, 0, 8
	v_perm_b32 v25, v4, v4, 0xc0c0201
	v_perm_b32 v26, v5, v4, 0x6050403
	;; [unrolled: 1-line block ×3, first 2 shown]
	s_set_vgpr_msb 64                       ;  msbs: dst=1 src0=0 src1=0 src2=0
	v_perm_b32 v8 /*v264*/, v7, v6, 0x6050403
	s_set_vgpr_msb 0                        ;  msbs: dst=0 src0=0 src1=0 src2=0
	v_mul_i32_i24_e32 v24, v20, v250
	s_wait_dscnt 0x2
	s_set_vgpr_msb 64                       ;  msbs: dst=1 src0=0 src1=0 src2=0
	v_perm_b32 v9 /*v265*/, v8, v7, 0x6050403
	s_set_vgpr_msb 0                        ;  msbs: dst=0 src0=0 src1=0 src2=0
	v_ashrrev_i32_e32 v21, 24, v8
	v_dot4_i32_iu8 v4, v4, v148, 0 neg_lo:[1,1,0]
	s_wait_dscnt 0x1
	v_bfe_i32 v22, v12, 0, 8
	v_dot4_i32_iu8 v24, v25, v251, v24 neg_lo:[1,1,0]
	s_wait_dscnt 0x0
	v_ashrrev_i32_e32 v23, 24, v16
	v_dot4_i32_iu8 v4, v5, v149, v4 neg_lo:[1,1,0]
	v_perm_b32 v5, v12, v12, 0xc0c0201
	v_dot4_i32_iu8 v24, v26, v252, v24 neg_lo:[1,1,0]
	s_delay_alu instid0(VALU_DEP_3) | instskip(SKIP_1) | instid1(VALU_DEP_3)
	v_dot4_i32_iu8 v4, v6, v146, v4 neg_lo:[1,1,0]
	v_perm_b32 v6, v13, v12, 0x6050403
	v_dot4_i32_iu8 v24, v27, v253, v24 neg_lo:[1,1,0]
	s_delay_alu instid0(VALU_DEP_3) | instskip(SKIP_2) | instid1(VALU_DEP_3)
	v_dot4_i32_iu8 v4, v7, v147, v4 neg_lo:[1,1,0]
	v_perm_b32 v7, v14, v13, 0x6050403
	s_set_vgpr_msb 1                        ;  msbs: dst=0 src0=1 src1=0 src2=0
	v_dot4_i32_iu8 v24, v8 /*v264*/, v254, v24 neg_lo:[1,1,0]
	s_set_vgpr_msb 0                        ;  msbs: dst=0 src0=0 src1=0 src2=0
	v_dot4_i32_iu8 v4, v8, v144, v4 neg_lo:[1,1,0]
	v_perm_b32 v8, v15, v14, 0x6050403
	s_set_vgpr_msb 1                        ;  msbs: dst=0 src0=1 src1=0 src2=0
	v_dot4_i32_iu8 v24, v9 /*v265*/, v255, v24 neg_lo:[1,1,0]
	s_set_vgpr_msb 0                        ;  msbs: dst=0 src0=0 src1=0 src2=0
	v_dot4_i32_iu8 v4, v9, v145, v4 neg_lo:[1,1,0]
	s_delay_alu instid0(VALU_DEP_2) | instskip(SKIP_1) | instid1(VALU_DEP_2)
	v_mad_i32_i24 v24, v249, v21, v24
	s_set_vgpr_msb 64                       ;  msbs: dst=1 src0=0 src1=0 src2=0
	v_dot4_i32_iu8 v20 /*v276*/, v10, v132, v4 neg_lo:[1,1,0]
	s_set_vgpr_msb 0                        ;  msbs: dst=0 src0=0 src1=0 src2=0
	v_mul_i32_i24_e32 v4, v22, v240
	s_set_vgpr_msb 1                        ;  msbs: dst=0 src0=1 src1=0 src2=0
	v_dot4_i32_iu8 v24, v5 /*v261*/, v9, v24 neg_lo:[1,1,0]
	s_set_vgpr_msb 0                        ;  msbs: dst=0 src0=0 src1=0 src2=0
	s_delay_alu instid0(VALU_DEP_2) | instskip(SKIP_1) | instid1(VALU_DEP_2)
	v_dot4_i32_iu8 v4, v5, v232, v4 neg_lo:[1,1,0]
	s_set_vgpr_msb 0x41                     ;  msbs: dst=1 src0=1 src1=0 src2=0
	v_dot4_i32_iu8 v14 /*v270*/, v6 /*v262*/, v10, v24 neg_lo:[1,1,0]
	s_set_vgpr_msb 0                        ;  msbs: dst=0 src0=0 src1=0 src2=0
	v_dot4_i32_iu8 v24, v152, v12, 0 neg_lo:[1,1,0]
	v_dot4_i32_iu8 v4, v6, v234, v4 neg_lo:[1,1,0]
	s_delay_alu instid0(VALU_DEP_2) | instskip(NEXT) | instid1(VALU_DEP_2)
	v_dot4_i32_iu8 v24, v153, v13, v24 neg_lo:[1,1,0]
	v_dot4_i32_iu8 v4, v7, v235, v4 neg_lo:[1,1,0]
	s_delay_alu instid0(VALU_DEP_2) | instskip(NEXT) | instid1(VALU_DEP_2)
	v_dot4_i32_iu8 v24, v154, v14, v24 neg_lo:[1,1,0]
	v_dot4_i32_iu8 v4, v8, v230, v4 neg_lo:[1,1,0]
	s_delay_alu instid0(VALU_DEP_2) | instskip(NEXT) | instid1(VALU_DEP_1)
	v_dot4_i32_iu8 v24, v155, v15, v24 neg_lo:[1,1,0]
	v_dot4_i32_iu8 v24, v156, v16, v24 neg_lo:[1,1,0]
	s_delay_alu instid0(VALU_DEP_1) | instskip(SKIP_1) | instid1(VALU_DEP_1)
	v_dot4_i32_iu8 v24, v157, v17, v24 neg_lo:[1,1,0]
	s_set_vgpr_msb 64                       ;  msbs: dst=1 src0=0 src1=0 src2=0
	v_dot4_i32_iu8 v16 /*v272*/, v134, v18, v24 neg_lo:[1,1,0]
	s_set_vgpr_msb 0                        ;  msbs: dst=0 src0=0 src1=0 src2=0
	v_mul_i32_i24_e32 v24, v20, v220
	s_set_vgpr_msb 0x50                     ;  msbs: dst=1 src0=0 src1=0 src2=1
	s_delay_alu instid0(VALU_DEP_2) | instskip(SKIP_1) | instid1(VALU_DEP_2)
	v_dot4_i32_iu8 v16 /*v272*/, v19, v135, v16 /*v272*/ neg_lo:[1,1,0]
	s_set_vgpr_msb 0                        ;  msbs: dst=0 src0=0 src1=0 src2=0
	v_dot4_i32_iu8 v24, v25, v221, v24 neg_lo:[1,1,0]
	s_set_vgpr_msb 0x41                     ;  msbs: dst=1 src0=1 src1=0 src2=0
	s_delay_alu instid0(VALU_DEP_2) | instskip(SKIP_1) | instid1(VALU_DEP_2)
	v_mul_lo_u32 v16 /*v272*/, v16 /*v272*/, v151
	s_set_vgpr_msb 0                        ;  msbs: dst=0 src0=0 src1=0 src2=0
	v_dot4_i32_iu8 v24, v26, v224, v24 neg_lo:[1,1,0]
	s_delay_alu instid0(VALU_DEP_1) | instskip(SKIP_1) | instid1(VALU_DEP_1)
	v_dot4_i32_iu8 v24, v27, v225, v24 neg_lo:[1,1,0]
	s_set_vgpr_msb 1                        ;  msbs: dst=0 src0=1 src1=0 src2=0
	v_dot4_i32_iu8 v24, v8 /*v264*/, v226, v24 neg_lo:[1,1,0]
	s_set_vgpr_msb 0x41                     ;  msbs: dst=1 src0=1 src1=0 src2=0
	s_delay_alu instid0(VALU_DEP_4) | instskip(SKIP_1) | instid1(VALU_DEP_2)
	v_cvt_f32_i32_e32 v16 /*v272*/, v16 /*v272*/
	s_set_vgpr_msb 1                        ;  msbs: dst=0 src0=1 src1=0 src2=0
	v_dot4_i32_iu8 v24, v9 /*v265*/, v227, v24 neg_lo:[1,1,0]
	s_set_vgpr_msb 0                        ;  msbs: dst=0 src0=0 src1=0 src2=0
	s_delay_alu instid0(VALU_DEP_1) | instskip(SKIP_1) | instid1(VALU_DEP_1)
	v_mad_i32_i24 v24, v222, v21, v24
	s_set_vgpr_msb 1                        ;  msbs: dst=0 src0=1 src1=0 src2=0
	v_dot4_i32_iu8 v24, v3 /*v259*/, v9, v24 neg_lo:[1,1,0]
	s_set_vgpr_msb 0x41                     ;  msbs: dst=1 src0=1 src1=0 src2=0
	s_delay_alu instid0(VALU_DEP_1) | instskip(SKIP_3) | instid1(VALU_DEP_2)
	v_dot4_i32_iu8 v18 /*v274*/, v4 /*v260*/, v10, v24 neg_lo:[1,1,0]
	s_set_vgpr_msb 0                        ;  msbs: dst=0 src0=0 src1=0 src2=0
	v_dot4_i32_iu8 v24, v12, v205, 0 neg_lo:[1,1,0]
	v_perm_b32 v12, v16, v15, 0x6050403
	v_dot4_i32_iu8 v24, v13, v206, v24 neg_lo:[1,1,0]
	s_delay_alu instid0(VALU_DEP_2) | instskip(NEXT) | instid1(VALU_DEP_2)
	v_dot4_i32_iu8 v4, v12, v229, v4 neg_lo:[1,1,0]
	v_dot4_i32_iu8 v24, v14, v242, v24 neg_lo:[1,1,0]
	s_delay_alu instid0(VALU_DEP_2) | instskip(NEXT) | instid1(VALU_DEP_2)
	v_mad_i32_i24 v4, v228, v23, v4
	v_dot4_i32_iu8 v24, v15, v243, v24 neg_lo:[1,1,0]
	s_delay_alu instid0(VALU_DEP_2) | instskip(NEXT) | instid1(VALU_DEP_2)
	v_dot4_i32_iu8 v4, v247, v17, v4 neg_lo:[1,1,0]
	v_dot4_i32_iu8 v24, v16, v244, v24 neg_lo:[1,1,0]
	s_set_vgpr_msb 64                       ;  msbs: dst=1 src0=0 src1=0 src2=0
	s_delay_alu instid0(VALU_DEP_2) | instskip(SKIP_3) | instid1(VALU_DEP_2)
	v_dot4_i32_iu8 v21 /*v277*/, v248, v18, v4 neg_lo:[1,1,0]
	s_set_vgpr_msb 0                        ;  msbs: dst=0 src0=0 src1=0 src2=0
	v_mul_i32_i24_e32 v4, v20, v207
	v_dot4_i32_iu8 v24, v17, v245, v24 neg_lo:[1,1,0]
	v_dot4_i32_iu8 v4, v25, v208, v4 neg_lo:[1,1,0]
	s_set_vgpr_msb 64                       ;  msbs: dst=1 src0=0 src1=0 src2=0
	s_delay_alu instid0(VALU_DEP_2) | instskip(SKIP_1) | instid1(VALU_DEP_2)
	v_dot4_i32_iu8 v19 /*v275*/, v18, v246, v24 neg_lo:[1,1,0]
	s_set_vgpr_msb 0                        ;  msbs: dst=0 src0=0 src1=0 src2=0
	v_dot4_i32_iu8 v4, v26, v211, v4 neg_lo:[1,1,0]
	s_delay_alu instid0(VALU_DEP_1) | instskip(SKIP_1) | instid1(VALU_DEP_1)
	v_dot4_i32_iu8 v4, v27, v212, v4 neg_lo:[1,1,0]
	s_set_vgpr_msb 1                        ;  msbs: dst=0 src0=1 src1=0 src2=0
	v_dot4_i32_iu8 v4, v8 /*v264*/, v213, v4 neg_lo:[1,1,0]
	s_delay_alu instid0(VALU_DEP_1) | instskip(SKIP_1) | instid1(VALU_DEP_1)
	v_dot4_i32_iu8 v4, v9 /*v265*/, v215, v4 neg_lo:[1,1,0]
	s_set_vgpr_msb 0                        ;  msbs: dst=0 src0=0 src1=0 src2=0
	v_mad_i32_i24 v4, v209, v21, v4
	s_delay_alu instid0(VALU_DEP_1) | instskip(NEXT) | instid1(VALU_DEP_1)
	v_dot4_i32_iu8 v4, v233, v9, v4 neg_lo:[1,1,0]
	v_dot4_i32_iu8 v10, v236, v10, v4 neg_lo:[1,1,0]
	v_mul_i32_i24_e32 v4, v22, v217
	s_delay_alu instid0(VALU_DEP_1) | instskip(NEXT) | instid1(VALU_DEP_1)
	v_dot4_i32_iu8 v4, v5, v218, v4 neg_lo:[1,1,0]
	v_dot4_i32_iu8 v4, v6, v0, v4 neg_lo:[1,1,0]
	s_delay_alu instid0(VALU_DEP_1) | instskip(NEXT) | instid1(VALU_DEP_1)
	v_dot4_i32_iu8 v4, v7, v1, v4 neg_lo:[1,1,0]
	v_dot4_i32_iu8 v4, v8, v2, v4 neg_lo:[1,1,0]
	s_delay_alu instid0(VALU_DEP_1) | instskip(NEXT) | instid1(VALU_DEP_1)
	v_dot4_i32_iu8 v4, v12, v3, v4 neg_lo:[1,1,0]
	v_mad_i32_i24 v4, v216, v23, v4
	s_delay_alu instid0(VALU_DEP_1) | instskip(NEXT) | instid1(VALU_DEP_1)
	v_dot4_i32_iu8 v4, v237, v17, v4 neg_lo:[1,1,0]
	v_dot4_i32_iu8 v18, v238, v18, v4 neg_lo:[1,1,0]
	v_or_b32_e32 v4, s13, v162
	s_delay_alu instid0(VALU_DEP_1)
	v_dual_lshlrev_b32 v8, 2, v4 :: v_dual_lshrrev_b32 v16, 1, v4
	ds_load_b128 v[4:7], v8 offset:33280
	ds_load_b128 v[12:15], v8 offset:33296
	;; [unrolled: 1-line block ×4, first 2 shown]
	ds_load_b64 v[16:17], v16 offset:43584
	s_wait_dscnt 0x4
	s_set_vgpr_msb 64                       ;  msbs: dst=1 src0=0 src1=0 src2=0
	v_bfe_i32 v22 /*v278*/, v4, 0, 8
	v_perm_b32 v26 /*v282*/, v4, v4, 0xc0c0201
	v_perm_b32 v27 /*v283*/, v5, v4, 0x6050403
	;; [unrolled: 1-line block ×4, first 2 shown]
	s_set_vgpr_msb 1                        ;  msbs: dst=0 src0=1 src1=0 src2=0
	v_mul_i32_i24_e32 v8, v22 /*v278*/, v250
	s_wait_dscnt 0x3
	s_set_vgpr_msb 64                       ;  msbs: dst=1 src0=0 src1=0 src2=0
	v_perm_b32 v30 /*v286*/, v12, v7, 0x6050403
	v_ashrrev_i32_e32 v23 /*v279*/, 24, v12
	s_wait_dscnt 0x0
	v_cvt_f32_f16_e64 v9 /*v265*/, v16
	v_cvt_f32_f16_e64 v13 /*v269*/, v17
	s_set_vgpr_msb 1                        ;  msbs: dst=0 src0=1 src1=0 src2=0
	v_dot4_i32_iu8 v8, v26 /*v282*/, v251, v8 neg_lo:[1,1,0]
	s_set_vgpr_msb 0                        ;  msbs: dst=0 src0=0 src1=0 src2=0
	v_dot4_i32_iu8 v4, v4, v148, 0 neg_lo:[1,1,0]
	s_set_vgpr_msb 64                       ;  msbs: dst=1 src0=0 src1=0 src2=0
	v_bfe_i32 v24 /*v280*/, v20, 0, 8
	v_ashrrev_i32_e32 v25 /*v281*/, 24, v24
	s_set_vgpr_msb 1                        ;  msbs: dst=0 src0=1 src1=0 src2=0
	v_dot4_i32_iu8 v8, v27 /*v283*/, v252, v8 neg_lo:[1,1,0]
	s_set_vgpr_msb 0                        ;  msbs: dst=0 src0=0 src1=0 src2=0
	v_dot4_i32_iu8 v4, v5, v149, v4 neg_lo:[1,1,0]
	s_set_vgpr_msb 1                        ;  msbs: dst=0 src0=1 src1=0 src2=0
	v_mul_i32_i24_e32 v5, v24 /*v280*/, v240
	v_dot4_i32_iu8 v8, v28 /*v284*/, v253, v8 neg_lo:[1,1,0]
	s_set_vgpr_msb 0                        ;  msbs: dst=0 src0=0 src1=0 src2=0
	v_dot4_i32_iu8 v4, v6, v146, v4 neg_lo:[1,1,0]
	s_set_vgpr_msb 1                        ;  msbs: dst=0 src0=1 src1=0 src2=0
	s_delay_alu instid0(VALU_DEP_2) | instskip(SKIP_1) | instid1(VALU_DEP_2)
	v_dot4_i32_iu8 v8, v29 /*v285*/, v254, v8 neg_lo:[1,1,0]
	s_set_vgpr_msb 0                        ;  msbs: dst=0 src0=0 src1=0 src2=0
	v_dot4_i32_iu8 v4, v7, v147, v4 neg_lo:[1,1,0]
	s_set_vgpr_msb 1                        ;  msbs: dst=0 src0=1 src1=0 src2=0
	s_delay_alu instid0(VALU_DEP_2) | instskip(SKIP_1) | instid1(VALU_DEP_2)
	v_dot4_i32_iu8 v8, v30 /*v286*/, v255, v8 neg_lo:[1,1,0]
	s_set_vgpr_msb 0                        ;  msbs: dst=0 src0=0 src1=0 src2=0
	v_dot4_i32_iu8 v4, v12, v144, v4 neg_lo:[1,1,0]
	v_perm_b32 v12, v20, v20, 0xc0c0201
	s_set_vgpr_msb 4                        ;  msbs: dst=0 src0=0 src1=1 src2=0
	v_mad_i32_i24 v8, v249, v23 /*v279*/, v8
	s_set_vgpr_msb 0                        ;  msbs: dst=0 src0=0 src1=0 src2=0
	v_dot4_i32_iu8 v4, v13, v145, v4 neg_lo:[1,1,0]
	v_dot4_i32_iu8 v5, v12, v232, v5 neg_lo:[1,1,0]
	s_set_vgpr_msb 1                        ;  msbs: dst=0 src0=1 src1=0 src2=0
	v_dot4_i32_iu8 v8, v5 /*v261*/, v13, v8 neg_lo:[1,1,0]
	s_set_vgpr_msb 0                        ;  msbs: dst=0 src0=0 src1=0 src2=0
	v_dot4_i32_iu8 v4, v14, v132, v4 neg_lo:[1,1,0]
	s_set_vgpr_msb 0x41                     ;  msbs: dst=1 src0=1 src1=0 src2=0
	s_delay_alu instid0(VALU_DEP_2) | instskip(SKIP_3) | instid1(VALU_DEP_2)
	v_dot4_i32_iu8 v15 /*v271*/, v6 /*v262*/, v14, v8 neg_lo:[1,1,0]
	s_set_vgpr_msb 0                        ;  msbs: dst=0 src0=0 src1=0 src2=0
	v_dot4_i32_iu8 v8, v152, v20, 0 neg_lo:[1,1,0]
	v_dot4_i32_iu8 v4, v15, v133, v4 neg_lo:[1,1,0]
	;; [unrolled: 1-line block ×3, first 2 shown]
	s_delay_alu instid0(VALU_DEP_2) | instskip(NEXT) | instid1(VALU_DEP_2)
	v_mul_lo_u32 v4, v4, v223
	v_dot4_i32_iu8 v8, v154, v22, v8 neg_lo:[1,1,0]
	s_delay_alu instid0(VALU_DEP_1) | instskip(NEXT) | instid1(VALU_DEP_1)
	v_dot4_i32_iu8 v8, v155, v23, v8 neg_lo:[1,1,0]
	v_dot4_i32_iu8 v8, v156, v24, v8 neg_lo:[1,1,0]
	s_delay_alu instid0(VALU_DEP_1) | instskip(SKIP_1) | instid1(VALU_DEP_1)
	v_dot4_i32_iu8 v8, v157, v25, v8 neg_lo:[1,1,0]
	s_set_vgpr_msb 64                       ;  msbs: dst=1 src0=0 src1=0 src2=0
	v_dot4_i32_iu8 v17 /*v273*/, v134, v26, v8 neg_lo:[1,1,0]
	s_set_vgpr_msb 1                        ;  msbs: dst=0 src0=1 src1=0 src2=0
	ds_load_b64 v[8:9], v7 /*v263*/ offset:43584
	s_wait_dscnt 0x0
	s_set_vgpr_msb 64                       ;  msbs: dst=1 src0=0 src1=0 src2=0
	v_lshrrev_b32_e32 v7 /*v263*/, 16, v8
	v_cvt_f32_f16_e64 v8 /*v264*/, v8
	s_set_vgpr_msb 0                        ;  msbs: dst=0 src0=0 src1=0 src2=0
	v_lshrrev_b32_e32 v8, 16, v16
	s_set_vgpr_msb 64                       ;  msbs: dst=1 src0=0 src1=0 src2=0
	v_cvt_f32_f16_e64 v12 /*v268*/, v9
	s_set_vgpr_msb 20                       ;  msbs: dst=0 src0=0 src1=1 src2=1
	v_dot4_i32_iu8 v16, v15, v0 /*v256*/, v15 /*v271*/ neg_lo:[1,1,0]
	s_set_vgpr_msb 0x41                     ;  msbs: dst=1 src0=1 src1=0 src2=0
	v_cvt_f32_f16_e64 v10 /*v266*/, v7 /*v263*/
	s_set_vgpr_msb 64                       ;  msbs: dst=1 src0=0 src1=0 src2=0
	v_cvt_f32_f16_e64 v11 /*v267*/, v8
	s_set_vgpr_msb 0                        ;  msbs: dst=0 src0=0 src1=0 src2=0
	v_lshrrev_b32_e32 v8, 16, v9
	v_lshrrev_b32_e32 v9, 16, v17
	s_set_vgpr_msb 20                       ;  msbs: dst=0 src0=0 src1=1 src2=1
	v_dot4_i32_iu8 v17, v11, v0 /*v256*/, v14 /*v270*/ neg_lo:[1,1,0]
	s_set_vgpr_msb 0                        ;  msbs: dst=0 src0=0 src1=0 src2=0
	v_mul_lo_u32 v16, v16, v203
	s_set_vgpr_msb 0x44                     ;  msbs: dst=1 src0=0 src1=1 src2=0
	v_pk_fma_f32 v[14:15] /*v[270:271]*/, v[136:137], v[10:11] /*v[266:267]*/, 0 op_sel_hi:[0,1,0]
	s_set_vgpr_msb 0                        ;  msbs: dst=0 src0=0 src1=0 src2=0
	v_cvt_f32_f16_e32 v8, v8
	v_cvt_f32_f16_e32 v9, v9
	s_set_vgpr_msb 0x50                     ;  msbs: dst=1 src0=0 src1=0 src2=1
	v_mul_lo_u32 v7 /*v263*/, v17, v203
	s_delay_alu instid0(VALU_DEP_2) | instskip(SKIP_3) | instid1(VALU_DEP_2)
	v_pk_fma_f32 v[14:15] /*v[270:271]*/, v[130:131], v[8:9], v[14:15] /*v[270:271]*/ op_sel_hi:[0,1,1]
	s_set_vgpr_msb 0                        ;  msbs: dst=0 src0=0 src1=0 src2=0
	v_cvt_f32_i32_e32 v17, v16
	s_set_vgpr_msb 0x41                     ;  msbs: dst=1 src0=1 src1=0 src2=0
	v_pk_mul_f32 v[14:15] /*v[270:271]*/, v[14:15] /*v[270:271]*/, v[118:119]
	s_set_vgpr_msb 1                        ;  msbs: dst=0 src0=1 src1=0 src2=0
	s_delay_alu instid0(VALU_DEP_4) | instskip(SKIP_3) | instid1(VALU_DEP_2)
	v_cvt_f32_i32_e32 v16, v7 /*v263*/
	s_set_vgpr_msb 0x50                     ;  msbs: dst=1 src0=0 src1=0 src2=1
	v_dot4_i32_iu8 v7 /*v263*/, v27, v135, v17 /*v273*/ neg_lo:[1,1,0]
	s_set_vgpr_msb 1                        ;  msbs: dst=0 src0=1 src1=0 src2=0
	v_pk_fma_f32 v[16:17], v[8:9] /*v[264:265]*/, v[16:17], 0 op_sel_hi:[1,1,0]
	s_set_vgpr_msb 0x41                     ;  msbs: dst=1 src0=1 src1=0 src2=0
	s_delay_alu instid0(VALU_DEP_2) | instskip(NEXT) | instid1(VALU_DEP_1)
	v_mul_lo_u32 v7 /*v263*/, v7 /*v263*/, v151
	v_cvt_f32_i32_e32 v17 /*v273*/, v7 /*v263*/
	s_set_vgpr_msb 5                        ;  msbs: dst=0 src0=1 src1=1 src2=0
	s_delay_alu instid0(VALU_DEP_1) | instskip(SKIP_3) | instid1(VALU_DEP_2)
	v_pk_fma_f32 v[16:17], v[12:13] /*v[268:269]*/, v[16:17] /*v[272:273]*/, v[16:17]
	s_set_vgpr_msb 0x54                     ;  msbs: dst=1 src0=0 src1=1 src2=1
	v_dot4_i32_iu8 v16 /*v272*/, v19, v2 /*v258*/, v19 /*v275*/ neg_lo:[1,1,0]
	s_set_vgpr_msb 16                       ;  msbs: dst=0 src0=0 src1=0 src2=1
	v_pk_fma_f32 v[16:17], v[16:17], v[110:111], v[14:15] /*v[270:271]*/ neg_lo:[0,0,1] neg_hi:[0,0,1]
	s_set_vgpr_msb 0x41                     ;  msbs: dst=1 src0=1 src1=0 src2=0
	s_delay_alu instid0(VALU_DEP_2) | instskip(SKIP_1) | instid1(VALU_DEP_2)
	v_mul_lo_u32 v16 /*v272*/, v16 /*v272*/, v241
	s_set_vgpr_msb 0                        ;  msbs: dst=0 src0=0 src1=0 src2=0
	v_pk_add_f32 v[50:51], v[50:51], v[16:17]
	s_set_vgpr_msb 1                        ;  msbs: dst=0 src0=1 src1=0 src2=0
	v_mul_i32_i24_e32 v16, v22 /*v278*/, v220
	s_set_vgpr_msb 0                        ;  msbs: dst=0 src0=0 src1=0 src2=0
	v_dot4_i32_iu8 v17, v20, v205, 0 neg_lo:[1,1,0]
	v_perm_b32 v20, v21, v20, 0x6050403
	s_set_vgpr_msb 1                        ;  msbs: dst=0 src0=1 src1=0 src2=0
	v_dot4_i32_iu8 v16, v26 /*v282*/, v221, v16 neg_lo:[1,1,0]
	s_set_vgpr_msb 0                        ;  msbs: dst=0 src0=0 src1=0 src2=0
	v_dot4_i32_iu8 v17, v21, v206, v17 neg_lo:[1,1,0]
	v_dot4_i32_iu8 v5, v20, v234, v5 neg_lo:[1,1,0]
	v_perm_b32 v21, v22, v21, 0x6050403
	s_set_vgpr_msb 0x41                     ;  msbs: dst=1 src0=1 src1=0 src2=0
	v_cvt_f32_i32_e32 v16 /*v272*/, v16 /*v272*/
	s_set_vgpr_msb 1                        ;  msbs: dst=0 src0=1 src1=0 src2=0
	v_dot4_i32_iu8 v16, v27 /*v283*/, v224, v16 neg_lo:[1,1,0]
	s_set_vgpr_msb 0                        ;  msbs: dst=0 src0=0 src1=0 src2=0
	v_dot4_i32_iu8 v17, v22, v242, v17 neg_lo:[1,1,0]
	v_perm_b32 v22, v23, v22, 0x6050403
	v_dot4_i32_iu8 v5, v21, v235, v5 neg_lo:[1,1,0]
	s_set_vgpr_msb 1                        ;  msbs: dst=0 src0=1 src1=0 src2=0
	v_dot4_i32_iu8 v16, v28 /*v284*/, v225, v16 neg_lo:[1,1,0]
	s_set_vgpr_msb 0                        ;  msbs: dst=0 src0=0 src1=0 src2=0
	v_dot4_i32_iu8 v17, v23, v243, v17 neg_lo:[1,1,0]
	v_perm_b32 v23, v24, v23, 0x6050403
	v_dot4_i32_iu8 v5, v22, v230, v5 neg_lo:[1,1,0]
	s_set_vgpr_msb 1                        ;  msbs: dst=0 src0=1 src1=0 src2=0
	v_dot4_i32_iu8 v16, v29 /*v285*/, v226, v16 neg_lo:[1,1,0]
	s_set_vgpr_msb 0                        ;  msbs: dst=0 src0=0 src1=0 src2=0
	v_dot4_i32_iu8 v17, v24, v244, v17 neg_lo:[1,1,0]
	v_dot4_i32_iu8 v5, v23, v229, v5 neg_lo:[1,1,0]
	s_set_vgpr_msb 1                        ;  msbs: dst=0 src0=1 src1=0 src2=0
	v_dot4_i32_iu8 v16, v30 /*v286*/, v227, v16 neg_lo:[1,1,0]
	s_set_vgpr_msb 0                        ;  msbs: dst=0 src0=0 src1=0 src2=0
	v_dot4_i32_iu8 v17, v25, v245, v17 neg_lo:[1,1,0]
	s_set_vgpr_msb 4                        ;  msbs: dst=0 src0=0 src1=1 src2=0
	v_mad_i32_i24 v5, v228, v25 /*v281*/, v5
	v_mad_i32_i24 v16, v222, v23 /*v279*/, v16
	s_set_vgpr_msb 64                       ;  msbs: dst=1 src0=0 src1=0 src2=0
	v_dot4_i32_iu8 v7 /*v263*/, v26, v246, v17 neg_lo:[1,1,0]
	s_set_vgpr_msb 20                       ;  msbs: dst=0 src0=0 src1=1 src2=1
	v_dot4_i32_iu8 v17, v11, v1 /*v257*/, v18 /*v274*/ neg_lo:[1,1,0]
	s_set_vgpr_msb 0                        ;  msbs: dst=0 src0=0 src1=0 src2=0
	v_dot4_i32_iu8 v5, v247, v25, v5 neg_lo:[1,1,0]
	s_set_vgpr_msb 1                        ;  msbs: dst=0 src0=1 src1=0 src2=0
	v_dot4_i32_iu8 v16, v3 /*v259*/, v13, v16 neg_lo:[1,1,0]
	s_set_vgpr_msb 0x54                     ;  msbs: dst=1 src0=0 src1=1 src2=1
	v_dot4_i32_iu8 v7 /*v263*/, v27, v2 /*v258*/, v7 /*v263*/ neg_lo:[1,1,0]
	s_set_vgpr_msb 64                       ;  msbs: dst=1 src0=0 src1=0 src2=0
	v_mul_lo_u32 v14 /*v270*/, v17, v204
	s_set_vgpr_msb 1                        ;  msbs: dst=0 src0=1 src1=0 src2=0
	v_dot4_i32_iu8 v16, v4 /*v260*/, v14, v16 neg_lo:[1,1,0]
	s_set_vgpr_msb 0x41                     ;  msbs: dst=1 src0=1 src1=0 src2=0
	v_mul_lo_u32 v7 /*v263*/, v7 /*v263*/, v241
	s_set_vgpr_msb 4                        ;  msbs: dst=0 src0=0 src1=1 src2=0
	s_delay_alu instid0(VALU_DEP_2) | instskip(SKIP_1) | instid1(VALU_DEP_1)
	v_dot4_i32_iu8 v16, v15, v1 /*v257*/, v16 neg_lo:[1,1,0]
	s_set_vgpr_msb 0                        ;  msbs: dst=0 src0=0 src1=0 src2=0
	v_mul_lo_u32 v16, v16, v204
	s_set_vgpr_msb 0x41                     ;  msbs: dst=1 src0=1 src1=0 src2=0
	s_delay_alu instid0(VALU_DEP_3) | instskip(SKIP_1) | instid1(VALU_DEP_2)
	v_cvt_f32_i32_e32 v17 /*v273*/, v7 /*v263*/
	s_set_vgpr_msb 0                        ;  msbs: dst=0 src0=0 src1=0 src2=0
	v_cvt_f32_i32_e32 v17, v16
	s_set_vgpr_msb 1                        ;  msbs: dst=0 src0=1 src1=0 src2=0
	v_cvt_f32_i32_e32 v16, v14 /*v270*/
	s_set_vgpr_msb 0x44                     ;  msbs: dst=1 src0=0 src1=1 src2=0
	v_pk_fma_f32 v[14:15] /*v[270:271]*/, v[140:141], v[10:11] /*v[266:267]*/, 0 op_sel_hi:[0,1,0]
	s_set_vgpr_msb 1                        ;  msbs: dst=0 src0=1 src1=0 src2=0
	s_delay_alu instid0(VALU_DEP_2) | instskip(SKIP_1) | instid1(VALU_DEP_2)
	v_pk_fma_f32 v[16:17], v[8:9] /*v[264:265]*/, v[16:17], 0 op_sel_hi:[1,1,0]
	s_set_vgpr_msb 0x50                     ;  msbs: dst=1 src0=0 src1=0 src2=1
	v_pk_fma_f32 v[14:15] /*v[270:271]*/, v[150:151], v[8:9], v[14:15] /*v[270:271]*/ op_sel_hi:[0,1,1]
	s_set_vgpr_msb 5                        ;  msbs: dst=0 src0=1 src1=1 src2=0
	s_delay_alu instid0(VALU_DEP_2) | instskip(SKIP_1) | instid1(VALU_DEP_2)
	v_pk_fma_f32 v[16:17], v[12:13] /*v[268:269]*/, v[16:17] /*v[272:273]*/, v[16:17]
	s_set_vgpr_msb 0x41                     ;  msbs: dst=1 src0=1 src1=0 src2=0
	v_pk_mul_f32 v[14:15] /*v[270:271]*/, v[14:15] /*v[270:271]*/, v[120:121]
	s_set_vgpr_msb 16                       ;  msbs: dst=0 src0=0 src1=0 src2=1
	s_delay_alu instid0(VALU_DEP_1) | instskip(NEXT) | instid1(VALU_DEP_1)
	v_pk_fma_f32 v[16:17], v[16:17], v[112:113], v[14:15] /*v[270:271]*/ neg_lo:[0,0,1] neg_hi:[0,0,1]
	v_pk_add_f32 v[48:49], v[48:49], v[16:17]
	s_set_vgpr_msb 0                        ;  msbs: dst=0 src0=0 src1=0 src2=0
	v_dot4_i32_iu8 v16, v248, v26, v5 neg_lo:[1,1,0]
	s_set_vgpr_msb 16                       ;  msbs: dst=0 src0=0 src1=0 src2=1
	v_dot4_i32_iu8 v5, v11, v133, v20 /*v276*/ neg_lo:[1,1,0]
	v_dot4_i32_iu8 v17, v19, v231, v21 /*v277*/ neg_lo:[1,1,0]
	s_set_vgpr_msb 0                        ;  msbs: dst=0 src0=0 src1=0 src2=0
	v_dot4_i32_iu8 v16, v27, v231, v16 neg_lo:[1,1,0]
	s_delay_alu instid0(VALU_DEP_3) | instskip(NEXT) | instid1(VALU_DEP_3)
	v_mul_lo_u32 v6, v5, v223
	v_mul_lo_u32 v24, v17, v210
	v_cvt_f32_i32_e32 v5, v4
	s_delay_alu instid0(VALU_DEP_4) | instskip(NEXT) | instid1(VALU_DEP_4)
	v_mul_lo_u32 v16, v16, v210
	v_cvt_f32_i32_e32 v4, v6
	s_set_vgpr_msb 4                        ;  msbs: dst=0 src0=0 src1=1 src2=0
	v_pk_fma_f32 v[6:7], v[138:139], v[10:11] /*v[266:267]*/, 0 op_sel_hi:[0,1,0]
	s_delay_alu instid0(VALU_DEP_3)
	v_cvt_f32_i32_e32 v17, v16
	s_set_vgpr_msb 1                        ;  msbs: dst=0 src0=1 src1=0 src2=0
	v_pk_fma_f32 v[4:5], v[8:9] /*v[264:265]*/, v[4:5], 0 op_sel_hi:[1,1,0]
	s_set_vgpr_msb 0                        ;  msbs: dst=0 src0=0 src1=0 src2=0
	v_cvt_f32_i32_e32 v16, v24
	v_pk_fma_f32 v[6:7], v[142:143], v[8:9], v[6:7] op_sel_hi:[0,1,1]
	s_set_vgpr_msb 1                        ;  msbs: dst=0 src0=1 src1=0 src2=0
	s_delay_alu instid0(VALU_DEP_2) | instskip(SKIP_1) | instid1(VALU_DEP_2)
	v_pk_fma_f32 v[4:5], v[12:13] /*v[268:269]*/, v[16:17], v[4:5]
	s_set_vgpr_msb 0                        ;  msbs: dst=0 src0=0 src1=0 src2=0
	v_pk_mul_f32 v[6:7], v[6:7], v[122:123]
	s_delay_alu instid0(VALU_DEP_1) | instskip(NEXT) | instid1(VALU_DEP_1)
	v_pk_fma_f32 v[4:5], v[4:5], v[114:115], v[6:7] neg_lo:[0,0,1] neg_hi:[0,0,1]
	v_pk_add_f32 v[46:47], v[46:47], v[4:5]
	s_set_vgpr_msb 1                        ;  msbs: dst=0 src0=1 src1=0 src2=0
	v_mul_i32_i24_e32 v4, v22 /*v278*/, v207
	v_mul_i32_i24_e32 v5, v24 /*v280*/, v217
	s_delay_alu instid0(VALU_DEP_2) | instskip(SKIP_1) | instid1(VALU_DEP_2)
	v_dot4_i32_iu8 v4, v26 /*v282*/, v208, v4 neg_lo:[1,1,0]
	s_set_vgpr_msb 0                        ;  msbs: dst=0 src0=0 src1=0 src2=0
	v_dot4_i32_iu8 v5, v12, v218, v5 neg_lo:[1,1,0]
	s_set_vgpr_msb 1                        ;  msbs: dst=0 src0=1 src1=0 src2=0
	s_delay_alu instid0(VALU_DEP_2) | instskip(SKIP_1) | instid1(VALU_DEP_2)
	v_dot4_i32_iu8 v4, v27 /*v283*/, v211, v4 neg_lo:[1,1,0]
	s_set_vgpr_msb 0                        ;  msbs: dst=0 src0=0 src1=0 src2=0
	v_dot4_i32_iu8 v5, v20, v0, v5 neg_lo:[1,1,0]
	s_set_vgpr_msb 1                        ;  msbs: dst=0 src0=1 src1=0 src2=0
	;; [unrolled: 5-line block ×5, first 2 shown]
	s_delay_alu instid0(VALU_DEP_2) | instskip(NEXT) | instid1(VALU_DEP_2)
	v_mad_i32_i24 v4, v209, v23 /*v279*/, v4
	v_mad_i32_i24 v5, v216, v25 /*v281*/, v5
	s_set_vgpr_msb 0                        ;  msbs: dst=0 src0=0 src1=0 src2=0
	s_delay_alu instid0(VALU_DEP_2) | instskip(NEXT) | instid1(VALU_DEP_2)
	v_dot4_i32_iu8 v4, v233, v13, v4 neg_lo:[1,1,0]
	v_dot4_i32_iu8 v5, v237, v25, v5 neg_lo:[1,1,0]
	s_delay_alu instid0(VALU_DEP_2) | instskip(NEXT) | instid1(VALU_DEP_2)
	v_dot4_i32_iu8 v4, v236, v14, v4 neg_lo:[1,1,0]
	v_dot4_i32_iu8 v12, v238, v26, v5 neg_lo:[1,1,0]
	;; [unrolled: 1-line block ×4, first 2 shown]
	s_delay_alu instid0(VALU_DEP_4) | instskip(NEXT) | instid1(VALU_DEP_4)
	v_dot4_i32_iu8 v4, v15, v239, v4 neg_lo:[1,1,0]
	v_dot4_i32_iu8 v10, v27, v219, v12 neg_lo:[1,1,0]
	s_delay_alu instid0(VALU_DEP_4) | instskip(NEXT) | instid1(VALU_DEP_4)
	v_mul_lo_u32 v6, v5, v214
	v_mul_lo_u32 v12, v11, v141
	s_delay_alu instid0(VALU_DEP_4) | instskip(NEXT) | instid1(VALU_DEP_4)
	v_mul_lo_u32 v4, v4, v214
	v_mul_lo_u32 v10, v10, v141
	s_delay_alu instid0(VALU_DEP_2) | instskip(SKIP_3) | instid1(VALU_DEP_4)
	v_cvt_f32_i32_e32 v5, v4
	v_cvt_f32_i32_e32 v4, v6
	s_set_vgpr_msb 4                        ;  msbs: dst=0 src0=0 src1=1 src2=0
	v_pk_fma_f32 v[6:7], v[128:129], v[10:11] /*v[266:267]*/, 0 op_sel_hi:[0,1,0]
	v_cvt_f32_i32_e32 v11, v10
	v_cvt_f32_i32_e32 v10, v12
	s_set_vgpr_msb 1                        ;  msbs: dst=0 src0=1 src1=0 src2=0
	v_pk_fma_f32 v[4:5], v[8:9] /*v[264:265]*/, v[4:5], 0 op_sel_hi:[1,1,0]
	s_set_vgpr_msb 0                        ;  msbs: dst=0 src0=0 src1=0 src2=0
	v_pk_fma_f32 v[6:7], v[126:127], v[8:9], v[6:7] op_sel_hi:[0,1,1]
	s_set_vgpr_msb 1                        ;  msbs: dst=0 src0=1 src1=0 src2=0
	s_delay_alu instid0(VALU_DEP_2) | instskip(SKIP_1) | instid1(VALU_DEP_2)
	v_pk_fma_f32 v[4:5], v[12:13] /*v[268:269]*/, v[10:11], v[4:5]
	s_set_vgpr_msb 0                        ;  msbs: dst=0 src0=0 src1=0 src2=0
	v_pk_mul_f32 v[6:7], v[6:7], v[124:125]
	s_delay_alu instid0(VALU_DEP_1) | instskip(NEXT) | instid1(VALU_DEP_1)
	v_pk_fma_f32 v[4:5], v[4:5], v[116:117], v[6:7] neg_lo:[0,0,1] neg_hi:[0,0,1]
	v_pk_add_f32 v[44:45], v[44:45], v[4:5]
	v_or_b32_e32 v4, s13, v163
	s_delay_alu instid0(VALU_DEP_1)
	v_lshlrev_b32_e32 v16, 2, v4
	s_set_vgpr_msb 64                       ;  msbs: dst=1 src0=0 src1=0 src2=0
	v_lshrrev_b32_e32 v7 /*v263*/, 1, v4
	s_set_vgpr_msb 0                        ;  msbs: dst=0 src0=0 src1=0 src2=0
	ds_load_b128 v[4:7], v16 offset:33280
	ds_load_b128 v[8:11], v16 offset:33296
	;; [unrolled: 1-line block ×4, first 2 shown]
	s_wait_dscnt 0x3
	v_bfe_i32 v20, v4, 0, 8
	v_perm_b32 v25, v4, v4, 0xc0c0201
	v_perm_b32 v26, v5, v4, 0x6050403
	;; [unrolled: 1-line block ×3, first 2 shown]
	s_set_vgpr_msb 64                       ;  msbs: dst=1 src0=0 src1=0 src2=0
	v_perm_b32 v8 /*v264*/, v7, v6, 0x6050403
	s_set_vgpr_msb 0                        ;  msbs: dst=0 src0=0 src1=0 src2=0
	v_mul_i32_i24_e32 v24, v20, v250
	s_wait_dscnt 0x2
	s_set_vgpr_msb 64                       ;  msbs: dst=1 src0=0 src1=0 src2=0
	v_perm_b32 v9 /*v265*/, v8, v7, 0x6050403
	s_set_vgpr_msb 0                        ;  msbs: dst=0 src0=0 src1=0 src2=0
	v_ashrrev_i32_e32 v21, 24, v8
	v_dot4_i32_iu8 v4, v4, v148, 0 neg_lo:[1,1,0]
	s_wait_dscnt 0x1
	v_bfe_i32 v22, v12, 0, 8
	v_dot4_i32_iu8 v24, v25, v251, v24 neg_lo:[1,1,0]
	s_wait_dscnt 0x0
	v_ashrrev_i32_e32 v23, 24, v16
	v_dot4_i32_iu8 v4, v5, v149, v4 neg_lo:[1,1,0]
	v_perm_b32 v5, v12, v12, 0xc0c0201
	v_dot4_i32_iu8 v24, v26, v252, v24 neg_lo:[1,1,0]
	s_delay_alu instid0(VALU_DEP_3) | instskip(SKIP_1) | instid1(VALU_DEP_3)
	v_dot4_i32_iu8 v4, v6, v146, v4 neg_lo:[1,1,0]
	v_perm_b32 v6, v13, v12, 0x6050403
	v_dot4_i32_iu8 v24, v27, v253, v24 neg_lo:[1,1,0]
	s_delay_alu instid0(VALU_DEP_3) | instskip(SKIP_2) | instid1(VALU_DEP_3)
	v_dot4_i32_iu8 v4, v7, v147, v4 neg_lo:[1,1,0]
	v_perm_b32 v7, v14, v13, 0x6050403
	s_set_vgpr_msb 1                        ;  msbs: dst=0 src0=1 src1=0 src2=0
	v_dot4_i32_iu8 v24, v8 /*v264*/, v254, v24 neg_lo:[1,1,0]
	s_set_vgpr_msb 0                        ;  msbs: dst=0 src0=0 src1=0 src2=0
	v_dot4_i32_iu8 v4, v8, v144, v4 neg_lo:[1,1,0]
	v_perm_b32 v8, v15, v14, 0x6050403
	s_set_vgpr_msb 1                        ;  msbs: dst=0 src0=1 src1=0 src2=0
	v_dot4_i32_iu8 v24, v9 /*v265*/, v255, v24 neg_lo:[1,1,0]
	s_set_vgpr_msb 0                        ;  msbs: dst=0 src0=0 src1=0 src2=0
	v_dot4_i32_iu8 v4, v9, v145, v4 neg_lo:[1,1,0]
	s_delay_alu instid0(VALU_DEP_2) | instskip(SKIP_1) | instid1(VALU_DEP_2)
	v_mad_i32_i24 v24, v249, v21, v24
	s_set_vgpr_msb 64                       ;  msbs: dst=1 src0=0 src1=0 src2=0
	v_dot4_i32_iu8 v20 /*v276*/, v10, v132, v4 neg_lo:[1,1,0]
	s_set_vgpr_msb 0                        ;  msbs: dst=0 src0=0 src1=0 src2=0
	v_mul_i32_i24_e32 v4, v22, v240
	s_set_vgpr_msb 1                        ;  msbs: dst=0 src0=1 src1=0 src2=0
	v_dot4_i32_iu8 v24, v5 /*v261*/, v9, v24 neg_lo:[1,1,0]
	s_set_vgpr_msb 0                        ;  msbs: dst=0 src0=0 src1=0 src2=0
	s_delay_alu instid0(VALU_DEP_2) | instskip(SKIP_1) | instid1(VALU_DEP_2)
	v_dot4_i32_iu8 v4, v5, v232, v4 neg_lo:[1,1,0]
	s_set_vgpr_msb 0x41                     ;  msbs: dst=1 src0=1 src1=0 src2=0
	v_dot4_i32_iu8 v14 /*v270*/, v6 /*v262*/, v10, v24 neg_lo:[1,1,0]
	s_set_vgpr_msb 0                        ;  msbs: dst=0 src0=0 src1=0 src2=0
	v_dot4_i32_iu8 v24, v152, v12, 0 neg_lo:[1,1,0]
	v_dot4_i32_iu8 v4, v6, v234, v4 neg_lo:[1,1,0]
	s_delay_alu instid0(VALU_DEP_2) | instskip(NEXT) | instid1(VALU_DEP_2)
	v_dot4_i32_iu8 v24, v153, v13, v24 neg_lo:[1,1,0]
	v_dot4_i32_iu8 v4, v7, v235, v4 neg_lo:[1,1,0]
	s_delay_alu instid0(VALU_DEP_2) | instskip(NEXT) | instid1(VALU_DEP_2)
	v_dot4_i32_iu8 v24, v154, v14, v24 neg_lo:[1,1,0]
	v_dot4_i32_iu8 v4, v8, v230, v4 neg_lo:[1,1,0]
	s_delay_alu instid0(VALU_DEP_2) | instskip(NEXT) | instid1(VALU_DEP_1)
	v_dot4_i32_iu8 v24, v155, v15, v24 neg_lo:[1,1,0]
	v_dot4_i32_iu8 v24, v156, v16, v24 neg_lo:[1,1,0]
	s_delay_alu instid0(VALU_DEP_1) | instskip(SKIP_1) | instid1(VALU_DEP_1)
	v_dot4_i32_iu8 v24, v157, v17, v24 neg_lo:[1,1,0]
	s_set_vgpr_msb 64                       ;  msbs: dst=1 src0=0 src1=0 src2=0
	v_dot4_i32_iu8 v16 /*v272*/, v134, v18, v24 neg_lo:[1,1,0]
	s_set_vgpr_msb 0                        ;  msbs: dst=0 src0=0 src1=0 src2=0
	v_mul_i32_i24_e32 v24, v20, v220
	s_set_vgpr_msb 0x50                     ;  msbs: dst=1 src0=0 src1=0 src2=1
	s_delay_alu instid0(VALU_DEP_2) | instskip(SKIP_1) | instid1(VALU_DEP_2)
	v_dot4_i32_iu8 v16 /*v272*/, v19, v135, v16 /*v272*/ neg_lo:[1,1,0]
	s_set_vgpr_msb 0                        ;  msbs: dst=0 src0=0 src1=0 src2=0
	v_dot4_i32_iu8 v24, v25, v221, v24 neg_lo:[1,1,0]
	s_set_vgpr_msb 0x41                     ;  msbs: dst=1 src0=1 src1=0 src2=0
	s_delay_alu instid0(VALU_DEP_2) | instskip(SKIP_1) | instid1(VALU_DEP_2)
	v_mul_lo_u32 v16 /*v272*/, v16 /*v272*/, v151
	s_set_vgpr_msb 0                        ;  msbs: dst=0 src0=0 src1=0 src2=0
	v_dot4_i32_iu8 v24, v26, v224, v24 neg_lo:[1,1,0]
	s_delay_alu instid0(VALU_DEP_1) | instskip(SKIP_1) | instid1(VALU_DEP_1)
	v_dot4_i32_iu8 v24, v27, v225, v24 neg_lo:[1,1,0]
	s_set_vgpr_msb 1                        ;  msbs: dst=0 src0=1 src1=0 src2=0
	v_dot4_i32_iu8 v24, v8 /*v264*/, v226, v24 neg_lo:[1,1,0]
	s_set_vgpr_msb 0x41                     ;  msbs: dst=1 src0=1 src1=0 src2=0
	s_delay_alu instid0(VALU_DEP_4) | instskip(SKIP_1) | instid1(VALU_DEP_2)
	v_cvt_f32_i32_e32 v16 /*v272*/, v16 /*v272*/
	s_set_vgpr_msb 1                        ;  msbs: dst=0 src0=1 src1=0 src2=0
	v_dot4_i32_iu8 v24, v9 /*v265*/, v227, v24 neg_lo:[1,1,0]
	s_set_vgpr_msb 0                        ;  msbs: dst=0 src0=0 src1=0 src2=0
	s_delay_alu instid0(VALU_DEP_1) | instskip(SKIP_1) | instid1(VALU_DEP_1)
	v_mad_i32_i24 v24, v222, v21, v24
	s_set_vgpr_msb 1                        ;  msbs: dst=0 src0=1 src1=0 src2=0
	v_dot4_i32_iu8 v24, v3 /*v259*/, v9, v24 neg_lo:[1,1,0]
	s_set_vgpr_msb 0x41                     ;  msbs: dst=1 src0=1 src1=0 src2=0
	s_delay_alu instid0(VALU_DEP_1) | instskip(SKIP_3) | instid1(VALU_DEP_2)
	v_dot4_i32_iu8 v18 /*v274*/, v4 /*v260*/, v10, v24 neg_lo:[1,1,0]
	s_set_vgpr_msb 0                        ;  msbs: dst=0 src0=0 src1=0 src2=0
	v_dot4_i32_iu8 v24, v12, v205, 0 neg_lo:[1,1,0]
	v_perm_b32 v12, v16, v15, 0x6050403
	v_dot4_i32_iu8 v24, v13, v206, v24 neg_lo:[1,1,0]
	s_delay_alu instid0(VALU_DEP_2) | instskip(NEXT) | instid1(VALU_DEP_2)
	v_dot4_i32_iu8 v4, v12, v229, v4 neg_lo:[1,1,0]
	v_dot4_i32_iu8 v24, v14, v242, v24 neg_lo:[1,1,0]
	s_delay_alu instid0(VALU_DEP_2) | instskip(NEXT) | instid1(VALU_DEP_2)
	v_mad_i32_i24 v4, v228, v23, v4
	v_dot4_i32_iu8 v24, v15, v243, v24 neg_lo:[1,1,0]
	s_delay_alu instid0(VALU_DEP_2) | instskip(NEXT) | instid1(VALU_DEP_2)
	v_dot4_i32_iu8 v4, v247, v17, v4 neg_lo:[1,1,0]
	v_dot4_i32_iu8 v24, v16, v244, v24 neg_lo:[1,1,0]
	s_set_vgpr_msb 64                       ;  msbs: dst=1 src0=0 src1=0 src2=0
	s_delay_alu instid0(VALU_DEP_2) | instskip(SKIP_3) | instid1(VALU_DEP_2)
	v_dot4_i32_iu8 v21 /*v277*/, v248, v18, v4 neg_lo:[1,1,0]
	s_set_vgpr_msb 0                        ;  msbs: dst=0 src0=0 src1=0 src2=0
	v_mul_i32_i24_e32 v4, v20, v207
	v_dot4_i32_iu8 v24, v17, v245, v24 neg_lo:[1,1,0]
	v_dot4_i32_iu8 v4, v25, v208, v4 neg_lo:[1,1,0]
	s_set_vgpr_msb 64                       ;  msbs: dst=1 src0=0 src1=0 src2=0
	s_delay_alu instid0(VALU_DEP_2) | instskip(SKIP_1) | instid1(VALU_DEP_2)
	v_dot4_i32_iu8 v19 /*v275*/, v18, v246, v24 neg_lo:[1,1,0]
	s_set_vgpr_msb 0                        ;  msbs: dst=0 src0=0 src1=0 src2=0
	v_dot4_i32_iu8 v4, v26, v211, v4 neg_lo:[1,1,0]
	s_delay_alu instid0(VALU_DEP_1) | instskip(SKIP_1) | instid1(VALU_DEP_1)
	v_dot4_i32_iu8 v4, v27, v212, v4 neg_lo:[1,1,0]
	s_set_vgpr_msb 1                        ;  msbs: dst=0 src0=1 src1=0 src2=0
	v_dot4_i32_iu8 v4, v8 /*v264*/, v213, v4 neg_lo:[1,1,0]
	s_delay_alu instid0(VALU_DEP_1) | instskip(SKIP_1) | instid1(VALU_DEP_1)
	v_dot4_i32_iu8 v4, v9 /*v265*/, v215, v4 neg_lo:[1,1,0]
	s_set_vgpr_msb 0                        ;  msbs: dst=0 src0=0 src1=0 src2=0
	v_mad_i32_i24 v4, v209, v21, v4
	s_delay_alu instid0(VALU_DEP_1) | instskip(NEXT) | instid1(VALU_DEP_1)
	v_dot4_i32_iu8 v4, v233, v9, v4 neg_lo:[1,1,0]
	v_dot4_i32_iu8 v10, v236, v10, v4 neg_lo:[1,1,0]
	v_mul_i32_i24_e32 v4, v22, v217
	s_delay_alu instid0(VALU_DEP_1) | instskip(NEXT) | instid1(VALU_DEP_1)
	v_dot4_i32_iu8 v4, v5, v218, v4 neg_lo:[1,1,0]
	v_dot4_i32_iu8 v4, v6, v0, v4 neg_lo:[1,1,0]
	s_delay_alu instid0(VALU_DEP_1) | instskip(NEXT) | instid1(VALU_DEP_1)
	v_dot4_i32_iu8 v4, v7, v1, v4 neg_lo:[1,1,0]
	v_dot4_i32_iu8 v4, v8, v2, v4 neg_lo:[1,1,0]
	s_delay_alu instid0(VALU_DEP_1) | instskip(NEXT) | instid1(VALU_DEP_1)
	v_dot4_i32_iu8 v4, v12, v3, v4 neg_lo:[1,1,0]
	v_mad_i32_i24 v4, v216, v23, v4
	s_delay_alu instid0(VALU_DEP_1) | instskip(NEXT) | instid1(VALU_DEP_1)
	v_dot4_i32_iu8 v4, v237, v17, v4 neg_lo:[1,1,0]
	v_dot4_i32_iu8 v18, v238, v18, v4 neg_lo:[1,1,0]
	v_or_b32_e32 v4, s13, v164
	s_delay_alu instid0(VALU_DEP_1)
	v_dual_lshlrev_b32 v8, 2, v4 :: v_dual_lshrrev_b32 v16, 1, v4
	ds_load_b128 v[4:7], v8 offset:33280
	ds_load_b128 v[12:15], v8 offset:33296
	;; [unrolled: 1-line block ×4, first 2 shown]
	ds_load_b64 v[16:17], v16 offset:43584
	s_wait_dscnt 0x4
	s_set_vgpr_msb 64                       ;  msbs: dst=1 src0=0 src1=0 src2=0
	v_bfe_i32 v22 /*v278*/, v4, 0, 8
	v_perm_b32 v26 /*v282*/, v4, v4, 0xc0c0201
	v_perm_b32 v27 /*v283*/, v5, v4, 0x6050403
	;; [unrolled: 1-line block ×4, first 2 shown]
	s_set_vgpr_msb 1                        ;  msbs: dst=0 src0=1 src1=0 src2=0
	v_mul_i32_i24_e32 v8, v22 /*v278*/, v250
	s_wait_dscnt 0x3
	s_set_vgpr_msb 64                       ;  msbs: dst=1 src0=0 src1=0 src2=0
	v_perm_b32 v30 /*v286*/, v12, v7, 0x6050403
	v_ashrrev_i32_e32 v23 /*v279*/, 24, v12
	s_wait_dscnt 0x0
	v_cvt_f32_f16_e64 v9 /*v265*/, v16
	v_cvt_f32_f16_e64 v13 /*v269*/, v17
	s_set_vgpr_msb 1                        ;  msbs: dst=0 src0=1 src1=0 src2=0
	v_dot4_i32_iu8 v8, v26 /*v282*/, v251, v8 neg_lo:[1,1,0]
	s_set_vgpr_msb 0                        ;  msbs: dst=0 src0=0 src1=0 src2=0
	v_dot4_i32_iu8 v4, v4, v148, 0 neg_lo:[1,1,0]
	s_set_vgpr_msb 64                       ;  msbs: dst=1 src0=0 src1=0 src2=0
	v_bfe_i32 v24 /*v280*/, v20, 0, 8
	v_ashrrev_i32_e32 v25 /*v281*/, 24, v24
	s_set_vgpr_msb 1                        ;  msbs: dst=0 src0=1 src1=0 src2=0
	v_dot4_i32_iu8 v8, v27 /*v283*/, v252, v8 neg_lo:[1,1,0]
	s_set_vgpr_msb 0                        ;  msbs: dst=0 src0=0 src1=0 src2=0
	v_dot4_i32_iu8 v4, v5, v149, v4 neg_lo:[1,1,0]
	s_set_vgpr_msb 1                        ;  msbs: dst=0 src0=1 src1=0 src2=0
	v_mul_i32_i24_e32 v5, v24 /*v280*/, v240
	v_dot4_i32_iu8 v8, v28 /*v284*/, v253, v8 neg_lo:[1,1,0]
	s_set_vgpr_msb 0                        ;  msbs: dst=0 src0=0 src1=0 src2=0
	v_dot4_i32_iu8 v4, v6, v146, v4 neg_lo:[1,1,0]
	s_set_vgpr_msb 1                        ;  msbs: dst=0 src0=1 src1=0 src2=0
	s_delay_alu instid0(VALU_DEP_2) | instskip(SKIP_1) | instid1(VALU_DEP_2)
	v_dot4_i32_iu8 v8, v29 /*v285*/, v254, v8 neg_lo:[1,1,0]
	s_set_vgpr_msb 0                        ;  msbs: dst=0 src0=0 src1=0 src2=0
	v_dot4_i32_iu8 v4, v7, v147, v4 neg_lo:[1,1,0]
	s_set_vgpr_msb 1                        ;  msbs: dst=0 src0=1 src1=0 src2=0
	s_delay_alu instid0(VALU_DEP_2) | instskip(SKIP_1) | instid1(VALU_DEP_2)
	v_dot4_i32_iu8 v8, v30 /*v286*/, v255, v8 neg_lo:[1,1,0]
	s_set_vgpr_msb 0                        ;  msbs: dst=0 src0=0 src1=0 src2=0
	v_dot4_i32_iu8 v4, v12, v144, v4 neg_lo:[1,1,0]
	v_perm_b32 v12, v20, v20, 0xc0c0201
	s_set_vgpr_msb 4                        ;  msbs: dst=0 src0=0 src1=1 src2=0
	v_mad_i32_i24 v8, v249, v23 /*v279*/, v8
	s_set_vgpr_msb 0                        ;  msbs: dst=0 src0=0 src1=0 src2=0
	v_dot4_i32_iu8 v4, v13, v145, v4 neg_lo:[1,1,0]
	v_dot4_i32_iu8 v5, v12, v232, v5 neg_lo:[1,1,0]
	s_set_vgpr_msb 1                        ;  msbs: dst=0 src0=1 src1=0 src2=0
	v_dot4_i32_iu8 v8, v5 /*v261*/, v13, v8 neg_lo:[1,1,0]
	s_set_vgpr_msb 0                        ;  msbs: dst=0 src0=0 src1=0 src2=0
	v_dot4_i32_iu8 v4, v14, v132, v4 neg_lo:[1,1,0]
	s_set_vgpr_msb 0x41                     ;  msbs: dst=1 src0=1 src1=0 src2=0
	s_delay_alu instid0(VALU_DEP_2) | instskip(SKIP_3) | instid1(VALU_DEP_2)
	v_dot4_i32_iu8 v15 /*v271*/, v6 /*v262*/, v14, v8 neg_lo:[1,1,0]
	s_set_vgpr_msb 0                        ;  msbs: dst=0 src0=0 src1=0 src2=0
	v_dot4_i32_iu8 v8, v152, v20, 0 neg_lo:[1,1,0]
	v_dot4_i32_iu8 v4, v15, v133, v4 neg_lo:[1,1,0]
	;; [unrolled: 1-line block ×3, first 2 shown]
	s_delay_alu instid0(VALU_DEP_2) | instskip(NEXT) | instid1(VALU_DEP_2)
	v_mul_lo_u32 v4, v4, v223
	v_dot4_i32_iu8 v8, v154, v22, v8 neg_lo:[1,1,0]
	s_delay_alu instid0(VALU_DEP_1) | instskip(NEXT) | instid1(VALU_DEP_1)
	v_dot4_i32_iu8 v8, v155, v23, v8 neg_lo:[1,1,0]
	v_dot4_i32_iu8 v8, v156, v24, v8 neg_lo:[1,1,0]
	s_delay_alu instid0(VALU_DEP_1) | instskip(SKIP_1) | instid1(VALU_DEP_1)
	v_dot4_i32_iu8 v8, v157, v25, v8 neg_lo:[1,1,0]
	s_set_vgpr_msb 64                       ;  msbs: dst=1 src0=0 src1=0 src2=0
	v_dot4_i32_iu8 v17 /*v273*/, v134, v26, v8 neg_lo:[1,1,0]
	s_set_vgpr_msb 1                        ;  msbs: dst=0 src0=1 src1=0 src2=0
	ds_load_b64 v[8:9], v7 /*v263*/ offset:43584
	s_wait_dscnt 0x0
	s_set_vgpr_msb 64                       ;  msbs: dst=1 src0=0 src1=0 src2=0
	v_lshrrev_b32_e32 v7 /*v263*/, 16, v8
	v_cvt_f32_f16_e64 v8 /*v264*/, v8
	s_set_vgpr_msb 0                        ;  msbs: dst=0 src0=0 src1=0 src2=0
	v_lshrrev_b32_e32 v8, 16, v16
	s_set_vgpr_msb 64                       ;  msbs: dst=1 src0=0 src1=0 src2=0
	v_cvt_f32_f16_e64 v12 /*v268*/, v9
	s_set_vgpr_msb 20                       ;  msbs: dst=0 src0=0 src1=1 src2=1
	v_dot4_i32_iu8 v16, v15, v0 /*v256*/, v15 /*v271*/ neg_lo:[1,1,0]
	s_set_vgpr_msb 0x41                     ;  msbs: dst=1 src0=1 src1=0 src2=0
	v_cvt_f32_f16_e64 v10 /*v266*/, v7 /*v263*/
	s_set_vgpr_msb 64                       ;  msbs: dst=1 src0=0 src1=0 src2=0
	v_cvt_f32_f16_e64 v11 /*v267*/, v8
	s_set_vgpr_msb 0                        ;  msbs: dst=0 src0=0 src1=0 src2=0
	v_lshrrev_b32_e32 v8, 16, v9
	v_lshrrev_b32_e32 v9, 16, v17
	s_set_vgpr_msb 20                       ;  msbs: dst=0 src0=0 src1=1 src2=1
	v_dot4_i32_iu8 v17, v11, v0 /*v256*/, v14 /*v270*/ neg_lo:[1,1,0]
	s_set_vgpr_msb 0                        ;  msbs: dst=0 src0=0 src1=0 src2=0
	v_mul_lo_u32 v16, v16, v203
	s_set_vgpr_msb 0x44                     ;  msbs: dst=1 src0=0 src1=1 src2=0
	v_pk_fma_f32 v[14:15] /*v[270:271]*/, v[136:137], v[10:11] /*v[266:267]*/, 0 op_sel_hi:[0,1,0]
	s_set_vgpr_msb 0                        ;  msbs: dst=0 src0=0 src1=0 src2=0
	v_cvt_f32_f16_e32 v8, v8
	v_cvt_f32_f16_e32 v9, v9
	s_set_vgpr_msb 0x50                     ;  msbs: dst=1 src0=0 src1=0 src2=1
	v_mul_lo_u32 v7 /*v263*/, v17, v203
	s_delay_alu instid0(VALU_DEP_2) | instskip(SKIP_3) | instid1(VALU_DEP_2)
	v_pk_fma_f32 v[14:15] /*v[270:271]*/, v[130:131], v[8:9], v[14:15] /*v[270:271]*/ op_sel_hi:[0,1,1]
	s_set_vgpr_msb 0                        ;  msbs: dst=0 src0=0 src1=0 src2=0
	v_cvt_f32_i32_e32 v17, v16
	s_set_vgpr_msb 0x41                     ;  msbs: dst=1 src0=1 src1=0 src2=0
	v_pk_mul_f32 v[14:15] /*v[270:271]*/, v[14:15] /*v[270:271]*/, v[118:119]
	s_set_vgpr_msb 1                        ;  msbs: dst=0 src0=1 src1=0 src2=0
	s_delay_alu instid0(VALU_DEP_4) | instskip(SKIP_3) | instid1(VALU_DEP_2)
	v_cvt_f32_i32_e32 v16, v7 /*v263*/
	s_set_vgpr_msb 0x50                     ;  msbs: dst=1 src0=0 src1=0 src2=1
	v_dot4_i32_iu8 v7 /*v263*/, v27, v135, v17 /*v273*/ neg_lo:[1,1,0]
	s_set_vgpr_msb 1                        ;  msbs: dst=0 src0=1 src1=0 src2=0
	v_pk_fma_f32 v[16:17], v[8:9] /*v[264:265]*/, v[16:17], 0 op_sel_hi:[1,1,0]
	s_set_vgpr_msb 0x41                     ;  msbs: dst=1 src0=1 src1=0 src2=0
	s_delay_alu instid0(VALU_DEP_2) | instskip(NEXT) | instid1(VALU_DEP_1)
	v_mul_lo_u32 v7 /*v263*/, v7 /*v263*/, v151
	v_cvt_f32_i32_e32 v17 /*v273*/, v7 /*v263*/
	s_set_vgpr_msb 5                        ;  msbs: dst=0 src0=1 src1=1 src2=0
	s_delay_alu instid0(VALU_DEP_1) | instskip(SKIP_3) | instid1(VALU_DEP_2)
	v_pk_fma_f32 v[16:17], v[12:13] /*v[268:269]*/, v[16:17] /*v[272:273]*/, v[16:17]
	s_set_vgpr_msb 0x54                     ;  msbs: dst=1 src0=0 src1=1 src2=1
	v_dot4_i32_iu8 v16 /*v272*/, v19, v2 /*v258*/, v19 /*v275*/ neg_lo:[1,1,0]
	s_set_vgpr_msb 16                       ;  msbs: dst=0 src0=0 src1=0 src2=1
	v_pk_fma_f32 v[16:17], v[16:17], v[110:111], v[14:15] /*v[270:271]*/ neg_lo:[0,0,1] neg_hi:[0,0,1]
	s_set_vgpr_msb 0x41                     ;  msbs: dst=1 src0=1 src1=0 src2=0
	s_delay_alu instid0(VALU_DEP_2) | instskip(SKIP_1) | instid1(VALU_DEP_2)
	v_mul_lo_u32 v16 /*v272*/, v16 /*v272*/, v241
	s_set_vgpr_msb 0                        ;  msbs: dst=0 src0=0 src1=0 src2=0
	v_pk_add_f32 v[42:43], v[42:43], v[16:17]
	s_set_vgpr_msb 1                        ;  msbs: dst=0 src0=1 src1=0 src2=0
	v_mul_i32_i24_e32 v16, v22 /*v278*/, v220
	s_set_vgpr_msb 0                        ;  msbs: dst=0 src0=0 src1=0 src2=0
	v_dot4_i32_iu8 v17, v20, v205, 0 neg_lo:[1,1,0]
	v_perm_b32 v20, v21, v20, 0x6050403
	s_set_vgpr_msb 1                        ;  msbs: dst=0 src0=1 src1=0 src2=0
	v_dot4_i32_iu8 v16, v26 /*v282*/, v221, v16 neg_lo:[1,1,0]
	s_set_vgpr_msb 0                        ;  msbs: dst=0 src0=0 src1=0 src2=0
	v_dot4_i32_iu8 v17, v21, v206, v17 neg_lo:[1,1,0]
	v_dot4_i32_iu8 v5, v20, v234, v5 neg_lo:[1,1,0]
	v_perm_b32 v21, v22, v21, 0x6050403
	s_set_vgpr_msb 0x41                     ;  msbs: dst=1 src0=1 src1=0 src2=0
	v_cvt_f32_i32_e32 v16 /*v272*/, v16 /*v272*/
	s_set_vgpr_msb 1                        ;  msbs: dst=0 src0=1 src1=0 src2=0
	v_dot4_i32_iu8 v16, v27 /*v283*/, v224, v16 neg_lo:[1,1,0]
	s_set_vgpr_msb 0                        ;  msbs: dst=0 src0=0 src1=0 src2=0
	v_dot4_i32_iu8 v17, v22, v242, v17 neg_lo:[1,1,0]
	v_perm_b32 v22, v23, v22, 0x6050403
	v_dot4_i32_iu8 v5, v21, v235, v5 neg_lo:[1,1,0]
	s_set_vgpr_msb 1                        ;  msbs: dst=0 src0=1 src1=0 src2=0
	v_dot4_i32_iu8 v16, v28 /*v284*/, v225, v16 neg_lo:[1,1,0]
	s_set_vgpr_msb 0                        ;  msbs: dst=0 src0=0 src1=0 src2=0
	v_dot4_i32_iu8 v17, v23, v243, v17 neg_lo:[1,1,0]
	v_perm_b32 v23, v24, v23, 0x6050403
	v_dot4_i32_iu8 v5, v22, v230, v5 neg_lo:[1,1,0]
	s_set_vgpr_msb 1                        ;  msbs: dst=0 src0=1 src1=0 src2=0
	v_dot4_i32_iu8 v16, v29 /*v285*/, v226, v16 neg_lo:[1,1,0]
	s_set_vgpr_msb 0                        ;  msbs: dst=0 src0=0 src1=0 src2=0
	v_dot4_i32_iu8 v17, v24, v244, v17 neg_lo:[1,1,0]
	v_dot4_i32_iu8 v5, v23, v229, v5 neg_lo:[1,1,0]
	s_set_vgpr_msb 1                        ;  msbs: dst=0 src0=1 src1=0 src2=0
	v_dot4_i32_iu8 v16, v30 /*v286*/, v227, v16 neg_lo:[1,1,0]
	s_set_vgpr_msb 0                        ;  msbs: dst=0 src0=0 src1=0 src2=0
	v_dot4_i32_iu8 v17, v25, v245, v17 neg_lo:[1,1,0]
	s_set_vgpr_msb 4                        ;  msbs: dst=0 src0=0 src1=1 src2=0
	v_mad_i32_i24 v5, v228, v25 /*v281*/, v5
	v_mad_i32_i24 v16, v222, v23 /*v279*/, v16
	s_set_vgpr_msb 64                       ;  msbs: dst=1 src0=0 src1=0 src2=0
	v_dot4_i32_iu8 v7 /*v263*/, v26, v246, v17 neg_lo:[1,1,0]
	s_set_vgpr_msb 20                       ;  msbs: dst=0 src0=0 src1=1 src2=1
	v_dot4_i32_iu8 v17, v11, v1 /*v257*/, v18 /*v274*/ neg_lo:[1,1,0]
	s_set_vgpr_msb 0                        ;  msbs: dst=0 src0=0 src1=0 src2=0
	v_dot4_i32_iu8 v5, v247, v25, v5 neg_lo:[1,1,0]
	s_set_vgpr_msb 1                        ;  msbs: dst=0 src0=1 src1=0 src2=0
	v_dot4_i32_iu8 v16, v3 /*v259*/, v13, v16 neg_lo:[1,1,0]
	s_set_vgpr_msb 0x54                     ;  msbs: dst=1 src0=0 src1=1 src2=1
	v_dot4_i32_iu8 v7 /*v263*/, v27, v2 /*v258*/, v7 /*v263*/ neg_lo:[1,1,0]
	s_set_vgpr_msb 64                       ;  msbs: dst=1 src0=0 src1=0 src2=0
	v_mul_lo_u32 v14 /*v270*/, v17, v204
	s_set_vgpr_msb 1                        ;  msbs: dst=0 src0=1 src1=0 src2=0
	v_dot4_i32_iu8 v16, v4 /*v260*/, v14, v16 neg_lo:[1,1,0]
	s_set_vgpr_msb 0x41                     ;  msbs: dst=1 src0=1 src1=0 src2=0
	v_mul_lo_u32 v7 /*v263*/, v7 /*v263*/, v241
	s_set_vgpr_msb 4                        ;  msbs: dst=0 src0=0 src1=1 src2=0
	s_delay_alu instid0(VALU_DEP_2) | instskip(SKIP_1) | instid1(VALU_DEP_1)
	v_dot4_i32_iu8 v16, v15, v1 /*v257*/, v16 neg_lo:[1,1,0]
	s_set_vgpr_msb 0                        ;  msbs: dst=0 src0=0 src1=0 src2=0
	v_mul_lo_u32 v16, v16, v204
	s_set_vgpr_msb 0x41                     ;  msbs: dst=1 src0=1 src1=0 src2=0
	s_delay_alu instid0(VALU_DEP_3) | instskip(SKIP_1) | instid1(VALU_DEP_2)
	v_cvt_f32_i32_e32 v17 /*v273*/, v7 /*v263*/
	s_set_vgpr_msb 0                        ;  msbs: dst=0 src0=0 src1=0 src2=0
	v_cvt_f32_i32_e32 v17, v16
	s_set_vgpr_msb 1                        ;  msbs: dst=0 src0=1 src1=0 src2=0
	v_cvt_f32_i32_e32 v16, v14 /*v270*/
	s_set_vgpr_msb 0x44                     ;  msbs: dst=1 src0=0 src1=1 src2=0
	v_pk_fma_f32 v[14:15] /*v[270:271]*/, v[140:141], v[10:11] /*v[266:267]*/, 0 op_sel_hi:[0,1,0]
	s_set_vgpr_msb 1                        ;  msbs: dst=0 src0=1 src1=0 src2=0
	s_delay_alu instid0(VALU_DEP_2) | instskip(SKIP_1) | instid1(VALU_DEP_2)
	v_pk_fma_f32 v[16:17], v[8:9] /*v[264:265]*/, v[16:17], 0 op_sel_hi:[1,1,0]
	s_set_vgpr_msb 0x50                     ;  msbs: dst=1 src0=0 src1=0 src2=1
	v_pk_fma_f32 v[14:15] /*v[270:271]*/, v[150:151], v[8:9], v[14:15] /*v[270:271]*/ op_sel_hi:[0,1,1]
	s_set_vgpr_msb 5                        ;  msbs: dst=0 src0=1 src1=1 src2=0
	s_delay_alu instid0(VALU_DEP_2) | instskip(SKIP_1) | instid1(VALU_DEP_2)
	v_pk_fma_f32 v[16:17], v[12:13] /*v[268:269]*/, v[16:17] /*v[272:273]*/, v[16:17]
	s_set_vgpr_msb 0x41                     ;  msbs: dst=1 src0=1 src1=0 src2=0
	v_pk_mul_f32 v[14:15] /*v[270:271]*/, v[14:15] /*v[270:271]*/, v[120:121]
	s_set_vgpr_msb 16                       ;  msbs: dst=0 src0=0 src1=0 src2=1
	s_delay_alu instid0(VALU_DEP_1) | instskip(NEXT) | instid1(VALU_DEP_1)
	v_pk_fma_f32 v[16:17], v[16:17], v[112:113], v[14:15] /*v[270:271]*/ neg_lo:[0,0,1] neg_hi:[0,0,1]
	v_pk_add_f32 v[40:41], v[40:41], v[16:17]
	s_set_vgpr_msb 0                        ;  msbs: dst=0 src0=0 src1=0 src2=0
	v_dot4_i32_iu8 v16, v248, v26, v5 neg_lo:[1,1,0]
	s_set_vgpr_msb 16                       ;  msbs: dst=0 src0=0 src1=0 src2=1
	v_dot4_i32_iu8 v5, v11, v133, v20 /*v276*/ neg_lo:[1,1,0]
	v_dot4_i32_iu8 v17, v19, v231, v21 /*v277*/ neg_lo:[1,1,0]
	s_set_vgpr_msb 0                        ;  msbs: dst=0 src0=0 src1=0 src2=0
	v_dot4_i32_iu8 v16, v27, v231, v16 neg_lo:[1,1,0]
	s_delay_alu instid0(VALU_DEP_3) | instskip(NEXT) | instid1(VALU_DEP_3)
	v_mul_lo_u32 v6, v5, v223
	v_mul_lo_u32 v24, v17, v210
	v_cvt_f32_i32_e32 v5, v4
	s_delay_alu instid0(VALU_DEP_4) | instskip(NEXT) | instid1(VALU_DEP_4)
	v_mul_lo_u32 v16, v16, v210
	v_cvt_f32_i32_e32 v4, v6
	s_set_vgpr_msb 4                        ;  msbs: dst=0 src0=0 src1=1 src2=0
	v_pk_fma_f32 v[6:7], v[138:139], v[10:11] /*v[266:267]*/, 0 op_sel_hi:[0,1,0]
	s_delay_alu instid0(VALU_DEP_3)
	v_cvt_f32_i32_e32 v17, v16
	s_set_vgpr_msb 1                        ;  msbs: dst=0 src0=1 src1=0 src2=0
	v_pk_fma_f32 v[4:5], v[8:9] /*v[264:265]*/, v[4:5], 0 op_sel_hi:[1,1,0]
	s_set_vgpr_msb 0                        ;  msbs: dst=0 src0=0 src1=0 src2=0
	v_cvt_f32_i32_e32 v16, v24
	v_pk_fma_f32 v[6:7], v[142:143], v[8:9], v[6:7] op_sel_hi:[0,1,1]
	s_set_vgpr_msb 1                        ;  msbs: dst=0 src0=1 src1=0 src2=0
	s_delay_alu instid0(VALU_DEP_2) | instskip(SKIP_1) | instid1(VALU_DEP_2)
	v_pk_fma_f32 v[4:5], v[12:13] /*v[268:269]*/, v[16:17], v[4:5]
	s_set_vgpr_msb 0                        ;  msbs: dst=0 src0=0 src1=0 src2=0
	v_pk_mul_f32 v[6:7], v[6:7], v[122:123]
	s_delay_alu instid0(VALU_DEP_1) | instskip(NEXT) | instid1(VALU_DEP_1)
	v_pk_fma_f32 v[4:5], v[4:5], v[114:115], v[6:7] neg_lo:[0,0,1] neg_hi:[0,0,1]
	v_pk_add_f32 v[38:39], v[38:39], v[4:5]
	s_set_vgpr_msb 1                        ;  msbs: dst=0 src0=1 src1=0 src2=0
	v_mul_i32_i24_e32 v4, v22 /*v278*/, v207
	v_mul_i32_i24_e32 v5, v24 /*v280*/, v217
	s_delay_alu instid0(VALU_DEP_2) | instskip(SKIP_1) | instid1(VALU_DEP_2)
	v_dot4_i32_iu8 v4, v26 /*v282*/, v208, v4 neg_lo:[1,1,0]
	s_set_vgpr_msb 0                        ;  msbs: dst=0 src0=0 src1=0 src2=0
	v_dot4_i32_iu8 v5, v12, v218, v5 neg_lo:[1,1,0]
	s_set_vgpr_msb 1                        ;  msbs: dst=0 src0=1 src1=0 src2=0
	s_delay_alu instid0(VALU_DEP_2) | instskip(SKIP_1) | instid1(VALU_DEP_2)
	v_dot4_i32_iu8 v4, v27 /*v283*/, v211, v4 neg_lo:[1,1,0]
	s_set_vgpr_msb 0                        ;  msbs: dst=0 src0=0 src1=0 src2=0
	v_dot4_i32_iu8 v5, v20, v0, v5 neg_lo:[1,1,0]
	s_set_vgpr_msb 1                        ;  msbs: dst=0 src0=1 src1=0 src2=0
	;; [unrolled: 5-line block ×5, first 2 shown]
	s_delay_alu instid0(VALU_DEP_2) | instskip(NEXT) | instid1(VALU_DEP_2)
	v_mad_i32_i24 v4, v209, v23 /*v279*/, v4
	v_mad_i32_i24 v5, v216, v25 /*v281*/, v5
	s_set_vgpr_msb 0                        ;  msbs: dst=0 src0=0 src1=0 src2=0
	s_delay_alu instid0(VALU_DEP_2) | instskip(NEXT) | instid1(VALU_DEP_2)
	v_dot4_i32_iu8 v4, v233, v13, v4 neg_lo:[1,1,0]
	v_dot4_i32_iu8 v5, v237, v25, v5 neg_lo:[1,1,0]
	s_delay_alu instid0(VALU_DEP_2) | instskip(NEXT) | instid1(VALU_DEP_2)
	v_dot4_i32_iu8 v4, v236, v14, v4 neg_lo:[1,1,0]
	v_dot4_i32_iu8 v12, v238, v26, v5 neg_lo:[1,1,0]
	;; [unrolled: 1-line block ×4, first 2 shown]
	s_delay_alu instid0(VALU_DEP_4) | instskip(NEXT) | instid1(VALU_DEP_4)
	v_dot4_i32_iu8 v4, v15, v239, v4 neg_lo:[1,1,0]
	v_dot4_i32_iu8 v10, v27, v219, v12 neg_lo:[1,1,0]
	s_delay_alu instid0(VALU_DEP_4) | instskip(NEXT) | instid1(VALU_DEP_4)
	v_mul_lo_u32 v6, v5, v214
	v_mul_lo_u32 v12, v11, v141
	s_delay_alu instid0(VALU_DEP_4) | instskip(NEXT) | instid1(VALU_DEP_4)
	v_mul_lo_u32 v4, v4, v214
	v_mul_lo_u32 v10, v10, v141
	s_delay_alu instid0(VALU_DEP_2) | instskip(SKIP_3) | instid1(VALU_DEP_4)
	v_cvt_f32_i32_e32 v5, v4
	v_cvt_f32_i32_e32 v4, v6
	s_set_vgpr_msb 4                        ;  msbs: dst=0 src0=0 src1=1 src2=0
	v_pk_fma_f32 v[6:7], v[128:129], v[10:11] /*v[266:267]*/, 0 op_sel_hi:[0,1,0]
	v_cvt_f32_i32_e32 v11, v10
	v_cvt_f32_i32_e32 v10, v12
	s_set_vgpr_msb 1                        ;  msbs: dst=0 src0=1 src1=0 src2=0
	v_pk_fma_f32 v[4:5], v[8:9] /*v[264:265]*/, v[4:5], 0 op_sel_hi:[1,1,0]
	s_set_vgpr_msb 0                        ;  msbs: dst=0 src0=0 src1=0 src2=0
	v_pk_fma_f32 v[6:7], v[126:127], v[8:9], v[6:7] op_sel_hi:[0,1,1]
	s_set_vgpr_msb 1                        ;  msbs: dst=0 src0=1 src1=0 src2=0
	s_delay_alu instid0(VALU_DEP_2) | instskip(SKIP_1) | instid1(VALU_DEP_2)
	v_pk_fma_f32 v[4:5], v[12:13] /*v[268:269]*/, v[10:11], v[4:5]
	s_set_vgpr_msb 0                        ;  msbs: dst=0 src0=0 src1=0 src2=0
	v_pk_mul_f32 v[6:7], v[6:7], v[124:125]
	s_delay_alu instid0(VALU_DEP_1) | instskip(NEXT) | instid1(VALU_DEP_1)
	v_pk_fma_f32 v[4:5], v[4:5], v[116:117], v[6:7] neg_lo:[0,0,1] neg_hi:[0,0,1]
	v_pk_add_f32 v[36:37], v[36:37], v[4:5]
	v_or_b32_e32 v4, s13, v165
	s_delay_alu instid0(VALU_DEP_1)
	v_lshlrev_b32_e32 v5, 2, v4
	s_set_vgpr_msb 64                       ;  msbs: dst=1 src0=0 src1=0 src2=0
	v_lshrrev_b32_e32 v9 /*v265*/, 1, v4
	s_set_vgpr_msb 0                        ;  msbs: dst=0 src0=0 src1=0 src2=0
	ds_load_b128 v[12:15], v5 offset:33280
	ds_load_b128 v[8:11], v5 offset:33296
	ds_load_b128 v[16:19], v5 offset:33312
	ds_load_b128 v[4:7], v5 offset:33328
	s_wait_dscnt 0x3
	v_bfe_i32 v20, v12, 0, 8
	v_perm_b32 v25, v12, v12, 0xc0c0201
	v_perm_b32 v26, v13, v12, 0x6050403
	;; [unrolled: 1-line block ×3, first 2 shown]
	s_set_vgpr_msb 64                       ;  msbs: dst=1 src0=0 src1=0 src2=0
	v_perm_b32 v10 /*v266*/, v15, v14, 0x6050403
	s_set_vgpr_msb 0                        ;  msbs: dst=0 src0=0 src1=0 src2=0
	v_mul_i32_i24_e32 v24, v20, v250
	s_wait_dscnt 0x2
	s_set_vgpr_msb 64                       ;  msbs: dst=1 src0=0 src1=0 src2=0
	v_perm_b32 v11 /*v267*/, v8, v15, 0x6050403
	s_set_vgpr_msb 0                        ;  msbs: dst=0 src0=0 src1=0 src2=0
	v_ashrrev_i32_e32 v21, 24, v8
	v_dot4_i32_iu8 v12, v12, v148, 0 neg_lo:[1,1,0]
	s_wait_dscnt 0x1
	v_bfe_i32 v22, v16, 0, 8
	v_dot4_i32_iu8 v24, v25, v251, v24 neg_lo:[1,1,0]
	s_wait_dscnt 0x0
	v_ashrrev_i32_e32 v23, 24, v4
	v_dot4_i32_iu8 v12, v13, v149, v12 neg_lo:[1,1,0]
	v_perm_b32 v13, v17, v16, 0x6050403
	v_dot4_i32_iu8 v24, v26, v252, v24 neg_lo:[1,1,0]
	s_delay_alu instid0(VALU_DEP_3) | instskip(SKIP_1) | instid1(VALU_DEP_3)
	v_dot4_i32_iu8 v12, v14, v146, v12 neg_lo:[1,1,0]
	v_perm_b32 v14, v18, v17, 0x6050403
	v_dot4_i32_iu8 v24, v27, v253, v24 neg_lo:[1,1,0]
	s_delay_alu instid0(VALU_DEP_3) | instskip(SKIP_2) | instid1(VALU_DEP_3)
	v_dot4_i32_iu8 v12, v15, v147, v12 neg_lo:[1,1,0]
	v_perm_b32 v15, v19, v18, 0x6050403
	s_set_vgpr_msb 1                        ;  msbs: dst=0 src0=1 src1=0 src2=0
	v_dot4_i32_iu8 v24, v10 /*v266*/, v254, v24 neg_lo:[1,1,0]
	s_set_vgpr_msb 0                        ;  msbs: dst=0 src0=0 src1=0 src2=0
	v_dot4_i32_iu8 v8, v8, v144, v12 neg_lo:[1,1,0]
	v_perm_b32 v12, v16, v16, 0xc0c0201
	s_set_vgpr_msb 1                        ;  msbs: dst=0 src0=1 src1=0 src2=0
	v_dot4_i32_iu8 v24, v11 /*v267*/, v255, v24 neg_lo:[1,1,0]
	s_set_vgpr_msb 0                        ;  msbs: dst=0 src0=0 src1=0 src2=0
	v_dot4_i32_iu8 v8, v9, v145, v8 neg_lo:[1,1,0]
	s_delay_alu instid0(VALU_DEP_2) | instskip(SKIP_1) | instid1(VALU_DEP_2)
	v_mad_i32_i24 v24, v249, v21, v24
	s_set_vgpr_msb 64                       ;  msbs: dst=1 src0=0 src1=0 src2=0
	v_dot4_i32_iu8 v8 /*v264*/, v10, v132, v8 neg_lo:[1,1,0]
	s_set_vgpr_msb 0                        ;  msbs: dst=0 src0=0 src1=0 src2=0
	v_mul_i32_i24_e32 v8, v22, v240
	s_set_vgpr_msb 1                        ;  msbs: dst=0 src0=1 src1=0 src2=0
	v_dot4_i32_iu8 v24, v5 /*v261*/, v9, v24 neg_lo:[1,1,0]
	s_set_vgpr_msb 0                        ;  msbs: dst=0 src0=0 src1=0 src2=0
	s_delay_alu instid0(VALU_DEP_2) | instskip(SKIP_1) | instid1(VALU_DEP_2)
	v_dot4_i32_iu8 v8, v12, v232, v8 neg_lo:[1,1,0]
	s_set_vgpr_msb 0x41                     ;  msbs: dst=1 src0=1 src1=0 src2=0
	v_dot4_i32_iu8 v12 /*v268*/, v6 /*v262*/, v10, v24 neg_lo:[1,1,0]
	s_set_vgpr_msb 0                        ;  msbs: dst=0 src0=0 src1=0 src2=0
	v_dot4_i32_iu8 v24, v152, v16, 0 neg_lo:[1,1,0]
	v_dot4_i32_iu8 v8, v13, v234, v8 neg_lo:[1,1,0]
	s_delay_alu instid0(VALU_DEP_2) | instskip(NEXT) | instid1(VALU_DEP_2)
	v_dot4_i32_iu8 v24, v153, v17, v24 neg_lo:[1,1,0]
	v_dot4_i32_iu8 v8, v14, v235, v8 neg_lo:[1,1,0]
	s_delay_alu instid0(VALU_DEP_2) | instskip(NEXT) | instid1(VALU_DEP_2)
	v_dot4_i32_iu8 v24, v154, v18, v24 neg_lo:[1,1,0]
	v_dot4_i32_iu8 v8, v15, v230, v8 neg_lo:[1,1,0]
	s_delay_alu instid0(VALU_DEP_2) | instskip(NEXT) | instid1(VALU_DEP_1)
	v_dot4_i32_iu8 v24, v155, v19, v24 neg_lo:[1,1,0]
	v_dot4_i32_iu8 v24, v156, v4, v24 neg_lo:[1,1,0]
	s_delay_alu instid0(VALU_DEP_1) | instskip(SKIP_1) | instid1(VALU_DEP_1)
	v_dot4_i32_iu8 v24, v157, v5, v24 neg_lo:[1,1,0]
	s_set_vgpr_msb 64                       ;  msbs: dst=1 src0=0 src1=0 src2=0
	v_dot4_i32_iu8 v13 /*v269*/, v134, v6, v24 neg_lo:[1,1,0]
	s_set_vgpr_msb 0                        ;  msbs: dst=0 src0=0 src1=0 src2=0
	v_mul_i32_i24_e32 v24, v20, v220
	s_delay_alu instid0(VALU_DEP_1) | instskip(NEXT) | instid1(VALU_DEP_1)
	v_dot4_i32_iu8 v24, v25, v221, v24 neg_lo:[1,1,0]
	v_dot4_i32_iu8 v24, v26, v224, v24 neg_lo:[1,1,0]
	s_delay_alu instid0(VALU_DEP_1) | instskip(SKIP_1) | instid1(VALU_DEP_1)
	v_dot4_i32_iu8 v24, v27, v225, v24 neg_lo:[1,1,0]
	s_set_vgpr_msb 1                        ;  msbs: dst=0 src0=1 src1=0 src2=0
	v_dot4_i32_iu8 v24, v10 /*v266*/, v226, v24 neg_lo:[1,1,0]
	s_delay_alu instid0(VALU_DEP_1) | instskip(SKIP_1) | instid1(VALU_DEP_1)
	v_dot4_i32_iu8 v24, v11 /*v267*/, v227, v24 neg_lo:[1,1,0]
	s_set_vgpr_msb 0                        ;  msbs: dst=0 src0=0 src1=0 src2=0
	v_mad_i32_i24 v24, v222, v21, v24
	s_set_vgpr_msb 1                        ;  msbs: dst=0 src0=1 src1=0 src2=0
	s_delay_alu instid0(VALU_DEP_1) | instskip(SKIP_1) | instid1(VALU_DEP_1)
	v_dot4_i32_iu8 v24, v3 /*v259*/, v9, v24 neg_lo:[1,1,0]
	s_set_vgpr_msb 0x41                     ;  msbs: dst=1 src0=1 src1=0 src2=0
	v_dot4_i32_iu8 v14 /*v270*/, v4 /*v260*/, v10, v24 neg_lo:[1,1,0]
	s_set_vgpr_msb 0                        ;  msbs: dst=0 src0=0 src1=0 src2=0
	v_dot4_i32_iu8 v24, v16, v205, 0 neg_lo:[1,1,0]
	s_delay_alu instid0(VALU_DEP_1) | instskip(NEXT) | instid1(VALU_DEP_1)
	v_dot4_i32_iu8 v24, v17, v206, v24 neg_lo:[1,1,0]
	v_dot4_i32_iu8 v24, v18, v242, v24 neg_lo:[1,1,0]
	s_delay_alu instid0(VALU_DEP_1) | instskip(NEXT) | instid1(VALU_DEP_1)
	v_dot4_i32_iu8 v24, v19, v243, v24 neg_lo:[1,1,0]
	v_dot4_i32_iu8 v24, v4, v244, v24 neg_lo:[1,1,0]
	v_perm_b32 v4, v4, v19, 0x6050403
	s_delay_alu instid0(VALU_DEP_2) | instskip(NEXT) | instid1(VALU_DEP_2)
	v_dot4_i32_iu8 v24, v5, v245, v24 neg_lo:[1,1,0]
	v_dot4_i32_iu8 v8, v4, v229, v8 neg_lo:[1,1,0]
	s_set_vgpr_msb 64                       ;  msbs: dst=1 src0=0 src1=0 src2=0
	s_delay_alu instid0(VALU_DEP_2) | instskip(SKIP_1) | instid1(VALU_DEP_2)
	v_dot4_i32_iu8 v15 /*v271*/, v6, v246, v24 neg_lo:[1,1,0]
	s_set_vgpr_msb 0                        ;  msbs: dst=0 src0=0 src1=0 src2=0
	v_mad_i32_i24 v8, v228, v23, v8
	s_delay_alu instid0(VALU_DEP_1) | instskip(SKIP_1) | instid1(VALU_DEP_1)
	v_dot4_i32_iu8 v8, v247, v5, v8 neg_lo:[1,1,0]
	s_set_vgpr_msb 64                       ;  msbs: dst=1 src0=0 src1=0 src2=0
	v_dot4_i32_iu8 v7 /*v263*/, v248, v6, v8 neg_lo:[1,1,0]
	s_set_vgpr_msb 0                        ;  msbs: dst=0 src0=0 src1=0 src2=0
	v_mul_i32_i24_e32 v8, v20, v207
	s_delay_alu instid0(VALU_DEP_1) | instskip(NEXT) | instid1(VALU_DEP_1)
	v_dot4_i32_iu8 v8, v25, v208, v8 neg_lo:[1,1,0]
	v_dot4_i32_iu8 v8, v26, v211, v8 neg_lo:[1,1,0]
	s_delay_alu instid0(VALU_DEP_1) | instskip(SKIP_1) | instid1(VALU_DEP_1)
	v_dot4_i32_iu8 v8, v27, v212, v8 neg_lo:[1,1,0]
	s_set_vgpr_msb 1                        ;  msbs: dst=0 src0=1 src1=0 src2=0
	v_dot4_i32_iu8 v8, v10 /*v266*/, v213, v8 neg_lo:[1,1,0]
	s_delay_alu instid0(VALU_DEP_1) | instskip(SKIP_1) | instid1(VALU_DEP_1)
	v_dot4_i32_iu8 v8, v11 /*v267*/, v215, v8 neg_lo:[1,1,0]
	s_set_vgpr_msb 0                        ;  msbs: dst=0 src0=0 src1=0 src2=0
	v_mad_i32_i24 v8, v209, v21, v8
	s_delay_alu instid0(VALU_DEP_1) | instskip(NEXT) | instid1(VALU_DEP_1)
	v_dot4_i32_iu8 v8, v233, v9, v8 neg_lo:[1,1,0]
	v_dot4_i32_iu8 v10, v236, v10, v8 neg_lo:[1,1,0]
	v_mul_i32_i24_e32 v8, v22, v217
	s_delay_alu instid0(VALU_DEP_1) | instskip(NEXT) | instid1(VALU_DEP_1)
	v_dot4_i32_iu8 v8, v12, v218, v8 neg_lo:[1,1,0]
	v_dot4_i32_iu8 v8, v13, v0, v8 neg_lo:[1,1,0]
	s_delay_alu instid0(VALU_DEP_1) | instskip(NEXT) | instid1(VALU_DEP_1)
	v_dot4_i32_iu8 v8, v14, v1, v8 neg_lo:[1,1,0]
	v_dot4_i32_iu8 v8, v15, v2, v8 neg_lo:[1,1,0]
	s_delay_alu instid0(VALU_DEP_1) | instskip(NEXT) | instid1(VALU_DEP_1)
	v_dot4_i32_iu8 v4, v4, v3, v8 neg_lo:[1,1,0]
	v_mad_i32_i24 v4, v216, v23, v4
	s_delay_alu instid0(VALU_DEP_1) | instskip(NEXT) | instid1(VALU_DEP_1)
	v_dot4_i32_iu8 v4, v237, v5, v4 neg_lo:[1,1,0]
	v_dot4_i32_iu8 v6, v238, v6, v4 neg_lo:[1,1,0]
	v_or_b32_e32 v4, s13, v166
	s_delay_alu instid0(VALU_DEP_1)
	v_dual_lshlrev_b32 v5, 2, v4 :: v_dual_lshrrev_b32 v4, 1, v4
	ds_load_b128 v[24:27], v5 offset:33280
	ds_load_b128 v[16:19], v5 offset:33296
	;; [unrolled: 1-line block ×4, first 2 shown]
	s_set_vgpr_msb 1                        ;  msbs: dst=0 src0=1 src1=0 src2=0
	ds_load_b64 v[8:9], v9 /*v265*/ offset:43584
	s_wait_dscnt 0x4
	s_set_vgpr_msb 64                       ;  msbs: dst=1 src0=0 src1=0 src2=0
	v_bfe_i32 v10 /*v266*/, v24, 0, 8
	v_perm_b32 v18 /*v274*/, v24, v24, 0xc0c0201
	v_perm_b32 v19 /*v275*/, v25, v24, 0x6050403
	s_wait_dscnt 0x3
	v_ashrrev_i32_e32 v11 /*v267*/, 24, v16
	s_set_vgpr_msb 0                        ;  msbs: dst=0 src0=0 src1=0 src2=0
	v_dot4_i32_iu8 v24, v24, v148, 0 neg_lo:[1,1,0]
	s_set_vgpr_msb 1                        ;  msbs: dst=0 src0=1 src1=0 src2=0
	v_mul_i32_i24_e32 v5, v10 /*v266*/, v250
	s_wait_dscnt 0x2
	s_set_vgpr_msb 64                       ;  msbs: dst=1 src0=0 src1=0 src2=0
	v_bfe_i32 v16 /*v272*/, v20, 0, 8
	s_wait_dscnt 0x1
	v_ashrrev_i32_e32 v17 /*v273*/, 24, v12
	s_set_vgpr_msb 0                        ;  msbs: dst=0 src0=0 src1=0 src2=0
	v_dot4_i32_iu8 v24, v25, v149, v24 neg_lo:[1,1,0]
	s_set_vgpr_msb 1                        ;  msbs: dst=0 src0=1 src1=0 src2=0
	v_dot4_i32_iu8 v5, v18 /*v274*/, v251, v5 neg_lo:[1,1,0]
	s_set_vgpr_msb 0                        ;  msbs: dst=0 src0=0 src1=0 src2=0
	s_delay_alu instid0(VALU_DEP_2) | instskip(SKIP_1) | instid1(VALU_DEP_2)
	v_dot4_i32_iu8 v24, v26, v146, v24 neg_lo:[1,1,0]
	s_set_vgpr_msb 1                        ;  msbs: dst=0 src0=1 src1=0 src2=0
	v_dot4_i32_iu8 v5, v19 /*v275*/, v252, v5 neg_lo:[1,1,0]
	s_set_vgpr_msb 0                        ;  msbs: dst=0 src0=0 src1=0 src2=0
	v_perm_b32 v252, v26, v25, 0x6050403
	v_dot4_i32_iu8 v24, v27, v147, v24 neg_lo:[1,1,0]
	s_delay_alu instid0(VALU_DEP_2) | instskip(SKIP_2) | instid1(VALU_DEP_2)
	v_dot4_i32_iu8 v5, v252, v253, v5 neg_lo:[1,1,0]
	v_perm_b32 v253, v27, v26, 0x6050403
	v_perm_b32 v26, v20, v20, 0xc0c0201
	v_dot4_i32_iu8 v5, v253, v254, v5 neg_lo:[1,1,0]
	v_perm_b32 v254, v16, v27, 0x6050403
	v_dot4_i32_iu8 v16, v16, v144, v24 neg_lo:[1,1,0]
	s_set_vgpr_msb 1                        ;  msbs: dst=0 src0=1 src1=0 src2=0
	v_mul_i32_i24_e32 v24, v16 /*v272*/, v240
	s_set_vgpr_msb 0                        ;  msbs: dst=0 src0=0 src1=0 src2=0
	v_perm_b32 v27, v21, v20, 0x6050403
	v_dot4_i32_iu8 v5, v254, v255, v5 neg_lo:[1,1,0]
	v_dot4_i32_iu8 v16, v17, v145, v16 neg_lo:[1,1,0]
	v_dot4_i32_iu8 v24, v26, v232, v24 neg_lo:[1,1,0]
	s_set_vgpr_msb 4                        ;  msbs: dst=0 src0=0 src1=1 src2=0
	s_delay_alu instid0(VALU_DEP_3)
	v_mad_i32_i24 v5, v249, v11 /*v267*/, v5
	s_set_vgpr_msb 0                        ;  msbs: dst=0 src0=0 src1=0 src2=0
	v_dot4_i32_iu8 v16, v18, v132, v16 neg_lo:[1,1,0]
	v_perm_b32 v132, v23, v22, 0x6050403
	s_set_vgpr_msb 1                        ;  msbs: dst=0 src0=1 src1=0 src2=0
	v_dot4_i32_iu8 v5, v5 /*v261*/, v17, v5 neg_lo:[1,1,0]
	s_set_vgpr_msb 0                        ;  msbs: dst=0 src0=0 src1=0 src2=0
	v_dot4_i32_iu8 v16, v19, v133, v16 neg_lo:[1,1,0]
	s_set_vgpr_msb 1                        ;  msbs: dst=0 src0=1 src1=0 src2=0
	s_delay_alu instid0(VALU_DEP_2) | instskip(SKIP_3) | instid1(VALU_DEP_2)
	v_dot4_i32_iu8 v249, v6 /*v262*/, v18, v5 neg_lo:[1,1,0]
	s_set_vgpr_msb 0                        ;  msbs: dst=0 src0=0 src1=0 src2=0
	v_dot4_i32_iu8 v5, v152, v20, 0 neg_lo:[1,1,0]
	v_mul_lo_u32 v16, v16, v223
	v_dot4_i32_iu8 v5, v153, v21, v5 neg_lo:[1,1,0]
	s_delay_alu instid0(VALU_DEP_1) | instskip(NEXT) | instid1(VALU_DEP_1)
	v_dot4_i32_iu8 v5, v154, v22, v5 neg_lo:[1,1,0]
	v_dot4_i32_iu8 v5, v155, v23, v5 neg_lo:[1,1,0]
	s_delay_alu instid0(VALU_DEP_1) | instskip(NEXT) | instid1(VALU_DEP_1)
	v_dot4_i32_iu8 v5, v156, v12, v5 neg_lo:[1,1,0]
	v_dot4_i32_iu8 v5, v157, v13, v5 neg_lo:[1,1,0]
	ds_load_b64 v[156:157], v4 offset:43584
	s_wait_dscnt 0x1
	v_lshrrev_b32_e32 v152, 16, v8
	v_cvt_f32_f16_e32 v4, v8
	v_dot4_i32_iu8 v134, v134, v14, v5 neg_lo:[1,1,0]
	s_delay_alu instid0(VALU_DEP_1) | instskip(SKIP_2) | instid1(VALU_DEP_2)
	v_dot4_i32_iu8 v134, v15, v135, v134 neg_lo:[1,1,0]
	s_set_vgpr_msb 16                       ;  msbs: dst=0 src0=0 src1=0 src2=1
	v_dot4_i32_iu8 v135, v7, v135, v13 /*v269*/ neg_lo:[1,1,0]
	v_mul_lo_u32 v134, v134, v151
	s_wait_dscnt 0x0
	v_lshrrev_b32_e32 v8, 16, v156
	v_cvt_f32_f16_e64 v5, v156
	v_cvt_f32_f16_e64 v153, v157
	s_set_vgpr_msb 4                        ;  msbs: dst=0 src0=0 src1=1 src2=0
	v_dot4_i32_iu8 v156, v19, v0 /*v256*/, v249 neg_lo:[1,1,0]
	v_cvt_f32_f16_e64 v155, v8
	s_set_vgpr_msb 0                        ;  msbs: dst=0 src0=0 src1=0 src2=0
	v_lshrrev_b32_e32 v8, 16, v9
	v_cvt_f32_f16_e64 v154, v152
	v_cvt_f32_f16_e64 v152, v9
	v_lshrrev_b32_e32 v9, 16, v157
	s_set_vgpr_msb 20                       ;  msbs: dst=0 src0=0 src1=1 src2=1
	v_dot4_i32_iu8 v157, v11, v0 /*v256*/, v12 /*v268*/ neg_lo:[1,1,0]
	s_set_vgpr_msb 0                        ;  msbs: dst=0 src0=0 src1=0 src2=0
	v_mul_lo_u32 v156, v156, v203
	v_pk_fma_f32 v[250:251], v[136:137], v[154:155], 0 op_sel_hi:[0,1,0]
	v_mul_lo_u32 v136, v135, v151
	v_cvt_f32_f16_e32 v9, v9
	v_mul_lo_u32 v249, v157, v203
	v_cvt_f32_f16_e32 v8, v8
	v_cvt_f32_i32_e32 v135, v134
	v_cvt_f32_i32_e32 v157, v156
	;; [unrolled: 1-line block ×4, first 2 shown]
	s_delay_alu instid0(VALU_DEP_1) | instskip(NEXT) | instid1(VALU_DEP_1)
	v_pk_fma_f32 v[156:157], v[4:5], v[156:157], 0 op_sel_hi:[1,1,0]
	v_pk_fma_f32 v[134:135], v[152:153], v[134:135], v[156:157]
	v_pk_fma_f32 v[156:157], v[130:131], v[8:9], v[250:251] op_sel_hi:[0,1,1]
	s_set_vgpr_msb 1                        ;  msbs: dst=0 src0=1 src1=0 src2=0
	v_mul_i32_i24_e32 v130, v10 /*v266*/, v220
	s_set_vgpr_msb 0                        ;  msbs: dst=0 src0=0 src1=0 src2=0
	s_delay_alu instid0(VALU_DEP_2) | instskip(SKIP_1) | instid1(VALU_DEP_2)
	v_pk_mul_f32 v[156:157], v[156:157], v[118:119]
	s_set_vgpr_msb 1                        ;  msbs: dst=0 src0=1 src1=0 src2=0
	v_dot4_i32_iu8 v130, v18 /*v274*/, v221, v130 neg_lo:[1,1,0]
	s_set_vgpr_msb 0                        ;  msbs: dst=0 src0=0 src1=0 src2=0
	s_delay_alu instid0(VALU_DEP_2) | instskip(SKIP_1) | instid1(VALU_DEP_2)
	v_pk_fma_f32 v[134:135], v[134:135], v[110:111], v[156:157] neg_lo:[0,0,1] neg_hi:[0,0,1]
	s_set_vgpr_msb 1                        ;  msbs: dst=0 src0=1 src1=0 src2=0
	v_dot4_i32_iu8 v130, v19 /*v275*/, v224, v130 neg_lo:[1,1,0]
	s_set_vgpr_msb 0                        ;  msbs: dst=0 src0=0 src1=0 src2=0
	v_pk_fma_f32 v[156:157], v[140:141], v[154:155], 0 op_sel_hi:[0,1,0]
	v_pk_add_f32 v[34:35], v[34:35], v[134:135]
	s_delay_alu instid0(VALU_DEP_3) | instskip(SKIP_3) | instid1(VALU_DEP_4)
	v_dot4_i32_iu8 v130, v252, v225, v130 neg_lo:[1,1,0]
	v_dot4_i32_iu8 v134, v20, v205, 0 neg_lo:[1,1,0]
	;; [unrolled: 1-line block ×3, first 2 shown]
	v_pk_fma_f32 v[150:151], v[150:151], v[8:9], v[156:157] op_sel_hi:[0,1,1]
	v_dot4_i32_iu8 v130, v253, v226, v130 neg_lo:[1,1,0]
	s_delay_alu instid0(VALU_DEP_4) | instskip(NEXT) | instid1(VALU_DEP_3)
	v_dot4_i32_iu8 v134, v21, v206, v134 neg_lo:[1,1,0]
	v_pk_mul_f32 v[150:151], v[150:151], v[120:121]
	s_delay_alu instid0(VALU_DEP_3) | instskip(NEXT) | instid1(VALU_DEP_3)
	v_dot4_i32_iu8 v130, v254, v227, v130 neg_lo:[1,1,0]
	v_dot4_i32_iu8 v134, v22, v242, v134 neg_lo:[1,1,0]
	s_set_vgpr_msb 4                        ;  msbs: dst=0 src0=0 src1=1 src2=0
	s_delay_alu instid0(VALU_DEP_2) | instskip(SKIP_1) | instid1(VALU_DEP_2)
	v_mad_i32_i24 v130, v222, v11 /*v267*/, v130
	s_set_vgpr_msb 0                        ;  msbs: dst=0 src0=0 src1=0 src2=0
	v_dot4_i32_iu8 v134, v23, v243, v134 neg_lo:[1,1,0]
	s_set_vgpr_msb 1                        ;  msbs: dst=0 src0=1 src1=0 src2=0
	s_delay_alu instid0(VALU_DEP_2) | instskip(SKIP_1) | instid1(VALU_DEP_2)
	v_dot4_i32_iu8 v130, v3 /*v259*/, v17, v130 neg_lo:[1,1,0]
	s_set_vgpr_msb 0                        ;  msbs: dst=0 src0=0 src1=0 src2=0
	v_dot4_i32_iu8 v134, v12, v244, v134 neg_lo:[1,1,0]
	v_perm_b32 v12, v12, v23, 0x6050403
	s_set_vgpr_msb 1                        ;  msbs: dst=0 src0=1 src1=0 src2=0
	v_dot4_i32_iu8 v130, v4 /*v260*/, v18, v130 neg_lo:[1,1,0]
	s_set_vgpr_msb 0                        ;  msbs: dst=0 src0=0 src1=0 src2=0
	v_dot4_i32_iu8 v134, v13, v245, v134 neg_lo:[1,1,0]
	s_set_vgpr_msb 4                        ;  msbs: dst=0 src0=0 src1=1 src2=0
	s_delay_alu instid0(VALU_DEP_2) | instskip(SKIP_1) | instid1(VALU_DEP_2)
	v_dot4_i32_iu8 v130, v19, v1 /*v257*/, v130 neg_lo:[1,1,0]
	s_set_vgpr_msb 0                        ;  msbs: dst=0 src0=0 src1=0 src2=0
	v_dot4_i32_iu8 v136, v14, v246, v134 neg_lo:[1,1,0]
	s_set_vgpr_msb 20                       ;  msbs: dst=0 src0=0 src1=1 src2=1
	v_dot4_i32_iu8 v134, v11, v1 /*v257*/, v14 /*v270*/ neg_lo:[1,1,0]
	s_set_vgpr_msb 0                        ;  msbs: dst=0 src0=0 src1=0 src2=0
	v_mul_lo_u32 v130, v130, v204
	s_delay_alu instid0(VALU_DEP_2) | instskip(NEXT) | instid1(VALU_DEP_2)
	v_mul_lo_u32 v134, v134, v204
	v_cvt_f32_i32_e32 v135, v130
	s_set_vgpr_msb 4                        ;  msbs: dst=0 src0=0 src1=1 src2=0
	v_dot4_i32_iu8 v130, v15, v2 /*v258*/, v136 neg_lo:[1,1,0]
	s_delay_alu instid0(VALU_DEP_3)
	v_cvt_f32_i32_e32 v134, v134
	s_set_vgpr_msb 20                       ;  msbs: dst=0 src0=0 src1=1 src2=1
	v_dot4_i32_iu8 v136, v7, v2 /*v258*/, v15 /*v271*/ neg_lo:[1,1,0]
	s_set_vgpr_msb 0                        ;  msbs: dst=0 src0=0 src1=0 src2=0
	v_mul_lo_u32 v130, v130, v241
	v_pk_fma_f32 v[134:135], v[4:5], v[134:135], 0 op_sel_hi:[1,1,0]
	s_delay_alu instid0(VALU_DEP_3) | instskip(NEXT) | instid1(VALU_DEP_3)
	v_mul_lo_u32 v136, v136, v241
	v_cvt_f32_i32_e32 v205, v130
	v_perm_b32 v130, v22, v21, 0x6050403
	v_cvt_f32_i32_e32 v21, v16
	v_pk_fma_f32 v[22:23], v[138:139], v[154:155], 0 op_sel_hi:[0,1,0]
	v_cvt_f32_i32_e32 v204, v136
	s_delay_alu instid0(VALU_DEP_4) | instskip(NEXT) | instid1(VALU_DEP_3)
	v_dot4_i32_iu8 v20, v130, v235, v20 neg_lo:[1,1,0]
	v_pk_fma_f32 v[22:23], v[142:143], v[8:9], v[22:23] op_sel_hi:[0,1,1]
	s_delay_alu instid0(VALU_DEP_3) | instskip(NEXT) | instid1(VALU_DEP_3)
	v_pk_fma_f32 v[134:135], v[152:153], v[204:205], v[134:135]
	v_dot4_i32_iu8 v20, v132, v230, v20 neg_lo:[1,1,0]
	s_delay_alu instid0(VALU_DEP_3) | instskip(NEXT) | instid1(VALU_DEP_3)
	v_pk_mul_f32 v[22:23], v[22:23], v[122:123]
	v_pk_fma_f32 v[134:135], v[134:135], v[112:113], v[150:151] neg_lo:[0,0,1] neg_hi:[0,0,1]
	s_delay_alu instid0(VALU_DEP_3) | instskip(NEXT) | instid1(VALU_DEP_2)
	v_dot4_i32_iu8 v20, v12, v229, v20 neg_lo:[1,1,0]
	v_pk_add_f32 v[32:33], v[32:33], v[134:135]
	s_set_vgpr_msb 4                        ;  msbs: dst=0 src0=0 src1=1 src2=0
	s_delay_alu instid0(VALU_DEP_2) | instskip(SKIP_1) | instid1(VALU_DEP_1)
	v_mad_i32_i24 v20, v228, v17 /*v273*/, v20
	s_set_vgpr_msb 0                        ;  msbs: dst=0 src0=0 src1=0 src2=0
	v_dot4_i32_iu8 v20, v247, v13, v20 neg_lo:[1,1,0]
	s_delay_alu instid0(VALU_DEP_1) | instskip(SKIP_3) | instid1(VALU_DEP_2)
	v_dot4_i32_iu8 v24, v248, v14, v20 neg_lo:[1,1,0]
	s_set_vgpr_msb 16                       ;  msbs: dst=0 src0=0 src1=0 src2=1
	v_dot4_i32_iu8 v20, v11, v133, v8 /*v264*/ neg_lo:[1,1,0]
	s_set_vgpr_msb 0                        ;  msbs: dst=0 src0=0 src1=0 src2=0
	v_dot4_i32_iu8 v16, v15, v231, v24 neg_lo:[1,1,0]
	s_delay_alu instid0(VALU_DEP_2) | instskip(SKIP_2) | instid1(VALU_DEP_3)
	v_mul_lo_u32 v20, v20, v223
	s_set_vgpr_msb 16                       ;  msbs: dst=0 src0=0 src1=0 src2=1
	v_dot4_i32_iu8 v24, v7, v231, v7 /*v263*/ neg_lo:[1,1,0]
	v_mul_lo_u32 v16, v16, v210
	s_delay_alu instid0(VALU_DEP_2) | instskip(NEXT) | instid1(VALU_DEP_4)
	v_mul_lo_u32 v24, v24, v210
	v_cvt_f32_i32_e32 v20, v20
	s_delay_alu instid0(VALU_DEP_3)
	v_cvt_f32_i32_e32 v25, v16
	s_set_vgpr_msb 1                        ;  msbs: dst=0 src0=1 src1=0 src2=0
	v_mul_i32_i24_e32 v16, v10 /*v266*/, v207
	s_set_vgpr_msb 0                        ;  msbs: dst=0 src0=0 src1=0 src2=0
	v_pk_fma_f32 v[20:21], v[4:5], v[20:21], 0 op_sel_hi:[1,1,0]
	v_cvt_f32_i32_e32 v24, v24
	s_set_vgpr_msb 1                        ;  msbs: dst=0 src0=1 src1=0 src2=0
	v_dot4_i32_iu8 v16, v18 /*v274*/, v208, v16 neg_lo:[1,1,0]
	s_set_vgpr_msb 0                        ;  msbs: dst=0 src0=0 src1=0 src2=0
	s_delay_alu instid0(VALU_DEP_2) | instskip(SKIP_1) | instid1(VALU_DEP_2)
	v_pk_fma_f32 v[20:21], v[152:153], v[24:25], v[20:21]
	s_set_vgpr_msb 1                        ;  msbs: dst=0 src0=1 src1=0 src2=0
	v_dot4_i32_iu8 v16, v19 /*v275*/, v211, v16 neg_lo:[1,1,0]
	s_set_vgpr_msb 0                        ;  msbs: dst=0 src0=0 src1=0 src2=0
	s_delay_alu instid0(VALU_DEP_2) | instskip(NEXT) | instid1(VALU_DEP_2)
	v_pk_fma_f32 v[20:21], v[20:21], v[114:115], v[22:23] neg_lo:[0,0,1] neg_hi:[0,0,1]
	v_dot4_i32_iu8 v16, v252, v212, v16 neg_lo:[1,1,0]
	s_delay_alu instid0(VALU_DEP_2) | instskip(NEXT) | instid1(VALU_DEP_2)
	v_pk_add_f32 v[30:31], v[30:31], v[20:21]
	v_dot4_i32_iu8 v16, v253, v213, v16 neg_lo:[1,1,0]
	s_delay_alu instid0(VALU_DEP_1) | instskip(SKIP_1) | instid1(VALU_DEP_1)
	v_dot4_i32_iu8 v16, v254, v215, v16 neg_lo:[1,1,0]
	s_set_vgpr_msb 4                        ;  msbs: dst=0 src0=0 src1=1 src2=0
	v_mad_i32_i24 v16, v209, v11 /*v267*/, v16
	s_set_vgpr_msb 0                        ;  msbs: dst=0 src0=0 src1=0 src2=0
	s_delay_alu instid0(VALU_DEP_1) | instskip(SKIP_3) | instid1(VALU_DEP_2)
	v_dot4_i32_iu8 v16, v233, v17, v16 neg_lo:[1,1,0]
	s_set_vgpr_msb 1                        ;  msbs: dst=0 src0=1 src1=0 src2=0
	v_mul_i32_i24_e32 v17, v16 /*v272*/, v217
	s_set_vgpr_msb 0                        ;  msbs: dst=0 src0=0 src1=0 src2=0
	v_dot4_i32_iu8 v16, v236, v18, v16 neg_lo:[1,1,0]
	s_delay_alu instid0(VALU_DEP_2) | instskip(NEXT) | instid1(VALU_DEP_1)
	v_dot4_i32_iu8 v17, v26, v218, v17 neg_lo:[1,1,0]
	v_dot4_i32_iu8 v0, v27, v0, v17 neg_lo:[1,1,0]
	s_delay_alu instid0(VALU_DEP_1) | instskip(SKIP_1) | instid1(VALU_DEP_2)
	v_dot4_i32_iu8 v0, v130, v1, v0 neg_lo:[1,1,0]
	v_dot4_i32_iu8 v1, v11, v239, v10 neg_lo:[1,1,0]
	;; [unrolled: 1-line block ×3, first 2 shown]
	s_delay_alu instid0(VALU_DEP_2) | instskip(NEXT) | instid1(VALU_DEP_2)
	v_mul_lo_u32 v2, v1, v214
	v_dot4_i32_iu8 v0, v12, v3, v0 neg_lo:[1,1,0]
	s_set_vgpr_msb 4                        ;  msbs: dst=0 src0=0 src1=1 src2=0
	s_delay_alu instid0(VALU_DEP_1) | instskip(SKIP_1) | instid1(VALU_DEP_1)
	v_mad_i32_i24 v0, v216, v17 /*v273*/, v0
	s_set_vgpr_msb 0                        ;  msbs: dst=0 src0=0 src1=0 src2=0
	v_dot4_i32_iu8 v0, v237, v13, v0 neg_lo:[1,1,0]
	s_delay_alu instid0(VALU_DEP_1) | instskip(SKIP_1) | instid1(VALU_DEP_1)
	v_dot4_i32_iu8 v12, v238, v14, v0 neg_lo:[1,1,0]
	v_dot4_i32_iu8 v0, v19, v239, v16 neg_lo:[1,1,0]
	v_mul_lo_u32 v0, v0, v214
	s_delay_alu instid0(VALU_DEP_1) | instskip(SKIP_2) | instid1(VALU_DEP_2)
	v_cvt_f32_i32_e32 v1, v0
	v_cvt_f32_i32_e32 v0, v2
	v_pk_fma_f32 v[2:3], v[128:129], v[154:155], 0 op_sel_hi:[0,1,0]
	v_pk_fma_f32 v[0:1], v[4:5], v[0:1], 0 op_sel_hi:[1,1,0]
	v_dot4_i32_iu8 v4, v15, v219, v12 neg_lo:[1,1,0]
	v_dot4_i32_iu8 v5, v7, v219, v6 neg_lo:[1,1,0]
	s_delay_alu instid0(VALU_DEP_4) | instskip(NEXT) | instid1(VALU_DEP_3)
	v_pk_fma_f32 v[2:3], v[126:127], v[8:9], v[2:3] op_sel_hi:[0,1,1]
	v_mul_lo_u32 v4, v4, v141
	s_delay_alu instid0(VALU_DEP_3) | instskip(NEXT) | instid1(VALU_DEP_3)
	v_mul_lo_u32 v6, v5, v141
	v_pk_mul_f32 v[2:3], v[2:3], v[124:125]
	s_delay_alu instid0(VALU_DEP_3) | instskip(NEXT) | instid1(VALU_DEP_3)
	v_cvt_f32_i32_e32 v5, v4
	v_cvt_f32_i32_e32 v4, v6
	s_delay_alu instid0(VALU_DEP_1) | instskip(NEXT) | instid1(VALU_DEP_1)
	v_pk_fma_f32 v[0:1], v[152:153], v[4:5], v[0:1]
	v_pk_fma_f32 v[0:1], v[0:1], v[116:117], v[2:3] neg_lo:[0,0,1] neg_hi:[0,0,1]
	s_delay_alu instid0(VALU_DEP_1)
	v_pk_add_f32 v[28:29], v[28:29], v[0:1]
	s_cbranch_vccnz .LBB173_6
; %bb.7:                                ;   in Loop: Header=BB173_5 Depth=1
	v_add_nc_u32_e32 v8, s5, v129
	s_barrier_signal -1
	s_barrier_wait -1
	s_delay_alu instid0(VALU_DEP_1) | instskip(SKIP_3) | instid1(VALU_DEP_4)
	v_dual_add_nc_u32 v6, v8, v127 :: v_dual_add_nc_u32 v14, v8, v109
	v_dual_add_nc_u32 v0, v8, v95 :: v_dual_add_nc_u32 v2, v8, v97
	;; [unrolled: 1-line block ×4, first 2 shown]
	v_mad_nc_i64_i32 v[6:7], v6, 36, v[104:105]
	s_delay_alu instid0(VALU_DEP_4)
	v_mad_nc_i64_i32 v[0:1], v0, 36, v[104:105]
	v_add_nc_u32_e32 v12, v8, v107
	v_mad_nc_i64_i32 v[2:3], v2, 36, v[104:105]
	v_mad_nc_i64_i32 v[4:5], v4, 36, v[104:105]
	;; [unrolled: 1-line block ×6, first 2 shown]
	v_mad_nc_u64_u32 v[16:17], v16, 36, s[2:3]
	s_clause 0x8
	global_load_b32 v18, v[6:7], off offset:4
	global_load_b32 v19, v[0:1], off offset:4
	;; [unrolled: 1-line block ×8, first 2 shown]
	global_load_b32 v26, v[16:17], off
	s_mov_b32 s5, 16
	s_wait_loadcnt 0x8
	ds_store_b32 v177, v18
	s_wait_loadcnt 0x7
	ds_store_b32 v170, v19
	;; [unrolled: 2-line block ×9, first 2 shown]
	s_wait_dscnt 0x0
	s_barrier_signal -1
	s_barrier_wait -1
	ds_load_b32 v0, v139
	ds_load_b32 v1, v143 offset:128
	ds_load_b32 v2, v158 offset:256
	;; [unrolled: 1-line block ×3, first 2 shown]
	s_wait_dscnt 0x3
	v_cvt_f32_f16_e32 v22, v0
	v_lshrrev_b32_e32 v0, 16, v0
	s_wait_dscnt 0x2
	v_cvt_f32_f16_e32 v24, v1
	v_lshrrev_b32_e32 v1, 16, v1
	s_wait_dscnt 0x1
	v_cvt_f32_f16_e32 v26, v2
	s_wait_dscnt 0x0
	v_dual_lshrrev_b32 v2, 16, v2 :: v_dual_lshrrev_b32 v4, 16, v3
	v_cvt_f32_f16_e32 v110, v3
	v_cvt_f32_f16_e32 v112, v0
	;; [unrolled: 1-line block ×3, first 2 shown]
	s_delay_alu instid0(VALU_DEP_4) | instskip(SKIP_4) | instid1(VALU_DEP_4)
	v_cvt_f32_f16_e32 v116, v2
	v_cvt_f32_f16_e32 v118, v4
	v_dual_mov_b32 v23, v22 :: v_dual_mov_b32 v25, v24
	v_dual_mov_b32 v27, v26 :: v_dual_mov_b32 v111, v110
	;; [unrolled: 1-line block ×4, first 2 shown]
.LBB173_8:                              ;   Parent Loop BB173_5 Depth=1
                                        ; =>  This Inner Loop Header: Depth=2
	s_lshr_b32 s12, s5, 2
	s_lshl_b32 s16, s5, 3
	s_and_b32 s13, s12, 0x3ffffffe
	s_lshl_b32 s12, s5, 1
	s_add_co_i32 s13, s13, 0xa200
	s_and_b32 s12, s12, 16
	s_delay_alu instid0(SALU_CYCLE_1)
	v_dual_add_nc_u32 v216, s16, v182 :: v_dual_bitop2_b32 v0, s12, v77 bitop3:0x54
	v_add3_u32 v16, s13, v186, v178
	v_add_nc_u32_e32 v132, s16, v183
	v_add3_u32 v128, s13, v187, v167
	s_set_vgpr_msb 64                       ;  msbs: dst=1 src0=0 src1=0 src2=0
	v_dual_add_nc_u32 v22 /*v278*/, s16, v184 :: v_dual_add_nc_u32 v38 /*v294*/, s16, v185
	s_set_vgpr_msb 0                        ;  msbs: dst=0 src0=0 src1=0 src2=0
	v_dual_lshlrev_b32 v8, 2, v0 :: v_dual_lshrrev_b32 v19, 1, v0
	s_set_vgpr_msb 64                       ;  msbs: dst=1 src0=0 src1=0 src2=0
	v_add3_u32 v37 /*v293*/, s13, v180, v169
	s_set_vgpr_msb 0                        ;  msbs: dst=0 src0=0 src1=0 src2=0
	ds_load_b128 v[12:15], v8 offset:33280
	ds_load_b128 v[0:3], v8 offset:33296
	ds_load_b128 v[4:7], v8 offset:33312
	ds_load_b128 v[8:11], v8 offset:33328
	ds_load_2addr_b32 v[20:21], v216 offset1:1
	ds_load_2addr_b32 v[120:121], v216 offset0:2 offset1:3
	ds_load_b32 v148, v216 offset:16
	ds_load_b96 v[136:138], v216 offset:19
	ds_load_i8 v220, v216 offset:31
	s_wait_dscnt 0x8
	v_bfe_i32 v130, v12, 0, 8
	v_perm_b32 v223, v13, v12, 0x4030201
	v_perm_b32 v241, v14, v13, 0x4030201
	v_perm_b32 v242, v15, v14, 0x4030201
	s_wait_dscnt 0x4
	v_bfe_i32 v150, v20, 0, 8
	v_perm_b32 v18, v21, v20, 0x4030201
	v_perm_b32 v250, v0, v15, 0x4030201
	;; [unrolled: 1-line block ×4, first 2 shown]
	v_mul_i32_i24_e32 v17, v150, v130
	v_perm_b32 v255, v1, v1, 0xc0c0201
	s_set_vgpr_msb 64                       ;  msbs: dst=1 src0=0 src1=0 src2=0
	v_perm_b32 v0 /*v256*/, v2, v1, 0xc0c0403
	v_perm_b32 v1 /*v257*/, v2, v2, 0xc0c0201
	;; [unrolled: 1-line block ×3, first 2 shown]
	s_set_vgpr_msb 0                        ;  msbs: dst=0 src0=0 src1=0 src2=0
	v_dot4_i32_iu8 v17, v18, v223, v17 neg_lo:[1,1,0]
	s_wait_dscnt 0x3
	v_perm_b32 v18, v120, v21, 0x4030201
	v_bfe_i32 v152, v4, 0, 8
	v_perm_b32 v153, v5, v4, 0x4030201
	s_set_vgpr_msb 64                       ;  msbs: dst=1 src0=0 src1=0 src2=0
	v_perm_b32 v9 /*v265*/, v20, v20, 0xc0c0201
	v_perm_b32 v10 /*v266*/, v21, v20, 0x6050403
	s_set_vgpr_msb 0                        ;  msbs: dst=0 src0=0 src1=0 src2=0
	v_dot4_i32_iu8 v17, v18, v241, v17 neg_lo:[1,1,0]
	v_perm_b32 v18, v121, v120, 0x4030201
	s_set_vgpr_msb 64                       ;  msbs: dst=1 src0=0 src1=0 src2=0
	v_perm_b32 v11 /*v267*/, v120, v21, 0x6050403
	v_perm_b32 v12 /*v268*/, v121, v120, 0x6050403
	;; [unrolled: 1-line block ×4, first 2 shown]
	s_set_vgpr_msb 0                        ;  msbs: dst=0 src0=0 src1=0 src2=0
	v_dot4_i32_iu8 v17, v18, v242, v17 neg_lo:[1,1,0]
	s_wait_dscnt 0x2
	v_perm_b32 v18, v148, v121, 0x4030201
	s_wait_dscnt 0x1
	v_bfe_i32 v149, v136, 0, 8
	s_set_vgpr_msb 64                       ;  msbs: dst=1 src0=0 src1=0 src2=0
	v_perm_b32 v46 /*v302*/, v9, v8, 0x4030201
	v_perm_b32 v13 /*v269*/, v136, v136, 0xc0c0201
	;; [unrolled: 1-line block ×3, first 2 shown]
	s_set_vgpr_msb 0                        ;  msbs: dst=0 src0=0 src1=0 src2=0
	v_dot4_i32_iu8 v17, v18, v250, v17 neg_lo:[1,1,0]
	v_perm_b32 v18, v148, v148, 0xc0c0201
	s_set_vgpr_msb 64                       ;  msbs: dst=1 src0=0 src1=0 src2=0
	v_perm_b32 v14 /*v270*/, v137, v136, 0x6050403
	v_bfe_i32 v15 /*v271*/, v3, 8, 8
	s_set_vgpr_msb 0                        ;  msbs: dst=0 src0=0 src1=0 src2=0
	v_bfe_i32 v221, v138, 16, 8
	v_perm_b32 v252, v138, v137, 0x6050403
	v_dot4_i32_iu8 v17, v253, v18, v17 neg_lo:[1,1,0]
	v_perm_b32 v18, v136, v136, 0xc0c0100
	s_set_vgpr_msb 64                       ;  msbs: dst=1 src0=0 src1=0 src2=0
	v_perm_b32 v61 /*v317*/, v3, v3, 0xc0c0302
	v_bfe_i32 v23 /*v279*/, v11, 0, 8
	s_set_vgpr_msb 0                        ;  msbs: dst=0 src0=0 src1=0 src2=0
	v_bfe_i32 v142, v12, 8, 8
	v_perm_b32 v12, v13, v12, 0x5040302
	v_dot4_i32_iu8 v17, v254, v18, v17 neg_lo:[1,1,0]
	v_perm_b32 v18, v136, v136, 0xc0c0302
	s_delay_alu instid0(VALU_DEP_1) | instskip(SKIP_2) | instid1(VALU_DEP_1)
	v_dot4_i32_iu8 v17, v255, v18, v17 neg_lo:[1,1,0]
	v_perm_b32 v18, v137, v137, 0xc0c0100
	s_set_vgpr_msb 1                        ;  msbs: dst=0 src0=1 src1=0 src2=0
	v_dot4_i32_iu8 v17, v0 /*v256*/, v18, v17 neg_lo:[1,1,0]
	s_set_vgpr_msb 0                        ;  msbs: dst=0 src0=0 src1=0 src2=0
	v_perm_b32 v18, v137, v137, 0xc0c0302
	s_set_vgpr_msb 1                        ;  msbs: dst=0 src0=1 src1=0 src2=0
	s_delay_alu instid0(VALU_DEP_1) | instskip(SKIP_3) | instid1(VALU_DEP_1)
	v_dot4_i32_iu8 v17, v1 /*v257*/, v18, v17 neg_lo:[1,1,0]
	s_set_vgpr_msb 0                        ;  msbs: dst=0 src0=0 src1=0 src2=0
	v_perm_b32 v18, v138, v138, 0xc0c0100
	s_set_vgpr_msb 1                        ;  msbs: dst=0 src0=1 src1=0 src2=0
	v_dot4_i32_iu8 v222, v2 /*v258*/, v18, v17 neg_lo:[1,1,0]
	s_set_vgpr_msb 0                        ;  msbs: dst=0 src0=0 src1=0 src2=0
	ds_load_u16 v17, v16
	ds_load_u16 v16, v16 offset:8
	ds_load_2addr_b32 v[124:125], v216 offset0:14 offset1:15
	ds_load_2addr_b32 v[248:249], v132 offset1:1
	s_wait_dscnt 0x3
	v_lshrrev_b16 v18, 8, v17
	v_and_b32_e32 v154, 0xff, v17
	s_wait_dscnt 0x2
	v_cvt_f32_ubyte0_e32 v126, v16
	v_cvt_f32_ubyte1_e32 v122, v16
	s_wait_dscnt 0x0
	v_bfe_i32 v156, v248, 0, 8
	v_and_b32_e32 v123, 0xffff, v18
	ds_load_2addr_b32 v[134:135], v132 offset0:2 offset1:3
	ds_load_b32 v155, v132 offset:16
	ds_load_b128 v[224:227], v132 offset:19
	ds_load_b128 v[144:147], v132 offset:35
	ds_load_b96 v[16:18], v132 offset:51
	s_set_vgpr_msb 64                       ;  msbs: dst=1 src0=0 src1=0 src2=0
	ds_load_i8 v36 /*v292*/, v132 offset:63
	s_set_vgpr_msb 0                        ;  msbs: dst=0 src0=0 src1=0 src2=0
	v_perm_b32 v132, v249, v248, 0x4030201
	v_bfe_i32 v236, v125, 0, 8
	v_mul_i32_i24_e32 v133, v156, v130
	s_delay_alu instid0(VALU_DEP_1)
	v_dot4_i32_iu8 v132, v132, v223, v133 neg_lo:[1,1,0]
	s_wait_dscnt 0x5
	v_perm_b32 v133, v134, v249, 0x4030201
	s_wait_dscnt 0x3
	v_bfe_i32 v204, v227, 8, 8
	s_wait_dscnt 0x2
	v_perm_b32 v205, v144, v227, 0x5040302
	v_bfe_i32 v157, v224, 0, 8
	v_dot4_i32_iu8 v132, v133, v241, v132 neg_lo:[1,1,0]
	v_perm_b32 v133, v135, v134, 0x4030201
	s_set_vgpr_msb 64                       ;  msbs: dst=1 src0=0 src1=0 src2=0
	v_bfe_i32 v3 /*v259*/, v226, 16, 8
	s_set_vgpr_msb 0                        ;  msbs: dst=0 src0=0 src1=0 src2=0
	s_delay_alu instid0(VALU_DEP_2) | instskip(SKIP_1) | instid1(VALU_DEP_1)
	v_dot4_i32_iu8 v132, v133, v242, v132 neg_lo:[1,1,0]
	v_perm_b32 v133, v155, v135, 0x4030201
	v_dot4_i32_iu8 v132, v133, v250, v132 neg_lo:[1,1,0]
	v_perm_b32 v133, v155, v155, 0xc0c0201
	s_delay_alu instid0(VALU_DEP_1) | instskip(SKIP_1) | instid1(VALU_DEP_1)
	v_dot4_i32_iu8 v132, v253, v133, v132 neg_lo:[1,1,0]
	v_perm_b32 v133, v224, v224, 0xc0c0100
	v_dot4_i32_iu8 v132, v254, v133, v132 neg_lo:[1,1,0]
	v_perm_b32 v133, v224, v224, 0xc0c0302
	s_delay_alu instid0(VALU_DEP_1) | instskip(SKIP_2) | instid1(VALU_DEP_1)
	v_dot4_i32_iu8 v132, v255, v133, v132 neg_lo:[1,1,0]
	v_perm_b32 v133, v225, v225, 0xc0c0100
	s_set_vgpr_msb 1                        ;  msbs: dst=0 src0=1 src1=0 src2=0
	v_dot4_i32_iu8 v132, v0 /*v256*/, v133, v132 neg_lo:[1,1,0]
	s_set_vgpr_msb 0                        ;  msbs: dst=0 src0=0 src1=0 src2=0
	v_perm_b32 v133, v225, v225, 0xc0c0302
	s_set_vgpr_msb 1                        ;  msbs: dst=0 src0=1 src1=0 src2=0
	s_delay_alu instid0(VALU_DEP_1) | instskip(SKIP_3) | instid1(VALU_DEP_1)
	v_dot4_i32_iu8 v132, v1 /*v257*/, v133, v132 neg_lo:[1,1,0]
	s_set_vgpr_msb 0                        ;  msbs: dst=0 src0=0 src1=0 src2=0
	v_perm_b32 v133, v226, v226, 0xc0c0100
	s_set_vgpr_msb 0x41                     ;  msbs: dst=1 src0=1 src1=0 src2=0
	v_dot4_i32_iu8 v4 /*v260*/, v2 /*v258*/, v133, v132 neg_lo:[1,1,0]
	s_set_vgpr_msb 0                        ;  msbs: dst=0 src0=0 src1=0 src2=0
	ds_load_u16 v132, v128
	s_set_vgpr_msb 64                       ;  msbs: dst=1 src0=0 src1=0 src2=0
	ds_load_u16 v20 /*v276*/, v128 offset:8
	s_set_vgpr_msb 0                        ;  msbs: dst=0 src0=0 src1=0 src2=0
	v_or_b32_e32 v133, s12, v160
	s_delay_alu instid0(VALU_DEP_1)
	v_dual_lshlrev_b32 v217, 2, v133 :: v_dual_lshrrev_b32 v218, 1, v133
	s_wait_dscnt 0x1
	s_set_vgpr_msb 64                       ;  msbs: dst=1 src0=0 src1=0 src2=0
	v_lshrrev_b16 v21 /*v277*/, 8, v132
	s_set_vgpr_msb 0                        ;  msbs: dst=0 src0=0 src1=0 src2=0
	v_and_b32_e32 v203, 0xff, v132
	v_mul_i32_i24_e32 v132, v204, v152
	s_wait_dscnt 0x0
	s_set_vgpr_msb 1                        ;  msbs: dst=0 src0=1 src1=0 src2=0
	v_cvt_f32_ubyte0_e32 v128, v20 /*v276*/
	s_set_vgpr_msb 0                        ;  msbs: dst=0 src0=0 src1=0 src2=0
	v_dot4_i32_iu8 v237, v205, v153, v132 neg_lo:[1,1,0]
	v_add3_u32 v132, s13, v179, v168
	ds_load_b64 v[140:141], v19 offset:43584
	s_set_vgpr_msb 1                        ;  msbs: dst=0 src0=1 src1=0 src2=0
	ds_load_2addr_b32 v[206:207], v22 /*v278*/ offset1:1
	ds_load_2addr_b32 v[208:209], v22 /*v278*/ offset0:2 offset1:3
	ds_load_2addr_b32 v[210:211], v22 /*v278*/ offset0:4 offset1:5
	s_set_vgpr_msb 0x41                     ;  msbs: dst=1 src0=1 src1=0 src2=0
	ds_load_2addr_b32 v[24:25] /*v[280:281]*/, v22 /*v278*/ offset0:6 offset1:7
	s_set_vgpr_msb 0                        ;  msbs: dst=0 src0=0 src1=0 src2=0
	ds_load_u16 v19, v132
	s_set_vgpr_msb 64                       ;  msbs: dst=1 src0=0 src1=0 src2=0
	ds_load_u16 v39 /*v295*/, v132 offset:8
	s_set_vgpr_msb 0x41                     ;  msbs: dst=1 src0=1 src1=0 src2=0
	ds_load_2addr_b32 v[26:27] /*v[282:283]*/, v22 /*v278*/ offset0:8 offset1:9
	s_set_vgpr_msb 1                        ;  msbs: dst=0 src0=1 src1=0 src2=0
	ds_load_2addr_b32 v[132:133], v22 /*v278*/ offset0:10 offset1:11
	s_set_vgpr_msb 0                        ;  msbs: dst=0 src0=0 src1=0 src2=0
	ds_load_2addr_b32 v[212:213], v216 offset0:8 offset1:9
	s_wait_dscnt 0x9
	s_set_vgpr_msb 64                       ;  msbs: dst=1 src0=0 src1=0 src2=0
	v_cvt_f32_f16_e64 v28 /*v284*/, v140
	s_set_vgpr_msb 0                        ;  msbs: dst=0 src0=0 src1=0 src2=0
	v_lshrrev_b32_e32 v140, 16, v140
	s_set_vgpr_msb 64                       ;  msbs: dst=1 src0=0 src1=0 src2=0
	v_cvt_f32_f16_e64 v32 /*v288*/, v141
	s_set_vgpr_msb 0                        ;  msbs: dst=0 src0=0 src1=0 src2=0
	v_lshrrev_b32_e32 v141, 16, v141
	s_wait_dscnt 0x4
	s_set_vgpr_msb 64                       ;  msbs: dst=1 src0=0 src1=0 src2=0
	v_lshrrev_b16 v40 /*v296*/, 8, v19
	v_cvt_f32_f16_e64 v30 /*v286*/, v140
	s_wait_dscnt 0x0
	s_set_vgpr_msb 0                        ;  msbs: dst=0 src0=0 src1=0 src2=0
	v_bfe_i32 v151, v212, 0, 8
	v_lshrrev_b16 v214, 8, v213
	v_ashrrev_i32_e32 v238, 24, v213
	v_bfe_i32 v239, v213, 16, 8
	v_bfe_i32 v243, v213, 0, 8
	v_mul_i32_i24_e32 v215, v151, v152
	v_perm_b32 v152, v213, v212, 0x4030201
	v_bfe_i32 v240, v214, 0, 8
	s_set_vgpr_msb 64                       ;  msbs: dst=1 src0=0 src1=0 src2=0
	v_cvt_f32_f16_e64 v34 /*v290*/, v141
	s_set_vgpr_msb 0                        ;  msbs: dst=0 src0=0 src1=0 src2=0
	v_dot4_i32_iu8 v219, v152, v153, v215 neg_lo:[1,1,0]
	ds_load_2addr_b32 v[214:215], v216 offset0:10 offset1:11
	ds_load_b128 v[228:231], v217 offset:33280
	ds_load_b128 v[232:235], v217 offset:33296
	;; [unrolled: 1-line block ×3, first 2 shown]
	s_set_vgpr_msb 64                       ;  msbs: dst=1 src0=0 src1=0 src2=0
	ds_load_b128 v[16:19] /*v[272:275]*/, v217 offset:33328
	s_set_vgpr_msb 0                        ;  msbs: dst=0 src0=0 src1=0 src2=0
	ds_load_2addr_b32 v[216:217], v216 offset0:12 offset1:13
	s_wait_dscnt 0x4
	s_set_vgpr_msb 64                       ;  msbs: dst=1 src0=0 src1=0 src2=0
	v_bfe_i32 v42 /*v298*/, v228, 0, 8
	v_perm_b32 v45 /*v301*/, v228, v228, 0xc0c0201
	v_perm_b32 v47 /*v303*/, v229, v228, 0x6050403
	v_perm_b32 v55 /*v311*/, v230, v229, 0x6050403
	s_set_vgpr_msb 0                        ;  msbs: dst=0 src0=0 src1=0 src2=0
	v_perm_b32 v153, v214, v213, 0x4030201
	s_set_vgpr_msb 1                        ;  msbs: dst=0 src0=1 src1=0 src2=0
	v_mul_i32_i24_e32 v251, v42 /*v298*/, v150
	s_set_vgpr_msb 0                        ;  msbs: dst=0 src0=0 src1=0 src2=0
	v_perm_b32 v213, v6, v5, 0x4030201
	s_set_vgpr_msb 64                       ;  msbs: dst=1 src0=0 src1=0 src2=0
	v_perm_b32 v56 /*v312*/, v231, v230, 0x6050403
	v_perm_b32 v5 /*v261*/, v215, v214, 0x4030201
	s_wait_dscnt 0x3
	s_set_vgpr_msb 0                        ;  msbs: dst=0 src0=0 src1=0 src2=0
	v_perm_b32 v21, v232, v121, 0x6050403
	s_set_vgpr_msb 5                        ;  msbs: dst=0 src0=1 src1=1 src2=0
	v_dot4_i32_iu8 v251, v45 /*v301*/, v9 /*v265*/, v251 neg_lo:[1,1,0]
	s_set_vgpr_msb 0                        ;  msbs: dst=0 src0=0 src1=0 src2=0
	v_dot4_i32_iu8 v219, v153, v213, v219 neg_lo:[1,1,0]
	v_perm_b32 v120, v148, v231, 0x6050403
	s_wait_dscnt 0x0
	s_set_vgpr_msb 64                       ;  msbs: dst=1 src0=0 src1=0 src2=0
	v_perm_b32 v6 /*v262*/, v216, v215, 0x4030201
	v_ashrrev_i32_e32 v50 /*v306*/, 24, v232
	s_set_vgpr_msb 5                        ;  msbs: dst=0 src0=1 src1=1 src2=0
	v_dot4_i32_iu8 v20, v47 /*v303*/, v10 /*v266*/, v251 neg_lo:[1,1,0]
	v_dot4_i32_iu8 v219, v5 /*v261*/, v41 /*v297*/, v219 neg_lo:[1,1,0]
	s_set_vgpr_msb 64                       ;  msbs: dst=1 src0=0 src1=0 src2=0
	v_perm_b32 v7 /*v263*/, v217, v216, 0x4030201
	v_perm_b32 v57 /*v313*/, v233, v233, 0xc0c0100
	;; [unrolled: 1-line block ×3, first 2 shown]
	s_set_vgpr_msb 5                        ;  msbs: dst=0 src0=1 src1=1 src2=0
	v_dot4_i32_iu8 v20, v55 /*v311*/, v11 /*v267*/, v20 neg_lo:[1,1,0]
	v_dot4_i32_iu8 v219, v6 /*v262*/, v44 /*v300*/, v219 neg_lo:[1,1,0]
	s_set_vgpr_msb 64                       ;  msbs: dst=1 src0=0 src1=0 src2=0
	v_perm_b32 v58 /*v314*/, v234, v233, 0x5040302
	v_perm_b32 v59 /*v315*/, v235, v234, 0x5040302
	s_set_vgpr_msb 0                        ;  msbs: dst=0 src0=0 src1=0 src2=0
	v_perm_b32 v251, v220, v138, 0xc0c0403
	s_set_vgpr_msb 5                        ;  msbs: dst=0 src0=1 src1=1 src2=0
	v_dot4_i32_iu8 v20, v56 /*v312*/, v12 /*v268*/, v20 neg_lo:[1,1,0]
	v_dot4_i32_iu8 v219, v7 /*v263*/, v46 /*v302*/, v219 neg_lo:[1,1,0]
	s_set_vgpr_msb 64                       ;  msbs: dst=1 src0=0 src1=0 src2=0
	v_perm_b32 v60 /*v316*/, v235, v235, 0xc0c0302
	s_set_vgpr_msb 0                        ;  msbs: dst=0 src0=0 src1=0 src2=0
	v_lshrrev_b16 v140, 8, v245
	s_set_vgpr_msb 64                       ;  msbs: dst=1 src0=0 src1=0 src2=0
	v_bfe_i32 v53 /*v309*/, v245, 0, 8
	s_set_vgpr_msb 0                        ;  msbs: dst=0 src0=0 src1=0 src2=0
	v_dot4_i32_iu8 v20, v120, v21, v20 neg_lo:[1,1,0]
	s_set_vgpr_msb 0x45                     ;  msbs: dst=1 src0=1 src1=1 src2=0
	v_dot4_i32_iu8 v49 /*v305*/, v8 /*v264*/, v48 /*v304*/, v219 neg_lo:[1,1,0]
	s_set_vgpr_msb 4                        ;  msbs: dst=0 src0=0 src1=1 src2=0
	ds_load_b64 v[218:219], v218 offset:43584
	v_mad_i32_i24 v21, v221, v15 /*v271*/, v222
	s_set_vgpr_msb 64                       ;  msbs: dst=1 src0=0 src1=0 src2=0
	v_bfe_i32 v52 /*v308*/, v245, 16, 8
	s_set_vgpr_msb 4                        ;  msbs: dst=0 src0=0 src1=1 src2=0
	v_mad_i32_i24 v20, v149, v50 /*v306*/, v20
	v_bfe_i32 v140, v140, 0, 8
	s_set_vgpr_msb 0                        ;  msbs: dst=0 src0=0 src1=0 src2=0
	v_perm_b32 v220, v246, v244, 0xc0c0400
	s_set_vgpr_msb 4                        ;  msbs: dst=0 src0=0 src1=1 src2=0
	v_dot4_i32_iu8 v21, v251, v61 /*v317*/, v21 neg_lo:[1,1,0]
	s_set_vgpr_msb 0x41                     ;  msbs: dst=1 src0=1 src1=0 src2=0
	v_bfe_i32 v54 /*v310*/, v19 /*v275*/, 0, 8
	s_set_vgpr_msb 5                        ;  msbs: dst=0 src0=1 src1=1 src2=0
	v_dot4_i32_iu8 v20, v13 /*v269*/, v57 /*v313*/, v20 neg_lo:[1,1,0]
	s_set_vgpr_msb 0                        ;  msbs: dst=0 src0=0 src1=0 src2=0
	v_mul_i32_i24_e32 v138, v140, v240
	s_set_vgpr_msb 1                        ;  msbs: dst=0 src0=1 src1=0 src2=0
	v_mul_i32_i24_e32 v140, v52 /*v308*/, v239
	s_set_vgpr_msb 0                        ;  msbs: dst=0 src0=0 src1=0 src2=0
	v_mul_lo_u32 v120, v21, v154
	v_perm_b32 v234, v11, v10, 0x4030201
	s_set_vgpr_msb 5                        ;  msbs: dst=0 src0=1 src1=1 src2=0
	v_dot4_i32_iu8 v20, v14 /*v270*/, v58 /*v314*/, v20 neg_lo:[1,1,0]
	s_set_vgpr_msb 64                       ;  msbs: dst=1 src0=0 src1=0 src2=0
	v_perm_b32 v52 /*v308*/, v11, v11, 0xc070601
	s_set_vgpr_msb 0                        ;  msbs: dst=0 src0=0 src1=0 src2=0
	v_perm_b32 v239, v16, v147, 0x5040302
	v_perm_b32 v240, v17, v16, 0x5040302
	s_set_vgpr_msb 1                        ;  msbs: dst=0 src0=1 src1=0 src2=0
	v_perm_b32 v221, v24 /*v280*/, v211, 0x5040302
	v_dot4_i32_iu8 v20, v59 /*v315*/, v252, v20 neg_lo:[1,1,0]
	s_set_vgpr_msb 64                       ;  msbs: dst=1 src0=0 src1=0 src2=0
	v_bfe_i32 v51 /*v307*/, v244, 0, 8
	s_wait_dscnt 0x0
	v_cvt_f32_f16_e64 v29 /*v285*/, v218
	s_set_vgpr_msb 0                        ;  msbs: dst=0 src0=0 src1=0 src2=0
	v_lshrrev_b32_e32 v218, 16, v218
	s_set_vgpr_msb 64                       ;  msbs: dst=1 src0=0 src1=0 src2=0
	v_cvt_f32_f16_e64 v33 /*v289*/, v219
	s_set_vgpr_msb 4                        ;  msbs: dst=0 src0=0 src1=1 src2=0
	v_dot4_i32_iu8 v20, v251, v60 /*v316*/, v20 neg_lo:[1,1,0]
	s_set_vgpr_msb 0                        ;  msbs: dst=0 src0=0 src1=0 src2=0
	v_lshrrev_b32_e32 v219, 16, v219
	s_set_vgpr_msb 64                       ;  msbs: dst=1 src0=0 src1=0 src2=0
	v_bfe_i32 v43 /*v299*/, v228, 8, 8
	v_cvt_f32_f16_e64 v31 /*v287*/, v218
	s_set_vgpr_msb 0                        ;  msbs: dst=0 src0=0 src1=0 src2=0
	v_ashrrev_i32_e32 v218, 24, v245
	v_mul_lo_u32 v20, v20, v154
	s_set_vgpr_msb 64                       ;  msbs: dst=1 src0=0 src1=0 src2=0
	v_cvt_f32_f16_e64 v35 /*v291*/, v219
	s_set_vgpr_msb 0                        ;  msbs: dst=0 src0=0 src1=0 src2=0
	v_perm_b32 v219, v214, v212, 0xc0c0400
	s_set_vgpr_msb 4                        ;  msbs: dst=0 src0=0 src1=1 src2=0
	v_pk_fma_f32 v[136:137], v[126:127], v[30:31] /*v[286:287]*/, 0 op_sel_hi:[0,1,0]
	s_set_vgpr_msb 0                        ;  msbs: dst=0 src0=0 src1=0 src2=0
	v_mul_i32_i24_e32 v141, v218, v238
	s_set_vgpr_msb 1                        ;  msbs: dst=0 src0=1 src1=0 src2=0
	v_mul_i32_i24_e32 v218, v54 /*v310*/, v236
	s_set_vgpr_msb 0                        ;  msbs: dst=0 src0=0 src1=0 src2=0
	v_perm_b32 v236, v145, v144, 0x5040302
	v_perm_b32 v238, v147, v146, 0x5040302
	s_set_vgpr_msb 4                        ;  msbs: dst=0 src0=0 src1=1 src2=0
	v_pk_fma_f32 v[136:137], v[122:123], v[34:35] /*v[290:291]*/, v[136:137] op_sel_hi:[0,1,1]
	s_set_vgpr_msb 1                        ;  msbs: dst=0 src0=1 src1=0 src2=0
	v_cvt_f32_ubyte1_e32 v144, v20 /*v276*/
	v_bfe_i32 v222, v26 /*v282*/, 0, 8
	s_set_vgpr_msb 0                        ;  msbs: dst=0 src0=0 src1=0 src2=0
	v_cvt_f32_i32_e32 v21, v20
	v_cvt_f32_i32_e32 v20, v120
	s_set_vgpr_msb 1                        ;  msbs: dst=0 src0=1 src1=0 src2=0
	v_mul_i32_i24_e32 v120, v53 /*v309*/, v243
	s_set_vgpr_msb 0                        ;  msbs: dst=0 src0=0 src1=0 src2=0
	v_perm_b32 v243, v125, v125, 0xc030201
	v_pk_mul_f32 v[136:137], v[136:137], v[112:113]
	s_set_vgpr_msb 1                        ;  msbs: dst=0 src0=1 src1=0 src2=0
	v_pk_fma_f32 v[20:21], v[28:29] /*v[284:285]*/, v[20:21], 0 op_sel_hi:[1,1,0]
	s_set_vgpr_msb 0                        ;  msbs: dst=0 src0=0 src1=0 src2=0
	v_dot4_i32_iu8 v120, v220, v219, v120 neg_lo:[1,1,0]
	v_perm_b32 v219, v214, v212, 0xc0c0602
	v_perm_b32 v220, v246, v244, 0xc0c0602
	s_delay_alu instid0(VALU_DEP_1) | instskip(SKIP_4) | instid1(VALU_DEP_2)
	v_dot4_i32_iu8 v140, v220, v219, v140 neg_lo:[1,1,0]
	v_perm_b32 v219, v214, v212, 0xc0c0501
	v_perm_b32 v212, v214, v212, 0xc0c0703
	v_perm_b32 v214, v246, v244, 0xc0c0703
	v_perm_b32 v220, v246, v244, 0xc0c0501
	v_dot4_i32_iu8 v141, v214, v212, v141 neg_lo:[1,1,0]
	v_perm_b32 v212, v216, v215, 0xc0c0703
	v_perm_b32 v214, v124, v217, 0x7030c0c
	s_delay_alu instid0(VALU_DEP_4)
	v_dot4_i32_iu8 v138, v220, v219, v138 neg_lo:[1,1,0]
	s_set_vgpr_msb 5                        ;  msbs: dst=0 src0=1 src1=1 src2=0
	v_perm_b32 v219, v18 /*v274*/, v17 /*v273*/, 0x7030c0c
	v_and_b32_e32 v220, 0xffff, v21 /*v277*/
	s_set_vgpr_msb 0                        ;  msbs: dst=0 src0=0 src1=0 src2=0
	v_or_b32_e32 v212, v214, v212
	s_set_vgpr_msb 1                        ;  msbs: dst=0 src0=1 src1=0 src2=0
	v_perm_b32 v214, v16 /*v272*/, v247, 0xc0c0703
	s_set_vgpr_msb 0                        ;  msbs: dst=0 src0=0 src1=0 src2=0
	s_delay_alu instid0(VALU_DEP_1) | instskip(SKIP_3) | instid1(VALU_DEP_2)
	v_or_b32_e32 v214, v219, v214
	s_set_vgpr_msb 5                        ;  msbs: dst=0 src0=1 src1=1 src2=0
	v_perm_b32 v219, v18 /*v274*/, v17 /*v273*/, 0x5010c0c
	s_set_vgpr_msb 0                        ;  msbs: dst=0 src0=0 src1=0 src2=0
	v_dot4_i32_iu8 v141, v214, v212, v141 neg_lo:[1,1,0]
	v_perm_b32 v212, v216, v215, 0xc0c0501
	v_perm_b32 v214, v124, v217, 0x5010c0c
	s_delay_alu instid0(VALU_DEP_1) | instskip(SKIP_3) | instid1(VALU_DEP_1)
	v_or_b32_e32 v212, v214, v212
	s_set_vgpr_msb 1                        ;  msbs: dst=0 src0=1 src1=0 src2=0
	v_perm_b32 v214, v16 /*v272*/, v247, 0xc0c0501
	s_set_vgpr_msb 0                        ;  msbs: dst=0 src0=0 src1=0 src2=0
	v_or_b32_e32 v214, v219, v214
	s_set_vgpr_msb 5                        ;  msbs: dst=0 src0=1 src1=1 src2=0
	v_perm_b32 v219, v18 /*v274*/, v17 /*v273*/, 0x6020c0c
	s_set_vgpr_msb 0                        ;  msbs: dst=0 src0=0 src1=0 src2=0
	s_delay_alu instid0(VALU_DEP_2) | instskip(SKIP_2) | instid1(VALU_DEP_3)
	v_dot4_i32_iu8 v138, v214, v212, v138 neg_lo:[1,1,0]
	v_perm_b32 v212, v216, v215, 0xc0c0602
	v_perm_b32 v214, v124, v217, 0x6020c0c
	v_add_nc_u32_e32 v138, v138, v141
	s_delay_alu instid0(VALU_DEP_2) | instskip(SKIP_3) | instid1(VALU_DEP_1)
	v_or_b32_e32 v212, v214, v212
	s_set_vgpr_msb 1                        ;  msbs: dst=0 src0=1 src1=0 src2=0
	v_perm_b32 v214, v16 /*v272*/, v247, 0xc0c0602
	s_set_vgpr_msb 0                        ;  msbs: dst=0 src0=0 src1=0 src2=0
	v_or_b32_e32 v214, v219, v214
	v_perm_b32 v219, v211, v210, 0x5040302
	s_delay_alu instid0(VALU_DEP_2)
	v_dot4_i32_iu8 v140, v214, v212, v140 neg_lo:[1,1,0]
	v_perm_b32 v212, v216, v215, 0xc0c0400
	v_perm_b32 v214, v124, v217, 0x4000c0c
	s_set_vgpr_msb 5                        ;  msbs: dst=0 src0=1 src1=1 src2=0
	v_perm_b32 v215, v18 /*v274*/, v17 /*v273*/, 0x4000c0c
	s_set_vgpr_msb 0                        ;  msbs: dst=0 src0=0 src1=0 src2=0
	v_perm_b32 v216, v208, v207, 0x5040302
	v_perm_b32 v217, v209, v208, 0x5040302
	v_or_b32_e32 v212, v214, v212
	s_set_vgpr_msb 1                        ;  msbs: dst=0 src0=1 src1=0 src2=0
	v_perm_b32 v214, v16 /*v272*/, v247, 0xc0c0400
	s_set_vgpr_msb 0                        ;  msbs: dst=0 src0=0 src1=0 src2=0
	s_delay_alu instid0(VALU_DEP_1) | instskip(SKIP_1) | instid1(VALU_DEP_2)
	v_or_b32_e32 v214, v215, v214
	v_perm_b32 v215, v207, v206, 0x5040302
	v_dot4_i32_iu8 v120, v214, v212, v120 neg_lo:[1,1,0]
	v_bfe_i32 v214, v206, 8, 8
	v_and_b32_e32 v212, 0xff, v19
	s_delay_alu instid0(VALU_DEP_3) | instskip(NEXT) | instid1(VALU_DEP_1)
	v_add_nc_u32_e32 v120, v120, v140
	v_add3_u32 v120, v120, v138, v218
	v_perm_b32 v138, v125, v124, 0x4030201
	v_perm_b32 v218, v210, v209, 0x5040302
	s_set_vgpr_msb 4                        ;  msbs: dst=0 src0=0 src1=1 src2=0
	v_and_b32_e32 v209, 0xffff, v40 /*v296*/
	s_set_vgpr_msb 16                       ;  msbs: dst=0 src0=0 src1=0 src2=1
	v_dot4_i32_iu8 v138, v138, v234, v49 /*v305*/ neg_lo:[1,1,0]
	s_set_vgpr_msb 0x45                     ;  msbs: dst=1 src0=1 src1=1 src2=0
	v_perm_b32 v49 /*v305*/, v19 /*v275*/, v19 /*v275*/, 0xc070601
	s_set_vgpr_msb 4                        ;  msbs: dst=0 src0=0 src1=1 src2=0
	s_delay_alu instid0(VALU_DEP_2) | instskip(NEXT) | instid1(VALU_DEP_2)
	v_dot4_i32_iu8 v11, v243, v52 /*v308*/, v138 neg_lo:[1,1,0]
	v_dot4_i32_iu8 v120, v243, v49 /*v305*/, v120 neg_lo:[1,1,0]
	s_set_vgpr_msb 1                        ;  msbs: dst=0 src0=1 src1=0 src2=0
	v_cvt_f32_ubyte0_e32 v138, v39 /*v295*/
	s_set_vgpr_msb 0                        ;  msbs: dst=0 src0=0 src1=0 src2=0
	v_mul_lo_u32 v11, v11, v123
	v_mul_lo_u32 v120, v120, v123
	s_delay_alu instid0(VALU_DEP_2)
	v_cvt_f32_i32_e32 v140, v11
	v_dot4_i32_iu8 v11, v236, v213, v237 neg_lo:[1,1,0]
	v_perm_b32 v237, v146, v145, 0x5040302
	v_bfe_i32 v213, v206, 0, 8
	v_cvt_f32_i32_e32 v141, v120
	v_perm_b32 v120, v8, v8, 0xc0c0100
	v_perm_b32 v145, v8, v8, 0xc0c0302
	s_set_vgpr_msb 4                        ;  msbs: dst=0 src0=0 src1=1 src2=0
	v_dot4_i32_iu8 v11, v237, v41 /*v297*/, v11 neg_lo:[1,1,0]
	s_set_vgpr_msb 64                       ;  msbs: dst=1 src0=0 src1=0 src2=0
	v_perm_b32 v41 /*v297*/, v9, v9, 0xc0c0100
	s_set_vgpr_msb 1                        ;  msbs: dst=0 src0=1 src1=0 src2=0
	v_pk_fma_f32 v[20:21], v[32:33] /*v[288:289]*/, v[140:141], v[20:21]
	s_set_vgpr_msb 4                        ;  msbs: dst=0 src0=0 src1=1 src2=0
	v_dot4_i32_iu8 v11, v238, v44 /*v300*/, v11 neg_lo:[1,1,0]
	s_set_vgpr_msb 64                       ;  msbs: dst=1 src0=0 src1=0 src2=0
	v_perm_b32 v44 /*v300*/, v9, v9, 0xc0c0302
	s_set_vgpr_msb 0                        ;  msbs: dst=0 src0=0 src1=0 src2=0
	v_pk_fma_f32 v[20:21], v[20:21], v[22:23], v[136:137] neg_lo:[0,0,1] neg_hi:[0,0,1]
	s_set_vgpr_msb 1                        ;  msbs: dst=0 src0=1 src1=0 src2=0
	ds_load_2addr_b32 v[146:147], v22 /*v278*/ offset0:12 offset1:13
	ds_load_2addr_b32 v[136:137], v22 /*v278*/ offset0:14 offset1:15
	s_set_vgpr_msb 4                        ;  msbs: dst=0 src0=0 src1=1 src2=0
	v_dot4_i32_iu8 v11, v239, v46 /*v302*/, v11 neg_lo:[1,1,0]
	s_set_vgpr_msb 64                       ;  msbs: dst=1 src0=0 src1=0 src2=0
	v_perm_b32 v46 /*v302*/, v10, v10, 0xc0c0100
	s_set_vgpr_msb 0                        ;  msbs: dst=0 src0=0 src1=0 src2=0
	v_pk_add_f32 v[64:65], v[64:65], v[20:21]
	v_perm_b32 v20, v245, v244, 0x4030201
	v_perm_b32 v21, v246, v245, 0x4030201
	s_set_vgpr_msb 4                        ;  msbs: dst=0 src0=0 src1=1 src2=0
	v_dot4_i32_iu8 v16, v240, v48 /*v304*/, v11 neg_lo:[1,1,0]
	s_set_vgpr_msb 0                        ;  msbs: dst=0 src0=0 src1=0 src2=0
	v_mul_i32_i24_e32 v11, v213, v130
	s_set_vgpr_msb 64                       ;  msbs: dst=1 src0=0 src1=0 src2=0
	v_perm_b32 v48 /*v304*/, v10, v10, 0xc0c0302
	s_set_vgpr_msb 5                        ;  msbs: dst=0 src0=1 src1=1 src2=0
	v_perm_b32 v244, v27 /*v283*/, v26 /*v282*/, 0x4030201
	s_set_vgpr_msb 4                        ;  msbs: dst=0 src0=0 src1=1 src2=0
	v_perm_b32 v245, v132, v27 /*v283*/, 0x4030201
	s_set_vgpr_msb 0                        ;  msbs: dst=0 src0=0 src1=0 src2=0
	v_mad_i32_i24 v11, v214, v142, v11
	s_set_vgpr_msb 1                        ;  msbs: dst=0 src0=1 src1=0 src2=0
	v_cvt_f32_ubyte1_e32 v142, v39 /*v295*/
	s_set_vgpr_msb 0                        ;  msbs: dst=0 src0=0 src1=0 src2=0
	s_delay_alu instid0(VALU_DEP_2) | instskip(SKIP_3) | instid1(VALU_DEP_2)
	v_dot4_i32_iu8 v11, v215, v12, v11 neg_lo:[1,1,0]
	v_perm_b32 v12, v14, v13, 0x5040302
	s_wait_dscnt 0x0
	v_bfe_i32 v19, v137, 0, 8
	v_dot4_i32_iu8 v11, v216, v12, v11 neg_lo:[1,1,0]
	v_perm_b32 v12, v15, v14, 0x5040302
	s_delay_alu instid0(VALU_DEP_1) | instskip(SKIP_4) | instid1(VALU_DEP_4)
	v_dot4_i32_iu8 v11, v217, v12, v11 neg_lo:[1,1,0]
	v_perm_b32 v12, v0, v15, 0x5040302
	v_perm_b32 v0, v1, v0, 0x5040302
	;; [unrolled: 1-line block ×4, first 2 shown]
	v_dot4_i32_iu8 v11, v218, v12, v11 neg_lo:[1,1,0]
	s_delay_alu instid0(VALU_DEP_1) | instskip(NEXT) | instid1(VALU_DEP_1)
	v_dot4_i32_iu8 v0, v219, v0, v11 neg_lo:[1,1,0]
	v_dot4_i32_iu8 v235, v221, v1, v0 neg_lo:[1,1,0]
	s_set_vgpr_msb 1                        ;  msbs: dst=0 src0=1 src1=0 src2=0
	v_dot4_i32_iu8 v0, v26 /*v282*/, v4, 0 neg_lo:[1,1,0]
	s_set_vgpr_msb 0                        ;  msbs: dst=0 src0=0 src1=0 src2=0
	v_perm_b32 v1, v146, v146, 0xc0c0100
	s_set_vgpr_msb 1                        ;  msbs: dst=0 src0=1 src1=0 src2=0
	s_delay_alu instid0(VALU_DEP_2) | instskip(SKIP_1) | instid1(VALU_DEP_1)
	v_dot4_i32_iu8 v0, v27 /*v283*/, v5, v0 neg_lo:[1,1,0]
	s_set_vgpr_msb 0                        ;  msbs: dst=0 src0=0 src1=0 src2=0
	v_dot4_i32_iu8 v0, v132, v6, v0 neg_lo:[1,1,0]
	s_delay_alu instid0(VALU_DEP_1) | instskip(NEXT) | instid1(VALU_DEP_1)
	v_dot4_i32_iu8 v0, v133, v7, v0 neg_lo:[1,1,0]
	v_dot4_i32_iu8 v0, v120, v1, v0 neg_lo:[1,1,0]
	v_perm_b32 v1, v146, v146, 0xc0c0302
	s_delay_alu instid0(VALU_DEP_1) | instskip(SKIP_2) | instid1(VALU_DEP_1)
	v_dot4_i32_iu8 v0, v145, v1, v0 neg_lo:[1,1,0]
	v_perm_b32 v1, v147, v147, 0xc0c0100
	s_set_vgpr_msb 1                        ;  msbs: dst=0 src0=1 src1=0 src2=0
	v_dot4_i32_iu8 v0, v41 /*v297*/, v1, v0 neg_lo:[1,1,0]
	s_set_vgpr_msb 0                        ;  msbs: dst=0 src0=0 src1=0 src2=0
	v_perm_b32 v1, v147, v147, 0xc0c0302
	s_set_vgpr_msb 1                        ;  msbs: dst=0 src0=1 src1=0 src2=0
	s_delay_alu instid0(VALU_DEP_1) | instskip(SKIP_3) | instid1(VALU_DEP_1)
	v_dot4_i32_iu8 v0, v44 /*v300*/, v1, v0 neg_lo:[1,1,0]
	s_set_vgpr_msb 0                        ;  msbs: dst=0 src0=0 src1=0 src2=0
	v_perm_b32 v1, v136, v136, 0xc0c0100
	s_set_vgpr_msb 1                        ;  msbs: dst=0 src0=1 src1=0 src2=0
	v_dot4_i32_iu8 v0, v46 /*v302*/, v1, v0 neg_lo:[1,1,0]
	s_set_vgpr_msb 0                        ;  msbs: dst=0 src0=0 src1=0 src2=0
	v_perm_b32 v1, v136, v136, 0xc0c0302
	s_set_vgpr_msb 0x41                     ;  msbs: dst=1 src0=1 src1=0 src2=0
	s_delay_alu instid0(VALU_DEP_1)
	v_dot4_i32_iu8 v53 /*v309*/, v48 /*v304*/, v1, v0 neg_lo:[1,1,0]
	s_set_vgpr_msb 1                        ;  msbs: dst=0 src0=1 src1=0 src2=0
	ds_load_2addr_b32 v[0:1], v38 /*v294*/ offset1:1
	ds_load_2addr_b32 v[140:141], v38 /*v294*/ offset0:2 offset1:3
	ds_load_b32 v206, v38 /*v294*/ offset:16
	ds_load_b128 v[8:11], v38 /*v294*/ offset:19
	s_set_vgpr_msb 0x41                     ;  msbs: dst=1 src0=1 src1=0 src2=0
	ds_load_b96 v[20:22] /*v[276:278]*/, v38 /*v294*/ offset:35
	s_set_vgpr_msb 1                        ;  msbs: dst=0 src0=1 src1=0 src2=0
	ds_load_b128 v[12:15], v38 /*v294*/ offset:47
	s_set_vgpr_msb 0x41                     ;  msbs: dst=1 src0=1 src1=0 src2=0
	ds_load_i8 v38 /*v294*/, v38 /*v294*/ offset:63
	s_wait_dscnt 0x3
	s_set_vgpr_msb 0                        ;  msbs: dst=0 src0=0 src1=0 src2=0
	v_bfe_i32 v211, v11, 8, 8
	v_bfe_i32 v208, v8, 0, 8
	;; [unrolled: 1-line block ×3, first 2 shown]
	v_perm_b32 v210, v1, v0, 0x4030201
	s_set_vgpr_msb 64                       ;  msbs: dst=1 src0=0 src1=0 src2=0
	v_bfe_i32 v39 /*v295*/, v10, 16, 8
	s_set_vgpr_msb 0                        ;  msbs: dst=0 src0=0 src1=0 src2=0
	v_mul_i32_i24_e32 v130, v207, v130
	s_delay_alu instid0(VALU_DEP_1) | instskip(SKIP_1) | instid1(VALU_DEP_1)
	v_dot4_i32_iu8 v130, v210, v223, v130 neg_lo:[1,1,0]
	v_perm_b32 v210, v140, v1, 0x4030201
	v_dot4_i32_iu8 v130, v210, v241, v130 neg_lo:[1,1,0]
	v_perm_b32 v210, v141, v140, 0x4030201
	s_delay_alu instid0(VALU_DEP_1)
	v_dot4_i32_iu8 v130, v210, v242, v130 neg_lo:[1,1,0]
	s_wait_dscnt 0x2
	s_set_vgpr_msb 1                        ;  msbs: dst=0 src0=1 src1=0 src2=0
	v_perm_b32 v242, v20 /*v276*/, v11, 0x4030201
	s_set_vgpr_msb 0                        ;  msbs: dst=0 src0=0 src1=0 src2=0
	v_perm_b32 v210, v206, v141, 0x4030201
	s_delay_alu instid0(VALU_DEP_2)
	v_dot4_i32_iu8 v4, v242, v4, 0 neg_lo:[1,1,0]
	s_set_vgpr_msb 5                        ;  msbs: dst=0 src0=1 src1=1 src2=0
	v_perm_b32 v242, v21 /*v277*/, v20 /*v276*/, 0x4030201
	s_set_vgpr_msb 0                        ;  msbs: dst=0 src0=0 src1=0 src2=0
	v_dot4_i32_iu8 v130, v210, v250, v130 neg_lo:[1,1,0]
	v_perm_b32 v210, v206, v206, 0xc0c0201
	s_set_vgpr_msb 5                        ;  msbs: dst=0 src0=1 src1=1 src2=0
	v_perm_b32 v250, v25 /*v281*/, v25 /*v281*/, 0xc0c0302
	s_set_vgpr_msb 0                        ;  msbs: dst=0 src0=0 src1=0 src2=0
	v_dot4_i32_iu8 v4, v242, v5, v4 neg_lo:[1,1,0]
	s_set_vgpr_msb 5                        ;  msbs: dst=0 src0=1 src1=1 src2=0
	v_perm_b32 v5, v22 /*v278*/, v21 /*v277*/, 0x4030201
	s_set_vgpr_msb 0                        ;  msbs: dst=0 src0=0 src1=0 src2=0
	v_dot4_i32_iu8 v130, v253, v210, v130 neg_lo:[1,1,0]
	v_perm_b32 v210, v8, v8, 0xc0c0100
	v_perm_b32 v253, v248, v248, 0xc0c0201
	s_set_vgpr_msb 1                        ;  msbs: dst=0 src0=1 src1=0 src2=0
	v_perm_b32 v242, v36 /*v292*/, v18, 0xc040302
	s_set_vgpr_msb 0                        ;  msbs: dst=0 src0=0 src1=0 src2=0
	v_dot4_i32_iu8 v4, v5, v6, v4 neg_lo:[1,1,0]
	s_wait_dscnt 0x1
	s_set_vgpr_msb 4                        ;  msbs: dst=0 src0=0 src1=1 src2=0
	v_perm_b32 v5, v12, v22 /*v278*/, 0x4030201
	s_set_vgpr_msb 0                        ;  msbs: dst=0 src0=0 src1=0 src2=0
	v_dot4_i32_iu8 v130, v254, v210, v130 neg_lo:[1,1,0]
	v_perm_b32 v210, v8, v8, 0xc0c0302
	v_perm_b32 v254, v249, v248, 0x6050403
	;; [unrolled: 1-line block ×3, first 2 shown]
	v_dot4_i32_iu8 v4, v5, v7, v4 neg_lo:[1,1,0]
	v_perm_b32 v5, v12, v12, 0xc0c0201
	v_dot4_i32_iu8 v130, v255, v210, v130 neg_lo:[1,1,0]
	v_perm_b32 v210, v9, v9, 0xc0c0100
	v_perm_b32 v255, v134, v249, 0x6050403
	;; [unrolled: 1-line block ×3, first 2 shown]
	v_dot4_i32_iu8 v4, v120, v5, v4 neg_lo:[1,1,0]
	v_perm_b32 v5, v13, v12, 0xc0c0403
	s_set_vgpr_msb 1                        ;  msbs: dst=0 src0=1 src1=0 src2=0
	v_dot4_i32_iu8 v130, v0 /*v256*/, v210, v130 neg_lo:[1,1,0]
	s_set_vgpr_msb 64                       ;  msbs: dst=1 src0=0 src1=0 src2=0
	v_perm_b32 v0 /*v256*/, v135, v134, 0x6050403
	s_set_vgpr_msb 0                        ;  msbs: dst=0 src0=0 src1=0 src2=0
	v_perm_b32 v210, v9, v9, 0xc0c0302
	v_perm_b32 v134, v247, v246, 0x4030201
	v_dot4_i32_iu8 v4, v145, v5, v4 neg_lo:[1,1,0]
	v_perm_b32 v5, v13, v13, 0xc0c0201
	v_perm_b32 v246, v133, v132, 0x4030201
	s_set_vgpr_msb 1                        ;  msbs: dst=0 src0=1 src1=0 src2=0
	v_dot4_i32_iu8 v130, v1 /*v257*/, v210, v130 neg_lo:[1,1,0]
	s_set_vgpr_msb 0                        ;  msbs: dst=0 src0=0 src1=0 src2=0
	v_perm_b32 v210, v10, v10, 0xc0c0100
	s_set_vgpr_msb 64                       ;  msbs: dst=1 src0=0 src1=0 src2=0
	v_perm_b32 v1 /*v257*/, v224, v224, 0xc0c0201
	s_set_vgpr_msb 1                        ;  msbs: dst=0 src0=1 src1=0 src2=0
	v_dot4_i32_iu8 v4, v41 /*v297*/, v5, v4 neg_lo:[1,1,0]
	s_set_vgpr_msb 0                        ;  msbs: dst=0 src0=0 src1=0 src2=0
	v_perm_b32 v5, v14, v13, 0xc0c0403
	s_set_vgpr_msb 5                        ;  msbs: dst=0 src0=1 src1=1 src2=0
	v_perm_b32 v249, v25 /*v281*/, v24 /*v280*/, 0x5040302
	s_set_vgpr_msb 0x41                     ;  msbs: dst=1 src0=1 src1=0 src2=0
	v_dot4_i32_iu8 v40 /*v296*/, v2 /*v258*/, v210, v130 neg_lo:[1,1,0]
	s_set_vgpr_msb 1                        ;  msbs: dst=0 src0=1 src1=0 src2=0
	ds_load_u16 v130, v37 /*v293*/
	ds_load_u16 v223, v37 /*v293*/ offset:8
	s_set_vgpr_msb 64                       ;  msbs: dst=1 src0=0 src1=0 src2=0
	v_perm_b32 v2 /*v258*/, v225, v224, 0x6050403
	s_set_vgpr_msb 1                        ;  msbs: dst=0 src0=1 src1=0 src2=0
	v_dot4_i32_iu8 v4, v44 /*v300*/, v5, v4 neg_lo:[1,1,0]
	s_set_vgpr_msb 0                        ;  msbs: dst=0 src0=0 src1=0 src2=0
	v_perm_b32 v5, v14, v14, 0xc0c0201
	s_set_vgpr_msb 0x41                     ;  msbs: dst=1 src0=1 src1=0 src2=0
	v_perm_b32 v44 /*v300*/, v16 /*v272*/, v247, 0x4030201
	s_set_vgpr_msb 0x45                     ;  msbs: dst=1 src0=1 src1=1 src2=0
	v_perm_b32 v16 /*v272*/, v17 /*v273*/, v16 /*v272*/, 0x4030201
	v_perm_b32 v17 /*v273*/, v18 /*v274*/, v17 /*v273*/, 0x4030201
	;; [unrolled: 1-line block ×3, first 2 shown]
	s_set_vgpr_msb 1                        ;  msbs: dst=0 src0=1 src1=0 src2=0
	v_dot4_i32_iu8 v4, v46 /*v302*/, v5, v4 neg_lo:[1,1,0]
	s_set_vgpr_msb 0                        ;  msbs: dst=0 src0=0 src1=0 src2=0
	v_perm_b32 v5, v15, v14, 0xc0c0403
	v_perm_b32 v247, v147, v146, 0x4030201
	v_dot4_i32_iu8 v2, v249, v2, v235 neg_lo:[1,1,0]
	v_perm_b32 v147, v137, v137, 0xc030201
	v_perm_b32 v224, v1, v0, 0x6050403
	s_set_vgpr_msb 0x41                     ;  msbs: dst=1 src0=1 src1=0 src2=0
	v_dot4_i32_iu8 v41 /*v297*/, v48 /*v304*/, v5, v4 neg_lo:[1,1,0]
	s_set_vgpr_msb 1                        ;  msbs: dst=0 src0=1 src1=0 src2=0
	v_mul_i32_i24_e32 v4, v42 /*v298*/, v156
	s_set_vgpr_msb 0                        ;  msbs: dst=0 src0=0 src1=0 src2=0
	v_perm_b32 v5, v232, v135, 0x6050403
	s_set_vgpr_msb 4                        ;  msbs: dst=0 src0=0 src1=1 src2=0
	v_dot4_i32_iu8 v2, v250, v61 /*v317*/, v2 neg_lo:[1,1,0]
	s_set_vgpr_msb 64                       ;  msbs: dst=1 src0=0 src1=0 src2=0
	v_bfe_i32 v37 /*v293*/, v15, 8, 8
	s_wait_dscnt 0x1
	s_set_vgpr_msb 1                        ;  msbs: dst=0 src0=1 src1=0 src2=0
	v_lshrrev_b16 v241, 8, v130
	v_dot4_i32_iu8 v4, v45 /*v301*/, v253, v4 neg_lo:[1,1,0]
	v_and_b32_e32 v210, 0xff, v130
	s_wait_dscnt 0x0
	s_set_vgpr_msb 0                        ;  msbs: dst=0 src0=0 src1=0 src2=0
	v_cvt_f32_ubyte0_e32 v130, v223
	v_cvt_f32_ubyte1_e32 v120, v223
	v_and_b32_e32 v145, 0xffff, v241
	s_set_vgpr_msb 1                        ;  msbs: dst=0 src0=1 src1=0 src2=0
	v_dot4_i32_iu8 v4, v47 /*v303*/, v254, v4 neg_lo:[1,1,0]
	s_set_vgpr_msb 0                        ;  msbs: dst=0 src0=0 src1=0 src2=0
	v_perm_b32 v241, v18, v17, 0x5040302
	v_mul_lo_u32 v2, v2, v212
	v_perm_b32 v235, v11, v10, 0xc0c0403
	v_perm_b32 v132, v15, v14, 0x5040302
	s_set_vgpr_msb 1                        ;  msbs: dst=0 src0=1 src1=0 src2=0
	v_dot4_i32_iu8 v4, v55 /*v311*/, v255, v4 neg_lo:[1,1,0]
	s_set_vgpr_msb 0                        ;  msbs: dst=0 src0=0 src1=0 src2=0
	v_dot4_i32_iu8 v16, v241, v234, v16 neg_lo:[1,1,0]
	v_perm_b32 v234, v10, v9, 0x6050403
	s_set_vgpr_msb 5                        ;  msbs: dst=0 src0=1 src1=1 src2=0
	v_dot4_i32_iu8 v4, v56 /*v312*/, v0 /*v256*/, v4 neg_lo:[1,1,0]
	s_set_vgpr_msb 4                        ;  msbs: dst=0 src0=0 src1=1 src2=0
	v_dot4_i32_iu8 v16, v242, v52 /*v308*/, v16 neg_lo:[1,1,0]
	v_cvt_f32_i32_e32 v2, v2
	s_set_vgpr_msb 0                        ;  msbs: dst=0 src0=0 src1=0 src2=0
	v_dot4_i32_iu8 v4, v6, v5, v4 neg_lo:[1,1,0]
	s_set_vgpr_msb 1                        ;  msbs: dst=0 src0=1 src1=0 src2=0
	v_mul_i32_i24_e32 v5, v51 /*v307*/, v204
	s_set_vgpr_msb 0                        ;  msbs: dst=0 src0=0 src1=0 src2=0
	v_mul_lo_u32 v16, v16, v220
	s_set_vgpr_msb 4                        ;  msbs: dst=0 src0=0 src1=1 src2=0
	v_mad_i32_i24 v4, v157, v50 /*v306*/, v4
	s_set_vgpr_msb 0                        ;  msbs: dst=0 src0=0 src1=0 src2=0
	v_dot4_i32_iu8 v5, v20, v205, v5 neg_lo:[1,1,0]
	s_set_vgpr_msb 5                        ;  msbs: dst=0 src0=1 src1=1 src2=0
	s_delay_alu instid0(VALU_DEP_2) | instskip(SKIP_1) | instid1(VALU_DEP_2)
	v_dot4_i32_iu8 v4, v1 /*v257*/, v57 /*v313*/, v4 neg_lo:[1,1,0]
	s_set_vgpr_msb 0                        ;  msbs: dst=0 src0=0 src1=0 src2=0
	v_dot4_i32_iu8 v5, v21, v236, v5 neg_lo:[1,1,0]
	v_cvt_f32_i32_e32 v16, v16
	s_set_vgpr_msb 5                        ;  msbs: dst=0 src0=1 src1=1 src2=0
	v_dot4_i32_iu8 v4, v2 /*v258*/, v58 /*v314*/, v4 neg_lo:[1,1,0]
	s_set_vgpr_msb 0                        ;  msbs: dst=0 src0=0 src1=0 src2=0
	v_dot4_i32_iu8 v5, v134, v237, v5 neg_lo:[1,1,0]
	s_set_vgpr_msb 1                        ;  msbs: dst=0 src0=1 src1=0 src2=0
	s_delay_alu instid0(VALU_DEP_1) | instskip(NEXT) | instid1(VALU_DEP_1)
	v_dot4_i32_iu8 v5, v44 /*v300*/, v238, v5 neg_lo:[1,1,0]
	v_dot4_i32_iu8 v5, v16 /*v272*/, v239, v5 neg_lo:[1,1,0]
	s_delay_alu instid0(VALU_DEP_1)
	v_dot4_i32_iu8 v223, v17 /*v273*/, v240, v5 neg_lo:[1,1,0]
	s_set_vgpr_msb 21                       ;  msbs: dst=0 src0=1 src1=1 src2=1
	v_mad_i32_i24 v5, v3 /*v259*/, v15 /*v271*/, v4 /*v260*/
	s_set_vgpr_msb 64                       ;  msbs: dst=1 src0=0 src1=0 src2=0
	v_perm_b32 v3 /*v259*/, v226, v225, 0x6050403
	v_perm_b32 v4 /*v260*/, v227, v226, 0xc0c0403
	s_set_vgpr_msb 0                        ;  msbs: dst=0 src0=0 src1=0 src2=0
	v_perm_b32 v225, v140, v1, 0x6050403
	s_set_vgpr_msb 1                        ;  msbs: dst=0 src0=1 src1=0 src2=0
	v_dot4_i32_iu8 v17, v18 /*v274*/, v241, v223 neg_lo:[1,1,0]
	s_set_vgpr_msb 0                        ;  msbs: dst=0 src0=0 src1=0 src2=0
	v_perm_b32 v223, v0, v0, 0xc0c0201
	s_set_vgpr_msb 5                        ;  msbs: dst=0 src0=1 src1=1 src2=0
	v_dot4_i32_iu8 v4, v59 /*v315*/, v3 /*v259*/, v4 neg_lo:[1,1,0]
	v_dot4_i32_iu8 v5, v4 /*v260*/, v61 /*v317*/, v5 neg_lo:[1,1,0]
	s_set_vgpr_msb 0                        ;  msbs: dst=0 src0=0 src1=0 src2=0
	v_perm_b32 v140, v141, v140, 0x6050403
	s_set_vgpr_msb 4                        ;  msbs: dst=0 src0=0 src1=1 src2=0
	v_dot4_i32_iu8 v17, v242, v49 /*v305*/, v17 neg_lo:[1,1,0]
	s_set_vgpr_msb 0                        ;  msbs: dst=0 src0=0 src1=0 src2=0
	v_perm_b32 v1, v232, v141, 0x6050403
	s_set_vgpr_msb 5                        ;  msbs: dst=0 src0=1 src1=1 src2=0
	v_dot4_i32_iu8 v4, v4 /*v260*/, v60 /*v316*/, v4 neg_lo:[1,1,0]
	s_set_vgpr_msb 0                        ;  msbs: dst=0 src0=0 src1=0 src2=0
	v_mul_lo_u32 v6, v5, v203
	v_perm_b32 v226, v8, v8, 0xc0c0201
	v_mul_lo_u32 v17, v17, v220
	v_perm_b32 v227, v9, v8, 0x6050403
	v_mul_lo_u32 v4, v4, v203
	s_delay_alu instid0(VALU_DEP_3) | instskip(NEXT) | instid1(VALU_DEP_2)
	v_cvt_f32_i32_e32 v17, v17
	v_cvt_f32_i32_e32 v5, v4
	;; [unrolled: 1-line block ×3, first 2 shown]
	s_set_vgpr_msb 4                        ;  msbs: dst=0 src0=0 src1=1 src2=0
	v_pk_fma_f32 v[6:7], v[128:129], v[30:31] /*v[286:287]*/, 0 op_sel_hi:[0,1,0]
	s_set_vgpr_msb 1                        ;  msbs: dst=0 src0=1 src1=0 src2=0
	s_delay_alu instid0(VALU_DEP_2) | instskip(SKIP_1) | instid1(VALU_DEP_2)
	v_pk_fma_f32 v[4:5], v[28:29] /*v[284:285]*/, v[4:5], 0 op_sel_hi:[1,1,0]
	s_set_vgpr_msb 4                        ;  msbs: dst=0 src0=0 src1=1 src2=0
	v_pk_fma_f32 v[6:7], v[144:145], v[34:35] /*v[290:291]*/, v[6:7] op_sel_hi:[0,1,1]
	s_set_vgpr_msb 1                        ;  msbs: dst=0 src0=1 src1=0 src2=0
	s_delay_alu instid0(VALU_DEP_2) | instskip(SKIP_1) | instid1(VALU_DEP_2)
	v_pk_fma_f32 v[4:5], v[32:33] /*v[288:289]*/, v[16:17], v[4:5]
	s_set_vgpr_msb 0                        ;  msbs: dst=0 src0=0 src1=0 src2=0
	v_pk_mul_f32 v[6:7], v[6:7], v[114:115]
	s_delay_alu instid0(VALU_DEP_1) | instskip(SKIP_2) | instid1(VALU_DEP_3)
	v_pk_fma_f32 v[4:5], v[4:5], v[24:25], v[6:7] neg_lo:[0,0,1] neg_hi:[0,0,1]
	v_perm_b32 v6, v146, v133, 0x4030201
	v_perm_b32 v7, v137, v136, 0x4030201
	v_pk_add_f32 v[62:63], v[62:63], v[4:5]
	s_set_vgpr_msb 1                        ;  msbs: dst=0 src0=1 src1=0 src2=0
	v_mul_i32_i24_e32 v4, v42 /*v298*/, v213
	s_set_vgpr_msb 0                        ;  msbs: dst=0 src0=0 src1=0 src2=0
	v_perm_b32 v5, v229, v228, 0x5040302
	s_set_vgpr_msb 1                        ;  msbs: dst=0 src0=1 src1=0 src2=0
	v_perm_b32 v228, v20 /*v276*/, v11, 0x5040302
	v_mad_i32_i24 v4, v43 /*v299*/, v214, v4
	s_set_vgpr_msb 0                        ;  msbs: dst=0 src0=0 src1=0 src2=0
	s_delay_alu instid0(VALU_DEP_1) | instskip(SKIP_4) | instid1(VALU_DEP_2)
	v_dot4_i32_iu8 v4, v5, v215, v4 neg_lo:[1,1,0]
	v_perm_b32 v5, v230, v229, 0x5040302
	s_set_vgpr_msb 5                        ;  msbs: dst=0 src0=1 src1=1 src2=0
	v_perm_b32 v229, v21 /*v277*/, v20 /*v276*/, 0x5040302
	s_set_vgpr_msb 0                        ;  msbs: dst=0 src0=0 src1=0 src2=0
	v_dot4_i32_iu8 v4, v5, v216, v4 neg_lo:[1,1,0]
	v_perm_b32 v5, v231, v230, 0x5040302
	s_set_vgpr_msb 5                        ;  msbs: dst=0 src0=1 src1=1 src2=0
	v_perm_b32 v230, v22 /*v278*/, v21 /*v277*/, 0x5040302
	s_set_vgpr_msb 0                        ;  msbs: dst=0 src0=0 src1=0 src2=0
	s_delay_alu instid0(VALU_DEP_2) | instskip(SKIP_1) | instid1(VALU_DEP_1)
	v_dot4_i32_iu8 v4, v5, v217, v4 neg_lo:[1,1,0]
	v_perm_b32 v5, v232, v231, 0x5040302
	v_dot4_i32_iu8 v4, v5, v218, v4 neg_lo:[1,1,0]
	v_perm_b32 v5, v233, v232, 0x5040302
	v_perm_b32 v232, v13, v12, 0x5040302
	;; [unrolled: 1-line block ×3, first 2 shown]
	s_delay_alu instid0(VALU_DEP_3) | instskip(SKIP_2) | instid1(VALU_DEP_2)
	v_dot4_i32_iu8 v4, v5, v219, v4 neg_lo:[1,1,0]
	s_set_vgpr_msb 1                        ;  msbs: dst=0 src0=1 src1=0 src2=0
	v_mul_i32_i24_e32 v5, v51 /*v307*/, v222
	v_dot4_i32_iu8 v4, v58 /*v314*/, v221, v4 neg_lo:[1,1,0]
	s_set_vgpr_msb 0                        ;  msbs: dst=0 src0=0 src1=0 src2=0
	s_delay_alu instid0(VALU_DEP_2) | instskip(SKIP_1) | instid1(VALU_DEP_2)
	v_dot4_i32_iu8 v5, v20, v244, v5 neg_lo:[1,1,0]
	s_set_vgpr_msb 1                        ;  msbs: dst=0 src0=1 src1=0 src2=0
	v_dot4_i32_iu8 v3, v59 /*v315*/, v249, v4 neg_lo:[1,1,0]
	s_set_vgpr_msb 0                        ;  msbs: dst=0 src0=0 src1=0 src2=0
	s_delay_alu instid0(VALU_DEP_2) | instskip(SKIP_1) | instid1(VALU_DEP_2)
	v_dot4_i32_iu8 v5, v21, v245, v5 neg_lo:[1,1,0]
	s_set_vgpr_msb 4                        ;  msbs: dst=0 src0=0 src1=1 src2=0
	v_dot4_i32_iu8 v3, v250, v60 /*v316*/, v3 neg_lo:[1,1,0]
	s_set_vgpr_msb 0                        ;  msbs: dst=0 src0=0 src1=0 src2=0
	s_delay_alu instid0(VALU_DEP_2) | instskip(NEXT) | instid1(VALU_DEP_2)
	v_dot4_i32_iu8 v5, v134, v246, v5 neg_lo:[1,1,0]
	v_mul_lo_u32 v3, v3, v212
	s_set_vgpr_msb 1                        ;  msbs: dst=0 src0=1 src1=0 src2=0
	s_delay_alu instid0(VALU_DEP_2) | instskip(NEXT) | instid1(VALU_DEP_1)
	v_dot4_i32_iu8 v5, v44 /*v300*/, v6, v5 neg_lo:[1,1,0]
	v_dot4_i32_iu8 v5, v16 /*v272*/, v247, v5 neg_lo:[1,1,0]
	s_delay_alu instid0(VALU_DEP_1) | instskip(SKIP_1) | instid1(VALU_DEP_4)
	v_dot4_i32_iu8 v6, v17 /*v273*/, v248, v5 neg_lo:[1,1,0]
	s_set_vgpr_msb 4                        ;  msbs: dst=0 src0=0 src1=1 src2=0
	v_cvt_f32_i32_e32 v3, v3
	v_pk_fma_f32 v[4:5], v[138:139], v[30:31] /*v[286:287]*/, 0 op_sel_hi:[0,1,0]
	s_set_vgpr_msb 1                        ;  msbs: dst=0 src0=1 src1=0 src2=0
	v_dot4_i32_iu8 v6, v18 /*v274*/, v7, v6 neg_lo:[1,1,0]
	s_set_vgpr_msb 20                       ;  msbs: dst=0 src0=0 src1=1 src2=1
	v_mad_i32_i24 v7, v19, v23 /*v279*/, v53 /*v309*/
	s_set_vgpr_msb 1                        ;  msbs: dst=0 src0=1 src1=0 src2=0
	v_pk_fma_f32 v[2:3], v[28:29] /*v[284:285]*/, v[2:3], 0 op_sel_hi:[1,1,0]
	s_set_vgpr_msb 4                        ;  msbs: dst=0 src0=0 src1=1 src2=0
	v_pk_fma_f32 v[4:5], v[142:143], v[34:35] /*v[290:291]*/, v[4:5] op_sel_hi:[0,1,1]
	v_dot4_i32_iu8 v6, v147, v49 /*v305*/, v6 neg_lo:[1,1,0]
	v_dot4_i32_iu8 v7, v147, v52 /*v308*/, v7 neg_lo:[1,1,0]
	s_set_vgpr_msb 0                        ;  msbs: dst=0 src0=0 src1=0 src2=0
	s_delay_alu instid0(VALU_DEP_3) | instskip(NEXT) | instid1(VALU_DEP_3)
	v_pk_mul_f32 v[4:5], v[4:5], v[116:117]
	v_mul_lo_u32 v6, v6, v209
	s_delay_alu instid0(VALU_DEP_3) | instskip(NEXT) | instid1(VALU_DEP_2)
	v_mul_lo_u32 v16, v7, v209
	v_cvt_f32_i32_e32 v7, v6
	s_delay_alu instid0(VALU_DEP_2) | instskip(SKIP_1) | instid1(VALU_DEP_1)
	v_cvt_f32_i32_e32 v6, v16
	s_set_vgpr_msb 1                        ;  msbs: dst=0 src0=1 src1=0 src2=0
	v_pk_fma_f32 v[2:3], v[32:33] /*v[288:289]*/, v[6:7], v[2:3]
	s_set_vgpr_msb 0                        ;  msbs: dst=0 src0=0 src1=0 src2=0
	s_delay_alu instid0(VALU_DEP_1) | instskip(SKIP_3) | instid1(VALU_DEP_2)
	v_pk_fma_f32 v[2:3], v[2:3], v[26:27], v[4:5] neg_lo:[0,0,1] neg_hi:[0,0,1]
	s_set_vgpr_msb 21                       ;  msbs: dst=0 src0=1 src1=1 src2=1
	v_mad_i32_i24 v5, v37 /*v293*/, v23 /*v279*/, v41 /*v297*/
	s_set_vgpr_msb 0                        ;  msbs: dst=0 src0=0 src1=0 src2=0
	v_pk_add_f32 v[60:61], v[60:61], v[2:3]
	s_set_vgpr_msb 1                        ;  msbs: dst=0 src0=1 src1=0 src2=0
	v_mul_i32_i24_e32 v2, v42 /*v298*/, v207
	s_delay_alu instid0(VALU_DEP_1) | instskip(NEXT) | instid1(VALU_DEP_1)
	v_dot4_i32_iu8 v2, v45 /*v301*/, v223, v2 neg_lo:[1,1,0]
	v_dot4_i32_iu8 v0, v47 /*v303*/, v224, v2 neg_lo:[1,1,0]
	s_set_vgpr_msb 0                        ;  msbs: dst=0 src0=0 src1=0 src2=0
	v_perm_b32 v2, v206, v231, 0x6050403
	s_set_vgpr_msb 4                        ;  msbs: dst=0 src0=0 src1=1 src2=0
	v_perm_b32 v231, v12, v22 /*v278*/, 0x5040302
	s_set_vgpr_msb 1                        ;  msbs: dst=0 src0=1 src1=0 src2=0
	v_dot4_i32_iu8 v0, v55 /*v311*/, v225, v0 neg_lo:[1,1,0]
	s_delay_alu instid0(VALU_DEP_1) | instskip(SKIP_1) | instid1(VALU_DEP_1)
	v_dot4_i32_iu8 v0, v56 /*v312*/, v140, v0 neg_lo:[1,1,0]
	s_set_vgpr_msb 0                        ;  msbs: dst=0 src0=0 src1=0 src2=0
	v_dot4_i32_iu8 v0, v2, v1, v0 neg_lo:[1,1,0]
	s_set_vgpr_msb 1                        ;  msbs: dst=0 src0=1 src1=0 src2=0
	v_mul_i32_i24_e32 v1, v51 /*v307*/, v211
	s_set_vgpr_msb 4                        ;  msbs: dst=0 src0=0 src1=1 src2=0
	s_delay_alu instid0(VALU_DEP_2) | instskip(SKIP_1) | instid1(VALU_DEP_2)
	v_mad_i32_i24 v0, v208, v50 /*v306*/, v0
	s_set_vgpr_msb 0                        ;  msbs: dst=0 src0=0 src1=0 src2=0
	v_dot4_i32_iu8 v1, v20, v228, v1 neg_lo:[1,1,0]
	s_set_vgpr_msb 4                        ;  msbs: dst=0 src0=0 src1=1 src2=0
	s_delay_alu instid0(VALU_DEP_2) | instskip(SKIP_1) | instid1(VALU_DEP_2)
	v_dot4_i32_iu8 v0, v226, v57 /*v313*/, v0 neg_lo:[1,1,0]
	s_set_vgpr_msb 0                        ;  msbs: dst=0 src0=0 src1=0 src2=0
	v_dot4_i32_iu8 v1, v21, v229, v1 neg_lo:[1,1,0]
	s_set_vgpr_msb 4                        ;  msbs: dst=0 src0=0 src1=1 src2=0
	s_delay_alu instid0(VALU_DEP_2) | instskip(SKIP_1) | instid1(VALU_DEP_2)
	v_dot4_i32_iu8 v0, v227, v58 /*v314*/, v0 neg_lo:[1,1,0]
	s_set_vgpr_msb 0                        ;  msbs: dst=0 src0=0 src1=0 src2=0
	v_dot4_i32_iu8 v1, v134, v230, v1 neg_lo:[1,1,0]
	s_set_vgpr_msb 1                        ;  msbs: dst=0 src0=1 src1=0 src2=0
	v_perm_b32 v134, v38 /*v294*/, v15, 0xc040302
	v_dot4_i32_iu8 v0, v59 /*v315*/, v234, v0 neg_lo:[1,1,0]
	s_delay_alu instid0(VALU_DEP_3) | instskip(SKIP_1) | instid1(VALU_DEP_3)
	v_dot4_i32_iu8 v1, v44 /*v300*/, v231, v1 neg_lo:[1,1,0]
	s_set_vgpr_msb 4                        ;  msbs: dst=0 src0=0 src1=1 src2=0
	v_dot4_i32_iu8 v5, v134, v52 /*v308*/, v5 neg_lo:[1,1,0]
	s_delay_alu instid0(VALU_DEP_3)
	v_dot4_i32_iu8 v0, v235, v60 /*v316*/, v0 neg_lo:[1,1,0]
	s_set_vgpr_msb 1                        ;  msbs: dst=0 src0=1 src1=0 src2=0
	v_dot4_i32_iu8 v1, v16 /*v272*/, v232, v1 neg_lo:[1,1,0]
	s_set_vgpr_msb 0                        ;  msbs: dst=0 src0=0 src1=0 src2=0
	v_mul_lo_u32 v6, v5, v145
	v_mul_lo_u32 v0, v0, v210
	s_set_vgpr_msb 1                        ;  msbs: dst=0 src0=1 src1=0 src2=0
	v_dot4_i32_iu8 v4, v17 /*v273*/, v233, v1 neg_lo:[1,1,0]
	s_set_vgpr_msb 21                       ;  msbs: dst=0 src0=1 src1=1 src2=1
	v_mad_i32_i24 v1, v39 /*v295*/, v15 /*v271*/, v40 /*v296*/
	s_set_vgpr_msb 1                        ;  msbs: dst=0 src0=1 src1=0 src2=0
	s_delay_alu instid0(VALU_DEP_2) | instskip(SKIP_1) | instid1(VALU_DEP_2)
	v_dot4_i32_iu8 v4, v18 /*v274*/, v132, v4 neg_lo:[1,1,0]
	s_set_vgpr_msb 4                        ;  msbs: dst=0 src0=0 src1=1 src2=0
	v_dot4_i32_iu8 v1, v235, v61 /*v317*/, v1 neg_lo:[1,1,0]
	s_delay_alu instid0(VALU_DEP_2) | instskip(SKIP_1) | instid1(VALU_DEP_2)
	v_dot4_i32_iu8 v4, v134, v49 /*v305*/, v4 neg_lo:[1,1,0]
	s_set_vgpr_msb 0                        ;  msbs: dst=0 src0=0 src1=0 src2=0
	v_mul_lo_u32 v2, v1, v210
	v_cvt_f32_i32_e32 v1, v0
	s_delay_alu instid0(VALU_DEP_3) | instskip(NEXT) | instid1(VALU_DEP_3)
	v_mul_lo_u32 v4, v4, v145
	v_cvt_f32_i32_e32 v0, v2
	s_set_vgpr_msb 4                        ;  msbs: dst=0 src0=0 src1=1 src2=0
	v_pk_fma_f32 v[2:3], v[130:131], v[30:31] /*v[286:287]*/, 0 op_sel_hi:[0,1,0]
	s_delay_alu instid0(VALU_DEP_3)
	v_cvt_f32_i32_e32 v5, v4
	s_set_vgpr_msb 1                        ;  msbs: dst=0 src0=1 src1=0 src2=0
	v_pk_fma_f32 v[0:1], v[28:29] /*v[284:285]*/, v[0:1], 0 op_sel_hi:[1,1,0]
	s_set_vgpr_msb 4                        ;  msbs: dst=0 src0=0 src1=1 src2=0
	v_cvt_f32_i32_e32 v4, v6
	v_pk_fma_f32 v[2:3], v[120:121], v[34:35] /*v[290:291]*/, v[2:3] op_sel_hi:[0,1,1]
	s_set_vgpr_msb 1                        ;  msbs: dst=0 src0=1 src1=0 src2=0
	s_delay_alu instid0(VALU_DEP_2) | instskip(SKIP_1) | instid1(VALU_DEP_2)
	v_pk_fma_f32 v[0:1], v[32:33] /*v[288:289]*/, v[4:5], v[0:1]
	s_set_vgpr_msb 0                        ;  msbs: dst=0 src0=0 src1=0 src2=0
	v_pk_mul_f32 v[2:3], v[2:3], v[118:119]
	s_delay_alu instid0(VALU_DEP_1) | instskip(NEXT) | instid1(VALU_DEP_1)
	v_pk_fma_f32 v[0:1], v[0:1], v[110:111], v[2:3] neg_lo:[0,0,1] neg_hi:[0,0,1]
	v_pk_add_f32 v[52:53], v[52:53], v[0:1]
	v_or_b32_e32 v0, s12, v161
	s_delay_alu instid0(VALU_DEP_1)
	v_dual_lshlrev_b32 v1, 2, v0 :: v_dual_lshrrev_b32 v20, 1, v0
	ds_load_b128 v[4:7], v1 offset:33280
	ds_load_b128 v[8:11], v1 offset:33296
	;; [unrolled: 1-line block ×4, first 2 shown]
	s_wait_dscnt 0x3
	v_bfe_i32 v16, v4, 0, 8
	s_set_vgpr_msb 64                       ;  msbs: dst=1 src0=0 src1=0 src2=0
	v_perm_b32 v15 /*v271*/, v4, v4, 0xc0c0201
	v_perm_b32 v16 /*v272*/, v5, v4, 0x6050403
	;; [unrolled: 1-line block ×4, first 2 shown]
	s_set_vgpr_msb 0                        ;  msbs: dst=0 src0=0 src1=0 src2=0
	v_mul_i32_i24_e32 v21, v16, v150
	s_wait_dscnt 0x2
	s_set_vgpr_msb 64                       ;  msbs: dst=1 src0=0 src1=0 src2=0
	v_perm_b32 v19 /*v275*/, v8, v121, 0x6050403
	v_perm_b32 v20 /*v276*/, v148, v7, 0x6050403
	s_set_vgpr_msb 0                        ;  msbs: dst=0 src0=0 src1=0 src2=0
	v_ashrrev_i32_e32 v18, 24, v8
	s_wait_dscnt 0x1
	v_bfe_i32 v19, v12, 0, 8
	s_set_vgpr_msb 5                        ;  msbs: dst=0 src0=1 src1=1 src2=0
	v_dot4_i32_iu8 v21, v15 /*v271*/, v9 /*v265*/, v21 neg_lo:[1,1,0]
	s_set_vgpr_msb 0                        ;  msbs: dst=0 src0=0 src1=0 src2=0
	v_perm_b32 v12, v13, v12, 0x4030201
	v_perm_b32 v13, v14, v13, 0x4030201
	;; [unrolled: 1-line block ×3, first 2 shown]
	s_wait_dscnt 0x0
	s_set_vgpr_msb 64                       ;  msbs: dst=1 src0=0 src1=0 src2=0
	v_perm_b32 v21 /*v277*/, v0, v15, 0x4030201
	s_set_vgpr_msb 5                        ;  msbs: dst=0 src0=1 src1=1 src2=0
	v_dot4_i32_iu8 v21, v16 /*v272*/, v10 /*v266*/, v21 neg_lo:[1,1,0]
	s_set_vgpr_msb 64                       ;  msbs: dst=1 src0=0 src1=0 src2=0
	v_perm_b32 v23 /*v279*/, v1, v0, 0x4030201
	s_set_vgpr_msb 0                        ;  msbs: dst=0 src0=0 src1=0 src2=0
	v_perm_b32 v1, v2, v1, 0x4030201
	s_set_vgpr_msb 64                       ;  msbs: dst=1 src0=0 src1=0 src2=0
	v_perm_b32 v25 /*v281*/, v8, v135, 0x6050403
	v_perm_b32 v26 /*v282*/, v155, v7, 0x6050403
	s_set_vgpr_msb 5                        ;  msbs: dst=0 src0=1 src1=1 src2=0
	v_dot4_i32_iu8 v21, v17 /*v273*/, v11 /*v267*/, v21 neg_lo:[1,1,0]
	s_set_vgpr_msb 0                        ;  msbs: dst=0 src0=0 src1=0 src2=0
	v_bfe_i32 v17, v4, 8, 8
	v_perm_b32 v4, v5, v4, 0x5040302
	v_perm_b32 v5, v6, v5, 0x5040302
	;; [unrolled: 1-line block ×3, first 2 shown]
	s_set_vgpr_msb 5                        ;  msbs: dst=0 src0=1 src1=1 src2=0
	v_dot4_i32_iu8 v21, v18 /*v274*/, v12 /*v268*/, v21 neg_lo:[1,1,0]
	s_set_vgpr_msb 64                       ;  msbs: dst=1 src0=0 src1=0 src2=0
	v_perm_b32 v45 /*v301*/, v11, v10, 0x5040302
	v_perm_b32 v46 /*v302*/, v11, v11, 0xc0c0302
	s_set_vgpr_msb 5                        ;  msbs: dst=0 src0=1 src1=1 src2=0
	v_dot4_i32_iu8 v21, v20 /*v276*/, v19 /*v275*/, v21 neg_lo:[1,1,0]
	s_set_vgpr_msb 64                       ;  msbs: dst=1 src0=0 src1=0 src2=0
	v_perm_b32 v19 /*v275*/, v9, v9, 0xc0c0100
	v_perm_b32 v20 /*v276*/, v10, v9, 0x5040302
	s_set_vgpr_msb 0                        ;  msbs: dst=0 src0=0 src1=0 src2=0
	v_mad_i32_i24 v21, v149, v18, v21
	s_set_vgpr_msb 5                        ;  msbs: dst=0 src0=1 src1=1 src2=0
	s_delay_alu instid0(VALU_DEP_1) | instskip(SKIP_1) | instid1(VALU_DEP_1)
	v_dot4_i32_iu8 v21, v13 /*v269*/, v19 /*v275*/, v21 neg_lo:[1,1,0]
	s_set_vgpr_msb 0x45                     ;  msbs: dst=1 src0=1 src1=1 src2=0
	v_dot4_i32_iu8 v22 /*v278*/, v14 /*v270*/, v20 /*v276*/, v21 neg_lo:[1,1,0]
	s_set_vgpr_msb 0                        ;  msbs: dst=0 src0=0 src1=0 src2=0
	v_mul_i32_i24_e32 v21, v151, v19
	s_delay_alu instid0(VALU_DEP_1) | instskip(NEXT) | instid1(VALU_DEP_1)
	v_dot4_i32_iu8 v21, v152, v12, v21 neg_lo:[1,1,0]
	v_dot4_i32_iu8 v21, v153, v13, v21 neg_lo:[1,1,0]
	s_set_vgpr_msb 1                        ;  msbs: dst=0 src0=1 src1=0 src2=0
	s_delay_alu instid0(VALU_DEP_1) | instskip(SKIP_1) | instid1(VALU_DEP_1)
	v_dot4_i32_iu8 v21, v5 /*v261*/, v14, v21 neg_lo:[1,1,0]
	s_set_vgpr_msb 5                        ;  msbs: dst=0 src0=1 src1=1 src2=0
	v_dot4_i32_iu8 v21, v6 /*v262*/, v21 /*v277*/, v21 neg_lo:[1,1,0]
	s_delay_alu instid0(VALU_DEP_1) | instskip(SKIP_1) | instid1(VALU_DEP_1)
	v_dot4_i32_iu8 v21, v7 /*v263*/, v23 /*v279*/, v21 neg_lo:[1,1,0]
	s_set_vgpr_msb 0x41                     ;  msbs: dst=1 src0=1 src1=0 src2=0
	v_dot4_i32_iu8 v24 /*v280*/, v8 /*v264*/, v1, v21 neg_lo:[1,1,0]
	s_set_vgpr_msb 0                        ;  msbs: dst=0 src0=0 src1=0 src2=0
	v_mul_i32_i24_e32 v21, v16, v156
	s_set_vgpr_msb 1                        ;  msbs: dst=0 src0=1 src1=0 src2=0
	s_delay_alu instid0(VALU_DEP_1) | instskip(NEXT) | instid1(VALU_DEP_1)
	v_dot4_i32_iu8 v21, v15 /*v271*/, v253, v21 neg_lo:[1,1,0]
	v_dot4_i32_iu8 v21, v16 /*v272*/, v254, v21 neg_lo:[1,1,0]
	s_delay_alu instid0(VALU_DEP_1) | instskip(SKIP_1) | instid1(VALU_DEP_1)
	v_dot4_i32_iu8 v21, v17 /*v273*/, v255, v21 neg_lo:[1,1,0]
	s_set_vgpr_msb 5                        ;  msbs: dst=0 src0=1 src1=1 src2=0
	v_dot4_i32_iu8 v21, v18 /*v274*/, v0 /*v256*/, v21 neg_lo:[1,1,0]
	s_delay_alu instid0(VALU_DEP_1) | instskip(SKIP_1) | instid1(VALU_DEP_1)
	v_dot4_i32_iu8 v21, v26 /*v282*/, v25 /*v281*/, v21 neg_lo:[1,1,0]
	s_set_vgpr_msb 0                        ;  msbs: dst=0 src0=0 src1=0 src2=0
	v_mad_i32_i24 v21, v157, v18, v21
	s_set_vgpr_msb 5                        ;  msbs: dst=0 src0=1 src1=1 src2=0
	s_delay_alu instid0(VALU_DEP_1) | instskip(SKIP_1) | instid1(VALU_DEP_1)
	v_dot4_i32_iu8 v21, v1 /*v257*/, v19 /*v275*/, v21 neg_lo:[1,1,0]
	s_set_vgpr_msb 0x45                     ;  msbs: dst=1 src0=1 src1=1 src2=0
	v_dot4_i32_iu8 v25 /*v281*/, v2 /*v258*/, v20 /*v276*/, v21 neg_lo:[1,1,0]
	s_set_vgpr_msb 0                        ;  msbs: dst=0 src0=0 src1=0 src2=0
	v_mul_i32_i24_e32 v21, v19, v204
	s_delay_alu instid0(VALU_DEP_1) | instskip(NEXT) | instid1(VALU_DEP_1)
	v_dot4_i32_iu8 v21, v12, v205, v21 neg_lo:[1,1,0]
	v_dot4_i32_iu8 v21, v13, v236, v21 neg_lo:[1,1,0]
	s_delay_alu instid0(VALU_DEP_1) | instskip(SKIP_1) | instid1(VALU_DEP_1)
	v_dot4_i32_iu8 v21, v14, v237, v21 neg_lo:[1,1,0]
	s_set_vgpr_msb 1                        ;  msbs: dst=0 src0=1 src1=0 src2=0
	v_dot4_i32_iu8 v21, v21 /*v277*/, v238, v21 neg_lo:[1,1,0]
	s_delay_alu instid0(VALU_DEP_1) | instskip(SKIP_1) | instid1(VALU_DEP_1)
	v_dot4_i32_iu8 v21, v23 /*v279*/, v239, v21 neg_lo:[1,1,0]
	s_set_vgpr_msb 64                       ;  msbs: dst=1 src0=0 src1=0 src2=0
	v_dot4_i32_iu8 v26 /*v282*/, v1, v240, v21 neg_lo:[1,1,0]
	s_set_vgpr_msb 0                        ;  msbs: dst=0 src0=0 src1=0 src2=0
	v_mul_i32_i24_e32 v21, v16, v213
	s_delay_alu instid0(VALU_DEP_1) | instskip(NEXT) | instid1(VALU_DEP_1)
	v_mad_i32_i24 v17, v17, v214, v21
	v_dot4_i32_iu8 v4, v4, v215, v17 neg_lo:[1,1,0]
	s_delay_alu instid0(VALU_DEP_1) | instskip(SKIP_1) | instid1(VALU_DEP_1)
	v_dot4_i32_iu8 v4, v5, v216, v4 neg_lo:[1,1,0]
	v_perm_b32 v5, v7, v6, 0x5040302
	v_dot4_i32_iu8 v4, v5, v217, v4 neg_lo:[1,1,0]
	v_perm_b32 v5, v8, v7, 0x5040302
	s_delay_alu instid0(VALU_DEP_1) | instskip(SKIP_1) | instid1(VALU_DEP_1)
	v_dot4_i32_iu8 v4, v5, v218, v4 neg_lo:[1,1,0]
	v_perm_b32 v5, v9, v8, 0x5040302
	v_dot4_i32_iu8 v4, v5, v219, v4 neg_lo:[1,1,0]
	v_perm_b32 v5, v146, v15, 0x4030201
	s_set_vgpr_msb 0x41                     ;  msbs: dst=1 src0=1 src1=0 src2=0
	s_delay_alu instid0(VALU_DEP_2) | instskip(SKIP_2) | instid1(VALU_DEP_1)
	v_dot4_i32_iu8 v27 /*v283*/, v20 /*v276*/, v221, v4 neg_lo:[1,1,0]
	s_set_vgpr_msb 0                        ;  msbs: dst=0 src0=0 src1=0 src2=0
	v_mul_i32_i24_e32 v4, v19, v222
	v_dot4_i32_iu8 v4, v12, v244, v4 neg_lo:[1,1,0]
	s_delay_alu instid0(VALU_DEP_1) | instskip(NEXT) | instid1(VALU_DEP_1)
	v_dot4_i32_iu8 v4, v13, v245, v4 neg_lo:[1,1,0]
	v_dot4_i32_iu8 v4, v14, v246, v4 neg_lo:[1,1,0]
	s_delay_alu instid0(VALU_DEP_1) | instskip(SKIP_3) | instid1(VALU_DEP_3)
	v_dot4_i32_iu8 v0, v5, v0, v4 neg_lo:[1,1,0]
	v_perm_b32 v4, v8, v141, 0x6050403
	v_perm_b32 v5, v206, v7, 0x6050403
	s_set_vgpr_msb 4                        ;  msbs: dst=0 src0=0 src1=1 src2=0
	v_dot4_i32_iu8 v0, v247, v23 /*v279*/, v0 neg_lo:[1,1,0]
	s_set_vgpr_msb 64                       ;  msbs: dst=1 src0=0 src1=0 src2=0
	s_delay_alu instid0(VALU_DEP_1) | instskip(SKIP_3) | instid1(VALU_DEP_1)
	v_dot4_i32_iu8 v28 /*v284*/, v248, v1, v0 neg_lo:[1,1,0]
	s_set_vgpr_msb 0                        ;  msbs: dst=0 src0=0 src1=0 src2=0
	v_mul_i32_i24_e32 v0, v16, v207
	s_set_vgpr_msb 1                        ;  msbs: dst=0 src0=1 src1=0 src2=0
	v_dot4_i32_iu8 v0, v15 /*v271*/, v223, v0 neg_lo:[1,1,0]
	s_delay_alu instid0(VALU_DEP_1) | instskip(NEXT) | instid1(VALU_DEP_1)
	v_dot4_i32_iu8 v0, v16 /*v272*/, v224, v0 neg_lo:[1,1,0]
	v_dot4_i32_iu8 v0, v17 /*v273*/, v225, v0 neg_lo:[1,1,0]
	s_delay_alu instid0(VALU_DEP_1) | instskip(SKIP_1) | instid1(VALU_DEP_1)
	v_dot4_i32_iu8 v0, v18 /*v274*/, v140, v0 neg_lo:[1,1,0]
	s_set_vgpr_msb 0                        ;  msbs: dst=0 src0=0 src1=0 src2=0
	v_dot4_i32_iu8 v0, v5, v4, v0 neg_lo:[1,1,0]
	s_delay_alu instid0(VALU_DEP_1) | instskip(SKIP_1) | instid1(VALU_DEP_1)
	v_mad_i32_i24 v0, v208, v18, v0
	s_set_vgpr_msb 4                        ;  msbs: dst=0 src0=0 src1=1 src2=0
	v_dot4_i32_iu8 v0, v226, v19 /*v275*/, v0 neg_lo:[1,1,0]
	s_set_vgpr_msb 0x44                     ;  msbs: dst=1 src0=0 src1=1 src2=0
	s_delay_alu instid0(VALU_DEP_1) | instskip(SKIP_2) | instid1(VALU_DEP_1)
	v_dot4_i32_iu8 v15 /*v271*/, v227, v20 /*v276*/, v0 neg_lo:[1,1,0]
	s_set_vgpr_msb 0                        ;  msbs: dst=0 src0=0 src1=0 src2=0
	v_mul_i32_i24_e32 v0, v19, v211
	v_dot4_i32_iu8 v0, v12, v228, v0 neg_lo:[1,1,0]
	s_delay_alu instid0(VALU_DEP_1) | instskip(NEXT) | instid1(VALU_DEP_1)
	v_dot4_i32_iu8 v0, v13, v229, v0 neg_lo:[1,1,0]
	v_dot4_i32_iu8 v0, v14, v230, v0 neg_lo:[1,1,0]
	s_set_vgpr_msb 4                        ;  msbs: dst=0 src0=0 src1=1 src2=0
	s_delay_alu instid0(VALU_DEP_1) | instskip(NEXT) | instid1(VALU_DEP_1)
	v_dot4_i32_iu8 v0, v231, v21 /*v277*/, v0 neg_lo:[1,1,0]
	v_dot4_i32_iu8 v0, v232, v23 /*v279*/, v0 neg_lo:[1,1,0]
	s_set_vgpr_msb 64                       ;  msbs: dst=1 src0=0 src1=0 src2=0
	s_delay_alu instid0(VALU_DEP_1) | instskip(SKIP_2) | instid1(VALU_DEP_1)
	v_dot4_i32_iu8 v23 /*v279*/, v233, v1, v0 neg_lo:[1,1,0]
	s_set_vgpr_msb 0                        ;  msbs: dst=0 src0=0 src1=0 src2=0
	v_or_b32_e32 v0, s12, v162
	v_dual_lshlrev_b32 v1, 2, v0 :: v_dual_lshrrev_b32 v8, 1, v0
	ds_load_b128 v[4:7], v1 offset:33280
	ds_load_b128 v[12:15], v1 offset:33296
	ds_load_b128 v[16:19], v1 offset:33312
	s_set_vgpr_msb 64                       ;  msbs: dst=1 src0=0 src1=0 src2=0
	ds_load_b128 v[16:19] /*v[272:275]*/, v1 offset:33328
	s_wait_dscnt 0x3
	v_bfe_i32 v29 /*v285*/, v4, 0, 8
	v_perm_b32 v33 /*v289*/, v4, v4, 0xc0c0201
	v_perm_b32 v34 /*v290*/, v5, v4, 0x6050403
	v_perm_b32 v35 /*v291*/, v6, v5, 0x6050403
	v_perm_b32 v36 /*v292*/, v7, v6, 0x6050403
	s_set_vgpr_msb 1                        ;  msbs: dst=0 src0=1 src1=0 src2=0
	v_mul_i32_i24_e32 v0, v29 /*v285*/, v150
	s_wait_dscnt 0x2
	s_set_vgpr_msb 0                        ;  msbs: dst=0 src0=0 src1=0 src2=0
	v_perm_b32 v1, v12, v121, 0x6050403
	v_perm_b32 v9, v148, v7, 0x6050403
	s_set_vgpr_msb 64                       ;  msbs: dst=1 src0=0 src1=0 src2=0
	v_ashrrev_i32_e32 v31 /*v287*/, 24, v12
	v_perm_b32 v37 /*v293*/, v13, v13, 0xc0c0100
	s_set_vgpr_msb 5                        ;  msbs: dst=0 src0=1 src1=1 src2=0
	v_dot4_i32_iu8 v0, v33 /*v289*/, v9 /*v265*/, v0 neg_lo:[1,1,0]
	s_wait_dscnt 0x1
	s_set_vgpr_msb 64                       ;  msbs: dst=1 src0=0 src1=0 src2=0
	v_bfe_i32 v32 /*v288*/, v16, 0, 8
	v_perm_b32 v38 /*v294*/, v14, v13, 0x5040302
	v_perm_b32 v40 /*v296*/, v17, v16, 0x4030201
	;; [unrolled: 1-line block ×3, first 2 shown]
	s_set_vgpr_msb 5                        ;  msbs: dst=0 src0=1 src1=1 src2=0
	v_dot4_i32_iu8 v0, v34 /*v290*/, v10 /*v266*/, v0 neg_lo:[1,1,0]
	s_set_vgpr_msb 0                        ;  msbs: dst=0 src0=0 src1=0 src2=0
	v_perm_b32 v18, v19, v18, 0x4030201
	s_wait_dscnt 0x0
	s_set_vgpr_msb 0x41                     ;  msbs: dst=1 src0=1 src1=0 src2=0
	v_perm_b32 v42 /*v298*/, v16 /*v272*/, v19, 0x4030201
	s_set_vgpr_msb 0x45                     ;  msbs: dst=1 src0=1 src1=1 src2=0
	v_perm_b32 v43 /*v299*/, v17 /*v273*/, v16 /*v272*/, 0x4030201
	v_perm_b32 v17 /*v273*/, v18 /*v274*/, v17 /*v273*/, 0x4030201
	s_set_vgpr_msb 5                        ;  msbs: dst=0 src0=1 src1=1 src2=0
	v_dot4_i32_iu8 v0, v35 /*v291*/, v11 /*v267*/, v0 neg_lo:[1,1,0]
	s_set_vgpr_msb 64                       ;  msbs: dst=1 src0=0 src1=0 src2=0
	v_bfe_i32 v30 /*v286*/, v4, 8, 8
	s_set_vgpr_msb 0                        ;  msbs: dst=0 src0=0 src1=0 src2=0
	v_perm_b32 v4, v5, v4, 0x5040302
	v_perm_b32 v5, v6, v5, 0x5040302
	s_set_vgpr_msb 5                        ;  msbs: dst=0 src0=1 src1=1 src2=0
	v_dot4_i32_iu8 v0, v36 /*v292*/, v12 /*v268*/, v0 neg_lo:[1,1,0]
	s_set_vgpr_msb 0                        ;  msbs: dst=0 src0=0 src1=0 src2=0
	s_delay_alu instid0(VALU_DEP_1) | instskip(SKIP_1) | instid1(VALU_DEP_1)
	v_dot4_i32_iu8 v0, v9, v1, v0 neg_lo:[1,1,0]
	s_set_vgpr_msb 4                        ;  msbs: dst=0 src0=0 src1=1 src2=0
	v_mad_i32_i24 v0, v149, v31 /*v287*/, v0
	s_set_vgpr_msb 5                        ;  msbs: dst=0 src0=1 src1=1 src2=0
	s_delay_alu instid0(VALU_DEP_1) | instskip(SKIP_1) | instid1(VALU_DEP_1)
	v_dot4_i32_iu8 v0, v13 /*v269*/, v37 /*v293*/, v0 neg_lo:[1,1,0]
	s_set_vgpr_msb 0x45                     ;  msbs: dst=1 src0=1 src1=1 src2=0
	v_dot4_i32_iu8 v39 /*v295*/, v14 /*v270*/, v38 /*v294*/, v0 neg_lo:[1,1,0]
	s_set_vgpr_msb 4                        ;  msbs: dst=0 src0=0 src1=1 src2=0
	v_mul_i32_i24_e32 v0, v151, v32 /*v288*/
	s_delay_alu instid0(VALU_DEP_1) | instskip(NEXT) | instid1(VALU_DEP_1)
	v_dot4_i32_iu8 v0, v152, v40 /*v296*/, v0 neg_lo:[1,1,0]
	v_dot4_i32_iu8 v0, v153, v41 /*v297*/, v0 neg_lo:[1,1,0]
	s_set_vgpr_msb 1                        ;  msbs: dst=0 src0=1 src1=0 src2=0
	s_delay_alu instid0(VALU_DEP_1) | instskip(SKIP_1) | instid1(VALU_DEP_1)
	v_dot4_i32_iu8 v0, v5 /*v261*/, v18, v0 neg_lo:[1,1,0]
	s_set_vgpr_msb 5                        ;  msbs: dst=0 src0=1 src1=1 src2=0
	v_dot4_i32_iu8 v0, v6 /*v262*/, v42 /*v298*/, v0 neg_lo:[1,1,0]
	s_delay_alu instid0(VALU_DEP_1) | instskip(SKIP_1) | instid1(VALU_DEP_1)
	v_dot4_i32_iu8 v0, v7 /*v263*/, v43 /*v299*/, v0 neg_lo:[1,1,0]
	s_set_vgpr_msb 0x45                     ;  msbs: dst=1 src0=1 src1=1 src2=0
	v_dot4_i32_iu8 v44 /*v300*/, v8 /*v264*/, v17 /*v273*/, v0 neg_lo:[1,1,0]
	s_set_vgpr_msb 0                        ;  msbs: dst=0 src0=0 src1=0 src2=0
	ds_load_b64 v[0:1], v20 offset:43584
	ds_load_b64 v[8:9], v8 offset:43584
	s_wait_dscnt 0x1
	v_cvt_f32_f16_e32 v16, v0
	s_wait_dscnt 0x0
	v_cvt_f32_f16_e32 v17, v8
	v_lshrrev_b32_e32 v8, 16, v8
	v_lshrrev_b32_e32 v0, 16, v0
	s_set_vgpr_msb 64                       ;  msbs: dst=1 src0=0 src1=0 src2=0
	v_cvt_f32_f16_e64 v21 /*v277*/, v9
	v_cvt_f32_f16_e64 v20 /*v276*/, v1
	s_set_vgpr_msb 0                        ;  msbs: dst=0 src0=0 src1=0 src2=0
	v_cvt_f32_f16_e32 v21, v8
	s_set_vgpr_msb 17                       ;  msbs: dst=0 src0=1 src1=0 src2=1
	v_dot4_i32_iu8 v8, v45 /*v301*/, v252, v22 /*v278*/ neg_lo:[1,1,0]
	s_set_vgpr_msb 64                       ;  msbs: dst=1 src0=0 src1=0 src2=0
	v_perm_b32 v22 /*v278*/, v15, v14, 0x5040302
	s_set_vgpr_msb 0                        ;  msbs: dst=0 src0=0 src1=0 src2=0
	v_cvt_f32_f16_e32 v20, v0
	v_lshrrev_b32_e32 v0, 16, v1
	v_lshrrev_b32_e32 v1, 16, v9
	v_perm_b32 v14, v125, v2, 0x4030201
	s_set_vgpr_msb 17                       ;  msbs: dst=0 src0=1 src1=0 src2=1
	v_dot4_i32_iu8 v9, v22 /*v278*/, v252, v39 /*v295*/ neg_lo:[1,1,0]
	s_set_vgpr_msb 64                       ;  msbs: dst=1 src0=0 src1=0 src2=0
	v_perm_b32 v39 /*v295*/, v15, v15, 0xc0c0302
	s_set_vgpr_msb 0                        ;  msbs: dst=0 src0=0 src1=0 src2=0
	v_perm_b32 v15, v3, v124, 0x4030201
	s_set_vgpr_msb 4                        ;  msbs: dst=0 src0=0 src1=1 src2=0
	v_dot4_i32_iu8 v8, v251, v46 /*v302*/, v8 neg_lo:[1,1,0]
	v_cvt_f32_f16_e32 v1, v1
	v_cvt_f32_f16_e32 v0, v0
	v_dot4_i32_iu8 v9, v251, v39 /*v295*/, v9 neg_lo:[1,1,0]
	s_set_vgpr_msb 16                       ;  msbs: dst=0 src0=0 src1=0 src2=1
	v_dot4_i32_iu8 v14, v15, v14, v24 /*v280*/ neg_lo:[1,1,0]
	s_set_vgpr_msb 4                        ;  msbs: dst=0 src0=0 src1=1 src2=0
	v_perm_b32 v15, v125, v18 /*v274*/, 0x4030201
	s_set_vgpr_msb 0x41                     ;  msbs: dst=1 src0=1 src1=0 src2=0
	v_perm_b32 v24 /*v280*/, v19 /*v275*/, v124, 0x4030201
	s_set_vgpr_msb 0                        ;  msbs: dst=0 src0=0 src1=0 src2=0
	v_mul_lo_u32 v8, v8, v154
	v_mul_lo_u32 v9, v9, v154
	v_pk_fma_f32 v[10:11], v[126:127], v[20:21], 0 op_sel_hi:[0,1,0]
	s_set_vgpr_msb 17                       ;  msbs: dst=0 src0=1 src1=0 src2=1
	v_dot4_i32_iu8 v15, v24 /*v280*/, v15, v44 /*v300*/ neg_lo:[1,1,0]
	s_set_vgpr_msb 0x45                     ;  msbs: dst=1 src0=1 src1=1 src2=0
	v_perm_b32 v24 /*v280*/, v19 /*v275*/, v19 /*v275*/, 0xc070601
	s_set_vgpr_msb 64                       ;  msbs: dst=1 src0=0 src1=0 src2=0
	v_perm_b32 v44 /*v300*/, v3, v3, 0xc070601
	s_set_vgpr_msb 0                        ;  msbs: dst=0 src0=0 src1=0 src2=0
	v_pk_fma_f32 v[10:11], v[122:123], v[0:1], v[10:11] op_sel_hi:[0,1,1]
	s_set_vgpr_msb 4                        ;  msbs: dst=0 src0=0 src1=1 src2=0
	v_dot4_i32_iu8 v15, v243, v24 /*v280*/, v15 neg_lo:[1,1,0]
	v_dot4_i32_iu8 v14, v243, v44 /*v300*/, v14 neg_lo:[1,1,0]
	v_cvt_f32_i32_e32 v9, v9
	v_cvt_f32_i32_e32 v8, v8
	s_set_vgpr_msb 0                        ;  msbs: dst=0 src0=0 src1=0 src2=0
	v_pk_mul_f32 v[10:11], v[10:11], v[112:113]
	v_mul_lo_u32 v15, v15, v123
	v_mul_lo_u32 v14, v14, v123
	v_pk_fma_f32 v[8:9], v[16:17], v[8:9], 0 op_sel_hi:[1,1,0]
	s_delay_alu instid0(VALU_DEP_3) | instskip(NEXT) | instid1(VALU_DEP_3)
	v_cvt_f32_i32_e32 v15, v15
	v_cvt_f32_i32_e32 v14, v14
	s_set_vgpr_msb 1                        ;  msbs: dst=0 src0=1 src1=0 src2=0
	s_delay_alu instid0(VALU_DEP_1) | instskip(SKIP_1) | instid1(VALU_DEP_1)
	v_pk_fma_f32 v[8:9], v[20:21] /*v[276:277]*/, v[14:15], v[8:9]
	s_set_vgpr_msb 0                        ;  msbs: dst=0 src0=0 src1=0 src2=0
	v_pk_fma_f32 v[8:9], v[8:9], v[22:23], v[10:11] neg_lo:[0,0,1] neg_hi:[0,0,1]
	v_perm_b32 v10, v155, v7, 0x6050403
	s_delay_alu instid0(VALU_DEP_2)
	v_pk_add_f32 v[50:51], v[50:51], v[8:9]
	s_set_vgpr_msb 1                        ;  msbs: dst=0 src0=1 src1=0 src2=0
	v_mul_i32_i24_e32 v8, v29 /*v285*/, v156
	s_set_vgpr_msb 0                        ;  msbs: dst=0 src0=0 src1=0 src2=0
	v_perm_b32 v9, v12, v135, 0x6050403
	s_set_vgpr_msb 1                        ;  msbs: dst=0 src0=1 src1=0 src2=0
	s_delay_alu instid0(VALU_DEP_2) | instskip(NEXT) | instid1(VALU_DEP_1)
	v_dot4_i32_iu8 v8, v33 /*v289*/, v253, v8 neg_lo:[1,1,0]
	v_dot4_i32_iu8 v8, v34 /*v290*/, v254, v8 neg_lo:[1,1,0]
	s_delay_alu instid0(VALU_DEP_1) | instskip(SKIP_1) | instid1(VALU_DEP_1)
	v_dot4_i32_iu8 v8, v35 /*v291*/, v255, v8 neg_lo:[1,1,0]
	s_set_vgpr_msb 5                        ;  msbs: dst=0 src0=1 src1=1 src2=0
	v_dot4_i32_iu8 v8, v36 /*v292*/, v0 /*v256*/, v8 neg_lo:[1,1,0]
	s_set_vgpr_msb 0                        ;  msbs: dst=0 src0=0 src1=0 src2=0
	s_delay_alu instid0(VALU_DEP_1) | instskip(SKIP_3) | instid1(VALU_DEP_2)
	v_dot4_i32_iu8 v8, v10, v9, v8 neg_lo:[1,1,0]
	s_set_vgpr_msb 1                        ;  msbs: dst=0 src0=1 src1=0 src2=0
	v_mul_i32_i24_e32 v9, v32 /*v288*/, v204
	s_set_vgpr_msb 4                        ;  msbs: dst=0 src0=0 src1=1 src2=0
	v_mad_i32_i24 v8, v157, v31 /*v287*/, v8
	s_set_vgpr_msb 1                        ;  msbs: dst=0 src0=1 src1=0 src2=0
	s_delay_alu instid0(VALU_DEP_2) | instskip(SKIP_1) | instid1(VALU_DEP_2)
	v_dot4_i32_iu8 v9, v40 /*v296*/, v205, v9 neg_lo:[1,1,0]
	s_set_vgpr_msb 5                        ;  msbs: dst=0 src0=1 src1=1 src2=0
	v_dot4_i32_iu8 v8, v1 /*v257*/, v37 /*v293*/, v8 neg_lo:[1,1,0]
	s_set_vgpr_msb 1                        ;  msbs: dst=0 src0=1 src1=0 src2=0
	s_delay_alu instid0(VALU_DEP_2) | instskip(SKIP_1) | instid1(VALU_DEP_2)
	v_dot4_i32_iu8 v9, v41 /*v297*/, v236, v9 neg_lo:[1,1,0]
	s_set_vgpr_msb 5                        ;  msbs: dst=0 src0=1 src1=1 src2=0
	v_dot4_i32_iu8 v8, v2 /*v258*/, v38 /*v294*/, v8 neg_lo:[1,1,0]
	s_set_vgpr_msb 0                        ;  msbs: dst=0 src0=0 src1=0 src2=0
	s_delay_alu instid0(VALU_DEP_2) | instskip(SKIP_1) | instid1(VALU_DEP_2)
	v_dot4_i32_iu8 v9, v18, v237, v9 neg_lo:[1,1,0]
	s_set_vgpr_msb 5                        ;  msbs: dst=0 src0=1 src1=1 src2=0
	v_dot4_i32_iu8 v8, v22 /*v278*/, v3 /*v259*/, v8 neg_lo:[1,1,0]
	s_set_vgpr_msb 1                        ;  msbs: dst=0 src0=1 src1=0 src2=0
	s_delay_alu instid0(VALU_DEP_2) | instskip(SKIP_1) | instid1(VALU_DEP_2)
	v_dot4_i32_iu8 v9, v42 /*v298*/, v238, v9 neg_lo:[1,1,0]
	s_set_vgpr_msb 5                        ;  msbs: dst=0 src0=1 src1=1 src2=0
	v_dot4_i32_iu8 v8, v4 /*v260*/, v39 /*v295*/, v8 neg_lo:[1,1,0]
	s_set_vgpr_msb 1                        ;  msbs: dst=0 src0=1 src1=0 src2=0
	s_delay_alu instid0(VALU_DEP_2) | instskip(SKIP_1) | instid1(VALU_DEP_2)
	v_dot4_i32_iu8 v9, v43 /*v299*/, v239, v9 neg_lo:[1,1,0]
	s_set_vgpr_msb 0                        ;  msbs: dst=0 src0=0 src1=0 src2=0
	v_mul_lo_u32 v8, v8, v203
	s_set_vgpr_msb 1                        ;  msbs: dst=0 src0=1 src1=0 src2=0
	s_delay_alu instid0(VALU_DEP_2)
	v_dot4_i32_iu8 v14, v17 /*v273*/, v240, v9 neg_lo:[1,1,0]
	s_set_vgpr_msb 21                       ;  msbs: dst=0 src0=1 src1=1 src2=1
	v_dot4_i32_iu8 v9, v45 /*v301*/, v3 /*v259*/, v25 /*v281*/ neg_lo:[1,1,0]
	s_set_vgpr_msb 64                       ;  msbs: dst=1 src0=0 src1=0 src2=0
	v_perm_b32 v25 /*v281*/, v3, v2, 0x4030201
	s_set_vgpr_msb 0                        ;  msbs: dst=0 src0=0 src1=0 src2=0
	v_perm_b32 v2, v137, v2, 0x4030201
	v_perm_b32 v3, v3, v136, 0x4030201
	s_set_vgpr_msb 5                        ;  msbs: dst=0 src0=1 src1=1 src2=0
	v_dot4_i32_iu8 v9, v4 /*v260*/, v46 /*v302*/, v9 neg_lo:[1,1,0]
	s_set_vgpr_msb 17                       ;  msbs: dst=0 src0=1 src1=0 src2=1
	v_dot4_i32_iu8 v15, v25 /*v281*/, v241, v26 /*v282*/ neg_lo:[1,1,0]
	s_set_vgpr_msb 0x45                     ;  msbs: dst=1 src0=1 src1=1 src2=0
	v_perm_b32 v26 /*v282*/, v19 /*v275*/, v18 /*v274*/, 0x4030201
	s_set_vgpr_msb 16                       ;  msbs: dst=0 src0=0 src1=0 src2=1
	v_dot4_i32_iu8 v2, v3, v2, v28 /*v284*/ neg_lo:[1,1,0]
	s_set_vgpr_msb 4                        ;  msbs: dst=0 src0=0 src1=1 src2=0
	v_perm_b32 v3, v137, v18 /*v274*/, 0x4030201
	s_set_vgpr_msb 0                        ;  msbs: dst=0 src0=0 src1=0 src2=0
	v_mul_lo_u32 v10, v9, v203
	s_set_vgpr_msb 4                        ;  msbs: dst=0 src0=0 src1=1 src2=0
	v_dot4_i32_iu8 v15, v242, v44 /*v300*/, v15 neg_lo:[1,1,0]
	s_set_vgpr_msb 1                        ;  msbs: dst=0 src0=1 src1=0 src2=0
	v_dot4_i32_iu8 v14, v26 /*v282*/, v241, v14 neg_lo:[1,1,0]
	s_set_vgpr_msb 4                        ;  msbs: dst=0 src0=0 src1=1 src2=0
	v_cvt_f32_i32_e32 v9, v8
	v_dot4_i32_iu8 v2, v147, v44 /*v300*/, v2 neg_lo:[1,1,0]
	s_set_vgpr_msb 64                       ;  msbs: dst=1 src0=0 src1=0 src2=0
	v_mul_lo_u32 v47 /*v303*/, v15, v220
	s_set_vgpr_msb 4                        ;  msbs: dst=0 src0=0 src1=1 src2=0
	v_dot4_i32_iu8 v14, v242, v24 /*v280*/, v14 neg_lo:[1,1,0]
	s_set_vgpr_msb 0                        ;  msbs: dst=0 src0=0 src1=0 src2=0
	v_mul_lo_u32 v2, v2, v209
	v_cvt_f32_i32_e32 v8, v10
	s_delay_alu instid0(VALU_DEP_3) | instskip(SKIP_1) | instid1(VALU_DEP_3)
	v_mul_lo_u32 v14, v14, v220
	v_pk_fma_f32 v[10:11], v[128:129], v[20:21], 0 op_sel_hi:[0,1,0]
	v_pk_fma_f32 v[8:9], v[16:17], v[8:9], 0 op_sel_hi:[1,1,0]
	s_delay_alu instid0(VALU_DEP_2)
	v_pk_fma_f32 v[10:11], v[144:145], v[0:1], v[10:11] op_sel_hi:[0,1,1]
	v_cvt_f32_i32_e32 v2, v2
	v_cvt_f32_i32_e32 v15, v14
	s_set_vgpr_msb 1                        ;  msbs: dst=0 src0=1 src1=0 src2=0
	v_cvt_f32_i32_e32 v14, v47 /*v303*/
	s_set_vgpr_msb 0                        ;  msbs: dst=0 src0=0 src1=0 src2=0
	v_pk_mul_f32 v[10:11], v[10:11], v[114:115]
	s_set_vgpr_msb 1                        ;  msbs: dst=0 src0=1 src1=0 src2=0
	s_delay_alu instid0(VALU_DEP_2) | instskip(SKIP_1) | instid1(VALU_DEP_1)
	v_pk_fma_f32 v[8:9], v[20:21] /*v[276:277]*/, v[14:15], v[8:9]
	s_set_vgpr_msb 0                        ;  msbs: dst=0 src0=0 src1=0 src2=0
	v_pk_fma_f32 v[8:9], v[8:9], v[24:25], v[10:11] neg_lo:[0,0,1] neg_hi:[0,0,1]
	s_set_vgpr_msb 1                        ;  msbs: dst=0 src0=1 src1=0 src2=0
	v_perm_b32 v10, v19 /*v275*/, v136, 0x4030201
	s_set_vgpr_msb 0                        ;  msbs: dst=0 src0=0 src1=0 src2=0
	s_delay_alu instid0(VALU_DEP_2) | instskip(SKIP_2) | instid1(VALU_DEP_1)
	v_pk_add_f32 v[48:49], v[48:49], v[8:9]
	s_set_vgpr_msb 1                        ;  msbs: dst=0 src0=1 src1=0 src2=0
	v_mul_i32_i24_e32 v8, v29 /*v285*/, v213
	v_mad_i32_i24 v8, v30 /*v286*/, v214, v8
	s_set_vgpr_msb 0                        ;  msbs: dst=0 src0=0 src1=0 src2=0
	s_delay_alu instid0(VALU_DEP_1) | instskip(SKIP_1) | instid1(VALU_DEP_2)
	v_dot4_i32_iu8 v4, v4, v215, v8 neg_lo:[1,1,0]
	v_perm_b32 v8, v146, v19, 0x4030201
	v_dot4_i32_iu8 v4, v5, v216, v4 neg_lo:[1,1,0]
	v_perm_b32 v5, v7, v6, 0x5040302
	s_set_vgpr_msb 1                        ;  msbs: dst=0 src0=1 src1=0 src2=0
	v_perm_b32 v6, v16 /*v272*/, v133, 0x4030201
	s_set_vgpr_msb 0                        ;  msbs: dst=0 src0=0 src1=0 src2=0
	s_delay_alu instid0(VALU_DEP_2) | instskip(SKIP_1) | instid1(VALU_DEP_1)
	v_dot4_i32_iu8 v4, v5, v217, v4 neg_lo:[1,1,0]
	v_perm_b32 v5, v12, v7, 0x5040302
	v_dot4_i32_iu8 v4, v5, v218, v4 neg_lo:[1,1,0]
	v_perm_b32 v5, v13, v12, 0x5040302
	s_delay_alu instid0(VALU_DEP_1) | instskip(SKIP_2) | instid1(VALU_DEP_2)
	v_dot4_i32_iu8 v4, v5, v219, v4 neg_lo:[1,1,0]
	s_set_vgpr_msb 1                        ;  msbs: dst=0 src0=1 src1=0 src2=0
	v_mul_i32_i24_e32 v5, v32 /*v288*/, v222
	v_dot4_i32_iu8 v4, v38 /*v294*/, v221, v4 neg_lo:[1,1,0]
	s_delay_alu instid0(VALU_DEP_2) | instskip(NEXT) | instid1(VALU_DEP_2)
	v_dot4_i32_iu8 v5, v40 /*v296*/, v244, v5 neg_lo:[1,1,0]
	v_dot4_i32_iu8 v4, v22 /*v278*/, v249, v4 neg_lo:[1,1,0]
	s_delay_alu instid0(VALU_DEP_2) | instskip(SKIP_1) | instid1(VALU_DEP_2)
	v_dot4_i32_iu8 v5, v41 /*v297*/, v245, v5 neg_lo:[1,1,0]
	s_set_vgpr_msb 4                        ;  msbs: dst=0 src0=0 src1=1 src2=0
	v_dot4_i32_iu8 v4, v250, v39 /*v295*/, v4 neg_lo:[1,1,0]
	s_set_vgpr_msb 0                        ;  msbs: dst=0 src0=0 src1=0 src2=0
	s_delay_alu instid0(VALU_DEP_2) | instskip(NEXT) | instid1(VALU_DEP_2)
	v_dot4_i32_iu8 v5, v18, v246, v5 neg_lo:[1,1,0]
	v_mul_lo_u32 v4, v4, v212
	s_delay_alu instid0(VALU_DEP_2) | instskip(SKIP_1) | instid1(VALU_DEP_1)
	v_dot4_i32_iu8 v5, v8, v6, v5 neg_lo:[1,1,0]
	s_set_vgpr_msb 4                        ;  msbs: dst=0 src0=0 src1=1 src2=0
	v_dot4_i32_iu8 v5, v247, v43 /*v299*/, v5 neg_lo:[1,1,0]
	s_delay_alu instid0(VALU_DEP_1) | instskip(SKIP_3) | instid1(VALU_DEP_2)
	v_dot4_i32_iu8 v6, v248, v17 /*v273*/, v5 neg_lo:[1,1,0]
	s_set_vgpr_msb 17                       ;  msbs: dst=0 src0=1 src1=0 src2=1
	v_dot4_i32_iu8 v5, v45 /*v301*/, v249, v27 /*v283*/ neg_lo:[1,1,0]
	s_set_vgpr_msb 0                        ;  msbs: dst=0 src0=0 src1=0 src2=0
	v_dot4_i32_iu8 v3, v10, v3, v6 neg_lo:[1,1,0]
	s_set_vgpr_msb 4                        ;  msbs: dst=0 src0=0 src1=1 src2=0
	s_delay_alu instid0(VALU_DEP_2) | instskip(NEXT) | instid1(VALU_DEP_2)
	v_dot4_i32_iu8 v5, v250, v46 /*v302*/, v5 neg_lo:[1,1,0]
	v_dot4_i32_iu8 v3, v147, v24 /*v280*/, v3 neg_lo:[1,1,0]
	s_set_vgpr_msb 0                        ;  msbs: dst=0 src0=0 src1=0 src2=0
	s_delay_alu instid0(VALU_DEP_2) | instskip(SKIP_1) | instid1(VALU_DEP_3)
	v_mul_lo_u32 v8, v5, v212
	v_cvt_f32_i32_e32 v5, v4
	v_mul_lo_u32 v3, v3, v209
	s_delay_alu instid0(VALU_DEP_3) | instskip(SKIP_1) | instid1(VALU_DEP_3)
	v_cvt_f32_i32_e32 v4, v8
	v_pk_fma_f32 v[8:9], v[138:139], v[20:21], 0 op_sel_hi:[0,1,0]
	v_cvt_f32_i32_e32 v3, v3
	s_delay_alu instid0(VALU_DEP_3) | instskip(SKIP_1) | instid1(VALU_DEP_1)
	v_pk_fma_f32 v[4:5], v[16:17], v[4:5], 0 op_sel_hi:[1,1,0]
	s_set_vgpr_msb 1                        ;  msbs: dst=0 src0=1 src1=0 src2=0
	v_pk_fma_f32 v[2:3], v[20:21] /*v[276:277]*/, v[2:3], v[4:5]
	s_set_vgpr_msb 0                        ;  msbs: dst=0 src0=0 src1=0 src2=0
	v_pk_fma_f32 v[4:5], v[142:143], v[0:1], v[8:9] op_sel_hi:[0,1,1]
	s_delay_alu instid0(VALU_DEP_1) | instskip(NEXT) | instid1(VALU_DEP_1)
	v_pk_mul_f32 v[4:5], v[4:5], v[116:117]
	v_pk_fma_f32 v[2:3], v[2:3], v[26:27], v[4:5] neg_lo:[0,0,1] neg_hi:[0,0,1]
	v_perm_b32 v4, v206, v7, 0x6050403
	s_set_vgpr_msb 17                       ;  msbs: dst=0 src0=1 src1=0 src2=1
	v_dot4_i32_iu8 v7, v25 /*v281*/, v132, v23 /*v279*/ neg_lo:[1,1,0]
	s_set_vgpr_msb 0                        ;  msbs: dst=0 src0=0 src1=0 src2=0
	v_pk_add_f32 v[46:47], v[46:47], v[2:3]
	s_set_vgpr_msb 1                        ;  msbs: dst=0 src0=1 src1=0 src2=0
	v_mul_i32_i24_e32 v2, v29 /*v285*/, v207
	s_set_vgpr_msb 0                        ;  msbs: dst=0 src0=0 src1=0 src2=0
	v_perm_b32 v3, v12, v141, 0x6050403
	s_set_vgpr_msb 4                        ;  msbs: dst=0 src0=0 src1=1 src2=0
	v_dot4_i32_iu8 v7, v134, v44 /*v300*/, v7 neg_lo:[1,1,0]
	s_set_vgpr_msb 1                        ;  msbs: dst=0 src0=1 src1=0 src2=0
	v_dot4_i32_iu8 v2, v33 /*v289*/, v223, v2 neg_lo:[1,1,0]
	s_set_vgpr_msb 0                        ;  msbs: dst=0 src0=0 src1=0 src2=0
	s_delay_alu instid0(VALU_DEP_2) | instskip(SKIP_1) | instid1(VALU_DEP_2)
	v_mul_lo_u32 v8, v7, v145
	s_set_vgpr_msb 1                        ;  msbs: dst=0 src0=1 src1=0 src2=0
	v_dot4_i32_iu8 v2, v34 /*v290*/, v224, v2 neg_lo:[1,1,0]
	s_delay_alu instid0(VALU_DEP_1) | instskip(NEXT) | instid1(VALU_DEP_1)
	v_dot4_i32_iu8 v2, v35 /*v291*/, v225, v2 neg_lo:[1,1,0]
	v_dot4_i32_iu8 v2, v36 /*v292*/, v140, v2 neg_lo:[1,1,0]
	s_set_vgpr_msb 0                        ;  msbs: dst=0 src0=0 src1=0 src2=0
	s_delay_alu instid0(VALU_DEP_1) | instskip(SKIP_3) | instid1(VALU_DEP_2)
	v_dot4_i32_iu8 v2, v4, v3, v2 neg_lo:[1,1,0]
	s_set_vgpr_msb 1                        ;  msbs: dst=0 src0=1 src1=0 src2=0
	v_mul_i32_i24_e32 v3, v32 /*v288*/, v211
	s_set_vgpr_msb 4                        ;  msbs: dst=0 src0=0 src1=1 src2=0
	v_mad_i32_i24 v2, v208, v31 /*v287*/, v2
	s_set_vgpr_msb 1                        ;  msbs: dst=0 src0=1 src1=0 src2=0
	s_delay_alu instid0(VALU_DEP_2) | instskip(SKIP_1) | instid1(VALU_DEP_2)
	v_dot4_i32_iu8 v3, v40 /*v296*/, v228, v3 neg_lo:[1,1,0]
	s_set_vgpr_msb 4                        ;  msbs: dst=0 src0=0 src1=1 src2=0
	v_dot4_i32_iu8 v2, v226, v37 /*v293*/, v2 neg_lo:[1,1,0]
	s_set_vgpr_msb 1                        ;  msbs: dst=0 src0=1 src1=0 src2=0
	s_delay_alu instid0(VALU_DEP_2) | instskip(SKIP_1) | instid1(VALU_DEP_2)
	v_dot4_i32_iu8 v3, v41 /*v297*/, v229, v3 neg_lo:[1,1,0]
	s_set_vgpr_msb 4                        ;  msbs: dst=0 src0=0 src1=1 src2=0
	v_dot4_i32_iu8 v2, v227, v38 /*v294*/, v2 neg_lo:[1,1,0]
	s_set_vgpr_msb 0                        ;  msbs: dst=0 src0=0 src1=0 src2=0
	s_delay_alu instid0(VALU_DEP_2) | instskip(SKIP_1) | instid1(VALU_DEP_2)
	v_dot4_i32_iu8 v3, v18, v230, v3 neg_lo:[1,1,0]
	s_set_vgpr_msb 1                        ;  msbs: dst=0 src0=1 src1=0 src2=0
	v_dot4_i32_iu8 v2, v22 /*v278*/, v234, v2 neg_lo:[1,1,0]
	s_set_vgpr_msb 4                        ;  msbs: dst=0 src0=0 src1=1 src2=0
	s_delay_alu instid0(VALU_DEP_2) | instskip(NEXT) | instid1(VALU_DEP_2)
	v_dot4_i32_iu8 v3, v231, v42 /*v298*/, v3 neg_lo:[1,1,0]
	v_dot4_i32_iu8 v2, v235, v39 /*v295*/, v2 neg_lo:[1,1,0]
	s_delay_alu instid0(VALU_DEP_2) | instskip(SKIP_1) | instid1(VALU_DEP_2)
	v_dot4_i32_iu8 v3, v232, v43 /*v299*/, v3 neg_lo:[1,1,0]
	s_set_vgpr_msb 0                        ;  msbs: dst=0 src0=0 src1=0 src2=0
	v_mul_lo_u32 v2, v2, v210
	s_set_vgpr_msb 4                        ;  msbs: dst=0 src0=0 src1=1 src2=0
	s_delay_alu instid0(VALU_DEP_2) | instskip(SKIP_3) | instid1(VALU_DEP_2)
	v_dot4_i32_iu8 v6, v233, v17 /*v273*/, v3 neg_lo:[1,1,0]
	s_set_vgpr_msb 17                       ;  msbs: dst=0 src0=1 src1=0 src2=1
	v_dot4_i32_iu8 v3, v45 /*v301*/, v234, v15 /*v271*/ neg_lo:[1,1,0]
	s_set_vgpr_msb 1                        ;  msbs: dst=0 src0=1 src1=0 src2=0
	v_dot4_i32_iu8 v6, v26 /*v282*/, v132, v6 neg_lo:[1,1,0]
	s_set_vgpr_msb 4                        ;  msbs: dst=0 src0=0 src1=1 src2=0
	s_delay_alu instid0(VALU_DEP_2) | instskip(NEXT) | instid1(VALU_DEP_2)
	v_dot4_i32_iu8 v3, v235, v46 /*v302*/, v3 neg_lo:[1,1,0]
	v_dot4_i32_iu8 v6, v134, v24 /*v280*/, v6 neg_lo:[1,1,0]
	s_set_vgpr_msb 0                        ;  msbs: dst=0 src0=0 src1=0 src2=0
	s_delay_alu instid0(VALU_DEP_2) | instskip(SKIP_1) | instid1(VALU_DEP_3)
	v_mul_lo_u32 v4, v3, v210
	v_cvt_f32_i32_e32 v3, v2
	v_mul_lo_u32 v6, v6, v145
	s_delay_alu instid0(VALU_DEP_3) | instskip(SKIP_1) | instid1(VALU_DEP_3)
	v_cvt_f32_i32_e32 v2, v4
	v_pk_fma_f32 v[4:5], v[130:131], v[20:21], 0 op_sel_hi:[0,1,0]
	v_cvt_f32_i32_e32 v7, v6
	s_delay_alu instid0(VALU_DEP_3) | instskip(SKIP_1) | instid1(VALU_DEP_4)
	v_pk_fma_f32 v[2:3], v[16:17], v[2:3], 0 op_sel_hi:[1,1,0]
	v_cvt_f32_i32_e32 v6, v8
	v_pk_fma_f32 v[0:1], v[120:121], v[0:1], v[4:5] op_sel_hi:[0,1,1]
	s_set_vgpr_msb 1                        ;  msbs: dst=0 src0=1 src1=0 src2=0
	s_delay_alu instid0(VALU_DEP_2) | instskip(SKIP_1) | instid1(VALU_DEP_2)
	v_pk_fma_f32 v[2:3], v[20:21] /*v[276:277]*/, v[6:7], v[2:3]
	s_set_vgpr_msb 0                        ;  msbs: dst=0 src0=0 src1=0 src2=0
	v_pk_mul_f32 v[0:1], v[0:1], v[118:119]
	s_delay_alu instid0(VALU_DEP_1) | instskip(NEXT) | instid1(VALU_DEP_1)
	v_pk_fma_f32 v[0:1], v[2:3], v[110:111], v[0:1] neg_lo:[0,0,1] neg_hi:[0,0,1]
	v_pk_add_f32 v[44:45], v[44:45], v[0:1]
	v_or_b32_e32 v0, s12, v163
	s_delay_alu instid0(VALU_DEP_1)
	v_dual_lshlrev_b32 v1, 2, v0 :: v_dual_lshrrev_b32 v20, 1, v0
	ds_load_b128 v[4:7], v1 offset:33280
	ds_load_b128 v[8:11], v1 offset:33296
	ds_load_b128 v[12:15], v1 offset:33312
	ds_load_b128 v[0:3], v1 offset:33328
	s_wait_dscnt 0x3
	v_bfe_i32 v16, v4, 0, 8
	s_set_vgpr_msb 64                       ;  msbs: dst=1 src0=0 src1=0 src2=0
	v_perm_b32 v15 /*v271*/, v4, v4, 0xc0c0201
	v_perm_b32 v16 /*v272*/, v5, v4, 0x6050403
	;; [unrolled: 1-line block ×4, first 2 shown]
	s_set_vgpr_msb 0                        ;  msbs: dst=0 src0=0 src1=0 src2=0
	v_mul_i32_i24_e32 v21, v16, v150
	s_wait_dscnt 0x2
	s_set_vgpr_msb 64                       ;  msbs: dst=1 src0=0 src1=0 src2=0
	v_perm_b32 v19 /*v275*/, v8, v121, 0x6050403
	v_perm_b32 v20 /*v276*/, v148, v7, 0x6050403
	s_set_vgpr_msb 0                        ;  msbs: dst=0 src0=0 src1=0 src2=0
	v_ashrrev_i32_e32 v18, 24, v8
	s_wait_dscnt 0x1
	v_bfe_i32 v19, v12, 0, 8
	s_set_vgpr_msb 5                        ;  msbs: dst=0 src0=1 src1=1 src2=0
	v_dot4_i32_iu8 v21, v15 /*v271*/, v9 /*v265*/, v21 neg_lo:[1,1,0]
	s_set_vgpr_msb 0                        ;  msbs: dst=0 src0=0 src1=0 src2=0
	v_perm_b32 v12, v13, v12, 0x4030201
	v_perm_b32 v13, v14, v13, 0x4030201
	;; [unrolled: 1-line block ×3, first 2 shown]
	s_wait_dscnt 0x0
	s_set_vgpr_msb 64                       ;  msbs: dst=1 src0=0 src1=0 src2=0
	v_perm_b32 v21 /*v277*/, v0, v15, 0x4030201
	s_set_vgpr_msb 5                        ;  msbs: dst=0 src0=1 src1=1 src2=0
	v_dot4_i32_iu8 v21, v16 /*v272*/, v10 /*v266*/, v21 neg_lo:[1,1,0]
	s_set_vgpr_msb 64                       ;  msbs: dst=1 src0=0 src1=0 src2=0
	v_perm_b32 v23 /*v279*/, v1, v0, 0x4030201
	s_set_vgpr_msb 0                        ;  msbs: dst=0 src0=0 src1=0 src2=0
	v_perm_b32 v1, v2, v1, 0x4030201
	s_set_vgpr_msb 64                       ;  msbs: dst=1 src0=0 src1=0 src2=0
	v_perm_b32 v25 /*v281*/, v8, v135, 0x6050403
	v_perm_b32 v26 /*v282*/, v155, v7, 0x6050403
	s_set_vgpr_msb 5                        ;  msbs: dst=0 src0=1 src1=1 src2=0
	v_dot4_i32_iu8 v21, v17 /*v273*/, v11 /*v267*/, v21 neg_lo:[1,1,0]
	s_set_vgpr_msb 0                        ;  msbs: dst=0 src0=0 src1=0 src2=0
	v_bfe_i32 v17, v4, 8, 8
	v_perm_b32 v4, v5, v4, 0x5040302
	v_perm_b32 v5, v6, v5, 0x5040302
	;; [unrolled: 1-line block ×3, first 2 shown]
	s_set_vgpr_msb 5                        ;  msbs: dst=0 src0=1 src1=1 src2=0
	v_dot4_i32_iu8 v21, v18 /*v274*/, v12 /*v268*/, v21 neg_lo:[1,1,0]
	s_set_vgpr_msb 64                       ;  msbs: dst=1 src0=0 src1=0 src2=0
	v_perm_b32 v45 /*v301*/, v11, v10, 0x5040302
	v_perm_b32 v46 /*v302*/, v11, v11, 0xc0c0302
	s_set_vgpr_msb 5                        ;  msbs: dst=0 src0=1 src1=1 src2=0
	v_dot4_i32_iu8 v21, v20 /*v276*/, v19 /*v275*/, v21 neg_lo:[1,1,0]
	s_set_vgpr_msb 64                       ;  msbs: dst=1 src0=0 src1=0 src2=0
	v_perm_b32 v19 /*v275*/, v9, v9, 0xc0c0100
	v_perm_b32 v20 /*v276*/, v10, v9, 0x5040302
	s_set_vgpr_msb 0                        ;  msbs: dst=0 src0=0 src1=0 src2=0
	v_mad_i32_i24 v21, v149, v18, v21
	s_set_vgpr_msb 5                        ;  msbs: dst=0 src0=1 src1=1 src2=0
	s_delay_alu instid0(VALU_DEP_1) | instskip(SKIP_1) | instid1(VALU_DEP_1)
	v_dot4_i32_iu8 v21, v13 /*v269*/, v19 /*v275*/, v21 neg_lo:[1,1,0]
	s_set_vgpr_msb 0x45                     ;  msbs: dst=1 src0=1 src1=1 src2=0
	v_dot4_i32_iu8 v22 /*v278*/, v14 /*v270*/, v20 /*v276*/, v21 neg_lo:[1,1,0]
	s_set_vgpr_msb 0                        ;  msbs: dst=0 src0=0 src1=0 src2=0
	v_mul_i32_i24_e32 v21, v151, v19
	s_delay_alu instid0(VALU_DEP_1) | instskip(NEXT) | instid1(VALU_DEP_1)
	v_dot4_i32_iu8 v21, v152, v12, v21 neg_lo:[1,1,0]
	v_dot4_i32_iu8 v21, v153, v13, v21 neg_lo:[1,1,0]
	s_set_vgpr_msb 1                        ;  msbs: dst=0 src0=1 src1=0 src2=0
	s_delay_alu instid0(VALU_DEP_1) | instskip(SKIP_1) | instid1(VALU_DEP_1)
	v_dot4_i32_iu8 v21, v5 /*v261*/, v14, v21 neg_lo:[1,1,0]
	s_set_vgpr_msb 5                        ;  msbs: dst=0 src0=1 src1=1 src2=0
	v_dot4_i32_iu8 v21, v6 /*v262*/, v21 /*v277*/, v21 neg_lo:[1,1,0]
	s_delay_alu instid0(VALU_DEP_1) | instskip(SKIP_1) | instid1(VALU_DEP_1)
	v_dot4_i32_iu8 v21, v7 /*v263*/, v23 /*v279*/, v21 neg_lo:[1,1,0]
	s_set_vgpr_msb 0x41                     ;  msbs: dst=1 src0=1 src1=0 src2=0
	v_dot4_i32_iu8 v24 /*v280*/, v8 /*v264*/, v1, v21 neg_lo:[1,1,0]
	s_set_vgpr_msb 0                        ;  msbs: dst=0 src0=0 src1=0 src2=0
	v_mul_i32_i24_e32 v21, v16, v156
	s_set_vgpr_msb 1                        ;  msbs: dst=0 src0=1 src1=0 src2=0
	s_delay_alu instid0(VALU_DEP_1) | instskip(NEXT) | instid1(VALU_DEP_1)
	v_dot4_i32_iu8 v21, v15 /*v271*/, v253, v21 neg_lo:[1,1,0]
	v_dot4_i32_iu8 v21, v16 /*v272*/, v254, v21 neg_lo:[1,1,0]
	s_delay_alu instid0(VALU_DEP_1) | instskip(SKIP_1) | instid1(VALU_DEP_1)
	v_dot4_i32_iu8 v21, v17 /*v273*/, v255, v21 neg_lo:[1,1,0]
	s_set_vgpr_msb 5                        ;  msbs: dst=0 src0=1 src1=1 src2=0
	v_dot4_i32_iu8 v21, v18 /*v274*/, v0 /*v256*/, v21 neg_lo:[1,1,0]
	s_delay_alu instid0(VALU_DEP_1) | instskip(SKIP_1) | instid1(VALU_DEP_1)
	v_dot4_i32_iu8 v21, v26 /*v282*/, v25 /*v281*/, v21 neg_lo:[1,1,0]
	s_set_vgpr_msb 0                        ;  msbs: dst=0 src0=0 src1=0 src2=0
	v_mad_i32_i24 v21, v157, v18, v21
	s_set_vgpr_msb 5                        ;  msbs: dst=0 src0=1 src1=1 src2=0
	s_delay_alu instid0(VALU_DEP_1) | instskip(SKIP_1) | instid1(VALU_DEP_1)
	v_dot4_i32_iu8 v21, v1 /*v257*/, v19 /*v275*/, v21 neg_lo:[1,1,0]
	s_set_vgpr_msb 0x45                     ;  msbs: dst=1 src0=1 src1=1 src2=0
	v_dot4_i32_iu8 v25 /*v281*/, v2 /*v258*/, v20 /*v276*/, v21 neg_lo:[1,1,0]
	s_set_vgpr_msb 0                        ;  msbs: dst=0 src0=0 src1=0 src2=0
	v_mul_i32_i24_e32 v21, v19, v204
	s_delay_alu instid0(VALU_DEP_1) | instskip(NEXT) | instid1(VALU_DEP_1)
	v_dot4_i32_iu8 v21, v12, v205, v21 neg_lo:[1,1,0]
	v_dot4_i32_iu8 v21, v13, v236, v21 neg_lo:[1,1,0]
	s_delay_alu instid0(VALU_DEP_1) | instskip(SKIP_1) | instid1(VALU_DEP_1)
	v_dot4_i32_iu8 v21, v14, v237, v21 neg_lo:[1,1,0]
	s_set_vgpr_msb 1                        ;  msbs: dst=0 src0=1 src1=0 src2=0
	v_dot4_i32_iu8 v21, v21 /*v277*/, v238, v21 neg_lo:[1,1,0]
	s_delay_alu instid0(VALU_DEP_1) | instskip(SKIP_1) | instid1(VALU_DEP_1)
	v_dot4_i32_iu8 v21, v23 /*v279*/, v239, v21 neg_lo:[1,1,0]
	s_set_vgpr_msb 64                       ;  msbs: dst=1 src0=0 src1=0 src2=0
	v_dot4_i32_iu8 v26 /*v282*/, v1, v240, v21 neg_lo:[1,1,0]
	s_set_vgpr_msb 0                        ;  msbs: dst=0 src0=0 src1=0 src2=0
	v_mul_i32_i24_e32 v21, v16, v213
	s_delay_alu instid0(VALU_DEP_1) | instskip(NEXT) | instid1(VALU_DEP_1)
	v_mad_i32_i24 v17, v17, v214, v21
	v_dot4_i32_iu8 v4, v4, v215, v17 neg_lo:[1,1,0]
	s_delay_alu instid0(VALU_DEP_1) | instskip(SKIP_1) | instid1(VALU_DEP_1)
	v_dot4_i32_iu8 v4, v5, v216, v4 neg_lo:[1,1,0]
	v_perm_b32 v5, v7, v6, 0x5040302
	v_dot4_i32_iu8 v4, v5, v217, v4 neg_lo:[1,1,0]
	v_perm_b32 v5, v8, v7, 0x5040302
	s_delay_alu instid0(VALU_DEP_1) | instskip(SKIP_1) | instid1(VALU_DEP_1)
	v_dot4_i32_iu8 v4, v5, v218, v4 neg_lo:[1,1,0]
	v_perm_b32 v5, v9, v8, 0x5040302
	v_dot4_i32_iu8 v4, v5, v219, v4 neg_lo:[1,1,0]
	v_perm_b32 v5, v146, v15, 0x4030201
	s_set_vgpr_msb 0x41                     ;  msbs: dst=1 src0=1 src1=0 src2=0
	s_delay_alu instid0(VALU_DEP_2) | instskip(SKIP_2) | instid1(VALU_DEP_1)
	v_dot4_i32_iu8 v27 /*v283*/, v20 /*v276*/, v221, v4 neg_lo:[1,1,0]
	s_set_vgpr_msb 0                        ;  msbs: dst=0 src0=0 src1=0 src2=0
	v_mul_i32_i24_e32 v4, v19, v222
	v_dot4_i32_iu8 v4, v12, v244, v4 neg_lo:[1,1,0]
	s_delay_alu instid0(VALU_DEP_1) | instskip(NEXT) | instid1(VALU_DEP_1)
	v_dot4_i32_iu8 v4, v13, v245, v4 neg_lo:[1,1,0]
	v_dot4_i32_iu8 v4, v14, v246, v4 neg_lo:[1,1,0]
	s_delay_alu instid0(VALU_DEP_1) | instskip(SKIP_3) | instid1(VALU_DEP_3)
	v_dot4_i32_iu8 v0, v5, v0, v4 neg_lo:[1,1,0]
	v_perm_b32 v4, v8, v141, 0x6050403
	v_perm_b32 v5, v206, v7, 0x6050403
	s_set_vgpr_msb 4                        ;  msbs: dst=0 src0=0 src1=1 src2=0
	v_dot4_i32_iu8 v0, v247, v23 /*v279*/, v0 neg_lo:[1,1,0]
	s_set_vgpr_msb 64                       ;  msbs: dst=1 src0=0 src1=0 src2=0
	s_delay_alu instid0(VALU_DEP_1) | instskip(SKIP_3) | instid1(VALU_DEP_1)
	v_dot4_i32_iu8 v28 /*v284*/, v248, v1, v0 neg_lo:[1,1,0]
	s_set_vgpr_msb 0                        ;  msbs: dst=0 src0=0 src1=0 src2=0
	v_mul_i32_i24_e32 v0, v16, v207
	s_set_vgpr_msb 1                        ;  msbs: dst=0 src0=1 src1=0 src2=0
	v_dot4_i32_iu8 v0, v15 /*v271*/, v223, v0 neg_lo:[1,1,0]
	s_delay_alu instid0(VALU_DEP_1) | instskip(NEXT) | instid1(VALU_DEP_1)
	v_dot4_i32_iu8 v0, v16 /*v272*/, v224, v0 neg_lo:[1,1,0]
	v_dot4_i32_iu8 v0, v17 /*v273*/, v225, v0 neg_lo:[1,1,0]
	s_delay_alu instid0(VALU_DEP_1) | instskip(SKIP_1) | instid1(VALU_DEP_1)
	v_dot4_i32_iu8 v0, v18 /*v274*/, v140, v0 neg_lo:[1,1,0]
	s_set_vgpr_msb 0                        ;  msbs: dst=0 src0=0 src1=0 src2=0
	v_dot4_i32_iu8 v0, v5, v4, v0 neg_lo:[1,1,0]
	s_delay_alu instid0(VALU_DEP_1) | instskip(SKIP_1) | instid1(VALU_DEP_1)
	v_mad_i32_i24 v0, v208, v18, v0
	s_set_vgpr_msb 4                        ;  msbs: dst=0 src0=0 src1=1 src2=0
	v_dot4_i32_iu8 v0, v226, v19 /*v275*/, v0 neg_lo:[1,1,0]
	s_set_vgpr_msb 0x44                     ;  msbs: dst=1 src0=0 src1=1 src2=0
	s_delay_alu instid0(VALU_DEP_1) | instskip(SKIP_2) | instid1(VALU_DEP_1)
	v_dot4_i32_iu8 v15 /*v271*/, v227, v20 /*v276*/, v0 neg_lo:[1,1,0]
	s_set_vgpr_msb 0                        ;  msbs: dst=0 src0=0 src1=0 src2=0
	v_mul_i32_i24_e32 v0, v19, v211
	v_dot4_i32_iu8 v0, v12, v228, v0 neg_lo:[1,1,0]
	s_delay_alu instid0(VALU_DEP_1) | instskip(NEXT) | instid1(VALU_DEP_1)
	v_dot4_i32_iu8 v0, v13, v229, v0 neg_lo:[1,1,0]
	v_dot4_i32_iu8 v0, v14, v230, v0 neg_lo:[1,1,0]
	s_set_vgpr_msb 4                        ;  msbs: dst=0 src0=0 src1=1 src2=0
	s_delay_alu instid0(VALU_DEP_1) | instskip(NEXT) | instid1(VALU_DEP_1)
	v_dot4_i32_iu8 v0, v231, v21 /*v277*/, v0 neg_lo:[1,1,0]
	v_dot4_i32_iu8 v0, v232, v23 /*v279*/, v0 neg_lo:[1,1,0]
	s_set_vgpr_msb 64                       ;  msbs: dst=1 src0=0 src1=0 src2=0
	s_delay_alu instid0(VALU_DEP_1) | instskip(SKIP_2) | instid1(VALU_DEP_1)
	v_dot4_i32_iu8 v23 /*v279*/, v233, v1, v0 neg_lo:[1,1,0]
	s_set_vgpr_msb 0                        ;  msbs: dst=0 src0=0 src1=0 src2=0
	v_or_b32_e32 v0, s12, v164
	v_dual_lshlrev_b32 v1, 2, v0 :: v_dual_lshrrev_b32 v8, 1, v0
	ds_load_b128 v[4:7], v1 offset:33280
	ds_load_b128 v[12:15], v1 offset:33296
	ds_load_b128 v[16:19], v1 offset:33312
	s_set_vgpr_msb 64                       ;  msbs: dst=1 src0=0 src1=0 src2=0
	ds_load_b128 v[16:19] /*v[272:275]*/, v1 offset:33328
	s_wait_dscnt 0x3
	v_bfe_i32 v29 /*v285*/, v4, 0, 8
	v_perm_b32 v33 /*v289*/, v4, v4, 0xc0c0201
	v_perm_b32 v34 /*v290*/, v5, v4, 0x6050403
	;; [unrolled: 1-line block ×4, first 2 shown]
	s_set_vgpr_msb 1                        ;  msbs: dst=0 src0=1 src1=0 src2=0
	v_mul_i32_i24_e32 v0, v29 /*v285*/, v150
	s_wait_dscnt 0x2
	s_set_vgpr_msb 0                        ;  msbs: dst=0 src0=0 src1=0 src2=0
	v_perm_b32 v1, v12, v121, 0x6050403
	v_perm_b32 v9, v148, v7, 0x6050403
	s_set_vgpr_msb 64                       ;  msbs: dst=1 src0=0 src1=0 src2=0
	v_ashrrev_i32_e32 v31 /*v287*/, 24, v12
	v_perm_b32 v37 /*v293*/, v13, v13, 0xc0c0100
	s_set_vgpr_msb 5                        ;  msbs: dst=0 src0=1 src1=1 src2=0
	v_dot4_i32_iu8 v0, v33 /*v289*/, v9 /*v265*/, v0 neg_lo:[1,1,0]
	s_wait_dscnt 0x1
	s_set_vgpr_msb 64                       ;  msbs: dst=1 src0=0 src1=0 src2=0
	v_bfe_i32 v32 /*v288*/, v16, 0, 8
	v_perm_b32 v38 /*v294*/, v14, v13, 0x5040302
	v_perm_b32 v40 /*v296*/, v17, v16, 0x4030201
	;; [unrolled: 1-line block ×3, first 2 shown]
	s_set_vgpr_msb 5                        ;  msbs: dst=0 src0=1 src1=1 src2=0
	v_dot4_i32_iu8 v0, v34 /*v290*/, v10 /*v266*/, v0 neg_lo:[1,1,0]
	s_set_vgpr_msb 0                        ;  msbs: dst=0 src0=0 src1=0 src2=0
	v_perm_b32 v18, v19, v18, 0x4030201
	s_wait_dscnt 0x0
	s_set_vgpr_msb 0x41                     ;  msbs: dst=1 src0=1 src1=0 src2=0
	v_perm_b32 v42 /*v298*/, v16 /*v272*/, v19, 0x4030201
	s_set_vgpr_msb 0x45                     ;  msbs: dst=1 src0=1 src1=1 src2=0
	v_perm_b32 v43 /*v299*/, v17 /*v273*/, v16 /*v272*/, 0x4030201
	v_perm_b32 v17 /*v273*/, v18 /*v274*/, v17 /*v273*/, 0x4030201
	s_set_vgpr_msb 5                        ;  msbs: dst=0 src0=1 src1=1 src2=0
	v_dot4_i32_iu8 v0, v35 /*v291*/, v11 /*v267*/, v0 neg_lo:[1,1,0]
	s_set_vgpr_msb 64                       ;  msbs: dst=1 src0=0 src1=0 src2=0
	v_bfe_i32 v30 /*v286*/, v4, 8, 8
	s_set_vgpr_msb 0                        ;  msbs: dst=0 src0=0 src1=0 src2=0
	v_perm_b32 v4, v5, v4, 0x5040302
	v_perm_b32 v5, v6, v5, 0x5040302
	s_set_vgpr_msb 5                        ;  msbs: dst=0 src0=1 src1=1 src2=0
	v_dot4_i32_iu8 v0, v36 /*v292*/, v12 /*v268*/, v0 neg_lo:[1,1,0]
	s_set_vgpr_msb 0                        ;  msbs: dst=0 src0=0 src1=0 src2=0
	s_delay_alu instid0(VALU_DEP_1) | instskip(SKIP_1) | instid1(VALU_DEP_1)
	v_dot4_i32_iu8 v0, v9, v1, v0 neg_lo:[1,1,0]
	s_set_vgpr_msb 4                        ;  msbs: dst=0 src0=0 src1=1 src2=0
	v_mad_i32_i24 v0, v149, v31 /*v287*/, v0
	s_set_vgpr_msb 5                        ;  msbs: dst=0 src0=1 src1=1 src2=0
	s_delay_alu instid0(VALU_DEP_1) | instskip(SKIP_1) | instid1(VALU_DEP_1)
	v_dot4_i32_iu8 v0, v13 /*v269*/, v37 /*v293*/, v0 neg_lo:[1,1,0]
	s_set_vgpr_msb 0x45                     ;  msbs: dst=1 src0=1 src1=1 src2=0
	v_dot4_i32_iu8 v39 /*v295*/, v14 /*v270*/, v38 /*v294*/, v0 neg_lo:[1,1,0]
	s_set_vgpr_msb 4                        ;  msbs: dst=0 src0=0 src1=1 src2=0
	v_mul_i32_i24_e32 v0, v151, v32 /*v288*/
	s_delay_alu instid0(VALU_DEP_1) | instskip(NEXT) | instid1(VALU_DEP_1)
	v_dot4_i32_iu8 v0, v152, v40 /*v296*/, v0 neg_lo:[1,1,0]
	v_dot4_i32_iu8 v0, v153, v41 /*v297*/, v0 neg_lo:[1,1,0]
	s_set_vgpr_msb 1                        ;  msbs: dst=0 src0=1 src1=0 src2=0
	s_delay_alu instid0(VALU_DEP_1) | instskip(SKIP_1) | instid1(VALU_DEP_1)
	v_dot4_i32_iu8 v0, v5 /*v261*/, v18, v0 neg_lo:[1,1,0]
	s_set_vgpr_msb 5                        ;  msbs: dst=0 src0=1 src1=1 src2=0
	v_dot4_i32_iu8 v0, v6 /*v262*/, v42 /*v298*/, v0 neg_lo:[1,1,0]
	s_delay_alu instid0(VALU_DEP_1) | instskip(SKIP_1) | instid1(VALU_DEP_1)
	v_dot4_i32_iu8 v0, v7 /*v263*/, v43 /*v299*/, v0 neg_lo:[1,1,0]
	s_set_vgpr_msb 0x45                     ;  msbs: dst=1 src0=1 src1=1 src2=0
	v_dot4_i32_iu8 v44 /*v300*/, v8 /*v264*/, v17 /*v273*/, v0 neg_lo:[1,1,0]
	s_set_vgpr_msb 0                        ;  msbs: dst=0 src0=0 src1=0 src2=0
	ds_load_b64 v[0:1], v20 offset:43584
	ds_load_b64 v[8:9], v8 offset:43584
	s_wait_dscnt 0x1
	v_cvt_f32_f16_e32 v16, v0
	s_wait_dscnt 0x0
	v_cvt_f32_f16_e32 v17, v8
	v_lshrrev_b32_e32 v8, 16, v8
	v_lshrrev_b32_e32 v0, 16, v0
	s_set_vgpr_msb 64                       ;  msbs: dst=1 src0=0 src1=0 src2=0
	v_cvt_f32_f16_e64 v21 /*v277*/, v9
	v_cvt_f32_f16_e64 v20 /*v276*/, v1
	s_set_vgpr_msb 0                        ;  msbs: dst=0 src0=0 src1=0 src2=0
	v_cvt_f32_f16_e32 v21, v8
	s_set_vgpr_msb 17                       ;  msbs: dst=0 src0=1 src1=0 src2=1
	v_dot4_i32_iu8 v8, v45 /*v301*/, v252, v22 /*v278*/ neg_lo:[1,1,0]
	s_set_vgpr_msb 64                       ;  msbs: dst=1 src0=0 src1=0 src2=0
	v_perm_b32 v22 /*v278*/, v15, v14, 0x5040302
	s_set_vgpr_msb 0                        ;  msbs: dst=0 src0=0 src1=0 src2=0
	v_cvt_f32_f16_e32 v20, v0
	v_lshrrev_b32_e32 v0, 16, v1
	v_lshrrev_b32_e32 v1, 16, v9
	v_perm_b32 v14, v125, v2, 0x4030201
	s_set_vgpr_msb 17                       ;  msbs: dst=0 src0=1 src1=0 src2=1
	v_dot4_i32_iu8 v9, v22 /*v278*/, v252, v39 /*v295*/ neg_lo:[1,1,0]
	s_set_vgpr_msb 64                       ;  msbs: dst=1 src0=0 src1=0 src2=0
	v_perm_b32 v39 /*v295*/, v15, v15, 0xc0c0302
	s_set_vgpr_msb 0                        ;  msbs: dst=0 src0=0 src1=0 src2=0
	v_perm_b32 v15, v3, v124, 0x4030201
	s_set_vgpr_msb 4                        ;  msbs: dst=0 src0=0 src1=1 src2=0
	v_dot4_i32_iu8 v8, v251, v46 /*v302*/, v8 neg_lo:[1,1,0]
	v_cvt_f32_f16_e32 v1, v1
	v_cvt_f32_f16_e32 v0, v0
	v_dot4_i32_iu8 v9, v251, v39 /*v295*/, v9 neg_lo:[1,1,0]
	s_set_vgpr_msb 16                       ;  msbs: dst=0 src0=0 src1=0 src2=1
	v_dot4_i32_iu8 v14, v15, v14, v24 /*v280*/ neg_lo:[1,1,0]
	s_set_vgpr_msb 4                        ;  msbs: dst=0 src0=0 src1=1 src2=0
	v_perm_b32 v15, v125, v18 /*v274*/, 0x4030201
	s_set_vgpr_msb 0x41                     ;  msbs: dst=1 src0=1 src1=0 src2=0
	v_perm_b32 v24 /*v280*/, v19 /*v275*/, v124, 0x4030201
	s_set_vgpr_msb 0                        ;  msbs: dst=0 src0=0 src1=0 src2=0
	v_mul_lo_u32 v8, v8, v154
	v_mul_lo_u32 v9, v9, v154
	v_pk_fma_f32 v[10:11], v[126:127], v[20:21], 0 op_sel_hi:[0,1,0]
	s_set_vgpr_msb 17                       ;  msbs: dst=0 src0=1 src1=0 src2=1
	v_dot4_i32_iu8 v15, v24 /*v280*/, v15, v44 /*v300*/ neg_lo:[1,1,0]
	s_set_vgpr_msb 0x45                     ;  msbs: dst=1 src0=1 src1=1 src2=0
	v_perm_b32 v24 /*v280*/, v19 /*v275*/, v19 /*v275*/, 0xc070601
	s_set_vgpr_msb 64                       ;  msbs: dst=1 src0=0 src1=0 src2=0
	v_perm_b32 v44 /*v300*/, v3, v3, 0xc070601
	s_set_vgpr_msb 0                        ;  msbs: dst=0 src0=0 src1=0 src2=0
	v_pk_fma_f32 v[10:11], v[122:123], v[0:1], v[10:11] op_sel_hi:[0,1,1]
	s_set_vgpr_msb 4                        ;  msbs: dst=0 src0=0 src1=1 src2=0
	v_dot4_i32_iu8 v15, v243, v24 /*v280*/, v15 neg_lo:[1,1,0]
	v_dot4_i32_iu8 v14, v243, v44 /*v300*/, v14 neg_lo:[1,1,0]
	v_cvt_f32_i32_e32 v9, v9
	v_cvt_f32_i32_e32 v8, v8
	s_set_vgpr_msb 0                        ;  msbs: dst=0 src0=0 src1=0 src2=0
	v_pk_mul_f32 v[10:11], v[10:11], v[112:113]
	v_mul_lo_u32 v15, v15, v123
	v_mul_lo_u32 v14, v14, v123
	v_pk_fma_f32 v[8:9], v[16:17], v[8:9], 0 op_sel_hi:[1,1,0]
	s_delay_alu instid0(VALU_DEP_3) | instskip(NEXT) | instid1(VALU_DEP_3)
	v_cvt_f32_i32_e32 v15, v15
	v_cvt_f32_i32_e32 v14, v14
	s_set_vgpr_msb 1                        ;  msbs: dst=0 src0=1 src1=0 src2=0
	s_delay_alu instid0(VALU_DEP_1) | instskip(SKIP_1) | instid1(VALU_DEP_1)
	v_pk_fma_f32 v[8:9], v[20:21] /*v[276:277]*/, v[14:15], v[8:9]
	s_set_vgpr_msb 0                        ;  msbs: dst=0 src0=0 src1=0 src2=0
	v_pk_fma_f32 v[8:9], v[8:9], v[22:23], v[10:11] neg_lo:[0,0,1] neg_hi:[0,0,1]
	v_perm_b32 v10, v155, v7, 0x6050403
	s_delay_alu instid0(VALU_DEP_2)
	v_pk_add_f32 v[42:43], v[42:43], v[8:9]
	s_set_vgpr_msb 1                        ;  msbs: dst=0 src0=1 src1=0 src2=0
	v_mul_i32_i24_e32 v8, v29 /*v285*/, v156
	s_set_vgpr_msb 0                        ;  msbs: dst=0 src0=0 src1=0 src2=0
	v_perm_b32 v9, v12, v135, 0x6050403
	s_set_vgpr_msb 1                        ;  msbs: dst=0 src0=1 src1=0 src2=0
	s_delay_alu instid0(VALU_DEP_2) | instskip(NEXT) | instid1(VALU_DEP_1)
	v_dot4_i32_iu8 v8, v33 /*v289*/, v253, v8 neg_lo:[1,1,0]
	v_dot4_i32_iu8 v8, v34 /*v290*/, v254, v8 neg_lo:[1,1,0]
	s_delay_alu instid0(VALU_DEP_1) | instskip(SKIP_1) | instid1(VALU_DEP_1)
	v_dot4_i32_iu8 v8, v35 /*v291*/, v255, v8 neg_lo:[1,1,0]
	s_set_vgpr_msb 5                        ;  msbs: dst=0 src0=1 src1=1 src2=0
	v_dot4_i32_iu8 v8, v36 /*v292*/, v0 /*v256*/, v8 neg_lo:[1,1,0]
	s_set_vgpr_msb 0                        ;  msbs: dst=0 src0=0 src1=0 src2=0
	s_delay_alu instid0(VALU_DEP_1) | instskip(SKIP_3) | instid1(VALU_DEP_2)
	v_dot4_i32_iu8 v8, v10, v9, v8 neg_lo:[1,1,0]
	s_set_vgpr_msb 1                        ;  msbs: dst=0 src0=1 src1=0 src2=0
	v_mul_i32_i24_e32 v9, v32 /*v288*/, v204
	s_set_vgpr_msb 4                        ;  msbs: dst=0 src0=0 src1=1 src2=0
	v_mad_i32_i24 v8, v157, v31 /*v287*/, v8
	s_set_vgpr_msb 1                        ;  msbs: dst=0 src0=1 src1=0 src2=0
	s_delay_alu instid0(VALU_DEP_2) | instskip(SKIP_1) | instid1(VALU_DEP_2)
	v_dot4_i32_iu8 v9, v40 /*v296*/, v205, v9 neg_lo:[1,1,0]
	s_set_vgpr_msb 5                        ;  msbs: dst=0 src0=1 src1=1 src2=0
	v_dot4_i32_iu8 v8, v1 /*v257*/, v37 /*v293*/, v8 neg_lo:[1,1,0]
	s_set_vgpr_msb 1                        ;  msbs: dst=0 src0=1 src1=0 src2=0
	s_delay_alu instid0(VALU_DEP_2) | instskip(SKIP_1) | instid1(VALU_DEP_2)
	v_dot4_i32_iu8 v9, v41 /*v297*/, v236, v9 neg_lo:[1,1,0]
	s_set_vgpr_msb 5                        ;  msbs: dst=0 src0=1 src1=1 src2=0
	v_dot4_i32_iu8 v8, v2 /*v258*/, v38 /*v294*/, v8 neg_lo:[1,1,0]
	s_set_vgpr_msb 0                        ;  msbs: dst=0 src0=0 src1=0 src2=0
	s_delay_alu instid0(VALU_DEP_2) | instskip(SKIP_1) | instid1(VALU_DEP_2)
	v_dot4_i32_iu8 v9, v18, v237, v9 neg_lo:[1,1,0]
	s_set_vgpr_msb 5                        ;  msbs: dst=0 src0=1 src1=1 src2=0
	v_dot4_i32_iu8 v8, v22 /*v278*/, v3 /*v259*/, v8 neg_lo:[1,1,0]
	s_set_vgpr_msb 1                        ;  msbs: dst=0 src0=1 src1=0 src2=0
	s_delay_alu instid0(VALU_DEP_2) | instskip(SKIP_1) | instid1(VALU_DEP_2)
	v_dot4_i32_iu8 v9, v42 /*v298*/, v238, v9 neg_lo:[1,1,0]
	s_set_vgpr_msb 5                        ;  msbs: dst=0 src0=1 src1=1 src2=0
	v_dot4_i32_iu8 v8, v4 /*v260*/, v39 /*v295*/, v8 neg_lo:[1,1,0]
	s_set_vgpr_msb 1                        ;  msbs: dst=0 src0=1 src1=0 src2=0
	s_delay_alu instid0(VALU_DEP_2) | instskip(SKIP_1) | instid1(VALU_DEP_2)
	v_dot4_i32_iu8 v9, v43 /*v299*/, v239, v9 neg_lo:[1,1,0]
	s_set_vgpr_msb 0                        ;  msbs: dst=0 src0=0 src1=0 src2=0
	v_mul_lo_u32 v8, v8, v203
	s_set_vgpr_msb 1                        ;  msbs: dst=0 src0=1 src1=0 src2=0
	s_delay_alu instid0(VALU_DEP_2)
	v_dot4_i32_iu8 v14, v17 /*v273*/, v240, v9 neg_lo:[1,1,0]
	s_set_vgpr_msb 21                       ;  msbs: dst=0 src0=1 src1=1 src2=1
	v_dot4_i32_iu8 v9, v45 /*v301*/, v3 /*v259*/, v25 /*v281*/ neg_lo:[1,1,0]
	s_set_vgpr_msb 64                       ;  msbs: dst=1 src0=0 src1=0 src2=0
	v_perm_b32 v25 /*v281*/, v3, v2, 0x4030201
	s_set_vgpr_msb 0                        ;  msbs: dst=0 src0=0 src1=0 src2=0
	v_perm_b32 v2, v137, v2, 0x4030201
	v_perm_b32 v3, v3, v136, 0x4030201
	s_set_vgpr_msb 5                        ;  msbs: dst=0 src0=1 src1=1 src2=0
	v_dot4_i32_iu8 v9, v4 /*v260*/, v46 /*v302*/, v9 neg_lo:[1,1,0]
	s_set_vgpr_msb 17                       ;  msbs: dst=0 src0=1 src1=0 src2=1
	v_dot4_i32_iu8 v15, v25 /*v281*/, v241, v26 /*v282*/ neg_lo:[1,1,0]
	s_set_vgpr_msb 0x45                     ;  msbs: dst=1 src0=1 src1=1 src2=0
	v_perm_b32 v26 /*v282*/, v19 /*v275*/, v18 /*v274*/, 0x4030201
	s_set_vgpr_msb 16                       ;  msbs: dst=0 src0=0 src1=0 src2=1
	v_dot4_i32_iu8 v2, v3, v2, v28 /*v284*/ neg_lo:[1,1,0]
	s_set_vgpr_msb 4                        ;  msbs: dst=0 src0=0 src1=1 src2=0
	v_perm_b32 v3, v137, v18 /*v274*/, 0x4030201
	s_set_vgpr_msb 0                        ;  msbs: dst=0 src0=0 src1=0 src2=0
	v_mul_lo_u32 v10, v9, v203
	s_set_vgpr_msb 4                        ;  msbs: dst=0 src0=0 src1=1 src2=0
	v_dot4_i32_iu8 v15, v242, v44 /*v300*/, v15 neg_lo:[1,1,0]
	s_set_vgpr_msb 1                        ;  msbs: dst=0 src0=1 src1=0 src2=0
	v_dot4_i32_iu8 v14, v26 /*v282*/, v241, v14 neg_lo:[1,1,0]
	s_set_vgpr_msb 4                        ;  msbs: dst=0 src0=0 src1=1 src2=0
	v_cvt_f32_i32_e32 v9, v8
	v_dot4_i32_iu8 v2, v147, v44 /*v300*/, v2 neg_lo:[1,1,0]
	s_set_vgpr_msb 64                       ;  msbs: dst=1 src0=0 src1=0 src2=0
	v_mul_lo_u32 v47 /*v303*/, v15, v220
	s_set_vgpr_msb 4                        ;  msbs: dst=0 src0=0 src1=1 src2=0
	v_dot4_i32_iu8 v14, v242, v24 /*v280*/, v14 neg_lo:[1,1,0]
	s_set_vgpr_msb 0                        ;  msbs: dst=0 src0=0 src1=0 src2=0
	v_mul_lo_u32 v2, v2, v209
	v_cvt_f32_i32_e32 v8, v10
	s_delay_alu instid0(VALU_DEP_3) | instskip(SKIP_1) | instid1(VALU_DEP_3)
	v_mul_lo_u32 v14, v14, v220
	v_pk_fma_f32 v[10:11], v[128:129], v[20:21], 0 op_sel_hi:[0,1,0]
	v_pk_fma_f32 v[8:9], v[16:17], v[8:9], 0 op_sel_hi:[1,1,0]
	s_delay_alu instid0(VALU_DEP_2)
	v_pk_fma_f32 v[10:11], v[144:145], v[0:1], v[10:11] op_sel_hi:[0,1,1]
	v_cvt_f32_i32_e32 v2, v2
	v_cvt_f32_i32_e32 v15, v14
	s_set_vgpr_msb 1                        ;  msbs: dst=0 src0=1 src1=0 src2=0
	v_cvt_f32_i32_e32 v14, v47 /*v303*/
	s_set_vgpr_msb 0                        ;  msbs: dst=0 src0=0 src1=0 src2=0
	v_pk_mul_f32 v[10:11], v[10:11], v[114:115]
	s_set_vgpr_msb 1                        ;  msbs: dst=0 src0=1 src1=0 src2=0
	s_delay_alu instid0(VALU_DEP_2) | instskip(SKIP_1) | instid1(VALU_DEP_1)
	v_pk_fma_f32 v[8:9], v[20:21] /*v[276:277]*/, v[14:15], v[8:9]
	s_set_vgpr_msb 0                        ;  msbs: dst=0 src0=0 src1=0 src2=0
	v_pk_fma_f32 v[8:9], v[8:9], v[24:25], v[10:11] neg_lo:[0,0,1] neg_hi:[0,0,1]
	s_set_vgpr_msb 1                        ;  msbs: dst=0 src0=1 src1=0 src2=0
	v_perm_b32 v10, v19 /*v275*/, v136, 0x4030201
	s_set_vgpr_msb 0                        ;  msbs: dst=0 src0=0 src1=0 src2=0
	s_delay_alu instid0(VALU_DEP_2) | instskip(SKIP_2) | instid1(VALU_DEP_1)
	v_pk_add_f32 v[40:41], v[40:41], v[8:9]
	s_set_vgpr_msb 1                        ;  msbs: dst=0 src0=1 src1=0 src2=0
	v_mul_i32_i24_e32 v8, v29 /*v285*/, v213
	v_mad_i32_i24 v8, v30 /*v286*/, v214, v8
	s_set_vgpr_msb 0                        ;  msbs: dst=0 src0=0 src1=0 src2=0
	s_delay_alu instid0(VALU_DEP_1) | instskip(SKIP_1) | instid1(VALU_DEP_2)
	v_dot4_i32_iu8 v4, v4, v215, v8 neg_lo:[1,1,0]
	v_perm_b32 v8, v146, v19, 0x4030201
	v_dot4_i32_iu8 v4, v5, v216, v4 neg_lo:[1,1,0]
	v_perm_b32 v5, v7, v6, 0x5040302
	s_set_vgpr_msb 1                        ;  msbs: dst=0 src0=1 src1=0 src2=0
	v_perm_b32 v6, v16 /*v272*/, v133, 0x4030201
	s_set_vgpr_msb 0                        ;  msbs: dst=0 src0=0 src1=0 src2=0
	s_delay_alu instid0(VALU_DEP_2) | instskip(SKIP_1) | instid1(VALU_DEP_1)
	v_dot4_i32_iu8 v4, v5, v217, v4 neg_lo:[1,1,0]
	v_perm_b32 v5, v12, v7, 0x5040302
	v_dot4_i32_iu8 v4, v5, v218, v4 neg_lo:[1,1,0]
	v_perm_b32 v5, v13, v12, 0x5040302
	s_delay_alu instid0(VALU_DEP_1) | instskip(SKIP_2) | instid1(VALU_DEP_2)
	v_dot4_i32_iu8 v4, v5, v219, v4 neg_lo:[1,1,0]
	s_set_vgpr_msb 1                        ;  msbs: dst=0 src0=1 src1=0 src2=0
	v_mul_i32_i24_e32 v5, v32 /*v288*/, v222
	v_dot4_i32_iu8 v4, v38 /*v294*/, v221, v4 neg_lo:[1,1,0]
	s_delay_alu instid0(VALU_DEP_2) | instskip(NEXT) | instid1(VALU_DEP_2)
	v_dot4_i32_iu8 v5, v40 /*v296*/, v244, v5 neg_lo:[1,1,0]
	v_dot4_i32_iu8 v4, v22 /*v278*/, v249, v4 neg_lo:[1,1,0]
	s_delay_alu instid0(VALU_DEP_2) | instskip(SKIP_1) | instid1(VALU_DEP_2)
	v_dot4_i32_iu8 v5, v41 /*v297*/, v245, v5 neg_lo:[1,1,0]
	s_set_vgpr_msb 4                        ;  msbs: dst=0 src0=0 src1=1 src2=0
	v_dot4_i32_iu8 v4, v250, v39 /*v295*/, v4 neg_lo:[1,1,0]
	s_set_vgpr_msb 0                        ;  msbs: dst=0 src0=0 src1=0 src2=0
	s_delay_alu instid0(VALU_DEP_2) | instskip(NEXT) | instid1(VALU_DEP_2)
	v_dot4_i32_iu8 v5, v18, v246, v5 neg_lo:[1,1,0]
	v_mul_lo_u32 v4, v4, v212
	s_delay_alu instid0(VALU_DEP_2) | instskip(SKIP_1) | instid1(VALU_DEP_1)
	v_dot4_i32_iu8 v5, v8, v6, v5 neg_lo:[1,1,0]
	s_set_vgpr_msb 4                        ;  msbs: dst=0 src0=0 src1=1 src2=0
	v_dot4_i32_iu8 v5, v247, v43 /*v299*/, v5 neg_lo:[1,1,0]
	s_delay_alu instid0(VALU_DEP_1) | instskip(SKIP_3) | instid1(VALU_DEP_2)
	v_dot4_i32_iu8 v6, v248, v17 /*v273*/, v5 neg_lo:[1,1,0]
	s_set_vgpr_msb 17                       ;  msbs: dst=0 src0=1 src1=0 src2=1
	v_dot4_i32_iu8 v5, v45 /*v301*/, v249, v27 /*v283*/ neg_lo:[1,1,0]
	s_set_vgpr_msb 0                        ;  msbs: dst=0 src0=0 src1=0 src2=0
	v_dot4_i32_iu8 v3, v10, v3, v6 neg_lo:[1,1,0]
	s_set_vgpr_msb 4                        ;  msbs: dst=0 src0=0 src1=1 src2=0
	s_delay_alu instid0(VALU_DEP_2) | instskip(NEXT) | instid1(VALU_DEP_2)
	v_dot4_i32_iu8 v5, v250, v46 /*v302*/, v5 neg_lo:[1,1,0]
	v_dot4_i32_iu8 v3, v147, v24 /*v280*/, v3 neg_lo:[1,1,0]
	s_set_vgpr_msb 0                        ;  msbs: dst=0 src0=0 src1=0 src2=0
	s_delay_alu instid0(VALU_DEP_2) | instskip(SKIP_1) | instid1(VALU_DEP_3)
	v_mul_lo_u32 v8, v5, v212
	v_cvt_f32_i32_e32 v5, v4
	v_mul_lo_u32 v3, v3, v209
	s_delay_alu instid0(VALU_DEP_3) | instskip(SKIP_1) | instid1(VALU_DEP_3)
	v_cvt_f32_i32_e32 v4, v8
	v_pk_fma_f32 v[8:9], v[138:139], v[20:21], 0 op_sel_hi:[0,1,0]
	v_cvt_f32_i32_e32 v3, v3
	s_delay_alu instid0(VALU_DEP_3) | instskip(SKIP_1) | instid1(VALU_DEP_1)
	v_pk_fma_f32 v[4:5], v[16:17], v[4:5], 0 op_sel_hi:[1,1,0]
	s_set_vgpr_msb 1                        ;  msbs: dst=0 src0=1 src1=0 src2=0
	v_pk_fma_f32 v[2:3], v[20:21] /*v[276:277]*/, v[2:3], v[4:5]
	s_set_vgpr_msb 0                        ;  msbs: dst=0 src0=0 src1=0 src2=0
	v_pk_fma_f32 v[4:5], v[142:143], v[0:1], v[8:9] op_sel_hi:[0,1,1]
	s_delay_alu instid0(VALU_DEP_1) | instskip(NEXT) | instid1(VALU_DEP_1)
	v_pk_mul_f32 v[4:5], v[4:5], v[116:117]
	v_pk_fma_f32 v[2:3], v[2:3], v[26:27], v[4:5] neg_lo:[0,0,1] neg_hi:[0,0,1]
	v_perm_b32 v4, v206, v7, 0x6050403
	s_set_vgpr_msb 17                       ;  msbs: dst=0 src0=1 src1=0 src2=1
	v_dot4_i32_iu8 v7, v25 /*v281*/, v132, v23 /*v279*/ neg_lo:[1,1,0]
	s_set_vgpr_msb 0                        ;  msbs: dst=0 src0=0 src1=0 src2=0
	v_pk_add_f32 v[38:39], v[38:39], v[2:3]
	s_set_vgpr_msb 1                        ;  msbs: dst=0 src0=1 src1=0 src2=0
	v_mul_i32_i24_e32 v2, v29 /*v285*/, v207
	s_set_vgpr_msb 0                        ;  msbs: dst=0 src0=0 src1=0 src2=0
	v_perm_b32 v3, v12, v141, 0x6050403
	s_set_vgpr_msb 4                        ;  msbs: dst=0 src0=0 src1=1 src2=0
	v_dot4_i32_iu8 v7, v134, v44 /*v300*/, v7 neg_lo:[1,1,0]
	s_set_vgpr_msb 1                        ;  msbs: dst=0 src0=1 src1=0 src2=0
	v_dot4_i32_iu8 v2, v33 /*v289*/, v223, v2 neg_lo:[1,1,0]
	s_set_vgpr_msb 0                        ;  msbs: dst=0 src0=0 src1=0 src2=0
	s_delay_alu instid0(VALU_DEP_2) | instskip(SKIP_1) | instid1(VALU_DEP_2)
	v_mul_lo_u32 v8, v7, v145
	s_set_vgpr_msb 1                        ;  msbs: dst=0 src0=1 src1=0 src2=0
	v_dot4_i32_iu8 v2, v34 /*v290*/, v224, v2 neg_lo:[1,1,0]
	s_delay_alu instid0(VALU_DEP_1) | instskip(NEXT) | instid1(VALU_DEP_1)
	v_dot4_i32_iu8 v2, v35 /*v291*/, v225, v2 neg_lo:[1,1,0]
	v_dot4_i32_iu8 v2, v36 /*v292*/, v140, v2 neg_lo:[1,1,0]
	s_set_vgpr_msb 0                        ;  msbs: dst=0 src0=0 src1=0 src2=0
	s_delay_alu instid0(VALU_DEP_1) | instskip(SKIP_3) | instid1(VALU_DEP_2)
	v_dot4_i32_iu8 v2, v4, v3, v2 neg_lo:[1,1,0]
	s_set_vgpr_msb 1                        ;  msbs: dst=0 src0=1 src1=0 src2=0
	v_mul_i32_i24_e32 v3, v32 /*v288*/, v211
	s_set_vgpr_msb 4                        ;  msbs: dst=0 src0=0 src1=1 src2=0
	v_mad_i32_i24 v2, v208, v31 /*v287*/, v2
	s_set_vgpr_msb 1                        ;  msbs: dst=0 src0=1 src1=0 src2=0
	s_delay_alu instid0(VALU_DEP_2) | instskip(SKIP_1) | instid1(VALU_DEP_2)
	v_dot4_i32_iu8 v3, v40 /*v296*/, v228, v3 neg_lo:[1,1,0]
	s_set_vgpr_msb 4                        ;  msbs: dst=0 src0=0 src1=1 src2=0
	v_dot4_i32_iu8 v2, v226, v37 /*v293*/, v2 neg_lo:[1,1,0]
	s_set_vgpr_msb 1                        ;  msbs: dst=0 src0=1 src1=0 src2=0
	s_delay_alu instid0(VALU_DEP_2) | instskip(SKIP_1) | instid1(VALU_DEP_2)
	v_dot4_i32_iu8 v3, v41 /*v297*/, v229, v3 neg_lo:[1,1,0]
	s_set_vgpr_msb 4                        ;  msbs: dst=0 src0=0 src1=1 src2=0
	v_dot4_i32_iu8 v2, v227, v38 /*v294*/, v2 neg_lo:[1,1,0]
	s_set_vgpr_msb 0                        ;  msbs: dst=0 src0=0 src1=0 src2=0
	s_delay_alu instid0(VALU_DEP_2) | instskip(SKIP_1) | instid1(VALU_DEP_2)
	v_dot4_i32_iu8 v3, v18, v230, v3 neg_lo:[1,1,0]
	s_set_vgpr_msb 1                        ;  msbs: dst=0 src0=1 src1=0 src2=0
	v_dot4_i32_iu8 v2, v22 /*v278*/, v234, v2 neg_lo:[1,1,0]
	s_set_vgpr_msb 4                        ;  msbs: dst=0 src0=0 src1=1 src2=0
	s_delay_alu instid0(VALU_DEP_2) | instskip(NEXT) | instid1(VALU_DEP_2)
	v_dot4_i32_iu8 v3, v231, v42 /*v298*/, v3 neg_lo:[1,1,0]
	v_dot4_i32_iu8 v2, v235, v39 /*v295*/, v2 neg_lo:[1,1,0]
	s_delay_alu instid0(VALU_DEP_2) | instskip(SKIP_1) | instid1(VALU_DEP_2)
	v_dot4_i32_iu8 v3, v232, v43 /*v299*/, v3 neg_lo:[1,1,0]
	s_set_vgpr_msb 0                        ;  msbs: dst=0 src0=0 src1=0 src2=0
	v_mul_lo_u32 v2, v2, v210
	s_set_vgpr_msb 4                        ;  msbs: dst=0 src0=0 src1=1 src2=0
	s_delay_alu instid0(VALU_DEP_2) | instskip(SKIP_3) | instid1(VALU_DEP_2)
	v_dot4_i32_iu8 v6, v233, v17 /*v273*/, v3 neg_lo:[1,1,0]
	s_set_vgpr_msb 17                       ;  msbs: dst=0 src0=1 src1=0 src2=1
	v_dot4_i32_iu8 v3, v45 /*v301*/, v234, v15 /*v271*/ neg_lo:[1,1,0]
	s_set_vgpr_msb 1                        ;  msbs: dst=0 src0=1 src1=0 src2=0
	v_dot4_i32_iu8 v6, v26 /*v282*/, v132, v6 neg_lo:[1,1,0]
	s_set_vgpr_msb 4                        ;  msbs: dst=0 src0=0 src1=1 src2=0
	s_delay_alu instid0(VALU_DEP_2) | instskip(NEXT) | instid1(VALU_DEP_2)
	v_dot4_i32_iu8 v3, v235, v46 /*v302*/, v3 neg_lo:[1,1,0]
	v_dot4_i32_iu8 v6, v134, v24 /*v280*/, v6 neg_lo:[1,1,0]
	s_set_vgpr_msb 0                        ;  msbs: dst=0 src0=0 src1=0 src2=0
	s_delay_alu instid0(VALU_DEP_2) | instskip(SKIP_1) | instid1(VALU_DEP_3)
	v_mul_lo_u32 v4, v3, v210
	v_cvt_f32_i32_e32 v3, v2
	v_mul_lo_u32 v6, v6, v145
	s_delay_alu instid0(VALU_DEP_3) | instskip(SKIP_1) | instid1(VALU_DEP_3)
	v_cvt_f32_i32_e32 v2, v4
	v_pk_fma_f32 v[4:5], v[130:131], v[20:21], 0 op_sel_hi:[0,1,0]
	v_cvt_f32_i32_e32 v7, v6
	s_delay_alu instid0(VALU_DEP_3) | instskip(SKIP_1) | instid1(VALU_DEP_4)
	v_pk_fma_f32 v[2:3], v[16:17], v[2:3], 0 op_sel_hi:[1,1,0]
	v_cvt_f32_i32_e32 v6, v8
	v_pk_fma_f32 v[0:1], v[120:121], v[0:1], v[4:5] op_sel_hi:[0,1,1]
	s_set_vgpr_msb 1                        ;  msbs: dst=0 src0=1 src1=0 src2=0
	s_delay_alu instid0(VALU_DEP_2) | instskip(SKIP_1) | instid1(VALU_DEP_2)
	v_pk_fma_f32 v[2:3], v[20:21] /*v[276:277]*/, v[6:7], v[2:3]
	s_set_vgpr_msb 0                        ;  msbs: dst=0 src0=0 src1=0 src2=0
	v_pk_mul_f32 v[0:1], v[0:1], v[118:119]
	s_delay_alu instid0(VALU_DEP_1) | instskip(NEXT) | instid1(VALU_DEP_1)
	v_pk_fma_f32 v[0:1], v[2:3], v[110:111], v[0:1] neg_lo:[0,0,1] neg_hi:[0,0,1]
	v_pk_add_f32 v[36:37], v[36:37], v[0:1]
	v_or_b32_e32 v0, s12, v165
	s_delay_alu instid0(VALU_DEP_1)
	v_lshlrev_b32_e32 v1, 2, v0
	s_set_vgpr_msb 64                       ;  msbs: dst=1 src0=0 src1=0 src2=0
	v_lshrrev_b32_e32 v28 /*v284*/, 1, v0
	s_set_vgpr_msb 0                        ;  msbs: dst=0 src0=0 src1=0 src2=0
	ds_load_b128 v[4:7], v1 offset:33280
	ds_load_b128 v[14:17], v1 offset:33296
	;; [unrolled: 1-line block ×4, first 2 shown]
	s_wait_dscnt 0x3
	v_bfe_i32 v12, v4, 0, 8
	v_perm_b32 v21, v4, v4, 0xc0c0201
	s_set_vgpr_msb 64                       ;  msbs: dst=1 src0=0 src1=0 src2=0
	v_perm_b32 v15 /*v271*/, v5, v4, 0x6050403
	v_perm_b32 v16 /*v272*/, v6, v5, 0x6050403
	;; [unrolled: 1-line block ×3, first 2 shown]
	s_set_vgpr_msb 0                        ;  msbs: dst=0 src0=0 src1=0 src2=0
	v_mul_i32_i24_e32 v20, v12, v150
	s_wait_dscnt 0x2
	s_set_vgpr_msb 64                       ;  msbs: dst=1 src0=0 src1=0 src2=0
	v_perm_b32 v17 /*v273*/, v14, v121, 0x6050403
	v_perm_b32 v18 /*v274*/, v148, v7, 0x6050403
	s_set_vgpr_msb 0                        ;  msbs: dst=0 src0=0 src1=0 src2=0
	v_ashrrev_i32_e32 v18, 24, v14
	s_set_vgpr_msb 64                       ;  msbs: dst=1 src0=0 src1=0 src2=0
	v_perm_b32 v23 /*v279*/, v15, v15, 0xc0c0100
	s_set_vgpr_msb 4                        ;  msbs: dst=0 src0=0 src1=1 src2=0
	v_dot4_i32_iu8 v20, v21, v9 /*v265*/, v20 neg_lo:[1,1,0]
	s_wait_dscnt 0x1
	v_bfe_i32 v19, v8, 0, 8
	s_set_vgpr_msb 64                       ;  msbs: dst=1 src0=0 src1=0 src2=0
	v_perm_b32 v24 /*v280*/, v16, v15, 0x5040302
	s_set_vgpr_msb 0                        ;  msbs: dst=0 src0=0 src1=0 src2=0
	v_perm_b32 v8, v9, v8, 0x4030201
	v_perm_b32 v9, v10, v9, 0x4030201
	s_set_vgpr_msb 5                        ;  msbs: dst=0 src0=1 src1=1 src2=0
	v_dot4_i32_iu8 v20, v15 /*v271*/, v10 /*v266*/, v20 neg_lo:[1,1,0]
	s_set_vgpr_msb 0                        ;  msbs: dst=0 src0=0 src1=0 src2=0
	v_perm_b32 v10, v11, v10, 0x4030201
	s_wait_dscnt 0x0
	s_set_vgpr_msb 64                       ;  msbs: dst=1 src0=0 src1=0 src2=0
	v_perm_b32 v25 /*v281*/, v0, v11, 0x4030201
	v_perm_b32 v27 /*v283*/, v1, v0, 0x4030201
	s_set_vgpr_msb 0                        ;  msbs: dst=0 src0=0 src1=0 src2=0
	v_perm_b32 v1, v2, v1, 0x4030201
	s_set_vgpr_msb 5                        ;  msbs: dst=0 src0=1 src1=1 src2=0
	v_dot4_i32_iu8 v20, v16 /*v272*/, v11 /*v267*/, v20 neg_lo:[1,1,0]
	s_set_vgpr_msb 0                        ;  msbs: dst=0 src0=0 src1=0 src2=0
	v_bfe_i32 v13, v4, 8, 8
	v_perm_b32 v4, v5, v4, 0x5040302
	v_perm_b32 v5, v6, v5, 0x5040302
	v_perm_b32 v0, v0, v133, 0x4030201
	s_set_vgpr_msb 5                        ;  msbs: dst=0 src0=1 src1=1 src2=0
	v_dot4_i32_iu8 v20, v22 /*v278*/, v12 /*v268*/, v20 neg_lo:[1,1,0]
	s_delay_alu instid0(VALU_DEP_1)
	v_dot4_i32_iu8 v20, v18 /*v274*/, v17 /*v273*/, v20 neg_lo:[1,1,0]
	s_set_vgpr_msb 64                       ;  msbs: dst=1 src0=0 src1=0 src2=0
	v_perm_b32 v17 /*v273*/, v14, v135, 0x6050403
	v_perm_b32 v18 /*v274*/, v155, v7, 0x6050403
	s_set_vgpr_msb 0                        ;  msbs: dst=0 src0=0 src1=0 src2=0
	v_mad_i32_i24 v20, v149, v18, v20
	s_set_vgpr_msb 5                        ;  msbs: dst=0 src0=1 src1=1 src2=0
	s_delay_alu instid0(VALU_DEP_1) | instskip(SKIP_1) | instid1(VALU_DEP_1)
	v_dot4_i32_iu8 v20, v13 /*v269*/, v23 /*v279*/, v20 neg_lo:[1,1,0]
	s_set_vgpr_msb 0x45                     ;  msbs: dst=1 src0=1 src1=1 src2=0
	v_dot4_i32_iu8 v26 /*v282*/, v14 /*v270*/, v24 /*v280*/, v20 neg_lo:[1,1,0]
	s_set_vgpr_msb 0                        ;  msbs: dst=0 src0=0 src1=0 src2=0
	v_mul_i32_i24_e32 v20, v151, v19
	s_delay_alu instid0(VALU_DEP_1) | instskip(NEXT) | instid1(VALU_DEP_1)
	v_dot4_i32_iu8 v20, v152, v8, v20 neg_lo:[1,1,0]
	v_dot4_i32_iu8 v20, v153, v9, v20 neg_lo:[1,1,0]
	s_set_vgpr_msb 1                        ;  msbs: dst=0 src0=1 src1=0 src2=0
	s_delay_alu instid0(VALU_DEP_1) | instskip(SKIP_1) | instid1(VALU_DEP_1)
	v_dot4_i32_iu8 v20, v5 /*v261*/, v10, v20 neg_lo:[1,1,0]
	s_set_vgpr_msb 5                        ;  msbs: dst=0 src0=1 src1=1 src2=0
	v_dot4_i32_iu8 v20, v6 /*v262*/, v25 /*v281*/, v20 neg_lo:[1,1,0]
	s_delay_alu instid0(VALU_DEP_1) | instskip(SKIP_1) | instid1(VALU_DEP_1)
	v_dot4_i32_iu8 v20, v7 /*v263*/, v27 /*v283*/, v20 neg_lo:[1,1,0]
	s_set_vgpr_msb 0x41                     ;  msbs: dst=1 src0=1 src1=0 src2=0
	v_dot4_i32_iu8 v21 /*v277*/, v8 /*v264*/, v1, v20 neg_lo:[1,1,0]
	s_set_vgpr_msb 0                        ;  msbs: dst=0 src0=0 src1=0 src2=0
	v_mul_i32_i24_e32 v20, v12, v156
	s_delay_alu instid0(VALU_DEP_1) | instskip(SKIP_1) | instid1(VALU_DEP_1)
	v_dot4_i32_iu8 v20, v21, v253, v20 neg_lo:[1,1,0]
	s_set_vgpr_msb 1                        ;  msbs: dst=0 src0=1 src1=0 src2=0
	v_dot4_i32_iu8 v20, v15 /*v271*/, v254, v20 neg_lo:[1,1,0]
	s_delay_alu instid0(VALU_DEP_1) | instskip(SKIP_1) | instid1(VALU_DEP_1)
	v_dot4_i32_iu8 v20, v16 /*v272*/, v255, v20 neg_lo:[1,1,0]
	s_set_vgpr_msb 5                        ;  msbs: dst=0 src0=1 src1=1 src2=0
	v_dot4_i32_iu8 v20, v22 /*v278*/, v0 /*v256*/, v20 neg_lo:[1,1,0]
	s_delay_alu instid0(VALU_DEP_1) | instskip(SKIP_1) | instid1(VALU_DEP_1)
	v_dot4_i32_iu8 v20, v18 /*v274*/, v17 /*v273*/, v20 neg_lo:[1,1,0]
	s_set_vgpr_msb 0                        ;  msbs: dst=0 src0=0 src1=0 src2=0
	v_mad_i32_i24 v20, v157, v18, v20
	s_set_vgpr_msb 5                        ;  msbs: dst=0 src0=1 src1=1 src2=0
	s_delay_alu instid0(VALU_DEP_1) | instskip(SKIP_1) | instid1(VALU_DEP_1)
	v_dot4_i32_iu8 v20, v1 /*v257*/, v23 /*v279*/, v20 neg_lo:[1,1,0]
	s_set_vgpr_msb 0x45                     ;  msbs: dst=1 src0=1 src1=1 src2=0
	v_dot4_i32_iu8 v20 /*v276*/, v2 /*v258*/, v24 /*v280*/, v20 neg_lo:[1,1,0]
	s_set_vgpr_msb 0                        ;  msbs: dst=0 src0=0 src1=0 src2=0
	v_mul_i32_i24_e32 v20, v19, v204
	s_delay_alu instid0(VALU_DEP_1) | instskip(NEXT) | instid1(VALU_DEP_1)
	v_dot4_i32_iu8 v20, v8, v205, v20 neg_lo:[1,1,0]
	v_dot4_i32_iu8 v20, v9, v236, v20 neg_lo:[1,1,0]
	s_delay_alu instid0(VALU_DEP_1) | instskip(SKIP_1) | instid1(VALU_DEP_1)
	v_dot4_i32_iu8 v20, v10, v237, v20 neg_lo:[1,1,0]
	s_set_vgpr_msb 1                        ;  msbs: dst=0 src0=1 src1=0 src2=0
	v_dot4_i32_iu8 v20, v25 /*v281*/, v238, v20 neg_lo:[1,1,0]
	s_delay_alu instid0(VALU_DEP_1) | instskip(SKIP_1) | instid1(VALU_DEP_1)
	v_dot4_i32_iu8 v20, v27 /*v283*/, v239, v20 neg_lo:[1,1,0]
	s_set_vgpr_msb 64                       ;  msbs: dst=1 src0=0 src1=0 src2=0
	v_dot4_i32_iu8 v19 /*v275*/, v1, v240, v20 neg_lo:[1,1,0]
	s_set_vgpr_msb 0                        ;  msbs: dst=0 src0=0 src1=0 src2=0
	v_mul_i32_i24_e32 v20, v12, v213
	s_delay_alu instid0(VALU_DEP_1) | instskip(NEXT) | instid1(VALU_DEP_1)
	v_mad_i32_i24 v13, v13, v214, v20
	v_dot4_i32_iu8 v4, v4, v215, v13 neg_lo:[1,1,0]
	s_delay_alu instid0(VALU_DEP_1) | instskip(SKIP_1) | instid1(VALU_DEP_1)
	v_dot4_i32_iu8 v4, v5, v216, v4 neg_lo:[1,1,0]
	v_perm_b32 v5, v7, v6, 0x5040302
	v_dot4_i32_iu8 v4, v5, v217, v4 neg_lo:[1,1,0]
	v_perm_b32 v5, v14, v7, 0x5040302
	s_delay_alu instid0(VALU_DEP_1) | instskip(SKIP_1) | instid1(VALU_DEP_1)
	v_dot4_i32_iu8 v4, v5, v218, v4 neg_lo:[1,1,0]
	v_perm_b32 v5, v15, v14, 0x5040302
	v_dot4_i32_iu8 v4, v5, v219, v4 neg_lo:[1,1,0]
	v_perm_b32 v5, v146, v11, 0x4030201
	s_set_vgpr_msb 0x41                     ;  msbs: dst=1 src0=1 src1=0 src2=0
	s_delay_alu instid0(VALU_DEP_2) | instskip(SKIP_2) | instid1(VALU_DEP_1)
	v_dot4_i32_iu8 v18 /*v274*/, v24 /*v280*/, v221, v4 neg_lo:[1,1,0]
	s_set_vgpr_msb 0                        ;  msbs: dst=0 src0=0 src1=0 src2=0
	v_mul_i32_i24_e32 v4, v19, v222
	v_dot4_i32_iu8 v4, v8, v244, v4 neg_lo:[1,1,0]
	s_delay_alu instid0(VALU_DEP_1) | instskip(NEXT) | instid1(VALU_DEP_1)
	v_dot4_i32_iu8 v4, v9, v245, v4 neg_lo:[1,1,0]
	v_dot4_i32_iu8 v4, v10, v246, v4 neg_lo:[1,1,0]
	s_delay_alu instid0(VALU_DEP_1) | instskip(SKIP_3) | instid1(VALU_DEP_3)
	v_dot4_i32_iu8 v0, v5, v0, v4 neg_lo:[1,1,0]
	v_perm_b32 v4, v14, v141, 0x6050403
	v_perm_b32 v5, v206, v7, 0x6050403
	s_set_vgpr_msb 4                        ;  msbs: dst=0 src0=0 src1=1 src2=0
	v_dot4_i32_iu8 v0, v247, v27 /*v283*/, v0 neg_lo:[1,1,0]
	s_set_vgpr_msb 64                       ;  msbs: dst=1 src0=0 src1=0 src2=0
	s_delay_alu instid0(VALU_DEP_1) | instskip(SKIP_2) | instid1(VALU_DEP_1)
	v_dot4_i32_iu8 v17 /*v273*/, v248, v1, v0 neg_lo:[1,1,0]
	s_set_vgpr_msb 0                        ;  msbs: dst=0 src0=0 src1=0 src2=0
	v_mul_i32_i24_e32 v0, v12, v207
	v_dot4_i32_iu8 v0, v21, v223, v0 neg_lo:[1,1,0]
	s_set_vgpr_msb 1                        ;  msbs: dst=0 src0=1 src1=0 src2=0
	s_delay_alu instid0(VALU_DEP_1) | instskip(NEXT) | instid1(VALU_DEP_1)
	v_dot4_i32_iu8 v0, v15 /*v271*/, v224, v0 neg_lo:[1,1,0]
	v_dot4_i32_iu8 v0, v16 /*v272*/, v225, v0 neg_lo:[1,1,0]
	s_delay_alu instid0(VALU_DEP_1) | instskip(SKIP_1) | instid1(VALU_DEP_1)
	v_dot4_i32_iu8 v0, v22 /*v278*/, v140, v0 neg_lo:[1,1,0]
	s_set_vgpr_msb 0                        ;  msbs: dst=0 src0=0 src1=0 src2=0
	v_dot4_i32_iu8 v0, v5, v4, v0 neg_lo:[1,1,0]
	s_delay_alu instid0(VALU_DEP_1) | instskip(SKIP_1) | instid1(VALU_DEP_1)
	v_mad_i32_i24 v0, v208, v18, v0
	s_set_vgpr_msb 4                        ;  msbs: dst=0 src0=0 src1=1 src2=0
	v_dot4_i32_iu8 v0, v226, v23 /*v279*/, v0 neg_lo:[1,1,0]
	s_set_vgpr_msb 0x44                     ;  msbs: dst=1 src0=0 src1=1 src2=0
	s_delay_alu instid0(VALU_DEP_1) | instskip(SKIP_2) | instid1(VALU_DEP_1)
	v_dot4_i32_iu8 v16 /*v272*/, v227, v24 /*v280*/, v0 neg_lo:[1,1,0]
	s_set_vgpr_msb 0                        ;  msbs: dst=0 src0=0 src1=0 src2=0
	v_mul_i32_i24_e32 v0, v19, v211
	v_dot4_i32_iu8 v0, v8, v228, v0 neg_lo:[1,1,0]
	s_delay_alu instid0(VALU_DEP_1) | instskip(NEXT) | instid1(VALU_DEP_1)
	v_dot4_i32_iu8 v0, v9, v229, v0 neg_lo:[1,1,0]
	v_dot4_i32_iu8 v0, v10, v230, v0 neg_lo:[1,1,0]
	s_set_vgpr_msb 4                        ;  msbs: dst=0 src0=0 src1=1 src2=0
	s_delay_alu instid0(VALU_DEP_1) | instskip(NEXT) | instid1(VALU_DEP_1)
	v_dot4_i32_iu8 v0, v231, v25 /*v281*/, v0 neg_lo:[1,1,0]
	v_dot4_i32_iu8 v0, v232, v27 /*v283*/, v0 neg_lo:[1,1,0]
	s_set_vgpr_msb 64                       ;  msbs: dst=1 src0=0 src1=0 src2=0
	s_delay_alu instid0(VALU_DEP_1)
	v_dot4_i32_iu8 v15 /*v271*/, v233, v1, v0 neg_lo:[1,1,0]
	s_set_vgpr_msb 0                        ;  msbs: dst=0 src0=0 src1=0 src2=0
	v_or_b32_e32 v0, s12, v166
	s_add_co_i32 s12, s5, 8
	s_cmp_lt_u32 s5, 24
	s_mov_b32 s5, s12
	s_delay_alu instid0(VALU_DEP_1)
	v_dual_lshlrev_b32 v1, 2, v0 :: v_dual_lshrrev_b32 v0, 1, v0
	ds_load_b128 v[4:7], v1 offset:33280
	ds_load_b128 v[8:11], v1 offset:33296
	;; [unrolled: 1-line block ×4, first 2 shown]
	s_wait_dscnt 0x3
	s_set_vgpr_msb 64                       ;  msbs: dst=1 src0=0 src1=0 src2=0
	v_bfe_i32 v24 /*v280*/, v4, 0, 8
	v_perm_b32 v25 /*v281*/, v4, v4, 0xc0c0201
	s_wait_dscnt 0x2
	s_set_vgpr_msb 0                        ;  msbs: dst=0 src0=0 src1=0 src2=0
	v_perm_b32 v121, v8, v121, 0x6050403
	v_perm_b32 v148, v148, v7, 0x6050403
	s_set_vgpr_msb 64                       ;  msbs: dst=1 src0=0 src1=0 src2=0
	v_ashrrev_i32_e32 v23 /*v279*/, 24, v8
	s_set_vgpr_msb 1                        ;  msbs: dst=0 src0=1 src1=0 src2=0
	v_mul_i32_i24_e32 v1, v24 /*v280*/, v150
	s_wait_dscnt 0x1
	s_set_vgpr_msb 64                       ;  msbs: dst=1 src0=0 src1=0 src2=0
	v_bfe_i32 v22 /*v278*/, v18, 0, 8
	v_bfe_i32 v27 /*v283*/, v4, 8, 8
	s_set_vgpr_msb 5                        ;  msbs: dst=0 src0=1 src1=1 src2=0
	v_dot4_i32_iu8 v1, v25 /*v281*/, v9 /*v265*/, v1 neg_lo:[1,1,0]
	s_set_vgpr_msb 64                       ;  msbs: dst=1 src0=0 src1=0 src2=0
	v_perm_b32 v9 /*v265*/, v5, v4, 0x6050403
	s_set_vgpr_msb 0                        ;  msbs: dst=0 src0=0 src1=0 src2=0
	v_perm_b32 v4, v5, v4, 0x5040302
	s_set_vgpr_msb 5                        ;  msbs: dst=0 src0=1 src1=1 src2=0
	s_delay_alu instid0(VALU_DEP_2)
	v_dot4_i32_iu8 v1, v9 /*v265*/, v10 /*v266*/, v1 neg_lo:[1,1,0]
	s_set_vgpr_msb 64                       ;  msbs: dst=1 src0=0 src1=0 src2=0
	v_perm_b32 v10 /*v266*/, v6, v5, 0x6050403
	s_set_vgpr_msb 0                        ;  msbs: dst=0 src0=0 src1=0 src2=0
	v_perm_b32 v5, v6, v5, 0x5040302
	s_set_vgpr_msb 5                        ;  msbs: dst=0 src0=1 src1=1 src2=0
	s_delay_alu instid0(VALU_DEP_2) | instskip(SKIP_3) | instid1(VALU_DEP_1)
	v_dot4_i32_iu8 v1, v10 /*v266*/, v11 /*v267*/, v1 neg_lo:[1,1,0]
	s_set_vgpr_msb 64                       ;  msbs: dst=1 src0=0 src1=0 src2=0
	v_perm_b32 v11 /*v267*/, v7, v6, 0x6050403
	s_set_vgpr_msb 5                        ;  msbs: dst=0 src0=1 src1=1 src2=0
	v_dot4_i32_iu8 v1, v11 /*v267*/, v12 /*v268*/, v1 neg_lo:[1,1,0]
	s_set_vgpr_msb 64                       ;  msbs: dst=1 src0=0 src1=0 src2=0
	v_perm_b32 v12 /*v268*/, v10, v9, 0x5040302
	s_set_vgpr_msb 0                        ;  msbs: dst=0 src0=0 src1=0 src2=0
	s_delay_alu instid0(VALU_DEP_2) | instskip(SKIP_2) | instid1(VALU_DEP_2)
	v_dot4_i32_iu8 v1, v148, v121, v1 neg_lo:[1,1,0]
	v_perm_b32 v121, v9, v9, 0xc0c0100
	s_set_vgpr_msb 4                        ;  msbs: dst=0 src0=0 src1=1 src2=0
	v_mad_i32_i24 v1, v149, v23 /*v279*/, v1
	s_set_vgpr_msb 1                        ;  msbs: dst=0 src0=1 src1=0 src2=0
	s_delay_alu instid0(VALU_DEP_1) | instskip(SKIP_3) | instid1(VALU_DEP_2)
	v_dot4_i32_iu8 v1, v13 /*v269*/, v121, v1 neg_lo:[1,1,0]
	s_set_vgpr_msb 64                       ;  msbs: dst=1 src0=0 src1=0 src2=0
	v_perm_b32 v13 /*v269*/, v19, v18, 0x4030201
	s_set_vgpr_msb 0x45                     ;  msbs: dst=1 src0=1 src1=1 src2=0
	v_dot4_i32_iu8 v29 /*v285*/, v14 /*v270*/, v12 /*v268*/, v1 neg_lo:[1,1,0]
	s_set_vgpr_msb 4                        ;  msbs: dst=0 src0=0 src1=1 src2=0
	v_mul_i32_i24_e32 v1, v151, v22 /*v278*/
	s_set_vgpr_msb 64                       ;  msbs: dst=1 src0=0 src1=0 src2=0
	v_perm_b32 v14 /*v270*/, v20, v19, 0x4030201
	s_set_vgpr_msb 0                        ;  msbs: dst=0 src0=0 src1=0 src2=0
	v_perm_b32 v20, v21, v20, 0x4030201
	s_set_vgpr_msb 4                        ;  msbs: dst=0 src0=0 src1=1 src2=0
	v_dot4_i32_iu8 v1, v152, v13 /*v269*/, v1 neg_lo:[1,1,0]
	s_delay_alu instid0(VALU_DEP_1)
	v_dot4_i32_iu8 v1, v153, v14 /*v270*/, v1 neg_lo:[1,1,0]
	s_set_vgpr_msb 1                        ;  msbs: dst=0 src0=1 src1=0 src2=0
	ds_load_b64 v[18:19], v28 /*v284*/ offset:43584
	s_set_vgpr_msb 0                        ;  msbs: dst=0 src0=0 src1=0 src2=0
	ds_load_b64 v[152:153], v0 offset:43584
	s_set_vgpr_msb 1                        ;  msbs: dst=0 src0=1 src1=0 src2=0
	v_dot4_i32_iu8 v1, v5 /*v261*/, v20, v1 neg_lo:[1,1,0]
	s_wait_dscnt 0x2
	s_set_vgpr_msb 64                       ;  msbs: dst=1 src0=0 src1=0 src2=0
	v_perm_b32 v5 /*v261*/, v12, v21, 0x4030201
	s_set_vgpr_msb 5                        ;  msbs: dst=0 src0=1 src1=1 src2=0
	s_delay_alu instid0(VALU_DEP_1)
	v_dot4_i32_iu8 v1, v6 /*v262*/, v5 /*v261*/, v1 neg_lo:[1,1,0]
	s_set_vgpr_msb 64                       ;  msbs: dst=1 src0=0 src1=0 src2=0
	v_perm_b32 v6 /*v262*/, v13, v12, 0x4030201
	s_set_vgpr_msb 0                        ;  msbs: dst=0 src0=0 src1=0 src2=0
	v_perm_b32 v13, v14, v13, 0x4030201
	s_set_vgpr_msb 5                        ;  msbs: dst=0 src0=1 src1=1 src2=0
	s_delay_alu instid0(VALU_DEP_2)
	v_dot4_i32_iu8 v1, v7 /*v263*/, v6 /*v262*/, v1 neg_lo:[1,1,0]
	s_wait_dscnt 0x1
	s_set_vgpr_msb 0                        ;  msbs: dst=0 src0=0 src1=0 src2=0
	v_cvt_f32_f16_e32 v0, v18
	s_wait_dscnt 0x0
	v_dual_lshrrev_b32 v18, 16, v18 :: v_dual_lshrrev_b32 v148, 16, v152
	s_set_vgpr_msb 0x41                     ;  msbs: dst=1 src0=1 src1=0 src2=0
	v_dot4_i32_iu8 v7 /*v263*/, v8 /*v264*/, v13, v1 neg_lo:[1,1,0]
	s_set_vgpr_msb 0                        ;  msbs: dst=0 src0=0 src1=0 src2=0
	v_cvt_f32_f16_e64 v1, v152
	v_cvt_f32_f16_e64 v149, v153
	;; [unrolled: 1-line block ×5, first 2 shown]
	v_dual_lshrrev_b32 v18, 16, v19 :: v_dual_lshrrev_b32 v19, 16, v153
	v_perm_b32 v152, v17, v16, 0x5040302
	v_perm_b32 v153, v11, v10, 0x5040302
	s_set_vgpr_msb 64                       ;  msbs: dst=1 src0=0 src1=0 src2=0
	v_perm_b32 v8 /*v264*/, v17, v17, 0xc0c0302
	s_set_vgpr_msb 16                       ;  msbs: dst=0 src0=0 src1=0 src2=1
	v_cvt_f32_f16_e32 v18, v18
	v_cvt_f32_f16_e32 v19, v19
	v_dot4_i32_iu8 v16, v152, v252, v26 /*v282*/ neg_lo:[1,1,0]
	v_dot4_i32_iu8 v10, v153, v252, v29 /*v285*/ neg_lo:[1,1,0]
	v_perm_b32 v252, v11, v11, 0xc0c0302
	s_set_vgpr_msb 4                        ;  msbs: dst=0 src0=0 src1=1 src2=0
	s_delay_alu instid0(VALU_DEP_3) | instskip(SKIP_1) | instid1(VALU_DEP_2)
	v_dot4_i32_iu8 v11, v251, v8 /*v264*/, v16 neg_lo:[1,1,0]
	s_set_vgpr_msb 0                        ;  msbs: dst=0 src0=0 src1=0 src2=0
	v_dot4_i32_iu8 v10, v251, v252, v10 neg_lo:[1,1,0]
	v_perm_b32 v251, v3, v3, 0xc070601
	s_delay_alu instid0(VALU_DEP_3) | instskip(NEXT) | instid1(VALU_DEP_3)
	v_mul_lo_u32 v16, v11, v154
	v_mul_lo_u32 v10, v10, v154
	v_perm_b32 v154, v3, v124, 0x4030201
	v_perm_b32 v124, v15, v124, 0x4030201
	s_delay_alu instid0(VALU_DEP_3) | instskip(SKIP_4) | instid1(VALU_DEP_4)
	v_cvt_f32_i32_e32 v11, v10
	v_cvt_f32_i32_e32 v10, v16
	v_pk_fma_f32 v[16:17], v[126:127], v[150:151], 0 op_sel_hi:[0,1,0]
	v_perm_b32 v126, v125, v2, 0x4030201
	v_perm_b32 v125, v125, v14, 0x4030201
	v_pk_fma_f32 v[10:11], v[0:1], v[10:11], 0 op_sel_hi:[1,1,0]
	s_set_vgpr_msb 16                       ;  msbs: dst=0 src0=0 src1=0 src2=1
	s_delay_alu instid0(VALU_DEP_3) | instskip(NEXT) | instid1(VALU_DEP_3)
	v_dot4_i32_iu8 v126, v154, v126, v21 /*v277*/ neg_lo:[1,1,0]
	v_dot4_i32_iu8 v124, v124, v125, v7 /*v263*/ neg_lo:[1,1,0]
	v_perm_b32 v154, v15, v15, 0xc070601
	s_set_vgpr_msb 0                        ;  msbs: dst=0 src0=0 src1=0 src2=0
	s_delay_alu instid0(VALU_DEP_3) | instskip(NEXT) | instid1(VALU_DEP_2)
	v_dot4_i32_iu8 v125, v243, v251, v126 neg_lo:[1,1,0]
	v_dot4_i32_iu8 v124, v243, v154, v124 neg_lo:[1,1,0]
	s_delay_alu instid0(VALU_DEP_2) | instskip(NEXT) | instid1(VALU_DEP_2)
	v_mul_lo_u32 v126, v125, v123
	v_mul_lo_u32 v123, v124, v123
	s_delay_alu instid0(VALU_DEP_2) | instskip(NEXT) | instid1(VALU_DEP_2)
	v_cvt_f32_i32_e32 v124, v126
	v_cvt_f32_i32_e32 v125, v123
	v_pk_fma_f32 v[16:17], v[122:123], v[18:19], v[16:17] op_sel_hi:[0,1,1]
	s_delay_alu instid0(VALU_DEP_2) | instskip(NEXT) | instid1(VALU_DEP_2)
	v_pk_fma_f32 v[10:11], v[148:149], v[124:125], v[10:11]
	v_pk_mul_f32 v[16:17], v[16:17], v[112:113]
	v_perm_b32 v124, v3, v2, 0x4030201
	v_perm_b32 v125, v15, v14, 0x4030201
	;; [unrolled: 1-line block ×4, first 2 shown]
	v_pk_fma_f32 v[10:11], v[10:11], v[22:23], v[16:17] neg_lo:[0,0,1] neg_hi:[0,0,1]
	v_perm_b32 v16, v155, v7, 0x6050403
	s_set_vgpr_msb 16                       ;  msbs: dst=0 src0=0 src1=0 src2=1
	v_dot4_i32_iu8 v123, v124, v241, v19 /*v275*/ neg_lo:[1,1,0]
	v_dot4_i32_iu8 v2, v3, v2, v17 /*v273*/ neg_lo:[1,1,0]
	v_pk_add_f32 v[34:35], v[34:35], v[10:11]
	s_set_vgpr_msb 1                        ;  msbs: dst=0 src0=1 src1=0 src2=0
	v_mul_i32_i24_e32 v10, v24 /*v280*/, v156
	s_set_vgpr_msb 0                        ;  msbs: dst=0 src0=0 src1=0 src2=0
	v_perm_b32 v11, v8, v135, 0x6050403
	v_dot4_i32_iu8 v123, v242, v251, v123 neg_lo:[1,1,0]
	v_perm_b32 v3, v137, v14, 0x4030201
	v_dot4_i32_iu8 v2, v147, v251, v2 neg_lo:[1,1,0]
	s_set_vgpr_msb 1                        ;  msbs: dst=0 src0=1 src1=0 src2=0
	v_dot4_i32_iu8 v10, v25 /*v281*/, v253, v10 neg_lo:[1,1,0]
	s_set_vgpr_msb 0                        ;  msbs: dst=0 src0=0 src1=0 src2=0
	v_mul_lo_u32 v126, v123, v220
	v_mul_lo_u32 v2, v2, v209
	s_set_vgpr_msb 1                        ;  msbs: dst=0 src0=1 src1=0 src2=0
	v_dot4_i32_iu8 v10, v9 /*v265*/, v254, v10 neg_lo:[1,1,0]
	s_delay_alu instid0(VALU_DEP_1) | instskip(SKIP_1) | instid1(VALU_DEP_1)
	v_dot4_i32_iu8 v10, v10 /*v266*/, v255, v10 neg_lo:[1,1,0]
	s_set_vgpr_msb 5                        ;  msbs: dst=0 src0=1 src1=1 src2=0
	v_dot4_i32_iu8 v10, v11 /*v267*/, v0 /*v256*/, v10 neg_lo:[1,1,0]
	s_set_vgpr_msb 0                        ;  msbs: dst=0 src0=0 src1=0 src2=0
	s_delay_alu instid0(VALU_DEP_4) | instskip(NEXT) | instid1(VALU_DEP_2)
	v_cvt_f32_i32_e32 v2, v2
	v_dot4_i32_iu8 v10, v16, v11, v10 neg_lo:[1,1,0]
	s_set_vgpr_msb 1                        ;  msbs: dst=0 src0=1 src1=0 src2=0
	v_mul_i32_i24_e32 v11, v22 /*v278*/, v204
	s_set_vgpr_msb 4                        ;  msbs: dst=0 src0=0 src1=1 src2=0
	s_delay_alu instid0(VALU_DEP_2) | instskip(SKIP_1) | instid1(VALU_DEP_2)
	v_mad_i32_i24 v10, v157, v23 /*v279*/, v10
	s_set_vgpr_msb 1                        ;  msbs: dst=0 src0=1 src1=0 src2=0
	v_dot4_i32_iu8 v11, v13 /*v269*/, v205, v11 neg_lo:[1,1,0]
	s_delay_alu instid0(VALU_DEP_2) | instskip(NEXT) | instid1(VALU_DEP_2)
	v_dot4_i32_iu8 v10, v1 /*v257*/, v121, v10 neg_lo:[1,1,0]
	v_dot4_i32_iu8 v11, v14 /*v270*/, v236, v11 neg_lo:[1,1,0]
	s_set_vgpr_msb 5                        ;  msbs: dst=0 src0=1 src1=1 src2=0
	s_delay_alu instid0(VALU_DEP_2) | instskip(SKIP_1) | instid1(VALU_DEP_2)
	v_dot4_i32_iu8 v10, v2 /*v258*/, v12 /*v268*/, v10 neg_lo:[1,1,0]
	s_set_vgpr_msb 0                        ;  msbs: dst=0 src0=0 src1=0 src2=0
	v_dot4_i32_iu8 v11, v20, v237, v11 neg_lo:[1,1,0]
	s_set_vgpr_msb 4                        ;  msbs: dst=0 src0=0 src1=1 src2=0
	s_delay_alu instid0(VALU_DEP_2) | instskip(SKIP_1) | instid1(VALU_DEP_2)
	v_dot4_i32_iu8 v10, v153, v3 /*v259*/, v10 neg_lo:[1,1,0]
	s_set_vgpr_msb 1                        ;  msbs: dst=0 src0=1 src1=0 src2=0
	v_dot4_i32_iu8 v11, v5 /*v261*/, v238, v11 neg_lo:[1,1,0]
	s_delay_alu instid0(VALU_DEP_2) | instskip(NEXT) | instid1(VALU_DEP_2)
	v_dot4_i32_iu8 v10, v4 /*v260*/, v252, v10 neg_lo:[1,1,0]
	v_dot4_i32_iu8 v11, v6 /*v262*/, v239, v11 neg_lo:[1,1,0]
	s_set_vgpr_msb 0                        ;  msbs: dst=0 src0=0 src1=0 src2=0
	s_delay_alu instid0(VALU_DEP_2) | instskip(NEXT) | instid1(VALU_DEP_2)
	v_mul_lo_u32 v10, v10, v203
	v_dot4_i32_iu8 v122, v13, v240, v11 neg_lo:[1,1,0]
	s_set_vgpr_msb 20                       ;  msbs: dst=0 src0=0 src1=1 src2=1
	v_dot4_i32_iu8 v11, v152, v3 /*v259*/, v20 /*v276*/ neg_lo:[1,1,0]
	s_set_vgpr_msb 0                        ;  msbs: dst=0 src0=0 src1=0 src2=0
	s_delay_alu instid0(VALU_DEP_2) | instskip(SKIP_1) | instid1(VALU_DEP_2)
	v_dot4_i32_iu8 v122, v125, v241, v122 neg_lo:[1,1,0]
	s_set_vgpr_msb 5                        ;  msbs: dst=0 src0=1 src1=1 src2=0
	v_dot4_i32_iu8 v11, v4 /*v260*/, v8 /*v264*/, v11 neg_lo:[1,1,0]
	s_set_vgpr_msb 0                        ;  msbs: dst=0 src0=0 src1=0 src2=0
	s_delay_alu instid0(VALU_DEP_2) | instskip(NEXT) | instid1(VALU_DEP_2)
	v_dot4_i32_iu8 v122, v242, v154, v122 neg_lo:[1,1,0]
	v_mul_lo_u32 v16, v11, v203
	v_cvt_f32_i32_e32 v11, v10
	s_delay_alu instid0(VALU_DEP_3) | instskip(NEXT) | instid1(VALU_DEP_3)
	v_mul_lo_u32 v122, v122, v220
	v_cvt_f32_i32_e32 v10, v16
	v_pk_fma_f32 v[16:17], v[128:129], v[150:151], 0 op_sel_hi:[0,1,0]
	s_delay_alu instid0(VALU_DEP_3) | instskip(NEXT) | instid1(VALU_DEP_3)
	v_cvt_f32_i32_e32 v123, v122
	v_pk_fma_f32 v[10:11], v[0:1], v[10:11], 0 op_sel_hi:[1,1,0]
	v_cvt_f32_i32_e32 v122, v126
	s_delay_alu instid0(VALU_DEP_4) | instskip(NEXT) | instid1(VALU_DEP_2)
	v_pk_fma_f32 v[16:17], v[144:145], v[18:19], v[16:17] op_sel_hi:[0,1,1]
	v_pk_fma_f32 v[10:11], v[148:149], v[122:123], v[10:11]
	s_delay_alu instid0(VALU_DEP_2) | instskip(NEXT) | instid1(VALU_DEP_1)
	v_pk_mul_f32 v[16:17], v[16:17], v[114:115]
	v_pk_fma_f32 v[10:11], v[10:11], v[24:25], v[16:17] neg_lo:[0,0,1] neg_hi:[0,0,1]
	s_delay_alu instid0(VALU_DEP_1) | instskip(SKIP_2) | instid1(VALU_DEP_1)
	v_pk_add_f32 v[32:33], v[32:33], v[10:11]
	s_set_vgpr_msb 1                        ;  msbs: dst=0 src0=1 src1=0 src2=0
	v_mul_i32_i24_e32 v10, v24 /*v280*/, v213
	v_mad_i32_i24 v10, v27 /*v283*/, v214, v10
	s_set_vgpr_msb 0                        ;  msbs: dst=0 src0=0 src1=0 src2=0
	s_delay_alu instid0(VALU_DEP_1) | instskip(SKIP_1) | instid1(VALU_DEP_2)
	v_dot4_i32_iu8 v4, v4, v215, v10 neg_lo:[1,1,0]
	v_pk_fma_f32 v[10:11], v[138:139], v[150:151], 0 op_sel_hi:[0,1,0]
	v_dot4_i32_iu8 v4, v5, v216, v4 neg_lo:[1,1,0]
	v_perm_b32 v5, v7, v6, 0x5040302
	v_perm_b32 v6, v12, v133, 0x4030201
	s_delay_alu instid0(VALU_DEP_2) | instskip(SKIP_1) | instid1(VALU_DEP_1)
	v_dot4_i32_iu8 v4, v5, v217, v4 neg_lo:[1,1,0]
	v_perm_b32 v5, v8, v7, 0x5040302
	v_dot4_i32_iu8 v4, v5, v218, v4 neg_lo:[1,1,0]
	v_perm_b32 v5, v9, v8, 0x5040302
	v_perm_b32 v9, v146, v21, 0x4030201
	s_delay_alu instid0(VALU_DEP_2) | instskip(SKIP_2) | instid1(VALU_DEP_2)
	v_dot4_i32_iu8 v4, v5, v219, v4 neg_lo:[1,1,0]
	s_set_vgpr_msb 1                        ;  msbs: dst=0 src0=1 src1=0 src2=0
	v_mul_i32_i24_e32 v5, v22 /*v278*/, v222
	v_dot4_i32_iu8 v4, v12 /*v268*/, v221, v4 neg_lo:[1,1,0]
	s_delay_alu instid0(VALU_DEP_2) | instskip(SKIP_1) | instid1(VALU_DEP_2)
	v_dot4_i32_iu8 v5, v13 /*v269*/, v244, v5 neg_lo:[1,1,0]
	s_set_vgpr_msb 0                        ;  msbs: dst=0 src0=0 src1=0 src2=0
	v_dot4_i32_iu8 v4, v153, v249, v4 neg_lo:[1,1,0]
	s_set_vgpr_msb 1                        ;  msbs: dst=0 src0=1 src1=0 src2=0
	s_delay_alu instid0(VALU_DEP_2) | instskip(SKIP_1) | instid1(VALU_DEP_2)
	v_dot4_i32_iu8 v5, v14 /*v270*/, v245, v5 neg_lo:[1,1,0]
	s_set_vgpr_msb 0                        ;  msbs: dst=0 src0=0 src1=0 src2=0
	v_dot4_i32_iu8 v4, v250, v252, v4 neg_lo:[1,1,0]
	s_delay_alu instid0(VALU_DEP_2) | instskip(NEXT) | instid1(VALU_DEP_2)
	v_dot4_i32_iu8 v5, v20, v246, v5 neg_lo:[1,1,0]
	v_mul_lo_u32 v4, v4, v212
	s_delay_alu instid0(VALU_DEP_2) | instskip(SKIP_1) | instid1(VALU_DEP_1)
	v_dot4_i32_iu8 v5, v9, v6, v5 neg_lo:[1,1,0]
	s_set_vgpr_msb 4                        ;  msbs: dst=0 src0=0 src1=1 src2=0
	v_dot4_i32_iu8 v5, v247, v6 /*v262*/, v5 neg_lo:[1,1,0]
	s_set_vgpr_msb 0                        ;  msbs: dst=0 src0=0 src1=0 src2=0
	s_delay_alu instid0(VALU_DEP_1) | instskip(SKIP_3) | instid1(VALU_DEP_1)
	v_dot4_i32_iu8 v6, v248, v13, v5 neg_lo:[1,1,0]
	s_set_vgpr_msb 16                       ;  msbs: dst=0 src0=0 src1=0 src2=1
	v_dot4_i32_iu8 v5, v152, v249, v18 /*v274*/ neg_lo:[1,1,0]
	s_set_vgpr_msb 4                        ;  msbs: dst=0 src0=0 src1=1 src2=0
	v_dot4_i32_iu8 v5, v250, v8 /*v264*/, v5 neg_lo:[1,1,0]
	s_set_vgpr_msb 0                        ;  msbs: dst=0 src0=0 src1=0 src2=0
	s_delay_alu instid0(VALU_DEP_1) | instskip(SKIP_1) | instid1(VALU_DEP_2)
	v_mul_lo_u32 v9, v5, v212
	v_cvt_f32_i32_e32 v5, v4
	v_cvt_f32_i32_e32 v4, v9
	v_perm_b32 v9, v15, v136, 0x4030201
	s_delay_alu instid0(VALU_DEP_2) | instskip(NEXT) | instid1(VALU_DEP_2)
	v_pk_fma_f32 v[4:5], v[0:1], v[4:5], 0 op_sel_hi:[1,1,0]
	v_dot4_i32_iu8 v3, v9, v3, v6 neg_lo:[1,1,0]
	s_delay_alu instid0(VALU_DEP_1) | instskip(NEXT) | instid1(VALU_DEP_1)
	v_dot4_i32_iu8 v3, v147, v154, v3 neg_lo:[1,1,0]
	v_mul_lo_u32 v3, v3, v209
	s_delay_alu instid0(VALU_DEP_1) | instskip(NEXT) | instid1(VALU_DEP_1)
	v_cvt_f32_i32_e32 v3, v3
	v_pk_fma_f32 v[2:3], v[148:149], v[2:3], v[4:5]
	v_pk_fma_f32 v[4:5], v[142:143], v[18:19], v[10:11] op_sel_hi:[0,1,1]
	s_delay_alu instid0(VALU_DEP_1) | instskip(NEXT) | instid1(VALU_DEP_1)
	v_pk_mul_f32 v[4:5], v[4:5], v[116:117]
	v_pk_fma_f32 v[2:3], v[2:3], v[26:27], v[4:5] neg_lo:[0,0,1] neg_hi:[0,0,1]
	v_perm_b32 v4, v206, v7, 0x6050403
	s_delay_alu instid0(VALU_DEP_2)
	v_pk_add_f32 v[30:31], v[30:31], v[2:3]
	s_set_vgpr_msb 1                        ;  msbs: dst=0 src0=1 src1=0 src2=0
	v_mul_i32_i24_e32 v2, v24 /*v280*/, v207
	s_set_vgpr_msb 0                        ;  msbs: dst=0 src0=0 src1=0 src2=0
	v_perm_b32 v3, v8, v141, 0x6050403
	s_set_vgpr_msb 1                        ;  msbs: dst=0 src0=1 src1=0 src2=0
	s_delay_alu instid0(VALU_DEP_2) | instskip(NEXT) | instid1(VALU_DEP_1)
	v_dot4_i32_iu8 v2, v25 /*v281*/, v223, v2 neg_lo:[1,1,0]
	v_dot4_i32_iu8 v2, v9 /*v265*/, v224, v2 neg_lo:[1,1,0]
	s_delay_alu instid0(VALU_DEP_1) | instskip(NEXT) | instid1(VALU_DEP_1)
	v_dot4_i32_iu8 v2, v10 /*v266*/, v225, v2 neg_lo:[1,1,0]
	v_dot4_i32_iu8 v2, v11 /*v267*/, v140, v2 neg_lo:[1,1,0]
	s_set_vgpr_msb 0                        ;  msbs: dst=0 src0=0 src1=0 src2=0
	s_delay_alu instid0(VALU_DEP_1) | instskip(SKIP_3) | instid1(VALU_DEP_2)
	v_dot4_i32_iu8 v2, v4, v3, v2 neg_lo:[1,1,0]
	s_set_vgpr_msb 1                        ;  msbs: dst=0 src0=1 src1=0 src2=0
	v_mul_i32_i24_e32 v3, v22 /*v278*/, v211
	s_set_vgpr_msb 4                        ;  msbs: dst=0 src0=0 src1=1 src2=0
	v_mad_i32_i24 v2, v208, v23 /*v279*/, v2
	s_set_vgpr_msb 1                        ;  msbs: dst=0 src0=1 src1=0 src2=0
	s_delay_alu instid0(VALU_DEP_2) | instskip(SKIP_1) | instid1(VALU_DEP_2)
	v_dot4_i32_iu8 v3, v13 /*v269*/, v228, v3 neg_lo:[1,1,0]
	s_set_vgpr_msb 0                        ;  msbs: dst=0 src0=0 src1=0 src2=0
	v_dot4_i32_iu8 v2, v226, v121, v2 neg_lo:[1,1,0]
	s_set_vgpr_msb 1                        ;  msbs: dst=0 src0=1 src1=0 src2=0
	s_delay_alu instid0(VALU_DEP_2) | instskip(SKIP_1) | instid1(VALU_DEP_2)
	v_dot4_i32_iu8 v3, v14 /*v270*/, v229, v3 neg_lo:[1,1,0]
	s_set_vgpr_msb 4                        ;  msbs: dst=0 src0=0 src1=1 src2=0
	v_dot4_i32_iu8 v2, v227, v12 /*v268*/, v2 neg_lo:[1,1,0]
	s_set_vgpr_msb 0                        ;  msbs: dst=0 src0=0 src1=0 src2=0
	s_delay_alu instid0(VALU_DEP_2) | instskip(NEXT) | instid1(VALU_DEP_2)
	v_dot4_i32_iu8 v3, v20, v230, v3 neg_lo:[1,1,0]
	v_dot4_i32_iu8 v2, v153, v234, v2 neg_lo:[1,1,0]
	s_set_vgpr_msb 4                        ;  msbs: dst=0 src0=0 src1=1 src2=0
	s_delay_alu instid0(VALU_DEP_2) | instskip(SKIP_1) | instid1(VALU_DEP_2)
	v_dot4_i32_iu8 v3, v231, v5 /*v261*/, v3 neg_lo:[1,1,0]
	s_set_vgpr_msb 0                        ;  msbs: dst=0 src0=0 src1=0 src2=0
	v_dot4_i32_iu8 v2, v235, v252, v2 neg_lo:[1,1,0]
	s_set_vgpr_msb 4                        ;  msbs: dst=0 src0=0 src1=1 src2=0
	s_delay_alu instid0(VALU_DEP_2) | instskip(SKIP_1) | instid1(VALU_DEP_2)
	v_dot4_i32_iu8 v3, v232, v6 /*v262*/, v3 neg_lo:[1,1,0]
	s_set_vgpr_msb 0                        ;  msbs: dst=0 src0=0 src1=0 src2=0
	v_mul_lo_u32 v2, v2, v210
	s_delay_alu instid0(VALU_DEP_2) | instskip(SKIP_3) | instid1(VALU_DEP_2)
	v_dot4_i32_iu8 v4, v233, v13, v3 neg_lo:[1,1,0]
	s_set_vgpr_msb 16                       ;  msbs: dst=0 src0=0 src1=0 src2=1
	v_dot4_i32_iu8 v3, v152, v234, v16 /*v272*/ neg_lo:[1,1,0]
	s_set_vgpr_msb 0                        ;  msbs: dst=0 src0=0 src1=0 src2=0
	v_dot4_i32_iu8 v4, v125, v132, v4 neg_lo:[1,1,0]
	s_set_vgpr_msb 4                        ;  msbs: dst=0 src0=0 src1=1 src2=0
	s_delay_alu instid0(VALU_DEP_2) | instskip(SKIP_1) | instid1(VALU_DEP_2)
	v_dot4_i32_iu8 v3, v235, v8 /*v264*/, v3 neg_lo:[1,1,0]
	s_set_vgpr_msb 0                        ;  msbs: dst=0 src0=0 src1=0 src2=0
	v_dot4_i32_iu8 v4, v134, v154, v4 neg_lo:[1,1,0]
	s_delay_alu instid0(VALU_DEP_2) | instskip(SKIP_1) | instid1(VALU_DEP_3)
	v_mul_lo_u32 v5, v3, v210
	v_cvt_f32_i32_e32 v3, v2
	v_mul_lo_u32 v4, v4, v145
	s_delay_alu instid0(VALU_DEP_3) | instskip(SKIP_2) | instid1(VALU_DEP_2)
	v_cvt_f32_i32_e32 v2, v5
	s_set_vgpr_msb 16                       ;  msbs: dst=0 src0=0 src1=0 src2=1
	v_dot4_i32_iu8 v5, v124, v132, v15 /*v271*/ neg_lo:[1,1,0]
	v_pk_fma_f32 v[0:1], v[0:1], v[2:3], 0 op_sel_hi:[1,1,0]
	s_set_vgpr_msb 0                        ;  msbs: dst=0 src0=0 src1=0 src2=0
	s_delay_alu instid0(VALU_DEP_2) | instskip(SKIP_1) | instid1(VALU_DEP_2)
	v_dot4_i32_iu8 v5, v134, v251, v5 neg_lo:[1,1,0]
	v_pk_fma_f32 v[2:3], v[130:131], v[150:151], 0 op_sel_hi:[0,1,0]
	v_mul_lo_u32 v6, v5, v145
	v_cvt_f32_i32_e32 v5, v4
	s_delay_alu instid0(VALU_DEP_3) | instskip(NEXT) | instid1(VALU_DEP_1)
	v_pk_fma_f32 v[2:3], v[120:121], v[18:19], v[2:3] op_sel_hi:[0,1,1]
	v_pk_mul_f32 v[2:3], v[2:3], v[118:119]
	s_delay_alu instid0(VALU_DEP_4) | instskip(NEXT) | instid1(VALU_DEP_1)
	v_cvt_f32_i32_e32 v4, v6
	v_pk_fma_f32 v[0:1], v[148:149], v[4:5], v[0:1]
	s_delay_alu instid0(VALU_DEP_1) | instskip(NEXT) | instid1(VALU_DEP_1)
	v_pk_fma_f32 v[0:1], v[0:1], v[110:111], v[2:3] neg_lo:[0,0,1] neg_hi:[0,0,1]
	v_pk_add_f32 v[28:29], v[28:29], v[0:1]
	s_cbranch_scc1 .LBB173_8
; %bb.9:                                ;   in Loop: Header=BB173_5 Depth=1
	s_add_co_i32 s10, s10, 1
	s_delay_alu instid0(SALU_CYCLE_1)
	s_cmp_eq_u32 s10, s15
	s_barrier_signal -1
	s_barrier_wait -1
	s_cbranch_scc0 .LBB173_5
; %bb.10:
	v_dual_mov_b32 v1, v55 :: v_dual_mov_b32 v2, v67
.LBB173_11:
	s_wait_xcnt 0x0
	s_mov_b32 s0, exec_lo
	v_cmpx_gt_u32_e64 s4, v69
	s_cbranch_execz .LBB173_62
; %bb.12:
	v_mul_lo_u32 v5, v69, s6
	v_add_nc_u32_e32 v0, s14, v2
	s_delay_alu instid0(VALU_DEP_1)
	v_cmp_gt_u32_e32 vcc_lo, s6, v0
	s_and_saveexec_b32 s1, vcc_lo
	s_cbranch_execz .LBB173_14
; %bb.13:
	v_bfe_u32 v2, v64, 16, 1
	v_cmp_o_f32_e64 s0, v64, v64
	v_add_nc_u32_e32 v3, v0, v5
	s_delay_alu instid0(VALU_DEP_3) | instskip(NEXT) | instid1(VALU_DEP_1)
	v_add3_u32 v2, v64, v2, 0x7fff
	v_lshrrev_b32_e32 v2, 16, v2
	s_delay_alu instid0(VALU_DEP_1)
	v_cndmask_b32_e64 v2, 0x7fc0, v2, s0
	s_wait_kmcnt 0x0
	global_store_b16 v3, v2, s[8:9] scale_offset
.LBB173_14:
	s_wait_xcnt 0x0
	s_or_b32 exec_lo, exec_lo, s1
	v_add_nc_u32_e32 v2, 32, v0
	s_delay_alu instid0(VALU_DEP_1)
	v_cmp_gt_u32_e64 s0, s6, v2
	s_and_saveexec_b32 s2, s0
	s_cbranch_execz .LBB173_16
; %bb.15:
	v_bfe_u32 v3, v62, 16, 1
	v_cmp_o_f32_e64 s1, v62, v62
	v_add_nc_u32_e32 v4, v2, v5
	s_delay_alu instid0(VALU_DEP_3) | instskip(NEXT) | instid1(VALU_DEP_1)
	v_add3_u32 v3, v62, v3, 0x7fff
	v_lshrrev_b32_e32 v3, 16, v3
	s_delay_alu instid0(VALU_DEP_1)
	v_cndmask_b32_e64 v3, 0x7fc0, v3, s1
	s_wait_kmcnt 0x0
	global_store_b16 v4, v3, s[8:9] scale_offset
.LBB173_16:
	s_wait_xcnt 0x0
	s_or_b32 exec_lo, exec_lo, s2
	v_add_nc_u32_e32 v3, 64, v0
	s_delay_alu instid0(VALU_DEP_1)
	v_cmp_gt_u32_e64 s1, s6, v3
	s_and_saveexec_b32 s3, s1
	;; [unrolled: 19-line block ×3, first 2 shown]
	s_cbranch_execz .LBB173_20
; %bb.19:
	v_bfe_u32 v6, v52, 16, 1
	v_cmp_o_f32_e64 s3, v52, v52
	v_add_nc_u32_e32 v5, v4, v5
	s_delay_alu instid0(VALU_DEP_3) | instskip(NEXT) | instid1(VALU_DEP_1)
	v_add3_u32 v6, v52, v6, 0x7fff
	v_lshrrev_b32_e32 v6, 16, v6
	s_delay_alu instid0(VALU_DEP_1)
	v_cndmask_b32_e64 v6, 0x7fc0, v6, s3
	s_wait_kmcnt 0x0
	global_store_b16 v5, v6, s[8:9] scale_offset
.LBB173_20:
	s_wait_xcnt 0x0
	s_or_b32 exec_lo, exec_lo, s5
	v_add3_u32 v5, v1, s7, 8
	s_delay_alu instid0(VALU_DEP_1)
	v_cmp_gt_u32_e64 s3, s4, v5
	s_and_b32 exec_lo, exec_lo, s3
	s_cbranch_execz .LBB173_62
; %bb.21:
	v_mul_lo_u32 v5, v5, s6
	s_and_saveexec_b32 s5, vcc_lo
	s_cbranch_execnz .LBB173_63
; %bb.22:
	s_or_b32 exec_lo, exec_lo, s5
	s_and_saveexec_b32 s5, s0
	s_cbranch_execnz .LBB173_64
.LBB173_23:
	s_or_b32 exec_lo, exec_lo, s5
	s_and_saveexec_b32 s5, s1
	s_cbranch_execnz .LBB173_65
.LBB173_24:
	s_or_b32 exec_lo, exec_lo, s5
	s_and_saveexec_b32 s5, s2
	s_cbranch_execz .LBB173_26
.LBB173_25:
	v_bfe_u32 v6, v53, 16, 1
	v_cmp_o_f32_e64 s3, v53, v53
	v_add_nc_u32_e32 v5, v5, v4
	s_delay_alu instid0(VALU_DEP_3) | instskip(NEXT) | instid1(VALU_DEP_1)
	v_add3_u32 v6, v53, v6, 0x7fff
	v_lshrrev_b32_e32 v6, 16, v6
	s_delay_alu instid0(VALU_DEP_1)
	v_cndmask_b32_e64 v6, 0x7fc0, v6, s3
	s_wait_kmcnt 0x0
	global_store_b16 v5, v6, s[8:9] scale_offset
.LBB173_26:
	s_wait_xcnt 0x0
	s_or_b32 exec_lo, exec_lo, s5
	v_add3_u32 v5, v1, s7, 16
	s_delay_alu instid0(VALU_DEP_1)
	v_cmp_gt_u32_e64 s3, s4, v5
	s_and_b32 exec_lo, exec_lo, s3
	s_cbranch_execz .LBB173_62
; %bb.27:
	v_mul_lo_u32 v5, v5, s6
	s_and_saveexec_b32 s5, vcc_lo
	s_cbranch_execnz .LBB173_66
; %bb.28:
	s_or_b32 exec_lo, exec_lo, s5
	s_and_saveexec_b32 s5, s0
	s_cbranch_execnz .LBB173_67
.LBB173_29:
	s_or_b32 exec_lo, exec_lo, s5
	s_and_saveexec_b32 s5, s1
	s_cbranch_execnz .LBB173_68
.LBB173_30:
	s_or_b32 exec_lo, exec_lo, s5
	s_and_saveexec_b32 s5, s2
	s_cbranch_execz .LBB173_32
.LBB173_31:
	v_bfe_u32 v6, v44, 16, 1
	v_cmp_o_f32_e64 s3, v44, v44
	v_add_nc_u32_e32 v5, v5, v4
	s_delay_alu instid0(VALU_DEP_3) | instskip(NEXT) | instid1(VALU_DEP_1)
	v_add3_u32 v6, v44, v6, 0x7fff
	v_lshrrev_b32_e32 v6, 16, v6
	s_delay_alu instid0(VALU_DEP_1)
	v_cndmask_b32_e64 v6, 0x7fc0, v6, s3
	s_wait_kmcnt 0x0
	global_store_b16 v5, v6, s[8:9] scale_offset
.LBB173_32:
	s_wait_xcnt 0x0
	s_or_b32 exec_lo, exec_lo, s5
	v_add3_u32 v5, v1, s7, 24
	s_delay_alu instid0(VALU_DEP_1)
	v_cmp_gt_u32_e64 s3, s4, v5
	s_and_b32 exec_lo, exec_lo, s3
	s_cbranch_execz .LBB173_62
; %bb.33:
	v_mul_lo_u32 v5, v5, s6
	s_and_saveexec_b32 s5, vcc_lo
	s_cbranch_execnz .LBB173_69
; %bb.34:
	s_or_b32 exec_lo, exec_lo, s5
	s_and_saveexec_b32 s5, s0
	s_cbranch_execnz .LBB173_70
.LBB173_35:
	s_or_b32 exec_lo, exec_lo, s5
	s_and_saveexec_b32 s5, s1
	s_cbranch_execnz .LBB173_71
.LBB173_36:
	s_or_b32 exec_lo, exec_lo, s5
	s_and_saveexec_b32 s5, s2
	s_cbranch_execz .LBB173_38
.LBB173_37:
	v_bfe_u32 v6, v45, 16, 1
	v_cmp_o_f32_e64 s3, v45, v45
	v_add_nc_u32_e32 v5, v5, v4
	s_delay_alu instid0(VALU_DEP_3) | instskip(NEXT) | instid1(VALU_DEP_1)
	v_add3_u32 v6, v45, v6, 0x7fff
	v_lshrrev_b32_e32 v6, 16, v6
	s_delay_alu instid0(VALU_DEP_1)
	v_cndmask_b32_e64 v6, 0x7fc0, v6, s3
	s_wait_kmcnt 0x0
	global_store_b16 v5, v6, s[8:9] scale_offset
.LBB173_38:
	s_wait_xcnt 0x0
	s_or_b32 exec_lo, exec_lo, s5
	v_add3_u32 v5, v1, s7, 32
	s_delay_alu instid0(VALU_DEP_1)
	v_cmp_gt_u32_e64 s3, s4, v5
	s_and_b32 exec_lo, exec_lo, s3
	s_cbranch_execz .LBB173_62
; %bb.39:
	v_mul_lo_u32 v5, v5, s6
	s_and_saveexec_b32 s5, vcc_lo
	s_cbranch_execnz .LBB173_72
; %bb.40:
	s_or_b32 exec_lo, exec_lo, s5
	s_and_saveexec_b32 s5, s0
	s_cbranch_execnz .LBB173_73
.LBB173_41:
	s_or_b32 exec_lo, exec_lo, s5
	s_and_saveexec_b32 s5, s1
	s_cbranch_execnz .LBB173_74
.LBB173_42:
	s_or_b32 exec_lo, exec_lo, s5
	s_and_saveexec_b32 s5, s2
	s_cbranch_execz .LBB173_44
.LBB173_43:
	v_bfe_u32 v6, v36, 16, 1
	v_cmp_o_f32_e64 s3, v36, v36
	v_add_nc_u32_e32 v5, v5, v4
	s_delay_alu instid0(VALU_DEP_3) | instskip(NEXT) | instid1(VALU_DEP_1)
	v_add3_u32 v6, v36, v6, 0x7fff
	v_lshrrev_b32_e32 v6, 16, v6
	s_delay_alu instid0(VALU_DEP_1)
	v_cndmask_b32_e64 v6, 0x7fc0, v6, s3
	s_wait_kmcnt 0x0
	global_store_b16 v5, v6, s[8:9] scale_offset
.LBB173_44:
	s_wait_xcnt 0x0
	s_or_b32 exec_lo, exec_lo, s5
	v_add3_u32 v5, v1, s7, 40
	s_delay_alu instid0(VALU_DEP_1)
	v_cmp_gt_u32_e64 s3, s4, v5
	s_and_b32 exec_lo, exec_lo, s3
	s_cbranch_execz .LBB173_62
; %bb.45:
	v_mul_lo_u32 v5, v5, s6
	s_and_saveexec_b32 s5, vcc_lo
	s_cbranch_execnz .LBB173_75
; %bb.46:
	s_or_b32 exec_lo, exec_lo, s5
	s_and_saveexec_b32 s5, s0
	s_cbranch_execnz .LBB173_76
.LBB173_47:
	s_or_b32 exec_lo, exec_lo, s5
	s_and_saveexec_b32 s5, s1
	s_cbranch_execnz .LBB173_77
.LBB173_48:
	s_or_b32 exec_lo, exec_lo, s5
	s_and_saveexec_b32 s5, s2
	s_cbranch_execz .LBB173_50
.LBB173_49:
	v_bfe_u32 v6, v37, 16, 1
	v_cmp_o_f32_e64 s3, v37, v37
	v_add_nc_u32_e32 v5, v5, v4
	s_delay_alu instid0(VALU_DEP_3) | instskip(NEXT) | instid1(VALU_DEP_1)
	v_add3_u32 v6, v37, v6, 0x7fff
	v_lshrrev_b32_e32 v6, 16, v6
	s_delay_alu instid0(VALU_DEP_1)
	v_cndmask_b32_e64 v6, 0x7fc0, v6, s3
	s_wait_kmcnt 0x0
	global_store_b16 v5, v6, s[8:9] scale_offset
.LBB173_50:
	s_wait_xcnt 0x0
	s_or_b32 exec_lo, exec_lo, s5
	v_add3_u32 v5, v1, s7, 48
	s_delay_alu instid0(VALU_DEP_1)
	v_cmp_gt_u32_e64 s3, s4, v5
	s_and_b32 exec_lo, exec_lo, s3
	s_cbranch_execz .LBB173_62
; %bb.51:
	v_mul_lo_u32 v5, v5, s6
	s_and_saveexec_b32 s5, vcc_lo
	s_cbranch_execnz .LBB173_78
; %bb.52:
	s_or_b32 exec_lo, exec_lo, s5
	s_and_saveexec_b32 s5, s0
	s_cbranch_execnz .LBB173_79
.LBB173_53:
	s_or_b32 exec_lo, exec_lo, s5
	s_and_saveexec_b32 s5, s1
	s_cbranch_execnz .LBB173_80
.LBB173_54:
	s_or_b32 exec_lo, exec_lo, s5
	s_and_saveexec_b32 s5, s2
	s_cbranch_execz .LBB173_56
.LBB173_55:
	v_bfe_u32 v6, v28, 16, 1
	v_cmp_o_f32_e64 s3, v28, v28
	v_add_nc_u32_e32 v5, v5, v4
	s_delay_alu instid0(VALU_DEP_3) | instskip(NEXT) | instid1(VALU_DEP_1)
	v_add3_u32 v6, v28, v6, 0x7fff
	v_lshrrev_b32_e32 v6, 16, v6
	s_delay_alu instid0(VALU_DEP_1)
	v_cndmask_b32_e64 v6, 0x7fc0, v6, s3
	s_wait_kmcnt 0x0
	global_store_b16 v5, v6, s[8:9] scale_offset
.LBB173_56:
	s_wait_xcnt 0x0
	s_or_b32 exec_lo, exec_lo, s5
	v_add3_u32 v1, v1, s7, 56
	s_delay_alu instid0(VALU_DEP_1)
	v_cmp_gt_u32_e64 s3, s4, v1
	s_and_b32 exec_lo, exec_lo, s3
	s_cbranch_execz .LBB173_62
; %bb.57:
	v_mul_lo_u32 v1, v1, s6
	s_and_saveexec_b32 s3, vcc_lo
	s_cbranch_execnz .LBB173_81
; %bb.58:
	s_or_b32 exec_lo, exec_lo, s3
	s_and_saveexec_b32 s3, s0
	s_cbranch_execnz .LBB173_82
.LBB173_59:
	s_or_b32 exec_lo, exec_lo, s3
	s_and_saveexec_b32 s0, s1
	s_cbranch_execnz .LBB173_83
.LBB173_60:
	s_or_b32 exec_lo, exec_lo, s0
	s_delay_alu instid0(SALU_CYCLE_1)
	s_and_b32 exec_lo, exec_lo, s2
	s_cbranch_execz .LBB173_62
.LBB173_61:
	v_bfe_u32 v0, v29, 16, 1
	v_cmp_o_f32_e32 vcc_lo, v29, v29
	v_add_nc_u32_e32 v1, v1, v4
	s_delay_alu instid0(VALU_DEP_3) | instskip(NEXT) | instid1(VALU_DEP_1)
	v_add3_u32 v0, v29, v0, 0x7fff
	v_lshrrev_b32_e32 v0, 16, v0
	s_delay_alu instid0(VALU_DEP_1)
	v_cndmask_b32_e32 v0, 0x7fc0, v0, vcc_lo
	s_wait_kmcnt 0x0
	global_store_b16 v1, v0, s[8:9] scale_offset
.LBB173_62:
	s_sendmsg sendmsg(MSG_DEALLOC_VGPRS)
	s_endpgm
.LBB173_63:
	v_bfe_u32 v6, v65, 16, 1
	v_cmp_o_f32_e64 s3, v65, v65
	s_delay_alu instid0(VALU_DEP_3) | instskip(NEXT) | instid1(VALU_DEP_3)
	v_add_nc_u32_e32 v7, v5, v0
	v_add3_u32 v6, v65, v6, 0x7fff
	s_delay_alu instid0(VALU_DEP_1) | instskip(NEXT) | instid1(VALU_DEP_1)
	v_lshrrev_b32_e32 v6, 16, v6
	v_cndmask_b32_e64 v6, 0x7fc0, v6, s3
	s_wait_kmcnt 0x0
	global_store_b16 v7, v6, s[8:9] scale_offset
	s_wait_xcnt 0x0
	s_or_b32 exec_lo, exec_lo, s5
	s_and_saveexec_b32 s5, s0
	s_cbranch_execz .LBB173_23
.LBB173_64:
	v_bfe_u32 v6, v63, 16, 1
	v_cmp_o_f32_e64 s3, v63, v63
	s_delay_alu instid0(VALU_DEP_3) | instskip(NEXT) | instid1(VALU_DEP_3)
	v_add_nc_u32_e32 v7, v5, v2
	v_add3_u32 v6, v63, v6, 0x7fff
	s_delay_alu instid0(VALU_DEP_1) | instskip(NEXT) | instid1(VALU_DEP_1)
	v_lshrrev_b32_e32 v6, 16, v6
	v_cndmask_b32_e64 v6, 0x7fc0, v6, s3
	s_wait_kmcnt 0x0
	global_store_b16 v7, v6, s[8:9] scale_offset
	s_wait_xcnt 0x0
	s_or_b32 exec_lo, exec_lo, s5
	s_and_saveexec_b32 s5, s1
	s_cbranch_execz .LBB173_24
.LBB173_65:
	v_bfe_u32 v6, v61, 16, 1
	v_cmp_o_f32_e64 s3, v61, v61
	v_add_nc_u32_e32 v7, v5, v3
	s_delay_alu instid0(VALU_DEP_3) | instskip(NEXT) | instid1(VALU_DEP_1)
	v_add3_u32 v6, v61, v6, 0x7fff
	v_lshrrev_b32_e32 v6, 16, v6
	s_delay_alu instid0(VALU_DEP_1)
	v_cndmask_b32_e64 v6, 0x7fc0, v6, s3
	s_wait_kmcnt 0x0
	global_store_b16 v7, v6, s[8:9] scale_offset
	s_wait_xcnt 0x0
	s_or_b32 exec_lo, exec_lo, s5
	s_and_saveexec_b32 s5, s2
	s_cbranch_execnz .LBB173_25
	s_branch .LBB173_26
.LBB173_66:
	v_bfe_u32 v6, v50, 16, 1
	v_cmp_o_f32_e64 s3, v50, v50
	s_delay_alu instid0(VALU_DEP_3) | instskip(NEXT) | instid1(VALU_DEP_3)
	v_add_nc_u32_e32 v7, v5, v0
	v_add3_u32 v6, v50, v6, 0x7fff
	s_delay_alu instid0(VALU_DEP_1) | instskip(NEXT) | instid1(VALU_DEP_1)
	v_lshrrev_b32_e32 v6, 16, v6
	v_cndmask_b32_e64 v6, 0x7fc0, v6, s3
	s_wait_kmcnt 0x0
	global_store_b16 v7, v6, s[8:9] scale_offset
	s_wait_xcnt 0x0
	s_or_b32 exec_lo, exec_lo, s5
	s_and_saveexec_b32 s5, s0
	s_cbranch_execz .LBB173_29
.LBB173_67:
	v_bfe_u32 v6, v48, 16, 1
	v_cmp_o_f32_e64 s3, v48, v48
	s_delay_alu instid0(VALU_DEP_3) | instskip(NEXT) | instid1(VALU_DEP_3)
	v_add_nc_u32_e32 v7, v5, v2
	v_add3_u32 v6, v48, v6, 0x7fff
	s_delay_alu instid0(VALU_DEP_1) | instskip(NEXT) | instid1(VALU_DEP_1)
	v_lshrrev_b32_e32 v6, 16, v6
	v_cndmask_b32_e64 v6, 0x7fc0, v6, s3
	s_wait_kmcnt 0x0
	global_store_b16 v7, v6, s[8:9] scale_offset
	s_wait_xcnt 0x0
	s_or_b32 exec_lo, exec_lo, s5
	s_and_saveexec_b32 s5, s1
	s_cbranch_execz .LBB173_30
.LBB173_68:
	v_bfe_u32 v6, v46, 16, 1
	v_cmp_o_f32_e64 s3, v46, v46
	v_add_nc_u32_e32 v7, v5, v3
	s_delay_alu instid0(VALU_DEP_3) | instskip(NEXT) | instid1(VALU_DEP_1)
	v_add3_u32 v6, v46, v6, 0x7fff
	v_lshrrev_b32_e32 v6, 16, v6
	s_delay_alu instid0(VALU_DEP_1)
	v_cndmask_b32_e64 v6, 0x7fc0, v6, s3
	s_wait_kmcnt 0x0
	global_store_b16 v7, v6, s[8:9] scale_offset
	s_wait_xcnt 0x0
	s_or_b32 exec_lo, exec_lo, s5
	s_and_saveexec_b32 s5, s2
	s_cbranch_execnz .LBB173_31
	s_branch .LBB173_32
.LBB173_69:
	v_bfe_u32 v6, v51, 16, 1
	v_cmp_o_f32_e64 s3, v51, v51
	s_delay_alu instid0(VALU_DEP_3) | instskip(NEXT) | instid1(VALU_DEP_3)
	v_add_nc_u32_e32 v7, v5, v0
	v_add3_u32 v6, v51, v6, 0x7fff
	s_delay_alu instid0(VALU_DEP_1) | instskip(NEXT) | instid1(VALU_DEP_1)
	v_lshrrev_b32_e32 v6, 16, v6
	v_cndmask_b32_e64 v6, 0x7fc0, v6, s3
	s_wait_kmcnt 0x0
	global_store_b16 v7, v6, s[8:9] scale_offset
	s_wait_xcnt 0x0
	s_or_b32 exec_lo, exec_lo, s5
	s_and_saveexec_b32 s5, s0
	s_cbranch_execz .LBB173_35
.LBB173_70:
	v_bfe_u32 v6, v49, 16, 1
	v_cmp_o_f32_e64 s3, v49, v49
	s_delay_alu instid0(VALU_DEP_3) | instskip(NEXT) | instid1(VALU_DEP_3)
	v_add_nc_u32_e32 v7, v5, v2
	v_add3_u32 v6, v49, v6, 0x7fff
	s_delay_alu instid0(VALU_DEP_1) | instskip(NEXT) | instid1(VALU_DEP_1)
	v_lshrrev_b32_e32 v6, 16, v6
	v_cndmask_b32_e64 v6, 0x7fc0, v6, s3
	s_wait_kmcnt 0x0
	global_store_b16 v7, v6, s[8:9] scale_offset
	s_wait_xcnt 0x0
	s_or_b32 exec_lo, exec_lo, s5
	s_and_saveexec_b32 s5, s1
	s_cbranch_execz .LBB173_36
.LBB173_71:
	v_bfe_u32 v6, v47, 16, 1
	v_cmp_o_f32_e64 s3, v47, v47
	v_add_nc_u32_e32 v7, v5, v3
	s_delay_alu instid0(VALU_DEP_3) | instskip(NEXT) | instid1(VALU_DEP_1)
	v_add3_u32 v6, v47, v6, 0x7fff
	v_lshrrev_b32_e32 v6, 16, v6
	s_delay_alu instid0(VALU_DEP_1)
	v_cndmask_b32_e64 v6, 0x7fc0, v6, s3
	s_wait_kmcnt 0x0
	global_store_b16 v7, v6, s[8:9] scale_offset
	s_wait_xcnt 0x0
	s_or_b32 exec_lo, exec_lo, s5
	s_and_saveexec_b32 s5, s2
	s_cbranch_execnz .LBB173_37
	s_branch .LBB173_38
.LBB173_72:
	v_bfe_u32 v6, v42, 16, 1
	v_cmp_o_f32_e64 s3, v42, v42
	s_delay_alu instid0(VALU_DEP_3) | instskip(NEXT) | instid1(VALU_DEP_3)
	v_add_nc_u32_e32 v7, v5, v0
	v_add3_u32 v6, v42, v6, 0x7fff
	s_delay_alu instid0(VALU_DEP_1) | instskip(NEXT) | instid1(VALU_DEP_1)
	v_lshrrev_b32_e32 v6, 16, v6
	v_cndmask_b32_e64 v6, 0x7fc0, v6, s3
	s_wait_kmcnt 0x0
	global_store_b16 v7, v6, s[8:9] scale_offset
	s_wait_xcnt 0x0
	s_or_b32 exec_lo, exec_lo, s5
	s_and_saveexec_b32 s5, s0
	s_cbranch_execz .LBB173_41
.LBB173_73:
	v_bfe_u32 v6, v40, 16, 1
	v_cmp_o_f32_e64 s3, v40, v40
	s_delay_alu instid0(VALU_DEP_3) | instskip(NEXT) | instid1(VALU_DEP_3)
	v_add_nc_u32_e32 v7, v5, v2
	v_add3_u32 v6, v40, v6, 0x7fff
	s_delay_alu instid0(VALU_DEP_1) | instskip(NEXT) | instid1(VALU_DEP_1)
	v_lshrrev_b32_e32 v6, 16, v6
	v_cndmask_b32_e64 v6, 0x7fc0, v6, s3
	s_wait_kmcnt 0x0
	global_store_b16 v7, v6, s[8:9] scale_offset
	s_wait_xcnt 0x0
	s_or_b32 exec_lo, exec_lo, s5
	s_and_saveexec_b32 s5, s1
	s_cbranch_execz .LBB173_42
.LBB173_74:
	v_bfe_u32 v6, v38, 16, 1
	v_cmp_o_f32_e64 s3, v38, v38
	v_add_nc_u32_e32 v7, v5, v3
	s_delay_alu instid0(VALU_DEP_3) | instskip(NEXT) | instid1(VALU_DEP_1)
	v_add3_u32 v6, v38, v6, 0x7fff
	v_lshrrev_b32_e32 v6, 16, v6
	s_delay_alu instid0(VALU_DEP_1)
	v_cndmask_b32_e64 v6, 0x7fc0, v6, s3
	s_wait_kmcnt 0x0
	global_store_b16 v7, v6, s[8:9] scale_offset
	s_wait_xcnt 0x0
	s_or_b32 exec_lo, exec_lo, s5
	s_and_saveexec_b32 s5, s2
	s_cbranch_execnz .LBB173_43
	s_branch .LBB173_44
.LBB173_75:
	v_bfe_u32 v6, v43, 16, 1
	v_cmp_o_f32_e64 s3, v43, v43
	s_delay_alu instid0(VALU_DEP_3) | instskip(NEXT) | instid1(VALU_DEP_3)
	v_add_nc_u32_e32 v7, v5, v0
	v_add3_u32 v6, v43, v6, 0x7fff
	s_delay_alu instid0(VALU_DEP_1) | instskip(NEXT) | instid1(VALU_DEP_1)
	v_lshrrev_b32_e32 v6, 16, v6
	v_cndmask_b32_e64 v6, 0x7fc0, v6, s3
	s_wait_kmcnt 0x0
	global_store_b16 v7, v6, s[8:9] scale_offset
	s_wait_xcnt 0x0
	s_or_b32 exec_lo, exec_lo, s5
	s_and_saveexec_b32 s5, s0
	s_cbranch_execz .LBB173_47
.LBB173_76:
	v_bfe_u32 v6, v41, 16, 1
	v_cmp_o_f32_e64 s3, v41, v41
	s_delay_alu instid0(VALU_DEP_3) | instskip(NEXT) | instid1(VALU_DEP_3)
	v_add_nc_u32_e32 v7, v5, v2
	v_add3_u32 v6, v41, v6, 0x7fff
	s_delay_alu instid0(VALU_DEP_1) | instskip(NEXT) | instid1(VALU_DEP_1)
	v_lshrrev_b32_e32 v6, 16, v6
	v_cndmask_b32_e64 v6, 0x7fc0, v6, s3
	s_wait_kmcnt 0x0
	global_store_b16 v7, v6, s[8:9] scale_offset
	s_wait_xcnt 0x0
	s_or_b32 exec_lo, exec_lo, s5
	s_and_saveexec_b32 s5, s1
	s_cbranch_execz .LBB173_48
.LBB173_77:
	v_bfe_u32 v6, v39, 16, 1
	v_cmp_o_f32_e64 s3, v39, v39
	v_add_nc_u32_e32 v7, v5, v3
	s_delay_alu instid0(VALU_DEP_3) | instskip(NEXT) | instid1(VALU_DEP_1)
	v_add3_u32 v6, v39, v6, 0x7fff
	v_lshrrev_b32_e32 v6, 16, v6
	s_delay_alu instid0(VALU_DEP_1)
	v_cndmask_b32_e64 v6, 0x7fc0, v6, s3
	s_wait_kmcnt 0x0
	global_store_b16 v7, v6, s[8:9] scale_offset
	s_wait_xcnt 0x0
	s_or_b32 exec_lo, exec_lo, s5
	s_and_saveexec_b32 s5, s2
	s_cbranch_execnz .LBB173_49
	s_branch .LBB173_50
.LBB173_78:
	v_bfe_u32 v6, v34, 16, 1
	v_cmp_o_f32_e64 s3, v34, v34
	s_delay_alu instid0(VALU_DEP_3) | instskip(NEXT) | instid1(VALU_DEP_3)
	v_add_nc_u32_e32 v7, v5, v0
	v_add3_u32 v6, v34, v6, 0x7fff
	s_delay_alu instid0(VALU_DEP_1) | instskip(NEXT) | instid1(VALU_DEP_1)
	v_lshrrev_b32_e32 v6, 16, v6
	v_cndmask_b32_e64 v6, 0x7fc0, v6, s3
	s_wait_kmcnt 0x0
	global_store_b16 v7, v6, s[8:9] scale_offset
	s_wait_xcnt 0x0
	s_or_b32 exec_lo, exec_lo, s5
	s_and_saveexec_b32 s5, s0
	s_cbranch_execz .LBB173_53
.LBB173_79:
	v_bfe_u32 v6, v32, 16, 1
	v_cmp_o_f32_e64 s3, v32, v32
	s_delay_alu instid0(VALU_DEP_3) | instskip(NEXT) | instid1(VALU_DEP_3)
	v_add_nc_u32_e32 v7, v5, v2
	v_add3_u32 v6, v32, v6, 0x7fff
	s_delay_alu instid0(VALU_DEP_1) | instskip(NEXT) | instid1(VALU_DEP_1)
	v_lshrrev_b32_e32 v6, 16, v6
	v_cndmask_b32_e64 v6, 0x7fc0, v6, s3
	s_wait_kmcnt 0x0
	global_store_b16 v7, v6, s[8:9] scale_offset
	s_wait_xcnt 0x0
	s_or_b32 exec_lo, exec_lo, s5
	s_and_saveexec_b32 s5, s1
	s_cbranch_execz .LBB173_54
.LBB173_80:
	v_bfe_u32 v6, v30, 16, 1
	v_cmp_o_f32_e64 s3, v30, v30
	v_add_nc_u32_e32 v7, v5, v3
	s_delay_alu instid0(VALU_DEP_3) | instskip(NEXT) | instid1(VALU_DEP_1)
	v_add3_u32 v6, v30, v6, 0x7fff
	v_lshrrev_b32_e32 v6, 16, v6
	s_delay_alu instid0(VALU_DEP_1)
	v_cndmask_b32_e64 v6, 0x7fc0, v6, s3
	s_wait_kmcnt 0x0
	global_store_b16 v7, v6, s[8:9] scale_offset
	s_wait_xcnt 0x0
	s_or_b32 exec_lo, exec_lo, s5
	s_and_saveexec_b32 s5, s2
	s_cbranch_execnz .LBB173_55
	s_branch .LBB173_56
.LBB173_81:
	v_bfe_u32 v5, v35, 16, 1
	v_cmp_o_f32_e32 vcc_lo, v35, v35
	s_delay_alu instid0(VALU_DEP_3) | instskip(NEXT) | instid1(VALU_DEP_3)
	v_add_nc_u32_e32 v0, v1, v0
	v_add3_u32 v5, v35, v5, 0x7fff
	s_delay_alu instid0(VALU_DEP_1) | instskip(NEXT) | instid1(VALU_DEP_1)
	v_lshrrev_b32_e32 v5, 16, v5
	v_cndmask_b32_e32 v5, 0x7fc0, v5, vcc_lo
	s_wait_kmcnt 0x0
	global_store_b16 v0, v5, s[8:9] scale_offset
	s_wait_xcnt 0x0
	s_or_b32 exec_lo, exec_lo, s3
	s_and_saveexec_b32 s3, s0
	s_cbranch_execz .LBB173_59
.LBB173_82:
	v_bfe_u32 v0, v33, 16, 1
	v_cmp_o_f32_e32 vcc_lo, v33, v33
	s_delay_alu instid0(VALU_DEP_3) | instskip(NEXT) | instid1(VALU_DEP_3)
	v_add_nc_u32_e32 v2, v1, v2
	v_add3_u32 v0, v33, v0, 0x7fff
	s_delay_alu instid0(VALU_DEP_1) | instskip(NEXT) | instid1(VALU_DEP_1)
	v_lshrrev_b32_e32 v0, 16, v0
	v_cndmask_b32_e32 v0, 0x7fc0, v0, vcc_lo
	s_wait_kmcnt 0x0
	global_store_b16 v2, v0, s[8:9] scale_offset
	s_wait_xcnt 0x0
	s_or_b32 exec_lo, exec_lo, s3
	s_and_saveexec_b32 s0, s1
	s_cbranch_execz .LBB173_60
.LBB173_83:
	v_bfe_u32 v0, v31, 16, 1
	v_cmp_o_f32_e32 vcc_lo, v31, v31
	v_add_nc_u32_e32 v2, v1, v3
	s_delay_alu instid0(VALU_DEP_3) | instskip(NEXT) | instid1(VALU_DEP_1)
	v_add3_u32 v0, v31, v0, 0x7fff
	v_lshrrev_b32_e32 v0, 16, v0
	s_delay_alu instid0(VALU_DEP_1) | instskip(SKIP_4) | instid1(SALU_CYCLE_1)
	v_cndmask_b32_e32 v0, 0x7fc0, v0, vcc_lo
	s_wait_kmcnt 0x0
	global_store_b16 v2, v0, s[8:9] scale_offset
	s_wait_xcnt 0x0
	s_or_b32 exec_lo, exec_lo, s0
	s_and_b32 exec_lo, exec_lo, s2
	s_cbranch_execnz .LBB173_61
	s_branch .LBB173_62
	.section	.rodata,"a",@progbits
	.p2align	6, 0x0
	.amdhsa_kernel _ZL12mul_mat_q5_KIN3c108BFloat16ELb0EEvPKvS3_PT_iiiii
		.amdhsa_group_segment_fixed_size 45136
		.amdhsa_private_segment_fixed_size 0
		.amdhsa_kernarg_size 44
		.amdhsa_user_sgpr_count 2
		.amdhsa_user_sgpr_dispatch_ptr 0
		.amdhsa_user_sgpr_queue_ptr 0
		.amdhsa_user_sgpr_kernarg_segment_ptr 1
		.amdhsa_user_sgpr_dispatch_id 0
		.amdhsa_user_sgpr_kernarg_preload_length 0
		.amdhsa_user_sgpr_kernarg_preload_offset 0
		.amdhsa_user_sgpr_private_segment_size 0
		.amdhsa_wavefront_size32 1
		.amdhsa_uses_dynamic_stack 0
		.amdhsa_enable_private_segment 0
		.amdhsa_system_sgpr_workgroup_id_x 1
		.amdhsa_system_sgpr_workgroup_id_y 1
		.amdhsa_system_sgpr_workgroup_id_z 0
		.amdhsa_system_sgpr_workgroup_info 0
		.amdhsa_system_vgpr_workitem_id 1
		.amdhsa_next_free_vgpr 318
		.amdhsa_next_free_sgpr 18
		.amdhsa_named_barrier_count 0
		.amdhsa_reserve_vcc 1
		.amdhsa_float_round_mode_32 0
		.amdhsa_float_round_mode_16_64 0
		.amdhsa_float_denorm_mode_32 3
		.amdhsa_float_denorm_mode_16_64 3
		.amdhsa_fp16_overflow 0
		.amdhsa_memory_ordered 1
		.amdhsa_forward_progress 1
		.amdhsa_inst_pref_size 255
		.amdhsa_round_robin_scheduling 0
		.amdhsa_exception_fp_ieee_invalid_op 0
		.amdhsa_exception_fp_denorm_src 0
		.amdhsa_exception_fp_ieee_div_zero 0
		.amdhsa_exception_fp_ieee_overflow 0
		.amdhsa_exception_fp_ieee_underflow 0
		.amdhsa_exception_fp_ieee_inexact 0
		.amdhsa_exception_int_div_zero 0
	.end_amdhsa_kernel
	.section	.text._ZL12mul_mat_q5_KIN3c108BFloat16ELb0EEvPKvS3_PT_iiiii,"axG",@progbits,_ZL12mul_mat_q5_KIN3c108BFloat16ELb0EEvPKvS3_PT_iiiii,comdat
.Lfunc_end173:
	.size	_ZL12mul_mat_q5_KIN3c108BFloat16ELb0EEvPKvS3_PT_iiiii, .Lfunc_end173-_ZL12mul_mat_q5_KIN3c108BFloat16ELb0EEvPKvS3_PT_iiiii
                                        ; -- End function
	.set _ZL12mul_mat_q5_KIN3c108BFloat16ELb0EEvPKvS3_PT_iiiii.num_vgpr, 318
	.set _ZL12mul_mat_q5_KIN3c108BFloat16ELb0EEvPKvS3_PT_iiiii.num_agpr, 0
	.set _ZL12mul_mat_q5_KIN3c108BFloat16ELb0EEvPKvS3_PT_iiiii.numbered_sgpr, 18
	.set _ZL12mul_mat_q5_KIN3c108BFloat16ELb0EEvPKvS3_PT_iiiii.num_named_barrier, 0
	.set _ZL12mul_mat_q5_KIN3c108BFloat16ELb0EEvPKvS3_PT_iiiii.private_seg_size, 0
	.set _ZL12mul_mat_q5_KIN3c108BFloat16ELb0EEvPKvS3_PT_iiiii.uses_vcc, 1
	.set _ZL12mul_mat_q5_KIN3c108BFloat16ELb0EEvPKvS3_PT_iiiii.uses_flat_scratch, 0
	.set _ZL12mul_mat_q5_KIN3c108BFloat16ELb0EEvPKvS3_PT_iiiii.has_dyn_sized_stack, 0
	.set _ZL12mul_mat_q5_KIN3c108BFloat16ELb0EEvPKvS3_PT_iiiii.has_recursion, 0
	.set _ZL12mul_mat_q5_KIN3c108BFloat16ELb0EEvPKvS3_PT_iiiii.has_indirect_call, 0
	.section	.AMDGPU.csdata,"",@progbits
; Kernel info:
; codeLenInByte = 40240
; TotalNumSgprs: 20
; NumVgprs: 318
; ScratchSize: 0
; MemoryBound: 0
; FloatMode: 240
; IeeeMode: 1
; LDSByteSize: 45136 bytes/workgroup (compile time only)
; SGPRBlocks: 0
; VGPRBlocks: 19
; NumSGPRsForWavesPerEU: 20
; NumVGPRsForWavesPerEU: 318
; NamedBarCnt: 0
; Occupancy: 3
; WaveLimiterHint : 0
; COMPUTE_PGM_RSRC2:SCRATCH_EN: 0
; COMPUTE_PGM_RSRC2:USER_SGPR: 2
; COMPUTE_PGM_RSRC2:TRAP_HANDLER: 0
; COMPUTE_PGM_RSRC2:TGID_X_EN: 1
; COMPUTE_PGM_RSRC2:TGID_Y_EN: 1
; COMPUTE_PGM_RSRC2:TGID_Z_EN: 0
; COMPUTE_PGM_RSRC2:TIDIG_COMP_CNT: 1
	.section	.text._ZL12mul_mat_q5_KIN3c108BFloat16ELb1EEvPKvS3_PT_iiiii,"axG",@progbits,_ZL12mul_mat_q5_KIN3c108BFloat16ELb1EEvPKvS3_PT_iiiii,comdat
	.globl	_ZL12mul_mat_q5_KIN3c108BFloat16ELb1EEvPKvS3_PT_iiiii ; -- Begin function _ZL12mul_mat_q5_KIN3c108BFloat16ELb1EEvPKvS3_PT_iiiii
	.p2align	8
	.type	_ZL12mul_mat_q5_KIN3c108BFloat16ELb1EEvPKvS3_PT_iiiii,@function
_ZL12mul_mat_q5_KIN3c108BFloat16ELb1EEvPKvS3_PT_iiiii: ; @_ZL12mul_mat_q5_KIN3c108BFloat16ELb1EEvPKvS3_PT_iiiii
; %bb.0:
	s_clause 0x1
	s_load_b128 s[4:7], s[0:1], 0x18
	s_load_b32 s14, s[0:1], 0x28
	s_bfe_u32 s2, ttmp6, 0x4000c
	s_bfe_u32 s8, ttmp6, 0x40010
	s_add_co_i32 s2, s2, 1
	s_and_b32 s3, ttmp6, 15
	s_mul_i32 s2, ttmp9, s2
	s_add_co_i32 s8, s8, 1
	s_add_co_i32 s3, s3, s2
	s_mul_i32 s2, ttmp7, s8
	s_bfe_u32 s8, ttmp6, 0x40004
	s_getreg_b32 s9, hwreg(HW_REG_IB_STS2, 6, 4)
	s_add_co_i32 s8, s8, s2
	s_cmp_eq_u32 s9, 0
	v_bfe_u32 v65, v0, 10, 10
	s_cselect_b32 s8, ttmp7, s8
	v_and_b32_e32 v71, 0x3ff, v0
	s_cselect_b32 s2, ttmp9, s3
	s_lshl_b32 s15, s8, 6
	s_mov_b32 s3, 0
	s_wait_kmcnt 0x0
	s_cmp_gt_i32 s4, 0xff
	s_cbranch_scc1 .LBB174_2
; %bb.1:
	v_bfe_u32 v1, v0, 10, 10
	v_and_b32_e32 v2, 0x3ff, v0
	s_delay_alu instid0(VALU_DEP_2)
	v_add_nc_u32_e32 v73, s15, v1
	s_branch .LBB174_3
.LBB174_2:
	s_mov_b32 s3, -1
                                        ; implicit-def: $vgpr1
                                        ; implicit-def: $vgpr2
                                        ; implicit-def: $vgpr73
.LBB174_3:
	s_load_b64 s[12:13], s[0:1], 0x10
	v_dual_mov_b32 v29, 0 :: v_dual_mov_b32 v28, 0
	v_dual_mov_b32 v37, 0 :: v_dual_mov_b32 v36, 0
	v_dual_mov_b32 v49, 0 :: v_dual_mov_b32 v48, 0
	v_dual_mov_b32 v57, 0 :: v_dual_mov_b32 v56, 0
	v_dual_mov_b32 v31, 0 :: v_dual_mov_b32 v30, 0
	v_dual_mov_b32 v39, 0 :: v_dual_mov_b32 v38, 0
	v_dual_mov_b32 v51, 0 :: v_dual_mov_b32 v50, 0
	v_dual_mov_b32 v59, 0 :: v_dual_mov_b32 v58, 0
	v_dual_mov_b32 v33, 0 :: v_dual_mov_b32 v32, 0
	v_dual_mov_b32 v41, 0 :: v_dual_mov_b32 v40, 0
	v_dual_mov_b32 v53, 0 :: v_dual_mov_b32 v52, 0
	v_dual_mov_b32 v61, 0 :: v_dual_mov_b32 v60, 0
	v_dual_mov_b32 v35, 0 :: v_dual_mov_b32 v34, 0
	v_dual_mov_b32 v45, 0 :: v_dual_mov_b32 v44, 0
	v_dual_mov_b32 v55, 0 :: v_dual_mov_b32 v54, 0
	v_dual_mov_b32 v63, 0 :: v_dual_mov_b32 v62, 0
	s_and_not1_b32 vcc_lo, exec_lo, s3
	s_lshl_b32 s16, s2, 7
	s_cbranch_vccnz .LBB174_11
; %bb.4:
	v_dual_mov_b32 v43, 0 :: v_dual_lshlrev_b32 v1, 1, v0
	v_dual_lshlrev_b32 v20, 2, v71 :: v_dual_bitop2_b32 v2, 7, v0 bitop3:0x40
	s_load_b128 s[8:11], s[0:1], 0x0
	s_wait_xcnt 0x0
	s_ashr_i32 s1, s7, 31
	s_not_b32 s2, s16
	s_lshr_b32 s3, s1, 27
	s_add_co_i32 s1, s5, s2
	v_and_or_b32 v1, v1, 48, v2
	v_dual_lshlrev_b32 v75, 5, v65 :: v_dual_min_i32 v22, s1, v65
	v_dual_add_nc_u32 v23, 8, v65 :: v_dual_add_nc_u32 v24, 16, v65
	s_delay_alu instid0(VALU_DEP_3) | instskip(NEXT) | instid1(VALU_DEP_3)
	v_lshlrev_b32_e32 v1, 2, v1
	v_dual_add_nc_u32 v26, 24, v65 :: v_dual_add_nc_u32 v2, v75, v71
	s_delay_alu instid0(VALU_DEP_3)
	v_min_i32_e32 v25, s1, v23
	s_ashr_i32 s0, s4, 31
	v_bfe_u32 v21, v0, 2, 8
	v_dual_add_nc_u32 v28, 32, v65 :: v_dual_min_i32 v27, s1, v24
	v_and_b32_e32 v2, 0x7f, v2
	v_dual_add_nc_u32 v73, s15, v65 :: v_dual_min_i32 v29, s1, v26
	s_lshr_b32 s0, s0, 24
	s_delay_alu instid0(VALU_DEP_3) | instskip(NEXT) | instid1(VALU_DEP_3)
	v_min_i32_e32 v31, s1, v28
	v_dual_add_nc_u32 v32, 40, v65 :: v_dual_min_i32 v30, s1, v2
	s_add_co_i32 s0, s4, s0
	s_add_co_i32 s4, s6, -1
	s_delay_alu instid0(VALU_DEP_1) | instskip(SKIP_4) | instid1(VALU_DEP_4)
	v_dual_ashrrev_i32 v8, 31, v30 :: v_dual_bitop2_b32 v77, 6, v21 bitop3:0x40
	v_add_nc_u32_e32 v6, 8, v73
	v_cvt_f64_i32_e32 v[2:3], s4
	v_cvt_f64_u32_e32 v[4:5], v73
	v_dual_add_nc_u32 v9, 16, v73 :: v_dual_add_nc_u32 v10, 24, v73
	v_cvt_f64_u32_e32 v[6:7], v6
	v_dual_lshrrev_b32 v18, 27, v8 :: v_dual_add_nc_u32 v12, 32, v73
	v_dual_add_nc_u32 v14, 40, v73 :: v_dual_add_nc_u32 v16, 48, v73
	v_dual_add_nc_u32 v19, 56, v73 :: v_dual_min_i32 v33, s1, v32
	v_cvt_f64_u32_e32 v[8:9], v9
	v_cvt_f64_u32_e32 v[10:11], v10
	;; [unrolled: 1-line block ×5, first 2 shown]
	v_dual_add_nc_u32 v34, v30, v18 :: v_dual_add_nc_u32 v35, 48, v65
	v_cvt_f64_u32_e32 v[18:19], v19
	v_lshl_add_u32 v21, v65, 3, v21
	v_lshlrev_b32_e32 v40, 2, v30
	s_delay_alu instid0(VALU_DEP_4) | instskip(SKIP_1) | instid1(VALU_DEP_4)
	v_dual_ashrrev_i32 v34, 5, v34 :: v_dual_min_i32 v37, s1, v35
	v_and_b32_e32 v39, 3, v0
	v_and_b32_e32 v36, 0x7f, v21
	v_bitop3_b32 v38, v21, 64, 0x7f bitop3:0x6c
	s_delay_alu instid0(VALU_DEP_4) | instskip(SKIP_1) | instid1(VALU_DEP_4)
	v_dual_lshlrev_b32 v34, 2, v34 :: v_dual_add_nc_u32 v44, 56, v65
	v_and_b32_e32 v21, 63, v21
	v_min_i32_e32 v36, s1, v36
	s_delay_alu instid0(VALU_DEP_4) | instskip(NEXT) | instid1(VALU_DEP_4)
	v_min_i32_e32 v38, s1, v38
	v_add3_u32 v91, v34, v40, 0xae40
	v_cmp_gt_u32_e32 vcc_lo, 2, v39
	s_delay_alu instid0(VALU_DEP_4) | instskip(NEXT) | instid1(VALU_DEP_4)
	v_dual_min_num_f64 v[4:5], v[4:5], v[2:3] :: v_dual_ashrrev_i32 v45, 31, v36
	v_ashrrev_i32_e32 v48, 31, v38
	s_ashr_i32 s17, s0, 8
	s_add_co_i32 s0, s7, s3
	v_mad_u32 v79, 0x104, v22, v1
	v_dual_min_num_f64 v[6:7], v[6:7], v[2:3] :: v_dual_lshrrev_b32 v34, 29, v45
	v_lshrrev_b32_e32 v40, 29, v48
	v_dual_min_num_f64 v[8:9], v[8:9], v[2:3] :: v_dual_bitop2_b32 v45, 4, v20 bitop3:0x40
	v_min_num_f64_e32 v[10:11], v[10:11], v[2:3]
	s_delay_alu instid0(VALU_DEP_3)
	v_dual_min_num_f64 v[12:13], v[12:13], v[2:3] :: v_dual_add_nc_u32 v40, v38, v40
	v_min_num_f64_e32 v[14:15], v[14:15], v[2:3]
	v_min_num_f64_e32 v[16:17], v[16:17], v[2:3]
	v_add_nc_u32_e32 v41, 0xfe, v39
	v_dual_min_num_f64 v[2:3], v[18:19], v[2:3] :: v_dual_bitop2_b32 v18, s15, v21 bitop3:0x54
	s_ashr_i32 s0, s0, 5
	v_mad_u32 v81, 0x104, v25, v1
	s_delay_alu instid0(VALU_DEP_3)
	v_and_b32_e32 v41, 0xff, v41
	v_add_nc_u32_e32 v34, v36, v34
	v_mad_u32 v83, 0x104, v27, v1
	v_mad_u32 v85, 0x104, v29, v1
	;; [unrolled: 1-line block ×4, first 2 shown]
	v_dual_ashrrev_i32 v19, 3, v34 :: v_dual_ashrrev_i32 v34, 3, v40
	v_dual_cndmask_b32 v40, v41, v39 :: v_dual_lshlrev_b32 v41, 2, v39
	s_delay_alu instid0(VALU_DEP_2) | instskip(SKIP_1) | instid1(VALU_DEP_4)
	v_dual_lshlrev_b32 v19, 2, v19 :: v_dual_min_i32 v18, s4, v18
	v_cvt_i32_f64_e32 v4, v[4:5]
	v_lshlrev_b32_e32 v34, 2, v34
	s_delay_alu instid0(VALU_DEP_4) | instskip(NEXT) | instid1(VALU_DEP_4)
	v_lshl_or_b32 v21, v21, 4, v41
	v_mad_u32 v93, v18, s0, v39
	v_min_i32_e32 v18, s1, v44
	v_add3_u32 v19, v19, v41, 0xa200
	v_cvt_i32_f64_e32 v6, v[6:7]
	v_add3_u32 v34, v34, v41, 0xa200
	v_and_b32_e32 v41, 31, v0
	v_cvt_i32_f64_e32 v8, v[8:9]
	v_cvt_i32_f64_e32 v10, v[10:11]
	;; [unrolled: 1-line block ×3, first 2 shown]
	v_dual_lshlrev_b32 v5, 4, v36 :: v_dual_lshlrev_b32 v7, 4, v38
	v_cvt_i32_f64_e32 v14, v[14:15]
	v_cvt_i32_f64_e32 v16, v[16:17]
	;; [unrolled: 1-line block ×3, first 2 shown]
	v_lshl_or_b32 v41, v41, 2, 0x8200
	v_dual_lshlrev_b32 v9, 7, v65 :: v_dual_lshlrev_b32 v11, 7, v23
	v_dual_lshlrev_b32 v13, 7, v24 :: v_dual_lshlrev_b32 v15, 7, v26
	v_dual_lshlrev_b32 v17, 7, v28 :: v_dual_add_nc_u32 v95, v19, v5
	v_dual_lshlrev_b32 v3, 7, v32 :: v_dual_lshlrev_b32 v5, 7, v35
	v_dual_add_nc_u32 v97, v34, v7 :: v_dual_lshlrev_b32 v7, 7, v44
	v_dual_add_nc_u32 v99, v41, v9 :: v_dual_add_nc_u32 v101, v41, v11
	v_dual_add_nc_u32 v103, v41, v13 :: v_dual_add_nc_u32 v105, v41, v15
	s_delay_alu instid0(VALU_DEP_4) | instskip(NEXT) | instid1(VALU_DEP_4)
	v_dual_add_nc_u32 v107, v41, v17 :: v_dual_add_nc_u32 v127, v41, v3
	v_dual_add_nc_u32 v129, v41, v5 :: v_dual_add_nc_u32 v131, v41, v7
	v_add_min_i32_e64 v3, v65, 64, s1
	v_add_min_i32_e64 v5, 0x48, v65, s1
	;; [unrolled: 1-line block ×8, first 2 shown]
	v_mad_u32 v139, 0x104, v37, v1
	v_mad_u32 v143, 0x104, v18, v1
	;; [unrolled: 1-line block ×10, first 2 shown]
	v_mul_lo_u32 v168, s0, v4
	v_mul_lo_u32 v169, s0, v6
	v_dual_add_nc_u32 v1, 32, v71 :: v_dual_add_nc_u32 v4, 64, v71
	v_dual_mov_b32 v67, v43 :: v_dual_add_nc_u32 v6, 0x60, v71
	v_bfe_u32 v64, v0, 5, 5
	v_cmp_lt_u32_e32 vcc_lo, 1, v39
	v_mul_lo_u32 v170, s0, v8
	v_mul_lo_u32 v171, s0, v10
	;; [unrolled: 1-line block ×5, first 2 shown]
	v_dual_lshrrev_b32 v175, 3, v1 :: v_dual_lshrrev_b32 v8, 3, v4
	v_lshrrev_b32_e32 v10, 3, v6
	v_mul_lo_u32 v176, s0, v2
	v_lshlrev_b32_e32 v2, 2, v64
	v_cmp_ne_u32_e64 s0, 0, v39
	v_dual_mov_b32 v47, v43 :: v_dual_bitop2_b32 v46, 28, v20 bitop3:0x40
	v_mul_lo_u32 v70, v22, s17
	v_mul_lo_u32 v72, v25, s17
	;; [unrolled: 1-line block ×19, first 2 shown]
	v_dual_lshlrev_b32 v183, 5, v24 :: v_dual_bitop2_b32 v12, 60, v175 bitop3:0x40
	v_dual_lshlrev_b32 v182, 5, v23 :: v_dual_bitop2_b32 v14, 60, v8 bitop3:0x40
	;; [unrolled: 1-line block ×3, first 2 shown]
	v_bfe_u32 v177, v0, 3, 7
	v_add3_u32 v178, v2, v20, 0xae40
	v_add_co_ci_u32_e64 v0, null, 0, v40, s0
	v_cndmask_b32_e64 v2, 0, 1, vcc_lo
	s_mul_i32 s2, s17, s16
	v_dual_cndmask_b32 v166, 0, v45, vcc_lo :: v_dual_lshlrev_b32 v184, 5, v26
	v_dual_lshlrev_b32 v186, 5, v32 :: v_dual_lshlrev_b32 v187, 5, v35
	v_lshlrev_b32_e32 v188, 5, v44
	s_movk_i32 s1, 0x2080
	s_movk_i32 s4, 0x4100
	v_dual_lshlrev_b32 v191, 4, v6 :: v_dual_lshlrev_b32 v192, 1, v40
	s_movk_i32 s0, 0x6180
	s_wait_kmcnt 0x0
	v_add_nc_u64_e32 v[108:109], s[10:11], v[46:47]
	v_mov_b64_e32 v[62:63], 0
	v_mov_b64_e32 v[54:55], 0
	;; [unrolled: 1-line block ×16, first 2 shown]
	s_ashr_i32 s3, s2, 31
	v_and_b32_e32 v42, 0x7c, v20
	v_add_nc_u32_e32 v167, 0xaa40, v21
	v_add3_u32 v179, v20, v12, 0xae40
	v_add3_u32 v180, v20, v14, 0xae40
	;; [unrolled: 1-line block ×3, first 2 shown]
	v_dual_lshlrev_b32 v189, 4, v1 :: v_dual_lshlrev_b32 v190, 4, v4
	v_dual_lshlrev_b32 v66, 2, v0 :: v_dual_lshlrev_b32 v68, 2, v2
	v_dual_mov_b32 v69, v43 :: v_dual_lshlrev_b32 v193, 2, v20
	v_dual_lshlrev_b32 v194, 2, v8 :: v_dual_lshlrev_b32 v195, 2, v10
	v_dual_lshlrev_b32 v202, 2, v175 :: v_dual_bitop2_b32 v196, 1, v77 bitop3:0x54
	v_mul_u32_u24_e32 v197, 0x104, v71
	v_mad_u32_u24 v198, 0x104, v71, s1
	v_mad_u32_u24 v199, 0x104, v71, s4
	;; [unrolled: 1-line block ×3, first 2 shown]
	v_lshlrev_b32_e32 v201, 2, v177
	s_mul_u64 s[2:3], s[2:3], 0xb0
	s_mov_b32 s1, 0
	s_add_nc_u64 s[2:3], s[8:9], s[2:3]
	s_mov_b32 s0, s1
.LBB174_5:                              ; =>This Loop Header: Depth=1
                                        ;     Child Loop BB174_6 Depth 2
                                        ;     Child Loop BB174_8 Depth 2
	s_delay_alu instid0(SALU_CYCLE_1) | instskip(SKIP_2) | instid1(SALU_CYCLE_1)
	s_mul_u64 s[4:5], s[0:1], 0xb0
	s_mov_b32 s8, 0
	s_add_nc_u64 s[4:5], s[2:3], s[4:5]
	v_mad_nc_u64_u32 v[0:1], 0xb0, v64, s[4:5]
	v_mad_nc_i64_i32 v[2:3], 0xb0, v104, s[4:5]
	v_mad_nc_i64_i32 v[4:5], 0xb0, v106, s[4:5]
	s_delay_alu instid0(VALU_DEP_3) | instskip(SKIP_1) | instid1(VALU_DEP_4)
	v_mad_nc_i64_i32 v[6:7], 0xb0, v70, v[0:1]
	v_mad_nc_i64_i32 v[8:9], 0xb0, v72, v[0:1]
	v_add_nc_u64_e32 v[24:25], v[2:3], v[66:67]
	v_add_nc_u64_e32 v[2:3], v[2:3], v[68:69]
	;; [unrolled: 1-line block ×4, first 2 shown]
	v_mad_nc_i64_i32 v[10:11], 0xb0, v74, v[0:1]
	v_mad_nc_i64_i32 v[12:13], 0xb0, v76, v[0:1]
	s_clause 0x3
	global_load_b32 v118, v[24:25], off offset:4
	global_load_b32 v119, v[26:27], off offset:4
	;; [unrolled: 1-line block ×4, first 2 shown]
	s_wait_xcnt 0x1
	v_add_nc_u64_e32 v[2:3], v[6:7], v[42:43]
	v_add_nc_u64_e32 v[6:7], v[6:7], v[46:47]
	;; [unrolled: 1-line block ×4, first 2 shown]
	v_mad_nc_i64_i32 v[14:15], 0xb0, v78, v[0:1]
	v_mad_nc_i64_i32 v[16:17], 0xb0, v80, v[0:1]
	;; [unrolled: 1-line block ×3, first 2 shown]
	s_clause 0x3
	global_load_b32 v122, v[2:3], off offset:48
	global_load_b32 v123, v[6:7], off offset:16
	;; [unrolled: 1-line block ×4, first 2 shown]
	v_add_nc_u64_e32 v[2:3], v[10:11], v[42:43]
	v_add_nc_u64_e32 v[6:7], v[10:11], v[46:47]
	s_wait_xcnt 0x0
	v_add_nc_u64_e32 v[8:9], v[12:13], v[46:47]
	v_add_nc_u64_e32 v[10:11], v[12:13], v[42:43]
	v_mad_nc_i64_i32 v[20:21], 0xb0, v84, v[0:1]
	v_mad_nc_i64_i32 v[22:23], 0xb0, v86, v[0:1]
	;; [unrolled: 1-line block ×3, first 2 shown]
	s_clause 0x2
	global_load_b32 v124, v[2:3], off offset:48
	global_load_b32 v125, v[6:7], off offset:16
	;; [unrolled: 1-line block ×3, first 2 shown]
	s_wait_xcnt 0x2
	v_add_nc_u64_e32 v[2:3], v[14:15], v[42:43]
	s_wait_xcnt 0x1
	v_add_nc_u64_e32 v[6:7], v[14:15], v[46:47]
	global_load_b32 v126, v[10:11], off offset:48
	s_wait_xcnt 0x1
	v_add_nc_u64_e32 v[8:9], v[16:17], v[46:47]
	v_mad_nc_i64_i32 v[112:113], 0xb0, v90, v[0:1]
	v_mad_nc_i64_i32 v[114:115], 0xb0, v92, v[0:1]
	;; [unrolled: 1-line block ×3, first 2 shown]
	s_clause 0x1
	global_load_b32 v130, v[2:3], off offset:48
	global_load_b32 v132, v[6:7], off offset:16
	s_wait_xcnt 0x2
	v_add_nc_u64_e32 v[10:11], v[16:17], v[42:43]
	s_wait_xcnt 0x1
	v_add_nc_u64_e32 v[2:3], v[18:19], v[42:43]
	;; [unrolled: 2-line block ×3, first 2 shown]
	global_load_b32 v19, v[8:9], off offset:16
	s_wait_xcnt 0x0
	v_add_nc_u64_e32 v[8:9], v[20:21], v[46:47]
	v_mad_nc_i64_i32 v[4:5], 0xb0, v96, v[0:1]
	v_mad_nc_i64_i32 v[26:27], 0xb0, v98, v[0:1]
	global_load_b32 v18, v[10:11], off offset:48
	s_wait_xcnt 0x0
	v_add_nc_u64_e32 v[10:11], v[20:21], v[42:43]
	s_clause 0x1
	global_load_b32 v20, v[2:3], off offset:48
	global_load_b32 v21, v[6:7], off offset:16
	s_wait_xcnt 0x1
	v_add_nc_u64_e32 v[2:3], v[22:23], v[42:43]
	s_wait_xcnt 0x0
	v_add_nc_u64_e32 v[6:7], v[22:23], v[46:47]
	global_load_b32 v23, v[8:9], off offset:16
	s_wait_xcnt 0x0
	v_add_nc_u64_e32 v[8:9], v[110:111], v[46:47]
	global_load_b32 v22, v[10:11], off offset:48
	s_wait_xcnt 0x0
	v_add_nc_u64_e32 v[10:11], v[110:111], v[42:43]
	v_mad_nc_i64_i32 v[0:1], 0xb0, v100, v[0:1]
	s_clause 0x1
	global_load_b32 v110, v[2:3], off offset:48
	global_load_b32 v111, v[6:7], off offset:16
	s_wait_xcnt 0x1
	v_add_nc_u64_e32 v[2:3], v[112:113], v[42:43]
	s_wait_xcnt 0x0
	v_add_nc_u64_e32 v[6:7], v[112:113], v[46:47]
	s_clause 0x1
	global_load_b32 v113, v[8:9], off offset:16
	global_load_b32 v112, v[10:11], off offset:48
	s_wait_xcnt 0x0
	v_add_nc_u64_e32 v[10:11], v[114:115], v[42:43]
	v_add_nc_u64_e32 v[8:9], v[114:115], v[46:47]
	s_clause 0x1
	global_load_b32 v114, v[2:3], off offset:48
	global_load_b32 v115, v[6:7], off offset:16
	s_wait_xcnt 0x1
	v_add_nc_u64_e32 v[2:3], v[24:25], v[42:43]
	s_wait_xcnt 0x0
	v_add_nc_u64_e32 v[6:7], v[24:25], v[46:47]
	s_clause 0x3
	global_load_b32 v24, v[10:11], off offset:48
	global_load_b32 v25, v[8:9], off offset:16
	;; [unrolled: 1-line block ×4, first 2 shown]
	s_wait_xcnt 0x3
	v_add_nc_u64_e32 v[10:11], v[4:5], v[42:43]
	v_add_nc_u64_e32 v[4:5], v[4:5], v[46:47]
	s_wait_xcnt 0x1
	v_add_nc_u64_e32 v[2:3], v[26:27], v[42:43]
	s_wait_xcnt 0x0
	v_add_nc_u64_e32 v[6:7], v[26:27], v[46:47]
	s_clause 0x1
	global_load_b32 v26, v[10:11], off offset:48
	global_load_b32 v27, v[4:5], off offset:16
	v_add_nc_u64_e32 v[8:9], v[0:1], v[42:43]
	v_add_nc_u64_e32 v[0:1], v[0:1], v[46:47]
	s_clause 0x3
	global_load_b32 v135, v[2:3], off offset:48
	global_load_b32 v136, v[6:7], off offset:16
	;; [unrolled: 1-line block ×4, first 2 shown]
	s_wait_xcnt 0x0
	v_mad_nc_i64_i32 v[0:1], 0xb0, v102, s[4:5]
	s_lshl_b32 s4, s0, 3
	s_mov_b32 s5, -1
	v_add_nc_u32_e32 v2, s4, v177
	s_delay_alu instid0(VALU_DEP_1)
	v_dual_add_nc_u32 v137, s4, v93 :: v_dual_add_nc_u32 v8, v2, v168
	v_dual_add_nc_u32 v3, v2, v171 :: v_dual_add_nc_u32 v12, v2, v172
	global_load_b32 v141, v[0:1], off
	s_wait_xcnt 0x0
	v_dual_add_nc_u32 v0, v2, v169 :: v_dual_add_nc_u32 v10, v2, v170
	v_dual_add_nc_u32 v4, v2, v173 :: v_dual_add_nc_u32 v6, v2, v176
	v_add_nc_u32_e32 v14, v2, v174
	s_delay_alu instid0(VALU_DEP_3) | instskip(SKIP_1) | instid1(VALU_DEP_4)
	v_mad_nc_i64_i32 v[0:1], v0, 36, v[108:109]
	v_mad_nc_i64_i32 v[2:3], v3, 36, v[108:109]
	;; [unrolled: 1-line block ×8, first 2 shown]
	v_mad_nc_u64_u32 v[16:17], v137, 36, s[10:11]
	s_clause 0x8
	global_load_b32 v142, v[0:1], off offset:4
	global_load_b32 v144, v[2:3], off offset:4
	;; [unrolled: 1-line block ×8, first 2 shown]
	global_load_b32 v151, v[16:17], off
	s_wait_loadcnt 0x2c
	s_wait_xcnt 0x8
	v_dual_ashrrev_i32 v0, v166, v118 :: v_dual_ashrrev_i32 v1, v166, v119
	s_wait_loadcnt 0x2a
	s_wait_xcnt 0x7
	v_dual_ashrrev_i32 v3, v192, v121 :: v_dual_ashrrev_i32 v2, v192, v120
	s_delay_alu instid0(VALU_DEP_2) | instskip(SKIP_1) | instid1(VALU_DEP_2)
	v_and_b32_e32 v0, 0xf0f0f0f, v0
	v_and_b32_e32 v1, 0xf0f0f0f, v1
	v_and_or_b32 v0, 0x30303030, v2, v0
	s_delay_alu instid0(VALU_DEP_2)
	v_and_or_b32 v1, 0x30303030, v3, v1
	s_wait_loadcnt 0x28
	s_wait_xcnt 0x6
	v_dual_lshrrev_b32 v3, 4, v122 :: v_dual_ashrrev_i32 v4, v77, v123
	s_wait_loadcnt 0x27
	s_wait_xcnt 0x5
	v_dual_ashrrev_i32 v5, v196, v123 :: v_dual_lshrrev_b32 v7, 4, v116
	s_wait_loadcnt 0x26
	s_wait_xcnt 0x4
	v_dual_ashrrev_i32 v8, v77, v117 :: v_dual_ashrrev_i32 v9, v196, v117
	v_and_b32_e32 v2, 0xf0f0f0f, v122
	v_and_b32_e32 v6, 0xf0f0f0f, v116
	;; [unrolled: 1-line block ×3, first 2 shown]
	s_wait_loadcnt 0x24
	s_wait_xcnt 0x2
	v_dual_lshrrev_b32 v11, 4, v124 :: v_dual_ashrrev_i32 v12, v77, v125
	s_wait_loadcnt 0x23
	s_wait_xcnt 0x0
	v_dual_ashrrev_i32 v13, v196, v125 :: v_dual_ashrrev_i32 v16, v77, v128
	s_wait_loadcnt 0x22
	v_dual_ashrrev_i32 v17, v196, v128 :: v_dual_lshrrev_b32 v15, 4, v126
	v_and_b32_e32 v10, 0xf0f0f0f, v124
	v_and_b32_e32 v14, 0xf0f0f0f, v126
	v_dual_lshlrev_b32 v4, 4, v4 :: v_dual_lshlrev_b32 v5, 4, v5
	s_wait_loadcnt 0x20
	v_dual_lshrrev_b32 v117, 4, v130 :: v_dual_ashrrev_i32 v118, v77, v132
	v_ashrrev_i32_e32 v119, v196, v132
	v_and_b32_e32 v116, 0xf0f0f0f, v130
	v_and_b32_e32 v7, 0xf0f0f0f, v7
	s_wait_loadcnt 0x1f
	v_dual_ashrrev_i32 v121, v77, v19 :: v_dual_ashrrev_i32 v19, v196, v19
	v_dual_lshlrev_b32 v8, 4, v8 :: v_dual_lshlrev_b32 v9, 4, v9
	s_wait_loadcnt 0x1e
	v_and_b32_e32 v120, 0xf0f0f0f, v18
	v_lshrrev_b32_e32 v18, 4, v18
	s_wait_loadcnt 0x1d
	v_and_b32_e32 v122, 0xf0f0f0f, v20
	s_wait_loadcnt 0x1c
	v_dual_lshrrev_b32 v20, 4, v20 :: v_dual_ashrrev_i32 v123, v77, v21
	s_wait_loadcnt 0x1b
	v_dual_ashrrev_i32 v21, v196, v21 :: v_dual_ashrrev_i32 v125, v77, v23
	v_ashrrev_i32_e32 v23, v196, v23
	s_wait_loadcnt 0x1a
	v_and_b32_e32 v124, 0xf0f0f0f, v22
	v_lshrrev_b32_e32 v22, 4, v22
	v_and_b32_e32 v11, 0xf0f0f0f, v11
	s_wait_loadcnt 0x19
	v_and_b32_e32 v126, 0xf0f0f0f, v110
	s_wait_loadcnt 0x18
	v_dual_lshrrev_b32 v110, 4, v110 :: v_dual_ashrrev_i32 v128, v77, v111
	s_wait_loadcnt 0x17
	v_dual_ashrrev_i32 v111, v196, v111 :: v_dual_ashrrev_i32 v132, v77, v113
	v_ashrrev_i32_e32 v113, v196, v113
	s_wait_loadcnt 0x16
	v_and_b32_e32 v130, 0xf0f0f0f, v112
	v_lshrrev_b32_e32 v112, 4, v112
	v_dual_lshlrev_b32 v12, 4, v12 :: v_dual_lshlrev_b32 v13, 4, v13
	s_wait_loadcnt 0x15
	v_and_b32_e32 v152, 0xf0f0f0f, v114
	s_wait_loadcnt 0x14
	v_dual_lshrrev_b32 v114, 4, v114 :: v_dual_ashrrev_i32 v153, v77, v115
	v_ashrrev_i32_e32 v115, v196, v115
	s_wait_loadcnt 0x13
	v_and_b32_e32 v154, 0xf0f0f0f, v24
	s_wait_loadcnt 0x12
	v_dual_lshrrev_b32 v24, 4, v24 :: v_dual_ashrrev_i32 v155, v77, v25
	v_ashrrev_i32_e32 v25, v196, v25
	;; [unrolled: 5-line block ×3, first 2 shown]
	v_and_b32_e32 v15, 0xf0f0f0f, v15
	v_dual_lshlrev_b32 v16, 4, v16 :: v_dual_lshlrev_b32 v17, 4, v17
	v_and_b32_e32 v117, 0xf0f0f0f, v117
	v_dual_lshlrev_b32 v118, 4, v118 :: v_dual_lshlrev_b32 v119, 4, v119
	s_wait_loadcnt 0xf
	v_and_b32_e32 v203, 0xf0f0f0f, v26
	s_wait_loadcnt 0xe
	v_dual_lshrrev_b32 v26, 4, v26 :: v_dual_ashrrev_i32 v204, v77, v27
	v_ashrrev_i32_e32 v27, v196, v27
	s_wait_loadcnt 0xd
	v_and_b32_e32 v205, 0xf0f0f0f, v135
	s_wait_loadcnt 0xc
	v_dual_lshrrev_b32 v135, 4, v135 :: v_dual_ashrrev_i32 v206, v77, v136
	v_ashrrev_i32_e32 v136, v196, v136
	;; [unrolled: 5-line block ×3, first 2 shown]
	v_and_b32_e32 v18, 0xf0f0f0f, v18
	v_dual_lshlrev_b32 v121, 4, v121 :: v_dual_lshlrev_b32 v19, 4, v19
	v_and_b32_e32 v20, 0xf0f0f0f, v20
	v_dual_lshlrev_b32 v123, 4, v123 :: v_dual_lshlrev_b32 v21, 4, v21
	;; [unrolled: 2-line block ×10, first 2 shown]
	v_and_b32_e32 v138, 0xf0f0f0f, v138
	v_lshlrev_b32_e32 v208, 4, v208
	v_lshlrev_b32_e32 v140, 4, v140
	v_and_or_b32 v2, 0x10101010, v4, v2
	v_and_or_b32 v3, 0x10101010, v5, v3
	;; [unrolled: 1-line block ×32, first 2 shown]
	ds_store_2addr_b32 v79, v2, v3 offset1:8
	ds_store_2addr_b32 v81, v4, v5 offset1:8
	;; [unrolled: 1-line block ×16, first 2 shown]
	s_wait_loadcnt 0x9
	ds_store_b32 v91, v141
	ds_store_b32 v95, v0
	;; [unrolled: 1-line block ×3, first 2 shown]
	s_wait_loadcnt 0x8
	ds_store_b32 v101, v142
	s_wait_loadcnt 0x7
	ds_store_b32 v105, v144
	;; [unrolled: 2-line block ×9, first 2 shown]
	s_wait_dscnt 0x0
	s_barrier_signal -1
	s_barrier_wait -1
	ds_load_b32 v0, v178
	ds_load_b32 v1, v179 offset:128
	ds_load_b32 v2, v180 offset:256
	;; [unrolled: 1-line block ×3, first 2 shown]
	s_wait_dscnt 0x3
	v_cvt_f32_f16_e32 v110, v0
	v_lshrrev_b32_e32 v0, 16, v0
	s_wait_dscnt 0x2
	v_cvt_f32_f16_e32 v112, v1
	v_lshrrev_b32_e32 v1, 16, v1
	s_wait_dscnt 0x1
	v_cvt_f32_f16_e32 v114, v2
	s_wait_dscnt 0x0
	v_dual_lshrrev_b32 v2, 16, v2 :: v_dual_lshrrev_b32 v4, 16, v3
	v_cvt_f32_f16_e32 v116, v3
	v_cvt_f32_f16_e32 v118, v0
	v_cvt_f32_f16_e32 v120, v1
	s_delay_alu instid0(VALU_DEP_4) | instskip(SKIP_4) | instid1(VALU_DEP_4)
	v_cvt_f32_f16_e32 v122, v2
	v_cvt_f32_f16_e32 v124, v4
	v_dual_mov_b32 v111, v110 :: v_dual_mov_b32 v113, v112
	v_dual_mov_b32 v115, v114 :: v_dual_mov_b32 v117, v116
	;; [unrolled: 1-line block ×4, first 2 shown]
.LBB174_6:                              ;   Parent Loop BB174_5 Depth=1
                                        ; =>  This Inner Loop Header: Depth=2
	s_lshl_b32 s7, s8, 1
	s_lshr_b32 s9, s8, 2
	s_lshl_b32 s8, s8, 3
	s_delay_alu instid0(SALU_CYCLE_1) | instskip(SKIP_2) | instid1(VALU_DEP_2)
	v_dual_add_nc_u32 v138, s8, v197 :: v_dual_bitop2_b32 v0, s7, v75 bitop3:0x54
	s_add_co_i32 s9, s9, 0xa200
	v_dual_add_nc_u32 v133, s8, v198 :: v_dual_add_nc_u32 v228, s8, v199
	v_dual_lshlrev_b32 v1, 2, v0 :: v_dual_lshrrev_b32 v126, 1, v0
	v_add3_u32 v20, s9, v201, v193
	v_add3_u32 v132, s9, v202, v189
	ds_load_b128 v[14:17], v1 offset:33280
	ds_load_b128 v[6:9], v1 offset:33296
	;; [unrolled: 1-line block ×4, first 2 shown]
	ds_load_2addr_b32 v[0:1], v138 offset1:1
	s_set_vgpr_msb 64                       ;  msbs: dst=1 src0=0 src1=0 src2=0
	v_add_nc_u32_e32 v32 /*v288*/, s8, v200
	v_add3_u32 v31 /*v287*/, s9, v195, v191
	s_mov_b32 s8, 8
	s_and_b32 vcc_lo, exec_lo, s5
	s_mov_b32 s5, 0
	s_wait_dscnt 0x4
	s_set_vgpr_msb 0                        ;  msbs: dst=0 src0=0 src1=0 src2=0
	v_bfe_i32 v128, v14, 0, 8
	v_perm_b32 v216, v14, v14, 0xc0c0201
	v_perm_b32 v217, v15, v14, 0x6050403
	v_perm_b32 v218, v16, v15, 0x6050403
	s_wait_dscnt 0x0
	v_bfe_i32 v250, v0, 0, 8
	v_perm_b32 v251, v0, v0, 0xc0c0201
	v_perm_b32 v252, v1, v0, 0x6050403
	;; [unrolled: 1-line block ×4, first 2 shown]
	v_mul_i32_i24_e32 v18, v250, v128
	v_perm_b32 v233, v7, v6, 0xc0c0403
	s_set_vgpr_msb 64                       ;  msbs: dst=1 src0=0 src1=0 src2=0
	v_perm_b32 v1 /*v257*/, v7, v7, 0xc0c0201
	v_perm_b32 v4 /*v260*/, v8, v7, 0xc0c0403
	;; [unrolled: 1-line block ×3, first 2 shown]
	s_set_vgpr_msb 0                        ;  msbs: dst=0 src0=0 src1=0 src2=0
	v_dot4_i32_iu8 v21, v251, v216, v18 neg_lo:[1,1,0]
	ds_load_2addr_b32 v[18:19], v138 offset0:2 offset1:3
	ds_load_b32 v22, v138 offset:16
	ds_load_b96 v[208:210], v138 offset:19
	ds_load_i8 v142, v138 offset:31
	s_set_vgpr_msb 64                       ;  msbs: dst=1 src0=0 src1=0 src2=0
	v_perm_b32 v28 /*v284*/, v9, v8, 0xc0c0403
	v_perm_b32 v44 /*v300*/, v9, v9, 0xc030201
	s_set_vgpr_msb 0                        ;  msbs: dst=0 src0=0 src1=0 src2=0
	v_bfe_i32 v141, v10, 0, 8
	v_dot4_i32_iu8 v0, v252, v217, v21 neg_lo:[1,1,0]
	s_set_vgpr_msb 64                       ;  msbs: dst=1 src0=0 src1=0 src2=0
	v_perm_b32 v46 /*v302*/, v11, v10, 0x6050403
	v_perm_b32 v47 /*v303*/, v2, v13, 0x6050403
	;; [unrolled: 1-line block ×6, first 2 shown]
	s_wait_dscnt 0x3
	s_set_vgpr_msb 0                        ;  msbs: dst=0 src0=0 src1=0 src2=0
	v_perm_b32 v253, v18, v1, 0x6050403
	v_perm_b32 v254, v19, v18, 0x6050403
	s_wait_dscnt 0x2
	v_perm_b32 v255, v22, v19, 0x6050403
	s_wait_dscnt 0x1
	v_perm_b32 v1, v208, v208, 0xc0c0100
	v_bfe_i32 v249, v208, 0, 8
	v_dot4_i32_iu8 v0, v253, v218, v0 neg_lo:[1,1,0]
	s_set_vgpr_msb 64                       ;  msbs: dst=1 src0=0 src1=0 src2=0
	v_perm_b32 v5 /*v261*/, v209, v208, 0x4030201
	v_perm_b32 v6 /*v262*/, v210, v209, 0x4030201
	s_wait_dscnt 0x0
	v_perm_b32 v0 /*v256*/, v142, v210, 0x4030201
	s_set_vgpr_msb 0                        ;  msbs: dst=0 src0=0 src1=0 src2=0
	v_dot4_i32_iu8 v0, v254, v219, v0 neg_lo:[1,1,0]
	s_delay_alu instid0(VALU_DEP_1) | instskip(NEXT) | instid1(VALU_DEP_1)
	v_dot4_i32_iu8 v0, v255, v231, v0 neg_lo:[1,1,0]
	v_dot4_i32_iu8 v0, v233, v1, v0 neg_lo:[1,1,0]
	v_perm_b32 v1, v208, v208, 0xc0c0302
	s_set_vgpr_msb 1                        ;  msbs: dst=0 src0=1 src1=0 src2=0
	s_delay_alu instid0(VALU_DEP_1) | instskip(SKIP_3) | instid1(VALU_DEP_1)
	v_dot4_i32_iu8 v0, v1 /*v257*/, v1, v0 neg_lo:[1,1,0]
	s_set_vgpr_msb 0                        ;  msbs: dst=0 src0=0 src1=0 src2=0
	v_perm_b32 v1, v209, v209, 0xc0c0100
	s_set_vgpr_msb 1                        ;  msbs: dst=0 src0=1 src1=0 src2=0
	v_dot4_i32_iu8 v0, v4 /*v260*/, v1, v0 neg_lo:[1,1,0]
	s_set_vgpr_msb 0                        ;  msbs: dst=0 src0=0 src1=0 src2=0
	v_perm_b32 v1, v209, v209, 0xc0c0302
	s_set_vgpr_msb 1                        ;  msbs: dst=0 src0=1 src1=0 src2=0
	s_delay_alu instid0(VALU_DEP_1) | instskip(SKIP_3) | instid1(VALU_DEP_1)
	v_dot4_i32_iu8 v0, v7 /*v263*/, v1, v0 neg_lo:[1,1,0]
	s_set_vgpr_msb 0                        ;  msbs: dst=0 src0=0 src1=0 src2=0
	v_perm_b32 v1, v210, v210, 0xc0c0100
	s_set_vgpr_msb 1                        ;  msbs: dst=0 src0=1 src1=0 src2=0
	v_dot4_i32_iu8 v150, v28 /*v284*/, v1, v0 neg_lo:[1,1,0]
	s_set_vgpr_msb 0                        ;  msbs: dst=0 src0=0 src1=0 src2=0
	ds_load_u16 v0, v20
	ds_load_u16 v1, v20 offset:8
	ds_load_2addr_b32 v[134:135], v138 offset0:14 offset1:15
	s_wait_dscnt 0x2
	v_lshrrev_b16 v18, 8, v0
	v_and_b32_e32 v203, 0xff, v0
	s_wait_dscnt 0x1
	v_cvt_f32_ubyte0_e32 v136, v1
	v_cvt_f32_ubyte1_e32 v130, v1
	ds_load_2addr_b32 v[0:1], v133 offset1:1
	v_and_b32_e32 v151, 0xffff, v18
	s_wait_dscnt 0x0
	v_bfe_i32 v220, v0, 0, 8
	v_perm_b32 v221, v0, v0, 0xc0c0201
	v_perm_b32 v224, v1, v0, 0x6050403
	s_delay_alu instid0(VALU_DEP_3) | instskip(NEXT) | instid1(VALU_DEP_1)
	v_mul_i32_i24_e32 v18, v220, v128
	v_dot4_i32_iu8 v140, v221, v216, v18 neg_lo:[1,1,0]
	ds_load_2addr_b32 v[26:27], v133 offset0:2 offset1:3
	ds_load_b32 v144, v133 offset:16
	ds_load_b128 v[18:21], v133 offset:19
	ds_load_b128 v[22:25], v133 offset:35
	ds_load_b96 v[246:248], v133 offset:51
	s_set_vgpr_msb 64                       ;  msbs: dst=1 src0=0 src1=0 src2=0
	ds_load_i8 v29 /*v285*/, v133 offset:63
	s_set_vgpr_msb 0                        ;  msbs: dst=0 src0=0 src1=0 src2=0
	v_dot4_i32_iu8 v0, v224, v217, v140 neg_lo:[1,1,0]
	s_wait_dscnt 0x5
	v_perm_b32 v225, v26, v1, 0x6050403
	v_perm_b32 v226, v27, v26, 0x6050403
	s_wait_dscnt 0x4
	v_perm_b32 v227, v144, v27, 0x6050403
	s_wait_dscnt 0x3
	;; [unrolled: 2-line block ×3, first 2 shown]
	v_perm_b32 v205, v22, v21, 0x4030201
	v_dot4_i32_iu8 v0, v225, v218, v0 neg_lo:[1,1,0]
	v_perm_b32 v206, v23, v22, 0x4030201
	v_add3_u32 v26, s9, v194, v190
	v_perm_b32 v242, v24, v23, 0x4030201
	v_perm_b32 v243, v25, v24, 0x4030201
	v_dot4_i32_iu8 v0, v226, v219, v0 neg_lo:[1,1,0]
	s_wait_dscnt 0x1
	v_perm_b32 v244, v246, v25, 0x4030201
	v_perm_b32 v245, v247, v246, 0x4030201
	;; [unrolled: 1-line block ×3, first 2 shown]
	v_bfe_i32 v222, v18, 0, 8
	v_dot4_i32_iu8 v0, v227, v231, v0 neg_lo:[1,1,0]
	s_delay_alu instid0(VALU_DEP_1) | instskip(SKIP_2) | instid1(VALU_DEP_1)
	v_dot4_i32_iu8 v0, v233, v1, v0 neg_lo:[1,1,0]
	v_perm_b32 v1, v18, v18, 0xc0c0302
	s_set_vgpr_msb 1                        ;  msbs: dst=0 src0=1 src1=0 src2=0
	v_dot4_i32_iu8 v0, v1 /*v257*/, v1, v0 neg_lo:[1,1,0]
	s_set_vgpr_msb 0                        ;  msbs: dst=0 src0=0 src1=0 src2=0
	v_perm_b32 v1, v19, v19, 0xc0c0100
	s_set_vgpr_msb 1                        ;  msbs: dst=0 src0=1 src1=0 src2=0
	s_delay_alu instid0(VALU_DEP_1) | instskip(SKIP_3) | instid1(VALU_DEP_1)
	v_dot4_i32_iu8 v0, v4 /*v260*/, v1, v0 neg_lo:[1,1,0]
	s_set_vgpr_msb 0                        ;  msbs: dst=0 src0=0 src1=0 src2=0
	v_perm_b32 v1, v19, v19, 0xc0c0302
	s_set_vgpr_msb 1                        ;  msbs: dst=0 src0=1 src1=0 src2=0
	v_dot4_i32_iu8 v0, v7 /*v263*/, v1, v0 neg_lo:[1,1,0]
	s_set_vgpr_msb 0                        ;  msbs: dst=0 src0=0 src1=0 src2=0
	v_perm_b32 v1, v20, v20, 0xc0c0100
	s_set_vgpr_msb 0x41                     ;  msbs: dst=1 src0=1 src1=0 src2=0
	s_delay_alu instid0(VALU_DEP_1)
	v_dot4_i32_iu8 v30 /*v286*/, v28 /*v284*/, v1, v0 neg_lo:[1,1,0]
	s_set_vgpr_msb 0                        ;  msbs: dst=0 src0=0 src1=0 src2=0
	ds_load_u16 v0, v132
	ds_load_u16 v207, v132 offset:8
	s_wait_dscnt 0x1
	v_lshrrev_b16 v223, 8, v0
	v_and_b32_e32 v204, 0xff, v0
	v_dot4_i32_iu8 v0, v205, v10, 0 neg_lo:[1,1,0]
	s_wait_dscnt 0x0
	v_cvt_f32_ubyte0_e32 v140, v207
	s_delay_alu instid0(VALU_DEP_2) | instskip(SKIP_1) | instid1(VALU_DEP_1)
	v_dot4_i32_iu8 v22, v206, v11, v0 neg_lo:[1,1,0]
	v_or_b32_e32 v0, s7, v182
	v_dual_lshlrev_b32 v156, 2, v0 :: v_dual_lshrrev_b32 v211, 1, v0
	ds_load_b64 v[0:1], v126 offset:43584
	ds_load_2addr_b32 v[148:149], v228 offset1:1
	ds_load_2addr_b32 v[146:147], v228 offset0:2 offset1:3
	ds_load_2addr_b32 v[144:145], v228 offset0:4 offset1:5
	;; [unrolled: 1-line block ×3, first 2 shown]
	ds_load_u16 v126, v26
	s_set_vgpr_msb 64                       ;  msbs: dst=1 src0=0 src1=0 src2=0
	ds_load_u16 v33 /*v289*/, v26 offset:8
	s_set_vgpr_msb 0                        ;  msbs: dst=0 src0=0 src1=0 src2=0
	ds_load_2addr_b32 v[26:27], v228 offset0:8 offset1:9
	ds_load_2addr_b32 v[212:213], v228 offset0:10 offset1:11
	;; [unrolled: 1-line block ×3, first 2 shown]
	s_wait_dscnt 0x9
	s_set_vgpr_msb 64                       ;  msbs: dst=1 src0=0 src1=0 src2=0
	v_cvt_f32_f16_e64 v20 /*v276*/, v0
	v_cvt_f32_f16_e64 v24 /*v280*/, v1
	s_wait_dscnt 0x4
	v_lshrrev_b16 v34 /*v290*/, 8, v126
	s_wait_dscnt 0x0
	s_set_vgpr_msb 0                        ;  msbs: dst=0 src0=0 src1=0 src2=0
	v_lshrrev_b16 v154, 8, v153
	v_dot4_i32_iu8 v155, v152, v10, 0 neg_lo:[1,1,0]
	v_bfe_i32 v230, v153, 16, 8
	v_ashrrev_i32_e32 v229, 24, v153
	v_bfe_i32 v234, v153, 0, 8
	v_bfe_i32 v232, v154, 0, 8
	v_dot4_i32_iu8 v157, v153, v11, v155 neg_lo:[1,1,0]
	ds_load_2addr_b32 v[154:155], v138 offset0:10 offset1:11
	ds_load_b128 v[236:239], v156 offset:33280
	s_set_vgpr_msb 64                       ;  msbs: dst=1 src0=0 src1=0 src2=0
	ds_load_b128 v[8:11] /*v[264:267]*/, v156 offset:33296
	ds_load_b128 v[12:15] /*v[268:271]*/, v156 offset:33312
	;; [unrolled: 1-line block ×3, first 2 shown]
	s_wait_dscnt 0x3
	v_bfe_i32 v35 /*v291*/, v236, 0, 8
	v_perm_b32 v36 /*v292*/, v236, v236, 0xc0c0201
	s_set_vgpr_msb 0                        ;  msbs: dst=0 src0=0 src1=0 src2=0
	v_dot4_i32_iu8 v157, v154, v12, v157 neg_lo:[1,1,0]
	s_set_vgpr_msb 64                       ;  msbs: dst=1 src0=0 src1=0 src2=0
	v_perm_b32 v37 /*v293*/, v237, v236, 0x6050403
	v_perm_b32 v41 /*v297*/, v238, v237, 0x6050403
	s_set_vgpr_msb 1                        ;  msbs: dst=0 src0=1 src1=0 src2=0
	v_mul_i32_i24_e32 v156, v35 /*v291*/, v250
	s_set_vgpr_msb 64                       ;  msbs: dst=1 src0=0 src1=0 src2=0
	v_perm_b32 v42 /*v298*/, v239, v238, 0x6050403
	s_set_vgpr_msb 0                        ;  msbs: dst=0 src0=0 src1=0 src2=0
	v_dot4_i32_iu8 v214, v155, v13, v157 neg_lo:[1,1,0]
	s_wait_dscnt 0x2
	s_set_vgpr_msb 0x41                     ;  msbs: dst=1 src0=1 src1=0 src2=0
	v_perm_b32 v43 /*v299*/, v8 /*v264*/, v239, 0x6050403
	s_set_vgpr_msb 0x44                     ;  msbs: dst=1 src0=0 src1=1 src2=0
	v_ashrrev_i32_e32 v38 /*v294*/, 24, v8 /*v264*/
	s_set_vgpr_msb 1                        ;  msbs: dst=0 src0=1 src1=0 src2=0
	v_dot4_i32_iu8 v215, v36 /*v292*/, v251, v156 neg_lo:[1,1,0]
	s_set_vgpr_msb 0                        ;  msbs: dst=0 src0=0 src1=0 src2=0
	ds_load_2addr_b32 v[156:157], v138 offset0:12 offset1:13
	s_wait_dscnt 0x2
	s_set_vgpr_msb 1                        ;  msbs: dst=0 src0=1 src1=0 src2=0
	v_bfe_i32 v241, v13 /*v269*/, 0, 8
	s_set_vgpr_msb 0x41                     ;  msbs: dst=1 src0=1 src1=0 src2=0
	v_bfe_i32 v39 /*v295*/, v12 /*v268*/, 0, 8
	s_wait_dscnt 0x1
	s_set_vgpr_msb 0x44                     ;  msbs: dst=1 src0=0 src1=1 src2=0
	v_ashrrev_i32_e32 v40 /*v296*/, 24, v16 /*v272*/
	s_set_vgpr_msb 1                        ;  msbs: dst=0 src0=1 src1=0 src2=0
	v_dot4_i32_iu8 v235, v37 /*v293*/, v252, v215 neg_lo:[1,1,0]
	s_wait_dscnt 0x0
	s_set_vgpr_msb 0                        ;  msbs: dst=0 src0=0 src1=0 src2=0
	v_dot4_i32_iu8 v138, v156, v2, v214 neg_lo:[1,1,0]
	ds_load_b64 v[214:215], v211 offset:43584
	v_lshrrev_b32_e32 v0, 16, v0
	v_dot4_i32_iu8 v138, v157, v3, v138 neg_lo:[1,1,0]
	s_delay_alu instid0(VALU_DEP_1) | instskip(NEXT) | instid1(VALU_DEP_1)
	v_dot4_i32_iu8 v138, v134, v4, v138 neg_lo:[1,1,0]
	v_dot4_i32_iu8 v138, v5, v135, v138 neg_lo:[1,1,0]
	s_delay_alu instid0(VALU_DEP_1)
	v_mul_lo_u32 v138, v138, v151
	s_wait_dscnt 0x0
	v_lshrrev_b32_e32 v211, 16, v214
	s_set_vgpr_msb 64                       ;  msbs: dst=1 src0=0 src1=0 src2=0
	v_cvt_f32_f16_e64 v22 /*v278*/, v0
	s_set_vgpr_msb 4                        ;  msbs: dst=0 src0=0 src1=1 src2=0
	v_lshrrev_b16 v0, 8, v13 /*v269*/
	s_set_vgpr_msb 64                       ;  msbs: dst=1 src0=0 src1=0 src2=0
	v_cvt_f32_f16_e64 v21 /*v277*/, v214
	s_set_vgpr_msb 1                        ;  msbs: dst=0 src0=1 src1=0 src2=0
	v_bfe_i32 v214, v13 /*v269*/, 16, 8
	s_set_vgpr_msb 64                       ;  msbs: dst=1 src0=0 src1=0 src2=0
	v_cvt_f32_f16_e64 v23 /*v279*/, v211
	s_set_vgpr_msb 4                        ;  msbs: dst=0 src0=0 src1=1 src2=0
	v_ashrrev_i32_e32 v211, 24, v13 /*v269*/
	v_bfe_i32 v240, v0, 0, 8
	s_set_vgpr_msb 0                        ;  msbs: dst=0 src0=0 src1=0 src2=0
	v_dual_lshrrev_b32 v0, 16, v1 :: v_dual_lshrrev_b32 v1, 16, v215
	s_set_vgpr_msb 64                       ;  msbs: dst=1 src0=0 src1=0 src2=0
	v_cvt_f32_f16_e64 v25 /*v281*/, v215
	s_set_vgpr_msb 5                        ;  msbs: dst=0 src0=1 src1=1 src2=0
	v_perm_b32 v215, v14 /*v270*/, v12 /*v268*/, 0xc0c0501
	s_set_vgpr_msb 0                        ;  msbs: dst=0 src0=0 src1=0 src2=0
	v_mul_i32_i24_e32 v211, v211, v229
	s_set_vgpr_msb 64                       ;  msbs: dst=1 src0=0 src1=0 src2=0
	v_cvt_f32_f16_e64 v26 /*v282*/, v0
	s_set_vgpr_msb 1                        ;  msbs: dst=0 src0=1 src1=0 src2=0
	v_dot4_i32_iu8 v0, v41 /*v297*/, v253, v235 neg_lo:[1,1,0]
	s_set_vgpr_msb 64                       ;  msbs: dst=1 src0=0 src1=0 src2=0
	v_cvt_f32_f16_e64 v27 /*v283*/, v1
	s_set_vgpr_msb 0                        ;  msbs: dst=0 src0=0 src1=0 src2=0
	v_perm_b32 v1, v142, v210, 0xc040302
	v_mul_i32_i24_e32 v210, v214, v230
	v_perm_b32 v214, v154, v152, 0xc0c0501
	s_set_vgpr_msb 1                        ;  msbs: dst=0 src0=1 src1=0 src2=0
	v_dot4_i32_iu8 v0, v42 /*v298*/, v254, v0 neg_lo:[1,1,0]
	s_set_vgpr_msb 5                        ;  msbs: dst=0 src0=1 src1=1 src2=0
	v_perm_b32 v229, v18 /*v274*/, v17 /*v273*/, 0x6020c0c
	s_set_vgpr_msb 4                        ;  msbs: dst=0 src0=0 src1=1 src2=0
	v_dot4_i32_iu8 v1, v1, v44 /*v300*/, v150 neg_lo:[1,1,0]
	s_set_vgpr_msb 0                        ;  msbs: dst=0 src0=0 src1=0 src2=0
	v_mul_i32_i24_e32 v150, v240, v232
	s_set_vgpr_msb 4                        ;  msbs: dst=0 src0=0 src1=1 src2=0
	v_pk_fma_f32 v[208:209], v[136:137], v[22:23] /*v[278:279]*/, 0 op_sel_hi:[0,1,0]
	s_set_vgpr_msb 1                        ;  msbs: dst=0 src0=1 src1=0 src2=0
	v_dot4_i32_iu8 v0, v43 /*v299*/, v255, v0 neg_lo:[1,1,0]
	s_set_vgpr_msb 0                        ;  msbs: dst=0 src0=0 src1=0 src2=0
	v_bfe_i32 v240, v26, 0, 8
	v_mul_lo_u32 v142, v1, v203
	v_dot4_i32_iu8 v150, v215, v214, v150 neg_lo:[1,1,0]
	v_perm_b32 v214, v154, v152, 0xc0c0703
	s_set_vgpr_msb 4                        ;  msbs: dst=0 src0=0 src1=1 src2=0
	v_mad_i32_i24 v0, v249, v38 /*v294*/, v0
	s_set_vgpr_msb 5                        ;  msbs: dst=0 src0=1 src1=1 src2=0
	v_perm_b32 v215, v14 /*v270*/, v12 /*v268*/, 0xc0c0703
	s_set_vgpr_msb 4                        ;  msbs: dst=0 src0=0 src1=1 src2=0
	v_pk_fma_f32 v[208:209], v[130:131], v[26:27] /*v[282:283]*/, v[208:209] op_sel_hi:[0,1,1]
	s_set_vgpr_msb 0                        ;  msbs: dst=0 src0=0 src1=0 src2=0
	v_perm_b32 v232, v26, v26, 0xc0c0201
	v_perm_b32 v235, v212, v27, 0x6050403
	s_set_vgpr_msb 5                        ;  msbs: dst=0 src0=1 src1=1 src2=0
	v_dot4_i32_iu8 v0, v5 /*v261*/, v9 /*v265*/, v0 neg_lo:[1,1,0]
	s_set_vgpr_msb 0                        ;  msbs: dst=0 src0=0 src1=0 src2=0
	v_dot4_i32_iu8 v211, v215, v214, v211 neg_lo:[1,1,0]
	v_perm_b32 v214, v154, v152, 0xc0c0400
	s_set_vgpr_msb 5                        ;  msbs: dst=0 src0=1 src1=1 src2=0
	v_perm_b32 v215, v14 /*v270*/, v12 /*v268*/, 0xc0c0400
	s_set_vgpr_msb 0                        ;  msbs: dst=0 src0=0 src1=0 src2=0
	v_pk_mul_f32 v[208:209], v[208:209], v[118:119]
	s_set_vgpr_msb 5                        ;  msbs: dst=0 src0=1 src1=1 src2=0
	v_dot4_i32_iu8 v0, v6 /*v262*/, v10 /*v266*/, v0 neg_lo:[1,1,0]
	s_set_vgpr_msb 0                        ;  msbs: dst=0 src0=0 src1=0 src2=0
	v_perm_b32 v230, v213, v212, 0x6050403
	s_set_vgpr_msb 5                        ;  msbs: dst=0 src0=1 src1=1 src2=0
	s_delay_alu instid0(VALU_DEP_2) | instskip(SKIP_1) | instid1(VALU_DEP_1)
	v_dot4_i32_iu8 v0, v11 /*v267*/, v0 /*v256*/, v0 neg_lo:[1,1,0]
	s_set_vgpr_msb 0                        ;  msbs: dst=0 src0=0 src1=0 src2=0
	v_mul_lo_u32 v0, v0, v203
	s_delay_alu instid0(VALU_DEP_1)
	v_cvt_f32_i32_e32 v1, v0
	v_cvt_f32_i32_e32 v0, v142
	v_mul_i32_i24_e32 v142, v241, v234
	v_and_b32_e32 v241, 0xffff, v223
	v_and_b32_e32 v223, 0xff, v126
	v_perm_b32 v126, v10, v10, 0xc0c0201
	s_set_vgpr_msb 1                        ;  msbs: dst=0 src0=1 src1=0 src2=0
	v_pk_fma_f32 v[0:1], v[20:21] /*v[276:277]*/, v[0:1], 0 op_sel_hi:[1,1,0]
	s_set_vgpr_msb 0                        ;  msbs: dst=0 src0=0 src1=0 src2=0
	v_dot4_i32_iu8 v142, v215, v214, v142 neg_lo:[1,1,0]
	v_perm_b32 v214, v154, v152, 0xc0c0602
	s_set_vgpr_msb 5                        ;  msbs: dst=0 src0=1 src1=1 src2=0
	v_perm_b32 v215, v14 /*v270*/, v12 /*v268*/, 0xc0c0602
	s_set_vgpr_msb 0                        ;  msbs: dst=0 src0=0 src1=0 src2=0
	v_perm_b32 v234, v27, v26, 0x6050403
	v_perm_b32 v26, v12, v11, 0x6050403
	;; [unrolled: 1-line block ×3, first 2 shown]
	v_dot4_i32_iu8 v210, v215, v214, v210 neg_lo:[1,1,0]
	v_perm_b32 v214, v156, v155, 0xc0c0602
	v_perm_b32 v215, v134, v157, 0x6020c0c
	s_delay_alu instid0(VALU_DEP_1) | instskip(SKIP_3) | instid1(VALU_DEP_1)
	v_or_b32_e32 v214, v215, v214
	s_set_vgpr_msb 5                        ;  msbs: dst=0 src0=1 src1=1 src2=0
	v_perm_b32 v215, v16 /*v272*/, v15 /*v271*/, 0xc0c0602
	s_set_vgpr_msb 0                        ;  msbs: dst=0 src0=0 src1=0 src2=0
	v_or_b32_e32 v215, v229, v215
	s_set_vgpr_msb 5                        ;  msbs: dst=0 src0=1 src1=1 src2=0
	v_perm_b32 v229, v18 /*v274*/, v17 /*v273*/, 0x4000c0c
	s_set_vgpr_msb 0                        ;  msbs: dst=0 src0=0 src1=0 src2=0
	s_delay_alu instid0(VALU_DEP_2) | instskip(SKIP_2) | instid1(VALU_DEP_1)
	v_dot4_i32_iu8 v210, v215, v214, v210 neg_lo:[1,1,0]
	v_perm_b32 v214, v156, v155, 0xc0c0400
	v_perm_b32 v215, v134, v157, 0x4000c0c
	v_or_b32_e32 v214, v215, v214
	s_set_vgpr_msb 5                        ;  msbs: dst=0 src0=1 src1=1 src2=0
	v_perm_b32 v215, v16 /*v272*/, v15 /*v271*/, 0xc0c0400
	s_set_vgpr_msb 0                        ;  msbs: dst=0 src0=0 src1=0 src2=0
	s_delay_alu instid0(VALU_DEP_1) | instskip(SKIP_3) | instid1(VALU_DEP_2)
	v_or_b32_e32 v215, v229, v215
	s_set_vgpr_msb 5                        ;  msbs: dst=0 src0=1 src1=1 src2=0
	v_perm_b32 v229, v18 /*v274*/, v17 /*v273*/, 0x7030c0c
	s_set_vgpr_msb 0                        ;  msbs: dst=0 src0=0 src1=0 src2=0
	v_dot4_i32_iu8 v142, v215, v214, v142 neg_lo:[1,1,0]
	v_perm_b32 v214, v156, v155, 0xc0c0703
	v_perm_b32 v215, v134, v157, 0x7030c0c
	s_delay_alu instid0(VALU_DEP_1) | instskip(SKIP_3) | instid1(VALU_DEP_1)
	v_or_b32_e32 v214, v215, v214
	s_set_vgpr_msb 5                        ;  msbs: dst=0 src0=1 src1=1 src2=0
	v_perm_b32 v215, v16 /*v272*/, v15 /*v271*/, 0xc0c0703
	s_set_vgpr_msb 0                        ;  msbs: dst=0 src0=0 src1=0 src2=0
	v_or_b32_e32 v215, v229, v215
	s_set_vgpr_msb 5                        ;  msbs: dst=0 src0=1 src1=1 src2=0
	v_perm_b32 v229, v18 /*v274*/, v17 /*v273*/, 0x5010c0c
	s_set_vgpr_msb 0                        ;  msbs: dst=0 src0=0 src1=0 src2=0
	s_delay_alu instid0(VALU_DEP_2) | instskip(SKIP_2) | instid1(VALU_DEP_1)
	v_dot4_i32_iu8 v211, v215, v214, v211 neg_lo:[1,1,0]
	v_perm_b32 v214, v156, v155, 0xc0c0501
	v_perm_b32 v215, v134, v157, 0x5010c0c
	v_or_b32_e32 v214, v215, v214
	s_set_vgpr_msb 5                        ;  msbs: dst=0 src0=1 src1=1 src2=0
	v_perm_b32 v215, v16 /*v272*/, v15 /*v271*/, 0xc0c0501
	s_set_vgpr_msb 0                        ;  msbs: dst=0 src0=0 src1=0 src2=0
	s_delay_alu instid0(VALU_DEP_1) | instskip(NEXT) | instid1(VALU_DEP_1)
	v_or_b32_e32 v215, v229, v215
	v_dot4_i32_iu8 v150, v215, v214, v150 neg_lo:[1,1,0]
	s_delay_alu instid0(VALU_DEP_1) | instskip(NEXT) | instid1(VALU_DEP_1)
	v_add_nc_u32_e32 v150, v150, v211
	v_add3_u32 v142, v142, v210, v150
	v_cvt_f32_i32_e32 v210, v138
	v_cvt_f32_ubyte1_e32 v150, v207
	s_set_vgpr_msb 1                        ;  msbs: dst=0 src0=1 src1=0 src2=0
	v_cvt_f32_ubyte0_e32 v138, v33 /*v289*/
	v_dot4_i32_iu8 v142, v19 /*v275*/, v135, v142 neg_lo:[1,1,0]
	s_set_vgpr_msb 0                        ;  msbs: dst=0 src0=0 src1=0 src2=0
	s_delay_alu instid0(VALU_DEP_1) | instskip(NEXT) | instid1(VALU_DEP_1)
	v_mul_lo_u32 v142, v142, v151
	v_cvt_f32_i32_e32 v211, v142
	s_set_vgpr_msb 1                        ;  msbs: dst=0 src0=1 src1=0 src2=0
	v_cvt_f32_ubyte1_e32 v142, v33 /*v289*/
	s_delay_alu instid0(VALU_DEP_2) | instskip(SKIP_3) | instid1(VALU_DEP_2)
	v_pk_fma_f32 v[0:1], v[24:25] /*v[280:281]*/, v[210:211], v[0:1]
	s_set_vgpr_msb 4                        ;  msbs: dst=0 src0=0 src1=1 src2=0
	v_and_b32_e32 v210, 0xffff, v34 /*v290*/
	s_set_vgpr_msb 64                       ;  msbs: dst=1 src0=0 src1=0 src2=0
	v_pk_fma_f32 v[2:3] /*v[258:259]*/, v[0:1], v[110:111], v[208:209] neg_lo:[0,0,1] neg_hi:[0,0,1]
	s_set_vgpr_msb 0                        ;  msbs: dst=0 src0=0 src1=0 src2=0
	v_dot4_i32_iu8 v0, v242, v12, v22 neg_lo:[1,1,0]
	s_set_vgpr_msb 4                        ;  msbs: dst=0 src0=0 src1=1 src2=0
	s_delay_alu instid0(VALU_DEP_2) | instskip(SKIP_1) | instid1(VALU_DEP_2)
	v_pk_add_f32 v[62:63], v[62:63], v[2:3] /*v[258:259]*/
	s_set_vgpr_msb 0                        ;  msbs: dst=0 src0=0 src1=0 src2=0
	v_dot4_i32_iu8 v0, v243, v13, v0 neg_lo:[1,1,0]
	s_set_vgpr_msb 64                       ;  msbs: dst=1 src0=0 src1=0 src2=0
	v_perm_b32 v3 /*v259*/, v19, v18, 0x4030201
	s_set_vgpr_msb 1                        ;  msbs: dst=0 src0=1 src1=0 src2=0
	v_dot4_i32_iu8 v18, v12 /*v268*/, v205, 0 neg_lo:[1,1,0]
	s_set_vgpr_msb 0x41                     ;  msbs: dst=1 src0=1 src1=0 src2=0
	v_perm_b32 v2 /*v258*/, v29 /*v285*/, v248, 0x4030201
	s_set_vgpr_msb 0                        ;  msbs: dst=0 src0=0 src1=0 src2=0
	v_dot4_i32_iu8 v0, v244, v2, v0 neg_lo:[1,1,0]
	s_set_vgpr_msb 1                        ;  msbs: dst=0 src0=1 src1=0 src2=0
	v_dot4_i32_iu8 v18, v13 /*v269*/, v206, v18 neg_lo:[1,1,0]
	s_set_vgpr_msb 0                        ;  msbs: dst=0 src0=0 src1=0 src2=0
	s_delay_alu instid0(VALU_DEP_2) | instskip(SKIP_1) | instid1(VALU_DEP_2)
	v_dot4_i32_iu8 v0, v245, v3, v0 neg_lo:[1,1,0]
	s_set_vgpr_msb 1                        ;  msbs: dst=0 src0=1 src1=0 src2=0
	v_dot4_i32_iu8 v18, v14 /*v270*/, v242, v18 neg_lo:[1,1,0]
	s_set_vgpr_msb 0                        ;  msbs: dst=0 src0=0 src1=0 src2=0
	s_delay_alu instid0(VALU_DEP_2)
	v_dot4_i32_iu8 v247, v246, v4, v0 neg_lo:[1,1,0]
	v_dot4_i32_iu8 v0, v148, v14, 0 neg_lo:[1,1,0]
	v_perm_b32 v4, v5, v4, 0xc0c0403
	s_set_vgpr_msb 1                        ;  msbs: dst=0 src0=1 src1=0 src2=0
	v_dot4_i32_iu8 v18, v15 /*v271*/, v243, v18 neg_lo:[1,1,0]
	s_set_vgpr_msb 0                        ;  msbs: dst=0 src0=0 src1=0 src2=0
	v_dot4_i32_iu8 v0, v149, v15, v0 neg_lo:[1,1,0]
	s_set_vgpr_msb 1                        ;  msbs: dst=0 src0=1 src1=0 src2=0
	s_delay_alu instid0(VALU_DEP_2) | instskip(SKIP_1) | instid1(VALU_DEP_2)
	v_dot4_i32_iu8 v18, v16 /*v272*/, v244, v18 neg_lo:[1,1,0]
	s_set_vgpr_msb 0                        ;  msbs: dst=0 src0=0 src1=0 src2=0
	v_dot4_i32_iu8 v0, v146, v16, v0 neg_lo:[1,1,0]
	s_set_vgpr_msb 1                        ;  msbs: dst=0 src0=1 src1=0 src2=0
	s_delay_alu instid0(VALU_DEP_2) | instskip(SKIP_1) | instid1(VALU_DEP_2)
	v_dot4_i32_iu8 v18, v17 /*v273*/, v245, v18 neg_lo:[1,1,0]
	s_set_vgpr_msb 0                        ;  msbs: dst=0 src0=0 src1=0 src2=0
	v_dot4_i32_iu8 v0, v147, v17, v0 neg_lo:[1,1,0]
	s_delay_alu instid0(VALU_DEP_1) | instskip(NEXT) | instid1(VALU_DEP_1)
	v_dot4_i32_iu8 v0, v144, v6, v0 neg_lo:[1,1,0]
	v_dot4_i32_iu8 v0, v145, v7, v0 neg_lo:[1,1,0]
	s_delay_alu instid0(VALU_DEP_1)
	v_dot4_i32_iu8 v17, v132, v8, v0 neg_lo:[1,1,0]
	v_mul_i32_i24_e32 v0, v240, v141
	ds_load_b32 v1, v228 offset:48
	ds_load_b96 v[6:8], v228 offset:51
	s_set_vgpr_msb 64                       ;  msbs: dst=1 src0=0 src1=0 src2=0
	ds_load_i8 v45 /*v301*/, v228 offset:63
	s_set_vgpr_msb 1                        ;  msbs: dst=0 src0=1 src1=0 src2=0
	ds_load_2addr_b32 v[22:23], v32 /*v288*/ offset1:1
	s_set_vgpr_msb 0                        ;  msbs: dst=0 src0=0 src1=0 src2=0
	v_dot4_i32_iu8 v0, v232, v126, v0 neg_lo:[1,1,0]
	s_set_vgpr_msb 4                        ;  msbs: dst=0 src0=0 src1=1 src2=0
	s_delay_alu instid0(VALU_DEP_1) | instskip(SKIP_1) | instid1(VALU_DEP_1)
	v_dot4_i32_iu8 v0, v234, v46 /*v302*/, v0 neg_lo:[1,1,0]
	s_set_vgpr_msb 0                        ;  msbs: dst=0 src0=0 src1=0 src2=0
	v_dot4_i32_iu8 v0, v235, v26, v0 neg_lo:[1,1,0]
	s_wait_dscnt 0x3
	v_perm_b32 v229, v1, v213, 0x6050403
	s_delay_alu instid0(VALU_DEP_2)
	v_dot4_i32_iu8 v0, v230, v27, v0 neg_lo:[1,1,0]
	s_wait_dscnt 0x2
	v_perm_b32 v1, v6, v6, 0xc0c0100
	s_wait_dscnt 0x0
	v_bfe_i32 v207, v22, 0, 8
	v_perm_b32 v208, v22, v22, 0xc0c0201
	v_perm_b32 v211, v23, v22, 0x6050403
	s_set_vgpr_msb 4                        ;  msbs: dst=0 src0=0 src1=1 src2=0
	v_dot4_i32_iu8 v0, v229, v47 /*v303*/, v0 neg_lo:[1,1,0]
	v_bfe_i32 v228, v6, 0, 8
	s_set_vgpr_msb 0                        ;  msbs: dst=0 src0=0 src1=0 src2=0
	v_perm_b32 v248, v8, v7, 0x4030201
	s_set_vgpr_msb 1                        ;  msbs: dst=0 src0=1 src1=0 src2=0
	v_dot4_i32_iu8 v0, v48 /*v304*/, v1, v0 neg_lo:[1,1,0]
	s_set_vgpr_msb 0                        ;  msbs: dst=0 src0=0 src1=0 src2=0
	v_perm_b32 v1, v6, v6, 0xc0c0302
	s_set_vgpr_msb 1                        ;  msbs: dst=0 src0=1 src1=0 src2=0
	s_delay_alu instid0(VALU_DEP_1) | instskip(SKIP_3) | instid1(VALU_DEP_1)
	v_dot4_i32_iu8 v0, v49 /*v305*/, v1, v0 neg_lo:[1,1,0]
	s_set_vgpr_msb 0                        ;  msbs: dst=0 src0=0 src1=0 src2=0
	v_perm_b32 v1, v7, v7, 0xc0c0100
	s_set_vgpr_msb 1                        ;  msbs: dst=0 src0=1 src1=0 src2=0
	v_dot4_i32_iu8 v0, v50 /*v306*/, v1, v0 neg_lo:[1,1,0]
	s_set_vgpr_msb 0                        ;  msbs: dst=0 src0=0 src1=0 src2=0
	v_perm_b32 v1, v7, v7, 0xc0c0302
	s_set_vgpr_msb 1                        ;  msbs: dst=0 src0=1 src1=0 src2=0
	s_delay_alu instid0(VALU_DEP_1) | instskip(SKIP_3) | instid1(VALU_DEP_1)
	v_dot4_i32_iu8 v0, v51 /*v307*/, v1, v0 neg_lo:[1,1,0]
	s_set_vgpr_msb 0                        ;  msbs: dst=0 src0=0 src1=0 src2=0
	v_perm_b32 v1, v8, v8, 0xc0c0100
	s_set_vgpr_msb 64                       ;  msbs: dst=1 src0=0 src1=0 src2=0
	v_dot4_i32_iu8 v52 /*v308*/, v4, v1, v0 neg_lo:[1,1,0]
	s_set_vgpr_msb 0                        ;  msbs: dst=0 src0=0 src1=0 src2=0
	v_mul_i32_i24_e32 v0, v207, v128
	s_delay_alu instid0(VALU_DEP_1)
	v_dot4_i32_iu8 v128, v208, v216, v0 neg_lo:[1,1,0]
	s_set_vgpr_msb 1                        ;  msbs: dst=0 src0=1 src1=0 src2=0
	ds_load_2addr_b32 v[24:25], v32 /*v288*/ offset0:2 offset1:3
	ds_load_b32 v214, v32 /*v288*/ offset:16
	ds_load_b128 v[10:13], v32 /*v288*/ offset:19
	ds_load_b128 v[0:3], v32 /*v288*/ offset:35
	ds_load_b96 v[14:16], v32 /*v288*/ offset:51
	s_set_vgpr_msb 0x41                     ;  msbs: dst=1 src0=1 src1=0 src2=0
	ds_load_i8 v32 /*v288*/, v32 /*v288*/ offset:63
	s_set_vgpr_msb 0                        ;  msbs: dst=0 src0=0 src1=0 src2=0
	v_dot4_i32_iu8 v22, v211, v217, v128 neg_lo:[1,1,0]
	s_wait_dscnt 0x5
	v_perm_b32 v212, v24, v23, 0x6050403
	v_perm_b32 v213, v25, v24, 0x6050403
	s_wait_dscnt 0x4
	v_perm_b32 v215, v214, v25, 0x6050403
	s_wait_dscnt 0x3
	v_perm_b32 v23, v10, v10, 0xc0c0100
	v_bfe_i32 v217, v13, 8, 8
	v_dot4_i32_iu8 v22, v212, v218, v22 neg_lo:[1,1,0]
	v_perm_b32 v218, v13, v13, 0xc0c0302
	v_bfe_i32 v209, v10, 0, 8
	s_wait_dscnt 0x1
	v_bfe_i32 v216, v14, 0, 8
	v_dot4_i32_iu8 v22, v213, v219, v22 neg_lo:[1,1,0]
	s_wait_dscnt 0x0
	s_set_vgpr_msb 1                        ;  msbs: dst=0 src0=1 src1=0 src2=0
	v_perm_b32 v219, v32 /*v288*/, v16, 0x4030201
	s_set_vgpr_msb 0                        ;  msbs: dst=0 src0=0 src1=0 src2=0
	v_dot4_i32_iu8 v22, v215, v231, v22 neg_lo:[1,1,0]
	s_set_vgpr_msb 1                        ;  msbs: dst=0 src0=1 src1=0 src2=0
	v_perm_b32 v231, v45 /*v301*/, v8, 0x4030201
	v_perm_b32 v8, v45 /*v301*/, v8, 0xc040302
	s_set_vgpr_msb 0                        ;  msbs: dst=0 src0=0 src1=0 src2=0
	v_dot4_i32_iu8 v22, v233, v23, v22 neg_lo:[1,1,0]
	v_perm_b32 v23, v10, v10, 0xc0c0302
	v_perm_b32 v233, v11, v10, 0x4030201
	s_set_vgpr_msb 1                        ;  msbs: dst=0 src0=1 src1=0 src2=0
	v_perm_b32 v10, v32 /*v288*/, v16, 0xc040302
	s_delay_alu instid0(VALU_DEP_3)
	v_dot4_i32_iu8 v22, v1 /*v257*/, v23, v22 neg_lo:[1,1,0]
	s_set_vgpr_msb 0                        ;  msbs: dst=0 src0=0 src1=0 src2=0
	v_perm_b32 v23, v11, v11, 0xc0c0100
	s_set_vgpr_msb 64                       ;  msbs: dst=1 src0=0 src1=0 src2=0
	v_perm_b32 v1 /*v257*/, v21, v20, 0x4030201
	s_set_vgpr_msb 1                        ;  msbs: dst=0 src0=1 src1=0 src2=0
	s_delay_alu instid0(VALU_DEP_2)
	v_dot4_i32_iu8 v22, v4 /*v260*/, v23, v22 neg_lo:[1,1,0]
	s_set_vgpr_msb 0                        ;  msbs: dst=0 src0=0 src1=0 src2=0
	v_perm_b32 v23, v11, v11, 0xc0c0302
	s_set_vgpr_msb 64                       ;  msbs: dst=1 src0=0 src1=0 src2=0
	v_perm_b32 v4 /*v260*/, v20, v19, 0x4030201
	s_set_vgpr_msb 1                        ;  msbs: dst=0 src0=1 src1=0 src2=0
	s_delay_alu instid0(VALU_DEP_2) | instskip(SKIP_3) | instid1(VALU_DEP_1)
	v_dot4_i32_iu8 v22, v7 /*v263*/, v23, v22 neg_lo:[1,1,0]
	s_set_vgpr_msb 0                        ;  msbs: dst=0 src0=0 src1=0 src2=0
	v_perm_b32 v23, v12, v12, 0xc0c0100
	s_set_vgpr_msb 1                        ;  msbs: dst=0 src0=1 src1=0 src2=0
	v_dot4_i32_iu8 v24, v28 /*v284*/, v23, v22 neg_lo:[1,1,0]
	ds_load_u16 v22, v31 /*v287*/
	ds_load_u16 v23, v31 /*v287*/ offset:8
	s_wait_dscnt 0x1
	v_lshrrev_b16 v25, 8, v22
	v_and_b32_e32 v214, 0xff, v22
	s_set_vgpr_msb 0                        ;  msbs: dst=0 src0=0 src1=0 src2=0
	v_mul_i32_i24_e32 v22, v217, v141
	s_wait_dscnt 0x0
	v_cvt_f32_ubyte0_e32 v128, v23
	v_and_b32_e32 v141, 0xffff, v25
	s_set_vgpr_msb 5                        ;  msbs: dst=0 src0=1 src1=1 src2=0
	v_perm_b32 v25, v16 /*v272*/, v15 /*v271*/, 0x6050403
	s_set_vgpr_msb 0                        ;  msbs: dst=0 src0=0 src1=0 src2=0
	v_dot4_i32_iu8 v22, v218, v126, v22 neg_lo:[1,1,0]
	v_cvt_f32_ubyte1_e32 v126, v23
	s_set_vgpr_msb 4                        ;  msbs: dst=0 src0=0 src1=1 src2=0
	s_delay_alu instid0(VALU_DEP_2) | instskip(SKIP_1) | instid1(VALU_DEP_1)
	v_dot4_i32_iu8 v22, v0, v46 /*v302*/, v22 neg_lo:[1,1,0]
	s_set_vgpr_msb 0                        ;  msbs: dst=0 src0=0 src1=0 src2=0
	v_dot4_i32_iu8 v22, v1, v26, v22 neg_lo:[1,1,0]
	v_perm_b32 v26, v14, v14, 0xc0c0100
	s_delay_alu instid0(VALU_DEP_2) | instskip(SKIP_1) | instid1(VALU_DEP_1)
	v_dot4_i32_iu8 v22, v2, v27, v22 neg_lo:[1,1,0]
	s_set_vgpr_msb 4                        ;  msbs: dst=0 src0=0 src1=1 src2=0
	v_dot4_i32_iu8 v22, v3, v47 /*v303*/, v22 neg_lo:[1,1,0]
	s_set_vgpr_msb 1                        ;  msbs: dst=0 src0=1 src1=0 src2=0
	s_delay_alu instid0(VALU_DEP_1) | instskip(SKIP_3) | instid1(VALU_DEP_1)
	v_dot4_i32_iu8 v22, v48 /*v304*/, v26, v22 neg_lo:[1,1,0]
	s_set_vgpr_msb 0                        ;  msbs: dst=0 src0=0 src1=0 src2=0
	v_perm_b32 v26, v14, v14, 0xc0c0302
	s_set_vgpr_msb 1                        ;  msbs: dst=0 src0=1 src1=0 src2=0
	v_dot4_i32_iu8 v22, v49 /*v305*/, v26, v22 neg_lo:[1,1,0]
	s_set_vgpr_msb 0                        ;  msbs: dst=0 src0=0 src1=0 src2=0
	v_perm_b32 v26, v15, v15, 0xc0c0100
	s_set_vgpr_msb 1                        ;  msbs: dst=0 src0=1 src1=0 src2=0
	s_delay_alu instid0(VALU_DEP_1) | instskip(SKIP_3) | instid1(VALU_DEP_1)
	v_dot4_i32_iu8 v22, v50 /*v306*/, v26, v22 neg_lo:[1,1,0]
	s_set_vgpr_msb 0                        ;  msbs: dst=0 src0=0 src1=0 src2=0
	v_perm_b32 v26, v15, v15, 0xc0c0302
	s_set_vgpr_msb 1                        ;  msbs: dst=0 src0=1 src1=0 src2=0
	v_dot4_i32_iu8 v22, v51 /*v307*/, v26, v22 neg_lo:[1,1,0]
	s_set_vgpr_msb 0                        ;  msbs: dst=0 src0=0 src1=0 src2=0
	v_perm_b32 v26, v16, v16, 0xc0c0100
	s_delay_alu instid0(VALU_DEP_1)
	v_dot4_i32_iu8 v26, v4, v26, v22 neg_lo:[1,1,0]
	s_set_vgpr_msb 1                        ;  msbs: dst=0 src0=1 src1=0 src2=0
	v_mul_i32_i24_e32 v4, v35 /*v291*/, v220
	v_dot4_i32_iu8 v22, v18 /*v274*/, v246, v18 neg_lo:[1,1,0]
	s_set_vgpr_msb 0                        ;  msbs: dst=0 src0=0 src1=0 src2=0
	v_perm_b32 v18, v21, v20, 0xc040302
	s_set_vgpr_msb 4                        ;  msbs: dst=0 src0=0 src1=1 src2=0
	v_pk_fma_f32 v[20:21], v[140:141], v[22:23] /*v[278:279]*/, 0 op_sel_hi:[0,1,0]
	s_set_vgpr_msb 1                        ;  msbs: dst=0 src0=1 src1=0 src2=0
	v_dot4_i32_iu8 v4, v36 /*v292*/, v221, v4 neg_lo:[1,1,0]
	s_set_vgpr_msb 20                       ;  msbs: dst=0 src0=0 src1=1 src2=1
	v_dot4_i32_iu8 v18, v18, v44 /*v300*/, v30 /*v286*/ neg_lo:[1,1,0]
	s_set_vgpr_msb 4                        ;  msbs: dst=0 src0=0 src1=1 src2=0
	v_pk_fma_f32 v[20:21], v[150:151], v[26:27] /*v[282:283]*/, v[20:21] op_sel_hi:[0,1,1]
	s_set_vgpr_msb 1                        ;  msbs: dst=0 src0=1 src1=0 src2=0
	v_dot4_i32_iu8 v4, v37 /*v293*/, v224, v4 neg_lo:[1,1,0]
	s_set_vgpr_msb 0                        ;  msbs: dst=0 src0=0 src1=0 src2=0
	v_mul_lo_u32 v18, v18, v204
	v_pk_mul_f32 v[20:21], v[20:21], v[120:121]
	s_set_vgpr_msb 1                        ;  msbs: dst=0 src0=1 src1=0 src2=0
	v_dot4_i32_iu8 v4, v41 /*v297*/, v225, v4 neg_lo:[1,1,0]
	s_delay_alu instid0(VALU_DEP_1) | instskip(SKIP_1) | instid1(VALU_DEP_4)
	v_dot4_i32_iu8 v4, v42 /*v298*/, v226, v4 neg_lo:[1,1,0]
	s_set_vgpr_msb 0                        ;  msbs: dst=0 src0=0 src1=0 src2=0
	v_cvt_f32_i32_e32 v18, v18
	s_set_vgpr_msb 1                        ;  msbs: dst=0 src0=1 src1=0 src2=0
	s_delay_alu instid0(VALU_DEP_2) | instskip(SKIP_1) | instid1(VALU_DEP_1)
	v_dot4_i32_iu8 v4, v43 /*v299*/, v227, v4 neg_lo:[1,1,0]
	s_set_vgpr_msb 4                        ;  msbs: dst=0 src0=0 src1=1 src2=0
	v_mad_i32_i24 v4, v222, v38 /*v294*/, v4
	s_set_vgpr_msb 5                        ;  msbs: dst=0 src0=1 src1=1 src2=0
	s_delay_alu instid0(VALU_DEP_1) | instskip(NEXT) | instid1(VALU_DEP_1)
	v_dot4_i32_iu8 v4, v3 /*v259*/, v9 /*v265*/, v4 neg_lo:[1,1,0]
	v_dot4_i32_iu8 v4, v4 /*v260*/, v10 /*v266*/, v4 neg_lo:[1,1,0]
	s_delay_alu instid0(VALU_DEP_1) | instskip(SKIP_1) | instid1(VALU_DEP_1)
	v_dot4_i32_iu8 v4, v11 /*v267*/, v1 /*v257*/, v4 neg_lo:[1,1,0]
	s_set_vgpr_msb 0                        ;  msbs: dst=0 src0=0 src1=0 src2=0
	v_mul_lo_u32 v4, v4, v204
	s_delay_alu instid0(VALU_DEP_1)
	v_cvt_f32_i32_e32 v19, v4
	s_set_vgpr_msb 5                        ;  msbs: dst=0 src0=1 src1=1 src2=0
	v_dot4_i32_iu8 v4, v19 /*v275*/, v2 /*v258*/, v22 neg_lo:[1,1,0]
	s_set_vgpr_msb 4                        ;  msbs: dst=0 src0=0 src1=1 src2=0
	v_dot4_i32_iu8 v22, v5, v2 /*v258*/, v247 neg_lo:[1,1,0]
	s_set_vgpr_msb 0                        ;  msbs: dst=0 src0=0 src1=0 src2=0
	v_perm_b32 v247, v7, v6, 0x4030201
	s_set_vgpr_msb 1                        ;  msbs: dst=0 src0=1 src1=0 src2=0
	v_pk_fma_f32 v[18:19], v[20:21] /*v[276:277]*/, v[18:19], 0 op_sel_hi:[1,1,0]
	s_set_vgpr_msb 0                        ;  msbs: dst=0 src0=0 src1=0 src2=0
	v_mul_lo_u32 v4, v4, v241
	v_mul_lo_u32 v22, v22, v241
	s_delay_alu instid0(VALU_DEP_2) | instskip(NEXT) | instid1(VALU_DEP_2)
	v_cvt_f32_i32_e32 v23, v4
	v_cvt_f32_i32_e32 v22, v22
	v_dot4_i32_iu8 v4, v236, v148, 0 neg_lo:[1,1,0]
	v_perm_b32 v236, v12, v11, 0x4030201
	s_set_vgpr_msb 1                        ;  msbs: dst=0 src0=1 src1=0 src2=0
	s_delay_alu instid0(VALU_DEP_3)
	v_pk_fma_f32 v[18:19], v[24:25] /*v[280:281]*/, v[22:23], v[18:19]
	s_set_vgpr_msb 0                        ;  msbs: dst=0 src0=0 src1=0 src2=0
	v_dot4_i32_iu8 v4, v237, v149, v4 neg_lo:[1,1,0]
	s_set_vgpr_msb 5                        ;  msbs: dst=0 src0=1 src1=1 src2=0
	v_perm_b32 v22, v14 /*v270*/, v13 /*v269*/, 0x6050403
	v_perm_b32 v23, v15 /*v271*/, v14 /*v270*/, 0x6050403
	s_set_vgpr_msb 0                        ;  msbs: dst=0 src0=0 src1=0 src2=0
	v_perm_b32 v237, v15, v14, 0x4030201
	v_pk_fma_f32 v[18:19], v[18:19], v[112:113], v[20:21] neg_lo:[0,0,1] neg_hi:[0,0,1]
	s_set_vgpr_msb 5                        ;  msbs: dst=0 src0=1 src1=1 src2=0
	v_perm_b32 v20, v12 /*v268*/, v12 /*v268*/, 0xc0c0201
	s_set_vgpr_msb 0                        ;  msbs: dst=0 src0=0 src1=0 src2=0
	v_dot4_i32_iu8 v4, v238, v146, v4 neg_lo:[1,1,0]
	s_set_vgpr_msb 5                        ;  msbs: dst=0 src0=1 src1=1 src2=0
	v_perm_b32 v21, v13 /*v269*/, v12 /*v268*/, 0x6050403
	s_set_vgpr_msb 0                        ;  msbs: dst=0 src0=0 src1=0 src2=0
	v_perm_b32 v238, v16, v15, 0x4030201
	v_pk_add_f32 v[60:61], v[60:61], v[18:19]
	s_set_vgpr_msb 1                        ;  msbs: dst=0 src0=1 src1=0 src2=0
	v_mul_i32_i24_e32 v18, v39 /*v295*/, v240
	s_set_vgpr_msb 0                        ;  msbs: dst=0 src0=0 src1=0 src2=0
	v_dot4_i32_iu8 v4, v239, v147, v4 neg_lo:[1,1,0]
	v_perm_b32 v239, v13, v12, 0x4030201
	s_delay_alu instid0(VALU_DEP_3) | instskip(SKIP_1) | instid1(VALU_DEP_3)
	v_dot4_i32_iu8 v18, v20, v232, v18 neg_lo:[1,1,0]
	s_set_vgpr_msb 1                        ;  msbs: dst=0 src0=1 src1=0 src2=0
	v_dot4_i32_iu8 v4, v8 /*v264*/, v144, v4 neg_lo:[1,1,0]
	s_set_vgpr_msb 0                        ;  msbs: dst=0 src0=0 src1=0 src2=0
	s_delay_alu instid0(VALU_DEP_2) | instskip(SKIP_1) | instid1(VALU_DEP_2)
	v_dot4_i32_iu8 v18, v21, v234, v18 neg_lo:[1,1,0]
	s_set_vgpr_msb 1                        ;  msbs: dst=0 src0=1 src1=0 src2=0
	v_dot4_i32_iu8 v4, v9 /*v265*/, v145, v4 neg_lo:[1,1,0]
	s_set_vgpr_msb 0                        ;  msbs: dst=0 src0=0 src1=0 src2=0
	s_delay_alu instid0(VALU_DEP_2) | instskip(SKIP_1) | instid1(VALU_DEP_2)
	;; [unrolled: 5-line block ×3, first 2 shown]
	v_dot4_i32_iu8 v18, v23, v230, v18 neg_lo:[1,1,0]
	s_set_vgpr_msb 1                        ;  msbs: dst=0 src0=1 src1=0 src2=0
	v_dot4_i32_iu8 v4, v11 /*v267*/, v133, v4 neg_lo:[1,1,0]
	s_set_vgpr_msb 0                        ;  msbs: dst=0 src0=0 src1=0 src2=0
	s_delay_alu instid0(VALU_DEP_2) | instskip(NEXT) | instid1(VALU_DEP_2)
	v_dot4_i32_iu8 v18, v25, v229, v18 neg_lo:[1,1,0]
	v_mul_lo_u32 v4, v4, v223
	s_set_vgpr_msb 1                        ;  msbs: dst=0 src0=1 src1=0 src2=0
	s_delay_alu instid0(VALU_DEP_2) | instskip(NEXT) | instid1(VALU_DEP_1)
	v_mad_i32_i24 v18, v40 /*v296*/, v228, v18
	v_dot4_i32_iu8 v6, v17 /*v273*/, v247, v18 neg_lo:[1,1,0]
	s_set_vgpr_msb 4                        ;  msbs: dst=0 src0=0 src1=1 src2=0
	v_pk_fma_f32 v[18:19], v[138:139], v[22:23] /*v[278:279]*/, 0 op_sel_hi:[0,1,0]
	s_delay_alu instid0(VALU_DEP_4)
	v_cvt_f32_i32_e32 v7, v4
	s_set_vgpr_msb 1                        ;  msbs: dst=0 src0=1 src1=0 src2=0
	v_dot4_i32_iu8 v27, v18 /*v274*/, v248, v6 neg_lo:[1,1,0]
	s_set_vgpr_msb 0                        ;  msbs: dst=0 src0=0 src1=0 src2=0
	v_dot4_i32_iu8 v6, v133, v9, v17 neg_lo:[1,1,0]
	v_perm_b32 v9, v5, v5, 0xc030201
	s_set_vgpr_msb 1                        ;  msbs: dst=0 src0=1 src1=0 src2=0
	v_dot4_i32_iu8 v4, v19 /*v275*/, v231, v27 neg_lo:[1,1,0]
	s_set_vgpr_msb 16                       ;  msbs: dst=0 src0=0 src1=0 src2=1
	v_mul_lo_u32 v6, v6, v223
	v_dot4_i32_iu8 v5, v9, v8, v52 /*v308*/ neg_lo:[1,1,0]
	s_set_vgpr_msb 0                        ;  msbs: dst=0 src0=0 src1=0 src2=0
	v_dot4_i32_iu8 v9, v9, v10, v26 neg_lo:[1,1,0]
	v_mul_lo_u32 v4, v4, v210
	s_delay_alu instid0(VALU_DEP_3) | instskip(NEXT) | instid1(VALU_DEP_3)
	v_mul_lo_u32 v8, v5, v210
	v_mul_lo_u32 v10, v9, v141
	v_cvt_f32_i32_e32 v6, v6
	s_delay_alu instid0(VALU_DEP_4) | instskip(SKIP_1) | instid1(VALU_DEP_2)
	v_cvt_f32_i32_e32 v5, v4
	s_set_vgpr_msb 1                        ;  msbs: dst=0 src0=1 src1=0 src2=0
	v_pk_fma_f32 v[6:7], v[20:21] /*v[276:277]*/, v[6:7], 0 op_sel_hi:[1,1,0]
	s_set_vgpr_msb 0                        ;  msbs: dst=0 src0=0 src1=0 src2=0
	v_cvt_f32_i32_e32 v4, v8
	s_set_vgpr_msb 1                        ;  msbs: dst=0 src0=1 src1=0 src2=0
	s_delay_alu instid0(VALU_DEP_1) | instskip(SKIP_3) | instid1(VALU_DEP_1)
	v_pk_fma_f32 v[4:5], v[24:25] /*v[280:281]*/, v[4:5], v[6:7]
	s_set_vgpr_msb 4                        ;  msbs: dst=0 src0=0 src1=1 src2=0
	v_pk_fma_f32 v[6:7], v[142:143], v[26:27] /*v[282:283]*/, v[18:19] op_sel_hi:[0,1,1]
	s_set_vgpr_msb 0                        ;  msbs: dst=0 src0=0 src1=0 src2=0
	v_pk_mul_f32 v[6:7], v[6:7], v[122:123]
	s_delay_alu instid0(VALU_DEP_1) | instskip(NEXT) | instid1(VALU_DEP_1)
	v_pk_fma_f32 v[4:5], v[4:5], v[114:115], v[6:7] neg_lo:[0,0,1] neg_hi:[0,0,1]
	v_pk_add_f32 v[58:59], v[58:59], v[4:5]
	s_set_vgpr_msb 1                        ;  msbs: dst=0 src0=1 src1=0 src2=0
	v_mul_i32_i24_e32 v4, v35 /*v291*/, v207
	v_mul_i32_i24_e32 v5, v39 /*v295*/, v217
	s_delay_alu instid0(VALU_DEP_2) | instskip(SKIP_1) | instid1(VALU_DEP_2)
	v_dot4_i32_iu8 v4, v36 /*v292*/, v208, v4 neg_lo:[1,1,0]
	s_set_vgpr_msb 0                        ;  msbs: dst=0 src0=0 src1=0 src2=0
	v_dot4_i32_iu8 v5, v20, v218, v5 neg_lo:[1,1,0]
	s_set_vgpr_msb 1                        ;  msbs: dst=0 src0=1 src1=0 src2=0
	s_delay_alu instid0(VALU_DEP_2) | instskip(SKIP_1) | instid1(VALU_DEP_2)
	v_dot4_i32_iu8 v4, v37 /*v293*/, v211, v4 neg_lo:[1,1,0]
	s_set_vgpr_msb 0                        ;  msbs: dst=0 src0=0 src1=0 src2=0
	v_dot4_i32_iu8 v5, v21, v0, v5 neg_lo:[1,1,0]
	s_set_vgpr_msb 1                        ;  msbs: dst=0 src0=1 src1=0 src2=0
	;; [unrolled: 5-line block ×5, first 2 shown]
	s_delay_alu instid0(VALU_DEP_2) | instskip(SKIP_1) | instid1(VALU_DEP_2)
	v_mad_i32_i24 v4, v209, v38 /*v294*/, v4
	s_set_vgpr_msb 1                        ;  msbs: dst=0 src0=1 src1=0 src2=0
	v_mad_i32_i24 v5, v40 /*v296*/, v216, v5
	s_set_vgpr_msb 4                        ;  msbs: dst=0 src0=0 src1=1 src2=0
	s_delay_alu instid0(VALU_DEP_2) | instskip(SKIP_1) | instid1(VALU_DEP_2)
	v_dot4_i32_iu8 v4, v233, v9 /*v265*/, v4 neg_lo:[1,1,0]
	s_set_vgpr_msb 1                        ;  msbs: dst=0 src0=1 src1=0 src2=0
	v_dot4_i32_iu8 v5, v17 /*v273*/, v237, v5 neg_lo:[1,1,0]
	s_set_vgpr_msb 4                        ;  msbs: dst=0 src0=0 src1=1 src2=0
	s_delay_alu instid0(VALU_DEP_2) | instskip(SKIP_1) | instid1(VALU_DEP_2)
	v_dot4_i32_iu8 v4, v236, v10 /*v266*/, v4 neg_lo:[1,1,0]
	s_set_vgpr_msb 1                        ;  msbs: dst=0 src0=1 src1=0 src2=0
	v_dot4_i32_iu8 v8, v18 /*v274*/, v238, v5 neg_lo:[1,1,0]
	s_set_vgpr_msb 0                        ;  msbs: dst=0 src0=0 src1=0 src2=0
	v_perm_b32 v5, v13, v12, 0xc040302
	s_set_vgpr_msb 1                        ;  msbs: dst=0 src0=1 src1=0 src2=0
	v_dot4_i32_iu8 v4, v11 /*v267*/, v239, v4 neg_lo:[1,1,0]
	v_dot4_i32_iu8 v8, v19 /*v275*/, v219, v8 neg_lo:[1,1,0]
	s_set_vgpr_msb 4                        ;  msbs: dst=0 src0=0 src1=1 src2=0
	v_dot4_i32_iu8 v5, v5, v44 /*v300*/, v24 neg_lo:[1,1,0]
	s_set_vgpr_msb 0                        ;  msbs: dst=0 src0=0 src1=0 src2=0
	v_mul_lo_u32 v4, v4, v214
	v_mul_lo_u32 v8, v8, v141
	s_delay_alu instid0(VALU_DEP_3) | instskip(NEXT) | instid1(VALU_DEP_3)
	v_mul_lo_u32 v6, v5, v214
	v_cvt_f32_i32_e32 v5, v4
	s_delay_alu instid0(VALU_DEP_3) | instskip(NEXT) | instid1(VALU_DEP_3)
	v_cvt_f32_i32_e32 v9, v8
	v_cvt_f32_i32_e32 v4, v6
	s_set_vgpr_msb 4                        ;  msbs: dst=0 src0=0 src1=1 src2=0
	v_pk_fma_f32 v[6:7], v[128:129], v[22:23] /*v[278:279]*/, 0 op_sel_hi:[0,1,0]
	v_cvt_f32_i32_e32 v8, v10
	s_set_vgpr_msb 1                        ;  msbs: dst=0 src0=1 src1=0 src2=0
	v_pk_fma_f32 v[4:5], v[20:21] /*v[276:277]*/, v[4:5], 0 op_sel_hi:[1,1,0]
	s_set_vgpr_msb 4                        ;  msbs: dst=0 src0=0 src1=1 src2=0
	v_pk_fma_f32 v[6:7], v[126:127], v[26:27] /*v[282:283]*/, v[6:7] op_sel_hi:[0,1,1]
	s_set_vgpr_msb 1                        ;  msbs: dst=0 src0=1 src1=0 src2=0
	s_delay_alu instid0(VALU_DEP_2) | instskip(SKIP_1) | instid1(VALU_DEP_2)
	v_pk_fma_f32 v[4:5], v[24:25] /*v[280:281]*/, v[8:9], v[4:5]
	s_set_vgpr_msb 0                        ;  msbs: dst=0 src0=0 src1=0 src2=0
	v_pk_mul_f32 v[6:7], v[6:7], v[124:125]
	s_delay_alu instid0(VALU_DEP_1) | instskip(NEXT) | instid1(VALU_DEP_1)
	v_pk_fma_f32 v[4:5], v[4:5], v[116:117], v[6:7] neg_lo:[0,0,1] neg_hi:[0,0,1]
	v_pk_add_f32 v[56:57], v[56:57], v[4:5]
	v_or_b32_e32 v4, s7, v183
	s_delay_alu instid0(VALU_DEP_1)
	v_lshlrev_b32_e32 v16, 2, v4
	s_set_vgpr_msb 64                       ;  msbs: dst=1 src0=0 src1=0 src2=0
	v_lshrrev_b32_e32 v7 /*v263*/, 1, v4
	s_set_vgpr_msb 0                        ;  msbs: dst=0 src0=0 src1=0 src2=0
	ds_load_b128 v[4:7], v16 offset:33280
	ds_load_b128 v[8:11], v16 offset:33296
	;; [unrolled: 1-line block ×4, first 2 shown]
	s_wait_dscnt 0x3
	v_bfe_i32 v20, v4, 0, 8
	v_perm_b32 v25, v4, v4, 0xc0c0201
	v_perm_b32 v26, v5, v4, 0x6050403
	;; [unrolled: 1-line block ×3, first 2 shown]
	s_set_vgpr_msb 64                       ;  msbs: dst=1 src0=0 src1=0 src2=0
	v_perm_b32 v8 /*v264*/, v7, v6, 0x6050403
	s_set_vgpr_msb 0                        ;  msbs: dst=0 src0=0 src1=0 src2=0
	v_mul_i32_i24_e32 v24, v20, v250
	s_wait_dscnt 0x2
	s_set_vgpr_msb 64                       ;  msbs: dst=1 src0=0 src1=0 src2=0
	v_perm_b32 v9 /*v265*/, v8, v7, 0x6050403
	s_set_vgpr_msb 0                        ;  msbs: dst=0 src0=0 src1=0 src2=0
	v_ashrrev_i32_e32 v21, 24, v8
	v_dot4_i32_iu8 v4, v4, v148, 0 neg_lo:[1,1,0]
	s_wait_dscnt 0x1
	v_bfe_i32 v22, v12, 0, 8
	v_dot4_i32_iu8 v24, v25, v251, v24 neg_lo:[1,1,0]
	s_wait_dscnt 0x0
	v_ashrrev_i32_e32 v23, 24, v16
	v_dot4_i32_iu8 v4, v5, v149, v4 neg_lo:[1,1,0]
	v_perm_b32 v5, v12, v12, 0xc0c0201
	v_dot4_i32_iu8 v24, v26, v252, v24 neg_lo:[1,1,0]
	s_delay_alu instid0(VALU_DEP_3) | instskip(SKIP_1) | instid1(VALU_DEP_3)
	v_dot4_i32_iu8 v4, v6, v146, v4 neg_lo:[1,1,0]
	v_perm_b32 v6, v13, v12, 0x6050403
	v_dot4_i32_iu8 v24, v27, v253, v24 neg_lo:[1,1,0]
	s_delay_alu instid0(VALU_DEP_3) | instskip(SKIP_2) | instid1(VALU_DEP_3)
	v_dot4_i32_iu8 v4, v7, v147, v4 neg_lo:[1,1,0]
	v_perm_b32 v7, v14, v13, 0x6050403
	s_set_vgpr_msb 1                        ;  msbs: dst=0 src0=1 src1=0 src2=0
	v_dot4_i32_iu8 v24, v8 /*v264*/, v254, v24 neg_lo:[1,1,0]
	s_set_vgpr_msb 0                        ;  msbs: dst=0 src0=0 src1=0 src2=0
	v_dot4_i32_iu8 v4, v8, v144, v4 neg_lo:[1,1,0]
	v_perm_b32 v8, v15, v14, 0x6050403
	s_set_vgpr_msb 1                        ;  msbs: dst=0 src0=1 src1=0 src2=0
	v_dot4_i32_iu8 v24, v9 /*v265*/, v255, v24 neg_lo:[1,1,0]
	s_set_vgpr_msb 0                        ;  msbs: dst=0 src0=0 src1=0 src2=0
	v_dot4_i32_iu8 v4, v9, v145, v4 neg_lo:[1,1,0]
	s_delay_alu instid0(VALU_DEP_2) | instskip(SKIP_1) | instid1(VALU_DEP_2)
	v_mad_i32_i24 v24, v249, v21, v24
	s_set_vgpr_msb 64                       ;  msbs: dst=1 src0=0 src1=0 src2=0
	v_dot4_i32_iu8 v20 /*v276*/, v10, v132, v4 neg_lo:[1,1,0]
	s_set_vgpr_msb 0                        ;  msbs: dst=0 src0=0 src1=0 src2=0
	v_mul_i32_i24_e32 v4, v22, v240
	s_set_vgpr_msb 1                        ;  msbs: dst=0 src0=1 src1=0 src2=0
	v_dot4_i32_iu8 v24, v5 /*v261*/, v9, v24 neg_lo:[1,1,0]
	s_set_vgpr_msb 0                        ;  msbs: dst=0 src0=0 src1=0 src2=0
	s_delay_alu instid0(VALU_DEP_2) | instskip(SKIP_1) | instid1(VALU_DEP_2)
	v_dot4_i32_iu8 v4, v5, v232, v4 neg_lo:[1,1,0]
	s_set_vgpr_msb 0x41                     ;  msbs: dst=1 src0=1 src1=0 src2=0
	v_dot4_i32_iu8 v14 /*v270*/, v6 /*v262*/, v10, v24 neg_lo:[1,1,0]
	s_set_vgpr_msb 0                        ;  msbs: dst=0 src0=0 src1=0 src2=0
	v_dot4_i32_iu8 v24, v152, v12, 0 neg_lo:[1,1,0]
	v_dot4_i32_iu8 v4, v6, v234, v4 neg_lo:[1,1,0]
	s_delay_alu instid0(VALU_DEP_2) | instskip(NEXT) | instid1(VALU_DEP_2)
	v_dot4_i32_iu8 v24, v153, v13, v24 neg_lo:[1,1,0]
	v_dot4_i32_iu8 v4, v7, v235, v4 neg_lo:[1,1,0]
	s_delay_alu instid0(VALU_DEP_2) | instskip(NEXT) | instid1(VALU_DEP_2)
	v_dot4_i32_iu8 v24, v154, v14, v24 neg_lo:[1,1,0]
	v_dot4_i32_iu8 v4, v8, v230, v4 neg_lo:[1,1,0]
	s_delay_alu instid0(VALU_DEP_2) | instskip(NEXT) | instid1(VALU_DEP_1)
	v_dot4_i32_iu8 v24, v155, v15, v24 neg_lo:[1,1,0]
	v_dot4_i32_iu8 v24, v156, v16, v24 neg_lo:[1,1,0]
	s_delay_alu instid0(VALU_DEP_1) | instskip(SKIP_1) | instid1(VALU_DEP_1)
	v_dot4_i32_iu8 v24, v157, v17, v24 neg_lo:[1,1,0]
	s_set_vgpr_msb 64                       ;  msbs: dst=1 src0=0 src1=0 src2=0
	v_dot4_i32_iu8 v16 /*v272*/, v134, v18, v24 neg_lo:[1,1,0]
	s_set_vgpr_msb 0                        ;  msbs: dst=0 src0=0 src1=0 src2=0
	v_mul_i32_i24_e32 v24, v20, v220
	s_set_vgpr_msb 0x50                     ;  msbs: dst=1 src0=0 src1=0 src2=1
	s_delay_alu instid0(VALU_DEP_2) | instskip(SKIP_1) | instid1(VALU_DEP_2)
	v_dot4_i32_iu8 v16 /*v272*/, v19, v135, v16 /*v272*/ neg_lo:[1,1,0]
	s_set_vgpr_msb 0                        ;  msbs: dst=0 src0=0 src1=0 src2=0
	v_dot4_i32_iu8 v24, v25, v221, v24 neg_lo:[1,1,0]
	s_set_vgpr_msb 0x41                     ;  msbs: dst=1 src0=1 src1=0 src2=0
	s_delay_alu instid0(VALU_DEP_2) | instskip(SKIP_1) | instid1(VALU_DEP_2)
	v_mul_lo_u32 v16 /*v272*/, v16 /*v272*/, v151
	s_set_vgpr_msb 0                        ;  msbs: dst=0 src0=0 src1=0 src2=0
	v_dot4_i32_iu8 v24, v26, v224, v24 neg_lo:[1,1,0]
	s_delay_alu instid0(VALU_DEP_1) | instskip(SKIP_1) | instid1(VALU_DEP_1)
	v_dot4_i32_iu8 v24, v27, v225, v24 neg_lo:[1,1,0]
	s_set_vgpr_msb 1                        ;  msbs: dst=0 src0=1 src1=0 src2=0
	v_dot4_i32_iu8 v24, v8 /*v264*/, v226, v24 neg_lo:[1,1,0]
	s_set_vgpr_msb 0x41                     ;  msbs: dst=1 src0=1 src1=0 src2=0
	s_delay_alu instid0(VALU_DEP_4) | instskip(SKIP_1) | instid1(VALU_DEP_2)
	v_cvt_f32_i32_e32 v16 /*v272*/, v16 /*v272*/
	s_set_vgpr_msb 1                        ;  msbs: dst=0 src0=1 src1=0 src2=0
	v_dot4_i32_iu8 v24, v9 /*v265*/, v227, v24 neg_lo:[1,1,0]
	s_set_vgpr_msb 0                        ;  msbs: dst=0 src0=0 src1=0 src2=0
	s_delay_alu instid0(VALU_DEP_1) | instskip(SKIP_1) | instid1(VALU_DEP_1)
	v_mad_i32_i24 v24, v222, v21, v24
	s_set_vgpr_msb 1                        ;  msbs: dst=0 src0=1 src1=0 src2=0
	v_dot4_i32_iu8 v24, v3 /*v259*/, v9, v24 neg_lo:[1,1,0]
	s_set_vgpr_msb 0x41                     ;  msbs: dst=1 src0=1 src1=0 src2=0
	s_delay_alu instid0(VALU_DEP_1) | instskip(SKIP_3) | instid1(VALU_DEP_2)
	v_dot4_i32_iu8 v18 /*v274*/, v4 /*v260*/, v10, v24 neg_lo:[1,1,0]
	s_set_vgpr_msb 0                        ;  msbs: dst=0 src0=0 src1=0 src2=0
	v_dot4_i32_iu8 v24, v12, v205, 0 neg_lo:[1,1,0]
	v_perm_b32 v12, v16, v15, 0x6050403
	v_dot4_i32_iu8 v24, v13, v206, v24 neg_lo:[1,1,0]
	s_delay_alu instid0(VALU_DEP_2) | instskip(NEXT) | instid1(VALU_DEP_2)
	v_dot4_i32_iu8 v4, v12, v229, v4 neg_lo:[1,1,0]
	v_dot4_i32_iu8 v24, v14, v242, v24 neg_lo:[1,1,0]
	s_delay_alu instid0(VALU_DEP_2) | instskip(NEXT) | instid1(VALU_DEP_2)
	v_mad_i32_i24 v4, v228, v23, v4
	v_dot4_i32_iu8 v24, v15, v243, v24 neg_lo:[1,1,0]
	s_delay_alu instid0(VALU_DEP_2) | instskip(NEXT) | instid1(VALU_DEP_2)
	v_dot4_i32_iu8 v4, v247, v17, v4 neg_lo:[1,1,0]
	v_dot4_i32_iu8 v24, v16, v244, v24 neg_lo:[1,1,0]
	s_set_vgpr_msb 64                       ;  msbs: dst=1 src0=0 src1=0 src2=0
	s_delay_alu instid0(VALU_DEP_2) | instskip(SKIP_3) | instid1(VALU_DEP_2)
	v_dot4_i32_iu8 v21 /*v277*/, v248, v18, v4 neg_lo:[1,1,0]
	s_set_vgpr_msb 0                        ;  msbs: dst=0 src0=0 src1=0 src2=0
	v_mul_i32_i24_e32 v4, v20, v207
	v_dot4_i32_iu8 v24, v17, v245, v24 neg_lo:[1,1,0]
	v_dot4_i32_iu8 v4, v25, v208, v4 neg_lo:[1,1,0]
	s_set_vgpr_msb 64                       ;  msbs: dst=1 src0=0 src1=0 src2=0
	s_delay_alu instid0(VALU_DEP_2) | instskip(SKIP_1) | instid1(VALU_DEP_2)
	v_dot4_i32_iu8 v19 /*v275*/, v18, v246, v24 neg_lo:[1,1,0]
	s_set_vgpr_msb 0                        ;  msbs: dst=0 src0=0 src1=0 src2=0
	v_dot4_i32_iu8 v4, v26, v211, v4 neg_lo:[1,1,0]
	s_delay_alu instid0(VALU_DEP_1) | instskip(SKIP_1) | instid1(VALU_DEP_1)
	v_dot4_i32_iu8 v4, v27, v212, v4 neg_lo:[1,1,0]
	s_set_vgpr_msb 1                        ;  msbs: dst=0 src0=1 src1=0 src2=0
	v_dot4_i32_iu8 v4, v8 /*v264*/, v213, v4 neg_lo:[1,1,0]
	s_delay_alu instid0(VALU_DEP_1) | instskip(SKIP_1) | instid1(VALU_DEP_1)
	v_dot4_i32_iu8 v4, v9 /*v265*/, v215, v4 neg_lo:[1,1,0]
	s_set_vgpr_msb 0                        ;  msbs: dst=0 src0=0 src1=0 src2=0
	v_mad_i32_i24 v4, v209, v21, v4
	s_delay_alu instid0(VALU_DEP_1) | instskip(NEXT) | instid1(VALU_DEP_1)
	v_dot4_i32_iu8 v4, v233, v9, v4 neg_lo:[1,1,0]
	v_dot4_i32_iu8 v10, v236, v10, v4 neg_lo:[1,1,0]
	v_mul_i32_i24_e32 v4, v22, v217
	s_delay_alu instid0(VALU_DEP_1) | instskip(NEXT) | instid1(VALU_DEP_1)
	v_dot4_i32_iu8 v4, v5, v218, v4 neg_lo:[1,1,0]
	v_dot4_i32_iu8 v4, v6, v0, v4 neg_lo:[1,1,0]
	s_delay_alu instid0(VALU_DEP_1) | instskip(NEXT) | instid1(VALU_DEP_1)
	v_dot4_i32_iu8 v4, v7, v1, v4 neg_lo:[1,1,0]
	v_dot4_i32_iu8 v4, v8, v2, v4 neg_lo:[1,1,0]
	s_delay_alu instid0(VALU_DEP_1) | instskip(NEXT) | instid1(VALU_DEP_1)
	v_dot4_i32_iu8 v4, v12, v3, v4 neg_lo:[1,1,0]
	v_mad_i32_i24 v4, v216, v23, v4
	s_delay_alu instid0(VALU_DEP_1) | instskip(NEXT) | instid1(VALU_DEP_1)
	v_dot4_i32_iu8 v4, v237, v17, v4 neg_lo:[1,1,0]
	v_dot4_i32_iu8 v18, v238, v18, v4 neg_lo:[1,1,0]
	v_or_b32_e32 v4, s7, v184
	s_delay_alu instid0(VALU_DEP_1)
	v_dual_lshlrev_b32 v8, 2, v4 :: v_dual_lshrrev_b32 v16, 1, v4
	ds_load_b128 v[4:7], v8 offset:33280
	ds_load_b128 v[12:15], v8 offset:33296
	;; [unrolled: 1-line block ×4, first 2 shown]
	ds_load_b64 v[16:17], v16 offset:43584
	s_wait_dscnt 0x4
	s_set_vgpr_msb 64                       ;  msbs: dst=1 src0=0 src1=0 src2=0
	v_bfe_i32 v22 /*v278*/, v4, 0, 8
	v_perm_b32 v26 /*v282*/, v4, v4, 0xc0c0201
	v_perm_b32 v27 /*v283*/, v5, v4, 0x6050403
	;; [unrolled: 1-line block ×4, first 2 shown]
	s_set_vgpr_msb 1                        ;  msbs: dst=0 src0=1 src1=0 src2=0
	v_mul_i32_i24_e32 v8, v22 /*v278*/, v250
	s_wait_dscnt 0x3
	s_set_vgpr_msb 64                       ;  msbs: dst=1 src0=0 src1=0 src2=0
	v_perm_b32 v30 /*v286*/, v12, v7, 0x6050403
	v_ashrrev_i32_e32 v23 /*v279*/, 24, v12
	s_wait_dscnt 0x0
	v_cvt_f32_f16_e64 v9 /*v265*/, v16
	v_cvt_f32_f16_e64 v13 /*v269*/, v17
	s_set_vgpr_msb 1                        ;  msbs: dst=0 src0=1 src1=0 src2=0
	v_dot4_i32_iu8 v8, v26 /*v282*/, v251, v8 neg_lo:[1,1,0]
	s_set_vgpr_msb 0                        ;  msbs: dst=0 src0=0 src1=0 src2=0
	v_dot4_i32_iu8 v4, v4, v148, 0 neg_lo:[1,1,0]
	s_set_vgpr_msb 64                       ;  msbs: dst=1 src0=0 src1=0 src2=0
	v_bfe_i32 v24 /*v280*/, v20, 0, 8
	v_ashrrev_i32_e32 v25 /*v281*/, 24, v24
	s_set_vgpr_msb 1                        ;  msbs: dst=0 src0=1 src1=0 src2=0
	v_dot4_i32_iu8 v8, v27 /*v283*/, v252, v8 neg_lo:[1,1,0]
	s_set_vgpr_msb 0                        ;  msbs: dst=0 src0=0 src1=0 src2=0
	v_dot4_i32_iu8 v4, v5, v149, v4 neg_lo:[1,1,0]
	s_set_vgpr_msb 1                        ;  msbs: dst=0 src0=1 src1=0 src2=0
	v_mul_i32_i24_e32 v5, v24 /*v280*/, v240
	v_dot4_i32_iu8 v8, v28 /*v284*/, v253, v8 neg_lo:[1,1,0]
	s_set_vgpr_msb 0                        ;  msbs: dst=0 src0=0 src1=0 src2=0
	v_dot4_i32_iu8 v4, v6, v146, v4 neg_lo:[1,1,0]
	s_set_vgpr_msb 1                        ;  msbs: dst=0 src0=1 src1=0 src2=0
	s_delay_alu instid0(VALU_DEP_2) | instskip(SKIP_1) | instid1(VALU_DEP_2)
	v_dot4_i32_iu8 v8, v29 /*v285*/, v254, v8 neg_lo:[1,1,0]
	s_set_vgpr_msb 0                        ;  msbs: dst=0 src0=0 src1=0 src2=0
	v_dot4_i32_iu8 v4, v7, v147, v4 neg_lo:[1,1,0]
	s_set_vgpr_msb 1                        ;  msbs: dst=0 src0=1 src1=0 src2=0
	s_delay_alu instid0(VALU_DEP_2) | instskip(SKIP_1) | instid1(VALU_DEP_2)
	v_dot4_i32_iu8 v8, v30 /*v286*/, v255, v8 neg_lo:[1,1,0]
	s_set_vgpr_msb 0                        ;  msbs: dst=0 src0=0 src1=0 src2=0
	v_dot4_i32_iu8 v4, v12, v144, v4 neg_lo:[1,1,0]
	v_perm_b32 v12, v20, v20, 0xc0c0201
	s_set_vgpr_msb 4                        ;  msbs: dst=0 src0=0 src1=1 src2=0
	v_mad_i32_i24 v8, v249, v23 /*v279*/, v8
	s_set_vgpr_msb 0                        ;  msbs: dst=0 src0=0 src1=0 src2=0
	v_dot4_i32_iu8 v4, v13, v145, v4 neg_lo:[1,1,0]
	v_dot4_i32_iu8 v5, v12, v232, v5 neg_lo:[1,1,0]
	s_set_vgpr_msb 1                        ;  msbs: dst=0 src0=1 src1=0 src2=0
	v_dot4_i32_iu8 v8, v5 /*v261*/, v13, v8 neg_lo:[1,1,0]
	s_set_vgpr_msb 0                        ;  msbs: dst=0 src0=0 src1=0 src2=0
	v_dot4_i32_iu8 v4, v14, v132, v4 neg_lo:[1,1,0]
	s_set_vgpr_msb 0x41                     ;  msbs: dst=1 src0=1 src1=0 src2=0
	s_delay_alu instid0(VALU_DEP_2) | instskip(SKIP_3) | instid1(VALU_DEP_2)
	v_dot4_i32_iu8 v15 /*v271*/, v6 /*v262*/, v14, v8 neg_lo:[1,1,0]
	s_set_vgpr_msb 0                        ;  msbs: dst=0 src0=0 src1=0 src2=0
	v_dot4_i32_iu8 v8, v152, v20, 0 neg_lo:[1,1,0]
	v_dot4_i32_iu8 v4, v15, v133, v4 neg_lo:[1,1,0]
	;; [unrolled: 1-line block ×3, first 2 shown]
	s_delay_alu instid0(VALU_DEP_2) | instskip(NEXT) | instid1(VALU_DEP_2)
	v_mul_lo_u32 v4, v4, v223
	v_dot4_i32_iu8 v8, v154, v22, v8 neg_lo:[1,1,0]
	s_delay_alu instid0(VALU_DEP_1) | instskip(NEXT) | instid1(VALU_DEP_1)
	v_dot4_i32_iu8 v8, v155, v23, v8 neg_lo:[1,1,0]
	v_dot4_i32_iu8 v8, v156, v24, v8 neg_lo:[1,1,0]
	s_delay_alu instid0(VALU_DEP_1) | instskip(SKIP_1) | instid1(VALU_DEP_1)
	v_dot4_i32_iu8 v8, v157, v25, v8 neg_lo:[1,1,0]
	s_set_vgpr_msb 64                       ;  msbs: dst=1 src0=0 src1=0 src2=0
	v_dot4_i32_iu8 v17 /*v273*/, v134, v26, v8 neg_lo:[1,1,0]
	s_set_vgpr_msb 1                        ;  msbs: dst=0 src0=1 src1=0 src2=0
	ds_load_b64 v[8:9], v7 /*v263*/ offset:43584
	s_wait_dscnt 0x0
	s_set_vgpr_msb 64                       ;  msbs: dst=1 src0=0 src1=0 src2=0
	v_lshrrev_b32_e32 v7 /*v263*/, 16, v8
	v_cvt_f32_f16_e64 v8 /*v264*/, v8
	s_set_vgpr_msb 0                        ;  msbs: dst=0 src0=0 src1=0 src2=0
	v_lshrrev_b32_e32 v8, 16, v16
	s_set_vgpr_msb 64                       ;  msbs: dst=1 src0=0 src1=0 src2=0
	v_cvt_f32_f16_e64 v12 /*v268*/, v9
	s_set_vgpr_msb 20                       ;  msbs: dst=0 src0=0 src1=1 src2=1
	v_dot4_i32_iu8 v16, v15, v0 /*v256*/, v15 /*v271*/ neg_lo:[1,1,0]
	s_set_vgpr_msb 0x41                     ;  msbs: dst=1 src0=1 src1=0 src2=0
	v_cvt_f32_f16_e64 v10 /*v266*/, v7 /*v263*/
	s_set_vgpr_msb 64                       ;  msbs: dst=1 src0=0 src1=0 src2=0
	v_cvt_f32_f16_e64 v11 /*v267*/, v8
	s_set_vgpr_msb 0                        ;  msbs: dst=0 src0=0 src1=0 src2=0
	v_lshrrev_b32_e32 v8, 16, v9
	v_lshrrev_b32_e32 v9, 16, v17
	s_set_vgpr_msb 20                       ;  msbs: dst=0 src0=0 src1=1 src2=1
	v_dot4_i32_iu8 v17, v11, v0 /*v256*/, v14 /*v270*/ neg_lo:[1,1,0]
	s_set_vgpr_msb 0                        ;  msbs: dst=0 src0=0 src1=0 src2=0
	v_mul_lo_u32 v16, v16, v203
	s_set_vgpr_msb 0x44                     ;  msbs: dst=1 src0=0 src1=1 src2=0
	v_pk_fma_f32 v[14:15] /*v[270:271]*/, v[136:137], v[10:11] /*v[266:267]*/, 0 op_sel_hi:[0,1,0]
	s_set_vgpr_msb 0                        ;  msbs: dst=0 src0=0 src1=0 src2=0
	v_cvt_f32_f16_e32 v8, v8
	v_cvt_f32_f16_e32 v9, v9
	s_set_vgpr_msb 0x50                     ;  msbs: dst=1 src0=0 src1=0 src2=1
	v_mul_lo_u32 v7 /*v263*/, v17, v203
	s_delay_alu instid0(VALU_DEP_2) | instskip(SKIP_3) | instid1(VALU_DEP_2)
	v_pk_fma_f32 v[14:15] /*v[270:271]*/, v[130:131], v[8:9], v[14:15] /*v[270:271]*/ op_sel_hi:[0,1,1]
	s_set_vgpr_msb 0                        ;  msbs: dst=0 src0=0 src1=0 src2=0
	v_cvt_f32_i32_e32 v17, v16
	s_set_vgpr_msb 0x41                     ;  msbs: dst=1 src0=1 src1=0 src2=0
	v_pk_mul_f32 v[14:15] /*v[270:271]*/, v[14:15] /*v[270:271]*/, v[118:119]
	s_set_vgpr_msb 1                        ;  msbs: dst=0 src0=1 src1=0 src2=0
	s_delay_alu instid0(VALU_DEP_4) | instskip(SKIP_3) | instid1(VALU_DEP_2)
	v_cvt_f32_i32_e32 v16, v7 /*v263*/
	s_set_vgpr_msb 0x50                     ;  msbs: dst=1 src0=0 src1=0 src2=1
	v_dot4_i32_iu8 v7 /*v263*/, v27, v135, v17 /*v273*/ neg_lo:[1,1,0]
	s_set_vgpr_msb 1                        ;  msbs: dst=0 src0=1 src1=0 src2=0
	v_pk_fma_f32 v[16:17], v[8:9] /*v[264:265]*/, v[16:17], 0 op_sel_hi:[1,1,0]
	s_set_vgpr_msb 0x41                     ;  msbs: dst=1 src0=1 src1=0 src2=0
	s_delay_alu instid0(VALU_DEP_2) | instskip(NEXT) | instid1(VALU_DEP_1)
	v_mul_lo_u32 v7 /*v263*/, v7 /*v263*/, v151
	v_cvt_f32_i32_e32 v17 /*v273*/, v7 /*v263*/
	s_set_vgpr_msb 5                        ;  msbs: dst=0 src0=1 src1=1 src2=0
	s_delay_alu instid0(VALU_DEP_1) | instskip(SKIP_3) | instid1(VALU_DEP_2)
	v_pk_fma_f32 v[16:17], v[12:13] /*v[268:269]*/, v[16:17] /*v[272:273]*/, v[16:17]
	s_set_vgpr_msb 0x54                     ;  msbs: dst=1 src0=0 src1=1 src2=1
	v_dot4_i32_iu8 v16 /*v272*/, v19, v2 /*v258*/, v19 /*v275*/ neg_lo:[1,1,0]
	s_set_vgpr_msb 16                       ;  msbs: dst=0 src0=0 src1=0 src2=1
	v_pk_fma_f32 v[16:17], v[16:17], v[110:111], v[14:15] /*v[270:271]*/ neg_lo:[0,0,1] neg_hi:[0,0,1]
	s_set_vgpr_msb 0x41                     ;  msbs: dst=1 src0=1 src1=0 src2=0
	s_delay_alu instid0(VALU_DEP_2) | instskip(SKIP_1) | instid1(VALU_DEP_2)
	v_mul_lo_u32 v16 /*v272*/, v16 /*v272*/, v241
	s_set_vgpr_msb 0                        ;  msbs: dst=0 src0=0 src1=0 src2=0
	v_pk_add_f32 v[54:55], v[54:55], v[16:17]
	s_set_vgpr_msb 1                        ;  msbs: dst=0 src0=1 src1=0 src2=0
	v_mul_i32_i24_e32 v16, v22 /*v278*/, v220
	s_set_vgpr_msb 0                        ;  msbs: dst=0 src0=0 src1=0 src2=0
	v_dot4_i32_iu8 v17, v20, v205, 0 neg_lo:[1,1,0]
	v_perm_b32 v20, v21, v20, 0x6050403
	s_set_vgpr_msb 1                        ;  msbs: dst=0 src0=1 src1=0 src2=0
	v_dot4_i32_iu8 v16, v26 /*v282*/, v221, v16 neg_lo:[1,1,0]
	s_set_vgpr_msb 0                        ;  msbs: dst=0 src0=0 src1=0 src2=0
	v_dot4_i32_iu8 v17, v21, v206, v17 neg_lo:[1,1,0]
	v_dot4_i32_iu8 v5, v20, v234, v5 neg_lo:[1,1,0]
	v_perm_b32 v21, v22, v21, 0x6050403
	s_set_vgpr_msb 0x41                     ;  msbs: dst=1 src0=1 src1=0 src2=0
	v_cvt_f32_i32_e32 v16 /*v272*/, v16 /*v272*/
	s_set_vgpr_msb 1                        ;  msbs: dst=0 src0=1 src1=0 src2=0
	v_dot4_i32_iu8 v16, v27 /*v283*/, v224, v16 neg_lo:[1,1,0]
	s_set_vgpr_msb 0                        ;  msbs: dst=0 src0=0 src1=0 src2=0
	v_dot4_i32_iu8 v17, v22, v242, v17 neg_lo:[1,1,0]
	v_perm_b32 v22, v23, v22, 0x6050403
	v_dot4_i32_iu8 v5, v21, v235, v5 neg_lo:[1,1,0]
	s_set_vgpr_msb 1                        ;  msbs: dst=0 src0=1 src1=0 src2=0
	v_dot4_i32_iu8 v16, v28 /*v284*/, v225, v16 neg_lo:[1,1,0]
	s_set_vgpr_msb 0                        ;  msbs: dst=0 src0=0 src1=0 src2=0
	v_dot4_i32_iu8 v17, v23, v243, v17 neg_lo:[1,1,0]
	v_perm_b32 v23, v24, v23, 0x6050403
	v_dot4_i32_iu8 v5, v22, v230, v5 neg_lo:[1,1,0]
	s_set_vgpr_msb 1                        ;  msbs: dst=0 src0=1 src1=0 src2=0
	v_dot4_i32_iu8 v16, v29 /*v285*/, v226, v16 neg_lo:[1,1,0]
	s_set_vgpr_msb 0                        ;  msbs: dst=0 src0=0 src1=0 src2=0
	v_dot4_i32_iu8 v17, v24, v244, v17 neg_lo:[1,1,0]
	v_dot4_i32_iu8 v5, v23, v229, v5 neg_lo:[1,1,0]
	s_set_vgpr_msb 1                        ;  msbs: dst=0 src0=1 src1=0 src2=0
	v_dot4_i32_iu8 v16, v30 /*v286*/, v227, v16 neg_lo:[1,1,0]
	s_set_vgpr_msb 0                        ;  msbs: dst=0 src0=0 src1=0 src2=0
	v_dot4_i32_iu8 v17, v25, v245, v17 neg_lo:[1,1,0]
	s_set_vgpr_msb 4                        ;  msbs: dst=0 src0=0 src1=1 src2=0
	v_mad_i32_i24 v5, v228, v25 /*v281*/, v5
	v_mad_i32_i24 v16, v222, v23 /*v279*/, v16
	s_set_vgpr_msb 64                       ;  msbs: dst=1 src0=0 src1=0 src2=0
	v_dot4_i32_iu8 v7 /*v263*/, v26, v246, v17 neg_lo:[1,1,0]
	s_set_vgpr_msb 20                       ;  msbs: dst=0 src0=0 src1=1 src2=1
	v_dot4_i32_iu8 v17, v11, v1 /*v257*/, v18 /*v274*/ neg_lo:[1,1,0]
	s_set_vgpr_msb 0                        ;  msbs: dst=0 src0=0 src1=0 src2=0
	v_dot4_i32_iu8 v5, v247, v25, v5 neg_lo:[1,1,0]
	s_set_vgpr_msb 1                        ;  msbs: dst=0 src0=1 src1=0 src2=0
	v_dot4_i32_iu8 v16, v3 /*v259*/, v13, v16 neg_lo:[1,1,0]
	s_set_vgpr_msb 0x54                     ;  msbs: dst=1 src0=0 src1=1 src2=1
	v_dot4_i32_iu8 v7 /*v263*/, v27, v2 /*v258*/, v7 /*v263*/ neg_lo:[1,1,0]
	s_set_vgpr_msb 64                       ;  msbs: dst=1 src0=0 src1=0 src2=0
	v_mul_lo_u32 v14 /*v270*/, v17, v204
	s_set_vgpr_msb 1                        ;  msbs: dst=0 src0=1 src1=0 src2=0
	v_dot4_i32_iu8 v16, v4 /*v260*/, v14, v16 neg_lo:[1,1,0]
	s_set_vgpr_msb 0x41                     ;  msbs: dst=1 src0=1 src1=0 src2=0
	v_mul_lo_u32 v7 /*v263*/, v7 /*v263*/, v241
	s_set_vgpr_msb 4                        ;  msbs: dst=0 src0=0 src1=1 src2=0
	s_delay_alu instid0(VALU_DEP_2) | instskip(SKIP_1) | instid1(VALU_DEP_1)
	v_dot4_i32_iu8 v16, v15, v1 /*v257*/, v16 neg_lo:[1,1,0]
	s_set_vgpr_msb 0                        ;  msbs: dst=0 src0=0 src1=0 src2=0
	v_mul_lo_u32 v16, v16, v204
	s_set_vgpr_msb 0x41                     ;  msbs: dst=1 src0=1 src1=0 src2=0
	s_delay_alu instid0(VALU_DEP_3) | instskip(SKIP_1) | instid1(VALU_DEP_2)
	v_cvt_f32_i32_e32 v17 /*v273*/, v7 /*v263*/
	s_set_vgpr_msb 0                        ;  msbs: dst=0 src0=0 src1=0 src2=0
	v_cvt_f32_i32_e32 v17, v16
	s_set_vgpr_msb 1                        ;  msbs: dst=0 src0=1 src1=0 src2=0
	v_cvt_f32_i32_e32 v16, v14 /*v270*/
	s_set_vgpr_msb 0x44                     ;  msbs: dst=1 src0=0 src1=1 src2=0
	v_pk_fma_f32 v[14:15] /*v[270:271]*/, v[140:141], v[10:11] /*v[266:267]*/, 0 op_sel_hi:[0,1,0]
	s_set_vgpr_msb 1                        ;  msbs: dst=0 src0=1 src1=0 src2=0
	s_delay_alu instid0(VALU_DEP_2) | instskip(SKIP_1) | instid1(VALU_DEP_2)
	v_pk_fma_f32 v[16:17], v[8:9] /*v[264:265]*/, v[16:17], 0 op_sel_hi:[1,1,0]
	s_set_vgpr_msb 0x50                     ;  msbs: dst=1 src0=0 src1=0 src2=1
	v_pk_fma_f32 v[14:15] /*v[270:271]*/, v[150:151], v[8:9], v[14:15] /*v[270:271]*/ op_sel_hi:[0,1,1]
	s_set_vgpr_msb 5                        ;  msbs: dst=0 src0=1 src1=1 src2=0
	s_delay_alu instid0(VALU_DEP_2) | instskip(SKIP_1) | instid1(VALU_DEP_2)
	v_pk_fma_f32 v[16:17], v[12:13] /*v[268:269]*/, v[16:17] /*v[272:273]*/, v[16:17]
	s_set_vgpr_msb 0x41                     ;  msbs: dst=1 src0=1 src1=0 src2=0
	v_pk_mul_f32 v[14:15] /*v[270:271]*/, v[14:15] /*v[270:271]*/, v[120:121]
	s_set_vgpr_msb 16                       ;  msbs: dst=0 src0=0 src1=0 src2=1
	s_delay_alu instid0(VALU_DEP_1) | instskip(NEXT) | instid1(VALU_DEP_1)
	v_pk_fma_f32 v[16:17], v[16:17], v[112:113], v[14:15] /*v[270:271]*/ neg_lo:[0,0,1] neg_hi:[0,0,1]
	v_pk_add_f32 v[52:53], v[52:53], v[16:17]
	s_set_vgpr_msb 0                        ;  msbs: dst=0 src0=0 src1=0 src2=0
	v_dot4_i32_iu8 v16, v248, v26, v5 neg_lo:[1,1,0]
	s_set_vgpr_msb 16                       ;  msbs: dst=0 src0=0 src1=0 src2=1
	v_dot4_i32_iu8 v5, v11, v133, v20 /*v276*/ neg_lo:[1,1,0]
	v_dot4_i32_iu8 v17, v19, v231, v21 /*v277*/ neg_lo:[1,1,0]
	s_set_vgpr_msb 0                        ;  msbs: dst=0 src0=0 src1=0 src2=0
	v_dot4_i32_iu8 v16, v27, v231, v16 neg_lo:[1,1,0]
	s_delay_alu instid0(VALU_DEP_3) | instskip(NEXT) | instid1(VALU_DEP_3)
	v_mul_lo_u32 v6, v5, v223
	v_mul_lo_u32 v24, v17, v210
	v_cvt_f32_i32_e32 v5, v4
	s_delay_alu instid0(VALU_DEP_4) | instskip(NEXT) | instid1(VALU_DEP_4)
	v_mul_lo_u32 v16, v16, v210
	v_cvt_f32_i32_e32 v4, v6
	s_set_vgpr_msb 4                        ;  msbs: dst=0 src0=0 src1=1 src2=0
	v_pk_fma_f32 v[6:7], v[138:139], v[10:11] /*v[266:267]*/, 0 op_sel_hi:[0,1,0]
	s_delay_alu instid0(VALU_DEP_3)
	v_cvt_f32_i32_e32 v17, v16
	s_set_vgpr_msb 1                        ;  msbs: dst=0 src0=1 src1=0 src2=0
	v_pk_fma_f32 v[4:5], v[8:9] /*v[264:265]*/, v[4:5], 0 op_sel_hi:[1,1,0]
	s_set_vgpr_msb 0                        ;  msbs: dst=0 src0=0 src1=0 src2=0
	v_cvt_f32_i32_e32 v16, v24
	v_pk_fma_f32 v[6:7], v[142:143], v[8:9], v[6:7] op_sel_hi:[0,1,1]
	s_set_vgpr_msb 1                        ;  msbs: dst=0 src0=1 src1=0 src2=0
	s_delay_alu instid0(VALU_DEP_2) | instskip(SKIP_1) | instid1(VALU_DEP_2)
	v_pk_fma_f32 v[4:5], v[12:13] /*v[268:269]*/, v[16:17], v[4:5]
	s_set_vgpr_msb 0                        ;  msbs: dst=0 src0=0 src1=0 src2=0
	v_pk_mul_f32 v[6:7], v[6:7], v[122:123]
	s_delay_alu instid0(VALU_DEP_1) | instskip(NEXT) | instid1(VALU_DEP_1)
	v_pk_fma_f32 v[4:5], v[4:5], v[114:115], v[6:7] neg_lo:[0,0,1] neg_hi:[0,0,1]
	v_pk_add_f32 v[50:51], v[50:51], v[4:5]
	s_set_vgpr_msb 1                        ;  msbs: dst=0 src0=1 src1=0 src2=0
	v_mul_i32_i24_e32 v4, v22 /*v278*/, v207
	v_mul_i32_i24_e32 v5, v24 /*v280*/, v217
	s_delay_alu instid0(VALU_DEP_2) | instskip(SKIP_1) | instid1(VALU_DEP_2)
	v_dot4_i32_iu8 v4, v26 /*v282*/, v208, v4 neg_lo:[1,1,0]
	s_set_vgpr_msb 0                        ;  msbs: dst=0 src0=0 src1=0 src2=0
	v_dot4_i32_iu8 v5, v12, v218, v5 neg_lo:[1,1,0]
	s_set_vgpr_msb 1                        ;  msbs: dst=0 src0=1 src1=0 src2=0
	s_delay_alu instid0(VALU_DEP_2) | instskip(SKIP_1) | instid1(VALU_DEP_2)
	v_dot4_i32_iu8 v4, v27 /*v283*/, v211, v4 neg_lo:[1,1,0]
	s_set_vgpr_msb 0                        ;  msbs: dst=0 src0=0 src1=0 src2=0
	v_dot4_i32_iu8 v5, v20, v0, v5 neg_lo:[1,1,0]
	s_set_vgpr_msb 1                        ;  msbs: dst=0 src0=1 src1=0 src2=0
	;; [unrolled: 5-line block ×5, first 2 shown]
	s_delay_alu instid0(VALU_DEP_2) | instskip(NEXT) | instid1(VALU_DEP_2)
	v_mad_i32_i24 v4, v209, v23 /*v279*/, v4
	v_mad_i32_i24 v5, v216, v25 /*v281*/, v5
	s_set_vgpr_msb 0                        ;  msbs: dst=0 src0=0 src1=0 src2=0
	s_delay_alu instid0(VALU_DEP_2) | instskip(NEXT) | instid1(VALU_DEP_2)
	v_dot4_i32_iu8 v4, v233, v13, v4 neg_lo:[1,1,0]
	v_dot4_i32_iu8 v5, v237, v25, v5 neg_lo:[1,1,0]
	s_delay_alu instid0(VALU_DEP_2) | instskip(NEXT) | instid1(VALU_DEP_2)
	v_dot4_i32_iu8 v4, v236, v14, v4 neg_lo:[1,1,0]
	v_dot4_i32_iu8 v12, v238, v26, v5 neg_lo:[1,1,0]
	v_dot4_i32_iu8 v5, v11, v239, v10 neg_lo:[1,1,0]
	v_dot4_i32_iu8 v11, v19, v219, v18 neg_lo:[1,1,0]
	s_delay_alu instid0(VALU_DEP_4) | instskip(NEXT) | instid1(VALU_DEP_4)
	v_dot4_i32_iu8 v4, v15, v239, v4 neg_lo:[1,1,0]
	v_dot4_i32_iu8 v10, v27, v219, v12 neg_lo:[1,1,0]
	s_delay_alu instid0(VALU_DEP_4) | instskip(NEXT) | instid1(VALU_DEP_4)
	v_mul_lo_u32 v6, v5, v214
	v_mul_lo_u32 v12, v11, v141
	s_delay_alu instid0(VALU_DEP_4) | instskip(NEXT) | instid1(VALU_DEP_4)
	v_mul_lo_u32 v4, v4, v214
	v_mul_lo_u32 v10, v10, v141
	s_delay_alu instid0(VALU_DEP_2) | instskip(SKIP_3) | instid1(VALU_DEP_4)
	v_cvt_f32_i32_e32 v5, v4
	v_cvt_f32_i32_e32 v4, v6
	s_set_vgpr_msb 4                        ;  msbs: dst=0 src0=0 src1=1 src2=0
	v_pk_fma_f32 v[6:7], v[128:129], v[10:11] /*v[266:267]*/, 0 op_sel_hi:[0,1,0]
	v_cvt_f32_i32_e32 v11, v10
	v_cvt_f32_i32_e32 v10, v12
	s_set_vgpr_msb 1                        ;  msbs: dst=0 src0=1 src1=0 src2=0
	v_pk_fma_f32 v[4:5], v[8:9] /*v[264:265]*/, v[4:5], 0 op_sel_hi:[1,1,0]
	s_set_vgpr_msb 0                        ;  msbs: dst=0 src0=0 src1=0 src2=0
	v_pk_fma_f32 v[6:7], v[126:127], v[8:9], v[6:7] op_sel_hi:[0,1,1]
	s_set_vgpr_msb 1                        ;  msbs: dst=0 src0=1 src1=0 src2=0
	s_delay_alu instid0(VALU_DEP_2) | instskip(SKIP_1) | instid1(VALU_DEP_2)
	v_pk_fma_f32 v[4:5], v[12:13] /*v[268:269]*/, v[10:11], v[4:5]
	s_set_vgpr_msb 0                        ;  msbs: dst=0 src0=0 src1=0 src2=0
	v_pk_mul_f32 v[6:7], v[6:7], v[124:125]
	s_delay_alu instid0(VALU_DEP_1) | instskip(NEXT) | instid1(VALU_DEP_1)
	v_pk_fma_f32 v[4:5], v[4:5], v[116:117], v[6:7] neg_lo:[0,0,1] neg_hi:[0,0,1]
	v_pk_add_f32 v[48:49], v[48:49], v[4:5]
	v_or_b32_e32 v4, s7, v185
	s_delay_alu instid0(VALU_DEP_1)
	v_lshlrev_b32_e32 v16, 2, v4
	s_set_vgpr_msb 64                       ;  msbs: dst=1 src0=0 src1=0 src2=0
	v_lshrrev_b32_e32 v7 /*v263*/, 1, v4
	s_set_vgpr_msb 0                        ;  msbs: dst=0 src0=0 src1=0 src2=0
	ds_load_b128 v[4:7], v16 offset:33280
	ds_load_b128 v[8:11], v16 offset:33296
	;; [unrolled: 1-line block ×4, first 2 shown]
	s_wait_dscnt 0x3
	v_bfe_i32 v20, v4, 0, 8
	v_perm_b32 v25, v4, v4, 0xc0c0201
	v_perm_b32 v26, v5, v4, 0x6050403
	;; [unrolled: 1-line block ×3, first 2 shown]
	s_set_vgpr_msb 64                       ;  msbs: dst=1 src0=0 src1=0 src2=0
	v_perm_b32 v8 /*v264*/, v7, v6, 0x6050403
	s_set_vgpr_msb 0                        ;  msbs: dst=0 src0=0 src1=0 src2=0
	v_mul_i32_i24_e32 v24, v20, v250
	s_wait_dscnt 0x2
	s_set_vgpr_msb 64                       ;  msbs: dst=1 src0=0 src1=0 src2=0
	v_perm_b32 v9 /*v265*/, v8, v7, 0x6050403
	s_set_vgpr_msb 0                        ;  msbs: dst=0 src0=0 src1=0 src2=0
	v_ashrrev_i32_e32 v21, 24, v8
	v_dot4_i32_iu8 v4, v4, v148, 0 neg_lo:[1,1,0]
	s_wait_dscnt 0x1
	v_bfe_i32 v22, v12, 0, 8
	v_dot4_i32_iu8 v24, v25, v251, v24 neg_lo:[1,1,0]
	s_wait_dscnt 0x0
	v_ashrrev_i32_e32 v23, 24, v16
	v_dot4_i32_iu8 v4, v5, v149, v4 neg_lo:[1,1,0]
	v_perm_b32 v5, v12, v12, 0xc0c0201
	v_dot4_i32_iu8 v24, v26, v252, v24 neg_lo:[1,1,0]
	s_delay_alu instid0(VALU_DEP_3) | instskip(SKIP_1) | instid1(VALU_DEP_3)
	v_dot4_i32_iu8 v4, v6, v146, v4 neg_lo:[1,1,0]
	v_perm_b32 v6, v13, v12, 0x6050403
	v_dot4_i32_iu8 v24, v27, v253, v24 neg_lo:[1,1,0]
	s_delay_alu instid0(VALU_DEP_3) | instskip(SKIP_2) | instid1(VALU_DEP_3)
	v_dot4_i32_iu8 v4, v7, v147, v4 neg_lo:[1,1,0]
	v_perm_b32 v7, v14, v13, 0x6050403
	s_set_vgpr_msb 1                        ;  msbs: dst=0 src0=1 src1=0 src2=0
	v_dot4_i32_iu8 v24, v8 /*v264*/, v254, v24 neg_lo:[1,1,0]
	s_set_vgpr_msb 0                        ;  msbs: dst=0 src0=0 src1=0 src2=0
	v_dot4_i32_iu8 v4, v8, v144, v4 neg_lo:[1,1,0]
	v_perm_b32 v8, v15, v14, 0x6050403
	s_set_vgpr_msb 1                        ;  msbs: dst=0 src0=1 src1=0 src2=0
	v_dot4_i32_iu8 v24, v9 /*v265*/, v255, v24 neg_lo:[1,1,0]
	s_set_vgpr_msb 0                        ;  msbs: dst=0 src0=0 src1=0 src2=0
	v_dot4_i32_iu8 v4, v9, v145, v4 neg_lo:[1,1,0]
	s_delay_alu instid0(VALU_DEP_2) | instskip(SKIP_1) | instid1(VALU_DEP_2)
	v_mad_i32_i24 v24, v249, v21, v24
	s_set_vgpr_msb 64                       ;  msbs: dst=1 src0=0 src1=0 src2=0
	v_dot4_i32_iu8 v20 /*v276*/, v10, v132, v4 neg_lo:[1,1,0]
	s_set_vgpr_msb 0                        ;  msbs: dst=0 src0=0 src1=0 src2=0
	v_mul_i32_i24_e32 v4, v22, v240
	s_set_vgpr_msb 1                        ;  msbs: dst=0 src0=1 src1=0 src2=0
	v_dot4_i32_iu8 v24, v5 /*v261*/, v9, v24 neg_lo:[1,1,0]
	s_set_vgpr_msb 0                        ;  msbs: dst=0 src0=0 src1=0 src2=0
	s_delay_alu instid0(VALU_DEP_2) | instskip(SKIP_1) | instid1(VALU_DEP_2)
	v_dot4_i32_iu8 v4, v5, v232, v4 neg_lo:[1,1,0]
	s_set_vgpr_msb 0x41                     ;  msbs: dst=1 src0=1 src1=0 src2=0
	v_dot4_i32_iu8 v14 /*v270*/, v6 /*v262*/, v10, v24 neg_lo:[1,1,0]
	s_set_vgpr_msb 0                        ;  msbs: dst=0 src0=0 src1=0 src2=0
	v_dot4_i32_iu8 v24, v152, v12, 0 neg_lo:[1,1,0]
	v_dot4_i32_iu8 v4, v6, v234, v4 neg_lo:[1,1,0]
	s_delay_alu instid0(VALU_DEP_2) | instskip(NEXT) | instid1(VALU_DEP_2)
	v_dot4_i32_iu8 v24, v153, v13, v24 neg_lo:[1,1,0]
	v_dot4_i32_iu8 v4, v7, v235, v4 neg_lo:[1,1,0]
	s_delay_alu instid0(VALU_DEP_2) | instskip(NEXT) | instid1(VALU_DEP_2)
	v_dot4_i32_iu8 v24, v154, v14, v24 neg_lo:[1,1,0]
	v_dot4_i32_iu8 v4, v8, v230, v4 neg_lo:[1,1,0]
	s_delay_alu instid0(VALU_DEP_2) | instskip(NEXT) | instid1(VALU_DEP_1)
	v_dot4_i32_iu8 v24, v155, v15, v24 neg_lo:[1,1,0]
	v_dot4_i32_iu8 v24, v156, v16, v24 neg_lo:[1,1,0]
	s_delay_alu instid0(VALU_DEP_1) | instskip(SKIP_1) | instid1(VALU_DEP_1)
	v_dot4_i32_iu8 v24, v157, v17, v24 neg_lo:[1,1,0]
	s_set_vgpr_msb 64                       ;  msbs: dst=1 src0=0 src1=0 src2=0
	v_dot4_i32_iu8 v16 /*v272*/, v134, v18, v24 neg_lo:[1,1,0]
	s_set_vgpr_msb 0                        ;  msbs: dst=0 src0=0 src1=0 src2=0
	v_mul_i32_i24_e32 v24, v20, v220
	s_set_vgpr_msb 0x50                     ;  msbs: dst=1 src0=0 src1=0 src2=1
	s_delay_alu instid0(VALU_DEP_2) | instskip(SKIP_1) | instid1(VALU_DEP_2)
	v_dot4_i32_iu8 v16 /*v272*/, v19, v135, v16 /*v272*/ neg_lo:[1,1,0]
	s_set_vgpr_msb 0                        ;  msbs: dst=0 src0=0 src1=0 src2=0
	v_dot4_i32_iu8 v24, v25, v221, v24 neg_lo:[1,1,0]
	s_set_vgpr_msb 0x41                     ;  msbs: dst=1 src0=1 src1=0 src2=0
	s_delay_alu instid0(VALU_DEP_2) | instskip(SKIP_1) | instid1(VALU_DEP_2)
	v_mul_lo_u32 v16 /*v272*/, v16 /*v272*/, v151
	s_set_vgpr_msb 0                        ;  msbs: dst=0 src0=0 src1=0 src2=0
	v_dot4_i32_iu8 v24, v26, v224, v24 neg_lo:[1,1,0]
	s_delay_alu instid0(VALU_DEP_1) | instskip(SKIP_1) | instid1(VALU_DEP_1)
	v_dot4_i32_iu8 v24, v27, v225, v24 neg_lo:[1,1,0]
	s_set_vgpr_msb 1                        ;  msbs: dst=0 src0=1 src1=0 src2=0
	v_dot4_i32_iu8 v24, v8 /*v264*/, v226, v24 neg_lo:[1,1,0]
	s_set_vgpr_msb 0x41                     ;  msbs: dst=1 src0=1 src1=0 src2=0
	s_delay_alu instid0(VALU_DEP_4) | instskip(SKIP_1) | instid1(VALU_DEP_2)
	v_cvt_f32_i32_e32 v16 /*v272*/, v16 /*v272*/
	s_set_vgpr_msb 1                        ;  msbs: dst=0 src0=1 src1=0 src2=0
	v_dot4_i32_iu8 v24, v9 /*v265*/, v227, v24 neg_lo:[1,1,0]
	s_set_vgpr_msb 0                        ;  msbs: dst=0 src0=0 src1=0 src2=0
	s_delay_alu instid0(VALU_DEP_1) | instskip(SKIP_1) | instid1(VALU_DEP_1)
	v_mad_i32_i24 v24, v222, v21, v24
	s_set_vgpr_msb 1                        ;  msbs: dst=0 src0=1 src1=0 src2=0
	v_dot4_i32_iu8 v24, v3 /*v259*/, v9, v24 neg_lo:[1,1,0]
	s_set_vgpr_msb 0x41                     ;  msbs: dst=1 src0=1 src1=0 src2=0
	s_delay_alu instid0(VALU_DEP_1) | instskip(SKIP_3) | instid1(VALU_DEP_2)
	v_dot4_i32_iu8 v18 /*v274*/, v4 /*v260*/, v10, v24 neg_lo:[1,1,0]
	s_set_vgpr_msb 0                        ;  msbs: dst=0 src0=0 src1=0 src2=0
	v_dot4_i32_iu8 v24, v12, v205, 0 neg_lo:[1,1,0]
	v_perm_b32 v12, v16, v15, 0x6050403
	v_dot4_i32_iu8 v24, v13, v206, v24 neg_lo:[1,1,0]
	s_delay_alu instid0(VALU_DEP_2) | instskip(NEXT) | instid1(VALU_DEP_2)
	v_dot4_i32_iu8 v4, v12, v229, v4 neg_lo:[1,1,0]
	v_dot4_i32_iu8 v24, v14, v242, v24 neg_lo:[1,1,0]
	s_delay_alu instid0(VALU_DEP_2) | instskip(NEXT) | instid1(VALU_DEP_2)
	v_mad_i32_i24 v4, v228, v23, v4
	v_dot4_i32_iu8 v24, v15, v243, v24 neg_lo:[1,1,0]
	s_delay_alu instid0(VALU_DEP_2) | instskip(NEXT) | instid1(VALU_DEP_2)
	v_dot4_i32_iu8 v4, v247, v17, v4 neg_lo:[1,1,0]
	v_dot4_i32_iu8 v24, v16, v244, v24 neg_lo:[1,1,0]
	s_set_vgpr_msb 64                       ;  msbs: dst=1 src0=0 src1=0 src2=0
	s_delay_alu instid0(VALU_DEP_2) | instskip(SKIP_3) | instid1(VALU_DEP_2)
	v_dot4_i32_iu8 v21 /*v277*/, v248, v18, v4 neg_lo:[1,1,0]
	s_set_vgpr_msb 0                        ;  msbs: dst=0 src0=0 src1=0 src2=0
	v_mul_i32_i24_e32 v4, v20, v207
	v_dot4_i32_iu8 v24, v17, v245, v24 neg_lo:[1,1,0]
	v_dot4_i32_iu8 v4, v25, v208, v4 neg_lo:[1,1,0]
	s_set_vgpr_msb 64                       ;  msbs: dst=1 src0=0 src1=0 src2=0
	s_delay_alu instid0(VALU_DEP_2) | instskip(SKIP_1) | instid1(VALU_DEP_2)
	v_dot4_i32_iu8 v19 /*v275*/, v18, v246, v24 neg_lo:[1,1,0]
	s_set_vgpr_msb 0                        ;  msbs: dst=0 src0=0 src1=0 src2=0
	v_dot4_i32_iu8 v4, v26, v211, v4 neg_lo:[1,1,0]
	s_delay_alu instid0(VALU_DEP_1) | instskip(SKIP_1) | instid1(VALU_DEP_1)
	v_dot4_i32_iu8 v4, v27, v212, v4 neg_lo:[1,1,0]
	s_set_vgpr_msb 1                        ;  msbs: dst=0 src0=1 src1=0 src2=0
	v_dot4_i32_iu8 v4, v8 /*v264*/, v213, v4 neg_lo:[1,1,0]
	s_delay_alu instid0(VALU_DEP_1) | instskip(SKIP_1) | instid1(VALU_DEP_1)
	v_dot4_i32_iu8 v4, v9 /*v265*/, v215, v4 neg_lo:[1,1,0]
	s_set_vgpr_msb 0                        ;  msbs: dst=0 src0=0 src1=0 src2=0
	v_mad_i32_i24 v4, v209, v21, v4
	s_delay_alu instid0(VALU_DEP_1) | instskip(NEXT) | instid1(VALU_DEP_1)
	v_dot4_i32_iu8 v4, v233, v9, v4 neg_lo:[1,1,0]
	v_dot4_i32_iu8 v10, v236, v10, v4 neg_lo:[1,1,0]
	v_mul_i32_i24_e32 v4, v22, v217
	s_delay_alu instid0(VALU_DEP_1) | instskip(NEXT) | instid1(VALU_DEP_1)
	v_dot4_i32_iu8 v4, v5, v218, v4 neg_lo:[1,1,0]
	v_dot4_i32_iu8 v4, v6, v0, v4 neg_lo:[1,1,0]
	s_delay_alu instid0(VALU_DEP_1) | instskip(NEXT) | instid1(VALU_DEP_1)
	v_dot4_i32_iu8 v4, v7, v1, v4 neg_lo:[1,1,0]
	v_dot4_i32_iu8 v4, v8, v2, v4 neg_lo:[1,1,0]
	s_delay_alu instid0(VALU_DEP_1) | instskip(NEXT) | instid1(VALU_DEP_1)
	v_dot4_i32_iu8 v4, v12, v3, v4 neg_lo:[1,1,0]
	v_mad_i32_i24 v4, v216, v23, v4
	s_delay_alu instid0(VALU_DEP_1) | instskip(NEXT) | instid1(VALU_DEP_1)
	v_dot4_i32_iu8 v4, v237, v17, v4 neg_lo:[1,1,0]
	v_dot4_i32_iu8 v18, v238, v18, v4 neg_lo:[1,1,0]
	v_or_b32_e32 v4, s7, v186
	s_delay_alu instid0(VALU_DEP_1)
	v_dual_lshlrev_b32 v8, 2, v4 :: v_dual_lshrrev_b32 v16, 1, v4
	ds_load_b128 v[4:7], v8 offset:33280
	ds_load_b128 v[12:15], v8 offset:33296
	;; [unrolled: 1-line block ×4, first 2 shown]
	ds_load_b64 v[16:17], v16 offset:43584
	s_wait_dscnt 0x4
	s_set_vgpr_msb 64                       ;  msbs: dst=1 src0=0 src1=0 src2=0
	v_bfe_i32 v22 /*v278*/, v4, 0, 8
	v_perm_b32 v26 /*v282*/, v4, v4, 0xc0c0201
	v_perm_b32 v27 /*v283*/, v5, v4, 0x6050403
	;; [unrolled: 1-line block ×4, first 2 shown]
	s_set_vgpr_msb 1                        ;  msbs: dst=0 src0=1 src1=0 src2=0
	v_mul_i32_i24_e32 v8, v22 /*v278*/, v250
	s_wait_dscnt 0x3
	s_set_vgpr_msb 64                       ;  msbs: dst=1 src0=0 src1=0 src2=0
	v_perm_b32 v30 /*v286*/, v12, v7, 0x6050403
	v_ashrrev_i32_e32 v23 /*v279*/, 24, v12
	s_wait_dscnt 0x0
	v_cvt_f32_f16_e64 v9 /*v265*/, v16
	v_cvt_f32_f16_e64 v13 /*v269*/, v17
	s_set_vgpr_msb 1                        ;  msbs: dst=0 src0=1 src1=0 src2=0
	v_dot4_i32_iu8 v8, v26 /*v282*/, v251, v8 neg_lo:[1,1,0]
	s_set_vgpr_msb 0                        ;  msbs: dst=0 src0=0 src1=0 src2=0
	v_dot4_i32_iu8 v4, v4, v148, 0 neg_lo:[1,1,0]
	s_set_vgpr_msb 64                       ;  msbs: dst=1 src0=0 src1=0 src2=0
	v_bfe_i32 v24 /*v280*/, v20, 0, 8
	v_ashrrev_i32_e32 v25 /*v281*/, 24, v24
	s_set_vgpr_msb 1                        ;  msbs: dst=0 src0=1 src1=0 src2=0
	v_dot4_i32_iu8 v8, v27 /*v283*/, v252, v8 neg_lo:[1,1,0]
	s_set_vgpr_msb 0                        ;  msbs: dst=0 src0=0 src1=0 src2=0
	v_dot4_i32_iu8 v4, v5, v149, v4 neg_lo:[1,1,0]
	s_set_vgpr_msb 1                        ;  msbs: dst=0 src0=1 src1=0 src2=0
	v_mul_i32_i24_e32 v5, v24 /*v280*/, v240
	v_dot4_i32_iu8 v8, v28 /*v284*/, v253, v8 neg_lo:[1,1,0]
	s_set_vgpr_msb 0                        ;  msbs: dst=0 src0=0 src1=0 src2=0
	v_dot4_i32_iu8 v4, v6, v146, v4 neg_lo:[1,1,0]
	s_set_vgpr_msb 1                        ;  msbs: dst=0 src0=1 src1=0 src2=0
	s_delay_alu instid0(VALU_DEP_2) | instskip(SKIP_1) | instid1(VALU_DEP_2)
	v_dot4_i32_iu8 v8, v29 /*v285*/, v254, v8 neg_lo:[1,1,0]
	s_set_vgpr_msb 0                        ;  msbs: dst=0 src0=0 src1=0 src2=0
	v_dot4_i32_iu8 v4, v7, v147, v4 neg_lo:[1,1,0]
	s_set_vgpr_msb 1                        ;  msbs: dst=0 src0=1 src1=0 src2=0
	s_delay_alu instid0(VALU_DEP_2) | instskip(SKIP_1) | instid1(VALU_DEP_2)
	v_dot4_i32_iu8 v8, v30 /*v286*/, v255, v8 neg_lo:[1,1,0]
	s_set_vgpr_msb 0                        ;  msbs: dst=0 src0=0 src1=0 src2=0
	v_dot4_i32_iu8 v4, v12, v144, v4 neg_lo:[1,1,0]
	v_perm_b32 v12, v20, v20, 0xc0c0201
	s_set_vgpr_msb 4                        ;  msbs: dst=0 src0=0 src1=1 src2=0
	v_mad_i32_i24 v8, v249, v23 /*v279*/, v8
	s_set_vgpr_msb 0                        ;  msbs: dst=0 src0=0 src1=0 src2=0
	v_dot4_i32_iu8 v4, v13, v145, v4 neg_lo:[1,1,0]
	v_dot4_i32_iu8 v5, v12, v232, v5 neg_lo:[1,1,0]
	s_set_vgpr_msb 1                        ;  msbs: dst=0 src0=1 src1=0 src2=0
	v_dot4_i32_iu8 v8, v5 /*v261*/, v13, v8 neg_lo:[1,1,0]
	s_set_vgpr_msb 0                        ;  msbs: dst=0 src0=0 src1=0 src2=0
	v_dot4_i32_iu8 v4, v14, v132, v4 neg_lo:[1,1,0]
	s_set_vgpr_msb 0x41                     ;  msbs: dst=1 src0=1 src1=0 src2=0
	s_delay_alu instid0(VALU_DEP_2) | instskip(SKIP_3) | instid1(VALU_DEP_2)
	v_dot4_i32_iu8 v15 /*v271*/, v6 /*v262*/, v14, v8 neg_lo:[1,1,0]
	s_set_vgpr_msb 0                        ;  msbs: dst=0 src0=0 src1=0 src2=0
	v_dot4_i32_iu8 v8, v152, v20, 0 neg_lo:[1,1,0]
	v_dot4_i32_iu8 v4, v15, v133, v4 neg_lo:[1,1,0]
	;; [unrolled: 1-line block ×3, first 2 shown]
	s_delay_alu instid0(VALU_DEP_2) | instskip(NEXT) | instid1(VALU_DEP_2)
	v_mul_lo_u32 v4, v4, v223
	v_dot4_i32_iu8 v8, v154, v22, v8 neg_lo:[1,1,0]
	s_delay_alu instid0(VALU_DEP_1) | instskip(NEXT) | instid1(VALU_DEP_1)
	v_dot4_i32_iu8 v8, v155, v23, v8 neg_lo:[1,1,0]
	v_dot4_i32_iu8 v8, v156, v24, v8 neg_lo:[1,1,0]
	s_delay_alu instid0(VALU_DEP_1) | instskip(SKIP_1) | instid1(VALU_DEP_1)
	v_dot4_i32_iu8 v8, v157, v25, v8 neg_lo:[1,1,0]
	s_set_vgpr_msb 64                       ;  msbs: dst=1 src0=0 src1=0 src2=0
	v_dot4_i32_iu8 v17 /*v273*/, v134, v26, v8 neg_lo:[1,1,0]
	s_set_vgpr_msb 1                        ;  msbs: dst=0 src0=1 src1=0 src2=0
	ds_load_b64 v[8:9], v7 /*v263*/ offset:43584
	s_wait_dscnt 0x0
	s_set_vgpr_msb 64                       ;  msbs: dst=1 src0=0 src1=0 src2=0
	v_lshrrev_b32_e32 v7 /*v263*/, 16, v8
	v_cvt_f32_f16_e64 v8 /*v264*/, v8
	s_set_vgpr_msb 0                        ;  msbs: dst=0 src0=0 src1=0 src2=0
	v_lshrrev_b32_e32 v8, 16, v16
	s_set_vgpr_msb 64                       ;  msbs: dst=1 src0=0 src1=0 src2=0
	v_cvt_f32_f16_e64 v12 /*v268*/, v9
	s_set_vgpr_msb 20                       ;  msbs: dst=0 src0=0 src1=1 src2=1
	v_dot4_i32_iu8 v16, v15, v0 /*v256*/, v15 /*v271*/ neg_lo:[1,1,0]
	s_set_vgpr_msb 0x41                     ;  msbs: dst=1 src0=1 src1=0 src2=0
	v_cvt_f32_f16_e64 v10 /*v266*/, v7 /*v263*/
	s_set_vgpr_msb 64                       ;  msbs: dst=1 src0=0 src1=0 src2=0
	v_cvt_f32_f16_e64 v11 /*v267*/, v8
	s_set_vgpr_msb 0                        ;  msbs: dst=0 src0=0 src1=0 src2=0
	v_lshrrev_b32_e32 v8, 16, v9
	v_lshrrev_b32_e32 v9, 16, v17
	s_set_vgpr_msb 20                       ;  msbs: dst=0 src0=0 src1=1 src2=1
	v_dot4_i32_iu8 v17, v11, v0 /*v256*/, v14 /*v270*/ neg_lo:[1,1,0]
	s_set_vgpr_msb 0                        ;  msbs: dst=0 src0=0 src1=0 src2=0
	v_mul_lo_u32 v16, v16, v203
	s_set_vgpr_msb 0x44                     ;  msbs: dst=1 src0=0 src1=1 src2=0
	v_pk_fma_f32 v[14:15] /*v[270:271]*/, v[136:137], v[10:11] /*v[266:267]*/, 0 op_sel_hi:[0,1,0]
	s_set_vgpr_msb 0                        ;  msbs: dst=0 src0=0 src1=0 src2=0
	v_cvt_f32_f16_e32 v8, v8
	v_cvt_f32_f16_e32 v9, v9
	s_set_vgpr_msb 0x50                     ;  msbs: dst=1 src0=0 src1=0 src2=1
	v_mul_lo_u32 v7 /*v263*/, v17, v203
	s_delay_alu instid0(VALU_DEP_2) | instskip(SKIP_3) | instid1(VALU_DEP_2)
	v_pk_fma_f32 v[14:15] /*v[270:271]*/, v[130:131], v[8:9], v[14:15] /*v[270:271]*/ op_sel_hi:[0,1,1]
	s_set_vgpr_msb 0                        ;  msbs: dst=0 src0=0 src1=0 src2=0
	v_cvt_f32_i32_e32 v17, v16
	s_set_vgpr_msb 0x41                     ;  msbs: dst=1 src0=1 src1=0 src2=0
	v_pk_mul_f32 v[14:15] /*v[270:271]*/, v[14:15] /*v[270:271]*/, v[118:119]
	s_set_vgpr_msb 1                        ;  msbs: dst=0 src0=1 src1=0 src2=0
	s_delay_alu instid0(VALU_DEP_4) | instskip(SKIP_3) | instid1(VALU_DEP_2)
	v_cvt_f32_i32_e32 v16, v7 /*v263*/
	s_set_vgpr_msb 0x50                     ;  msbs: dst=1 src0=0 src1=0 src2=1
	v_dot4_i32_iu8 v7 /*v263*/, v27, v135, v17 /*v273*/ neg_lo:[1,1,0]
	s_set_vgpr_msb 1                        ;  msbs: dst=0 src0=1 src1=0 src2=0
	v_pk_fma_f32 v[16:17], v[8:9] /*v[264:265]*/, v[16:17], 0 op_sel_hi:[1,1,0]
	s_set_vgpr_msb 0x41                     ;  msbs: dst=1 src0=1 src1=0 src2=0
	s_delay_alu instid0(VALU_DEP_2) | instskip(NEXT) | instid1(VALU_DEP_1)
	v_mul_lo_u32 v7 /*v263*/, v7 /*v263*/, v151
	v_cvt_f32_i32_e32 v17 /*v273*/, v7 /*v263*/
	s_set_vgpr_msb 5                        ;  msbs: dst=0 src0=1 src1=1 src2=0
	s_delay_alu instid0(VALU_DEP_1) | instskip(SKIP_3) | instid1(VALU_DEP_2)
	v_pk_fma_f32 v[16:17], v[12:13] /*v[268:269]*/, v[16:17] /*v[272:273]*/, v[16:17]
	s_set_vgpr_msb 0x54                     ;  msbs: dst=1 src0=0 src1=1 src2=1
	v_dot4_i32_iu8 v16 /*v272*/, v19, v2 /*v258*/, v19 /*v275*/ neg_lo:[1,1,0]
	s_set_vgpr_msb 16                       ;  msbs: dst=0 src0=0 src1=0 src2=1
	v_pk_fma_f32 v[16:17], v[16:17], v[110:111], v[14:15] /*v[270:271]*/ neg_lo:[0,0,1] neg_hi:[0,0,1]
	s_set_vgpr_msb 0x41                     ;  msbs: dst=1 src0=1 src1=0 src2=0
	s_delay_alu instid0(VALU_DEP_2) | instskip(SKIP_1) | instid1(VALU_DEP_2)
	v_mul_lo_u32 v16 /*v272*/, v16 /*v272*/, v241
	s_set_vgpr_msb 0                        ;  msbs: dst=0 src0=0 src1=0 src2=0
	v_pk_add_f32 v[44:45], v[44:45], v[16:17]
	s_set_vgpr_msb 1                        ;  msbs: dst=0 src0=1 src1=0 src2=0
	v_mul_i32_i24_e32 v16, v22 /*v278*/, v220
	s_set_vgpr_msb 0                        ;  msbs: dst=0 src0=0 src1=0 src2=0
	v_dot4_i32_iu8 v17, v20, v205, 0 neg_lo:[1,1,0]
	v_perm_b32 v20, v21, v20, 0x6050403
	s_set_vgpr_msb 1                        ;  msbs: dst=0 src0=1 src1=0 src2=0
	v_dot4_i32_iu8 v16, v26 /*v282*/, v221, v16 neg_lo:[1,1,0]
	s_set_vgpr_msb 0                        ;  msbs: dst=0 src0=0 src1=0 src2=0
	v_dot4_i32_iu8 v17, v21, v206, v17 neg_lo:[1,1,0]
	v_dot4_i32_iu8 v5, v20, v234, v5 neg_lo:[1,1,0]
	v_perm_b32 v21, v22, v21, 0x6050403
	s_set_vgpr_msb 0x41                     ;  msbs: dst=1 src0=1 src1=0 src2=0
	v_cvt_f32_i32_e32 v16 /*v272*/, v16 /*v272*/
	s_set_vgpr_msb 1                        ;  msbs: dst=0 src0=1 src1=0 src2=0
	v_dot4_i32_iu8 v16, v27 /*v283*/, v224, v16 neg_lo:[1,1,0]
	s_set_vgpr_msb 0                        ;  msbs: dst=0 src0=0 src1=0 src2=0
	v_dot4_i32_iu8 v17, v22, v242, v17 neg_lo:[1,1,0]
	v_perm_b32 v22, v23, v22, 0x6050403
	v_dot4_i32_iu8 v5, v21, v235, v5 neg_lo:[1,1,0]
	s_set_vgpr_msb 1                        ;  msbs: dst=0 src0=1 src1=0 src2=0
	v_dot4_i32_iu8 v16, v28 /*v284*/, v225, v16 neg_lo:[1,1,0]
	s_set_vgpr_msb 0                        ;  msbs: dst=0 src0=0 src1=0 src2=0
	v_dot4_i32_iu8 v17, v23, v243, v17 neg_lo:[1,1,0]
	v_perm_b32 v23, v24, v23, 0x6050403
	v_dot4_i32_iu8 v5, v22, v230, v5 neg_lo:[1,1,0]
	s_set_vgpr_msb 1                        ;  msbs: dst=0 src0=1 src1=0 src2=0
	v_dot4_i32_iu8 v16, v29 /*v285*/, v226, v16 neg_lo:[1,1,0]
	s_set_vgpr_msb 0                        ;  msbs: dst=0 src0=0 src1=0 src2=0
	v_dot4_i32_iu8 v17, v24, v244, v17 neg_lo:[1,1,0]
	v_dot4_i32_iu8 v5, v23, v229, v5 neg_lo:[1,1,0]
	s_set_vgpr_msb 1                        ;  msbs: dst=0 src0=1 src1=0 src2=0
	v_dot4_i32_iu8 v16, v30 /*v286*/, v227, v16 neg_lo:[1,1,0]
	s_set_vgpr_msb 0                        ;  msbs: dst=0 src0=0 src1=0 src2=0
	v_dot4_i32_iu8 v17, v25, v245, v17 neg_lo:[1,1,0]
	s_set_vgpr_msb 4                        ;  msbs: dst=0 src0=0 src1=1 src2=0
	v_mad_i32_i24 v5, v228, v25 /*v281*/, v5
	v_mad_i32_i24 v16, v222, v23 /*v279*/, v16
	s_set_vgpr_msb 64                       ;  msbs: dst=1 src0=0 src1=0 src2=0
	v_dot4_i32_iu8 v7 /*v263*/, v26, v246, v17 neg_lo:[1,1,0]
	s_set_vgpr_msb 20                       ;  msbs: dst=0 src0=0 src1=1 src2=1
	v_dot4_i32_iu8 v17, v11, v1 /*v257*/, v18 /*v274*/ neg_lo:[1,1,0]
	s_set_vgpr_msb 0                        ;  msbs: dst=0 src0=0 src1=0 src2=0
	v_dot4_i32_iu8 v5, v247, v25, v5 neg_lo:[1,1,0]
	s_set_vgpr_msb 1                        ;  msbs: dst=0 src0=1 src1=0 src2=0
	v_dot4_i32_iu8 v16, v3 /*v259*/, v13, v16 neg_lo:[1,1,0]
	s_set_vgpr_msb 0x54                     ;  msbs: dst=1 src0=0 src1=1 src2=1
	v_dot4_i32_iu8 v7 /*v263*/, v27, v2 /*v258*/, v7 /*v263*/ neg_lo:[1,1,0]
	s_set_vgpr_msb 64                       ;  msbs: dst=1 src0=0 src1=0 src2=0
	v_mul_lo_u32 v14 /*v270*/, v17, v204
	s_set_vgpr_msb 1                        ;  msbs: dst=0 src0=1 src1=0 src2=0
	v_dot4_i32_iu8 v16, v4 /*v260*/, v14, v16 neg_lo:[1,1,0]
	s_set_vgpr_msb 0x41                     ;  msbs: dst=1 src0=1 src1=0 src2=0
	v_mul_lo_u32 v7 /*v263*/, v7 /*v263*/, v241
	s_set_vgpr_msb 4                        ;  msbs: dst=0 src0=0 src1=1 src2=0
	s_delay_alu instid0(VALU_DEP_2) | instskip(SKIP_1) | instid1(VALU_DEP_1)
	v_dot4_i32_iu8 v16, v15, v1 /*v257*/, v16 neg_lo:[1,1,0]
	s_set_vgpr_msb 0                        ;  msbs: dst=0 src0=0 src1=0 src2=0
	v_mul_lo_u32 v16, v16, v204
	s_set_vgpr_msb 0x41                     ;  msbs: dst=1 src0=1 src1=0 src2=0
	s_delay_alu instid0(VALU_DEP_3) | instskip(SKIP_1) | instid1(VALU_DEP_2)
	v_cvt_f32_i32_e32 v17 /*v273*/, v7 /*v263*/
	s_set_vgpr_msb 0                        ;  msbs: dst=0 src0=0 src1=0 src2=0
	v_cvt_f32_i32_e32 v17, v16
	s_set_vgpr_msb 1                        ;  msbs: dst=0 src0=1 src1=0 src2=0
	v_cvt_f32_i32_e32 v16, v14 /*v270*/
	s_set_vgpr_msb 0x44                     ;  msbs: dst=1 src0=0 src1=1 src2=0
	v_pk_fma_f32 v[14:15] /*v[270:271]*/, v[140:141], v[10:11] /*v[266:267]*/, 0 op_sel_hi:[0,1,0]
	s_set_vgpr_msb 1                        ;  msbs: dst=0 src0=1 src1=0 src2=0
	s_delay_alu instid0(VALU_DEP_2) | instskip(SKIP_1) | instid1(VALU_DEP_2)
	v_pk_fma_f32 v[16:17], v[8:9] /*v[264:265]*/, v[16:17], 0 op_sel_hi:[1,1,0]
	s_set_vgpr_msb 0x50                     ;  msbs: dst=1 src0=0 src1=0 src2=1
	v_pk_fma_f32 v[14:15] /*v[270:271]*/, v[150:151], v[8:9], v[14:15] /*v[270:271]*/ op_sel_hi:[0,1,1]
	s_set_vgpr_msb 5                        ;  msbs: dst=0 src0=1 src1=1 src2=0
	s_delay_alu instid0(VALU_DEP_2) | instskip(SKIP_1) | instid1(VALU_DEP_2)
	v_pk_fma_f32 v[16:17], v[12:13] /*v[268:269]*/, v[16:17] /*v[272:273]*/, v[16:17]
	s_set_vgpr_msb 0x41                     ;  msbs: dst=1 src0=1 src1=0 src2=0
	v_pk_mul_f32 v[14:15] /*v[270:271]*/, v[14:15] /*v[270:271]*/, v[120:121]
	s_set_vgpr_msb 16                       ;  msbs: dst=0 src0=0 src1=0 src2=1
	s_delay_alu instid0(VALU_DEP_1) | instskip(NEXT) | instid1(VALU_DEP_1)
	v_pk_fma_f32 v[16:17], v[16:17], v[112:113], v[14:15] /*v[270:271]*/ neg_lo:[0,0,1] neg_hi:[0,0,1]
	v_pk_add_f32 v[40:41], v[40:41], v[16:17]
	s_set_vgpr_msb 0                        ;  msbs: dst=0 src0=0 src1=0 src2=0
	v_dot4_i32_iu8 v16, v248, v26, v5 neg_lo:[1,1,0]
	s_set_vgpr_msb 16                       ;  msbs: dst=0 src0=0 src1=0 src2=1
	v_dot4_i32_iu8 v5, v11, v133, v20 /*v276*/ neg_lo:[1,1,0]
	v_dot4_i32_iu8 v17, v19, v231, v21 /*v277*/ neg_lo:[1,1,0]
	s_set_vgpr_msb 0                        ;  msbs: dst=0 src0=0 src1=0 src2=0
	v_dot4_i32_iu8 v16, v27, v231, v16 neg_lo:[1,1,0]
	s_delay_alu instid0(VALU_DEP_3) | instskip(NEXT) | instid1(VALU_DEP_3)
	v_mul_lo_u32 v6, v5, v223
	v_mul_lo_u32 v24, v17, v210
	v_cvt_f32_i32_e32 v5, v4
	s_delay_alu instid0(VALU_DEP_4) | instskip(NEXT) | instid1(VALU_DEP_4)
	v_mul_lo_u32 v16, v16, v210
	v_cvt_f32_i32_e32 v4, v6
	s_set_vgpr_msb 4                        ;  msbs: dst=0 src0=0 src1=1 src2=0
	v_pk_fma_f32 v[6:7], v[138:139], v[10:11] /*v[266:267]*/, 0 op_sel_hi:[0,1,0]
	s_delay_alu instid0(VALU_DEP_3)
	v_cvt_f32_i32_e32 v17, v16
	s_set_vgpr_msb 1                        ;  msbs: dst=0 src0=1 src1=0 src2=0
	v_pk_fma_f32 v[4:5], v[8:9] /*v[264:265]*/, v[4:5], 0 op_sel_hi:[1,1,0]
	s_set_vgpr_msb 0                        ;  msbs: dst=0 src0=0 src1=0 src2=0
	v_cvt_f32_i32_e32 v16, v24
	v_pk_fma_f32 v[6:7], v[142:143], v[8:9], v[6:7] op_sel_hi:[0,1,1]
	s_set_vgpr_msb 1                        ;  msbs: dst=0 src0=1 src1=0 src2=0
	s_delay_alu instid0(VALU_DEP_2) | instskip(SKIP_1) | instid1(VALU_DEP_2)
	v_pk_fma_f32 v[4:5], v[12:13] /*v[268:269]*/, v[16:17], v[4:5]
	s_set_vgpr_msb 0                        ;  msbs: dst=0 src0=0 src1=0 src2=0
	v_pk_mul_f32 v[6:7], v[6:7], v[122:123]
	s_delay_alu instid0(VALU_DEP_1) | instskip(NEXT) | instid1(VALU_DEP_1)
	v_pk_fma_f32 v[4:5], v[4:5], v[114:115], v[6:7] neg_lo:[0,0,1] neg_hi:[0,0,1]
	v_pk_add_f32 v[38:39], v[38:39], v[4:5]
	s_set_vgpr_msb 1                        ;  msbs: dst=0 src0=1 src1=0 src2=0
	v_mul_i32_i24_e32 v4, v22 /*v278*/, v207
	v_mul_i32_i24_e32 v5, v24 /*v280*/, v217
	s_delay_alu instid0(VALU_DEP_2) | instskip(SKIP_1) | instid1(VALU_DEP_2)
	v_dot4_i32_iu8 v4, v26 /*v282*/, v208, v4 neg_lo:[1,1,0]
	s_set_vgpr_msb 0                        ;  msbs: dst=0 src0=0 src1=0 src2=0
	v_dot4_i32_iu8 v5, v12, v218, v5 neg_lo:[1,1,0]
	s_set_vgpr_msb 1                        ;  msbs: dst=0 src0=1 src1=0 src2=0
	s_delay_alu instid0(VALU_DEP_2) | instskip(SKIP_1) | instid1(VALU_DEP_2)
	v_dot4_i32_iu8 v4, v27 /*v283*/, v211, v4 neg_lo:[1,1,0]
	s_set_vgpr_msb 0                        ;  msbs: dst=0 src0=0 src1=0 src2=0
	v_dot4_i32_iu8 v5, v20, v0, v5 neg_lo:[1,1,0]
	s_set_vgpr_msb 1                        ;  msbs: dst=0 src0=1 src1=0 src2=0
	;; [unrolled: 5-line block ×5, first 2 shown]
	s_delay_alu instid0(VALU_DEP_2) | instskip(NEXT) | instid1(VALU_DEP_2)
	v_mad_i32_i24 v4, v209, v23 /*v279*/, v4
	v_mad_i32_i24 v5, v216, v25 /*v281*/, v5
	s_set_vgpr_msb 0                        ;  msbs: dst=0 src0=0 src1=0 src2=0
	s_delay_alu instid0(VALU_DEP_2) | instskip(NEXT) | instid1(VALU_DEP_2)
	v_dot4_i32_iu8 v4, v233, v13, v4 neg_lo:[1,1,0]
	v_dot4_i32_iu8 v5, v237, v25, v5 neg_lo:[1,1,0]
	s_delay_alu instid0(VALU_DEP_2) | instskip(NEXT) | instid1(VALU_DEP_2)
	v_dot4_i32_iu8 v4, v236, v14, v4 neg_lo:[1,1,0]
	v_dot4_i32_iu8 v12, v238, v26, v5 neg_lo:[1,1,0]
	;; [unrolled: 1-line block ×4, first 2 shown]
	s_delay_alu instid0(VALU_DEP_4) | instskip(NEXT) | instid1(VALU_DEP_4)
	v_dot4_i32_iu8 v4, v15, v239, v4 neg_lo:[1,1,0]
	v_dot4_i32_iu8 v10, v27, v219, v12 neg_lo:[1,1,0]
	s_delay_alu instid0(VALU_DEP_4) | instskip(NEXT) | instid1(VALU_DEP_4)
	v_mul_lo_u32 v6, v5, v214
	v_mul_lo_u32 v12, v11, v141
	s_delay_alu instid0(VALU_DEP_4) | instskip(NEXT) | instid1(VALU_DEP_4)
	v_mul_lo_u32 v4, v4, v214
	v_mul_lo_u32 v10, v10, v141
	s_delay_alu instid0(VALU_DEP_2) | instskip(SKIP_3) | instid1(VALU_DEP_4)
	v_cvt_f32_i32_e32 v5, v4
	v_cvt_f32_i32_e32 v4, v6
	s_set_vgpr_msb 4                        ;  msbs: dst=0 src0=0 src1=1 src2=0
	v_pk_fma_f32 v[6:7], v[128:129], v[10:11] /*v[266:267]*/, 0 op_sel_hi:[0,1,0]
	v_cvt_f32_i32_e32 v11, v10
	v_cvt_f32_i32_e32 v10, v12
	s_set_vgpr_msb 1                        ;  msbs: dst=0 src0=1 src1=0 src2=0
	v_pk_fma_f32 v[4:5], v[8:9] /*v[264:265]*/, v[4:5], 0 op_sel_hi:[1,1,0]
	s_set_vgpr_msb 0                        ;  msbs: dst=0 src0=0 src1=0 src2=0
	v_pk_fma_f32 v[6:7], v[126:127], v[8:9], v[6:7] op_sel_hi:[0,1,1]
	s_set_vgpr_msb 1                        ;  msbs: dst=0 src0=1 src1=0 src2=0
	s_delay_alu instid0(VALU_DEP_2) | instskip(SKIP_1) | instid1(VALU_DEP_2)
	v_pk_fma_f32 v[4:5], v[12:13] /*v[268:269]*/, v[10:11], v[4:5]
	s_set_vgpr_msb 0                        ;  msbs: dst=0 src0=0 src1=0 src2=0
	v_pk_mul_f32 v[6:7], v[6:7], v[124:125]
	s_delay_alu instid0(VALU_DEP_1) | instskip(NEXT) | instid1(VALU_DEP_1)
	v_pk_fma_f32 v[4:5], v[4:5], v[116:117], v[6:7] neg_lo:[0,0,1] neg_hi:[0,0,1]
	v_pk_add_f32 v[36:37], v[36:37], v[4:5]
	v_or_b32_e32 v4, s7, v187
	s_delay_alu instid0(VALU_DEP_1)
	v_lshlrev_b32_e32 v5, 2, v4
	s_set_vgpr_msb 64                       ;  msbs: dst=1 src0=0 src1=0 src2=0
	v_lshrrev_b32_e32 v9 /*v265*/, 1, v4
	s_set_vgpr_msb 0                        ;  msbs: dst=0 src0=0 src1=0 src2=0
	ds_load_b128 v[12:15], v5 offset:33280
	ds_load_b128 v[8:11], v5 offset:33296
	;; [unrolled: 1-line block ×4, first 2 shown]
	s_wait_dscnt 0x3
	v_bfe_i32 v20, v12, 0, 8
	v_perm_b32 v25, v12, v12, 0xc0c0201
	v_perm_b32 v26, v13, v12, 0x6050403
	v_perm_b32 v27, v14, v13, 0x6050403
	s_set_vgpr_msb 64                       ;  msbs: dst=1 src0=0 src1=0 src2=0
	v_perm_b32 v10 /*v266*/, v15, v14, 0x6050403
	s_set_vgpr_msb 0                        ;  msbs: dst=0 src0=0 src1=0 src2=0
	v_mul_i32_i24_e32 v24, v20, v250
	s_wait_dscnt 0x2
	s_set_vgpr_msb 64                       ;  msbs: dst=1 src0=0 src1=0 src2=0
	v_perm_b32 v11 /*v267*/, v8, v15, 0x6050403
	s_set_vgpr_msb 0                        ;  msbs: dst=0 src0=0 src1=0 src2=0
	v_ashrrev_i32_e32 v21, 24, v8
	v_dot4_i32_iu8 v12, v12, v148, 0 neg_lo:[1,1,0]
	s_wait_dscnt 0x1
	v_bfe_i32 v22, v16, 0, 8
	v_dot4_i32_iu8 v24, v25, v251, v24 neg_lo:[1,1,0]
	s_wait_dscnt 0x0
	v_ashrrev_i32_e32 v23, 24, v4
	v_dot4_i32_iu8 v12, v13, v149, v12 neg_lo:[1,1,0]
	v_perm_b32 v13, v17, v16, 0x6050403
	v_dot4_i32_iu8 v24, v26, v252, v24 neg_lo:[1,1,0]
	s_delay_alu instid0(VALU_DEP_3) | instskip(SKIP_1) | instid1(VALU_DEP_3)
	v_dot4_i32_iu8 v12, v14, v146, v12 neg_lo:[1,1,0]
	v_perm_b32 v14, v18, v17, 0x6050403
	v_dot4_i32_iu8 v24, v27, v253, v24 neg_lo:[1,1,0]
	s_delay_alu instid0(VALU_DEP_3) | instskip(SKIP_2) | instid1(VALU_DEP_3)
	v_dot4_i32_iu8 v12, v15, v147, v12 neg_lo:[1,1,0]
	v_perm_b32 v15, v19, v18, 0x6050403
	s_set_vgpr_msb 1                        ;  msbs: dst=0 src0=1 src1=0 src2=0
	v_dot4_i32_iu8 v24, v10 /*v266*/, v254, v24 neg_lo:[1,1,0]
	s_set_vgpr_msb 0                        ;  msbs: dst=0 src0=0 src1=0 src2=0
	v_dot4_i32_iu8 v8, v8, v144, v12 neg_lo:[1,1,0]
	v_perm_b32 v12, v16, v16, 0xc0c0201
	s_set_vgpr_msb 1                        ;  msbs: dst=0 src0=1 src1=0 src2=0
	v_dot4_i32_iu8 v24, v11 /*v267*/, v255, v24 neg_lo:[1,1,0]
	s_set_vgpr_msb 0                        ;  msbs: dst=0 src0=0 src1=0 src2=0
	v_dot4_i32_iu8 v8, v9, v145, v8 neg_lo:[1,1,0]
	s_delay_alu instid0(VALU_DEP_2) | instskip(SKIP_1) | instid1(VALU_DEP_2)
	v_mad_i32_i24 v24, v249, v21, v24
	s_set_vgpr_msb 64                       ;  msbs: dst=1 src0=0 src1=0 src2=0
	v_dot4_i32_iu8 v8 /*v264*/, v10, v132, v8 neg_lo:[1,1,0]
	s_set_vgpr_msb 0                        ;  msbs: dst=0 src0=0 src1=0 src2=0
	v_mul_i32_i24_e32 v8, v22, v240
	s_set_vgpr_msb 1                        ;  msbs: dst=0 src0=1 src1=0 src2=0
	v_dot4_i32_iu8 v24, v5 /*v261*/, v9, v24 neg_lo:[1,1,0]
	s_set_vgpr_msb 0                        ;  msbs: dst=0 src0=0 src1=0 src2=0
	s_delay_alu instid0(VALU_DEP_2) | instskip(SKIP_1) | instid1(VALU_DEP_2)
	v_dot4_i32_iu8 v8, v12, v232, v8 neg_lo:[1,1,0]
	s_set_vgpr_msb 0x41                     ;  msbs: dst=1 src0=1 src1=0 src2=0
	v_dot4_i32_iu8 v12 /*v268*/, v6 /*v262*/, v10, v24 neg_lo:[1,1,0]
	s_set_vgpr_msb 0                        ;  msbs: dst=0 src0=0 src1=0 src2=0
	v_dot4_i32_iu8 v24, v152, v16, 0 neg_lo:[1,1,0]
	v_dot4_i32_iu8 v8, v13, v234, v8 neg_lo:[1,1,0]
	s_delay_alu instid0(VALU_DEP_2) | instskip(NEXT) | instid1(VALU_DEP_2)
	v_dot4_i32_iu8 v24, v153, v17, v24 neg_lo:[1,1,0]
	v_dot4_i32_iu8 v8, v14, v235, v8 neg_lo:[1,1,0]
	s_delay_alu instid0(VALU_DEP_2) | instskip(NEXT) | instid1(VALU_DEP_2)
	v_dot4_i32_iu8 v24, v154, v18, v24 neg_lo:[1,1,0]
	v_dot4_i32_iu8 v8, v15, v230, v8 neg_lo:[1,1,0]
	s_delay_alu instid0(VALU_DEP_2) | instskip(NEXT) | instid1(VALU_DEP_1)
	v_dot4_i32_iu8 v24, v155, v19, v24 neg_lo:[1,1,0]
	v_dot4_i32_iu8 v24, v156, v4, v24 neg_lo:[1,1,0]
	s_delay_alu instid0(VALU_DEP_1) | instskip(SKIP_1) | instid1(VALU_DEP_1)
	v_dot4_i32_iu8 v24, v157, v5, v24 neg_lo:[1,1,0]
	s_set_vgpr_msb 64                       ;  msbs: dst=1 src0=0 src1=0 src2=0
	v_dot4_i32_iu8 v13 /*v269*/, v134, v6, v24 neg_lo:[1,1,0]
	s_set_vgpr_msb 0                        ;  msbs: dst=0 src0=0 src1=0 src2=0
	v_mul_i32_i24_e32 v24, v20, v220
	s_delay_alu instid0(VALU_DEP_1) | instskip(NEXT) | instid1(VALU_DEP_1)
	v_dot4_i32_iu8 v24, v25, v221, v24 neg_lo:[1,1,0]
	v_dot4_i32_iu8 v24, v26, v224, v24 neg_lo:[1,1,0]
	s_delay_alu instid0(VALU_DEP_1) | instskip(SKIP_1) | instid1(VALU_DEP_1)
	v_dot4_i32_iu8 v24, v27, v225, v24 neg_lo:[1,1,0]
	s_set_vgpr_msb 1                        ;  msbs: dst=0 src0=1 src1=0 src2=0
	v_dot4_i32_iu8 v24, v10 /*v266*/, v226, v24 neg_lo:[1,1,0]
	s_delay_alu instid0(VALU_DEP_1) | instskip(SKIP_1) | instid1(VALU_DEP_1)
	v_dot4_i32_iu8 v24, v11 /*v267*/, v227, v24 neg_lo:[1,1,0]
	s_set_vgpr_msb 0                        ;  msbs: dst=0 src0=0 src1=0 src2=0
	v_mad_i32_i24 v24, v222, v21, v24
	s_set_vgpr_msb 1                        ;  msbs: dst=0 src0=1 src1=0 src2=0
	s_delay_alu instid0(VALU_DEP_1) | instskip(SKIP_1) | instid1(VALU_DEP_1)
	v_dot4_i32_iu8 v24, v3 /*v259*/, v9, v24 neg_lo:[1,1,0]
	s_set_vgpr_msb 0x41                     ;  msbs: dst=1 src0=1 src1=0 src2=0
	v_dot4_i32_iu8 v14 /*v270*/, v4 /*v260*/, v10, v24 neg_lo:[1,1,0]
	s_set_vgpr_msb 0                        ;  msbs: dst=0 src0=0 src1=0 src2=0
	v_dot4_i32_iu8 v24, v16, v205, 0 neg_lo:[1,1,0]
	s_delay_alu instid0(VALU_DEP_1) | instskip(NEXT) | instid1(VALU_DEP_1)
	v_dot4_i32_iu8 v24, v17, v206, v24 neg_lo:[1,1,0]
	v_dot4_i32_iu8 v24, v18, v242, v24 neg_lo:[1,1,0]
	s_delay_alu instid0(VALU_DEP_1) | instskip(NEXT) | instid1(VALU_DEP_1)
	v_dot4_i32_iu8 v24, v19, v243, v24 neg_lo:[1,1,0]
	v_dot4_i32_iu8 v24, v4, v244, v24 neg_lo:[1,1,0]
	v_perm_b32 v4, v4, v19, 0x6050403
	s_delay_alu instid0(VALU_DEP_2) | instskip(NEXT) | instid1(VALU_DEP_2)
	v_dot4_i32_iu8 v24, v5, v245, v24 neg_lo:[1,1,0]
	v_dot4_i32_iu8 v8, v4, v229, v8 neg_lo:[1,1,0]
	s_set_vgpr_msb 64                       ;  msbs: dst=1 src0=0 src1=0 src2=0
	s_delay_alu instid0(VALU_DEP_2) | instskip(SKIP_1) | instid1(VALU_DEP_2)
	v_dot4_i32_iu8 v15 /*v271*/, v6, v246, v24 neg_lo:[1,1,0]
	s_set_vgpr_msb 0                        ;  msbs: dst=0 src0=0 src1=0 src2=0
	v_mad_i32_i24 v8, v228, v23, v8
	s_delay_alu instid0(VALU_DEP_1) | instskip(SKIP_1) | instid1(VALU_DEP_1)
	v_dot4_i32_iu8 v8, v247, v5, v8 neg_lo:[1,1,0]
	s_set_vgpr_msb 64                       ;  msbs: dst=1 src0=0 src1=0 src2=0
	v_dot4_i32_iu8 v7 /*v263*/, v248, v6, v8 neg_lo:[1,1,0]
	s_set_vgpr_msb 0                        ;  msbs: dst=0 src0=0 src1=0 src2=0
	v_mul_i32_i24_e32 v8, v20, v207
	s_delay_alu instid0(VALU_DEP_1) | instskip(NEXT) | instid1(VALU_DEP_1)
	v_dot4_i32_iu8 v8, v25, v208, v8 neg_lo:[1,1,0]
	v_dot4_i32_iu8 v8, v26, v211, v8 neg_lo:[1,1,0]
	s_delay_alu instid0(VALU_DEP_1) | instskip(SKIP_1) | instid1(VALU_DEP_1)
	v_dot4_i32_iu8 v8, v27, v212, v8 neg_lo:[1,1,0]
	s_set_vgpr_msb 1                        ;  msbs: dst=0 src0=1 src1=0 src2=0
	v_dot4_i32_iu8 v8, v10 /*v266*/, v213, v8 neg_lo:[1,1,0]
	s_delay_alu instid0(VALU_DEP_1) | instskip(SKIP_1) | instid1(VALU_DEP_1)
	v_dot4_i32_iu8 v8, v11 /*v267*/, v215, v8 neg_lo:[1,1,0]
	s_set_vgpr_msb 0                        ;  msbs: dst=0 src0=0 src1=0 src2=0
	v_mad_i32_i24 v8, v209, v21, v8
	s_delay_alu instid0(VALU_DEP_1) | instskip(NEXT) | instid1(VALU_DEP_1)
	v_dot4_i32_iu8 v8, v233, v9, v8 neg_lo:[1,1,0]
	v_dot4_i32_iu8 v10, v236, v10, v8 neg_lo:[1,1,0]
	v_mul_i32_i24_e32 v8, v22, v217
	s_delay_alu instid0(VALU_DEP_1) | instskip(NEXT) | instid1(VALU_DEP_1)
	v_dot4_i32_iu8 v8, v12, v218, v8 neg_lo:[1,1,0]
	v_dot4_i32_iu8 v8, v13, v0, v8 neg_lo:[1,1,0]
	s_delay_alu instid0(VALU_DEP_1) | instskip(NEXT) | instid1(VALU_DEP_1)
	v_dot4_i32_iu8 v8, v14, v1, v8 neg_lo:[1,1,0]
	v_dot4_i32_iu8 v8, v15, v2, v8 neg_lo:[1,1,0]
	s_delay_alu instid0(VALU_DEP_1) | instskip(NEXT) | instid1(VALU_DEP_1)
	v_dot4_i32_iu8 v4, v4, v3, v8 neg_lo:[1,1,0]
	v_mad_i32_i24 v4, v216, v23, v4
	s_delay_alu instid0(VALU_DEP_1) | instskip(NEXT) | instid1(VALU_DEP_1)
	v_dot4_i32_iu8 v4, v237, v5, v4 neg_lo:[1,1,0]
	v_dot4_i32_iu8 v6, v238, v6, v4 neg_lo:[1,1,0]
	v_or_b32_e32 v4, s7, v188
	s_delay_alu instid0(VALU_DEP_1)
	v_dual_lshlrev_b32 v5, 2, v4 :: v_dual_lshrrev_b32 v4, 1, v4
	ds_load_b128 v[24:27], v5 offset:33280
	ds_load_b128 v[16:19], v5 offset:33296
	;; [unrolled: 1-line block ×4, first 2 shown]
	s_set_vgpr_msb 1                        ;  msbs: dst=0 src0=1 src1=0 src2=0
	ds_load_b64 v[8:9], v9 /*v265*/ offset:43584
	s_wait_dscnt 0x4
	s_set_vgpr_msb 64                       ;  msbs: dst=1 src0=0 src1=0 src2=0
	v_bfe_i32 v10 /*v266*/, v24, 0, 8
	v_perm_b32 v18 /*v274*/, v24, v24, 0xc0c0201
	v_perm_b32 v19 /*v275*/, v25, v24, 0x6050403
	s_wait_dscnt 0x3
	v_ashrrev_i32_e32 v11 /*v267*/, 24, v16
	s_set_vgpr_msb 0                        ;  msbs: dst=0 src0=0 src1=0 src2=0
	v_dot4_i32_iu8 v24, v24, v148, 0 neg_lo:[1,1,0]
	s_set_vgpr_msb 1                        ;  msbs: dst=0 src0=1 src1=0 src2=0
	v_mul_i32_i24_e32 v5, v10 /*v266*/, v250
	s_wait_dscnt 0x2
	s_set_vgpr_msb 64                       ;  msbs: dst=1 src0=0 src1=0 src2=0
	v_bfe_i32 v16 /*v272*/, v20, 0, 8
	s_wait_dscnt 0x1
	v_ashrrev_i32_e32 v17 /*v273*/, 24, v12
	s_set_vgpr_msb 0                        ;  msbs: dst=0 src0=0 src1=0 src2=0
	v_dot4_i32_iu8 v24, v25, v149, v24 neg_lo:[1,1,0]
	s_set_vgpr_msb 1                        ;  msbs: dst=0 src0=1 src1=0 src2=0
	v_dot4_i32_iu8 v5, v18 /*v274*/, v251, v5 neg_lo:[1,1,0]
	s_set_vgpr_msb 0                        ;  msbs: dst=0 src0=0 src1=0 src2=0
	s_delay_alu instid0(VALU_DEP_2) | instskip(SKIP_1) | instid1(VALU_DEP_2)
	v_dot4_i32_iu8 v24, v26, v146, v24 neg_lo:[1,1,0]
	s_set_vgpr_msb 1                        ;  msbs: dst=0 src0=1 src1=0 src2=0
	v_dot4_i32_iu8 v5, v19 /*v275*/, v252, v5 neg_lo:[1,1,0]
	s_set_vgpr_msb 0                        ;  msbs: dst=0 src0=0 src1=0 src2=0
	v_perm_b32 v252, v26, v25, 0x6050403
	v_dot4_i32_iu8 v24, v27, v147, v24 neg_lo:[1,1,0]
	s_delay_alu instid0(VALU_DEP_2) | instskip(SKIP_2) | instid1(VALU_DEP_2)
	v_dot4_i32_iu8 v5, v252, v253, v5 neg_lo:[1,1,0]
	v_perm_b32 v253, v27, v26, 0x6050403
	v_perm_b32 v26, v20, v20, 0xc0c0201
	v_dot4_i32_iu8 v5, v253, v254, v5 neg_lo:[1,1,0]
	v_perm_b32 v254, v16, v27, 0x6050403
	v_dot4_i32_iu8 v16, v16, v144, v24 neg_lo:[1,1,0]
	s_set_vgpr_msb 1                        ;  msbs: dst=0 src0=1 src1=0 src2=0
	v_mul_i32_i24_e32 v24, v16 /*v272*/, v240
	s_set_vgpr_msb 0                        ;  msbs: dst=0 src0=0 src1=0 src2=0
	v_perm_b32 v27, v21, v20, 0x6050403
	v_dot4_i32_iu8 v5, v254, v255, v5 neg_lo:[1,1,0]
	v_dot4_i32_iu8 v16, v17, v145, v16 neg_lo:[1,1,0]
	;; [unrolled: 1-line block ×3, first 2 shown]
	s_set_vgpr_msb 4                        ;  msbs: dst=0 src0=0 src1=1 src2=0
	s_delay_alu instid0(VALU_DEP_3)
	v_mad_i32_i24 v5, v249, v11 /*v267*/, v5
	s_set_vgpr_msb 0                        ;  msbs: dst=0 src0=0 src1=0 src2=0
	v_dot4_i32_iu8 v16, v18, v132, v16 neg_lo:[1,1,0]
	v_perm_b32 v132, v23, v22, 0x6050403
	s_set_vgpr_msb 1                        ;  msbs: dst=0 src0=1 src1=0 src2=0
	v_dot4_i32_iu8 v5, v5 /*v261*/, v17, v5 neg_lo:[1,1,0]
	s_set_vgpr_msb 0                        ;  msbs: dst=0 src0=0 src1=0 src2=0
	v_dot4_i32_iu8 v16, v19, v133, v16 neg_lo:[1,1,0]
	s_set_vgpr_msb 1                        ;  msbs: dst=0 src0=1 src1=0 src2=0
	s_delay_alu instid0(VALU_DEP_2) | instskip(SKIP_3) | instid1(VALU_DEP_2)
	v_dot4_i32_iu8 v249, v6 /*v262*/, v18, v5 neg_lo:[1,1,0]
	s_set_vgpr_msb 0                        ;  msbs: dst=0 src0=0 src1=0 src2=0
	v_dot4_i32_iu8 v5, v152, v20, 0 neg_lo:[1,1,0]
	v_mul_lo_u32 v16, v16, v223
	v_dot4_i32_iu8 v5, v153, v21, v5 neg_lo:[1,1,0]
	s_delay_alu instid0(VALU_DEP_1) | instskip(NEXT) | instid1(VALU_DEP_1)
	v_dot4_i32_iu8 v5, v154, v22, v5 neg_lo:[1,1,0]
	v_dot4_i32_iu8 v5, v155, v23, v5 neg_lo:[1,1,0]
	s_delay_alu instid0(VALU_DEP_1) | instskip(NEXT) | instid1(VALU_DEP_1)
	v_dot4_i32_iu8 v5, v156, v12, v5 neg_lo:[1,1,0]
	v_dot4_i32_iu8 v5, v157, v13, v5 neg_lo:[1,1,0]
	ds_load_b64 v[156:157], v4 offset:43584
	s_wait_dscnt 0x1
	v_lshrrev_b32_e32 v152, 16, v8
	v_cvt_f32_f16_e32 v4, v8
	v_dot4_i32_iu8 v134, v134, v14, v5 neg_lo:[1,1,0]
	s_delay_alu instid0(VALU_DEP_3) | instskip(SKIP_1) | instid1(VALU_DEP_3)
	v_cvt_f32_f16_e64 v154, v152
	v_cvt_f32_f16_e64 v152, v9
	v_dot4_i32_iu8 v134, v15, v135, v134 neg_lo:[1,1,0]
	s_set_vgpr_msb 16                       ;  msbs: dst=0 src0=0 src1=0 src2=1
	v_dot4_i32_iu8 v135, v7, v135, v13 /*v269*/ neg_lo:[1,1,0]
	s_delay_alu instid0(VALU_DEP_2)
	v_mul_lo_u32 v134, v134, v151
	s_wait_dscnt 0x0
	v_lshrrev_b32_e32 v8, 16, v156
	v_cvt_f32_f16_e64 v5, v156
	v_cvt_f32_f16_e64 v153, v157
	s_set_vgpr_msb 4                        ;  msbs: dst=0 src0=0 src1=1 src2=0
	v_dot4_i32_iu8 v156, v19, v0 /*v256*/, v249 neg_lo:[1,1,0]
	v_cvt_f32_f16_e64 v155, v8
	s_set_vgpr_msb 0                        ;  msbs: dst=0 src0=0 src1=0 src2=0
	v_lshrrev_b32_e32 v8, 16, v9
	v_lshrrev_b32_e32 v9, 16, v157
	s_set_vgpr_msb 20                       ;  msbs: dst=0 src0=0 src1=1 src2=1
	v_dot4_i32_iu8 v157, v11, v0 /*v256*/, v12 /*v268*/ neg_lo:[1,1,0]
	s_set_vgpr_msb 0                        ;  msbs: dst=0 src0=0 src1=0 src2=0
	v_mul_lo_u32 v156, v156, v203
	v_pk_fma_f32 v[250:251], v[136:137], v[154:155], 0 op_sel_hi:[0,1,0]
	v_mul_lo_u32 v136, v135, v151
	v_cvt_f32_f16_e32 v9, v9
	v_mul_lo_u32 v249, v157, v203
	v_cvt_f32_f16_e32 v8, v8
	v_cvt_f32_i32_e32 v135, v134
	v_cvt_f32_i32_e32 v157, v156
	;; [unrolled: 1-line block ×4, first 2 shown]
	s_delay_alu instid0(VALU_DEP_1) | instskip(NEXT) | instid1(VALU_DEP_1)
	v_pk_fma_f32 v[156:157], v[4:5], v[156:157], 0 op_sel_hi:[1,1,0]
	v_pk_fma_f32 v[134:135], v[152:153], v[134:135], v[156:157]
	v_pk_fma_f32 v[156:157], v[130:131], v[8:9], v[250:251] op_sel_hi:[0,1,1]
	s_set_vgpr_msb 1                        ;  msbs: dst=0 src0=1 src1=0 src2=0
	v_mul_i32_i24_e32 v130, v10 /*v266*/, v220
	s_set_vgpr_msb 0                        ;  msbs: dst=0 src0=0 src1=0 src2=0
	s_delay_alu instid0(VALU_DEP_2) | instskip(SKIP_1) | instid1(VALU_DEP_2)
	v_pk_mul_f32 v[156:157], v[156:157], v[118:119]
	s_set_vgpr_msb 1                        ;  msbs: dst=0 src0=1 src1=0 src2=0
	v_dot4_i32_iu8 v130, v18 /*v274*/, v221, v130 neg_lo:[1,1,0]
	s_set_vgpr_msb 0                        ;  msbs: dst=0 src0=0 src1=0 src2=0
	s_delay_alu instid0(VALU_DEP_2) | instskip(SKIP_1) | instid1(VALU_DEP_2)
	v_pk_fma_f32 v[134:135], v[134:135], v[110:111], v[156:157] neg_lo:[0,0,1] neg_hi:[0,0,1]
	s_set_vgpr_msb 1                        ;  msbs: dst=0 src0=1 src1=0 src2=0
	v_dot4_i32_iu8 v130, v19 /*v275*/, v224, v130 neg_lo:[1,1,0]
	s_set_vgpr_msb 0                        ;  msbs: dst=0 src0=0 src1=0 src2=0
	v_pk_fma_f32 v[156:157], v[140:141], v[154:155], 0 op_sel_hi:[0,1,0]
	v_pk_add_f32 v[34:35], v[34:35], v[134:135]
	s_delay_alu instid0(VALU_DEP_3) | instskip(SKIP_3) | instid1(VALU_DEP_4)
	v_dot4_i32_iu8 v130, v252, v225, v130 neg_lo:[1,1,0]
	v_dot4_i32_iu8 v134, v20, v205, 0 neg_lo:[1,1,0]
	;; [unrolled: 1-line block ×3, first 2 shown]
	v_pk_fma_f32 v[150:151], v[150:151], v[8:9], v[156:157] op_sel_hi:[0,1,1]
	v_dot4_i32_iu8 v130, v253, v226, v130 neg_lo:[1,1,0]
	s_delay_alu instid0(VALU_DEP_4) | instskip(NEXT) | instid1(VALU_DEP_3)
	v_dot4_i32_iu8 v134, v21, v206, v134 neg_lo:[1,1,0]
	v_pk_mul_f32 v[150:151], v[150:151], v[120:121]
	s_delay_alu instid0(VALU_DEP_3) | instskip(NEXT) | instid1(VALU_DEP_3)
	v_dot4_i32_iu8 v130, v254, v227, v130 neg_lo:[1,1,0]
	v_dot4_i32_iu8 v134, v22, v242, v134 neg_lo:[1,1,0]
	s_set_vgpr_msb 4                        ;  msbs: dst=0 src0=0 src1=1 src2=0
	s_delay_alu instid0(VALU_DEP_2) | instskip(SKIP_1) | instid1(VALU_DEP_2)
	v_mad_i32_i24 v130, v222, v11 /*v267*/, v130
	s_set_vgpr_msb 0                        ;  msbs: dst=0 src0=0 src1=0 src2=0
	v_dot4_i32_iu8 v134, v23, v243, v134 neg_lo:[1,1,0]
	s_set_vgpr_msb 1                        ;  msbs: dst=0 src0=1 src1=0 src2=0
	s_delay_alu instid0(VALU_DEP_2) | instskip(SKIP_1) | instid1(VALU_DEP_2)
	v_dot4_i32_iu8 v130, v3 /*v259*/, v17, v130 neg_lo:[1,1,0]
	s_set_vgpr_msb 0                        ;  msbs: dst=0 src0=0 src1=0 src2=0
	v_dot4_i32_iu8 v134, v12, v244, v134 neg_lo:[1,1,0]
	v_perm_b32 v12, v12, v23, 0x6050403
	s_set_vgpr_msb 1                        ;  msbs: dst=0 src0=1 src1=0 src2=0
	v_dot4_i32_iu8 v130, v4 /*v260*/, v18, v130 neg_lo:[1,1,0]
	s_set_vgpr_msb 0                        ;  msbs: dst=0 src0=0 src1=0 src2=0
	v_dot4_i32_iu8 v134, v13, v245, v134 neg_lo:[1,1,0]
	s_set_vgpr_msb 4                        ;  msbs: dst=0 src0=0 src1=1 src2=0
	s_delay_alu instid0(VALU_DEP_2) | instskip(SKIP_1) | instid1(VALU_DEP_2)
	v_dot4_i32_iu8 v130, v19, v1 /*v257*/, v130 neg_lo:[1,1,0]
	s_set_vgpr_msb 0                        ;  msbs: dst=0 src0=0 src1=0 src2=0
	v_dot4_i32_iu8 v136, v14, v246, v134 neg_lo:[1,1,0]
	s_set_vgpr_msb 20                       ;  msbs: dst=0 src0=0 src1=1 src2=1
	v_dot4_i32_iu8 v134, v11, v1 /*v257*/, v14 /*v270*/ neg_lo:[1,1,0]
	s_set_vgpr_msb 0                        ;  msbs: dst=0 src0=0 src1=0 src2=0
	v_mul_lo_u32 v130, v130, v204
	s_delay_alu instid0(VALU_DEP_2) | instskip(NEXT) | instid1(VALU_DEP_2)
	v_mul_lo_u32 v134, v134, v204
	v_cvt_f32_i32_e32 v135, v130
	s_set_vgpr_msb 4                        ;  msbs: dst=0 src0=0 src1=1 src2=0
	v_dot4_i32_iu8 v130, v15, v2 /*v258*/, v136 neg_lo:[1,1,0]
	s_delay_alu instid0(VALU_DEP_3)
	v_cvt_f32_i32_e32 v134, v134
	s_set_vgpr_msb 20                       ;  msbs: dst=0 src0=0 src1=1 src2=1
	v_dot4_i32_iu8 v136, v7, v2 /*v258*/, v15 /*v271*/ neg_lo:[1,1,0]
	s_set_vgpr_msb 0                        ;  msbs: dst=0 src0=0 src1=0 src2=0
	v_mul_lo_u32 v130, v130, v241
	v_pk_fma_f32 v[134:135], v[4:5], v[134:135], 0 op_sel_hi:[1,1,0]
	s_delay_alu instid0(VALU_DEP_3) | instskip(NEXT) | instid1(VALU_DEP_3)
	v_mul_lo_u32 v136, v136, v241
	v_cvt_f32_i32_e32 v205, v130
	v_perm_b32 v130, v22, v21, 0x6050403
	v_cvt_f32_i32_e32 v21, v16
	v_pk_fma_f32 v[22:23], v[138:139], v[154:155], 0 op_sel_hi:[0,1,0]
	v_cvt_f32_i32_e32 v204, v136
	s_delay_alu instid0(VALU_DEP_4) | instskip(NEXT) | instid1(VALU_DEP_3)
	v_dot4_i32_iu8 v20, v130, v235, v20 neg_lo:[1,1,0]
	v_pk_fma_f32 v[22:23], v[142:143], v[8:9], v[22:23] op_sel_hi:[0,1,1]
	s_delay_alu instid0(VALU_DEP_3) | instskip(NEXT) | instid1(VALU_DEP_3)
	v_pk_fma_f32 v[134:135], v[152:153], v[204:205], v[134:135]
	v_dot4_i32_iu8 v20, v132, v230, v20 neg_lo:[1,1,0]
	s_delay_alu instid0(VALU_DEP_3) | instskip(NEXT) | instid1(VALU_DEP_3)
	v_pk_mul_f32 v[22:23], v[22:23], v[122:123]
	v_pk_fma_f32 v[134:135], v[134:135], v[112:113], v[150:151] neg_lo:[0,0,1] neg_hi:[0,0,1]
	s_delay_alu instid0(VALU_DEP_3) | instskip(NEXT) | instid1(VALU_DEP_2)
	v_dot4_i32_iu8 v20, v12, v229, v20 neg_lo:[1,1,0]
	v_pk_add_f32 v[32:33], v[32:33], v[134:135]
	s_set_vgpr_msb 4                        ;  msbs: dst=0 src0=0 src1=1 src2=0
	s_delay_alu instid0(VALU_DEP_2) | instskip(SKIP_1) | instid1(VALU_DEP_1)
	v_mad_i32_i24 v20, v228, v17 /*v273*/, v20
	s_set_vgpr_msb 0                        ;  msbs: dst=0 src0=0 src1=0 src2=0
	v_dot4_i32_iu8 v20, v247, v13, v20 neg_lo:[1,1,0]
	s_delay_alu instid0(VALU_DEP_1) | instskip(SKIP_3) | instid1(VALU_DEP_2)
	v_dot4_i32_iu8 v24, v248, v14, v20 neg_lo:[1,1,0]
	s_set_vgpr_msb 16                       ;  msbs: dst=0 src0=0 src1=0 src2=1
	v_dot4_i32_iu8 v20, v11, v133, v8 /*v264*/ neg_lo:[1,1,0]
	s_set_vgpr_msb 0                        ;  msbs: dst=0 src0=0 src1=0 src2=0
	v_dot4_i32_iu8 v16, v15, v231, v24 neg_lo:[1,1,0]
	s_delay_alu instid0(VALU_DEP_2) | instskip(SKIP_2) | instid1(VALU_DEP_3)
	v_mul_lo_u32 v20, v20, v223
	s_set_vgpr_msb 16                       ;  msbs: dst=0 src0=0 src1=0 src2=1
	v_dot4_i32_iu8 v24, v7, v231, v7 /*v263*/ neg_lo:[1,1,0]
	v_mul_lo_u32 v16, v16, v210
	s_delay_alu instid0(VALU_DEP_2) | instskip(NEXT) | instid1(VALU_DEP_4)
	v_mul_lo_u32 v24, v24, v210
	v_cvt_f32_i32_e32 v20, v20
	s_delay_alu instid0(VALU_DEP_3)
	v_cvt_f32_i32_e32 v25, v16
	s_set_vgpr_msb 1                        ;  msbs: dst=0 src0=1 src1=0 src2=0
	v_mul_i32_i24_e32 v16, v10 /*v266*/, v207
	s_set_vgpr_msb 0                        ;  msbs: dst=0 src0=0 src1=0 src2=0
	v_pk_fma_f32 v[20:21], v[4:5], v[20:21], 0 op_sel_hi:[1,1,0]
	v_cvt_f32_i32_e32 v24, v24
	s_set_vgpr_msb 1                        ;  msbs: dst=0 src0=1 src1=0 src2=0
	v_dot4_i32_iu8 v16, v18 /*v274*/, v208, v16 neg_lo:[1,1,0]
	s_set_vgpr_msb 0                        ;  msbs: dst=0 src0=0 src1=0 src2=0
	s_delay_alu instid0(VALU_DEP_2) | instskip(SKIP_1) | instid1(VALU_DEP_2)
	v_pk_fma_f32 v[20:21], v[152:153], v[24:25], v[20:21]
	s_set_vgpr_msb 1                        ;  msbs: dst=0 src0=1 src1=0 src2=0
	v_dot4_i32_iu8 v16, v19 /*v275*/, v211, v16 neg_lo:[1,1,0]
	s_set_vgpr_msb 0                        ;  msbs: dst=0 src0=0 src1=0 src2=0
	s_delay_alu instid0(VALU_DEP_2) | instskip(NEXT) | instid1(VALU_DEP_2)
	v_pk_fma_f32 v[20:21], v[20:21], v[114:115], v[22:23] neg_lo:[0,0,1] neg_hi:[0,0,1]
	v_dot4_i32_iu8 v16, v252, v212, v16 neg_lo:[1,1,0]
	s_delay_alu instid0(VALU_DEP_2) | instskip(NEXT) | instid1(VALU_DEP_2)
	v_pk_add_f32 v[30:31], v[30:31], v[20:21]
	v_dot4_i32_iu8 v16, v253, v213, v16 neg_lo:[1,1,0]
	s_delay_alu instid0(VALU_DEP_1) | instskip(SKIP_1) | instid1(VALU_DEP_1)
	v_dot4_i32_iu8 v16, v254, v215, v16 neg_lo:[1,1,0]
	s_set_vgpr_msb 4                        ;  msbs: dst=0 src0=0 src1=1 src2=0
	v_mad_i32_i24 v16, v209, v11 /*v267*/, v16
	s_set_vgpr_msb 0                        ;  msbs: dst=0 src0=0 src1=0 src2=0
	s_delay_alu instid0(VALU_DEP_1) | instskip(SKIP_3) | instid1(VALU_DEP_2)
	v_dot4_i32_iu8 v16, v233, v17, v16 neg_lo:[1,1,0]
	s_set_vgpr_msb 1                        ;  msbs: dst=0 src0=1 src1=0 src2=0
	v_mul_i32_i24_e32 v17, v16 /*v272*/, v217
	s_set_vgpr_msb 0                        ;  msbs: dst=0 src0=0 src1=0 src2=0
	v_dot4_i32_iu8 v16, v236, v18, v16 neg_lo:[1,1,0]
	s_delay_alu instid0(VALU_DEP_2) | instskip(NEXT) | instid1(VALU_DEP_1)
	v_dot4_i32_iu8 v17, v26, v218, v17 neg_lo:[1,1,0]
	v_dot4_i32_iu8 v0, v27, v0, v17 neg_lo:[1,1,0]
	s_delay_alu instid0(VALU_DEP_1) | instskip(SKIP_1) | instid1(VALU_DEP_2)
	v_dot4_i32_iu8 v0, v130, v1, v0 neg_lo:[1,1,0]
	v_dot4_i32_iu8 v1, v11, v239, v10 neg_lo:[1,1,0]
	;; [unrolled: 1-line block ×3, first 2 shown]
	s_delay_alu instid0(VALU_DEP_2) | instskip(NEXT) | instid1(VALU_DEP_2)
	v_mul_lo_u32 v2, v1, v214
	v_dot4_i32_iu8 v0, v12, v3, v0 neg_lo:[1,1,0]
	s_set_vgpr_msb 4                        ;  msbs: dst=0 src0=0 src1=1 src2=0
	s_delay_alu instid0(VALU_DEP_1) | instskip(SKIP_1) | instid1(VALU_DEP_1)
	v_mad_i32_i24 v0, v216, v17 /*v273*/, v0
	s_set_vgpr_msb 0                        ;  msbs: dst=0 src0=0 src1=0 src2=0
	v_dot4_i32_iu8 v0, v237, v13, v0 neg_lo:[1,1,0]
	s_delay_alu instid0(VALU_DEP_1) | instskip(SKIP_1) | instid1(VALU_DEP_1)
	v_dot4_i32_iu8 v12, v238, v14, v0 neg_lo:[1,1,0]
	v_dot4_i32_iu8 v0, v19, v239, v16 neg_lo:[1,1,0]
	v_mul_lo_u32 v0, v0, v214
	s_delay_alu instid0(VALU_DEP_1) | instskip(SKIP_2) | instid1(VALU_DEP_2)
	v_cvt_f32_i32_e32 v1, v0
	v_cvt_f32_i32_e32 v0, v2
	v_pk_fma_f32 v[2:3], v[128:129], v[154:155], 0 op_sel_hi:[0,1,0]
	v_pk_fma_f32 v[0:1], v[4:5], v[0:1], 0 op_sel_hi:[1,1,0]
	v_dot4_i32_iu8 v4, v15, v219, v12 neg_lo:[1,1,0]
	v_dot4_i32_iu8 v5, v7, v219, v6 neg_lo:[1,1,0]
	s_delay_alu instid0(VALU_DEP_4) | instskip(NEXT) | instid1(VALU_DEP_3)
	v_pk_fma_f32 v[2:3], v[126:127], v[8:9], v[2:3] op_sel_hi:[0,1,1]
	v_mul_lo_u32 v4, v4, v141
	s_delay_alu instid0(VALU_DEP_3) | instskip(NEXT) | instid1(VALU_DEP_3)
	v_mul_lo_u32 v6, v5, v141
	v_pk_mul_f32 v[2:3], v[2:3], v[124:125]
	s_delay_alu instid0(VALU_DEP_3) | instskip(NEXT) | instid1(VALU_DEP_3)
	v_cvt_f32_i32_e32 v5, v4
	v_cvt_f32_i32_e32 v4, v6
	s_delay_alu instid0(VALU_DEP_1) | instskip(NEXT) | instid1(VALU_DEP_1)
	v_pk_fma_f32 v[0:1], v[152:153], v[4:5], v[0:1]
	v_pk_fma_f32 v[0:1], v[0:1], v[116:117], v[2:3] neg_lo:[0,0,1] neg_hi:[0,0,1]
	s_delay_alu instid0(VALU_DEP_1)
	v_pk_add_f32 v[28:29], v[28:29], v[0:1]
	s_cbranch_vccnz .LBB174_6
; %bb.7:                                ;   in Loop: Header=BB174_5 Depth=1
	v_dual_add_nc_u32 v8, s4, v175 :: v_dual_add_nc_u32 v16, 4, v137
	s_barrier_signal -1
	s_barrier_wait -1
	s_delay_alu instid0(VALU_DEP_1) | instskip(SKIP_3) | instid1(VALU_DEP_4)
	v_dual_add_nc_u32 v6, v8, v176 :: v_dual_add_nc_u32 v12, v8, v173
	v_dual_add_nc_u32 v0, v8, v168 :: v_dual_add_nc_u32 v2, v8, v169
	;; [unrolled: 1-line block ×4, first 2 shown]
	v_mad_nc_i64_i32 v[6:7], v6, 36, v[108:109]
	s_delay_alu instid0(VALU_DEP_4)
	v_mad_nc_i64_i32 v[0:1], v0, 36, v[108:109]
	v_mad_nc_i64_i32 v[2:3], v2, 36, v[108:109]
	;; [unrolled: 1-line block ×7, first 2 shown]
	v_mad_nc_u64_u32 v[16:17], v16, 36, s[10:11]
	s_clause 0x8
	global_load_b32 v18, v[6:7], off offset:4
	global_load_b32 v19, v[0:1], off offset:4
	;; [unrolled: 1-line block ×8, first 2 shown]
	global_load_b32 v26, v[16:17], off
	s_mov_b32 s4, 16
	s_wait_loadcnt 0x8
	ds_store_b32 v131, v18
	s_wait_loadcnt 0x7
	ds_store_b32 v99, v19
	;; [unrolled: 2-line block ×9, first 2 shown]
	s_wait_dscnt 0x0
	s_barrier_signal -1
	s_barrier_wait -1
	ds_load_b32 v0, v178
	ds_load_b32 v1, v179 offset:128
	ds_load_b32 v2, v180 offset:256
	;; [unrolled: 1-line block ×3, first 2 shown]
	s_wait_dscnt 0x3
	v_cvt_f32_f16_e32 v22, v0
	v_lshrrev_b32_e32 v0, 16, v0
	s_wait_dscnt 0x2
	v_cvt_f32_f16_e32 v24, v1
	v_lshrrev_b32_e32 v1, 16, v1
	s_wait_dscnt 0x1
	v_cvt_f32_f16_e32 v26, v2
	s_wait_dscnt 0x0
	v_dual_lshrrev_b32 v2, 16, v2 :: v_dual_lshrrev_b32 v4, 16, v3
	v_cvt_f32_f16_e32 v110, v3
	v_cvt_f32_f16_e32 v112, v0
	;; [unrolled: 1-line block ×3, first 2 shown]
	s_delay_alu instid0(VALU_DEP_4) | instskip(SKIP_4) | instid1(VALU_DEP_4)
	v_cvt_f32_f16_e32 v116, v2
	v_cvt_f32_f16_e32 v118, v4
	v_dual_mov_b32 v23, v22 :: v_dual_mov_b32 v25, v24
	v_dual_mov_b32 v27, v26 :: v_dual_mov_b32 v111, v110
	;; [unrolled: 1-line block ×4, first 2 shown]
.LBB174_8:                              ;   Parent Loop BB174_5 Depth=1
                                        ; =>  This Inner Loop Header: Depth=2
	s_lshr_b32 s5, s4, 2
	s_lshl_b32 s8, s4, 3
	s_and_b32 s7, s5, 0x3ffffffe
	s_lshl_b32 s5, s4, 1
	s_add_co_i32 s7, s7, 0xa200
	s_and_b32 s5, s5, 16
	s_delay_alu instid0(SALU_CYCLE_1)
	v_dual_add_nc_u32 v216, s8, v197 :: v_dual_bitop2_b32 v0, s5, v75 bitop3:0x54
	v_add3_u32 v16, s7, v201, v193
	v_add_nc_u32_e32 v132, s8, v198
	v_add3_u32 v128, s7, v202, v189
	s_set_vgpr_msb 64                       ;  msbs: dst=1 src0=0 src1=0 src2=0
	v_dual_add_nc_u32 v22 /*v278*/, s8, v199 :: v_dual_add_nc_u32 v38 /*v294*/, s8, v200
	s_set_vgpr_msb 0                        ;  msbs: dst=0 src0=0 src1=0 src2=0
	v_dual_lshlrev_b32 v8, 2, v0 :: v_dual_lshrrev_b32 v19, 1, v0
	s_set_vgpr_msb 64                       ;  msbs: dst=1 src0=0 src1=0 src2=0
	v_add3_u32 v37 /*v293*/, s7, v195, v191
	s_set_vgpr_msb 0                        ;  msbs: dst=0 src0=0 src1=0 src2=0
	ds_load_b128 v[12:15], v8 offset:33280
	ds_load_b128 v[0:3], v8 offset:33296
	;; [unrolled: 1-line block ×4, first 2 shown]
	ds_load_2addr_b32 v[20:21], v216 offset1:1
	ds_load_2addr_b32 v[120:121], v216 offset0:2 offset1:3
	ds_load_b32 v148, v216 offset:16
	ds_load_b96 v[136:138], v216 offset:19
	ds_load_i8 v220, v216 offset:31
	s_wait_dscnt 0x8
	v_bfe_i32 v130, v12, 0, 8
	v_perm_b32 v223, v13, v12, 0x4030201
	v_perm_b32 v241, v14, v13, 0x4030201
	;; [unrolled: 1-line block ×3, first 2 shown]
	s_wait_dscnt 0x4
	v_bfe_i32 v150, v20, 0, 8
	v_perm_b32 v18, v21, v20, 0x4030201
	v_perm_b32 v250, v0, v15, 0x4030201
	;; [unrolled: 1-line block ×4, first 2 shown]
	v_mul_i32_i24_e32 v17, v150, v130
	v_perm_b32 v255, v1, v1, 0xc0c0201
	s_set_vgpr_msb 64                       ;  msbs: dst=1 src0=0 src1=0 src2=0
	v_perm_b32 v0 /*v256*/, v2, v1, 0xc0c0403
	v_perm_b32 v1 /*v257*/, v2, v2, 0xc0c0201
	;; [unrolled: 1-line block ×3, first 2 shown]
	s_set_vgpr_msb 0                        ;  msbs: dst=0 src0=0 src1=0 src2=0
	v_dot4_i32_iu8 v17, v18, v223, v17 neg_lo:[1,1,0]
	s_wait_dscnt 0x3
	v_perm_b32 v18, v120, v21, 0x4030201
	v_bfe_i32 v152, v4, 0, 8
	v_perm_b32 v153, v5, v4, 0x4030201
	s_set_vgpr_msb 64                       ;  msbs: dst=1 src0=0 src1=0 src2=0
	v_perm_b32 v9 /*v265*/, v20, v20, 0xc0c0201
	v_perm_b32 v10 /*v266*/, v21, v20, 0x6050403
	s_set_vgpr_msb 0                        ;  msbs: dst=0 src0=0 src1=0 src2=0
	v_dot4_i32_iu8 v17, v18, v241, v17 neg_lo:[1,1,0]
	v_perm_b32 v18, v121, v120, 0x4030201
	s_set_vgpr_msb 64                       ;  msbs: dst=1 src0=0 src1=0 src2=0
	v_perm_b32 v11 /*v267*/, v120, v21, 0x6050403
	v_perm_b32 v12 /*v268*/, v121, v120, 0x6050403
	v_perm_b32 v41 /*v297*/, v7, v6, 0x4030201
	v_perm_b32 v44 /*v300*/, v8, v7, 0x4030201
	s_set_vgpr_msb 0                        ;  msbs: dst=0 src0=0 src1=0 src2=0
	v_dot4_i32_iu8 v17, v18, v242, v17 neg_lo:[1,1,0]
	s_wait_dscnt 0x2
	v_perm_b32 v18, v148, v121, 0x4030201
	s_wait_dscnt 0x1
	v_bfe_i32 v149, v136, 0, 8
	s_set_vgpr_msb 64                       ;  msbs: dst=1 src0=0 src1=0 src2=0
	v_perm_b32 v46 /*v302*/, v9, v8, 0x4030201
	v_perm_b32 v13 /*v269*/, v136, v136, 0xc0c0201
	;; [unrolled: 1-line block ×3, first 2 shown]
	s_set_vgpr_msb 0                        ;  msbs: dst=0 src0=0 src1=0 src2=0
	v_dot4_i32_iu8 v17, v18, v250, v17 neg_lo:[1,1,0]
	v_perm_b32 v18, v148, v148, 0xc0c0201
	s_set_vgpr_msb 64                       ;  msbs: dst=1 src0=0 src1=0 src2=0
	v_perm_b32 v14 /*v270*/, v137, v136, 0x6050403
	v_bfe_i32 v15 /*v271*/, v3, 8, 8
	s_set_vgpr_msb 0                        ;  msbs: dst=0 src0=0 src1=0 src2=0
	v_bfe_i32 v221, v138, 16, 8
	v_perm_b32 v252, v138, v137, 0x6050403
	v_dot4_i32_iu8 v17, v253, v18, v17 neg_lo:[1,1,0]
	v_perm_b32 v18, v136, v136, 0xc0c0100
	s_set_vgpr_msb 64                       ;  msbs: dst=1 src0=0 src1=0 src2=0
	v_perm_b32 v61 /*v317*/, v3, v3, 0xc0c0302
	v_bfe_i32 v23 /*v279*/, v11, 0, 8
	s_set_vgpr_msb 0                        ;  msbs: dst=0 src0=0 src1=0 src2=0
	v_bfe_i32 v142, v12, 8, 8
	v_perm_b32 v12, v13, v12, 0x5040302
	v_dot4_i32_iu8 v17, v254, v18, v17 neg_lo:[1,1,0]
	v_perm_b32 v18, v136, v136, 0xc0c0302
	s_delay_alu instid0(VALU_DEP_1) | instskip(SKIP_2) | instid1(VALU_DEP_1)
	v_dot4_i32_iu8 v17, v255, v18, v17 neg_lo:[1,1,0]
	v_perm_b32 v18, v137, v137, 0xc0c0100
	s_set_vgpr_msb 1                        ;  msbs: dst=0 src0=1 src1=0 src2=0
	v_dot4_i32_iu8 v17, v0 /*v256*/, v18, v17 neg_lo:[1,1,0]
	s_set_vgpr_msb 0                        ;  msbs: dst=0 src0=0 src1=0 src2=0
	v_perm_b32 v18, v137, v137, 0xc0c0302
	s_set_vgpr_msb 1                        ;  msbs: dst=0 src0=1 src1=0 src2=0
	s_delay_alu instid0(VALU_DEP_1) | instskip(SKIP_3) | instid1(VALU_DEP_1)
	v_dot4_i32_iu8 v17, v1 /*v257*/, v18, v17 neg_lo:[1,1,0]
	s_set_vgpr_msb 0                        ;  msbs: dst=0 src0=0 src1=0 src2=0
	v_perm_b32 v18, v138, v138, 0xc0c0100
	s_set_vgpr_msb 1                        ;  msbs: dst=0 src0=1 src1=0 src2=0
	v_dot4_i32_iu8 v222, v2 /*v258*/, v18, v17 neg_lo:[1,1,0]
	s_set_vgpr_msb 0                        ;  msbs: dst=0 src0=0 src1=0 src2=0
	ds_load_u16 v17, v16
	ds_load_u16 v16, v16 offset:8
	ds_load_2addr_b32 v[124:125], v216 offset0:14 offset1:15
	ds_load_2addr_b32 v[248:249], v132 offset1:1
	s_wait_dscnt 0x3
	v_lshrrev_b16 v18, 8, v17
	v_and_b32_e32 v154, 0xff, v17
	s_wait_dscnt 0x2
	v_cvt_f32_ubyte0_e32 v126, v16
	v_cvt_f32_ubyte1_e32 v122, v16
	s_wait_dscnt 0x0
	v_bfe_i32 v156, v248, 0, 8
	v_and_b32_e32 v123, 0xffff, v18
	ds_load_2addr_b32 v[134:135], v132 offset0:2 offset1:3
	ds_load_b32 v155, v132 offset:16
	ds_load_b128 v[224:227], v132 offset:19
	ds_load_b128 v[144:147], v132 offset:35
	ds_load_b96 v[16:18], v132 offset:51
	s_set_vgpr_msb 64                       ;  msbs: dst=1 src0=0 src1=0 src2=0
	ds_load_i8 v36 /*v292*/, v132 offset:63
	s_set_vgpr_msb 0                        ;  msbs: dst=0 src0=0 src1=0 src2=0
	v_perm_b32 v132, v249, v248, 0x4030201
	v_bfe_i32 v236, v125, 0, 8
	v_mul_i32_i24_e32 v133, v156, v130
	s_delay_alu instid0(VALU_DEP_1)
	v_dot4_i32_iu8 v132, v132, v223, v133 neg_lo:[1,1,0]
	s_wait_dscnt 0x5
	v_perm_b32 v133, v134, v249, 0x4030201
	s_wait_dscnt 0x3
	v_bfe_i32 v204, v227, 8, 8
	s_wait_dscnt 0x2
	v_perm_b32 v205, v144, v227, 0x5040302
	v_bfe_i32 v157, v224, 0, 8
	v_dot4_i32_iu8 v132, v133, v241, v132 neg_lo:[1,1,0]
	v_perm_b32 v133, v135, v134, 0x4030201
	s_set_vgpr_msb 64                       ;  msbs: dst=1 src0=0 src1=0 src2=0
	v_bfe_i32 v3 /*v259*/, v226, 16, 8
	s_set_vgpr_msb 0                        ;  msbs: dst=0 src0=0 src1=0 src2=0
	s_delay_alu instid0(VALU_DEP_2) | instskip(SKIP_1) | instid1(VALU_DEP_1)
	v_dot4_i32_iu8 v132, v133, v242, v132 neg_lo:[1,1,0]
	v_perm_b32 v133, v155, v135, 0x4030201
	v_dot4_i32_iu8 v132, v133, v250, v132 neg_lo:[1,1,0]
	v_perm_b32 v133, v155, v155, 0xc0c0201
	s_delay_alu instid0(VALU_DEP_1) | instskip(SKIP_1) | instid1(VALU_DEP_1)
	v_dot4_i32_iu8 v132, v253, v133, v132 neg_lo:[1,1,0]
	v_perm_b32 v133, v224, v224, 0xc0c0100
	v_dot4_i32_iu8 v132, v254, v133, v132 neg_lo:[1,1,0]
	v_perm_b32 v133, v224, v224, 0xc0c0302
	s_delay_alu instid0(VALU_DEP_1) | instskip(SKIP_2) | instid1(VALU_DEP_1)
	v_dot4_i32_iu8 v132, v255, v133, v132 neg_lo:[1,1,0]
	v_perm_b32 v133, v225, v225, 0xc0c0100
	s_set_vgpr_msb 1                        ;  msbs: dst=0 src0=1 src1=0 src2=0
	v_dot4_i32_iu8 v132, v0 /*v256*/, v133, v132 neg_lo:[1,1,0]
	s_set_vgpr_msb 0                        ;  msbs: dst=0 src0=0 src1=0 src2=0
	v_perm_b32 v133, v225, v225, 0xc0c0302
	s_set_vgpr_msb 1                        ;  msbs: dst=0 src0=1 src1=0 src2=0
	s_delay_alu instid0(VALU_DEP_1) | instskip(SKIP_3) | instid1(VALU_DEP_1)
	v_dot4_i32_iu8 v132, v1 /*v257*/, v133, v132 neg_lo:[1,1,0]
	s_set_vgpr_msb 0                        ;  msbs: dst=0 src0=0 src1=0 src2=0
	v_perm_b32 v133, v226, v226, 0xc0c0100
	s_set_vgpr_msb 0x41                     ;  msbs: dst=1 src0=1 src1=0 src2=0
	v_dot4_i32_iu8 v4 /*v260*/, v2 /*v258*/, v133, v132 neg_lo:[1,1,0]
	s_set_vgpr_msb 0                        ;  msbs: dst=0 src0=0 src1=0 src2=0
	ds_load_u16 v132, v128
	s_set_vgpr_msb 64                       ;  msbs: dst=1 src0=0 src1=0 src2=0
	ds_load_u16 v20 /*v276*/, v128 offset:8
	s_set_vgpr_msb 0                        ;  msbs: dst=0 src0=0 src1=0 src2=0
	v_or_b32_e32 v133, s5, v182
	s_delay_alu instid0(VALU_DEP_1)
	v_lshlrev_b32_e32 v217, 2, v133
	s_wait_dscnt 0x1
	s_set_vgpr_msb 64                       ;  msbs: dst=1 src0=0 src1=0 src2=0
	v_lshrrev_b16 v21 /*v277*/, 8, v132
	s_set_vgpr_msb 0                        ;  msbs: dst=0 src0=0 src1=0 src2=0
	v_and_b32_e32 v203, 0xff, v132
	v_mul_i32_i24_e32 v132, v204, v152
	s_wait_dscnt 0x0
	s_set_vgpr_msb 1                        ;  msbs: dst=0 src0=1 src1=0 src2=0
	v_cvt_f32_ubyte0_e32 v128, v20 /*v276*/
	s_set_vgpr_msb 0                        ;  msbs: dst=0 src0=0 src1=0 src2=0
	v_dot4_i32_iu8 v237, v205, v153, v132 neg_lo:[1,1,0]
	v_add3_u32 v132, s7, v194, v190
	ds_load_b64 v[140:141], v19 offset:43584
	s_set_vgpr_msb 1                        ;  msbs: dst=0 src0=1 src1=0 src2=0
	ds_load_2addr_b32 v[206:207], v22 /*v278*/ offset1:1
	ds_load_2addr_b32 v[208:209], v22 /*v278*/ offset0:2 offset1:3
	ds_load_2addr_b32 v[210:211], v22 /*v278*/ offset0:4 offset1:5
	s_set_vgpr_msb 0x41                     ;  msbs: dst=1 src0=1 src1=0 src2=0
	ds_load_2addr_b32 v[24:25] /*v[280:281]*/, v22 /*v278*/ offset0:6 offset1:7
	s_set_vgpr_msb 0                        ;  msbs: dst=0 src0=0 src1=0 src2=0
	ds_load_u16 v19, v132
	s_set_vgpr_msb 64                       ;  msbs: dst=1 src0=0 src1=0 src2=0
	ds_load_u16 v39 /*v295*/, v132 offset:8
	s_set_vgpr_msb 0                        ;  msbs: dst=0 src0=0 src1=0 src2=0
	v_lshrrev_b32_e32 v218, 1, v133
	s_set_vgpr_msb 0x41                     ;  msbs: dst=1 src0=1 src1=0 src2=0
	ds_load_2addr_b32 v[26:27] /*v[282:283]*/, v22 /*v278*/ offset0:8 offset1:9
	s_set_vgpr_msb 1                        ;  msbs: dst=0 src0=1 src1=0 src2=0
	ds_load_2addr_b32 v[132:133], v22 /*v278*/ offset0:10 offset1:11
	s_set_vgpr_msb 0                        ;  msbs: dst=0 src0=0 src1=0 src2=0
	ds_load_2addr_b32 v[212:213], v216 offset0:8 offset1:9
	s_wait_dscnt 0x9
	s_set_vgpr_msb 64                       ;  msbs: dst=1 src0=0 src1=0 src2=0
	v_cvt_f32_f16_e64 v28 /*v284*/, v140
	s_set_vgpr_msb 0                        ;  msbs: dst=0 src0=0 src1=0 src2=0
	v_lshrrev_b32_e32 v140, 16, v140
	s_set_vgpr_msb 64                       ;  msbs: dst=1 src0=0 src1=0 src2=0
	v_cvt_f32_f16_e64 v32 /*v288*/, v141
	s_set_vgpr_msb 0                        ;  msbs: dst=0 src0=0 src1=0 src2=0
	v_lshrrev_b32_e32 v141, 16, v141
	s_wait_dscnt 0x4
	s_set_vgpr_msb 64                       ;  msbs: dst=1 src0=0 src1=0 src2=0
	v_lshrrev_b16 v40 /*v296*/, 8, v19
	v_cvt_f32_f16_e64 v30 /*v286*/, v140
	s_wait_dscnt 0x0
	s_set_vgpr_msb 0                        ;  msbs: dst=0 src0=0 src1=0 src2=0
	v_bfe_i32 v151, v212, 0, 8
	v_lshrrev_b16 v214, 8, v213
	v_ashrrev_i32_e32 v238, 24, v213
	v_bfe_i32 v239, v213, 16, 8
	v_bfe_i32 v243, v213, 0, 8
	v_mul_i32_i24_e32 v215, v151, v152
	v_perm_b32 v152, v213, v212, 0x4030201
	v_bfe_i32 v240, v214, 0, 8
	s_set_vgpr_msb 64                       ;  msbs: dst=1 src0=0 src1=0 src2=0
	v_cvt_f32_f16_e64 v34 /*v290*/, v141
	s_set_vgpr_msb 0                        ;  msbs: dst=0 src0=0 src1=0 src2=0
	v_dot4_i32_iu8 v219, v152, v153, v215 neg_lo:[1,1,0]
	ds_load_2addr_b32 v[214:215], v216 offset0:10 offset1:11
	ds_load_b128 v[228:231], v217 offset:33280
	ds_load_b128 v[232:235], v217 offset:33296
	;; [unrolled: 1-line block ×3, first 2 shown]
	s_set_vgpr_msb 64                       ;  msbs: dst=1 src0=0 src1=0 src2=0
	ds_load_b128 v[16:19] /*v[272:275]*/, v217 offset:33328
	s_set_vgpr_msb 0                        ;  msbs: dst=0 src0=0 src1=0 src2=0
	ds_load_2addr_b32 v[216:217], v216 offset0:12 offset1:13
	s_wait_dscnt 0x4
	s_set_vgpr_msb 64                       ;  msbs: dst=1 src0=0 src1=0 src2=0
	v_bfe_i32 v42 /*v298*/, v228, 0, 8
	v_perm_b32 v45 /*v301*/, v228, v228, 0xc0c0201
	v_perm_b32 v47 /*v303*/, v229, v228, 0x6050403
	v_perm_b32 v55 /*v311*/, v230, v229, 0x6050403
	s_set_vgpr_msb 0                        ;  msbs: dst=0 src0=0 src1=0 src2=0
	v_perm_b32 v153, v214, v213, 0x4030201
	s_set_vgpr_msb 1                        ;  msbs: dst=0 src0=1 src1=0 src2=0
	v_mul_i32_i24_e32 v251, v42 /*v298*/, v150
	s_set_vgpr_msb 0                        ;  msbs: dst=0 src0=0 src1=0 src2=0
	v_perm_b32 v213, v6, v5, 0x4030201
	s_set_vgpr_msb 64                       ;  msbs: dst=1 src0=0 src1=0 src2=0
	v_perm_b32 v56 /*v312*/, v231, v230, 0x6050403
	v_perm_b32 v5 /*v261*/, v215, v214, 0x4030201
	s_wait_dscnt 0x3
	s_set_vgpr_msb 0                        ;  msbs: dst=0 src0=0 src1=0 src2=0
	v_perm_b32 v21, v232, v121, 0x6050403
	s_set_vgpr_msb 5                        ;  msbs: dst=0 src0=1 src1=1 src2=0
	v_dot4_i32_iu8 v251, v45 /*v301*/, v9 /*v265*/, v251 neg_lo:[1,1,0]
	s_set_vgpr_msb 0                        ;  msbs: dst=0 src0=0 src1=0 src2=0
	v_dot4_i32_iu8 v219, v153, v213, v219 neg_lo:[1,1,0]
	v_perm_b32 v120, v148, v231, 0x6050403
	s_wait_dscnt 0x0
	s_set_vgpr_msb 64                       ;  msbs: dst=1 src0=0 src1=0 src2=0
	v_perm_b32 v6 /*v262*/, v216, v215, 0x4030201
	v_ashrrev_i32_e32 v50 /*v306*/, 24, v232
	s_set_vgpr_msb 5                        ;  msbs: dst=0 src0=1 src1=1 src2=0
	v_dot4_i32_iu8 v20, v47 /*v303*/, v10 /*v266*/, v251 neg_lo:[1,1,0]
	v_dot4_i32_iu8 v219, v5 /*v261*/, v41 /*v297*/, v219 neg_lo:[1,1,0]
	s_set_vgpr_msb 64                       ;  msbs: dst=1 src0=0 src1=0 src2=0
	v_perm_b32 v7 /*v263*/, v217, v216, 0x4030201
	v_perm_b32 v57 /*v313*/, v233, v233, 0xc0c0100
	;; [unrolled: 1-line block ×3, first 2 shown]
	s_set_vgpr_msb 5                        ;  msbs: dst=0 src0=1 src1=1 src2=0
	v_dot4_i32_iu8 v20, v55 /*v311*/, v11 /*v267*/, v20 neg_lo:[1,1,0]
	v_dot4_i32_iu8 v219, v6 /*v262*/, v44 /*v300*/, v219 neg_lo:[1,1,0]
	s_set_vgpr_msb 64                       ;  msbs: dst=1 src0=0 src1=0 src2=0
	v_perm_b32 v58 /*v314*/, v234, v233, 0x5040302
	v_perm_b32 v59 /*v315*/, v235, v234, 0x5040302
	s_set_vgpr_msb 0                        ;  msbs: dst=0 src0=0 src1=0 src2=0
	v_perm_b32 v251, v220, v138, 0xc0c0403
	s_set_vgpr_msb 5                        ;  msbs: dst=0 src0=1 src1=1 src2=0
	v_dot4_i32_iu8 v20, v56 /*v312*/, v12 /*v268*/, v20 neg_lo:[1,1,0]
	v_dot4_i32_iu8 v219, v7 /*v263*/, v46 /*v302*/, v219 neg_lo:[1,1,0]
	s_set_vgpr_msb 64                       ;  msbs: dst=1 src0=0 src1=0 src2=0
	v_perm_b32 v60 /*v316*/, v235, v235, 0xc0c0302
	s_set_vgpr_msb 0                        ;  msbs: dst=0 src0=0 src1=0 src2=0
	v_lshrrev_b16 v140, 8, v245
	s_set_vgpr_msb 64                       ;  msbs: dst=1 src0=0 src1=0 src2=0
	v_bfe_i32 v53 /*v309*/, v245, 0, 8
	s_set_vgpr_msb 0                        ;  msbs: dst=0 src0=0 src1=0 src2=0
	v_dot4_i32_iu8 v20, v120, v21, v20 neg_lo:[1,1,0]
	s_set_vgpr_msb 0x45                     ;  msbs: dst=1 src0=1 src1=1 src2=0
	v_dot4_i32_iu8 v49 /*v305*/, v8 /*v264*/, v48 /*v304*/, v219 neg_lo:[1,1,0]
	s_set_vgpr_msb 4                        ;  msbs: dst=0 src0=0 src1=1 src2=0
	ds_load_b64 v[218:219], v218 offset:43584
	v_mad_i32_i24 v21, v221, v15 /*v271*/, v222
	s_set_vgpr_msb 64                       ;  msbs: dst=1 src0=0 src1=0 src2=0
	v_bfe_i32 v52 /*v308*/, v245, 16, 8
	s_set_vgpr_msb 4                        ;  msbs: dst=0 src0=0 src1=1 src2=0
	v_mad_i32_i24 v20, v149, v50 /*v306*/, v20
	v_bfe_i32 v140, v140, 0, 8
	s_set_vgpr_msb 0                        ;  msbs: dst=0 src0=0 src1=0 src2=0
	v_perm_b32 v220, v246, v244, 0xc0c0400
	s_set_vgpr_msb 4                        ;  msbs: dst=0 src0=0 src1=1 src2=0
	v_dot4_i32_iu8 v21, v251, v61 /*v317*/, v21 neg_lo:[1,1,0]
	s_set_vgpr_msb 0x41                     ;  msbs: dst=1 src0=1 src1=0 src2=0
	v_bfe_i32 v54 /*v310*/, v19 /*v275*/, 0, 8
	s_set_vgpr_msb 5                        ;  msbs: dst=0 src0=1 src1=1 src2=0
	v_dot4_i32_iu8 v20, v13 /*v269*/, v57 /*v313*/, v20 neg_lo:[1,1,0]
	s_set_vgpr_msb 0                        ;  msbs: dst=0 src0=0 src1=0 src2=0
	v_mul_i32_i24_e32 v138, v140, v240
	s_set_vgpr_msb 1                        ;  msbs: dst=0 src0=1 src1=0 src2=0
	v_mul_i32_i24_e32 v140, v52 /*v308*/, v239
	s_set_vgpr_msb 0                        ;  msbs: dst=0 src0=0 src1=0 src2=0
	v_mul_lo_u32 v120, v21, v154
	v_perm_b32 v234, v11, v10, 0x4030201
	s_set_vgpr_msb 5                        ;  msbs: dst=0 src0=1 src1=1 src2=0
	v_dot4_i32_iu8 v20, v14 /*v270*/, v58 /*v314*/, v20 neg_lo:[1,1,0]
	s_set_vgpr_msb 64                       ;  msbs: dst=1 src0=0 src1=0 src2=0
	v_perm_b32 v52 /*v308*/, v11, v11, 0xc070601
	s_set_vgpr_msb 0                        ;  msbs: dst=0 src0=0 src1=0 src2=0
	v_perm_b32 v239, v16, v147, 0x5040302
	v_perm_b32 v240, v17, v16, 0x5040302
	s_set_vgpr_msb 1                        ;  msbs: dst=0 src0=1 src1=0 src2=0
	v_perm_b32 v221, v24 /*v280*/, v211, 0x5040302
	v_dot4_i32_iu8 v20, v59 /*v315*/, v252, v20 neg_lo:[1,1,0]
	s_set_vgpr_msb 64                       ;  msbs: dst=1 src0=0 src1=0 src2=0
	v_bfe_i32 v51 /*v307*/, v244, 0, 8
	s_wait_dscnt 0x0
	v_cvt_f32_f16_e64 v29 /*v285*/, v218
	s_set_vgpr_msb 0                        ;  msbs: dst=0 src0=0 src1=0 src2=0
	v_lshrrev_b32_e32 v218, 16, v218
	s_set_vgpr_msb 64                       ;  msbs: dst=1 src0=0 src1=0 src2=0
	v_cvt_f32_f16_e64 v33 /*v289*/, v219
	s_set_vgpr_msb 4                        ;  msbs: dst=0 src0=0 src1=1 src2=0
	v_dot4_i32_iu8 v20, v251, v60 /*v316*/, v20 neg_lo:[1,1,0]
	s_set_vgpr_msb 0                        ;  msbs: dst=0 src0=0 src1=0 src2=0
	v_lshrrev_b32_e32 v219, 16, v219
	s_set_vgpr_msb 64                       ;  msbs: dst=1 src0=0 src1=0 src2=0
	v_bfe_i32 v43 /*v299*/, v228, 8, 8
	v_cvt_f32_f16_e64 v31 /*v287*/, v218
	s_set_vgpr_msb 0                        ;  msbs: dst=0 src0=0 src1=0 src2=0
	v_ashrrev_i32_e32 v218, 24, v245
	v_mul_lo_u32 v20, v20, v154
	s_set_vgpr_msb 64                       ;  msbs: dst=1 src0=0 src1=0 src2=0
	v_cvt_f32_f16_e64 v35 /*v291*/, v219
	s_set_vgpr_msb 0                        ;  msbs: dst=0 src0=0 src1=0 src2=0
	v_perm_b32 v219, v214, v212, 0xc0c0400
	s_set_vgpr_msb 4                        ;  msbs: dst=0 src0=0 src1=1 src2=0
	v_pk_fma_f32 v[136:137], v[126:127], v[30:31] /*v[286:287]*/, 0 op_sel_hi:[0,1,0]
	s_set_vgpr_msb 0                        ;  msbs: dst=0 src0=0 src1=0 src2=0
	v_mul_i32_i24_e32 v141, v218, v238
	s_set_vgpr_msb 1                        ;  msbs: dst=0 src0=1 src1=0 src2=0
	v_mul_i32_i24_e32 v218, v54 /*v310*/, v236
	s_set_vgpr_msb 0                        ;  msbs: dst=0 src0=0 src1=0 src2=0
	v_perm_b32 v236, v145, v144, 0x5040302
	v_perm_b32 v238, v147, v146, 0x5040302
	s_set_vgpr_msb 4                        ;  msbs: dst=0 src0=0 src1=1 src2=0
	v_pk_fma_f32 v[136:137], v[122:123], v[34:35] /*v[290:291]*/, v[136:137] op_sel_hi:[0,1,1]
	s_set_vgpr_msb 1                        ;  msbs: dst=0 src0=1 src1=0 src2=0
	v_cvt_f32_ubyte1_e32 v144, v20 /*v276*/
	v_bfe_i32 v222, v26 /*v282*/, 0, 8
	s_set_vgpr_msb 0                        ;  msbs: dst=0 src0=0 src1=0 src2=0
	v_cvt_f32_i32_e32 v21, v20
	v_cvt_f32_i32_e32 v20, v120
	s_set_vgpr_msb 1                        ;  msbs: dst=0 src0=1 src1=0 src2=0
	v_mul_i32_i24_e32 v120, v53 /*v309*/, v243
	s_set_vgpr_msb 0                        ;  msbs: dst=0 src0=0 src1=0 src2=0
	v_perm_b32 v243, v125, v125, 0xc030201
	v_pk_mul_f32 v[136:137], v[136:137], v[112:113]
	s_set_vgpr_msb 1                        ;  msbs: dst=0 src0=1 src1=0 src2=0
	v_pk_fma_f32 v[20:21], v[28:29] /*v[284:285]*/, v[20:21], 0 op_sel_hi:[1,1,0]
	s_set_vgpr_msb 0                        ;  msbs: dst=0 src0=0 src1=0 src2=0
	v_dot4_i32_iu8 v120, v220, v219, v120 neg_lo:[1,1,0]
	v_perm_b32 v219, v214, v212, 0xc0c0602
	v_perm_b32 v220, v246, v244, 0xc0c0602
	s_delay_alu instid0(VALU_DEP_1) | instskip(SKIP_4) | instid1(VALU_DEP_2)
	v_dot4_i32_iu8 v140, v220, v219, v140 neg_lo:[1,1,0]
	v_perm_b32 v219, v214, v212, 0xc0c0501
	v_perm_b32 v212, v214, v212, 0xc0c0703
	;; [unrolled: 1-line block ×4, first 2 shown]
	v_dot4_i32_iu8 v141, v214, v212, v141 neg_lo:[1,1,0]
	v_perm_b32 v212, v216, v215, 0xc0c0703
	v_perm_b32 v214, v124, v217, 0x7030c0c
	s_delay_alu instid0(VALU_DEP_4)
	v_dot4_i32_iu8 v138, v220, v219, v138 neg_lo:[1,1,0]
	s_set_vgpr_msb 5                        ;  msbs: dst=0 src0=1 src1=1 src2=0
	v_perm_b32 v219, v18 /*v274*/, v17 /*v273*/, 0x7030c0c
	v_and_b32_e32 v220, 0xffff, v21 /*v277*/
	s_set_vgpr_msb 0                        ;  msbs: dst=0 src0=0 src1=0 src2=0
	v_or_b32_e32 v212, v214, v212
	s_set_vgpr_msb 1                        ;  msbs: dst=0 src0=1 src1=0 src2=0
	v_perm_b32 v214, v16 /*v272*/, v247, 0xc0c0703
	s_set_vgpr_msb 0                        ;  msbs: dst=0 src0=0 src1=0 src2=0
	s_delay_alu instid0(VALU_DEP_1) | instskip(SKIP_3) | instid1(VALU_DEP_2)
	v_or_b32_e32 v214, v219, v214
	s_set_vgpr_msb 5                        ;  msbs: dst=0 src0=1 src1=1 src2=0
	v_perm_b32 v219, v18 /*v274*/, v17 /*v273*/, 0x5010c0c
	s_set_vgpr_msb 0                        ;  msbs: dst=0 src0=0 src1=0 src2=0
	v_dot4_i32_iu8 v141, v214, v212, v141 neg_lo:[1,1,0]
	v_perm_b32 v212, v216, v215, 0xc0c0501
	v_perm_b32 v214, v124, v217, 0x5010c0c
	s_delay_alu instid0(VALU_DEP_1) | instskip(SKIP_3) | instid1(VALU_DEP_1)
	v_or_b32_e32 v212, v214, v212
	s_set_vgpr_msb 1                        ;  msbs: dst=0 src0=1 src1=0 src2=0
	v_perm_b32 v214, v16 /*v272*/, v247, 0xc0c0501
	s_set_vgpr_msb 0                        ;  msbs: dst=0 src0=0 src1=0 src2=0
	v_or_b32_e32 v214, v219, v214
	s_set_vgpr_msb 5                        ;  msbs: dst=0 src0=1 src1=1 src2=0
	v_perm_b32 v219, v18 /*v274*/, v17 /*v273*/, 0x6020c0c
	s_set_vgpr_msb 0                        ;  msbs: dst=0 src0=0 src1=0 src2=0
	s_delay_alu instid0(VALU_DEP_2) | instskip(SKIP_2) | instid1(VALU_DEP_3)
	v_dot4_i32_iu8 v138, v214, v212, v138 neg_lo:[1,1,0]
	v_perm_b32 v212, v216, v215, 0xc0c0602
	v_perm_b32 v214, v124, v217, 0x6020c0c
	v_add_nc_u32_e32 v138, v138, v141
	s_delay_alu instid0(VALU_DEP_2) | instskip(SKIP_3) | instid1(VALU_DEP_1)
	v_or_b32_e32 v212, v214, v212
	s_set_vgpr_msb 1                        ;  msbs: dst=0 src0=1 src1=0 src2=0
	v_perm_b32 v214, v16 /*v272*/, v247, 0xc0c0602
	s_set_vgpr_msb 0                        ;  msbs: dst=0 src0=0 src1=0 src2=0
	v_or_b32_e32 v214, v219, v214
	v_perm_b32 v219, v211, v210, 0x5040302
	s_delay_alu instid0(VALU_DEP_2)
	v_dot4_i32_iu8 v140, v214, v212, v140 neg_lo:[1,1,0]
	v_perm_b32 v212, v216, v215, 0xc0c0400
	v_perm_b32 v214, v124, v217, 0x4000c0c
	s_set_vgpr_msb 5                        ;  msbs: dst=0 src0=1 src1=1 src2=0
	v_perm_b32 v215, v18 /*v274*/, v17 /*v273*/, 0x4000c0c
	s_set_vgpr_msb 0                        ;  msbs: dst=0 src0=0 src1=0 src2=0
	v_perm_b32 v216, v208, v207, 0x5040302
	v_perm_b32 v217, v209, v208, 0x5040302
	v_or_b32_e32 v212, v214, v212
	s_set_vgpr_msb 1                        ;  msbs: dst=0 src0=1 src1=0 src2=0
	v_perm_b32 v214, v16 /*v272*/, v247, 0xc0c0400
	s_set_vgpr_msb 0                        ;  msbs: dst=0 src0=0 src1=0 src2=0
	s_delay_alu instid0(VALU_DEP_1) | instskip(SKIP_1) | instid1(VALU_DEP_2)
	v_or_b32_e32 v214, v215, v214
	v_perm_b32 v215, v207, v206, 0x5040302
	v_dot4_i32_iu8 v120, v214, v212, v120 neg_lo:[1,1,0]
	v_bfe_i32 v214, v206, 8, 8
	v_and_b32_e32 v212, 0xff, v19
	s_delay_alu instid0(VALU_DEP_3) | instskip(NEXT) | instid1(VALU_DEP_1)
	v_add_nc_u32_e32 v120, v120, v140
	v_add3_u32 v120, v120, v138, v218
	v_perm_b32 v138, v125, v124, 0x4030201
	v_perm_b32 v218, v210, v209, 0x5040302
	s_set_vgpr_msb 4                        ;  msbs: dst=0 src0=0 src1=1 src2=0
	v_and_b32_e32 v209, 0xffff, v40 /*v296*/
	s_set_vgpr_msb 16                       ;  msbs: dst=0 src0=0 src1=0 src2=1
	v_dot4_i32_iu8 v138, v138, v234, v49 /*v305*/ neg_lo:[1,1,0]
	s_set_vgpr_msb 0x45                     ;  msbs: dst=1 src0=1 src1=1 src2=0
	v_perm_b32 v49 /*v305*/, v19 /*v275*/, v19 /*v275*/, 0xc070601
	s_set_vgpr_msb 4                        ;  msbs: dst=0 src0=0 src1=1 src2=0
	s_delay_alu instid0(VALU_DEP_2) | instskip(NEXT) | instid1(VALU_DEP_2)
	v_dot4_i32_iu8 v11, v243, v52 /*v308*/, v138 neg_lo:[1,1,0]
	v_dot4_i32_iu8 v120, v243, v49 /*v305*/, v120 neg_lo:[1,1,0]
	s_set_vgpr_msb 1                        ;  msbs: dst=0 src0=1 src1=0 src2=0
	v_cvt_f32_ubyte0_e32 v138, v39 /*v295*/
	s_set_vgpr_msb 0                        ;  msbs: dst=0 src0=0 src1=0 src2=0
	v_mul_lo_u32 v11, v11, v123
	v_mul_lo_u32 v120, v120, v123
	s_delay_alu instid0(VALU_DEP_2)
	v_cvt_f32_i32_e32 v140, v11
	v_dot4_i32_iu8 v11, v236, v213, v237 neg_lo:[1,1,0]
	v_perm_b32 v237, v146, v145, 0x5040302
	v_bfe_i32 v213, v206, 0, 8
	v_cvt_f32_i32_e32 v141, v120
	v_perm_b32 v120, v8, v8, 0xc0c0100
	v_perm_b32 v145, v8, v8, 0xc0c0302
	s_set_vgpr_msb 4                        ;  msbs: dst=0 src0=0 src1=1 src2=0
	v_dot4_i32_iu8 v11, v237, v41 /*v297*/, v11 neg_lo:[1,1,0]
	s_set_vgpr_msb 64                       ;  msbs: dst=1 src0=0 src1=0 src2=0
	v_perm_b32 v41 /*v297*/, v9, v9, 0xc0c0100
	s_set_vgpr_msb 1                        ;  msbs: dst=0 src0=1 src1=0 src2=0
	v_pk_fma_f32 v[20:21], v[32:33] /*v[288:289]*/, v[140:141], v[20:21]
	s_set_vgpr_msb 4                        ;  msbs: dst=0 src0=0 src1=1 src2=0
	v_dot4_i32_iu8 v11, v238, v44 /*v300*/, v11 neg_lo:[1,1,0]
	s_set_vgpr_msb 64                       ;  msbs: dst=1 src0=0 src1=0 src2=0
	v_perm_b32 v44 /*v300*/, v9, v9, 0xc0c0302
	s_set_vgpr_msb 0                        ;  msbs: dst=0 src0=0 src1=0 src2=0
	v_pk_fma_f32 v[20:21], v[20:21], v[22:23], v[136:137] neg_lo:[0,0,1] neg_hi:[0,0,1]
	s_set_vgpr_msb 1                        ;  msbs: dst=0 src0=1 src1=0 src2=0
	ds_load_2addr_b32 v[146:147], v22 /*v278*/ offset0:12 offset1:13
	ds_load_2addr_b32 v[136:137], v22 /*v278*/ offset0:14 offset1:15
	s_set_vgpr_msb 4                        ;  msbs: dst=0 src0=0 src1=1 src2=0
	v_dot4_i32_iu8 v11, v239, v46 /*v302*/, v11 neg_lo:[1,1,0]
	s_set_vgpr_msb 64                       ;  msbs: dst=1 src0=0 src1=0 src2=0
	v_perm_b32 v46 /*v302*/, v10, v10, 0xc0c0100
	s_set_vgpr_msb 0                        ;  msbs: dst=0 src0=0 src1=0 src2=0
	v_pk_add_f32 v[62:63], v[62:63], v[20:21]
	v_perm_b32 v20, v245, v244, 0x4030201
	v_perm_b32 v21, v246, v245, 0x4030201
	s_set_vgpr_msb 4                        ;  msbs: dst=0 src0=0 src1=1 src2=0
	v_dot4_i32_iu8 v16, v240, v48 /*v304*/, v11 neg_lo:[1,1,0]
	s_set_vgpr_msb 0                        ;  msbs: dst=0 src0=0 src1=0 src2=0
	v_mul_i32_i24_e32 v11, v213, v130
	s_set_vgpr_msb 64                       ;  msbs: dst=1 src0=0 src1=0 src2=0
	v_perm_b32 v48 /*v304*/, v10, v10, 0xc0c0302
	s_set_vgpr_msb 5                        ;  msbs: dst=0 src0=1 src1=1 src2=0
	v_perm_b32 v244, v27 /*v283*/, v26 /*v282*/, 0x4030201
	s_set_vgpr_msb 4                        ;  msbs: dst=0 src0=0 src1=1 src2=0
	v_perm_b32 v245, v132, v27 /*v283*/, 0x4030201
	s_set_vgpr_msb 0                        ;  msbs: dst=0 src0=0 src1=0 src2=0
	v_mad_i32_i24 v11, v214, v142, v11
	s_set_vgpr_msb 1                        ;  msbs: dst=0 src0=1 src1=0 src2=0
	v_cvt_f32_ubyte1_e32 v142, v39 /*v295*/
	s_set_vgpr_msb 0                        ;  msbs: dst=0 src0=0 src1=0 src2=0
	s_delay_alu instid0(VALU_DEP_2) | instskip(SKIP_3) | instid1(VALU_DEP_2)
	v_dot4_i32_iu8 v11, v215, v12, v11 neg_lo:[1,1,0]
	v_perm_b32 v12, v14, v13, 0x5040302
	s_wait_dscnt 0x0
	v_bfe_i32 v19, v137, 0, 8
	v_dot4_i32_iu8 v11, v216, v12, v11 neg_lo:[1,1,0]
	v_perm_b32 v12, v15, v14, 0x5040302
	s_delay_alu instid0(VALU_DEP_1) | instskip(SKIP_4) | instid1(VALU_DEP_4)
	v_dot4_i32_iu8 v11, v217, v12, v11 neg_lo:[1,1,0]
	v_perm_b32 v12, v0, v15, 0x5040302
	v_perm_b32 v0, v1, v0, 0x5040302
	;; [unrolled: 1-line block ×4, first 2 shown]
	v_dot4_i32_iu8 v11, v218, v12, v11 neg_lo:[1,1,0]
	s_delay_alu instid0(VALU_DEP_1) | instskip(NEXT) | instid1(VALU_DEP_1)
	v_dot4_i32_iu8 v0, v219, v0, v11 neg_lo:[1,1,0]
	v_dot4_i32_iu8 v235, v221, v1, v0 neg_lo:[1,1,0]
	s_set_vgpr_msb 1                        ;  msbs: dst=0 src0=1 src1=0 src2=0
	v_dot4_i32_iu8 v0, v26 /*v282*/, v4, 0 neg_lo:[1,1,0]
	s_set_vgpr_msb 0                        ;  msbs: dst=0 src0=0 src1=0 src2=0
	v_perm_b32 v1, v146, v146, 0xc0c0100
	s_set_vgpr_msb 1                        ;  msbs: dst=0 src0=1 src1=0 src2=0
	s_delay_alu instid0(VALU_DEP_2) | instskip(SKIP_1) | instid1(VALU_DEP_1)
	v_dot4_i32_iu8 v0, v27 /*v283*/, v5, v0 neg_lo:[1,1,0]
	s_set_vgpr_msb 0                        ;  msbs: dst=0 src0=0 src1=0 src2=0
	v_dot4_i32_iu8 v0, v132, v6, v0 neg_lo:[1,1,0]
	s_delay_alu instid0(VALU_DEP_1) | instskip(NEXT) | instid1(VALU_DEP_1)
	v_dot4_i32_iu8 v0, v133, v7, v0 neg_lo:[1,1,0]
	v_dot4_i32_iu8 v0, v120, v1, v0 neg_lo:[1,1,0]
	v_perm_b32 v1, v146, v146, 0xc0c0302
	s_delay_alu instid0(VALU_DEP_1) | instskip(SKIP_2) | instid1(VALU_DEP_1)
	v_dot4_i32_iu8 v0, v145, v1, v0 neg_lo:[1,1,0]
	v_perm_b32 v1, v147, v147, 0xc0c0100
	s_set_vgpr_msb 1                        ;  msbs: dst=0 src0=1 src1=0 src2=0
	v_dot4_i32_iu8 v0, v41 /*v297*/, v1, v0 neg_lo:[1,1,0]
	s_set_vgpr_msb 0                        ;  msbs: dst=0 src0=0 src1=0 src2=0
	v_perm_b32 v1, v147, v147, 0xc0c0302
	s_set_vgpr_msb 1                        ;  msbs: dst=0 src0=1 src1=0 src2=0
	s_delay_alu instid0(VALU_DEP_1) | instskip(SKIP_3) | instid1(VALU_DEP_1)
	v_dot4_i32_iu8 v0, v44 /*v300*/, v1, v0 neg_lo:[1,1,0]
	s_set_vgpr_msb 0                        ;  msbs: dst=0 src0=0 src1=0 src2=0
	v_perm_b32 v1, v136, v136, 0xc0c0100
	s_set_vgpr_msb 1                        ;  msbs: dst=0 src0=1 src1=0 src2=0
	v_dot4_i32_iu8 v0, v46 /*v302*/, v1, v0 neg_lo:[1,1,0]
	s_set_vgpr_msb 0                        ;  msbs: dst=0 src0=0 src1=0 src2=0
	v_perm_b32 v1, v136, v136, 0xc0c0302
	s_set_vgpr_msb 0x41                     ;  msbs: dst=1 src0=1 src1=0 src2=0
	s_delay_alu instid0(VALU_DEP_1)
	v_dot4_i32_iu8 v53 /*v309*/, v48 /*v304*/, v1, v0 neg_lo:[1,1,0]
	s_set_vgpr_msb 1                        ;  msbs: dst=0 src0=1 src1=0 src2=0
	ds_load_2addr_b32 v[0:1], v38 /*v294*/ offset1:1
	ds_load_2addr_b32 v[140:141], v38 /*v294*/ offset0:2 offset1:3
	ds_load_b32 v206, v38 /*v294*/ offset:16
	ds_load_b128 v[8:11], v38 /*v294*/ offset:19
	s_set_vgpr_msb 0x41                     ;  msbs: dst=1 src0=1 src1=0 src2=0
	ds_load_b96 v[20:22] /*v[276:278]*/, v38 /*v294*/ offset:35
	s_set_vgpr_msb 1                        ;  msbs: dst=0 src0=1 src1=0 src2=0
	ds_load_b128 v[12:15], v38 /*v294*/ offset:47
	s_set_vgpr_msb 0x41                     ;  msbs: dst=1 src0=1 src1=0 src2=0
	ds_load_i8 v38 /*v294*/, v38 /*v294*/ offset:63
	s_wait_dscnt 0x3
	s_set_vgpr_msb 0                        ;  msbs: dst=0 src0=0 src1=0 src2=0
	v_bfe_i32 v211, v11, 8, 8
	v_bfe_i32 v208, v8, 0, 8
	;; [unrolled: 1-line block ×3, first 2 shown]
	v_perm_b32 v210, v1, v0, 0x4030201
	s_set_vgpr_msb 64                       ;  msbs: dst=1 src0=0 src1=0 src2=0
	v_bfe_i32 v39 /*v295*/, v10, 16, 8
	s_set_vgpr_msb 0                        ;  msbs: dst=0 src0=0 src1=0 src2=0
	v_mul_i32_i24_e32 v130, v207, v130
	s_delay_alu instid0(VALU_DEP_1) | instskip(SKIP_1) | instid1(VALU_DEP_1)
	v_dot4_i32_iu8 v130, v210, v223, v130 neg_lo:[1,1,0]
	v_perm_b32 v210, v140, v1, 0x4030201
	v_dot4_i32_iu8 v130, v210, v241, v130 neg_lo:[1,1,0]
	v_perm_b32 v210, v141, v140, 0x4030201
	s_delay_alu instid0(VALU_DEP_1)
	v_dot4_i32_iu8 v130, v210, v242, v130 neg_lo:[1,1,0]
	s_wait_dscnt 0x2
	s_set_vgpr_msb 1                        ;  msbs: dst=0 src0=1 src1=0 src2=0
	v_perm_b32 v242, v20 /*v276*/, v11, 0x4030201
	s_set_vgpr_msb 0                        ;  msbs: dst=0 src0=0 src1=0 src2=0
	v_perm_b32 v210, v206, v141, 0x4030201
	s_delay_alu instid0(VALU_DEP_2)
	v_dot4_i32_iu8 v4, v242, v4, 0 neg_lo:[1,1,0]
	s_set_vgpr_msb 5                        ;  msbs: dst=0 src0=1 src1=1 src2=0
	v_perm_b32 v242, v21 /*v277*/, v20 /*v276*/, 0x4030201
	s_set_vgpr_msb 0                        ;  msbs: dst=0 src0=0 src1=0 src2=0
	v_dot4_i32_iu8 v130, v210, v250, v130 neg_lo:[1,1,0]
	v_perm_b32 v210, v206, v206, 0xc0c0201
	s_set_vgpr_msb 5                        ;  msbs: dst=0 src0=1 src1=1 src2=0
	v_perm_b32 v250, v25 /*v281*/, v25 /*v281*/, 0xc0c0302
	s_set_vgpr_msb 0                        ;  msbs: dst=0 src0=0 src1=0 src2=0
	v_dot4_i32_iu8 v4, v242, v5, v4 neg_lo:[1,1,0]
	s_set_vgpr_msb 5                        ;  msbs: dst=0 src0=1 src1=1 src2=0
	v_perm_b32 v5, v22 /*v278*/, v21 /*v277*/, 0x4030201
	s_set_vgpr_msb 0                        ;  msbs: dst=0 src0=0 src1=0 src2=0
	v_dot4_i32_iu8 v130, v253, v210, v130 neg_lo:[1,1,0]
	v_perm_b32 v210, v8, v8, 0xc0c0100
	v_perm_b32 v253, v248, v248, 0xc0c0201
	s_set_vgpr_msb 1                        ;  msbs: dst=0 src0=1 src1=0 src2=0
	v_perm_b32 v242, v36 /*v292*/, v18, 0xc040302
	s_set_vgpr_msb 0                        ;  msbs: dst=0 src0=0 src1=0 src2=0
	v_dot4_i32_iu8 v4, v5, v6, v4 neg_lo:[1,1,0]
	s_wait_dscnt 0x1
	s_set_vgpr_msb 4                        ;  msbs: dst=0 src0=0 src1=1 src2=0
	v_perm_b32 v5, v12, v22 /*v278*/, 0x4030201
	s_set_vgpr_msb 0                        ;  msbs: dst=0 src0=0 src1=0 src2=0
	v_dot4_i32_iu8 v130, v254, v210, v130 neg_lo:[1,1,0]
	v_perm_b32 v210, v8, v8, 0xc0c0302
	v_perm_b32 v254, v249, v248, 0x6050403
	;; [unrolled: 1-line block ×3, first 2 shown]
	v_dot4_i32_iu8 v4, v5, v7, v4 neg_lo:[1,1,0]
	v_perm_b32 v5, v12, v12, 0xc0c0201
	v_dot4_i32_iu8 v130, v255, v210, v130 neg_lo:[1,1,0]
	v_perm_b32 v210, v9, v9, 0xc0c0100
	v_perm_b32 v255, v134, v249, 0x6050403
	;; [unrolled: 1-line block ×3, first 2 shown]
	v_dot4_i32_iu8 v4, v120, v5, v4 neg_lo:[1,1,0]
	v_perm_b32 v5, v13, v12, 0xc0c0403
	s_set_vgpr_msb 1                        ;  msbs: dst=0 src0=1 src1=0 src2=0
	v_dot4_i32_iu8 v130, v0 /*v256*/, v210, v130 neg_lo:[1,1,0]
	s_set_vgpr_msb 64                       ;  msbs: dst=1 src0=0 src1=0 src2=0
	v_perm_b32 v0 /*v256*/, v135, v134, 0x6050403
	s_set_vgpr_msb 0                        ;  msbs: dst=0 src0=0 src1=0 src2=0
	v_perm_b32 v210, v9, v9, 0xc0c0302
	v_perm_b32 v134, v247, v246, 0x4030201
	v_dot4_i32_iu8 v4, v145, v5, v4 neg_lo:[1,1,0]
	v_perm_b32 v5, v13, v13, 0xc0c0201
	v_perm_b32 v246, v133, v132, 0x4030201
	s_set_vgpr_msb 1                        ;  msbs: dst=0 src0=1 src1=0 src2=0
	v_dot4_i32_iu8 v130, v1 /*v257*/, v210, v130 neg_lo:[1,1,0]
	s_set_vgpr_msb 0                        ;  msbs: dst=0 src0=0 src1=0 src2=0
	v_perm_b32 v210, v10, v10, 0xc0c0100
	s_set_vgpr_msb 64                       ;  msbs: dst=1 src0=0 src1=0 src2=0
	v_perm_b32 v1 /*v257*/, v224, v224, 0xc0c0201
	s_set_vgpr_msb 1                        ;  msbs: dst=0 src0=1 src1=0 src2=0
	v_dot4_i32_iu8 v4, v41 /*v297*/, v5, v4 neg_lo:[1,1,0]
	s_set_vgpr_msb 0                        ;  msbs: dst=0 src0=0 src1=0 src2=0
	v_perm_b32 v5, v14, v13, 0xc0c0403
	s_set_vgpr_msb 5                        ;  msbs: dst=0 src0=1 src1=1 src2=0
	v_perm_b32 v249, v25 /*v281*/, v24 /*v280*/, 0x5040302
	s_set_vgpr_msb 0x41                     ;  msbs: dst=1 src0=1 src1=0 src2=0
	v_dot4_i32_iu8 v40 /*v296*/, v2 /*v258*/, v210, v130 neg_lo:[1,1,0]
	s_set_vgpr_msb 1                        ;  msbs: dst=0 src0=1 src1=0 src2=0
	ds_load_u16 v130, v37 /*v293*/
	ds_load_u16 v223, v37 /*v293*/ offset:8
	s_set_vgpr_msb 64                       ;  msbs: dst=1 src0=0 src1=0 src2=0
	v_perm_b32 v2 /*v258*/, v225, v224, 0x6050403
	s_set_vgpr_msb 1                        ;  msbs: dst=0 src0=1 src1=0 src2=0
	v_dot4_i32_iu8 v4, v44 /*v300*/, v5, v4 neg_lo:[1,1,0]
	s_set_vgpr_msb 0                        ;  msbs: dst=0 src0=0 src1=0 src2=0
	v_perm_b32 v5, v14, v14, 0xc0c0201
	s_set_vgpr_msb 0x41                     ;  msbs: dst=1 src0=1 src1=0 src2=0
	v_perm_b32 v44 /*v300*/, v16 /*v272*/, v247, 0x4030201
	s_set_vgpr_msb 0x45                     ;  msbs: dst=1 src0=1 src1=1 src2=0
	v_perm_b32 v16 /*v272*/, v17 /*v273*/, v16 /*v272*/, 0x4030201
	v_perm_b32 v17 /*v273*/, v18 /*v274*/, v17 /*v273*/, 0x4030201
	v_perm_b32 v18 /*v274*/, v19 /*v275*/, v18 /*v274*/, 0x4030201
	s_set_vgpr_msb 1                        ;  msbs: dst=0 src0=1 src1=0 src2=0
	v_dot4_i32_iu8 v4, v46 /*v302*/, v5, v4 neg_lo:[1,1,0]
	s_set_vgpr_msb 0                        ;  msbs: dst=0 src0=0 src1=0 src2=0
	v_perm_b32 v5, v15, v14, 0xc0c0403
	v_perm_b32 v247, v147, v146, 0x4030201
	v_dot4_i32_iu8 v2, v249, v2, v235 neg_lo:[1,1,0]
	v_perm_b32 v147, v137, v137, 0xc030201
	v_perm_b32 v224, v1, v0, 0x6050403
	s_set_vgpr_msb 0x41                     ;  msbs: dst=1 src0=1 src1=0 src2=0
	v_dot4_i32_iu8 v41 /*v297*/, v48 /*v304*/, v5, v4 neg_lo:[1,1,0]
	s_set_vgpr_msb 1                        ;  msbs: dst=0 src0=1 src1=0 src2=0
	v_mul_i32_i24_e32 v4, v42 /*v298*/, v156
	s_set_vgpr_msb 0                        ;  msbs: dst=0 src0=0 src1=0 src2=0
	v_perm_b32 v5, v232, v135, 0x6050403
	s_set_vgpr_msb 4                        ;  msbs: dst=0 src0=0 src1=1 src2=0
	v_dot4_i32_iu8 v2, v250, v61 /*v317*/, v2 neg_lo:[1,1,0]
	s_set_vgpr_msb 64                       ;  msbs: dst=1 src0=0 src1=0 src2=0
	v_bfe_i32 v37 /*v293*/, v15, 8, 8
	s_wait_dscnt 0x1
	s_set_vgpr_msb 1                        ;  msbs: dst=0 src0=1 src1=0 src2=0
	v_lshrrev_b16 v241, 8, v130
	v_dot4_i32_iu8 v4, v45 /*v301*/, v253, v4 neg_lo:[1,1,0]
	v_and_b32_e32 v210, 0xff, v130
	s_wait_dscnt 0x0
	s_set_vgpr_msb 0                        ;  msbs: dst=0 src0=0 src1=0 src2=0
	v_cvt_f32_ubyte0_e32 v130, v223
	v_cvt_f32_ubyte1_e32 v120, v223
	v_and_b32_e32 v145, 0xffff, v241
	s_set_vgpr_msb 1                        ;  msbs: dst=0 src0=1 src1=0 src2=0
	v_dot4_i32_iu8 v4, v47 /*v303*/, v254, v4 neg_lo:[1,1,0]
	s_set_vgpr_msb 0                        ;  msbs: dst=0 src0=0 src1=0 src2=0
	v_perm_b32 v241, v18, v17, 0x5040302
	v_mul_lo_u32 v2, v2, v212
	v_perm_b32 v235, v11, v10, 0xc0c0403
	v_perm_b32 v132, v15, v14, 0x5040302
	s_set_vgpr_msb 1                        ;  msbs: dst=0 src0=1 src1=0 src2=0
	v_dot4_i32_iu8 v4, v55 /*v311*/, v255, v4 neg_lo:[1,1,0]
	s_set_vgpr_msb 0                        ;  msbs: dst=0 src0=0 src1=0 src2=0
	v_dot4_i32_iu8 v16, v241, v234, v16 neg_lo:[1,1,0]
	v_perm_b32 v234, v10, v9, 0x6050403
	s_set_vgpr_msb 5                        ;  msbs: dst=0 src0=1 src1=1 src2=0
	v_dot4_i32_iu8 v4, v56 /*v312*/, v0 /*v256*/, v4 neg_lo:[1,1,0]
	s_set_vgpr_msb 4                        ;  msbs: dst=0 src0=0 src1=1 src2=0
	v_dot4_i32_iu8 v16, v242, v52 /*v308*/, v16 neg_lo:[1,1,0]
	v_cvt_f32_i32_e32 v2, v2
	s_set_vgpr_msb 0                        ;  msbs: dst=0 src0=0 src1=0 src2=0
	v_dot4_i32_iu8 v4, v6, v5, v4 neg_lo:[1,1,0]
	s_set_vgpr_msb 1                        ;  msbs: dst=0 src0=1 src1=0 src2=0
	v_mul_i32_i24_e32 v5, v51 /*v307*/, v204
	s_set_vgpr_msb 0                        ;  msbs: dst=0 src0=0 src1=0 src2=0
	v_mul_lo_u32 v16, v16, v220
	s_set_vgpr_msb 4                        ;  msbs: dst=0 src0=0 src1=1 src2=0
	v_mad_i32_i24 v4, v157, v50 /*v306*/, v4
	s_set_vgpr_msb 0                        ;  msbs: dst=0 src0=0 src1=0 src2=0
	v_dot4_i32_iu8 v5, v20, v205, v5 neg_lo:[1,1,0]
	s_set_vgpr_msb 5                        ;  msbs: dst=0 src0=1 src1=1 src2=0
	s_delay_alu instid0(VALU_DEP_2) | instskip(SKIP_1) | instid1(VALU_DEP_2)
	v_dot4_i32_iu8 v4, v1 /*v257*/, v57 /*v313*/, v4 neg_lo:[1,1,0]
	s_set_vgpr_msb 0                        ;  msbs: dst=0 src0=0 src1=0 src2=0
	v_dot4_i32_iu8 v5, v21, v236, v5 neg_lo:[1,1,0]
	v_cvt_f32_i32_e32 v16, v16
	s_set_vgpr_msb 5                        ;  msbs: dst=0 src0=1 src1=1 src2=0
	v_dot4_i32_iu8 v4, v2 /*v258*/, v58 /*v314*/, v4 neg_lo:[1,1,0]
	s_set_vgpr_msb 0                        ;  msbs: dst=0 src0=0 src1=0 src2=0
	v_dot4_i32_iu8 v5, v134, v237, v5 neg_lo:[1,1,0]
	s_set_vgpr_msb 1                        ;  msbs: dst=0 src0=1 src1=0 src2=0
	s_delay_alu instid0(VALU_DEP_1) | instskip(NEXT) | instid1(VALU_DEP_1)
	v_dot4_i32_iu8 v5, v44 /*v300*/, v238, v5 neg_lo:[1,1,0]
	v_dot4_i32_iu8 v5, v16 /*v272*/, v239, v5 neg_lo:[1,1,0]
	s_delay_alu instid0(VALU_DEP_1)
	v_dot4_i32_iu8 v223, v17 /*v273*/, v240, v5 neg_lo:[1,1,0]
	s_set_vgpr_msb 21                       ;  msbs: dst=0 src0=1 src1=1 src2=1
	v_mad_i32_i24 v5, v3 /*v259*/, v15 /*v271*/, v4 /*v260*/
	s_set_vgpr_msb 64                       ;  msbs: dst=1 src0=0 src1=0 src2=0
	v_perm_b32 v3 /*v259*/, v226, v225, 0x6050403
	v_perm_b32 v4 /*v260*/, v227, v226, 0xc0c0403
	s_set_vgpr_msb 0                        ;  msbs: dst=0 src0=0 src1=0 src2=0
	v_perm_b32 v225, v140, v1, 0x6050403
	s_set_vgpr_msb 1                        ;  msbs: dst=0 src0=1 src1=0 src2=0
	v_dot4_i32_iu8 v17, v18 /*v274*/, v241, v223 neg_lo:[1,1,0]
	s_set_vgpr_msb 0                        ;  msbs: dst=0 src0=0 src1=0 src2=0
	v_perm_b32 v223, v0, v0, 0xc0c0201
	s_set_vgpr_msb 5                        ;  msbs: dst=0 src0=1 src1=1 src2=0
	v_dot4_i32_iu8 v4, v59 /*v315*/, v3 /*v259*/, v4 neg_lo:[1,1,0]
	v_dot4_i32_iu8 v5, v4 /*v260*/, v61 /*v317*/, v5 neg_lo:[1,1,0]
	s_set_vgpr_msb 0                        ;  msbs: dst=0 src0=0 src1=0 src2=0
	v_perm_b32 v140, v141, v140, 0x6050403
	s_set_vgpr_msb 4                        ;  msbs: dst=0 src0=0 src1=1 src2=0
	v_dot4_i32_iu8 v17, v242, v49 /*v305*/, v17 neg_lo:[1,1,0]
	s_set_vgpr_msb 0                        ;  msbs: dst=0 src0=0 src1=0 src2=0
	v_perm_b32 v1, v232, v141, 0x6050403
	s_set_vgpr_msb 5                        ;  msbs: dst=0 src0=1 src1=1 src2=0
	v_dot4_i32_iu8 v4, v4 /*v260*/, v60 /*v316*/, v4 neg_lo:[1,1,0]
	s_set_vgpr_msb 0                        ;  msbs: dst=0 src0=0 src1=0 src2=0
	v_mul_lo_u32 v6, v5, v203
	v_perm_b32 v226, v8, v8, 0xc0c0201
	v_mul_lo_u32 v17, v17, v220
	v_perm_b32 v227, v9, v8, 0x6050403
	v_mul_lo_u32 v4, v4, v203
	s_delay_alu instid0(VALU_DEP_3) | instskip(NEXT) | instid1(VALU_DEP_2)
	v_cvt_f32_i32_e32 v17, v17
	v_cvt_f32_i32_e32 v5, v4
	;; [unrolled: 1-line block ×3, first 2 shown]
	s_set_vgpr_msb 4                        ;  msbs: dst=0 src0=0 src1=1 src2=0
	v_pk_fma_f32 v[6:7], v[128:129], v[30:31] /*v[286:287]*/, 0 op_sel_hi:[0,1,0]
	s_set_vgpr_msb 1                        ;  msbs: dst=0 src0=1 src1=0 src2=0
	s_delay_alu instid0(VALU_DEP_2) | instskip(SKIP_1) | instid1(VALU_DEP_2)
	v_pk_fma_f32 v[4:5], v[28:29] /*v[284:285]*/, v[4:5], 0 op_sel_hi:[1,1,0]
	s_set_vgpr_msb 4                        ;  msbs: dst=0 src0=0 src1=1 src2=0
	v_pk_fma_f32 v[6:7], v[144:145], v[34:35] /*v[290:291]*/, v[6:7] op_sel_hi:[0,1,1]
	s_set_vgpr_msb 1                        ;  msbs: dst=0 src0=1 src1=0 src2=0
	s_delay_alu instid0(VALU_DEP_2) | instskip(SKIP_1) | instid1(VALU_DEP_2)
	v_pk_fma_f32 v[4:5], v[32:33] /*v[288:289]*/, v[16:17], v[4:5]
	s_set_vgpr_msb 0                        ;  msbs: dst=0 src0=0 src1=0 src2=0
	v_pk_mul_f32 v[6:7], v[6:7], v[114:115]
	s_delay_alu instid0(VALU_DEP_1) | instskip(SKIP_2) | instid1(VALU_DEP_3)
	v_pk_fma_f32 v[4:5], v[4:5], v[24:25], v[6:7] neg_lo:[0,0,1] neg_hi:[0,0,1]
	v_perm_b32 v6, v146, v133, 0x4030201
	v_perm_b32 v7, v137, v136, 0x4030201
	v_pk_add_f32 v[60:61], v[60:61], v[4:5]
	s_set_vgpr_msb 1                        ;  msbs: dst=0 src0=1 src1=0 src2=0
	v_mul_i32_i24_e32 v4, v42 /*v298*/, v213
	s_set_vgpr_msb 0                        ;  msbs: dst=0 src0=0 src1=0 src2=0
	v_perm_b32 v5, v229, v228, 0x5040302
	s_set_vgpr_msb 1                        ;  msbs: dst=0 src0=1 src1=0 src2=0
	v_perm_b32 v228, v20 /*v276*/, v11, 0x5040302
	v_mad_i32_i24 v4, v43 /*v299*/, v214, v4
	s_set_vgpr_msb 0                        ;  msbs: dst=0 src0=0 src1=0 src2=0
	s_delay_alu instid0(VALU_DEP_1) | instskip(SKIP_4) | instid1(VALU_DEP_2)
	v_dot4_i32_iu8 v4, v5, v215, v4 neg_lo:[1,1,0]
	v_perm_b32 v5, v230, v229, 0x5040302
	s_set_vgpr_msb 5                        ;  msbs: dst=0 src0=1 src1=1 src2=0
	v_perm_b32 v229, v21 /*v277*/, v20 /*v276*/, 0x5040302
	s_set_vgpr_msb 0                        ;  msbs: dst=0 src0=0 src1=0 src2=0
	v_dot4_i32_iu8 v4, v5, v216, v4 neg_lo:[1,1,0]
	v_perm_b32 v5, v231, v230, 0x5040302
	s_set_vgpr_msb 5                        ;  msbs: dst=0 src0=1 src1=1 src2=0
	v_perm_b32 v230, v22 /*v278*/, v21 /*v277*/, 0x5040302
	s_set_vgpr_msb 0                        ;  msbs: dst=0 src0=0 src1=0 src2=0
	s_delay_alu instid0(VALU_DEP_2) | instskip(SKIP_1) | instid1(VALU_DEP_1)
	v_dot4_i32_iu8 v4, v5, v217, v4 neg_lo:[1,1,0]
	v_perm_b32 v5, v232, v231, 0x5040302
	v_dot4_i32_iu8 v4, v5, v218, v4 neg_lo:[1,1,0]
	v_perm_b32 v5, v233, v232, 0x5040302
	v_perm_b32 v232, v13, v12, 0x5040302
	;; [unrolled: 1-line block ×3, first 2 shown]
	s_delay_alu instid0(VALU_DEP_3) | instskip(SKIP_2) | instid1(VALU_DEP_2)
	v_dot4_i32_iu8 v4, v5, v219, v4 neg_lo:[1,1,0]
	s_set_vgpr_msb 1                        ;  msbs: dst=0 src0=1 src1=0 src2=0
	v_mul_i32_i24_e32 v5, v51 /*v307*/, v222
	v_dot4_i32_iu8 v4, v58 /*v314*/, v221, v4 neg_lo:[1,1,0]
	s_set_vgpr_msb 0                        ;  msbs: dst=0 src0=0 src1=0 src2=0
	s_delay_alu instid0(VALU_DEP_2) | instskip(SKIP_1) | instid1(VALU_DEP_2)
	v_dot4_i32_iu8 v5, v20, v244, v5 neg_lo:[1,1,0]
	s_set_vgpr_msb 1                        ;  msbs: dst=0 src0=1 src1=0 src2=0
	v_dot4_i32_iu8 v3, v59 /*v315*/, v249, v4 neg_lo:[1,1,0]
	s_set_vgpr_msb 0                        ;  msbs: dst=0 src0=0 src1=0 src2=0
	s_delay_alu instid0(VALU_DEP_2) | instskip(SKIP_1) | instid1(VALU_DEP_2)
	v_dot4_i32_iu8 v5, v21, v245, v5 neg_lo:[1,1,0]
	s_set_vgpr_msb 4                        ;  msbs: dst=0 src0=0 src1=1 src2=0
	v_dot4_i32_iu8 v3, v250, v60 /*v316*/, v3 neg_lo:[1,1,0]
	s_set_vgpr_msb 0                        ;  msbs: dst=0 src0=0 src1=0 src2=0
	s_delay_alu instid0(VALU_DEP_2) | instskip(NEXT) | instid1(VALU_DEP_2)
	v_dot4_i32_iu8 v5, v134, v246, v5 neg_lo:[1,1,0]
	v_mul_lo_u32 v3, v3, v212
	s_set_vgpr_msb 1                        ;  msbs: dst=0 src0=1 src1=0 src2=0
	s_delay_alu instid0(VALU_DEP_2) | instskip(NEXT) | instid1(VALU_DEP_1)
	v_dot4_i32_iu8 v5, v44 /*v300*/, v6, v5 neg_lo:[1,1,0]
	v_dot4_i32_iu8 v5, v16 /*v272*/, v247, v5 neg_lo:[1,1,0]
	s_delay_alu instid0(VALU_DEP_1) | instskip(SKIP_1) | instid1(VALU_DEP_4)
	v_dot4_i32_iu8 v6, v17 /*v273*/, v248, v5 neg_lo:[1,1,0]
	s_set_vgpr_msb 4                        ;  msbs: dst=0 src0=0 src1=1 src2=0
	v_cvt_f32_i32_e32 v3, v3
	v_pk_fma_f32 v[4:5], v[138:139], v[30:31] /*v[286:287]*/, 0 op_sel_hi:[0,1,0]
	s_set_vgpr_msb 1                        ;  msbs: dst=0 src0=1 src1=0 src2=0
	v_dot4_i32_iu8 v6, v18 /*v274*/, v7, v6 neg_lo:[1,1,0]
	s_set_vgpr_msb 20                       ;  msbs: dst=0 src0=0 src1=1 src2=1
	v_mad_i32_i24 v7, v19, v23 /*v279*/, v53 /*v309*/
	s_set_vgpr_msb 1                        ;  msbs: dst=0 src0=1 src1=0 src2=0
	v_pk_fma_f32 v[2:3], v[28:29] /*v[284:285]*/, v[2:3], 0 op_sel_hi:[1,1,0]
	s_set_vgpr_msb 4                        ;  msbs: dst=0 src0=0 src1=1 src2=0
	v_pk_fma_f32 v[4:5], v[142:143], v[34:35] /*v[290:291]*/, v[4:5] op_sel_hi:[0,1,1]
	v_dot4_i32_iu8 v6, v147, v49 /*v305*/, v6 neg_lo:[1,1,0]
	v_dot4_i32_iu8 v7, v147, v52 /*v308*/, v7 neg_lo:[1,1,0]
	s_set_vgpr_msb 0                        ;  msbs: dst=0 src0=0 src1=0 src2=0
	s_delay_alu instid0(VALU_DEP_3) | instskip(NEXT) | instid1(VALU_DEP_3)
	v_pk_mul_f32 v[4:5], v[4:5], v[116:117]
	v_mul_lo_u32 v6, v6, v209
	s_delay_alu instid0(VALU_DEP_3) | instskip(NEXT) | instid1(VALU_DEP_2)
	v_mul_lo_u32 v16, v7, v209
	v_cvt_f32_i32_e32 v7, v6
	s_delay_alu instid0(VALU_DEP_2) | instskip(SKIP_1) | instid1(VALU_DEP_1)
	v_cvt_f32_i32_e32 v6, v16
	s_set_vgpr_msb 1                        ;  msbs: dst=0 src0=1 src1=0 src2=0
	v_pk_fma_f32 v[2:3], v[32:33] /*v[288:289]*/, v[6:7], v[2:3]
	s_set_vgpr_msb 0                        ;  msbs: dst=0 src0=0 src1=0 src2=0
	s_delay_alu instid0(VALU_DEP_1) | instskip(SKIP_3) | instid1(VALU_DEP_2)
	v_pk_fma_f32 v[2:3], v[2:3], v[26:27], v[4:5] neg_lo:[0,0,1] neg_hi:[0,0,1]
	s_set_vgpr_msb 21                       ;  msbs: dst=0 src0=1 src1=1 src2=1
	v_mad_i32_i24 v5, v37 /*v293*/, v23 /*v279*/, v41 /*v297*/
	s_set_vgpr_msb 0                        ;  msbs: dst=0 src0=0 src1=0 src2=0
	v_pk_add_f32 v[58:59], v[58:59], v[2:3]
	s_set_vgpr_msb 1                        ;  msbs: dst=0 src0=1 src1=0 src2=0
	v_mul_i32_i24_e32 v2, v42 /*v298*/, v207
	s_delay_alu instid0(VALU_DEP_1) | instskip(NEXT) | instid1(VALU_DEP_1)
	v_dot4_i32_iu8 v2, v45 /*v301*/, v223, v2 neg_lo:[1,1,0]
	v_dot4_i32_iu8 v0, v47 /*v303*/, v224, v2 neg_lo:[1,1,0]
	s_set_vgpr_msb 0                        ;  msbs: dst=0 src0=0 src1=0 src2=0
	v_perm_b32 v2, v206, v231, 0x6050403
	s_set_vgpr_msb 4                        ;  msbs: dst=0 src0=0 src1=1 src2=0
	v_perm_b32 v231, v12, v22 /*v278*/, 0x5040302
	s_set_vgpr_msb 1                        ;  msbs: dst=0 src0=1 src1=0 src2=0
	v_dot4_i32_iu8 v0, v55 /*v311*/, v225, v0 neg_lo:[1,1,0]
	s_delay_alu instid0(VALU_DEP_1) | instskip(SKIP_1) | instid1(VALU_DEP_1)
	v_dot4_i32_iu8 v0, v56 /*v312*/, v140, v0 neg_lo:[1,1,0]
	s_set_vgpr_msb 0                        ;  msbs: dst=0 src0=0 src1=0 src2=0
	v_dot4_i32_iu8 v0, v2, v1, v0 neg_lo:[1,1,0]
	s_set_vgpr_msb 1                        ;  msbs: dst=0 src0=1 src1=0 src2=0
	v_mul_i32_i24_e32 v1, v51 /*v307*/, v211
	s_set_vgpr_msb 4                        ;  msbs: dst=0 src0=0 src1=1 src2=0
	s_delay_alu instid0(VALU_DEP_2) | instskip(SKIP_1) | instid1(VALU_DEP_2)
	v_mad_i32_i24 v0, v208, v50 /*v306*/, v0
	s_set_vgpr_msb 0                        ;  msbs: dst=0 src0=0 src1=0 src2=0
	v_dot4_i32_iu8 v1, v20, v228, v1 neg_lo:[1,1,0]
	s_set_vgpr_msb 4                        ;  msbs: dst=0 src0=0 src1=1 src2=0
	s_delay_alu instid0(VALU_DEP_2) | instskip(SKIP_1) | instid1(VALU_DEP_2)
	v_dot4_i32_iu8 v0, v226, v57 /*v313*/, v0 neg_lo:[1,1,0]
	s_set_vgpr_msb 0                        ;  msbs: dst=0 src0=0 src1=0 src2=0
	v_dot4_i32_iu8 v1, v21, v229, v1 neg_lo:[1,1,0]
	s_set_vgpr_msb 4                        ;  msbs: dst=0 src0=0 src1=1 src2=0
	s_delay_alu instid0(VALU_DEP_2) | instskip(SKIP_1) | instid1(VALU_DEP_2)
	v_dot4_i32_iu8 v0, v227, v58 /*v314*/, v0 neg_lo:[1,1,0]
	s_set_vgpr_msb 0                        ;  msbs: dst=0 src0=0 src1=0 src2=0
	v_dot4_i32_iu8 v1, v134, v230, v1 neg_lo:[1,1,0]
	s_set_vgpr_msb 1                        ;  msbs: dst=0 src0=1 src1=0 src2=0
	v_perm_b32 v134, v38 /*v294*/, v15, 0xc040302
	v_dot4_i32_iu8 v0, v59 /*v315*/, v234, v0 neg_lo:[1,1,0]
	s_delay_alu instid0(VALU_DEP_3) | instskip(SKIP_1) | instid1(VALU_DEP_3)
	v_dot4_i32_iu8 v1, v44 /*v300*/, v231, v1 neg_lo:[1,1,0]
	s_set_vgpr_msb 4                        ;  msbs: dst=0 src0=0 src1=1 src2=0
	v_dot4_i32_iu8 v5, v134, v52 /*v308*/, v5 neg_lo:[1,1,0]
	s_delay_alu instid0(VALU_DEP_3)
	v_dot4_i32_iu8 v0, v235, v60 /*v316*/, v0 neg_lo:[1,1,0]
	s_set_vgpr_msb 1                        ;  msbs: dst=0 src0=1 src1=0 src2=0
	v_dot4_i32_iu8 v1, v16 /*v272*/, v232, v1 neg_lo:[1,1,0]
	s_set_vgpr_msb 0                        ;  msbs: dst=0 src0=0 src1=0 src2=0
	v_mul_lo_u32 v6, v5, v145
	v_mul_lo_u32 v0, v0, v210
	s_set_vgpr_msb 1                        ;  msbs: dst=0 src0=1 src1=0 src2=0
	v_dot4_i32_iu8 v4, v17 /*v273*/, v233, v1 neg_lo:[1,1,0]
	s_set_vgpr_msb 21                       ;  msbs: dst=0 src0=1 src1=1 src2=1
	v_mad_i32_i24 v1, v39 /*v295*/, v15 /*v271*/, v40 /*v296*/
	s_set_vgpr_msb 1                        ;  msbs: dst=0 src0=1 src1=0 src2=0
	s_delay_alu instid0(VALU_DEP_2) | instskip(SKIP_1) | instid1(VALU_DEP_2)
	v_dot4_i32_iu8 v4, v18 /*v274*/, v132, v4 neg_lo:[1,1,0]
	s_set_vgpr_msb 4                        ;  msbs: dst=0 src0=0 src1=1 src2=0
	v_dot4_i32_iu8 v1, v235, v61 /*v317*/, v1 neg_lo:[1,1,0]
	s_delay_alu instid0(VALU_DEP_2) | instskip(SKIP_1) | instid1(VALU_DEP_2)
	v_dot4_i32_iu8 v4, v134, v49 /*v305*/, v4 neg_lo:[1,1,0]
	s_set_vgpr_msb 0                        ;  msbs: dst=0 src0=0 src1=0 src2=0
	v_mul_lo_u32 v2, v1, v210
	v_cvt_f32_i32_e32 v1, v0
	s_delay_alu instid0(VALU_DEP_3) | instskip(NEXT) | instid1(VALU_DEP_3)
	v_mul_lo_u32 v4, v4, v145
	v_cvt_f32_i32_e32 v0, v2
	s_set_vgpr_msb 4                        ;  msbs: dst=0 src0=0 src1=1 src2=0
	v_pk_fma_f32 v[2:3], v[130:131], v[30:31] /*v[286:287]*/, 0 op_sel_hi:[0,1,0]
	s_delay_alu instid0(VALU_DEP_3)
	v_cvt_f32_i32_e32 v5, v4
	s_set_vgpr_msb 1                        ;  msbs: dst=0 src0=1 src1=0 src2=0
	v_pk_fma_f32 v[0:1], v[28:29] /*v[284:285]*/, v[0:1], 0 op_sel_hi:[1,1,0]
	s_set_vgpr_msb 4                        ;  msbs: dst=0 src0=0 src1=1 src2=0
	v_cvt_f32_i32_e32 v4, v6
	v_pk_fma_f32 v[2:3], v[120:121], v[34:35] /*v[290:291]*/, v[2:3] op_sel_hi:[0,1,1]
	s_set_vgpr_msb 1                        ;  msbs: dst=0 src0=1 src1=0 src2=0
	s_delay_alu instid0(VALU_DEP_2) | instskip(SKIP_1) | instid1(VALU_DEP_2)
	v_pk_fma_f32 v[0:1], v[32:33] /*v[288:289]*/, v[4:5], v[0:1]
	s_set_vgpr_msb 0                        ;  msbs: dst=0 src0=0 src1=0 src2=0
	v_pk_mul_f32 v[2:3], v[2:3], v[118:119]
	s_delay_alu instid0(VALU_DEP_1) | instskip(NEXT) | instid1(VALU_DEP_1)
	v_pk_fma_f32 v[0:1], v[0:1], v[110:111], v[2:3] neg_lo:[0,0,1] neg_hi:[0,0,1]
	v_pk_add_f32 v[56:57], v[56:57], v[0:1]
	v_or_b32_e32 v0, s5, v183
	s_delay_alu instid0(VALU_DEP_1)
	v_dual_lshlrev_b32 v1, 2, v0 :: v_dual_lshrrev_b32 v20, 1, v0
	ds_load_b128 v[4:7], v1 offset:33280
	ds_load_b128 v[8:11], v1 offset:33296
	;; [unrolled: 1-line block ×4, first 2 shown]
	s_wait_dscnt 0x3
	v_bfe_i32 v16, v4, 0, 8
	s_set_vgpr_msb 64                       ;  msbs: dst=1 src0=0 src1=0 src2=0
	v_perm_b32 v15 /*v271*/, v4, v4, 0xc0c0201
	v_perm_b32 v16 /*v272*/, v5, v4, 0x6050403
	;; [unrolled: 1-line block ×4, first 2 shown]
	s_set_vgpr_msb 0                        ;  msbs: dst=0 src0=0 src1=0 src2=0
	v_mul_i32_i24_e32 v21, v16, v150
	s_wait_dscnt 0x2
	s_set_vgpr_msb 64                       ;  msbs: dst=1 src0=0 src1=0 src2=0
	v_perm_b32 v19 /*v275*/, v8, v121, 0x6050403
	v_perm_b32 v20 /*v276*/, v148, v7, 0x6050403
	s_set_vgpr_msb 0                        ;  msbs: dst=0 src0=0 src1=0 src2=0
	v_ashrrev_i32_e32 v18, 24, v8
	s_wait_dscnt 0x1
	v_bfe_i32 v19, v12, 0, 8
	s_set_vgpr_msb 5                        ;  msbs: dst=0 src0=1 src1=1 src2=0
	v_dot4_i32_iu8 v21, v15 /*v271*/, v9 /*v265*/, v21 neg_lo:[1,1,0]
	s_set_vgpr_msb 0                        ;  msbs: dst=0 src0=0 src1=0 src2=0
	v_perm_b32 v12, v13, v12, 0x4030201
	v_perm_b32 v13, v14, v13, 0x4030201
	;; [unrolled: 1-line block ×3, first 2 shown]
	s_wait_dscnt 0x0
	s_set_vgpr_msb 64                       ;  msbs: dst=1 src0=0 src1=0 src2=0
	v_perm_b32 v21 /*v277*/, v0, v15, 0x4030201
	s_set_vgpr_msb 5                        ;  msbs: dst=0 src0=1 src1=1 src2=0
	v_dot4_i32_iu8 v21, v16 /*v272*/, v10 /*v266*/, v21 neg_lo:[1,1,0]
	s_set_vgpr_msb 64                       ;  msbs: dst=1 src0=0 src1=0 src2=0
	v_perm_b32 v23 /*v279*/, v1, v0, 0x4030201
	s_set_vgpr_msb 0                        ;  msbs: dst=0 src0=0 src1=0 src2=0
	v_perm_b32 v1, v2, v1, 0x4030201
	s_set_vgpr_msb 64                       ;  msbs: dst=1 src0=0 src1=0 src2=0
	v_perm_b32 v25 /*v281*/, v8, v135, 0x6050403
	v_perm_b32 v26 /*v282*/, v155, v7, 0x6050403
	s_set_vgpr_msb 5                        ;  msbs: dst=0 src0=1 src1=1 src2=0
	v_dot4_i32_iu8 v21, v17 /*v273*/, v11 /*v267*/, v21 neg_lo:[1,1,0]
	s_set_vgpr_msb 0                        ;  msbs: dst=0 src0=0 src1=0 src2=0
	v_bfe_i32 v17, v4, 8, 8
	v_perm_b32 v4, v5, v4, 0x5040302
	v_perm_b32 v5, v6, v5, 0x5040302
	;; [unrolled: 1-line block ×3, first 2 shown]
	s_set_vgpr_msb 5                        ;  msbs: dst=0 src0=1 src1=1 src2=0
	v_dot4_i32_iu8 v21, v18 /*v274*/, v12 /*v268*/, v21 neg_lo:[1,1,0]
	s_set_vgpr_msb 64                       ;  msbs: dst=1 src0=0 src1=0 src2=0
	v_perm_b32 v45 /*v301*/, v11, v10, 0x5040302
	v_perm_b32 v46 /*v302*/, v11, v11, 0xc0c0302
	s_set_vgpr_msb 5                        ;  msbs: dst=0 src0=1 src1=1 src2=0
	v_dot4_i32_iu8 v21, v20 /*v276*/, v19 /*v275*/, v21 neg_lo:[1,1,0]
	s_set_vgpr_msb 64                       ;  msbs: dst=1 src0=0 src1=0 src2=0
	v_perm_b32 v19 /*v275*/, v9, v9, 0xc0c0100
	v_perm_b32 v20 /*v276*/, v10, v9, 0x5040302
	s_set_vgpr_msb 0                        ;  msbs: dst=0 src0=0 src1=0 src2=0
	v_mad_i32_i24 v21, v149, v18, v21
	s_set_vgpr_msb 5                        ;  msbs: dst=0 src0=1 src1=1 src2=0
	s_delay_alu instid0(VALU_DEP_1) | instskip(SKIP_1) | instid1(VALU_DEP_1)
	v_dot4_i32_iu8 v21, v13 /*v269*/, v19 /*v275*/, v21 neg_lo:[1,1,0]
	s_set_vgpr_msb 0x45                     ;  msbs: dst=1 src0=1 src1=1 src2=0
	v_dot4_i32_iu8 v22 /*v278*/, v14 /*v270*/, v20 /*v276*/, v21 neg_lo:[1,1,0]
	s_set_vgpr_msb 0                        ;  msbs: dst=0 src0=0 src1=0 src2=0
	v_mul_i32_i24_e32 v21, v151, v19
	s_delay_alu instid0(VALU_DEP_1) | instskip(NEXT) | instid1(VALU_DEP_1)
	v_dot4_i32_iu8 v21, v152, v12, v21 neg_lo:[1,1,0]
	v_dot4_i32_iu8 v21, v153, v13, v21 neg_lo:[1,1,0]
	s_set_vgpr_msb 1                        ;  msbs: dst=0 src0=1 src1=0 src2=0
	s_delay_alu instid0(VALU_DEP_1) | instskip(SKIP_1) | instid1(VALU_DEP_1)
	v_dot4_i32_iu8 v21, v5 /*v261*/, v14, v21 neg_lo:[1,1,0]
	s_set_vgpr_msb 5                        ;  msbs: dst=0 src0=1 src1=1 src2=0
	v_dot4_i32_iu8 v21, v6 /*v262*/, v21 /*v277*/, v21 neg_lo:[1,1,0]
	s_delay_alu instid0(VALU_DEP_1) | instskip(SKIP_1) | instid1(VALU_DEP_1)
	v_dot4_i32_iu8 v21, v7 /*v263*/, v23 /*v279*/, v21 neg_lo:[1,1,0]
	s_set_vgpr_msb 0x41                     ;  msbs: dst=1 src0=1 src1=0 src2=0
	v_dot4_i32_iu8 v24 /*v280*/, v8 /*v264*/, v1, v21 neg_lo:[1,1,0]
	s_set_vgpr_msb 0                        ;  msbs: dst=0 src0=0 src1=0 src2=0
	v_mul_i32_i24_e32 v21, v16, v156
	s_set_vgpr_msb 1                        ;  msbs: dst=0 src0=1 src1=0 src2=0
	s_delay_alu instid0(VALU_DEP_1) | instskip(NEXT) | instid1(VALU_DEP_1)
	v_dot4_i32_iu8 v21, v15 /*v271*/, v253, v21 neg_lo:[1,1,0]
	v_dot4_i32_iu8 v21, v16 /*v272*/, v254, v21 neg_lo:[1,1,0]
	s_delay_alu instid0(VALU_DEP_1) | instskip(SKIP_1) | instid1(VALU_DEP_1)
	v_dot4_i32_iu8 v21, v17 /*v273*/, v255, v21 neg_lo:[1,1,0]
	s_set_vgpr_msb 5                        ;  msbs: dst=0 src0=1 src1=1 src2=0
	v_dot4_i32_iu8 v21, v18 /*v274*/, v0 /*v256*/, v21 neg_lo:[1,1,0]
	s_delay_alu instid0(VALU_DEP_1) | instskip(SKIP_1) | instid1(VALU_DEP_1)
	v_dot4_i32_iu8 v21, v26 /*v282*/, v25 /*v281*/, v21 neg_lo:[1,1,0]
	s_set_vgpr_msb 0                        ;  msbs: dst=0 src0=0 src1=0 src2=0
	v_mad_i32_i24 v21, v157, v18, v21
	s_set_vgpr_msb 5                        ;  msbs: dst=0 src0=1 src1=1 src2=0
	s_delay_alu instid0(VALU_DEP_1) | instskip(SKIP_1) | instid1(VALU_DEP_1)
	v_dot4_i32_iu8 v21, v1 /*v257*/, v19 /*v275*/, v21 neg_lo:[1,1,0]
	s_set_vgpr_msb 0x45                     ;  msbs: dst=1 src0=1 src1=1 src2=0
	v_dot4_i32_iu8 v25 /*v281*/, v2 /*v258*/, v20 /*v276*/, v21 neg_lo:[1,1,0]
	s_set_vgpr_msb 0                        ;  msbs: dst=0 src0=0 src1=0 src2=0
	v_mul_i32_i24_e32 v21, v19, v204
	s_delay_alu instid0(VALU_DEP_1) | instskip(NEXT) | instid1(VALU_DEP_1)
	v_dot4_i32_iu8 v21, v12, v205, v21 neg_lo:[1,1,0]
	v_dot4_i32_iu8 v21, v13, v236, v21 neg_lo:[1,1,0]
	s_delay_alu instid0(VALU_DEP_1) | instskip(SKIP_1) | instid1(VALU_DEP_1)
	v_dot4_i32_iu8 v21, v14, v237, v21 neg_lo:[1,1,0]
	s_set_vgpr_msb 1                        ;  msbs: dst=0 src0=1 src1=0 src2=0
	v_dot4_i32_iu8 v21, v21 /*v277*/, v238, v21 neg_lo:[1,1,0]
	s_delay_alu instid0(VALU_DEP_1) | instskip(SKIP_1) | instid1(VALU_DEP_1)
	v_dot4_i32_iu8 v21, v23 /*v279*/, v239, v21 neg_lo:[1,1,0]
	s_set_vgpr_msb 64                       ;  msbs: dst=1 src0=0 src1=0 src2=0
	v_dot4_i32_iu8 v26 /*v282*/, v1, v240, v21 neg_lo:[1,1,0]
	s_set_vgpr_msb 0                        ;  msbs: dst=0 src0=0 src1=0 src2=0
	v_mul_i32_i24_e32 v21, v16, v213
	s_delay_alu instid0(VALU_DEP_1) | instskip(NEXT) | instid1(VALU_DEP_1)
	v_mad_i32_i24 v17, v17, v214, v21
	v_dot4_i32_iu8 v4, v4, v215, v17 neg_lo:[1,1,0]
	s_delay_alu instid0(VALU_DEP_1) | instskip(SKIP_1) | instid1(VALU_DEP_1)
	v_dot4_i32_iu8 v4, v5, v216, v4 neg_lo:[1,1,0]
	v_perm_b32 v5, v7, v6, 0x5040302
	v_dot4_i32_iu8 v4, v5, v217, v4 neg_lo:[1,1,0]
	v_perm_b32 v5, v8, v7, 0x5040302
	s_delay_alu instid0(VALU_DEP_1) | instskip(SKIP_1) | instid1(VALU_DEP_1)
	v_dot4_i32_iu8 v4, v5, v218, v4 neg_lo:[1,1,0]
	v_perm_b32 v5, v9, v8, 0x5040302
	v_dot4_i32_iu8 v4, v5, v219, v4 neg_lo:[1,1,0]
	v_perm_b32 v5, v146, v15, 0x4030201
	s_set_vgpr_msb 0x41                     ;  msbs: dst=1 src0=1 src1=0 src2=0
	s_delay_alu instid0(VALU_DEP_2) | instskip(SKIP_2) | instid1(VALU_DEP_1)
	v_dot4_i32_iu8 v27 /*v283*/, v20 /*v276*/, v221, v4 neg_lo:[1,1,0]
	s_set_vgpr_msb 0                        ;  msbs: dst=0 src0=0 src1=0 src2=0
	v_mul_i32_i24_e32 v4, v19, v222
	v_dot4_i32_iu8 v4, v12, v244, v4 neg_lo:[1,1,0]
	s_delay_alu instid0(VALU_DEP_1) | instskip(NEXT) | instid1(VALU_DEP_1)
	v_dot4_i32_iu8 v4, v13, v245, v4 neg_lo:[1,1,0]
	v_dot4_i32_iu8 v4, v14, v246, v4 neg_lo:[1,1,0]
	s_delay_alu instid0(VALU_DEP_1) | instskip(SKIP_3) | instid1(VALU_DEP_3)
	v_dot4_i32_iu8 v0, v5, v0, v4 neg_lo:[1,1,0]
	v_perm_b32 v4, v8, v141, 0x6050403
	v_perm_b32 v5, v206, v7, 0x6050403
	s_set_vgpr_msb 4                        ;  msbs: dst=0 src0=0 src1=1 src2=0
	v_dot4_i32_iu8 v0, v247, v23 /*v279*/, v0 neg_lo:[1,1,0]
	s_set_vgpr_msb 64                       ;  msbs: dst=1 src0=0 src1=0 src2=0
	s_delay_alu instid0(VALU_DEP_1) | instskip(SKIP_3) | instid1(VALU_DEP_1)
	v_dot4_i32_iu8 v28 /*v284*/, v248, v1, v0 neg_lo:[1,1,0]
	s_set_vgpr_msb 0                        ;  msbs: dst=0 src0=0 src1=0 src2=0
	v_mul_i32_i24_e32 v0, v16, v207
	s_set_vgpr_msb 1                        ;  msbs: dst=0 src0=1 src1=0 src2=0
	v_dot4_i32_iu8 v0, v15 /*v271*/, v223, v0 neg_lo:[1,1,0]
	s_delay_alu instid0(VALU_DEP_1) | instskip(NEXT) | instid1(VALU_DEP_1)
	v_dot4_i32_iu8 v0, v16 /*v272*/, v224, v0 neg_lo:[1,1,0]
	v_dot4_i32_iu8 v0, v17 /*v273*/, v225, v0 neg_lo:[1,1,0]
	s_delay_alu instid0(VALU_DEP_1) | instskip(SKIP_1) | instid1(VALU_DEP_1)
	v_dot4_i32_iu8 v0, v18 /*v274*/, v140, v0 neg_lo:[1,1,0]
	s_set_vgpr_msb 0                        ;  msbs: dst=0 src0=0 src1=0 src2=0
	v_dot4_i32_iu8 v0, v5, v4, v0 neg_lo:[1,1,0]
	s_delay_alu instid0(VALU_DEP_1) | instskip(SKIP_1) | instid1(VALU_DEP_1)
	v_mad_i32_i24 v0, v208, v18, v0
	s_set_vgpr_msb 4                        ;  msbs: dst=0 src0=0 src1=1 src2=0
	v_dot4_i32_iu8 v0, v226, v19 /*v275*/, v0 neg_lo:[1,1,0]
	s_set_vgpr_msb 0x44                     ;  msbs: dst=1 src0=0 src1=1 src2=0
	s_delay_alu instid0(VALU_DEP_1) | instskip(SKIP_2) | instid1(VALU_DEP_1)
	v_dot4_i32_iu8 v15 /*v271*/, v227, v20 /*v276*/, v0 neg_lo:[1,1,0]
	s_set_vgpr_msb 0                        ;  msbs: dst=0 src0=0 src1=0 src2=0
	v_mul_i32_i24_e32 v0, v19, v211
	v_dot4_i32_iu8 v0, v12, v228, v0 neg_lo:[1,1,0]
	s_delay_alu instid0(VALU_DEP_1) | instskip(NEXT) | instid1(VALU_DEP_1)
	v_dot4_i32_iu8 v0, v13, v229, v0 neg_lo:[1,1,0]
	v_dot4_i32_iu8 v0, v14, v230, v0 neg_lo:[1,1,0]
	s_set_vgpr_msb 4                        ;  msbs: dst=0 src0=0 src1=1 src2=0
	s_delay_alu instid0(VALU_DEP_1) | instskip(NEXT) | instid1(VALU_DEP_1)
	v_dot4_i32_iu8 v0, v231, v21 /*v277*/, v0 neg_lo:[1,1,0]
	v_dot4_i32_iu8 v0, v232, v23 /*v279*/, v0 neg_lo:[1,1,0]
	s_set_vgpr_msb 64                       ;  msbs: dst=1 src0=0 src1=0 src2=0
	s_delay_alu instid0(VALU_DEP_1) | instskip(SKIP_2) | instid1(VALU_DEP_1)
	v_dot4_i32_iu8 v23 /*v279*/, v233, v1, v0 neg_lo:[1,1,0]
	s_set_vgpr_msb 0                        ;  msbs: dst=0 src0=0 src1=0 src2=0
	v_or_b32_e32 v0, s5, v184
	v_dual_lshlrev_b32 v1, 2, v0 :: v_dual_lshrrev_b32 v8, 1, v0
	ds_load_b128 v[4:7], v1 offset:33280
	ds_load_b128 v[12:15], v1 offset:33296
	;; [unrolled: 1-line block ×3, first 2 shown]
	s_set_vgpr_msb 64                       ;  msbs: dst=1 src0=0 src1=0 src2=0
	ds_load_b128 v[16:19] /*v[272:275]*/, v1 offset:33328
	s_wait_dscnt 0x3
	v_bfe_i32 v29 /*v285*/, v4, 0, 8
	v_perm_b32 v33 /*v289*/, v4, v4, 0xc0c0201
	v_perm_b32 v34 /*v290*/, v5, v4, 0x6050403
	;; [unrolled: 1-line block ×4, first 2 shown]
	s_set_vgpr_msb 1                        ;  msbs: dst=0 src0=1 src1=0 src2=0
	v_mul_i32_i24_e32 v0, v29 /*v285*/, v150
	s_wait_dscnt 0x2
	s_set_vgpr_msb 0                        ;  msbs: dst=0 src0=0 src1=0 src2=0
	v_perm_b32 v1, v12, v121, 0x6050403
	v_perm_b32 v9, v148, v7, 0x6050403
	s_set_vgpr_msb 64                       ;  msbs: dst=1 src0=0 src1=0 src2=0
	v_ashrrev_i32_e32 v31 /*v287*/, 24, v12
	v_perm_b32 v37 /*v293*/, v13, v13, 0xc0c0100
	s_set_vgpr_msb 5                        ;  msbs: dst=0 src0=1 src1=1 src2=0
	v_dot4_i32_iu8 v0, v33 /*v289*/, v9 /*v265*/, v0 neg_lo:[1,1,0]
	s_wait_dscnt 0x1
	s_set_vgpr_msb 64                       ;  msbs: dst=1 src0=0 src1=0 src2=0
	v_bfe_i32 v32 /*v288*/, v16, 0, 8
	v_perm_b32 v38 /*v294*/, v14, v13, 0x5040302
	v_perm_b32 v40 /*v296*/, v17, v16, 0x4030201
	v_perm_b32 v41 /*v297*/, v18, v17, 0x4030201
	s_set_vgpr_msb 5                        ;  msbs: dst=0 src0=1 src1=1 src2=0
	v_dot4_i32_iu8 v0, v34 /*v290*/, v10 /*v266*/, v0 neg_lo:[1,1,0]
	s_set_vgpr_msb 0                        ;  msbs: dst=0 src0=0 src1=0 src2=0
	v_perm_b32 v18, v19, v18, 0x4030201
	s_wait_dscnt 0x0
	s_set_vgpr_msb 0x41                     ;  msbs: dst=1 src0=1 src1=0 src2=0
	v_perm_b32 v42 /*v298*/, v16 /*v272*/, v19, 0x4030201
	s_set_vgpr_msb 0x45                     ;  msbs: dst=1 src0=1 src1=1 src2=0
	v_perm_b32 v43 /*v299*/, v17 /*v273*/, v16 /*v272*/, 0x4030201
	v_perm_b32 v17 /*v273*/, v18 /*v274*/, v17 /*v273*/, 0x4030201
	s_set_vgpr_msb 5                        ;  msbs: dst=0 src0=1 src1=1 src2=0
	v_dot4_i32_iu8 v0, v35 /*v291*/, v11 /*v267*/, v0 neg_lo:[1,1,0]
	s_set_vgpr_msb 64                       ;  msbs: dst=1 src0=0 src1=0 src2=0
	v_bfe_i32 v30 /*v286*/, v4, 8, 8
	s_set_vgpr_msb 0                        ;  msbs: dst=0 src0=0 src1=0 src2=0
	v_perm_b32 v4, v5, v4, 0x5040302
	v_perm_b32 v5, v6, v5, 0x5040302
	s_set_vgpr_msb 5                        ;  msbs: dst=0 src0=1 src1=1 src2=0
	v_dot4_i32_iu8 v0, v36 /*v292*/, v12 /*v268*/, v0 neg_lo:[1,1,0]
	s_set_vgpr_msb 0                        ;  msbs: dst=0 src0=0 src1=0 src2=0
	s_delay_alu instid0(VALU_DEP_1) | instskip(SKIP_1) | instid1(VALU_DEP_1)
	v_dot4_i32_iu8 v0, v9, v1, v0 neg_lo:[1,1,0]
	s_set_vgpr_msb 4                        ;  msbs: dst=0 src0=0 src1=1 src2=0
	v_mad_i32_i24 v0, v149, v31 /*v287*/, v0
	s_set_vgpr_msb 5                        ;  msbs: dst=0 src0=1 src1=1 src2=0
	s_delay_alu instid0(VALU_DEP_1) | instskip(SKIP_1) | instid1(VALU_DEP_1)
	v_dot4_i32_iu8 v0, v13 /*v269*/, v37 /*v293*/, v0 neg_lo:[1,1,0]
	s_set_vgpr_msb 0x45                     ;  msbs: dst=1 src0=1 src1=1 src2=0
	v_dot4_i32_iu8 v39 /*v295*/, v14 /*v270*/, v38 /*v294*/, v0 neg_lo:[1,1,0]
	s_set_vgpr_msb 4                        ;  msbs: dst=0 src0=0 src1=1 src2=0
	v_mul_i32_i24_e32 v0, v151, v32 /*v288*/
	s_delay_alu instid0(VALU_DEP_1) | instskip(NEXT) | instid1(VALU_DEP_1)
	v_dot4_i32_iu8 v0, v152, v40 /*v296*/, v0 neg_lo:[1,1,0]
	v_dot4_i32_iu8 v0, v153, v41 /*v297*/, v0 neg_lo:[1,1,0]
	s_set_vgpr_msb 1                        ;  msbs: dst=0 src0=1 src1=0 src2=0
	s_delay_alu instid0(VALU_DEP_1) | instskip(SKIP_1) | instid1(VALU_DEP_1)
	v_dot4_i32_iu8 v0, v5 /*v261*/, v18, v0 neg_lo:[1,1,0]
	s_set_vgpr_msb 5                        ;  msbs: dst=0 src0=1 src1=1 src2=0
	v_dot4_i32_iu8 v0, v6 /*v262*/, v42 /*v298*/, v0 neg_lo:[1,1,0]
	s_delay_alu instid0(VALU_DEP_1) | instskip(SKIP_1) | instid1(VALU_DEP_1)
	v_dot4_i32_iu8 v0, v7 /*v263*/, v43 /*v299*/, v0 neg_lo:[1,1,0]
	s_set_vgpr_msb 0x45                     ;  msbs: dst=1 src0=1 src1=1 src2=0
	v_dot4_i32_iu8 v44 /*v300*/, v8 /*v264*/, v17 /*v273*/, v0 neg_lo:[1,1,0]
	s_set_vgpr_msb 0                        ;  msbs: dst=0 src0=0 src1=0 src2=0
	ds_load_b64 v[0:1], v20 offset:43584
	ds_load_b64 v[8:9], v8 offset:43584
	s_wait_dscnt 0x1
	v_cvt_f32_f16_e32 v16, v0
	s_wait_dscnt 0x0
	v_cvt_f32_f16_e32 v17, v8
	v_lshrrev_b32_e32 v8, 16, v8
	v_lshrrev_b32_e32 v0, 16, v0
	s_set_vgpr_msb 64                       ;  msbs: dst=1 src0=0 src1=0 src2=0
	v_cvt_f32_f16_e64 v21 /*v277*/, v9
	v_cvt_f32_f16_e64 v20 /*v276*/, v1
	s_set_vgpr_msb 0                        ;  msbs: dst=0 src0=0 src1=0 src2=0
	v_cvt_f32_f16_e32 v21, v8
	s_set_vgpr_msb 17                       ;  msbs: dst=0 src0=1 src1=0 src2=1
	v_dot4_i32_iu8 v8, v45 /*v301*/, v252, v22 /*v278*/ neg_lo:[1,1,0]
	s_set_vgpr_msb 64                       ;  msbs: dst=1 src0=0 src1=0 src2=0
	v_perm_b32 v22 /*v278*/, v15, v14, 0x5040302
	s_set_vgpr_msb 0                        ;  msbs: dst=0 src0=0 src1=0 src2=0
	v_cvt_f32_f16_e32 v20, v0
	v_lshrrev_b32_e32 v0, 16, v1
	v_lshrrev_b32_e32 v1, 16, v9
	v_perm_b32 v14, v125, v2, 0x4030201
	s_set_vgpr_msb 17                       ;  msbs: dst=0 src0=1 src1=0 src2=1
	v_dot4_i32_iu8 v9, v22 /*v278*/, v252, v39 /*v295*/ neg_lo:[1,1,0]
	s_set_vgpr_msb 64                       ;  msbs: dst=1 src0=0 src1=0 src2=0
	v_perm_b32 v39 /*v295*/, v15, v15, 0xc0c0302
	s_set_vgpr_msb 0                        ;  msbs: dst=0 src0=0 src1=0 src2=0
	v_perm_b32 v15, v3, v124, 0x4030201
	s_set_vgpr_msb 4                        ;  msbs: dst=0 src0=0 src1=1 src2=0
	v_dot4_i32_iu8 v8, v251, v46 /*v302*/, v8 neg_lo:[1,1,0]
	v_cvt_f32_f16_e32 v1, v1
	v_cvt_f32_f16_e32 v0, v0
	v_dot4_i32_iu8 v9, v251, v39 /*v295*/, v9 neg_lo:[1,1,0]
	s_set_vgpr_msb 16                       ;  msbs: dst=0 src0=0 src1=0 src2=1
	v_dot4_i32_iu8 v14, v15, v14, v24 /*v280*/ neg_lo:[1,1,0]
	s_set_vgpr_msb 4                        ;  msbs: dst=0 src0=0 src1=1 src2=0
	v_perm_b32 v15, v125, v18 /*v274*/, 0x4030201
	s_set_vgpr_msb 0x41                     ;  msbs: dst=1 src0=1 src1=0 src2=0
	v_perm_b32 v24 /*v280*/, v19 /*v275*/, v124, 0x4030201
	s_set_vgpr_msb 0                        ;  msbs: dst=0 src0=0 src1=0 src2=0
	v_mul_lo_u32 v8, v8, v154
	v_mul_lo_u32 v9, v9, v154
	v_pk_fma_f32 v[10:11], v[126:127], v[20:21], 0 op_sel_hi:[0,1,0]
	s_set_vgpr_msb 17                       ;  msbs: dst=0 src0=1 src1=0 src2=1
	v_dot4_i32_iu8 v15, v24 /*v280*/, v15, v44 /*v300*/ neg_lo:[1,1,0]
	s_set_vgpr_msb 0x45                     ;  msbs: dst=1 src0=1 src1=1 src2=0
	v_perm_b32 v24 /*v280*/, v19 /*v275*/, v19 /*v275*/, 0xc070601
	s_set_vgpr_msb 64                       ;  msbs: dst=1 src0=0 src1=0 src2=0
	v_perm_b32 v44 /*v300*/, v3, v3, 0xc070601
	s_set_vgpr_msb 0                        ;  msbs: dst=0 src0=0 src1=0 src2=0
	v_pk_fma_f32 v[10:11], v[122:123], v[0:1], v[10:11] op_sel_hi:[0,1,1]
	s_set_vgpr_msb 4                        ;  msbs: dst=0 src0=0 src1=1 src2=0
	v_dot4_i32_iu8 v15, v243, v24 /*v280*/, v15 neg_lo:[1,1,0]
	v_dot4_i32_iu8 v14, v243, v44 /*v300*/, v14 neg_lo:[1,1,0]
	v_cvt_f32_i32_e32 v9, v9
	v_cvt_f32_i32_e32 v8, v8
	s_set_vgpr_msb 0                        ;  msbs: dst=0 src0=0 src1=0 src2=0
	v_pk_mul_f32 v[10:11], v[10:11], v[112:113]
	v_mul_lo_u32 v15, v15, v123
	v_mul_lo_u32 v14, v14, v123
	v_pk_fma_f32 v[8:9], v[16:17], v[8:9], 0 op_sel_hi:[1,1,0]
	s_delay_alu instid0(VALU_DEP_3) | instskip(NEXT) | instid1(VALU_DEP_3)
	v_cvt_f32_i32_e32 v15, v15
	v_cvt_f32_i32_e32 v14, v14
	s_set_vgpr_msb 1                        ;  msbs: dst=0 src0=1 src1=0 src2=0
	s_delay_alu instid0(VALU_DEP_1) | instskip(SKIP_1) | instid1(VALU_DEP_1)
	v_pk_fma_f32 v[8:9], v[20:21] /*v[276:277]*/, v[14:15], v[8:9]
	s_set_vgpr_msb 0                        ;  msbs: dst=0 src0=0 src1=0 src2=0
	v_pk_fma_f32 v[8:9], v[8:9], v[22:23], v[10:11] neg_lo:[0,0,1] neg_hi:[0,0,1]
	v_perm_b32 v10, v155, v7, 0x6050403
	s_delay_alu instid0(VALU_DEP_2)
	v_pk_add_f32 v[54:55], v[54:55], v[8:9]
	s_set_vgpr_msb 1                        ;  msbs: dst=0 src0=1 src1=0 src2=0
	v_mul_i32_i24_e32 v8, v29 /*v285*/, v156
	s_set_vgpr_msb 0                        ;  msbs: dst=0 src0=0 src1=0 src2=0
	v_perm_b32 v9, v12, v135, 0x6050403
	s_set_vgpr_msb 1                        ;  msbs: dst=0 src0=1 src1=0 src2=0
	s_delay_alu instid0(VALU_DEP_2) | instskip(NEXT) | instid1(VALU_DEP_1)
	v_dot4_i32_iu8 v8, v33 /*v289*/, v253, v8 neg_lo:[1,1,0]
	v_dot4_i32_iu8 v8, v34 /*v290*/, v254, v8 neg_lo:[1,1,0]
	s_delay_alu instid0(VALU_DEP_1) | instskip(SKIP_1) | instid1(VALU_DEP_1)
	v_dot4_i32_iu8 v8, v35 /*v291*/, v255, v8 neg_lo:[1,1,0]
	s_set_vgpr_msb 5                        ;  msbs: dst=0 src0=1 src1=1 src2=0
	v_dot4_i32_iu8 v8, v36 /*v292*/, v0 /*v256*/, v8 neg_lo:[1,1,0]
	s_set_vgpr_msb 0                        ;  msbs: dst=0 src0=0 src1=0 src2=0
	s_delay_alu instid0(VALU_DEP_1) | instskip(SKIP_3) | instid1(VALU_DEP_2)
	v_dot4_i32_iu8 v8, v10, v9, v8 neg_lo:[1,1,0]
	s_set_vgpr_msb 1                        ;  msbs: dst=0 src0=1 src1=0 src2=0
	v_mul_i32_i24_e32 v9, v32 /*v288*/, v204
	s_set_vgpr_msb 4                        ;  msbs: dst=0 src0=0 src1=1 src2=0
	v_mad_i32_i24 v8, v157, v31 /*v287*/, v8
	s_set_vgpr_msb 1                        ;  msbs: dst=0 src0=1 src1=0 src2=0
	s_delay_alu instid0(VALU_DEP_2) | instskip(SKIP_1) | instid1(VALU_DEP_2)
	v_dot4_i32_iu8 v9, v40 /*v296*/, v205, v9 neg_lo:[1,1,0]
	s_set_vgpr_msb 5                        ;  msbs: dst=0 src0=1 src1=1 src2=0
	v_dot4_i32_iu8 v8, v1 /*v257*/, v37 /*v293*/, v8 neg_lo:[1,1,0]
	s_set_vgpr_msb 1                        ;  msbs: dst=0 src0=1 src1=0 src2=0
	s_delay_alu instid0(VALU_DEP_2) | instskip(SKIP_1) | instid1(VALU_DEP_2)
	v_dot4_i32_iu8 v9, v41 /*v297*/, v236, v9 neg_lo:[1,1,0]
	s_set_vgpr_msb 5                        ;  msbs: dst=0 src0=1 src1=1 src2=0
	v_dot4_i32_iu8 v8, v2 /*v258*/, v38 /*v294*/, v8 neg_lo:[1,1,0]
	s_set_vgpr_msb 0                        ;  msbs: dst=0 src0=0 src1=0 src2=0
	s_delay_alu instid0(VALU_DEP_2) | instskip(SKIP_1) | instid1(VALU_DEP_2)
	v_dot4_i32_iu8 v9, v18, v237, v9 neg_lo:[1,1,0]
	s_set_vgpr_msb 5                        ;  msbs: dst=0 src0=1 src1=1 src2=0
	v_dot4_i32_iu8 v8, v22 /*v278*/, v3 /*v259*/, v8 neg_lo:[1,1,0]
	s_set_vgpr_msb 1                        ;  msbs: dst=0 src0=1 src1=0 src2=0
	s_delay_alu instid0(VALU_DEP_2) | instskip(SKIP_1) | instid1(VALU_DEP_2)
	v_dot4_i32_iu8 v9, v42 /*v298*/, v238, v9 neg_lo:[1,1,0]
	s_set_vgpr_msb 5                        ;  msbs: dst=0 src0=1 src1=1 src2=0
	v_dot4_i32_iu8 v8, v4 /*v260*/, v39 /*v295*/, v8 neg_lo:[1,1,0]
	s_set_vgpr_msb 1                        ;  msbs: dst=0 src0=1 src1=0 src2=0
	s_delay_alu instid0(VALU_DEP_2) | instskip(SKIP_1) | instid1(VALU_DEP_2)
	v_dot4_i32_iu8 v9, v43 /*v299*/, v239, v9 neg_lo:[1,1,0]
	s_set_vgpr_msb 0                        ;  msbs: dst=0 src0=0 src1=0 src2=0
	v_mul_lo_u32 v8, v8, v203
	s_set_vgpr_msb 1                        ;  msbs: dst=0 src0=1 src1=0 src2=0
	s_delay_alu instid0(VALU_DEP_2)
	v_dot4_i32_iu8 v14, v17 /*v273*/, v240, v9 neg_lo:[1,1,0]
	s_set_vgpr_msb 21                       ;  msbs: dst=0 src0=1 src1=1 src2=1
	v_dot4_i32_iu8 v9, v45 /*v301*/, v3 /*v259*/, v25 /*v281*/ neg_lo:[1,1,0]
	s_set_vgpr_msb 64                       ;  msbs: dst=1 src0=0 src1=0 src2=0
	v_perm_b32 v25 /*v281*/, v3, v2, 0x4030201
	s_set_vgpr_msb 0                        ;  msbs: dst=0 src0=0 src1=0 src2=0
	v_perm_b32 v2, v137, v2, 0x4030201
	v_perm_b32 v3, v3, v136, 0x4030201
	s_set_vgpr_msb 5                        ;  msbs: dst=0 src0=1 src1=1 src2=0
	v_dot4_i32_iu8 v9, v4 /*v260*/, v46 /*v302*/, v9 neg_lo:[1,1,0]
	s_set_vgpr_msb 17                       ;  msbs: dst=0 src0=1 src1=0 src2=1
	v_dot4_i32_iu8 v15, v25 /*v281*/, v241, v26 /*v282*/ neg_lo:[1,1,0]
	s_set_vgpr_msb 0x45                     ;  msbs: dst=1 src0=1 src1=1 src2=0
	v_perm_b32 v26 /*v282*/, v19 /*v275*/, v18 /*v274*/, 0x4030201
	s_set_vgpr_msb 16                       ;  msbs: dst=0 src0=0 src1=0 src2=1
	v_dot4_i32_iu8 v2, v3, v2, v28 /*v284*/ neg_lo:[1,1,0]
	s_set_vgpr_msb 4                        ;  msbs: dst=0 src0=0 src1=1 src2=0
	v_perm_b32 v3, v137, v18 /*v274*/, 0x4030201
	s_set_vgpr_msb 0                        ;  msbs: dst=0 src0=0 src1=0 src2=0
	v_mul_lo_u32 v10, v9, v203
	s_set_vgpr_msb 4                        ;  msbs: dst=0 src0=0 src1=1 src2=0
	v_dot4_i32_iu8 v15, v242, v44 /*v300*/, v15 neg_lo:[1,1,0]
	s_set_vgpr_msb 1                        ;  msbs: dst=0 src0=1 src1=0 src2=0
	v_dot4_i32_iu8 v14, v26 /*v282*/, v241, v14 neg_lo:[1,1,0]
	s_set_vgpr_msb 4                        ;  msbs: dst=0 src0=0 src1=1 src2=0
	v_cvt_f32_i32_e32 v9, v8
	v_dot4_i32_iu8 v2, v147, v44 /*v300*/, v2 neg_lo:[1,1,0]
	s_set_vgpr_msb 64                       ;  msbs: dst=1 src0=0 src1=0 src2=0
	v_mul_lo_u32 v47 /*v303*/, v15, v220
	s_set_vgpr_msb 4                        ;  msbs: dst=0 src0=0 src1=1 src2=0
	v_dot4_i32_iu8 v14, v242, v24 /*v280*/, v14 neg_lo:[1,1,0]
	s_set_vgpr_msb 0                        ;  msbs: dst=0 src0=0 src1=0 src2=0
	v_mul_lo_u32 v2, v2, v209
	v_cvt_f32_i32_e32 v8, v10
	s_delay_alu instid0(VALU_DEP_3) | instskip(SKIP_1) | instid1(VALU_DEP_3)
	v_mul_lo_u32 v14, v14, v220
	v_pk_fma_f32 v[10:11], v[128:129], v[20:21], 0 op_sel_hi:[0,1,0]
	v_pk_fma_f32 v[8:9], v[16:17], v[8:9], 0 op_sel_hi:[1,1,0]
	s_delay_alu instid0(VALU_DEP_2)
	v_pk_fma_f32 v[10:11], v[144:145], v[0:1], v[10:11] op_sel_hi:[0,1,1]
	v_cvt_f32_i32_e32 v2, v2
	v_cvt_f32_i32_e32 v15, v14
	s_set_vgpr_msb 1                        ;  msbs: dst=0 src0=1 src1=0 src2=0
	v_cvt_f32_i32_e32 v14, v47 /*v303*/
	s_set_vgpr_msb 0                        ;  msbs: dst=0 src0=0 src1=0 src2=0
	v_pk_mul_f32 v[10:11], v[10:11], v[114:115]
	s_set_vgpr_msb 1                        ;  msbs: dst=0 src0=1 src1=0 src2=0
	s_delay_alu instid0(VALU_DEP_2) | instskip(SKIP_1) | instid1(VALU_DEP_1)
	v_pk_fma_f32 v[8:9], v[20:21] /*v[276:277]*/, v[14:15], v[8:9]
	s_set_vgpr_msb 0                        ;  msbs: dst=0 src0=0 src1=0 src2=0
	v_pk_fma_f32 v[8:9], v[8:9], v[24:25], v[10:11] neg_lo:[0,0,1] neg_hi:[0,0,1]
	s_set_vgpr_msb 1                        ;  msbs: dst=0 src0=1 src1=0 src2=0
	v_perm_b32 v10, v19 /*v275*/, v136, 0x4030201
	s_set_vgpr_msb 0                        ;  msbs: dst=0 src0=0 src1=0 src2=0
	s_delay_alu instid0(VALU_DEP_2) | instskip(SKIP_2) | instid1(VALU_DEP_1)
	v_pk_add_f32 v[52:53], v[52:53], v[8:9]
	s_set_vgpr_msb 1                        ;  msbs: dst=0 src0=1 src1=0 src2=0
	v_mul_i32_i24_e32 v8, v29 /*v285*/, v213
	v_mad_i32_i24 v8, v30 /*v286*/, v214, v8
	s_set_vgpr_msb 0                        ;  msbs: dst=0 src0=0 src1=0 src2=0
	s_delay_alu instid0(VALU_DEP_1) | instskip(SKIP_1) | instid1(VALU_DEP_2)
	v_dot4_i32_iu8 v4, v4, v215, v8 neg_lo:[1,1,0]
	v_perm_b32 v8, v146, v19, 0x4030201
	v_dot4_i32_iu8 v4, v5, v216, v4 neg_lo:[1,1,0]
	v_perm_b32 v5, v7, v6, 0x5040302
	s_set_vgpr_msb 1                        ;  msbs: dst=0 src0=1 src1=0 src2=0
	v_perm_b32 v6, v16 /*v272*/, v133, 0x4030201
	s_set_vgpr_msb 0                        ;  msbs: dst=0 src0=0 src1=0 src2=0
	s_delay_alu instid0(VALU_DEP_2) | instskip(SKIP_1) | instid1(VALU_DEP_1)
	v_dot4_i32_iu8 v4, v5, v217, v4 neg_lo:[1,1,0]
	v_perm_b32 v5, v12, v7, 0x5040302
	v_dot4_i32_iu8 v4, v5, v218, v4 neg_lo:[1,1,0]
	v_perm_b32 v5, v13, v12, 0x5040302
	s_delay_alu instid0(VALU_DEP_1) | instskip(SKIP_2) | instid1(VALU_DEP_2)
	v_dot4_i32_iu8 v4, v5, v219, v4 neg_lo:[1,1,0]
	s_set_vgpr_msb 1                        ;  msbs: dst=0 src0=1 src1=0 src2=0
	v_mul_i32_i24_e32 v5, v32 /*v288*/, v222
	v_dot4_i32_iu8 v4, v38 /*v294*/, v221, v4 neg_lo:[1,1,0]
	s_delay_alu instid0(VALU_DEP_2) | instskip(NEXT) | instid1(VALU_DEP_2)
	v_dot4_i32_iu8 v5, v40 /*v296*/, v244, v5 neg_lo:[1,1,0]
	v_dot4_i32_iu8 v4, v22 /*v278*/, v249, v4 neg_lo:[1,1,0]
	s_delay_alu instid0(VALU_DEP_2) | instskip(SKIP_1) | instid1(VALU_DEP_2)
	v_dot4_i32_iu8 v5, v41 /*v297*/, v245, v5 neg_lo:[1,1,0]
	s_set_vgpr_msb 4                        ;  msbs: dst=0 src0=0 src1=1 src2=0
	v_dot4_i32_iu8 v4, v250, v39 /*v295*/, v4 neg_lo:[1,1,0]
	s_set_vgpr_msb 0                        ;  msbs: dst=0 src0=0 src1=0 src2=0
	s_delay_alu instid0(VALU_DEP_2) | instskip(NEXT) | instid1(VALU_DEP_2)
	v_dot4_i32_iu8 v5, v18, v246, v5 neg_lo:[1,1,0]
	v_mul_lo_u32 v4, v4, v212
	s_delay_alu instid0(VALU_DEP_2) | instskip(SKIP_1) | instid1(VALU_DEP_1)
	v_dot4_i32_iu8 v5, v8, v6, v5 neg_lo:[1,1,0]
	s_set_vgpr_msb 4                        ;  msbs: dst=0 src0=0 src1=1 src2=0
	v_dot4_i32_iu8 v5, v247, v43 /*v299*/, v5 neg_lo:[1,1,0]
	s_delay_alu instid0(VALU_DEP_1) | instskip(SKIP_3) | instid1(VALU_DEP_2)
	v_dot4_i32_iu8 v6, v248, v17 /*v273*/, v5 neg_lo:[1,1,0]
	s_set_vgpr_msb 17                       ;  msbs: dst=0 src0=1 src1=0 src2=1
	v_dot4_i32_iu8 v5, v45 /*v301*/, v249, v27 /*v283*/ neg_lo:[1,1,0]
	s_set_vgpr_msb 0                        ;  msbs: dst=0 src0=0 src1=0 src2=0
	v_dot4_i32_iu8 v3, v10, v3, v6 neg_lo:[1,1,0]
	s_set_vgpr_msb 4                        ;  msbs: dst=0 src0=0 src1=1 src2=0
	s_delay_alu instid0(VALU_DEP_2) | instskip(NEXT) | instid1(VALU_DEP_2)
	v_dot4_i32_iu8 v5, v250, v46 /*v302*/, v5 neg_lo:[1,1,0]
	v_dot4_i32_iu8 v3, v147, v24 /*v280*/, v3 neg_lo:[1,1,0]
	s_set_vgpr_msb 0                        ;  msbs: dst=0 src0=0 src1=0 src2=0
	s_delay_alu instid0(VALU_DEP_2) | instskip(SKIP_1) | instid1(VALU_DEP_3)
	v_mul_lo_u32 v8, v5, v212
	v_cvt_f32_i32_e32 v5, v4
	v_mul_lo_u32 v3, v3, v209
	s_delay_alu instid0(VALU_DEP_3) | instskip(SKIP_1) | instid1(VALU_DEP_3)
	v_cvt_f32_i32_e32 v4, v8
	v_pk_fma_f32 v[8:9], v[138:139], v[20:21], 0 op_sel_hi:[0,1,0]
	v_cvt_f32_i32_e32 v3, v3
	s_delay_alu instid0(VALU_DEP_3) | instskip(SKIP_1) | instid1(VALU_DEP_1)
	v_pk_fma_f32 v[4:5], v[16:17], v[4:5], 0 op_sel_hi:[1,1,0]
	s_set_vgpr_msb 1                        ;  msbs: dst=0 src0=1 src1=0 src2=0
	v_pk_fma_f32 v[2:3], v[20:21] /*v[276:277]*/, v[2:3], v[4:5]
	s_set_vgpr_msb 0                        ;  msbs: dst=0 src0=0 src1=0 src2=0
	v_pk_fma_f32 v[4:5], v[142:143], v[0:1], v[8:9] op_sel_hi:[0,1,1]
	s_delay_alu instid0(VALU_DEP_1) | instskip(NEXT) | instid1(VALU_DEP_1)
	v_pk_mul_f32 v[4:5], v[4:5], v[116:117]
	v_pk_fma_f32 v[2:3], v[2:3], v[26:27], v[4:5] neg_lo:[0,0,1] neg_hi:[0,0,1]
	v_perm_b32 v4, v206, v7, 0x6050403
	s_set_vgpr_msb 17                       ;  msbs: dst=0 src0=1 src1=0 src2=1
	v_dot4_i32_iu8 v7, v25 /*v281*/, v132, v23 /*v279*/ neg_lo:[1,1,0]
	s_set_vgpr_msb 0                        ;  msbs: dst=0 src0=0 src1=0 src2=0
	v_pk_add_f32 v[50:51], v[50:51], v[2:3]
	s_set_vgpr_msb 1                        ;  msbs: dst=0 src0=1 src1=0 src2=0
	v_mul_i32_i24_e32 v2, v29 /*v285*/, v207
	s_set_vgpr_msb 0                        ;  msbs: dst=0 src0=0 src1=0 src2=0
	v_perm_b32 v3, v12, v141, 0x6050403
	s_set_vgpr_msb 4                        ;  msbs: dst=0 src0=0 src1=1 src2=0
	v_dot4_i32_iu8 v7, v134, v44 /*v300*/, v7 neg_lo:[1,1,0]
	s_set_vgpr_msb 1                        ;  msbs: dst=0 src0=1 src1=0 src2=0
	v_dot4_i32_iu8 v2, v33 /*v289*/, v223, v2 neg_lo:[1,1,0]
	s_set_vgpr_msb 0                        ;  msbs: dst=0 src0=0 src1=0 src2=0
	s_delay_alu instid0(VALU_DEP_2) | instskip(SKIP_1) | instid1(VALU_DEP_2)
	v_mul_lo_u32 v8, v7, v145
	s_set_vgpr_msb 1                        ;  msbs: dst=0 src0=1 src1=0 src2=0
	v_dot4_i32_iu8 v2, v34 /*v290*/, v224, v2 neg_lo:[1,1,0]
	s_delay_alu instid0(VALU_DEP_1) | instskip(NEXT) | instid1(VALU_DEP_1)
	v_dot4_i32_iu8 v2, v35 /*v291*/, v225, v2 neg_lo:[1,1,0]
	v_dot4_i32_iu8 v2, v36 /*v292*/, v140, v2 neg_lo:[1,1,0]
	s_set_vgpr_msb 0                        ;  msbs: dst=0 src0=0 src1=0 src2=0
	s_delay_alu instid0(VALU_DEP_1) | instskip(SKIP_3) | instid1(VALU_DEP_2)
	v_dot4_i32_iu8 v2, v4, v3, v2 neg_lo:[1,1,0]
	s_set_vgpr_msb 1                        ;  msbs: dst=0 src0=1 src1=0 src2=0
	v_mul_i32_i24_e32 v3, v32 /*v288*/, v211
	s_set_vgpr_msb 4                        ;  msbs: dst=0 src0=0 src1=1 src2=0
	v_mad_i32_i24 v2, v208, v31 /*v287*/, v2
	s_set_vgpr_msb 1                        ;  msbs: dst=0 src0=1 src1=0 src2=0
	s_delay_alu instid0(VALU_DEP_2) | instskip(SKIP_1) | instid1(VALU_DEP_2)
	v_dot4_i32_iu8 v3, v40 /*v296*/, v228, v3 neg_lo:[1,1,0]
	s_set_vgpr_msb 4                        ;  msbs: dst=0 src0=0 src1=1 src2=0
	v_dot4_i32_iu8 v2, v226, v37 /*v293*/, v2 neg_lo:[1,1,0]
	s_set_vgpr_msb 1                        ;  msbs: dst=0 src0=1 src1=0 src2=0
	s_delay_alu instid0(VALU_DEP_2) | instskip(SKIP_1) | instid1(VALU_DEP_2)
	v_dot4_i32_iu8 v3, v41 /*v297*/, v229, v3 neg_lo:[1,1,0]
	s_set_vgpr_msb 4                        ;  msbs: dst=0 src0=0 src1=1 src2=0
	v_dot4_i32_iu8 v2, v227, v38 /*v294*/, v2 neg_lo:[1,1,0]
	s_set_vgpr_msb 0                        ;  msbs: dst=0 src0=0 src1=0 src2=0
	s_delay_alu instid0(VALU_DEP_2) | instskip(SKIP_1) | instid1(VALU_DEP_2)
	v_dot4_i32_iu8 v3, v18, v230, v3 neg_lo:[1,1,0]
	s_set_vgpr_msb 1                        ;  msbs: dst=0 src0=1 src1=0 src2=0
	v_dot4_i32_iu8 v2, v22 /*v278*/, v234, v2 neg_lo:[1,1,0]
	s_set_vgpr_msb 4                        ;  msbs: dst=0 src0=0 src1=1 src2=0
	s_delay_alu instid0(VALU_DEP_2) | instskip(NEXT) | instid1(VALU_DEP_2)
	v_dot4_i32_iu8 v3, v231, v42 /*v298*/, v3 neg_lo:[1,1,0]
	v_dot4_i32_iu8 v2, v235, v39 /*v295*/, v2 neg_lo:[1,1,0]
	s_delay_alu instid0(VALU_DEP_2) | instskip(SKIP_1) | instid1(VALU_DEP_2)
	v_dot4_i32_iu8 v3, v232, v43 /*v299*/, v3 neg_lo:[1,1,0]
	s_set_vgpr_msb 0                        ;  msbs: dst=0 src0=0 src1=0 src2=0
	v_mul_lo_u32 v2, v2, v210
	s_set_vgpr_msb 4                        ;  msbs: dst=0 src0=0 src1=1 src2=0
	s_delay_alu instid0(VALU_DEP_2) | instskip(SKIP_3) | instid1(VALU_DEP_2)
	v_dot4_i32_iu8 v6, v233, v17 /*v273*/, v3 neg_lo:[1,1,0]
	s_set_vgpr_msb 17                       ;  msbs: dst=0 src0=1 src1=0 src2=1
	v_dot4_i32_iu8 v3, v45 /*v301*/, v234, v15 /*v271*/ neg_lo:[1,1,0]
	s_set_vgpr_msb 1                        ;  msbs: dst=0 src0=1 src1=0 src2=0
	v_dot4_i32_iu8 v6, v26 /*v282*/, v132, v6 neg_lo:[1,1,0]
	s_set_vgpr_msb 4                        ;  msbs: dst=0 src0=0 src1=1 src2=0
	s_delay_alu instid0(VALU_DEP_2) | instskip(NEXT) | instid1(VALU_DEP_2)
	v_dot4_i32_iu8 v3, v235, v46 /*v302*/, v3 neg_lo:[1,1,0]
	v_dot4_i32_iu8 v6, v134, v24 /*v280*/, v6 neg_lo:[1,1,0]
	s_set_vgpr_msb 0                        ;  msbs: dst=0 src0=0 src1=0 src2=0
	s_delay_alu instid0(VALU_DEP_2) | instskip(SKIP_1) | instid1(VALU_DEP_3)
	v_mul_lo_u32 v4, v3, v210
	v_cvt_f32_i32_e32 v3, v2
	v_mul_lo_u32 v6, v6, v145
	s_delay_alu instid0(VALU_DEP_3) | instskip(SKIP_1) | instid1(VALU_DEP_3)
	v_cvt_f32_i32_e32 v2, v4
	v_pk_fma_f32 v[4:5], v[130:131], v[20:21], 0 op_sel_hi:[0,1,0]
	v_cvt_f32_i32_e32 v7, v6
	s_delay_alu instid0(VALU_DEP_3) | instskip(SKIP_1) | instid1(VALU_DEP_4)
	v_pk_fma_f32 v[2:3], v[16:17], v[2:3], 0 op_sel_hi:[1,1,0]
	v_cvt_f32_i32_e32 v6, v8
	v_pk_fma_f32 v[0:1], v[120:121], v[0:1], v[4:5] op_sel_hi:[0,1,1]
	s_set_vgpr_msb 1                        ;  msbs: dst=0 src0=1 src1=0 src2=0
	s_delay_alu instid0(VALU_DEP_2) | instskip(SKIP_1) | instid1(VALU_DEP_2)
	v_pk_fma_f32 v[2:3], v[20:21] /*v[276:277]*/, v[6:7], v[2:3]
	s_set_vgpr_msb 0                        ;  msbs: dst=0 src0=0 src1=0 src2=0
	v_pk_mul_f32 v[0:1], v[0:1], v[118:119]
	s_delay_alu instid0(VALU_DEP_1) | instskip(NEXT) | instid1(VALU_DEP_1)
	v_pk_fma_f32 v[0:1], v[2:3], v[110:111], v[0:1] neg_lo:[0,0,1] neg_hi:[0,0,1]
	v_pk_add_f32 v[48:49], v[48:49], v[0:1]
	v_or_b32_e32 v0, s5, v185
	s_delay_alu instid0(VALU_DEP_1)
	v_dual_lshlrev_b32 v1, 2, v0 :: v_dual_lshrrev_b32 v20, 1, v0
	ds_load_b128 v[4:7], v1 offset:33280
	ds_load_b128 v[8:11], v1 offset:33296
	;; [unrolled: 1-line block ×4, first 2 shown]
	s_wait_dscnt 0x3
	v_bfe_i32 v16, v4, 0, 8
	s_set_vgpr_msb 64                       ;  msbs: dst=1 src0=0 src1=0 src2=0
	v_perm_b32 v15 /*v271*/, v4, v4, 0xc0c0201
	v_perm_b32 v16 /*v272*/, v5, v4, 0x6050403
	;; [unrolled: 1-line block ×4, first 2 shown]
	s_set_vgpr_msb 0                        ;  msbs: dst=0 src0=0 src1=0 src2=0
	v_mul_i32_i24_e32 v21, v16, v150
	s_wait_dscnt 0x2
	s_set_vgpr_msb 64                       ;  msbs: dst=1 src0=0 src1=0 src2=0
	v_perm_b32 v19 /*v275*/, v8, v121, 0x6050403
	v_perm_b32 v20 /*v276*/, v148, v7, 0x6050403
	s_set_vgpr_msb 0                        ;  msbs: dst=0 src0=0 src1=0 src2=0
	v_ashrrev_i32_e32 v18, 24, v8
	s_wait_dscnt 0x1
	v_bfe_i32 v19, v12, 0, 8
	s_set_vgpr_msb 5                        ;  msbs: dst=0 src0=1 src1=1 src2=0
	v_dot4_i32_iu8 v21, v15 /*v271*/, v9 /*v265*/, v21 neg_lo:[1,1,0]
	s_set_vgpr_msb 0                        ;  msbs: dst=0 src0=0 src1=0 src2=0
	v_perm_b32 v12, v13, v12, 0x4030201
	v_perm_b32 v13, v14, v13, 0x4030201
	;; [unrolled: 1-line block ×3, first 2 shown]
	s_wait_dscnt 0x0
	s_set_vgpr_msb 64                       ;  msbs: dst=1 src0=0 src1=0 src2=0
	v_perm_b32 v21 /*v277*/, v0, v15, 0x4030201
	s_set_vgpr_msb 5                        ;  msbs: dst=0 src0=1 src1=1 src2=0
	v_dot4_i32_iu8 v21, v16 /*v272*/, v10 /*v266*/, v21 neg_lo:[1,1,0]
	s_set_vgpr_msb 64                       ;  msbs: dst=1 src0=0 src1=0 src2=0
	v_perm_b32 v23 /*v279*/, v1, v0, 0x4030201
	s_set_vgpr_msb 0                        ;  msbs: dst=0 src0=0 src1=0 src2=0
	v_perm_b32 v1, v2, v1, 0x4030201
	s_set_vgpr_msb 64                       ;  msbs: dst=1 src0=0 src1=0 src2=0
	v_perm_b32 v25 /*v281*/, v8, v135, 0x6050403
	v_perm_b32 v26 /*v282*/, v155, v7, 0x6050403
	s_set_vgpr_msb 5                        ;  msbs: dst=0 src0=1 src1=1 src2=0
	v_dot4_i32_iu8 v21, v17 /*v273*/, v11 /*v267*/, v21 neg_lo:[1,1,0]
	s_set_vgpr_msb 0                        ;  msbs: dst=0 src0=0 src1=0 src2=0
	v_bfe_i32 v17, v4, 8, 8
	v_perm_b32 v4, v5, v4, 0x5040302
	v_perm_b32 v5, v6, v5, 0x5040302
	;; [unrolled: 1-line block ×3, first 2 shown]
	s_set_vgpr_msb 5                        ;  msbs: dst=0 src0=1 src1=1 src2=0
	v_dot4_i32_iu8 v21, v18 /*v274*/, v12 /*v268*/, v21 neg_lo:[1,1,0]
	s_set_vgpr_msb 64                       ;  msbs: dst=1 src0=0 src1=0 src2=0
	v_perm_b32 v45 /*v301*/, v11, v10, 0x5040302
	v_perm_b32 v46 /*v302*/, v11, v11, 0xc0c0302
	s_set_vgpr_msb 5                        ;  msbs: dst=0 src0=1 src1=1 src2=0
	v_dot4_i32_iu8 v21, v20 /*v276*/, v19 /*v275*/, v21 neg_lo:[1,1,0]
	s_set_vgpr_msb 64                       ;  msbs: dst=1 src0=0 src1=0 src2=0
	v_perm_b32 v19 /*v275*/, v9, v9, 0xc0c0100
	v_perm_b32 v20 /*v276*/, v10, v9, 0x5040302
	s_set_vgpr_msb 0                        ;  msbs: dst=0 src0=0 src1=0 src2=0
	v_mad_i32_i24 v21, v149, v18, v21
	s_set_vgpr_msb 5                        ;  msbs: dst=0 src0=1 src1=1 src2=0
	s_delay_alu instid0(VALU_DEP_1) | instskip(SKIP_1) | instid1(VALU_DEP_1)
	v_dot4_i32_iu8 v21, v13 /*v269*/, v19 /*v275*/, v21 neg_lo:[1,1,0]
	s_set_vgpr_msb 0x45                     ;  msbs: dst=1 src0=1 src1=1 src2=0
	v_dot4_i32_iu8 v22 /*v278*/, v14 /*v270*/, v20 /*v276*/, v21 neg_lo:[1,1,0]
	s_set_vgpr_msb 0                        ;  msbs: dst=0 src0=0 src1=0 src2=0
	v_mul_i32_i24_e32 v21, v151, v19
	s_delay_alu instid0(VALU_DEP_1) | instskip(NEXT) | instid1(VALU_DEP_1)
	v_dot4_i32_iu8 v21, v152, v12, v21 neg_lo:[1,1,0]
	v_dot4_i32_iu8 v21, v153, v13, v21 neg_lo:[1,1,0]
	s_set_vgpr_msb 1                        ;  msbs: dst=0 src0=1 src1=0 src2=0
	s_delay_alu instid0(VALU_DEP_1) | instskip(SKIP_1) | instid1(VALU_DEP_1)
	v_dot4_i32_iu8 v21, v5 /*v261*/, v14, v21 neg_lo:[1,1,0]
	s_set_vgpr_msb 5                        ;  msbs: dst=0 src0=1 src1=1 src2=0
	v_dot4_i32_iu8 v21, v6 /*v262*/, v21 /*v277*/, v21 neg_lo:[1,1,0]
	s_delay_alu instid0(VALU_DEP_1) | instskip(SKIP_1) | instid1(VALU_DEP_1)
	v_dot4_i32_iu8 v21, v7 /*v263*/, v23 /*v279*/, v21 neg_lo:[1,1,0]
	s_set_vgpr_msb 0x41                     ;  msbs: dst=1 src0=1 src1=0 src2=0
	v_dot4_i32_iu8 v24 /*v280*/, v8 /*v264*/, v1, v21 neg_lo:[1,1,0]
	s_set_vgpr_msb 0                        ;  msbs: dst=0 src0=0 src1=0 src2=0
	v_mul_i32_i24_e32 v21, v16, v156
	s_set_vgpr_msb 1                        ;  msbs: dst=0 src0=1 src1=0 src2=0
	s_delay_alu instid0(VALU_DEP_1) | instskip(NEXT) | instid1(VALU_DEP_1)
	v_dot4_i32_iu8 v21, v15 /*v271*/, v253, v21 neg_lo:[1,1,0]
	v_dot4_i32_iu8 v21, v16 /*v272*/, v254, v21 neg_lo:[1,1,0]
	s_delay_alu instid0(VALU_DEP_1) | instskip(SKIP_1) | instid1(VALU_DEP_1)
	v_dot4_i32_iu8 v21, v17 /*v273*/, v255, v21 neg_lo:[1,1,0]
	s_set_vgpr_msb 5                        ;  msbs: dst=0 src0=1 src1=1 src2=0
	v_dot4_i32_iu8 v21, v18 /*v274*/, v0 /*v256*/, v21 neg_lo:[1,1,0]
	s_delay_alu instid0(VALU_DEP_1) | instskip(SKIP_1) | instid1(VALU_DEP_1)
	v_dot4_i32_iu8 v21, v26 /*v282*/, v25 /*v281*/, v21 neg_lo:[1,1,0]
	s_set_vgpr_msb 0                        ;  msbs: dst=0 src0=0 src1=0 src2=0
	v_mad_i32_i24 v21, v157, v18, v21
	s_set_vgpr_msb 5                        ;  msbs: dst=0 src0=1 src1=1 src2=0
	s_delay_alu instid0(VALU_DEP_1) | instskip(SKIP_1) | instid1(VALU_DEP_1)
	v_dot4_i32_iu8 v21, v1 /*v257*/, v19 /*v275*/, v21 neg_lo:[1,1,0]
	s_set_vgpr_msb 0x45                     ;  msbs: dst=1 src0=1 src1=1 src2=0
	v_dot4_i32_iu8 v25 /*v281*/, v2 /*v258*/, v20 /*v276*/, v21 neg_lo:[1,1,0]
	s_set_vgpr_msb 0                        ;  msbs: dst=0 src0=0 src1=0 src2=0
	v_mul_i32_i24_e32 v21, v19, v204
	s_delay_alu instid0(VALU_DEP_1) | instskip(NEXT) | instid1(VALU_DEP_1)
	v_dot4_i32_iu8 v21, v12, v205, v21 neg_lo:[1,1,0]
	v_dot4_i32_iu8 v21, v13, v236, v21 neg_lo:[1,1,0]
	s_delay_alu instid0(VALU_DEP_1) | instskip(SKIP_1) | instid1(VALU_DEP_1)
	v_dot4_i32_iu8 v21, v14, v237, v21 neg_lo:[1,1,0]
	s_set_vgpr_msb 1                        ;  msbs: dst=0 src0=1 src1=0 src2=0
	v_dot4_i32_iu8 v21, v21 /*v277*/, v238, v21 neg_lo:[1,1,0]
	s_delay_alu instid0(VALU_DEP_1) | instskip(SKIP_1) | instid1(VALU_DEP_1)
	v_dot4_i32_iu8 v21, v23 /*v279*/, v239, v21 neg_lo:[1,1,0]
	s_set_vgpr_msb 64                       ;  msbs: dst=1 src0=0 src1=0 src2=0
	v_dot4_i32_iu8 v26 /*v282*/, v1, v240, v21 neg_lo:[1,1,0]
	s_set_vgpr_msb 0                        ;  msbs: dst=0 src0=0 src1=0 src2=0
	v_mul_i32_i24_e32 v21, v16, v213
	s_delay_alu instid0(VALU_DEP_1) | instskip(NEXT) | instid1(VALU_DEP_1)
	v_mad_i32_i24 v17, v17, v214, v21
	v_dot4_i32_iu8 v4, v4, v215, v17 neg_lo:[1,1,0]
	s_delay_alu instid0(VALU_DEP_1) | instskip(SKIP_1) | instid1(VALU_DEP_1)
	v_dot4_i32_iu8 v4, v5, v216, v4 neg_lo:[1,1,0]
	v_perm_b32 v5, v7, v6, 0x5040302
	v_dot4_i32_iu8 v4, v5, v217, v4 neg_lo:[1,1,0]
	v_perm_b32 v5, v8, v7, 0x5040302
	s_delay_alu instid0(VALU_DEP_1) | instskip(SKIP_1) | instid1(VALU_DEP_1)
	v_dot4_i32_iu8 v4, v5, v218, v4 neg_lo:[1,1,0]
	v_perm_b32 v5, v9, v8, 0x5040302
	v_dot4_i32_iu8 v4, v5, v219, v4 neg_lo:[1,1,0]
	v_perm_b32 v5, v146, v15, 0x4030201
	s_set_vgpr_msb 0x41                     ;  msbs: dst=1 src0=1 src1=0 src2=0
	s_delay_alu instid0(VALU_DEP_2) | instskip(SKIP_2) | instid1(VALU_DEP_1)
	v_dot4_i32_iu8 v27 /*v283*/, v20 /*v276*/, v221, v4 neg_lo:[1,1,0]
	s_set_vgpr_msb 0                        ;  msbs: dst=0 src0=0 src1=0 src2=0
	v_mul_i32_i24_e32 v4, v19, v222
	v_dot4_i32_iu8 v4, v12, v244, v4 neg_lo:[1,1,0]
	s_delay_alu instid0(VALU_DEP_1) | instskip(NEXT) | instid1(VALU_DEP_1)
	v_dot4_i32_iu8 v4, v13, v245, v4 neg_lo:[1,1,0]
	v_dot4_i32_iu8 v4, v14, v246, v4 neg_lo:[1,1,0]
	s_delay_alu instid0(VALU_DEP_1) | instskip(SKIP_3) | instid1(VALU_DEP_3)
	v_dot4_i32_iu8 v0, v5, v0, v4 neg_lo:[1,1,0]
	v_perm_b32 v4, v8, v141, 0x6050403
	v_perm_b32 v5, v206, v7, 0x6050403
	s_set_vgpr_msb 4                        ;  msbs: dst=0 src0=0 src1=1 src2=0
	v_dot4_i32_iu8 v0, v247, v23 /*v279*/, v0 neg_lo:[1,1,0]
	s_set_vgpr_msb 64                       ;  msbs: dst=1 src0=0 src1=0 src2=0
	s_delay_alu instid0(VALU_DEP_1) | instskip(SKIP_3) | instid1(VALU_DEP_1)
	v_dot4_i32_iu8 v28 /*v284*/, v248, v1, v0 neg_lo:[1,1,0]
	s_set_vgpr_msb 0                        ;  msbs: dst=0 src0=0 src1=0 src2=0
	v_mul_i32_i24_e32 v0, v16, v207
	s_set_vgpr_msb 1                        ;  msbs: dst=0 src0=1 src1=0 src2=0
	v_dot4_i32_iu8 v0, v15 /*v271*/, v223, v0 neg_lo:[1,1,0]
	s_delay_alu instid0(VALU_DEP_1) | instskip(NEXT) | instid1(VALU_DEP_1)
	v_dot4_i32_iu8 v0, v16 /*v272*/, v224, v0 neg_lo:[1,1,0]
	v_dot4_i32_iu8 v0, v17 /*v273*/, v225, v0 neg_lo:[1,1,0]
	s_delay_alu instid0(VALU_DEP_1) | instskip(SKIP_1) | instid1(VALU_DEP_1)
	v_dot4_i32_iu8 v0, v18 /*v274*/, v140, v0 neg_lo:[1,1,0]
	s_set_vgpr_msb 0                        ;  msbs: dst=0 src0=0 src1=0 src2=0
	v_dot4_i32_iu8 v0, v5, v4, v0 neg_lo:[1,1,0]
	s_delay_alu instid0(VALU_DEP_1) | instskip(SKIP_1) | instid1(VALU_DEP_1)
	v_mad_i32_i24 v0, v208, v18, v0
	s_set_vgpr_msb 4                        ;  msbs: dst=0 src0=0 src1=1 src2=0
	v_dot4_i32_iu8 v0, v226, v19 /*v275*/, v0 neg_lo:[1,1,0]
	s_set_vgpr_msb 0x44                     ;  msbs: dst=1 src0=0 src1=1 src2=0
	s_delay_alu instid0(VALU_DEP_1) | instskip(SKIP_2) | instid1(VALU_DEP_1)
	v_dot4_i32_iu8 v15 /*v271*/, v227, v20 /*v276*/, v0 neg_lo:[1,1,0]
	s_set_vgpr_msb 0                        ;  msbs: dst=0 src0=0 src1=0 src2=0
	v_mul_i32_i24_e32 v0, v19, v211
	v_dot4_i32_iu8 v0, v12, v228, v0 neg_lo:[1,1,0]
	s_delay_alu instid0(VALU_DEP_1) | instskip(NEXT) | instid1(VALU_DEP_1)
	v_dot4_i32_iu8 v0, v13, v229, v0 neg_lo:[1,1,0]
	v_dot4_i32_iu8 v0, v14, v230, v0 neg_lo:[1,1,0]
	s_set_vgpr_msb 4                        ;  msbs: dst=0 src0=0 src1=1 src2=0
	s_delay_alu instid0(VALU_DEP_1) | instskip(NEXT) | instid1(VALU_DEP_1)
	v_dot4_i32_iu8 v0, v231, v21 /*v277*/, v0 neg_lo:[1,1,0]
	v_dot4_i32_iu8 v0, v232, v23 /*v279*/, v0 neg_lo:[1,1,0]
	s_set_vgpr_msb 64                       ;  msbs: dst=1 src0=0 src1=0 src2=0
	s_delay_alu instid0(VALU_DEP_1) | instskip(SKIP_2) | instid1(VALU_DEP_1)
	v_dot4_i32_iu8 v23 /*v279*/, v233, v1, v0 neg_lo:[1,1,0]
	s_set_vgpr_msb 0                        ;  msbs: dst=0 src0=0 src1=0 src2=0
	v_or_b32_e32 v0, s5, v186
	v_dual_lshlrev_b32 v1, 2, v0 :: v_dual_lshrrev_b32 v8, 1, v0
	ds_load_b128 v[4:7], v1 offset:33280
	ds_load_b128 v[12:15], v1 offset:33296
	;; [unrolled: 1-line block ×3, first 2 shown]
	s_set_vgpr_msb 64                       ;  msbs: dst=1 src0=0 src1=0 src2=0
	ds_load_b128 v[16:19] /*v[272:275]*/, v1 offset:33328
	s_wait_dscnt 0x3
	v_bfe_i32 v29 /*v285*/, v4, 0, 8
	v_perm_b32 v33 /*v289*/, v4, v4, 0xc0c0201
	v_perm_b32 v34 /*v290*/, v5, v4, 0x6050403
	;; [unrolled: 1-line block ×4, first 2 shown]
	s_set_vgpr_msb 1                        ;  msbs: dst=0 src0=1 src1=0 src2=0
	v_mul_i32_i24_e32 v0, v29 /*v285*/, v150
	s_wait_dscnt 0x2
	s_set_vgpr_msb 0                        ;  msbs: dst=0 src0=0 src1=0 src2=0
	v_perm_b32 v1, v12, v121, 0x6050403
	v_perm_b32 v9, v148, v7, 0x6050403
	s_set_vgpr_msb 64                       ;  msbs: dst=1 src0=0 src1=0 src2=0
	v_ashrrev_i32_e32 v31 /*v287*/, 24, v12
	v_perm_b32 v37 /*v293*/, v13, v13, 0xc0c0100
	s_set_vgpr_msb 5                        ;  msbs: dst=0 src0=1 src1=1 src2=0
	v_dot4_i32_iu8 v0, v33 /*v289*/, v9 /*v265*/, v0 neg_lo:[1,1,0]
	s_wait_dscnt 0x1
	s_set_vgpr_msb 64                       ;  msbs: dst=1 src0=0 src1=0 src2=0
	v_bfe_i32 v32 /*v288*/, v16, 0, 8
	v_perm_b32 v38 /*v294*/, v14, v13, 0x5040302
	v_perm_b32 v40 /*v296*/, v17, v16, 0x4030201
	;; [unrolled: 1-line block ×3, first 2 shown]
	s_set_vgpr_msb 5                        ;  msbs: dst=0 src0=1 src1=1 src2=0
	v_dot4_i32_iu8 v0, v34 /*v290*/, v10 /*v266*/, v0 neg_lo:[1,1,0]
	s_set_vgpr_msb 0                        ;  msbs: dst=0 src0=0 src1=0 src2=0
	v_perm_b32 v18, v19, v18, 0x4030201
	s_wait_dscnt 0x0
	s_set_vgpr_msb 0x41                     ;  msbs: dst=1 src0=1 src1=0 src2=0
	v_perm_b32 v42 /*v298*/, v16 /*v272*/, v19, 0x4030201
	s_set_vgpr_msb 0x45                     ;  msbs: dst=1 src0=1 src1=1 src2=0
	v_perm_b32 v43 /*v299*/, v17 /*v273*/, v16 /*v272*/, 0x4030201
	v_perm_b32 v17 /*v273*/, v18 /*v274*/, v17 /*v273*/, 0x4030201
	s_set_vgpr_msb 5                        ;  msbs: dst=0 src0=1 src1=1 src2=0
	v_dot4_i32_iu8 v0, v35 /*v291*/, v11 /*v267*/, v0 neg_lo:[1,1,0]
	s_set_vgpr_msb 64                       ;  msbs: dst=1 src0=0 src1=0 src2=0
	v_bfe_i32 v30 /*v286*/, v4, 8, 8
	s_set_vgpr_msb 0                        ;  msbs: dst=0 src0=0 src1=0 src2=0
	v_perm_b32 v4, v5, v4, 0x5040302
	v_perm_b32 v5, v6, v5, 0x5040302
	s_set_vgpr_msb 5                        ;  msbs: dst=0 src0=1 src1=1 src2=0
	v_dot4_i32_iu8 v0, v36 /*v292*/, v12 /*v268*/, v0 neg_lo:[1,1,0]
	s_set_vgpr_msb 0                        ;  msbs: dst=0 src0=0 src1=0 src2=0
	s_delay_alu instid0(VALU_DEP_1) | instskip(SKIP_1) | instid1(VALU_DEP_1)
	v_dot4_i32_iu8 v0, v9, v1, v0 neg_lo:[1,1,0]
	s_set_vgpr_msb 4                        ;  msbs: dst=0 src0=0 src1=1 src2=0
	v_mad_i32_i24 v0, v149, v31 /*v287*/, v0
	s_set_vgpr_msb 5                        ;  msbs: dst=0 src0=1 src1=1 src2=0
	s_delay_alu instid0(VALU_DEP_1) | instskip(SKIP_1) | instid1(VALU_DEP_1)
	v_dot4_i32_iu8 v0, v13 /*v269*/, v37 /*v293*/, v0 neg_lo:[1,1,0]
	s_set_vgpr_msb 0x45                     ;  msbs: dst=1 src0=1 src1=1 src2=0
	v_dot4_i32_iu8 v39 /*v295*/, v14 /*v270*/, v38 /*v294*/, v0 neg_lo:[1,1,0]
	s_set_vgpr_msb 4                        ;  msbs: dst=0 src0=0 src1=1 src2=0
	v_mul_i32_i24_e32 v0, v151, v32 /*v288*/
	s_delay_alu instid0(VALU_DEP_1) | instskip(NEXT) | instid1(VALU_DEP_1)
	v_dot4_i32_iu8 v0, v152, v40 /*v296*/, v0 neg_lo:[1,1,0]
	v_dot4_i32_iu8 v0, v153, v41 /*v297*/, v0 neg_lo:[1,1,0]
	s_set_vgpr_msb 1                        ;  msbs: dst=0 src0=1 src1=0 src2=0
	s_delay_alu instid0(VALU_DEP_1) | instskip(SKIP_1) | instid1(VALU_DEP_1)
	v_dot4_i32_iu8 v0, v5 /*v261*/, v18, v0 neg_lo:[1,1,0]
	s_set_vgpr_msb 5                        ;  msbs: dst=0 src0=1 src1=1 src2=0
	v_dot4_i32_iu8 v0, v6 /*v262*/, v42 /*v298*/, v0 neg_lo:[1,1,0]
	s_delay_alu instid0(VALU_DEP_1) | instskip(SKIP_1) | instid1(VALU_DEP_1)
	v_dot4_i32_iu8 v0, v7 /*v263*/, v43 /*v299*/, v0 neg_lo:[1,1,0]
	s_set_vgpr_msb 0x45                     ;  msbs: dst=1 src0=1 src1=1 src2=0
	v_dot4_i32_iu8 v44 /*v300*/, v8 /*v264*/, v17 /*v273*/, v0 neg_lo:[1,1,0]
	s_set_vgpr_msb 0                        ;  msbs: dst=0 src0=0 src1=0 src2=0
	ds_load_b64 v[0:1], v20 offset:43584
	ds_load_b64 v[8:9], v8 offset:43584
	s_wait_dscnt 0x1
	v_cvt_f32_f16_e32 v16, v0
	s_wait_dscnt 0x0
	v_cvt_f32_f16_e32 v17, v8
	v_lshrrev_b32_e32 v8, 16, v8
	v_lshrrev_b32_e32 v0, 16, v0
	s_set_vgpr_msb 64                       ;  msbs: dst=1 src0=0 src1=0 src2=0
	v_cvt_f32_f16_e64 v21 /*v277*/, v9
	v_cvt_f32_f16_e64 v20 /*v276*/, v1
	s_set_vgpr_msb 0                        ;  msbs: dst=0 src0=0 src1=0 src2=0
	v_cvt_f32_f16_e32 v21, v8
	s_set_vgpr_msb 17                       ;  msbs: dst=0 src0=1 src1=0 src2=1
	v_dot4_i32_iu8 v8, v45 /*v301*/, v252, v22 /*v278*/ neg_lo:[1,1,0]
	s_set_vgpr_msb 64                       ;  msbs: dst=1 src0=0 src1=0 src2=0
	v_perm_b32 v22 /*v278*/, v15, v14, 0x5040302
	s_set_vgpr_msb 0                        ;  msbs: dst=0 src0=0 src1=0 src2=0
	v_cvt_f32_f16_e32 v20, v0
	v_lshrrev_b32_e32 v0, 16, v1
	v_lshrrev_b32_e32 v1, 16, v9
	v_perm_b32 v14, v125, v2, 0x4030201
	s_set_vgpr_msb 17                       ;  msbs: dst=0 src0=1 src1=0 src2=1
	v_dot4_i32_iu8 v9, v22 /*v278*/, v252, v39 /*v295*/ neg_lo:[1,1,0]
	s_set_vgpr_msb 64                       ;  msbs: dst=1 src0=0 src1=0 src2=0
	v_perm_b32 v39 /*v295*/, v15, v15, 0xc0c0302
	s_set_vgpr_msb 0                        ;  msbs: dst=0 src0=0 src1=0 src2=0
	v_perm_b32 v15, v3, v124, 0x4030201
	s_set_vgpr_msb 4                        ;  msbs: dst=0 src0=0 src1=1 src2=0
	v_dot4_i32_iu8 v8, v251, v46 /*v302*/, v8 neg_lo:[1,1,0]
	v_cvt_f32_f16_e32 v1, v1
	v_cvt_f32_f16_e32 v0, v0
	v_dot4_i32_iu8 v9, v251, v39 /*v295*/, v9 neg_lo:[1,1,0]
	s_set_vgpr_msb 16                       ;  msbs: dst=0 src0=0 src1=0 src2=1
	v_dot4_i32_iu8 v14, v15, v14, v24 /*v280*/ neg_lo:[1,1,0]
	s_set_vgpr_msb 4                        ;  msbs: dst=0 src0=0 src1=1 src2=0
	v_perm_b32 v15, v125, v18 /*v274*/, 0x4030201
	s_set_vgpr_msb 0x41                     ;  msbs: dst=1 src0=1 src1=0 src2=0
	v_perm_b32 v24 /*v280*/, v19 /*v275*/, v124, 0x4030201
	s_set_vgpr_msb 0                        ;  msbs: dst=0 src0=0 src1=0 src2=0
	v_mul_lo_u32 v8, v8, v154
	v_mul_lo_u32 v9, v9, v154
	v_pk_fma_f32 v[10:11], v[126:127], v[20:21], 0 op_sel_hi:[0,1,0]
	s_set_vgpr_msb 17                       ;  msbs: dst=0 src0=1 src1=0 src2=1
	v_dot4_i32_iu8 v15, v24 /*v280*/, v15, v44 /*v300*/ neg_lo:[1,1,0]
	s_set_vgpr_msb 0x45                     ;  msbs: dst=1 src0=1 src1=1 src2=0
	v_perm_b32 v24 /*v280*/, v19 /*v275*/, v19 /*v275*/, 0xc070601
	s_set_vgpr_msb 64                       ;  msbs: dst=1 src0=0 src1=0 src2=0
	v_perm_b32 v44 /*v300*/, v3, v3, 0xc070601
	s_set_vgpr_msb 0                        ;  msbs: dst=0 src0=0 src1=0 src2=0
	v_pk_fma_f32 v[10:11], v[122:123], v[0:1], v[10:11] op_sel_hi:[0,1,1]
	s_set_vgpr_msb 4                        ;  msbs: dst=0 src0=0 src1=1 src2=0
	v_dot4_i32_iu8 v15, v243, v24 /*v280*/, v15 neg_lo:[1,1,0]
	v_dot4_i32_iu8 v14, v243, v44 /*v300*/, v14 neg_lo:[1,1,0]
	v_cvt_f32_i32_e32 v9, v9
	v_cvt_f32_i32_e32 v8, v8
	s_set_vgpr_msb 0                        ;  msbs: dst=0 src0=0 src1=0 src2=0
	v_pk_mul_f32 v[10:11], v[10:11], v[112:113]
	v_mul_lo_u32 v15, v15, v123
	v_mul_lo_u32 v14, v14, v123
	v_pk_fma_f32 v[8:9], v[16:17], v[8:9], 0 op_sel_hi:[1,1,0]
	s_delay_alu instid0(VALU_DEP_3) | instskip(NEXT) | instid1(VALU_DEP_3)
	v_cvt_f32_i32_e32 v15, v15
	v_cvt_f32_i32_e32 v14, v14
	s_set_vgpr_msb 1                        ;  msbs: dst=0 src0=1 src1=0 src2=0
	s_delay_alu instid0(VALU_DEP_1) | instskip(SKIP_1) | instid1(VALU_DEP_1)
	v_pk_fma_f32 v[8:9], v[20:21] /*v[276:277]*/, v[14:15], v[8:9]
	s_set_vgpr_msb 0                        ;  msbs: dst=0 src0=0 src1=0 src2=0
	v_pk_fma_f32 v[8:9], v[8:9], v[22:23], v[10:11] neg_lo:[0,0,1] neg_hi:[0,0,1]
	v_perm_b32 v10, v155, v7, 0x6050403
	s_delay_alu instid0(VALU_DEP_2)
	v_pk_add_f32 v[44:45], v[44:45], v[8:9]
	s_set_vgpr_msb 1                        ;  msbs: dst=0 src0=1 src1=0 src2=0
	v_mul_i32_i24_e32 v8, v29 /*v285*/, v156
	s_set_vgpr_msb 0                        ;  msbs: dst=0 src0=0 src1=0 src2=0
	v_perm_b32 v9, v12, v135, 0x6050403
	s_set_vgpr_msb 1                        ;  msbs: dst=0 src0=1 src1=0 src2=0
	s_delay_alu instid0(VALU_DEP_2) | instskip(NEXT) | instid1(VALU_DEP_1)
	v_dot4_i32_iu8 v8, v33 /*v289*/, v253, v8 neg_lo:[1,1,0]
	v_dot4_i32_iu8 v8, v34 /*v290*/, v254, v8 neg_lo:[1,1,0]
	s_delay_alu instid0(VALU_DEP_1) | instskip(SKIP_1) | instid1(VALU_DEP_1)
	v_dot4_i32_iu8 v8, v35 /*v291*/, v255, v8 neg_lo:[1,1,0]
	s_set_vgpr_msb 5                        ;  msbs: dst=0 src0=1 src1=1 src2=0
	v_dot4_i32_iu8 v8, v36 /*v292*/, v0 /*v256*/, v8 neg_lo:[1,1,0]
	s_set_vgpr_msb 0                        ;  msbs: dst=0 src0=0 src1=0 src2=0
	s_delay_alu instid0(VALU_DEP_1) | instskip(SKIP_3) | instid1(VALU_DEP_2)
	v_dot4_i32_iu8 v8, v10, v9, v8 neg_lo:[1,1,0]
	s_set_vgpr_msb 1                        ;  msbs: dst=0 src0=1 src1=0 src2=0
	v_mul_i32_i24_e32 v9, v32 /*v288*/, v204
	s_set_vgpr_msb 4                        ;  msbs: dst=0 src0=0 src1=1 src2=0
	v_mad_i32_i24 v8, v157, v31 /*v287*/, v8
	s_set_vgpr_msb 1                        ;  msbs: dst=0 src0=1 src1=0 src2=0
	s_delay_alu instid0(VALU_DEP_2) | instskip(SKIP_1) | instid1(VALU_DEP_2)
	v_dot4_i32_iu8 v9, v40 /*v296*/, v205, v9 neg_lo:[1,1,0]
	s_set_vgpr_msb 5                        ;  msbs: dst=0 src0=1 src1=1 src2=0
	v_dot4_i32_iu8 v8, v1 /*v257*/, v37 /*v293*/, v8 neg_lo:[1,1,0]
	s_set_vgpr_msb 1                        ;  msbs: dst=0 src0=1 src1=0 src2=0
	s_delay_alu instid0(VALU_DEP_2) | instskip(SKIP_1) | instid1(VALU_DEP_2)
	v_dot4_i32_iu8 v9, v41 /*v297*/, v236, v9 neg_lo:[1,1,0]
	s_set_vgpr_msb 5                        ;  msbs: dst=0 src0=1 src1=1 src2=0
	v_dot4_i32_iu8 v8, v2 /*v258*/, v38 /*v294*/, v8 neg_lo:[1,1,0]
	s_set_vgpr_msb 0                        ;  msbs: dst=0 src0=0 src1=0 src2=0
	s_delay_alu instid0(VALU_DEP_2) | instskip(SKIP_1) | instid1(VALU_DEP_2)
	v_dot4_i32_iu8 v9, v18, v237, v9 neg_lo:[1,1,0]
	s_set_vgpr_msb 5                        ;  msbs: dst=0 src0=1 src1=1 src2=0
	v_dot4_i32_iu8 v8, v22 /*v278*/, v3 /*v259*/, v8 neg_lo:[1,1,0]
	s_set_vgpr_msb 1                        ;  msbs: dst=0 src0=1 src1=0 src2=0
	s_delay_alu instid0(VALU_DEP_2) | instskip(SKIP_1) | instid1(VALU_DEP_2)
	v_dot4_i32_iu8 v9, v42 /*v298*/, v238, v9 neg_lo:[1,1,0]
	s_set_vgpr_msb 5                        ;  msbs: dst=0 src0=1 src1=1 src2=0
	v_dot4_i32_iu8 v8, v4 /*v260*/, v39 /*v295*/, v8 neg_lo:[1,1,0]
	s_set_vgpr_msb 1                        ;  msbs: dst=0 src0=1 src1=0 src2=0
	s_delay_alu instid0(VALU_DEP_2) | instskip(SKIP_1) | instid1(VALU_DEP_2)
	v_dot4_i32_iu8 v9, v43 /*v299*/, v239, v9 neg_lo:[1,1,0]
	s_set_vgpr_msb 0                        ;  msbs: dst=0 src0=0 src1=0 src2=0
	v_mul_lo_u32 v8, v8, v203
	s_set_vgpr_msb 1                        ;  msbs: dst=0 src0=1 src1=0 src2=0
	s_delay_alu instid0(VALU_DEP_2)
	v_dot4_i32_iu8 v14, v17 /*v273*/, v240, v9 neg_lo:[1,1,0]
	s_set_vgpr_msb 21                       ;  msbs: dst=0 src0=1 src1=1 src2=1
	v_dot4_i32_iu8 v9, v45 /*v301*/, v3 /*v259*/, v25 /*v281*/ neg_lo:[1,1,0]
	s_set_vgpr_msb 64                       ;  msbs: dst=1 src0=0 src1=0 src2=0
	v_perm_b32 v25 /*v281*/, v3, v2, 0x4030201
	s_set_vgpr_msb 0                        ;  msbs: dst=0 src0=0 src1=0 src2=0
	v_perm_b32 v2, v137, v2, 0x4030201
	v_perm_b32 v3, v3, v136, 0x4030201
	s_set_vgpr_msb 5                        ;  msbs: dst=0 src0=1 src1=1 src2=0
	v_dot4_i32_iu8 v9, v4 /*v260*/, v46 /*v302*/, v9 neg_lo:[1,1,0]
	s_set_vgpr_msb 17                       ;  msbs: dst=0 src0=1 src1=0 src2=1
	v_dot4_i32_iu8 v15, v25 /*v281*/, v241, v26 /*v282*/ neg_lo:[1,1,0]
	s_set_vgpr_msb 0x45                     ;  msbs: dst=1 src0=1 src1=1 src2=0
	v_perm_b32 v26 /*v282*/, v19 /*v275*/, v18 /*v274*/, 0x4030201
	s_set_vgpr_msb 16                       ;  msbs: dst=0 src0=0 src1=0 src2=1
	v_dot4_i32_iu8 v2, v3, v2, v28 /*v284*/ neg_lo:[1,1,0]
	s_set_vgpr_msb 4                        ;  msbs: dst=0 src0=0 src1=1 src2=0
	v_perm_b32 v3, v137, v18 /*v274*/, 0x4030201
	s_set_vgpr_msb 0                        ;  msbs: dst=0 src0=0 src1=0 src2=0
	v_mul_lo_u32 v10, v9, v203
	s_set_vgpr_msb 4                        ;  msbs: dst=0 src0=0 src1=1 src2=0
	v_dot4_i32_iu8 v15, v242, v44 /*v300*/, v15 neg_lo:[1,1,0]
	s_set_vgpr_msb 1                        ;  msbs: dst=0 src0=1 src1=0 src2=0
	v_dot4_i32_iu8 v14, v26 /*v282*/, v241, v14 neg_lo:[1,1,0]
	s_set_vgpr_msb 4                        ;  msbs: dst=0 src0=0 src1=1 src2=0
	v_cvt_f32_i32_e32 v9, v8
	v_dot4_i32_iu8 v2, v147, v44 /*v300*/, v2 neg_lo:[1,1,0]
	s_set_vgpr_msb 64                       ;  msbs: dst=1 src0=0 src1=0 src2=0
	v_mul_lo_u32 v47 /*v303*/, v15, v220
	s_set_vgpr_msb 4                        ;  msbs: dst=0 src0=0 src1=1 src2=0
	v_dot4_i32_iu8 v14, v242, v24 /*v280*/, v14 neg_lo:[1,1,0]
	s_set_vgpr_msb 0                        ;  msbs: dst=0 src0=0 src1=0 src2=0
	v_mul_lo_u32 v2, v2, v209
	v_cvt_f32_i32_e32 v8, v10
	s_delay_alu instid0(VALU_DEP_3) | instskip(SKIP_1) | instid1(VALU_DEP_3)
	v_mul_lo_u32 v14, v14, v220
	v_pk_fma_f32 v[10:11], v[128:129], v[20:21], 0 op_sel_hi:[0,1,0]
	v_pk_fma_f32 v[8:9], v[16:17], v[8:9], 0 op_sel_hi:[1,1,0]
	s_delay_alu instid0(VALU_DEP_2)
	v_pk_fma_f32 v[10:11], v[144:145], v[0:1], v[10:11] op_sel_hi:[0,1,1]
	v_cvt_f32_i32_e32 v2, v2
	v_cvt_f32_i32_e32 v15, v14
	s_set_vgpr_msb 1                        ;  msbs: dst=0 src0=1 src1=0 src2=0
	v_cvt_f32_i32_e32 v14, v47 /*v303*/
	s_set_vgpr_msb 0                        ;  msbs: dst=0 src0=0 src1=0 src2=0
	v_pk_mul_f32 v[10:11], v[10:11], v[114:115]
	s_set_vgpr_msb 1                        ;  msbs: dst=0 src0=1 src1=0 src2=0
	s_delay_alu instid0(VALU_DEP_2) | instskip(SKIP_1) | instid1(VALU_DEP_1)
	v_pk_fma_f32 v[8:9], v[20:21] /*v[276:277]*/, v[14:15], v[8:9]
	s_set_vgpr_msb 0                        ;  msbs: dst=0 src0=0 src1=0 src2=0
	v_pk_fma_f32 v[8:9], v[8:9], v[24:25], v[10:11] neg_lo:[0,0,1] neg_hi:[0,0,1]
	s_set_vgpr_msb 1                        ;  msbs: dst=0 src0=1 src1=0 src2=0
	v_perm_b32 v10, v19 /*v275*/, v136, 0x4030201
	s_set_vgpr_msb 0                        ;  msbs: dst=0 src0=0 src1=0 src2=0
	s_delay_alu instid0(VALU_DEP_2) | instskip(SKIP_2) | instid1(VALU_DEP_1)
	v_pk_add_f32 v[40:41], v[40:41], v[8:9]
	s_set_vgpr_msb 1                        ;  msbs: dst=0 src0=1 src1=0 src2=0
	v_mul_i32_i24_e32 v8, v29 /*v285*/, v213
	v_mad_i32_i24 v8, v30 /*v286*/, v214, v8
	s_set_vgpr_msb 0                        ;  msbs: dst=0 src0=0 src1=0 src2=0
	s_delay_alu instid0(VALU_DEP_1) | instskip(SKIP_1) | instid1(VALU_DEP_2)
	v_dot4_i32_iu8 v4, v4, v215, v8 neg_lo:[1,1,0]
	v_perm_b32 v8, v146, v19, 0x4030201
	v_dot4_i32_iu8 v4, v5, v216, v4 neg_lo:[1,1,0]
	v_perm_b32 v5, v7, v6, 0x5040302
	s_set_vgpr_msb 1                        ;  msbs: dst=0 src0=1 src1=0 src2=0
	v_perm_b32 v6, v16 /*v272*/, v133, 0x4030201
	s_set_vgpr_msb 0                        ;  msbs: dst=0 src0=0 src1=0 src2=0
	s_delay_alu instid0(VALU_DEP_2) | instskip(SKIP_1) | instid1(VALU_DEP_1)
	v_dot4_i32_iu8 v4, v5, v217, v4 neg_lo:[1,1,0]
	v_perm_b32 v5, v12, v7, 0x5040302
	v_dot4_i32_iu8 v4, v5, v218, v4 neg_lo:[1,1,0]
	v_perm_b32 v5, v13, v12, 0x5040302
	s_delay_alu instid0(VALU_DEP_1) | instskip(SKIP_2) | instid1(VALU_DEP_2)
	v_dot4_i32_iu8 v4, v5, v219, v4 neg_lo:[1,1,0]
	s_set_vgpr_msb 1                        ;  msbs: dst=0 src0=1 src1=0 src2=0
	v_mul_i32_i24_e32 v5, v32 /*v288*/, v222
	v_dot4_i32_iu8 v4, v38 /*v294*/, v221, v4 neg_lo:[1,1,0]
	s_delay_alu instid0(VALU_DEP_2) | instskip(NEXT) | instid1(VALU_DEP_2)
	v_dot4_i32_iu8 v5, v40 /*v296*/, v244, v5 neg_lo:[1,1,0]
	v_dot4_i32_iu8 v4, v22 /*v278*/, v249, v4 neg_lo:[1,1,0]
	s_delay_alu instid0(VALU_DEP_2) | instskip(SKIP_1) | instid1(VALU_DEP_2)
	v_dot4_i32_iu8 v5, v41 /*v297*/, v245, v5 neg_lo:[1,1,0]
	s_set_vgpr_msb 4                        ;  msbs: dst=0 src0=0 src1=1 src2=0
	v_dot4_i32_iu8 v4, v250, v39 /*v295*/, v4 neg_lo:[1,1,0]
	s_set_vgpr_msb 0                        ;  msbs: dst=0 src0=0 src1=0 src2=0
	s_delay_alu instid0(VALU_DEP_2) | instskip(NEXT) | instid1(VALU_DEP_2)
	v_dot4_i32_iu8 v5, v18, v246, v5 neg_lo:[1,1,0]
	v_mul_lo_u32 v4, v4, v212
	s_delay_alu instid0(VALU_DEP_2) | instskip(SKIP_1) | instid1(VALU_DEP_1)
	v_dot4_i32_iu8 v5, v8, v6, v5 neg_lo:[1,1,0]
	s_set_vgpr_msb 4                        ;  msbs: dst=0 src0=0 src1=1 src2=0
	v_dot4_i32_iu8 v5, v247, v43 /*v299*/, v5 neg_lo:[1,1,0]
	s_delay_alu instid0(VALU_DEP_1) | instskip(SKIP_3) | instid1(VALU_DEP_2)
	v_dot4_i32_iu8 v6, v248, v17 /*v273*/, v5 neg_lo:[1,1,0]
	s_set_vgpr_msb 17                       ;  msbs: dst=0 src0=1 src1=0 src2=1
	v_dot4_i32_iu8 v5, v45 /*v301*/, v249, v27 /*v283*/ neg_lo:[1,1,0]
	s_set_vgpr_msb 0                        ;  msbs: dst=0 src0=0 src1=0 src2=0
	v_dot4_i32_iu8 v3, v10, v3, v6 neg_lo:[1,1,0]
	s_set_vgpr_msb 4                        ;  msbs: dst=0 src0=0 src1=1 src2=0
	s_delay_alu instid0(VALU_DEP_2) | instskip(NEXT) | instid1(VALU_DEP_2)
	v_dot4_i32_iu8 v5, v250, v46 /*v302*/, v5 neg_lo:[1,1,0]
	v_dot4_i32_iu8 v3, v147, v24 /*v280*/, v3 neg_lo:[1,1,0]
	s_set_vgpr_msb 0                        ;  msbs: dst=0 src0=0 src1=0 src2=0
	s_delay_alu instid0(VALU_DEP_2) | instskip(SKIP_1) | instid1(VALU_DEP_3)
	v_mul_lo_u32 v8, v5, v212
	v_cvt_f32_i32_e32 v5, v4
	v_mul_lo_u32 v3, v3, v209
	s_delay_alu instid0(VALU_DEP_3) | instskip(SKIP_1) | instid1(VALU_DEP_3)
	v_cvt_f32_i32_e32 v4, v8
	v_pk_fma_f32 v[8:9], v[138:139], v[20:21], 0 op_sel_hi:[0,1,0]
	v_cvt_f32_i32_e32 v3, v3
	s_delay_alu instid0(VALU_DEP_3) | instskip(SKIP_1) | instid1(VALU_DEP_1)
	v_pk_fma_f32 v[4:5], v[16:17], v[4:5], 0 op_sel_hi:[1,1,0]
	s_set_vgpr_msb 1                        ;  msbs: dst=0 src0=1 src1=0 src2=0
	v_pk_fma_f32 v[2:3], v[20:21] /*v[276:277]*/, v[2:3], v[4:5]
	s_set_vgpr_msb 0                        ;  msbs: dst=0 src0=0 src1=0 src2=0
	v_pk_fma_f32 v[4:5], v[142:143], v[0:1], v[8:9] op_sel_hi:[0,1,1]
	s_delay_alu instid0(VALU_DEP_1) | instskip(NEXT) | instid1(VALU_DEP_1)
	v_pk_mul_f32 v[4:5], v[4:5], v[116:117]
	v_pk_fma_f32 v[2:3], v[2:3], v[26:27], v[4:5] neg_lo:[0,0,1] neg_hi:[0,0,1]
	v_perm_b32 v4, v206, v7, 0x6050403
	s_set_vgpr_msb 17                       ;  msbs: dst=0 src0=1 src1=0 src2=1
	v_dot4_i32_iu8 v7, v25 /*v281*/, v132, v23 /*v279*/ neg_lo:[1,1,0]
	s_set_vgpr_msb 0                        ;  msbs: dst=0 src0=0 src1=0 src2=0
	v_pk_add_f32 v[38:39], v[38:39], v[2:3]
	s_set_vgpr_msb 1                        ;  msbs: dst=0 src0=1 src1=0 src2=0
	v_mul_i32_i24_e32 v2, v29 /*v285*/, v207
	s_set_vgpr_msb 0                        ;  msbs: dst=0 src0=0 src1=0 src2=0
	v_perm_b32 v3, v12, v141, 0x6050403
	s_set_vgpr_msb 4                        ;  msbs: dst=0 src0=0 src1=1 src2=0
	v_dot4_i32_iu8 v7, v134, v44 /*v300*/, v7 neg_lo:[1,1,0]
	s_set_vgpr_msb 1                        ;  msbs: dst=0 src0=1 src1=0 src2=0
	v_dot4_i32_iu8 v2, v33 /*v289*/, v223, v2 neg_lo:[1,1,0]
	s_set_vgpr_msb 0                        ;  msbs: dst=0 src0=0 src1=0 src2=0
	s_delay_alu instid0(VALU_DEP_2) | instskip(SKIP_1) | instid1(VALU_DEP_2)
	v_mul_lo_u32 v8, v7, v145
	s_set_vgpr_msb 1                        ;  msbs: dst=0 src0=1 src1=0 src2=0
	v_dot4_i32_iu8 v2, v34 /*v290*/, v224, v2 neg_lo:[1,1,0]
	s_delay_alu instid0(VALU_DEP_1) | instskip(NEXT) | instid1(VALU_DEP_1)
	v_dot4_i32_iu8 v2, v35 /*v291*/, v225, v2 neg_lo:[1,1,0]
	v_dot4_i32_iu8 v2, v36 /*v292*/, v140, v2 neg_lo:[1,1,0]
	s_set_vgpr_msb 0                        ;  msbs: dst=0 src0=0 src1=0 src2=0
	s_delay_alu instid0(VALU_DEP_1) | instskip(SKIP_3) | instid1(VALU_DEP_2)
	v_dot4_i32_iu8 v2, v4, v3, v2 neg_lo:[1,1,0]
	s_set_vgpr_msb 1                        ;  msbs: dst=0 src0=1 src1=0 src2=0
	v_mul_i32_i24_e32 v3, v32 /*v288*/, v211
	s_set_vgpr_msb 4                        ;  msbs: dst=0 src0=0 src1=1 src2=0
	v_mad_i32_i24 v2, v208, v31 /*v287*/, v2
	s_set_vgpr_msb 1                        ;  msbs: dst=0 src0=1 src1=0 src2=0
	s_delay_alu instid0(VALU_DEP_2) | instskip(SKIP_1) | instid1(VALU_DEP_2)
	v_dot4_i32_iu8 v3, v40 /*v296*/, v228, v3 neg_lo:[1,1,0]
	s_set_vgpr_msb 4                        ;  msbs: dst=0 src0=0 src1=1 src2=0
	v_dot4_i32_iu8 v2, v226, v37 /*v293*/, v2 neg_lo:[1,1,0]
	s_set_vgpr_msb 1                        ;  msbs: dst=0 src0=1 src1=0 src2=0
	s_delay_alu instid0(VALU_DEP_2) | instskip(SKIP_1) | instid1(VALU_DEP_2)
	v_dot4_i32_iu8 v3, v41 /*v297*/, v229, v3 neg_lo:[1,1,0]
	s_set_vgpr_msb 4                        ;  msbs: dst=0 src0=0 src1=1 src2=0
	v_dot4_i32_iu8 v2, v227, v38 /*v294*/, v2 neg_lo:[1,1,0]
	s_set_vgpr_msb 0                        ;  msbs: dst=0 src0=0 src1=0 src2=0
	s_delay_alu instid0(VALU_DEP_2) | instskip(SKIP_1) | instid1(VALU_DEP_2)
	v_dot4_i32_iu8 v3, v18, v230, v3 neg_lo:[1,1,0]
	s_set_vgpr_msb 1                        ;  msbs: dst=0 src0=1 src1=0 src2=0
	v_dot4_i32_iu8 v2, v22 /*v278*/, v234, v2 neg_lo:[1,1,0]
	s_set_vgpr_msb 4                        ;  msbs: dst=0 src0=0 src1=1 src2=0
	s_delay_alu instid0(VALU_DEP_2) | instskip(NEXT) | instid1(VALU_DEP_2)
	v_dot4_i32_iu8 v3, v231, v42 /*v298*/, v3 neg_lo:[1,1,0]
	v_dot4_i32_iu8 v2, v235, v39 /*v295*/, v2 neg_lo:[1,1,0]
	s_delay_alu instid0(VALU_DEP_2) | instskip(SKIP_1) | instid1(VALU_DEP_2)
	v_dot4_i32_iu8 v3, v232, v43 /*v299*/, v3 neg_lo:[1,1,0]
	s_set_vgpr_msb 0                        ;  msbs: dst=0 src0=0 src1=0 src2=0
	v_mul_lo_u32 v2, v2, v210
	s_set_vgpr_msb 4                        ;  msbs: dst=0 src0=0 src1=1 src2=0
	s_delay_alu instid0(VALU_DEP_2) | instskip(SKIP_3) | instid1(VALU_DEP_2)
	v_dot4_i32_iu8 v6, v233, v17 /*v273*/, v3 neg_lo:[1,1,0]
	s_set_vgpr_msb 17                       ;  msbs: dst=0 src0=1 src1=0 src2=1
	v_dot4_i32_iu8 v3, v45 /*v301*/, v234, v15 /*v271*/ neg_lo:[1,1,0]
	s_set_vgpr_msb 1                        ;  msbs: dst=0 src0=1 src1=0 src2=0
	v_dot4_i32_iu8 v6, v26 /*v282*/, v132, v6 neg_lo:[1,1,0]
	s_set_vgpr_msb 4                        ;  msbs: dst=0 src0=0 src1=1 src2=0
	s_delay_alu instid0(VALU_DEP_2) | instskip(NEXT) | instid1(VALU_DEP_2)
	v_dot4_i32_iu8 v3, v235, v46 /*v302*/, v3 neg_lo:[1,1,0]
	v_dot4_i32_iu8 v6, v134, v24 /*v280*/, v6 neg_lo:[1,1,0]
	s_set_vgpr_msb 0                        ;  msbs: dst=0 src0=0 src1=0 src2=0
	s_delay_alu instid0(VALU_DEP_2) | instskip(SKIP_1) | instid1(VALU_DEP_3)
	v_mul_lo_u32 v4, v3, v210
	v_cvt_f32_i32_e32 v3, v2
	v_mul_lo_u32 v6, v6, v145
	s_delay_alu instid0(VALU_DEP_3) | instskip(SKIP_1) | instid1(VALU_DEP_3)
	v_cvt_f32_i32_e32 v2, v4
	v_pk_fma_f32 v[4:5], v[130:131], v[20:21], 0 op_sel_hi:[0,1,0]
	v_cvt_f32_i32_e32 v7, v6
	s_delay_alu instid0(VALU_DEP_3) | instskip(SKIP_1) | instid1(VALU_DEP_4)
	v_pk_fma_f32 v[2:3], v[16:17], v[2:3], 0 op_sel_hi:[1,1,0]
	v_cvt_f32_i32_e32 v6, v8
	v_pk_fma_f32 v[0:1], v[120:121], v[0:1], v[4:5] op_sel_hi:[0,1,1]
	s_set_vgpr_msb 1                        ;  msbs: dst=0 src0=1 src1=0 src2=0
	s_delay_alu instid0(VALU_DEP_2) | instskip(SKIP_1) | instid1(VALU_DEP_2)
	v_pk_fma_f32 v[2:3], v[20:21] /*v[276:277]*/, v[6:7], v[2:3]
	s_set_vgpr_msb 0                        ;  msbs: dst=0 src0=0 src1=0 src2=0
	v_pk_mul_f32 v[0:1], v[0:1], v[118:119]
	s_delay_alu instid0(VALU_DEP_1) | instskip(NEXT) | instid1(VALU_DEP_1)
	v_pk_fma_f32 v[0:1], v[2:3], v[110:111], v[0:1] neg_lo:[0,0,1] neg_hi:[0,0,1]
	v_pk_add_f32 v[36:37], v[36:37], v[0:1]
	v_or_b32_e32 v0, s5, v187
	s_delay_alu instid0(VALU_DEP_1)
	v_lshlrev_b32_e32 v1, 2, v0
	s_set_vgpr_msb 64                       ;  msbs: dst=1 src0=0 src1=0 src2=0
	v_lshrrev_b32_e32 v28 /*v284*/, 1, v0
	s_set_vgpr_msb 0                        ;  msbs: dst=0 src0=0 src1=0 src2=0
	ds_load_b128 v[4:7], v1 offset:33280
	ds_load_b128 v[14:17], v1 offset:33296
	;; [unrolled: 1-line block ×4, first 2 shown]
	s_wait_dscnt 0x3
	v_bfe_i32 v12, v4, 0, 8
	v_perm_b32 v21, v4, v4, 0xc0c0201
	s_set_vgpr_msb 64                       ;  msbs: dst=1 src0=0 src1=0 src2=0
	v_perm_b32 v15 /*v271*/, v5, v4, 0x6050403
	v_perm_b32 v16 /*v272*/, v6, v5, 0x6050403
	;; [unrolled: 1-line block ×3, first 2 shown]
	s_set_vgpr_msb 0                        ;  msbs: dst=0 src0=0 src1=0 src2=0
	v_mul_i32_i24_e32 v20, v12, v150
	s_wait_dscnt 0x2
	s_set_vgpr_msb 64                       ;  msbs: dst=1 src0=0 src1=0 src2=0
	v_perm_b32 v17 /*v273*/, v14, v121, 0x6050403
	v_perm_b32 v18 /*v274*/, v148, v7, 0x6050403
	s_set_vgpr_msb 0                        ;  msbs: dst=0 src0=0 src1=0 src2=0
	v_ashrrev_i32_e32 v18, 24, v14
	s_set_vgpr_msb 64                       ;  msbs: dst=1 src0=0 src1=0 src2=0
	v_perm_b32 v23 /*v279*/, v15, v15, 0xc0c0100
	s_set_vgpr_msb 4                        ;  msbs: dst=0 src0=0 src1=1 src2=0
	v_dot4_i32_iu8 v20, v21, v9 /*v265*/, v20 neg_lo:[1,1,0]
	s_wait_dscnt 0x1
	v_bfe_i32 v19, v8, 0, 8
	s_set_vgpr_msb 64                       ;  msbs: dst=1 src0=0 src1=0 src2=0
	v_perm_b32 v24 /*v280*/, v16, v15, 0x5040302
	s_set_vgpr_msb 0                        ;  msbs: dst=0 src0=0 src1=0 src2=0
	v_perm_b32 v8, v9, v8, 0x4030201
	v_perm_b32 v9, v10, v9, 0x4030201
	s_set_vgpr_msb 5                        ;  msbs: dst=0 src0=1 src1=1 src2=0
	v_dot4_i32_iu8 v20, v15 /*v271*/, v10 /*v266*/, v20 neg_lo:[1,1,0]
	s_set_vgpr_msb 0                        ;  msbs: dst=0 src0=0 src1=0 src2=0
	v_perm_b32 v10, v11, v10, 0x4030201
	s_wait_dscnt 0x0
	s_set_vgpr_msb 64                       ;  msbs: dst=1 src0=0 src1=0 src2=0
	v_perm_b32 v25 /*v281*/, v0, v11, 0x4030201
	v_perm_b32 v27 /*v283*/, v1, v0, 0x4030201
	s_set_vgpr_msb 0                        ;  msbs: dst=0 src0=0 src1=0 src2=0
	v_perm_b32 v1, v2, v1, 0x4030201
	s_set_vgpr_msb 5                        ;  msbs: dst=0 src0=1 src1=1 src2=0
	v_dot4_i32_iu8 v20, v16 /*v272*/, v11 /*v267*/, v20 neg_lo:[1,1,0]
	s_set_vgpr_msb 0                        ;  msbs: dst=0 src0=0 src1=0 src2=0
	v_bfe_i32 v13, v4, 8, 8
	v_perm_b32 v4, v5, v4, 0x5040302
	v_perm_b32 v5, v6, v5, 0x5040302
	;; [unrolled: 1-line block ×3, first 2 shown]
	s_set_vgpr_msb 5                        ;  msbs: dst=0 src0=1 src1=1 src2=0
	v_dot4_i32_iu8 v20, v22 /*v278*/, v12 /*v268*/, v20 neg_lo:[1,1,0]
	s_delay_alu instid0(VALU_DEP_1)
	v_dot4_i32_iu8 v20, v18 /*v274*/, v17 /*v273*/, v20 neg_lo:[1,1,0]
	s_set_vgpr_msb 64                       ;  msbs: dst=1 src0=0 src1=0 src2=0
	v_perm_b32 v17 /*v273*/, v14, v135, 0x6050403
	v_perm_b32 v18 /*v274*/, v155, v7, 0x6050403
	s_set_vgpr_msb 0                        ;  msbs: dst=0 src0=0 src1=0 src2=0
	v_mad_i32_i24 v20, v149, v18, v20
	s_set_vgpr_msb 5                        ;  msbs: dst=0 src0=1 src1=1 src2=0
	s_delay_alu instid0(VALU_DEP_1) | instskip(SKIP_1) | instid1(VALU_DEP_1)
	v_dot4_i32_iu8 v20, v13 /*v269*/, v23 /*v279*/, v20 neg_lo:[1,1,0]
	s_set_vgpr_msb 0x45                     ;  msbs: dst=1 src0=1 src1=1 src2=0
	v_dot4_i32_iu8 v26 /*v282*/, v14 /*v270*/, v24 /*v280*/, v20 neg_lo:[1,1,0]
	s_set_vgpr_msb 0                        ;  msbs: dst=0 src0=0 src1=0 src2=0
	v_mul_i32_i24_e32 v20, v151, v19
	s_delay_alu instid0(VALU_DEP_1) | instskip(NEXT) | instid1(VALU_DEP_1)
	v_dot4_i32_iu8 v20, v152, v8, v20 neg_lo:[1,1,0]
	v_dot4_i32_iu8 v20, v153, v9, v20 neg_lo:[1,1,0]
	s_set_vgpr_msb 1                        ;  msbs: dst=0 src0=1 src1=0 src2=0
	s_delay_alu instid0(VALU_DEP_1) | instskip(SKIP_1) | instid1(VALU_DEP_1)
	v_dot4_i32_iu8 v20, v5 /*v261*/, v10, v20 neg_lo:[1,1,0]
	s_set_vgpr_msb 5                        ;  msbs: dst=0 src0=1 src1=1 src2=0
	v_dot4_i32_iu8 v20, v6 /*v262*/, v25 /*v281*/, v20 neg_lo:[1,1,0]
	s_delay_alu instid0(VALU_DEP_1) | instskip(SKIP_1) | instid1(VALU_DEP_1)
	v_dot4_i32_iu8 v20, v7 /*v263*/, v27 /*v283*/, v20 neg_lo:[1,1,0]
	s_set_vgpr_msb 0x41                     ;  msbs: dst=1 src0=1 src1=0 src2=0
	v_dot4_i32_iu8 v21 /*v277*/, v8 /*v264*/, v1, v20 neg_lo:[1,1,0]
	s_set_vgpr_msb 0                        ;  msbs: dst=0 src0=0 src1=0 src2=0
	v_mul_i32_i24_e32 v20, v12, v156
	s_delay_alu instid0(VALU_DEP_1) | instskip(SKIP_1) | instid1(VALU_DEP_1)
	v_dot4_i32_iu8 v20, v21, v253, v20 neg_lo:[1,1,0]
	s_set_vgpr_msb 1                        ;  msbs: dst=0 src0=1 src1=0 src2=0
	v_dot4_i32_iu8 v20, v15 /*v271*/, v254, v20 neg_lo:[1,1,0]
	s_delay_alu instid0(VALU_DEP_1) | instskip(SKIP_1) | instid1(VALU_DEP_1)
	v_dot4_i32_iu8 v20, v16 /*v272*/, v255, v20 neg_lo:[1,1,0]
	s_set_vgpr_msb 5                        ;  msbs: dst=0 src0=1 src1=1 src2=0
	v_dot4_i32_iu8 v20, v22 /*v278*/, v0 /*v256*/, v20 neg_lo:[1,1,0]
	s_delay_alu instid0(VALU_DEP_1) | instskip(SKIP_1) | instid1(VALU_DEP_1)
	v_dot4_i32_iu8 v20, v18 /*v274*/, v17 /*v273*/, v20 neg_lo:[1,1,0]
	s_set_vgpr_msb 0                        ;  msbs: dst=0 src0=0 src1=0 src2=0
	v_mad_i32_i24 v20, v157, v18, v20
	s_set_vgpr_msb 5                        ;  msbs: dst=0 src0=1 src1=1 src2=0
	s_delay_alu instid0(VALU_DEP_1) | instskip(SKIP_1) | instid1(VALU_DEP_1)
	v_dot4_i32_iu8 v20, v1 /*v257*/, v23 /*v279*/, v20 neg_lo:[1,1,0]
	s_set_vgpr_msb 0x45                     ;  msbs: dst=1 src0=1 src1=1 src2=0
	v_dot4_i32_iu8 v20 /*v276*/, v2 /*v258*/, v24 /*v280*/, v20 neg_lo:[1,1,0]
	s_set_vgpr_msb 0                        ;  msbs: dst=0 src0=0 src1=0 src2=0
	v_mul_i32_i24_e32 v20, v19, v204
	s_delay_alu instid0(VALU_DEP_1) | instskip(NEXT) | instid1(VALU_DEP_1)
	v_dot4_i32_iu8 v20, v8, v205, v20 neg_lo:[1,1,0]
	v_dot4_i32_iu8 v20, v9, v236, v20 neg_lo:[1,1,0]
	s_delay_alu instid0(VALU_DEP_1) | instskip(SKIP_1) | instid1(VALU_DEP_1)
	v_dot4_i32_iu8 v20, v10, v237, v20 neg_lo:[1,1,0]
	s_set_vgpr_msb 1                        ;  msbs: dst=0 src0=1 src1=0 src2=0
	v_dot4_i32_iu8 v20, v25 /*v281*/, v238, v20 neg_lo:[1,1,0]
	s_delay_alu instid0(VALU_DEP_1) | instskip(SKIP_1) | instid1(VALU_DEP_1)
	v_dot4_i32_iu8 v20, v27 /*v283*/, v239, v20 neg_lo:[1,1,0]
	s_set_vgpr_msb 64                       ;  msbs: dst=1 src0=0 src1=0 src2=0
	v_dot4_i32_iu8 v19 /*v275*/, v1, v240, v20 neg_lo:[1,1,0]
	s_set_vgpr_msb 0                        ;  msbs: dst=0 src0=0 src1=0 src2=0
	v_mul_i32_i24_e32 v20, v12, v213
	s_delay_alu instid0(VALU_DEP_1) | instskip(NEXT) | instid1(VALU_DEP_1)
	v_mad_i32_i24 v13, v13, v214, v20
	v_dot4_i32_iu8 v4, v4, v215, v13 neg_lo:[1,1,0]
	s_delay_alu instid0(VALU_DEP_1) | instskip(SKIP_1) | instid1(VALU_DEP_1)
	v_dot4_i32_iu8 v4, v5, v216, v4 neg_lo:[1,1,0]
	v_perm_b32 v5, v7, v6, 0x5040302
	v_dot4_i32_iu8 v4, v5, v217, v4 neg_lo:[1,1,0]
	v_perm_b32 v5, v14, v7, 0x5040302
	s_delay_alu instid0(VALU_DEP_1) | instskip(SKIP_1) | instid1(VALU_DEP_1)
	v_dot4_i32_iu8 v4, v5, v218, v4 neg_lo:[1,1,0]
	v_perm_b32 v5, v15, v14, 0x5040302
	v_dot4_i32_iu8 v4, v5, v219, v4 neg_lo:[1,1,0]
	v_perm_b32 v5, v146, v11, 0x4030201
	s_set_vgpr_msb 0x41                     ;  msbs: dst=1 src0=1 src1=0 src2=0
	s_delay_alu instid0(VALU_DEP_2) | instskip(SKIP_2) | instid1(VALU_DEP_1)
	v_dot4_i32_iu8 v18 /*v274*/, v24 /*v280*/, v221, v4 neg_lo:[1,1,0]
	s_set_vgpr_msb 0                        ;  msbs: dst=0 src0=0 src1=0 src2=0
	v_mul_i32_i24_e32 v4, v19, v222
	v_dot4_i32_iu8 v4, v8, v244, v4 neg_lo:[1,1,0]
	s_delay_alu instid0(VALU_DEP_1) | instskip(NEXT) | instid1(VALU_DEP_1)
	v_dot4_i32_iu8 v4, v9, v245, v4 neg_lo:[1,1,0]
	v_dot4_i32_iu8 v4, v10, v246, v4 neg_lo:[1,1,0]
	s_delay_alu instid0(VALU_DEP_1) | instskip(SKIP_3) | instid1(VALU_DEP_3)
	v_dot4_i32_iu8 v0, v5, v0, v4 neg_lo:[1,1,0]
	v_perm_b32 v4, v14, v141, 0x6050403
	v_perm_b32 v5, v206, v7, 0x6050403
	s_set_vgpr_msb 4                        ;  msbs: dst=0 src0=0 src1=1 src2=0
	v_dot4_i32_iu8 v0, v247, v27 /*v283*/, v0 neg_lo:[1,1,0]
	s_set_vgpr_msb 64                       ;  msbs: dst=1 src0=0 src1=0 src2=0
	s_delay_alu instid0(VALU_DEP_1) | instskip(SKIP_2) | instid1(VALU_DEP_1)
	v_dot4_i32_iu8 v17 /*v273*/, v248, v1, v0 neg_lo:[1,1,0]
	s_set_vgpr_msb 0                        ;  msbs: dst=0 src0=0 src1=0 src2=0
	v_mul_i32_i24_e32 v0, v12, v207
	v_dot4_i32_iu8 v0, v21, v223, v0 neg_lo:[1,1,0]
	s_set_vgpr_msb 1                        ;  msbs: dst=0 src0=1 src1=0 src2=0
	s_delay_alu instid0(VALU_DEP_1) | instskip(NEXT) | instid1(VALU_DEP_1)
	v_dot4_i32_iu8 v0, v15 /*v271*/, v224, v0 neg_lo:[1,1,0]
	v_dot4_i32_iu8 v0, v16 /*v272*/, v225, v0 neg_lo:[1,1,0]
	s_delay_alu instid0(VALU_DEP_1) | instskip(SKIP_1) | instid1(VALU_DEP_1)
	v_dot4_i32_iu8 v0, v22 /*v278*/, v140, v0 neg_lo:[1,1,0]
	s_set_vgpr_msb 0                        ;  msbs: dst=0 src0=0 src1=0 src2=0
	v_dot4_i32_iu8 v0, v5, v4, v0 neg_lo:[1,1,0]
	s_delay_alu instid0(VALU_DEP_1) | instskip(SKIP_1) | instid1(VALU_DEP_1)
	v_mad_i32_i24 v0, v208, v18, v0
	s_set_vgpr_msb 4                        ;  msbs: dst=0 src0=0 src1=1 src2=0
	v_dot4_i32_iu8 v0, v226, v23 /*v279*/, v0 neg_lo:[1,1,0]
	s_set_vgpr_msb 0x44                     ;  msbs: dst=1 src0=0 src1=1 src2=0
	s_delay_alu instid0(VALU_DEP_1) | instskip(SKIP_2) | instid1(VALU_DEP_1)
	v_dot4_i32_iu8 v16 /*v272*/, v227, v24 /*v280*/, v0 neg_lo:[1,1,0]
	s_set_vgpr_msb 0                        ;  msbs: dst=0 src0=0 src1=0 src2=0
	v_mul_i32_i24_e32 v0, v19, v211
	v_dot4_i32_iu8 v0, v8, v228, v0 neg_lo:[1,1,0]
	s_delay_alu instid0(VALU_DEP_1) | instskip(NEXT) | instid1(VALU_DEP_1)
	v_dot4_i32_iu8 v0, v9, v229, v0 neg_lo:[1,1,0]
	v_dot4_i32_iu8 v0, v10, v230, v0 neg_lo:[1,1,0]
	s_set_vgpr_msb 4                        ;  msbs: dst=0 src0=0 src1=1 src2=0
	s_delay_alu instid0(VALU_DEP_1) | instskip(NEXT) | instid1(VALU_DEP_1)
	v_dot4_i32_iu8 v0, v231, v25 /*v281*/, v0 neg_lo:[1,1,0]
	v_dot4_i32_iu8 v0, v232, v27 /*v283*/, v0 neg_lo:[1,1,0]
	s_set_vgpr_msb 64                       ;  msbs: dst=1 src0=0 src1=0 src2=0
	s_delay_alu instid0(VALU_DEP_1)
	v_dot4_i32_iu8 v15 /*v271*/, v233, v1, v0 neg_lo:[1,1,0]
	s_set_vgpr_msb 0                        ;  msbs: dst=0 src0=0 src1=0 src2=0
	v_or_b32_e32 v0, s5, v188
	s_add_co_i32 s5, s4, 8
	s_cmp_lt_u32 s4, 24
	s_mov_b32 s4, s5
	s_delay_alu instid0(VALU_DEP_1)
	v_lshlrev_b32_e32 v1, 2, v0
	ds_load_b128 v[4:7], v1 offset:33280
	ds_load_b128 v[8:11], v1 offset:33296
	;; [unrolled: 1-line block ×4, first 2 shown]
	v_lshrrev_b32_e32 v0, 1, v0
	s_wait_dscnt 0x3
	s_set_vgpr_msb 64                       ;  msbs: dst=1 src0=0 src1=0 src2=0
	v_bfe_i32 v24 /*v280*/, v4, 0, 8
	v_perm_b32 v25 /*v281*/, v4, v4, 0xc0c0201
	s_wait_dscnt 0x2
	s_set_vgpr_msb 0                        ;  msbs: dst=0 src0=0 src1=0 src2=0
	v_perm_b32 v121, v8, v121, 0x6050403
	v_perm_b32 v148, v148, v7, 0x6050403
	s_set_vgpr_msb 64                       ;  msbs: dst=1 src0=0 src1=0 src2=0
	v_ashrrev_i32_e32 v23 /*v279*/, 24, v8
	s_set_vgpr_msb 1                        ;  msbs: dst=0 src0=1 src1=0 src2=0
	v_mul_i32_i24_e32 v1, v24 /*v280*/, v150
	s_wait_dscnt 0x1
	s_set_vgpr_msb 64                       ;  msbs: dst=1 src0=0 src1=0 src2=0
	v_bfe_i32 v22 /*v278*/, v18, 0, 8
	v_bfe_i32 v27 /*v283*/, v4, 8, 8
	s_set_vgpr_msb 5                        ;  msbs: dst=0 src0=1 src1=1 src2=0
	v_dot4_i32_iu8 v1, v25 /*v281*/, v9 /*v265*/, v1 neg_lo:[1,1,0]
	s_set_vgpr_msb 64                       ;  msbs: dst=1 src0=0 src1=0 src2=0
	v_perm_b32 v9 /*v265*/, v5, v4, 0x6050403
	s_set_vgpr_msb 0                        ;  msbs: dst=0 src0=0 src1=0 src2=0
	v_perm_b32 v4, v5, v4, 0x5040302
	s_set_vgpr_msb 5                        ;  msbs: dst=0 src0=1 src1=1 src2=0
	s_delay_alu instid0(VALU_DEP_2)
	v_dot4_i32_iu8 v1, v9 /*v265*/, v10 /*v266*/, v1 neg_lo:[1,1,0]
	s_set_vgpr_msb 64                       ;  msbs: dst=1 src0=0 src1=0 src2=0
	v_perm_b32 v10 /*v266*/, v6, v5, 0x6050403
	s_set_vgpr_msb 0                        ;  msbs: dst=0 src0=0 src1=0 src2=0
	v_perm_b32 v5, v6, v5, 0x5040302
	s_set_vgpr_msb 5                        ;  msbs: dst=0 src0=1 src1=1 src2=0
	s_delay_alu instid0(VALU_DEP_2) | instskip(SKIP_3) | instid1(VALU_DEP_1)
	v_dot4_i32_iu8 v1, v10 /*v266*/, v11 /*v267*/, v1 neg_lo:[1,1,0]
	s_set_vgpr_msb 64                       ;  msbs: dst=1 src0=0 src1=0 src2=0
	v_perm_b32 v11 /*v267*/, v7, v6, 0x6050403
	s_set_vgpr_msb 5                        ;  msbs: dst=0 src0=1 src1=1 src2=0
	v_dot4_i32_iu8 v1, v11 /*v267*/, v12 /*v268*/, v1 neg_lo:[1,1,0]
	s_set_vgpr_msb 64                       ;  msbs: dst=1 src0=0 src1=0 src2=0
	v_perm_b32 v12 /*v268*/, v10, v9, 0x5040302
	s_set_vgpr_msb 0                        ;  msbs: dst=0 src0=0 src1=0 src2=0
	s_delay_alu instid0(VALU_DEP_2) | instskip(SKIP_2) | instid1(VALU_DEP_2)
	v_dot4_i32_iu8 v1, v148, v121, v1 neg_lo:[1,1,0]
	v_perm_b32 v121, v9, v9, 0xc0c0100
	s_set_vgpr_msb 4                        ;  msbs: dst=0 src0=0 src1=1 src2=0
	v_mad_i32_i24 v1, v149, v23 /*v279*/, v1
	s_set_vgpr_msb 1                        ;  msbs: dst=0 src0=1 src1=0 src2=0
	s_delay_alu instid0(VALU_DEP_1) | instskip(SKIP_3) | instid1(VALU_DEP_2)
	v_dot4_i32_iu8 v1, v13 /*v269*/, v121, v1 neg_lo:[1,1,0]
	s_set_vgpr_msb 64                       ;  msbs: dst=1 src0=0 src1=0 src2=0
	v_perm_b32 v13 /*v269*/, v19, v18, 0x4030201
	s_set_vgpr_msb 0x45                     ;  msbs: dst=1 src0=1 src1=1 src2=0
	v_dot4_i32_iu8 v29 /*v285*/, v14 /*v270*/, v12 /*v268*/, v1 neg_lo:[1,1,0]
	s_set_vgpr_msb 4                        ;  msbs: dst=0 src0=0 src1=1 src2=0
	v_mul_i32_i24_e32 v1, v151, v22 /*v278*/
	s_set_vgpr_msb 64                       ;  msbs: dst=1 src0=0 src1=0 src2=0
	v_perm_b32 v14 /*v270*/, v20, v19, 0x4030201
	s_set_vgpr_msb 0                        ;  msbs: dst=0 src0=0 src1=0 src2=0
	v_perm_b32 v20, v21, v20, 0x4030201
	s_set_vgpr_msb 4                        ;  msbs: dst=0 src0=0 src1=1 src2=0
	v_dot4_i32_iu8 v1, v152, v13 /*v269*/, v1 neg_lo:[1,1,0]
	s_delay_alu instid0(VALU_DEP_1)
	v_dot4_i32_iu8 v1, v153, v14 /*v270*/, v1 neg_lo:[1,1,0]
	s_set_vgpr_msb 1                        ;  msbs: dst=0 src0=1 src1=0 src2=0
	ds_load_b64 v[18:19], v28 /*v284*/ offset:43584
	s_set_vgpr_msb 0                        ;  msbs: dst=0 src0=0 src1=0 src2=0
	ds_load_b64 v[152:153], v0 offset:43584
	s_set_vgpr_msb 1                        ;  msbs: dst=0 src0=1 src1=0 src2=0
	v_dot4_i32_iu8 v1, v5 /*v261*/, v20, v1 neg_lo:[1,1,0]
	s_wait_dscnt 0x2
	s_set_vgpr_msb 64                       ;  msbs: dst=1 src0=0 src1=0 src2=0
	v_perm_b32 v5 /*v261*/, v12, v21, 0x4030201
	s_set_vgpr_msb 5                        ;  msbs: dst=0 src0=1 src1=1 src2=0
	s_delay_alu instid0(VALU_DEP_1)
	v_dot4_i32_iu8 v1, v6 /*v262*/, v5 /*v261*/, v1 neg_lo:[1,1,0]
	s_set_vgpr_msb 64                       ;  msbs: dst=1 src0=0 src1=0 src2=0
	v_perm_b32 v6 /*v262*/, v13, v12, 0x4030201
	s_set_vgpr_msb 0                        ;  msbs: dst=0 src0=0 src1=0 src2=0
	v_perm_b32 v13, v14, v13, 0x4030201
	s_set_vgpr_msb 5                        ;  msbs: dst=0 src0=1 src1=1 src2=0
	s_delay_alu instid0(VALU_DEP_2)
	v_dot4_i32_iu8 v1, v7 /*v263*/, v6 /*v262*/, v1 neg_lo:[1,1,0]
	s_wait_dscnt 0x1
	s_set_vgpr_msb 0                        ;  msbs: dst=0 src0=0 src1=0 src2=0
	v_cvt_f32_f16_e32 v0, v18
	s_wait_dscnt 0x0
	v_dual_lshrrev_b32 v18, 16, v18 :: v_dual_lshrrev_b32 v148, 16, v152
	s_set_vgpr_msb 0x41                     ;  msbs: dst=1 src0=1 src1=0 src2=0
	v_dot4_i32_iu8 v7 /*v263*/, v8 /*v264*/, v13, v1 neg_lo:[1,1,0]
	s_set_vgpr_msb 0                        ;  msbs: dst=0 src0=0 src1=0 src2=0
	v_cvt_f32_f16_e64 v1, v152
	v_cvt_f32_f16_e64 v149, v153
	;; [unrolled: 1-line block ×5, first 2 shown]
	v_dual_lshrrev_b32 v18, 16, v19 :: v_dual_lshrrev_b32 v19, 16, v153
	v_perm_b32 v152, v17, v16, 0x5040302
	v_perm_b32 v153, v11, v10, 0x5040302
	s_set_vgpr_msb 64                       ;  msbs: dst=1 src0=0 src1=0 src2=0
	v_perm_b32 v8 /*v264*/, v17, v17, 0xc0c0302
	s_set_vgpr_msb 16                       ;  msbs: dst=0 src0=0 src1=0 src2=1
	v_cvt_f32_f16_e32 v18, v18
	v_cvt_f32_f16_e32 v19, v19
	v_dot4_i32_iu8 v16, v152, v252, v26 /*v282*/ neg_lo:[1,1,0]
	v_dot4_i32_iu8 v10, v153, v252, v29 /*v285*/ neg_lo:[1,1,0]
	v_perm_b32 v252, v11, v11, 0xc0c0302
	s_set_vgpr_msb 4                        ;  msbs: dst=0 src0=0 src1=1 src2=0
	s_delay_alu instid0(VALU_DEP_3) | instskip(SKIP_1) | instid1(VALU_DEP_2)
	v_dot4_i32_iu8 v11, v251, v8 /*v264*/, v16 neg_lo:[1,1,0]
	s_set_vgpr_msb 0                        ;  msbs: dst=0 src0=0 src1=0 src2=0
	v_dot4_i32_iu8 v10, v251, v252, v10 neg_lo:[1,1,0]
	v_perm_b32 v251, v3, v3, 0xc070601
	s_delay_alu instid0(VALU_DEP_3) | instskip(NEXT) | instid1(VALU_DEP_3)
	v_mul_lo_u32 v16, v11, v154
	v_mul_lo_u32 v10, v10, v154
	v_perm_b32 v154, v3, v124, 0x4030201
	v_perm_b32 v124, v15, v124, 0x4030201
	s_delay_alu instid0(VALU_DEP_3) | instskip(SKIP_4) | instid1(VALU_DEP_4)
	v_cvt_f32_i32_e32 v11, v10
	v_cvt_f32_i32_e32 v10, v16
	v_pk_fma_f32 v[16:17], v[126:127], v[150:151], 0 op_sel_hi:[0,1,0]
	v_perm_b32 v126, v125, v2, 0x4030201
	v_perm_b32 v125, v125, v14, 0x4030201
	v_pk_fma_f32 v[10:11], v[0:1], v[10:11], 0 op_sel_hi:[1,1,0]
	s_set_vgpr_msb 16                       ;  msbs: dst=0 src0=0 src1=0 src2=1
	s_delay_alu instid0(VALU_DEP_3) | instskip(NEXT) | instid1(VALU_DEP_3)
	v_dot4_i32_iu8 v126, v154, v126, v21 /*v277*/ neg_lo:[1,1,0]
	v_dot4_i32_iu8 v124, v124, v125, v7 /*v263*/ neg_lo:[1,1,0]
	v_perm_b32 v154, v15, v15, 0xc070601
	s_set_vgpr_msb 0                        ;  msbs: dst=0 src0=0 src1=0 src2=0
	s_delay_alu instid0(VALU_DEP_3) | instskip(NEXT) | instid1(VALU_DEP_2)
	v_dot4_i32_iu8 v125, v243, v251, v126 neg_lo:[1,1,0]
	v_dot4_i32_iu8 v124, v243, v154, v124 neg_lo:[1,1,0]
	s_delay_alu instid0(VALU_DEP_2) | instskip(NEXT) | instid1(VALU_DEP_2)
	v_mul_lo_u32 v126, v125, v123
	v_mul_lo_u32 v123, v124, v123
	s_delay_alu instid0(VALU_DEP_2) | instskip(NEXT) | instid1(VALU_DEP_2)
	v_cvt_f32_i32_e32 v124, v126
	v_cvt_f32_i32_e32 v125, v123
	v_pk_fma_f32 v[16:17], v[122:123], v[18:19], v[16:17] op_sel_hi:[0,1,1]
	s_delay_alu instid0(VALU_DEP_2) | instskip(NEXT) | instid1(VALU_DEP_2)
	v_pk_fma_f32 v[10:11], v[148:149], v[124:125], v[10:11]
	v_pk_mul_f32 v[16:17], v[16:17], v[112:113]
	v_perm_b32 v124, v3, v2, 0x4030201
	v_perm_b32 v125, v15, v14, 0x4030201
	;; [unrolled: 1-line block ×4, first 2 shown]
	v_pk_fma_f32 v[10:11], v[10:11], v[22:23], v[16:17] neg_lo:[0,0,1] neg_hi:[0,0,1]
	v_perm_b32 v16, v155, v7, 0x6050403
	s_set_vgpr_msb 16                       ;  msbs: dst=0 src0=0 src1=0 src2=1
	v_dot4_i32_iu8 v123, v124, v241, v19 /*v275*/ neg_lo:[1,1,0]
	v_dot4_i32_iu8 v2, v3, v2, v17 /*v273*/ neg_lo:[1,1,0]
	v_pk_add_f32 v[34:35], v[34:35], v[10:11]
	s_set_vgpr_msb 1                        ;  msbs: dst=0 src0=1 src1=0 src2=0
	v_mul_i32_i24_e32 v10, v24 /*v280*/, v156
	s_set_vgpr_msb 0                        ;  msbs: dst=0 src0=0 src1=0 src2=0
	v_perm_b32 v11, v8, v135, 0x6050403
	v_dot4_i32_iu8 v123, v242, v251, v123 neg_lo:[1,1,0]
	v_perm_b32 v3, v137, v14, 0x4030201
	v_dot4_i32_iu8 v2, v147, v251, v2 neg_lo:[1,1,0]
	s_set_vgpr_msb 1                        ;  msbs: dst=0 src0=1 src1=0 src2=0
	v_dot4_i32_iu8 v10, v25 /*v281*/, v253, v10 neg_lo:[1,1,0]
	s_set_vgpr_msb 0                        ;  msbs: dst=0 src0=0 src1=0 src2=0
	v_mul_lo_u32 v126, v123, v220
	v_mul_lo_u32 v2, v2, v209
	s_set_vgpr_msb 1                        ;  msbs: dst=0 src0=1 src1=0 src2=0
	v_dot4_i32_iu8 v10, v9 /*v265*/, v254, v10 neg_lo:[1,1,0]
	s_delay_alu instid0(VALU_DEP_1) | instskip(SKIP_1) | instid1(VALU_DEP_1)
	v_dot4_i32_iu8 v10, v10 /*v266*/, v255, v10 neg_lo:[1,1,0]
	s_set_vgpr_msb 5                        ;  msbs: dst=0 src0=1 src1=1 src2=0
	v_dot4_i32_iu8 v10, v11 /*v267*/, v0 /*v256*/, v10 neg_lo:[1,1,0]
	s_set_vgpr_msb 0                        ;  msbs: dst=0 src0=0 src1=0 src2=0
	s_delay_alu instid0(VALU_DEP_4) | instskip(NEXT) | instid1(VALU_DEP_2)
	v_cvt_f32_i32_e32 v2, v2
	v_dot4_i32_iu8 v10, v16, v11, v10 neg_lo:[1,1,0]
	s_set_vgpr_msb 1                        ;  msbs: dst=0 src0=1 src1=0 src2=0
	v_mul_i32_i24_e32 v11, v22 /*v278*/, v204
	s_set_vgpr_msb 4                        ;  msbs: dst=0 src0=0 src1=1 src2=0
	s_delay_alu instid0(VALU_DEP_2) | instskip(SKIP_1) | instid1(VALU_DEP_2)
	v_mad_i32_i24 v10, v157, v23 /*v279*/, v10
	s_set_vgpr_msb 1                        ;  msbs: dst=0 src0=1 src1=0 src2=0
	v_dot4_i32_iu8 v11, v13 /*v269*/, v205, v11 neg_lo:[1,1,0]
	s_delay_alu instid0(VALU_DEP_2) | instskip(NEXT) | instid1(VALU_DEP_2)
	v_dot4_i32_iu8 v10, v1 /*v257*/, v121, v10 neg_lo:[1,1,0]
	v_dot4_i32_iu8 v11, v14 /*v270*/, v236, v11 neg_lo:[1,1,0]
	s_set_vgpr_msb 5                        ;  msbs: dst=0 src0=1 src1=1 src2=0
	s_delay_alu instid0(VALU_DEP_2) | instskip(SKIP_1) | instid1(VALU_DEP_2)
	v_dot4_i32_iu8 v10, v2 /*v258*/, v12 /*v268*/, v10 neg_lo:[1,1,0]
	s_set_vgpr_msb 0                        ;  msbs: dst=0 src0=0 src1=0 src2=0
	v_dot4_i32_iu8 v11, v20, v237, v11 neg_lo:[1,1,0]
	s_set_vgpr_msb 4                        ;  msbs: dst=0 src0=0 src1=1 src2=0
	s_delay_alu instid0(VALU_DEP_2) | instskip(SKIP_1) | instid1(VALU_DEP_2)
	v_dot4_i32_iu8 v10, v153, v3 /*v259*/, v10 neg_lo:[1,1,0]
	s_set_vgpr_msb 1                        ;  msbs: dst=0 src0=1 src1=0 src2=0
	v_dot4_i32_iu8 v11, v5 /*v261*/, v238, v11 neg_lo:[1,1,0]
	s_delay_alu instid0(VALU_DEP_2) | instskip(NEXT) | instid1(VALU_DEP_2)
	v_dot4_i32_iu8 v10, v4 /*v260*/, v252, v10 neg_lo:[1,1,0]
	v_dot4_i32_iu8 v11, v6 /*v262*/, v239, v11 neg_lo:[1,1,0]
	s_set_vgpr_msb 0                        ;  msbs: dst=0 src0=0 src1=0 src2=0
	s_delay_alu instid0(VALU_DEP_2) | instskip(NEXT) | instid1(VALU_DEP_2)
	v_mul_lo_u32 v10, v10, v203
	v_dot4_i32_iu8 v122, v13, v240, v11 neg_lo:[1,1,0]
	s_set_vgpr_msb 20                       ;  msbs: dst=0 src0=0 src1=1 src2=1
	v_dot4_i32_iu8 v11, v152, v3 /*v259*/, v20 /*v276*/ neg_lo:[1,1,0]
	s_set_vgpr_msb 0                        ;  msbs: dst=0 src0=0 src1=0 src2=0
	s_delay_alu instid0(VALU_DEP_2) | instskip(SKIP_1) | instid1(VALU_DEP_2)
	v_dot4_i32_iu8 v122, v125, v241, v122 neg_lo:[1,1,0]
	s_set_vgpr_msb 5                        ;  msbs: dst=0 src0=1 src1=1 src2=0
	v_dot4_i32_iu8 v11, v4 /*v260*/, v8 /*v264*/, v11 neg_lo:[1,1,0]
	s_set_vgpr_msb 0                        ;  msbs: dst=0 src0=0 src1=0 src2=0
	s_delay_alu instid0(VALU_DEP_2) | instskip(NEXT) | instid1(VALU_DEP_2)
	v_dot4_i32_iu8 v122, v242, v154, v122 neg_lo:[1,1,0]
	v_mul_lo_u32 v16, v11, v203
	v_cvt_f32_i32_e32 v11, v10
	s_delay_alu instid0(VALU_DEP_3) | instskip(NEXT) | instid1(VALU_DEP_3)
	v_mul_lo_u32 v122, v122, v220
	v_cvt_f32_i32_e32 v10, v16
	v_pk_fma_f32 v[16:17], v[128:129], v[150:151], 0 op_sel_hi:[0,1,0]
	s_delay_alu instid0(VALU_DEP_3) | instskip(NEXT) | instid1(VALU_DEP_3)
	v_cvt_f32_i32_e32 v123, v122
	v_pk_fma_f32 v[10:11], v[0:1], v[10:11], 0 op_sel_hi:[1,1,0]
	v_cvt_f32_i32_e32 v122, v126
	s_delay_alu instid0(VALU_DEP_4) | instskip(NEXT) | instid1(VALU_DEP_2)
	v_pk_fma_f32 v[16:17], v[144:145], v[18:19], v[16:17] op_sel_hi:[0,1,1]
	v_pk_fma_f32 v[10:11], v[148:149], v[122:123], v[10:11]
	s_delay_alu instid0(VALU_DEP_2) | instskip(NEXT) | instid1(VALU_DEP_1)
	v_pk_mul_f32 v[16:17], v[16:17], v[114:115]
	v_pk_fma_f32 v[10:11], v[10:11], v[24:25], v[16:17] neg_lo:[0,0,1] neg_hi:[0,0,1]
	s_delay_alu instid0(VALU_DEP_1) | instskip(SKIP_2) | instid1(VALU_DEP_1)
	v_pk_add_f32 v[32:33], v[32:33], v[10:11]
	s_set_vgpr_msb 1                        ;  msbs: dst=0 src0=1 src1=0 src2=0
	v_mul_i32_i24_e32 v10, v24 /*v280*/, v213
	v_mad_i32_i24 v10, v27 /*v283*/, v214, v10
	s_set_vgpr_msb 0                        ;  msbs: dst=0 src0=0 src1=0 src2=0
	s_delay_alu instid0(VALU_DEP_1) | instskip(SKIP_1) | instid1(VALU_DEP_2)
	v_dot4_i32_iu8 v4, v4, v215, v10 neg_lo:[1,1,0]
	v_pk_fma_f32 v[10:11], v[138:139], v[150:151], 0 op_sel_hi:[0,1,0]
	v_dot4_i32_iu8 v4, v5, v216, v4 neg_lo:[1,1,0]
	v_perm_b32 v5, v7, v6, 0x5040302
	v_perm_b32 v6, v12, v133, 0x4030201
	s_delay_alu instid0(VALU_DEP_2) | instskip(SKIP_1) | instid1(VALU_DEP_1)
	v_dot4_i32_iu8 v4, v5, v217, v4 neg_lo:[1,1,0]
	v_perm_b32 v5, v8, v7, 0x5040302
	v_dot4_i32_iu8 v4, v5, v218, v4 neg_lo:[1,1,0]
	v_perm_b32 v5, v9, v8, 0x5040302
	v_perm_b32 v9, v146, v21, 0x4030201
	s_delay_alu instid0(VALU_DEP_2) | instskip(SKIP_2) | instid1(VALU_DEP_2)
	v_dot4_i32_iu8 v4, v5, v219, v4 neg_lo:[1,1,0]
	s_set_vgpr_msb 1                        ;  msbs: dst=0 src0=1 src1=0 src2=0
	v_mul_i32_i24_e32 v5, v22 /*v278*/, v222
	v_dot4_i32_iu8 v4, v12 /*v268*/, v221, v4 neg_lo:[1,1,0]
	s_delay_alu instid0(VALU_DEP_2) | instskip(SKIP_1) | instid1(VALU_DEP_2)
	v_dot4_i32_iu8 v5, v13 /*v269*/, v244, v5 neg_lo:[1,1,0]
	s_set_vgpr_msb 0                        ;  msbs: dst=0 src0=0 src1=0 src2=0
	v_dot4_i32_iu8 v4, v153, v249, v4 neg_lo:[1,1,0]
	s_set_vgpr_msb 1                        ;  msbs: dst=0 src0=1 src1=0 src2=0
	s_delay_alu instid0(VALU_DEP_2) | instskip(SKIP_1) | instid1(VALU_DEP_2)
	v_dot4_i32_iu8 v5, v14 /*v270*/, v245, v5 neg_lo:[1,1,0]
	s_set_vgpr_msb 0                        ;  msbs: dst=0 src0=0 src1=0 src2=0
	v_dot4_i32_iu8 v4, v250, v252, v4 neg_lo:[1,1,0]
	s_delay_alu instid0(VALU_DEP_2) | instskip(NEXT) | instid1(VALU_DEP_2)
	v_dot4_i32_iu8 v5, v20, v246, v5 neg_lo:[1,1,0]
	v_mul_lo_u32 v4, v4, v212
	s_delay_alu instid0(VALU_DEP_2) | instskip(SKIP_1) | instid1(VALU_DEP_1)
	v_dot4_i32_iu8 v5, v9, v6, v5 neg_lo:[1,1,0]
	s_set_vgpr_msb 4                        ;  msbs: dst=0 src0=0 src1=1 src2=0
	v_dot4_i32_iu8 v5, v247, v6 /*v262*/, v5 neg_lo:[1,1,0]
	s_set_vgpr_msb 0                        ;  msbs: dst=0 src0=0 src1=0 src2=0
	s_delay_alu instid0(VALU_DEP_1) | instskip(SKIP_3) | instid1(VALU_DEP_1)
	v_dot4_i32_iu8 v6, v248, v13, v5 neg_lo:[1,1,0]
	s_set_vgpr_msb 16                       ;  msbs: dst=0 src0=0 src1=0 src2=1
	v_dot4_i32_iu8 v5, v152, v249, v18 /*v274*/ neg_lo:[1,1,0]
	s_set_vgpr_msb 4                        ;  msbs: dst=0 src0=0 src1=1 src2=0
	v_dot4_i32_iu8 v5, v250, v8 /*v264*/, v5 neg_lo:[1,1,0]
	s_set_vgpr_msb 0                        ;  msbs: dst=0 src0=0 src1=0 src2=0
	s_delay_alu instid0(VALU_DEP_1) | instskip(SKIP_1) | instid1(VALU_DEP_2)
	v_mul_lo_u32 v9, v5, v212
	v_cvt_f32_i32_e32 v5, v4
	v_cvt_f32_i32_e32 v4, v9
	v_perm_b32 v9, v15, v136, 0x4030201
	s_delay_alu instid0(VALU_DEP_2) | instskip(NEXT) | instid1(VALU_DEP_2)
	v_pk_fma_f32 v[4:5], v[0:1], v[4:5], 0 op_sel_hi:[1,1,0]
	v_dot4_i32_iu8 v3, v9, v3, v6 neg_lo:[1,1,0]
	s_delay_alu instid0(VALU_DEP_1) | instskip(NEXT) | instid1(VALU_DEP_1)
	v_dot4_i32_iu8 v3, v147, v154, v3 neg_lo:[1,1,0]
	v_mul_lo_u32 v3, v3, v209
	s_delay_alu instid0(VALU_DEP_1) | instskip(NEXT) | instid1(VALU_DEP_1)
	v_cvt_f32_i32_e32 v3, v3
	v_pk_fma_f32 v[2:3], v[148:149], v[2:3], v[4:5]
	v_pk_fma_f32 v[4:5], v[142:143], v[18:19], v[10:11] op_sel_hi:[0,1,1]
	s_delay_alu instid0(VALU_DEP_1) | instskip(NEXT) | instid1(VALU_DEP_1)
	v_pk_mul_f32 v[4:5], v[4:5], v[116:117]
	v_pk_fma_f32 v[2:3], v[2:3], v[26:27], v[4:5] neg_lo:[0,0,1] neg_hi:[0,0,1]
	v_perm_b32 v4, v206, v7, 0x6050403
	s_delay_alu instid0(VALU_DEP_2)
	v_pk_add_f32 v[30:31], v[30:31], v[2:3]
	s_set_vgpr_msb 1                        ;  msbs: dst=0 src0=1 src1=0 src2=0
	v_mul_i32_i24_e32 v2, v24 /*v280*/, v207
	s_set_vgpr_msb 0                        ;  msbs: dst=0 src0=0 src1=0 src2=0
	v_perm_b32 v3, v8, v141, 0x6050403
	s_set_vgpr_msb 1                        ;  msbs: dst=0 src0=1 src1=0 src2=0
	s_delay_alu instid0(VALU_DEP_2) | instskip(NEXT) | instid1(VALU_DEP_1)
	v_dot4_i32_iu8 v2, v25 /*v281*/, v223, v2 neg_lo:[1,1,0]
	v_dot4_i32_iu8 v2, v9 /*v265*/, v224, v2 neg_lo:[1,1,0]
	s_delay_alu instid0(VALU_DEP_1) | instskip(NEXT) | instid1(VALU_DEP_1)
	v_dot4_i32_iu8 v2, v10 /*v266*/, v225, v2 neg_lo:[1,1,0]
	v_dot4_i32_iu8 v2, v11 /*v267*/, v140, v2 neg_lo:[1,1,0]
	s_set_vgpr_msb 0                        ;  msbs: dst=0 src0=0 src1=0 src2=0
	s_delay_alu instid0(VALU_DEP_1) | instskip(SKIP_3) | instid1(VALU_DEP_2)
	v_dot4_i32_iu8 v2, v4, v3, v2 neg_lo:[1,1,0]
	s_set_vgpr_msb 1                        ;  msbs: dst=0 src0=1 src1=0 src2=0
	v_mul_i32_i24_e32 v3, v22 /*v278*/, v211
	s_set_vgpr_msb 4                        ;  msbs: dst=0 src0=0 src1=1 src2=0
	v_mad_i32_i24 v2, v208, v23 /*v279*/, v2
	s_set_vgpr_msb 1                        ;  msbs: dst=0 src0=1 src1=0 src2=0
	s_delay_alu instid0(VALU_DEP_2) | instskip(SKIP_1) | instid1(VALU_DEP_2)
	v_dot4_i32_iu8 v3, v13 /*v269*/, v228, v3 neg_lo:[1,1,0]
	s_set_vgpr_msb 0                        ;  msbs: dst=0 src0=0 src1=0 src2=0
	v_dot4_i32_iu8 v2, v226, v121, v2 neg_lo:[1,1,0]
	s_set_vgpr_msb 1                        ;  msbs: dst=0 src0=1 src1=0 src2=0
	s_delay_alu instid0(VALU_DEP_2) | instskip(SKIP_1) | instid1(VALU_DEP_2)
	v_dot4_i32_iu8 v3, v14 /*v270*/, v229, v3 neg_lo:[1,1,0]
	s_set_vgpr_msb 4                        ;  msbs: dst=0 src0=0 src1=1 src2=0
	v_dot4_i32_iu8 v2, v227, v12 /*v268*/, v2 neg_lo:[1,1,0]
	s_set_vgpr_msb 0                        ;  msbs: dst=0 src0=0 src1=0 src2=0
	s_delay_alu instid0(VALU_DEP_2) | instskip(NEXT) | instid1(VALU_DEP_2)
	v_dot4_i32_iu8 v3, v20, v230, v3 neg_lo:[1,1,0]
	v_dot4_i32_iu8 v2, v153, v234, v2 neg_lo:[1,1,0]
	s_set_vgpr_msb 4                        ;  msbs: dst=0 src0=0 src1=1 src2=0
	s_delay_alu instid0(VALU_DEP_2) | instskip(SKIP_1) | instid1(VALU_DEP_2)
	v_dot4_i32_iu8 v3, v231, v5 /*v261*/, v3 neg_lo:[1,1,0]
	s_set_vgpr_msb 0                        ;  msbs: dst=0 src0=0 src1=0 src2=0
	v_dot4_i32_iu8 v2, v235, v252, v2 neg_lo:[1,1,0]
	s_set_vgpr_msb 4                        ;  msbs: dst=0 src0=0 src1=1 src2=0
	s_delay_alu instid0(VALU_DEP_2) | instskip(SKIP_1) | instid1(VALU_DEP_2)
	v_dot4_i32_iu8 v3, v232, v6 /*v262*/, v3 neg_lo:[1,1,0]
	s_set_vgpr_msb 0                        ;  msbs: dst=0 src0=0 src1=0 src2=0
	v_mul_lo_u32 v2, v2, v210
	s_delay_alu instid0(VALU_DEP_2) | instskip(SKIP_3) | instid1(VALU_DEP_2)
	v_dot4_i32_iu8 v4, v233, v13, v3 neg_lo:[1,1,0]
	s_set_vgpr_msb 16                       ;  msbs: dst=0 src0=0 src1=0 src2=1
	v_dot4_i32_iu8 v3, v152, v234, v16 /*v272*/ neg_lo:[1,1,0]
	s_set_vgpr_msb 0                        ;  msbs: dst=0 src0=0 src1=0 src2=0
	v_dot4_i32_iu8 v4, v125, v132, v4 neg_lo:[1,1,0]
	s_set_vgpr_msb 4                        ;  msbs: dst=0 src0=0 src1=1 src2=0
	s_delay_alu instid0(VALU_DEP_2) | instskip(SKIP_1) | instid1(VALU_DEP_2)
	v_dot4_i32_iu8 v3, v235, v8 /*v264*/, v3 neg_lo:[1,1,0]
	s_set_vgpr_msb 0                        ;  msbs: dst=0 src0=0 src1=0 src2=0
	v_dot4_i32_iu8 v4, v134, v154, v4 neg_lo:[1,1,0]
	s_delay_alu instid0(VALU_DEP_2) | instskip(SKIP_1) | instid1(VALU_DEP_3)
	v_mul_lo_u32 v5, v3, v210
	v_cvt_f32_i32_e32 v3, v2
	v_mul_lo_u32 v4, v4, v145
	s_delay_alu instid0(VALU_DEP_3) | instskip(SKIP_2) | instid1(VALU_DEP_2)
	v_cvt_f32_i32_e32 v2, v5
	s_set_vgpr_msb 16                       ;  msbs: dst=0 src0=0 src1=0 src2=1
	v_dot4_i32_iu8 v5, v124, v132, v15 /*v271*/ neg_lo:[1,1,0]
	v_pk_fma_f32 v[0:1], v[0:1], v[2:3], 0 op_sel_hi:[1,1,0]
	s_set_vgpr_msb 0                        ;  msbs: dst=0 src0=0 src1=0 src2=0
	s_delay_alu instid0(VALU_DEP_2) | instskip(SKIP_1) | instid1(VALU_DEP_2)
	v_dot4_i32_iu8 v5, v134, v251, v5 neg_lo:[1,1,0]
	v_pk_fma_f32 v[2:3], v[130:131], v[150:151], 0 op_sel_hi:[0,1,0]
	v_mul_lo_u32 v6, v5, v145
	v_cvt_f32_i32_e32 v5, v4
	s_delay_alu instid0(VALU_DEP_3) | instskip(NEXT) | instid1(VALU_DEP_1)
	v_pk_fma_f32 v[2:3], v[120:121], v[18:19], v[2:3] op_sel_hi:[0,1,1]
	v_pk_mul_f32 v[2:3], v[2:3], v[118:119]
	s_delay_alu instid0(VALU_DEP_4) | instskip(NEXT) | instid1(VALU_DEP_1)
	v_cvt_f32_i32_e32 v4, v6
	v_pk_fma_f32 v[0:1], v[148:149], v[4:5], v[0:1]
	s_delay_alu instid0(VALU_DEP_1) | instskip(NEXT) | instid1(VALU_DEP_1)
	v_pk_fma_f32 v[0:1], v[0:1], v[110:111], v[2:3] neg_lo:[0,0,1] neg_hi:[0,0,1]
	v_pk_add_f32 v[28:29], v[28:29], v[0:1]
	s_cbranch_scc1 .LBB174_8
; %bb.9:                                ;   in Loop: Header=BB174_5 Depth=1
	s_add_co_i32 s0, s0, 1
	s_delay_alu instid0(SALU_CYCLE_1)
	s_cmp_eq_u32 s0, s17
	s_barrier_signal -1
	s_barrier_wait -1
	s_cbranch_scc0 .LBB174_5
; %bb.10:
	v_dual_mov_b32 v1, v65 :: v_dual_mov_b32 v2, v71
.LBB174_11:
	s_wait_xcnt 0x0
	s_mov_b32 s0, exec_lo
	v_cmpx_gt_u32_e64 s6, v73
	s_cbranch_execz .LBB174_62
; %bb.12:
	v_mul_lo_u32 v5, v73, s14
	v_add_nc_u32_e32 v0, s16, v2
	s_delay_alu instid0(VALU_DEP_1)
	v_cmp_gt_u32_e32 vcc_lo, s14, v0
	s_and_saveexec_b32 s1, vcc_lo
	s_cbranch_execz .LBB174_14
; %bb.13:
	v_bfe_u32 v2, v62, 16, 1
	v_cmp_o_f32_e64 s0, v62, v62
	v_add_nc_u32_e32 v3, v0, v5
	s_delay_alu instid0(VALU_DEP_3) | instskip(NEXT) | instid1(VALU_DEP_1)
	v_add3_u32 v2, v62, v2, 0x7fff
	v_lshrrev_b32_e32 v2, 16, v2
	s_delay_alu instid0(VALU_DEP_1)
	v_cndmask_b32_e64 v2, 0x7fc0, v2, s0
	s_wait_kmcnt 0x0
	global_store_b16 v3, v2, s[12:13] scale_offset
.LBB174_14:
	s_wait_xcnt 0x0
	s_or_b32 exec_lo, exec_lo, s1
	v_add_nc_u32_e32 v2, 32, v0
	s_delay_alu instid0(VALU_DEP_1)
	v_cmp_gt_u32_e64 s0, s14, v2
	s_and_saveexec_b32 s2, s0
	s_cbranch_execz .LBB174_16
; %bb.15:
	v_bfe_u32 v3, v60, 16, 1
	v_cmp_o_f32_e64 s1, v60, v60
	v_add_nc_u32_e32 v4, v2, v5
	s_delay_alu instid0(VALU_DEP_3) | instskip(NEXT) | instid1(VALU_DEP_1)
	v_add3_u32 v3, v60, v3, 0x7fff
	v_lshrrev_b32_e32 v3, 16, v3
	s_delay_alu instid0(VALU_DEP_1)
	v_cndmask_b32_e64 v3, 0x7fc0, v3, s1
	s_wait_kmcnt 0x0
	global_store_b16 v4, v3, s[12:13] scale_offset
.LBB174_16:
	s_wait_xcnt 0x0
	s_or_b32 exec_lo, exec_lo, s2
	v_add_nc_u32_e32 v3, 64, v0
	s_delay_alu instid0(VALU_DEP_1)
	v_cmp_gt_u32_e64 s1, s14, v3
	s_and_saveexec_b32 s3, s1
	;; [unrolled: 19-line block ×3, first 2 shown]
	s_cbranch_execz .LBB174_20
; %bb.19:
	v_bfe_u32 v6, v56, 16, 1
	v_cmp_o_f32_e64 s3, v56, v56
	v_add_nc_u32_e32 v5, v4, v5
	s_delay_alu instid0(VALU_DEP_3) | instskip(NEXT) | instid1(VALU_DEP_1)
	v_add3_u32 v6, v56, v6, 0x7fff
	v_lshrrev_b32_e32 v6, 16, v6
	s_delay_alu instid0(VALU_DEP_1)
	v_cndmask_b32_e64 v6, 0x7fc0, v6, s3
	s_wait_kmcnt 0x0
	global_store_b16 v5, v6, s[12:13] scale_offset
.LBB174_20:
	s_wait_xcnt 0x0
	s_or_b32 exec_lo, exec_lo, s4
	v_add3_u32 v5, v1, s15, 8
	s_delay_alu instid0(VALU_DEP_1)
	v_cmp_gt_u32_e64 s3, s6, v5
	s_and_b32 exec_lo, exec_lo, s3
	s_cbranch_execz .LBB174_62
; %bb.21:
	v_mul_lo_u32 v5, v5, s14
	s_and_saveexec_b32 s4, vcc_lo
	s_cbranch_execnz .LBB174_63
; %bb.22:
	s_or_b32 exec_lo, exec_lo, s4
	s_and_saveexec_b32 s4, s0
	s_cbranch_execnz .LBB174_64
.LBB174_23:
	s_or_b32 exec_lo, exec_lo, s4
	s_and_saveexec_b32 s4, s1
	s_cbranch_execnz .LBB174_65
.LBB174_24:
	s_or_b32 exec_lo, exec_lo, s4
	s_and_saveexec_b32 s4, s2
	s_cbranch_execz .LBB174_26
.LBB174_25:
	v_bfe_u32 v6, v57, 16, 1
	v_cmp_o_f32_e64 s3, v57, v57
	v_add_nc_u32_e32 v5, v5, v4
	s_delay_alu instid0(VALU_DEP_3) | instskip(NEXT) | instid1(VALU_DEP_1)
	v_add3_u32 v6, v57, v6, 0x7fff
	v_lshrrev_b32_e32 v6, 16, v6
	s_delay_alu instid0(VALU_DEP_1)
	v_cndmask_b32_e64 v6, 0x7fc0, v6, s3
	s_wait_kmcnt 0x0
	global_store_b16 v5, v6, s[12:13] scale_offset
.LBB174_26:
	s_wait_xcnt 0x0
	s_or_b32 exec_lo, exec_lo, s4
	v_add3_u32 v5, v1, s15, 16
	s_delay_alu instid0(VALU_DEP_1)
	v_cmp_gt_u32_e64 s3, s6, v5
	s_and_b32 exec_lo, exec_lo, s3
	s_cbranch_execz .LBB174_62
; %bb.27:
	v_mul_lo_u32 v5, v5, s14
	s_and_saveexec_b32 s4, vcc_lo
	s_cbranch_execnz .LBB174_66
; %bb.28:
	s_or_b32 exec_lo, exec_lo, s4
	s_and_saveexec_b32 s4, s0
	s_cbranch_execnz .LBB174_67
.LBB174_29:
	s_or_b32 exec_lo, exec_lo, s4
	s_and_saveexec_b32 s4, s1
	s_cbranch_execnz .LBB174_68
.LBB174_30:
	s_or_b32 exec_lo, exec_lo, s4
	s_and_saveexec_b32 s4, s2
	s_cbranch_execz .LBB174_32
.LBB174_31:
	v_bfe_u32 v6, v48, 16, 1
	v_cmp_o_f32_e64 s3, v48, v48
	v_add_nc_u32_e32 v5, v5, v4
	s_delay_alu instid0(VALU_DEP_3) | instskip(NEXT) | instid1(VALU_DEP_1)
	v_add3_u32 v6, v48, v6, 0x7fff
	v_lshrrev_b32_e32 v6, 16, v6
	s_delay_alu instid0(VALU_DEP_1)
	v_cndmask_b32_e64 v6, 0x7fc0, v6, s3
	s_wait_kmcnt 0x0
	global_store_b16 v5, v6, s[12:13] scale_offset
.LBB174_32:
	s_wait_xcnt 0x0
	s_or_b32 exec_lo, exec_lo, s4
	v_add3_u32 v5, v1, s15, 24
	s_delay_alu instid0(VALU_DEP_1)
	v_cmp_gt_u32_e64 s3, s6, v5
	s_and_b32 exec_lo, exec_lo, s3
	s_cbranch_execz .LBB174_62
; %bb.33:
	v_mul_lo_u32 v5, v5, s14
	s_and_saveexec_b32 s4, vcc_lo
	s_cbranch_execnz .LBB174_69
; %bb.34:
	s_or_b32 exec_lo, exec_lo, s4
	s_and_saveexec_b32 s4, s0
	s_cbranch_execnz .LBB174_70
.LBB174_35:
	s_or_b32 exec_lo, exec_lo, s4
	s_and_saveexec_b32 s4, s1
	s_cbranch_execnz .LBB174_71
.LBB174_36:
	s_or_b32 exec_lo, exec_lo, s4
	s_and_saveexec_b32 s4, s2
	s_cbranch_execz .LBB174_38
.LBB174_37:
	v_bfe_u32 v6, v49, 16, 1
	v_cmp_o_f32_e64 s3, v49, v49
	v_add_nc_u32_e32 v5, v5, v4
	s_delay_alu instid0(VALU_DEP_3) | instskip(NEXT) | instid1(VALU_DEP_1)
	v_add3_u32 v6, v49, v6, 0x7fff
	v_lshrrev_b32_e32 v6, 16, v6
	s_delay_alu instid0(VALU_DEP_1)
	v_cndmask_b32_e64 v6, 0x7fc0, v6, s3
	s_wait_kmcnt 0x0
	global_store_b16 v5, v6, s[12:13] scale_offset
.LBB174_38:
	s_wait_xcnt 0x0
	s_or_b32 exec_lo, exec_lo, s4
	v_add3_u32 v5, v1, s15, 32
	s_delay_alu instid0(VALU_DEP_1)
	v_cmp_gt_u32_e64 s3, s6, v5
	s_and_b32 exec_lo, exec_lo, s3
	s_cbranch_execz .LBB174_62
; %bb.39:
	v_mul_lo_u32 v5, v5, s14
	s_and_saveexec_b32 s4, vcc_lo
	s_cbranch_execnz .LBB174_72
; %bb.40:
	s_or_b32 exec_lo, exec_lo, s4
	s_and_saveexec_b32 s4, s0
	s_cbranch_execnz .LBB174_73
.LBB174_41:
	s_or_b32 exec_lo, exec_lo, s4
	s_and_saveexec_b32 s4, s1
	s_cbranch_execnz .LBB174_74
.LBB174_42:
	s_or_b32 exec_lo, exec_lo, s4
	s_and_saveexec_b32 s4, s2
	s_cbranch_execz .LBB174_44
.LBB174_43:
	v_bfe_u32 v6, v36, 16, 1
	v_cmp_o_f32_e64 s3, v36, v36
	v_add_nc_u32_e32 v5, v5, v4
	s_delay_alu instid0(VALU_DEP_3) | instskip(NEXT) | instid1(VALU_DEP_1)
	v_add3_u32 v6, v36, v6, 0x7fff
	v_lshrrev_b32_e32 v6, 16, v6
	s_delay_alu instid0(VALU_DEP_1)
	v_cndmask_b32_e64 v6, 0x7fc0, v6, s3
	s_wait_kmcnt 0x0
	global_store_b16 v5, v6, s[12:13] scale_offset
.LBB174_44:
	s_wait_xcnt 0x0
	s_or_b32 exec_lo, exec_lo, s4
	v_add3_u32 v5, v1, s15, 40
	s_delay_alu instid0(VALU_DEP_1)
	v_cmp_gt_u32_e64 s3, s6, v5
	s_and_b32 exec_lo, exec_lo, s3
	s_cbranch_execz .LBB174_62
; %bb.45:
	v_mul_lo_u32 v5, v5, s14
	s_and_saveexec_b32 s4, vcc_lo
	s_cbranch_execnz .LBB174_75
; %bb.46:
	s_or_b32 exec_lo, exec_lo, s4
	s_and_saveexec_b32 s4, s0
	s_cbranch_execnz .LBB174_76
.LBB174_47:
	s_or_b32 exec_lo, exec_lo, s4
	s_and_saveexec_b32 s4, s1
	s_cbranch_execnz .LBB174_77
.LBB174_48:
	s_or_b32 exec_lo, exec_lo, s4
	s_and_saveexec_b32 s4, s2
	s_cbranch_execz .LBB174_50
.LBB174_49:
	v_bfe_u32 v6, v37, 16, 1
	v_cmp_o_f32_e64 s3, v37, v37
	v_add_nc_u32_e32 v5, v5, v4
	s_delay_alu instid0(VALU_DEP_3) | instskip(NEXT) | instid1(VALU_DEP_1)
	v_add3_u32 v6, v37, v6, 0x7fff
	v_lshrrev_b32_e32 v6, 16, v6
	s_delay_alu instid0(VALU_DEP_1)
	v_cndmask_b32_e64 v6, 0x7fc0, v6, s3
	s_wait_kmcnt 0x0
	global_store_b16 v5, v6, s[12:13] scale_offset
.LBB174_50:
	s_wait_xcnt 0x0
	s_or_b32 exec_lo, exec_lo, s4
	v_add3_u32 v5, v1, s15, 48
	s_delay_alu instid0(VALU_DEP_1)
	v_cmp_gt_u32_e64 s3, s6, v5
	s_and_b32 exec_lo, exec_lo, s3
	s_cbranch_execz .LBB174_62
; %bb.51:
	v_mul_lo_u32 v5, v5, s14
	s_and_saveexec_b32 s4, vcc_lo
	s_cbranch_execnz .LBB174_78
; %bb.52:
	s_or_b32 exec_lo, exec_lo, s4
	s_and_saveexec_b32 s4, s0
	s_cbranch_execnz .LBB174_79
.LBB174_53:
	s_or_b32 exec_lo, exec_lo, s4
	s_and_saveexec_b32 s4, s1
	s_cbranch_execnz .LBB174_80
.LBB174_54:
	s_or_b32 exec_lo, exec_lo, s4
	s_and_saveexec_b32 s4, s2
	s_cbranch_execz .LBB174_56
.LBB174_55:
	v_bfe_u32 v6, v28, 16, 1
	v_cmp_o_f32_e64 s3, v28, v28
	v_add_nc_u32_e32 v5, v5, v4
	s_delay_alu instid0(VALU_DEP_3) | instskip(NEXT) | instid1(VALU_DEP_1)
	v_add3_u32 v6, v28, v6, 0x7fff
	v_lshrrev_b32_e32 v6, 16, v6
	s_delay_alu instid0(VALU_DEP_1)
	v_cndmask_b32_e64 v6, 0x7fc0, v6, s3
	s_wait_kmcnt 0x0
	global_store_b16 v5, v6, s[12:13] scale_offset
.LBB174_56:
	s_wait_xcnt 0x0
	s_or_b32 exec_lo, exec_lo, s4
	v_add3_u32 v1, v1, s15, 56
	s_delay_alu instid0(VALU_DEP_1)
	v_cmp_gt_u32_e64 s3, s6, v1
	s_and_b32 exec_lo, exec_lo, s3
	s_cbranch_execz .LBB174_62
; %bb.57:
	v_mul_lo_u32 v1, v1, s14
	s_and_saveexec_b32 s3, vcc_lo
	s_cbranch_execnz .LBB174_81
; %bb.58:
	s_or_b32 exec_lo, exec_lo, s3
	s_and_saveexec_b32 s3, s0
	s_cbranch_execnz .LBB174_82
.LBB174_59:
	s_or_b32 exec_lo, exec_lo, s3
	s_and_saveexec_b32 s0, s1
	s_cbranch_execnz .LBB174_83
.LBB174_60:
	s_or_b32 exec_lo, exec_lo, s0
	s_delay_alu instid0(SALU_CYCLE_1)
	s_and_b32 exec_lo, exec_lo, s2
	s_cbranch_execz .LBB174_62
.LBB174_61:
	v_bfe_u32 v0, v29, 16, 1
	v_cmp_o_f32_e32 vcc_lo, v29, v29
	v_add_nc_u32_e32 v1, v1, v4
	s_delay_alu instid0(VALU_DEP_3) | instskip(NEXT) | instid1(VALU_DEP_1)
	v_add3_u32 v0, v29, v0, 0x7fff
	v_lshrrev_b32_e32 v0, 16, v0
	s_delay_alu instid0(VALU_DEP_1)
	v_cndmask_b32_e32 v0, 0x7fc0, v0, vcc_lo
	s_wait_kmcnt 0x0
	global_store_b16 v1, v0, s[12:13] scale_offset
.LBB174_62:
	s_sendmsg sendmsg(MSG_DEALLOC_VGPRS)
	s_endpgm
.LBB174_63:
	v_bfe_u32 v6, v63, 16, 1
	v_cmp_o_f32_e64 s3, v63, v63
	s_delay_alu instid0(VALU_DEP_3) | instskip(NEXT) | instid1(VALU_DEP_3)
	v_add_nc_u32_e32 v7, v5, v0
	v_add3_u32 v6, v63, v6, 0x7fff
	s_delay_alu instid0(VALU_DEP_1) | instskip(NEXT) | instid1(VALU_DEP_1)
	v_lshrrev_b32_e32 v6, 16, v6
	v_cndmask_b32_e64 v6, 0x7fc0, v6, s3
	s_wait_kmcnt 0x0
	global_store_b16 v7, v6, s[12:13] scale_offset
	s_wait_xcnt 0x0
	s_or_b32 exec_lo, exec_lo, s4
	s_and_saveexec_b32 s4, s0
	s_cbranch_execz .LBB174_23
.LBB174_64:
	v_bfe_u32 v6, v61, 16, 1
	v_cmp_o_f32_e64 s3, v61, v61
	s_delay_alu instid0(VALU_DEP_3) | instskip(NEXT) | instid1(VALU_DEP_3)
	v_add_nc_u32_e32 v7, v5, v2
	v_add3_u32 v6, v61, v6, 0x7fff
	s_delay_alu instid0(VALU_DEP_1) | instskip(NEXT) | instid1(VALU_DEP_1)
	v_lshrrev_b32_e32 v6, 16, v6
	v_cndmask_b32_e64 v6, 0x7fc0, v6, s3
	s_wait_kmcnt 0x0
	global_store_b16 v7, v6, s[12:13] scale_offset
	s_wait_xcnt 0x0
	s_or_b32 exec_lo, exec_lo, s4
	s_and_saveexec_b32 s4, s1
	s_cbranch_execz .LBB174_24
.LBB174_65:
	v_bfe_u32 v6, v59, 16, 1
	v_cmp_o_f32_e64 s3, v59, v59
	v_add_nc_u32_e32 v7, v5, v3
	s_delay_alu instid0(VALU_DEP_3) | instskip(NEXT) | instid1(VALU_DEP_1)
	v_add3_u32 v6, v59, v6, 0x7fff
	v_lshrrev_b32_e32 v6, 16, v6
	s_delay_alu instid0(VALU_DEP_1)
	v_cndmask_b32_e64 v6, 0x7fc0, v6, s3
	s_wait_kmcnt 0x0
	global_store_b16 v7, v6, s[12:13] scale_offset
	s_wait_xcnt 0x0
	s_or_b32 exec_lo, exec_lo, s4
	s_and_saveexec_b32 s4, s2
	s_cbranch_execnz .LBB174_25
	s_branch .LBB174_26
.LBB174_66:
	v_bfe_u32 v6, v54, 16, 1
	v_cmp_o_f32_e64 s3, v54, v54
	s_delay_alu instid0(VALU_DEP_3) | instskip(NEXT) | instid1(VALU_DEP_3)
	v_add_nc_u32_e32 v7, v5, v0
	v_add3_u32 v6, v54, v6, 0x7fff
	s_delay_alu instid0(VALU_DEP_1) | instskip(NEXT) | instid1(VALU_DEP_1)
	v_lshrrev_b32_e32 v6, 16, v6
	v_cndmask_b32_e64 v6, 0x7fc0, v6, s3
	s_wait_kmcnt 0x0
	global_store_b16 v7, v6, s[12:13] scale_offset
	s_wait_xcnt 0x0
	s_or_b32 exec_lo, exec_lo, s4
	s_and_saveexec_b32 s4, s0
	s_cbranch_execz .LBB174_29
.LBB174_67:
	v_bfe_u32 v6, v52, 16, 1
	v_cmp_o_f32_e64 s3, v52, v52
	s_delay_alu instid0(VALU_DEP_3) | instskip(NEXT) | instid1(VALU_DEP_3)
	v_add_nc_u32_e32 v7, v5, v2
	v_add3_u32 v6, v52, v6, 0x7fff
	s_delay_alu instid0(VALU_DEP_1) | instskip(NEXT) | instid1(VALU_DEP_1)
	v_lshrrev_b32_e32 v6, 16, v6
	v_cndmask_b32_e64 v6, 0x7fc0, v6, s3
	s_wait_kmcnt 0x0
	global_store_b16 v7, v6, s[12:13] scale_offset
	s_wait_xcnt 0x0
	s_or_b32 exec_lo, exec_lo, s4
	s_and_saveexec_b32 s4, s1
	s_cbranch_execz .LBB174_30
.LBB174_68:
	v_bfe_u32 v6, v50, 16, 1
	v_cmp_o_f32_e64 s3, v50, v50
	v_add_nc_u32_e32 v7, v5, v3
	s_delay_alu instid0(VALU_DEP_3) | instskip(NEXT) | instid1(VALU_DEP_1)
	v_add3_u32 v6, v50, v6, 0x7fff
	v_lshrrev_b32_e32 v6, 16, v6
	s_delay_alu instid0(VALU_DEP_1)
	v_cndmask_b32_e64 v6, 0x7fc0, v6, s3
	s_wait_kmcnt 0x0
	global_store_b16 v7, v6, s[12:13] scale_offset
	s_wait_xcnt 0x0
	s_or_b32 exec_lo, exec_lo, s4
	s_and_saveexec_b32 s4, s2
	s_cbranch_execnz .LBB174_31
	s_branch .LBB174_32
.LBB174_69:
	v_bfe_u32 v6, v55, 16, 1
	v_cmp_o_f32_e64 s3, v55, v55
	s_delay_alu instid0(VALU_DEP_3) | instskip(NEXT) | instid1(VALU_DEP_3)
	v_add_nc_u32_e32 v7, v5, v0
	v_add3_u32 v6, v55, v6, 0x7fff
	s_delay_alu instid0(VALU_DEP_1) | instskip(NEXT) | instid1(VALU_DEP_1)
	v_lshrrev_b32_e32 v6, 16, v6
	v_cndmask_b32_e64 v6, 0x7fc0, v6, s3
	s_wait_kmcnt 0x0
	global_store_b16 v7, v6, s[12:13] scale_offset
	s_wait_xcnt 0x0
	s_or_b32 exec_lo, exec_lo, s4
	s_and_saveexec_b32 s4, s0
	s_cbranch_execz .LBB174_35
.LBB174_70:
	v_bfe_u32 v6, v53, 16, 1
	v_cmp_o_f32_e64 s3, v53, v53
	s_delay_alu instid0(VALU_DEP_3) | instskip(NEXT) | instid1(VALU_DEP_3)
	v_add_nc_u32_e32 v7, v5, v2
	v_add3_u32 v6, v53, v6, 0x7fff
	s_delay_alu instid0(VALU_DEP_1) | instskip(NEXT) | instid1(VALU_DEP_1)
	v_lshrrev_b32_e32 v6, 16, v6
	v_cndmask_b32_e64 v6, 0x7fc0, v6, s3
	s_wait_kmcnt 0x0
	global_store_b16 v7, v6, s[12:13] scale_offset
	s_wait_xcnt 0x0
	s_or_b32 exec_lo, exec_lo, s4
	s_and_saveexec_b32 s4, s1
	s_cbranch_execz .LBB174_36
.LBB174_71:
	v_bfe_u32 v6, v51, 16, 1
	v_cmp_o_f32_e64 s3, v51, v51
	v_add_nc_u32_e32 v7, v5, v3
	s_delay_alu instid0(VALU_DEP_3) | instskip(NEXT) | instid1(VALU_DEP_1)
	v_add3_u32 v6, v51, v6, 0x7fff
	v_lshrrev_b32_e32 v6, 16, v6
	s_delay_alu instid0(VALU_DEP_1)
	v_cndmask_b32_e64 v6, 0x7fc0, v6, s3
	s_wait_kmcnt 0x0
	global_store_b16 v7, v6, s[12:13] scale_offset
	s_wait_xcnt 0x0
	s_or_b32 exec_lo, exec_lo, s4
	s_and_saveexec_b32 s4, s2
	s_cbranch_execnz .LBB174_37
	s_branch .LBB174_38
.LBB174_72:
	v_bfe_u32 v6, v44, 16, 1
	v_cmp_o_f32_e64 s3, v44, v44
	s_delay_alu instid0(VALU_DEP_3) | instskip(NEXT) | instid1(VALU_DEP_3)
	v_add_nc_u32_e32 v7, v5, v0
	v_add3_u32 v6, v44, v6, 0x7fff
	s_delay_alu instid0(VALU_DEP_1) | instskip(NEXT) | instid1(VALU_DEP_1)
	v_lshrrev_b32_e32 v6, 16, v6
	v_cndmask_b32_e64 v6, 0x7fc0, v6, s3
	s_wait_kmcnt 0x0
	global_store_b16 v7, v6, s[12:13] scale_offset
	s_wait_xcnt 0x0
	s_or_b32 exec_lo, exec_lo, s4
	s_and_saveexec_b32 s4, s0
	s_cbranch_execz .LBB174_41
.LBB174_73:
	v_bfe_u32 v6, v40, 16, 1
	v_cmp_o_f32_e64 s3, v40, v40
	s_delay_alu instid0(VALU_DEP_3) | instskip(NEXT) | instid1(VALU_DEP_3)
	v_add_nc_u32_e32 v7, v5, v2
	v_add3_u32 v6, v40, v6, 0x7fff
	s_delay_alu instid0(VALU_DEP_1) | instskip(NEXT) | instid1(VALU_DEP_1)
	v_lshrrev_b32_e32 v6, 16, v6
	v_cndmask_b32_e64 v6, 0x7fc0, v6, s3
	s_wait_kmcnt 0x0
	global_store_b16 v7, v6, s[12:13] scale_offset
	s_wait_xcnt 0x0
	s_or_b32 exec_lo, exec_lo, s4
	s_and_saveexec_b32 s4, s1
	s_cbranch_execz .LBB174_42
.LBB174_74:
	v_bfe_u32 v6, v38, 16, 1
	v_cmp_o_f32_e64 s3, v38, v38
	v_add_nc_u32_e32 v7, v5, v3
	s_delay_alu instid0(VALU_DEP_3) | instskip(NEXT) | instid1(VALU_DEP_1)
	v_add3_u32 v6, v38, v6, 0x7fff
	v_lshrrev_b32_e32 v6, 16, v6
	s_delay_alu instid0(VALU_DEP_1)
	v_cndmask_b32_e64 v6, 0x7fc0, v6, s3
	s_wait_kmcnt 0x0
	global_store_b16 v7, v6, s[12:13] scale_offset
	s_wait_xcnt 0x0
	s_or_b32 exec_lo, exec_lo, s4
	s_and_saveexec_b32 s4, s2
	s_cbranch_execnz .LBB174_43
	s_branch .LBB174_44
.LBB174_75:
	v_bfe_u32 v6, v45, 16, 1
	v_cmp_o_f32_e64 s3, v45, v45
	s_delay_alu instid0(VALU_DEP_3) | instskip(NEXT) | instid1(VALU_DEP_3)
	v_add_nc_u32_e32 v7, v5, v0
	v_add3_u32 v6, v45, v6, 0x7fff
	s_delay_alu instid0(VALU_DEP_1) | instskip(NEXT) | instid1(VALU_DEP_1)
	v_lshrrev_b32_e32 v6, 16, v6
	v_cndmask_b32_e64 v6, 0x7fc0, v6, s3
	s_wait_kmcnt 0x0
	global_store_b16 v7, v6, s[12:13] scale_offset
	s_wait_xcnt 0x0
	s_or_b32 exec_lo, exec_lo, s4
	s_and_saveexec_b32 s4, s0
	s_cbranch_execz .LBB174_47
.LBB174_76:
	v_bfe_u32 v6, v41, 16, 1
	v_cmp_o_f32_e64 s3, v41, v41
	s_delay_alu instid0(VALU_DEP_3) | instskip(NEXT) | instid1(VALU_DEP_3)
	v_add_nc_u32_e32 v7, v5, v2
	v_add3_u32 v6, v41, v6, 0x7fff
	s_delay_alu instid0(VALU_DEP_1) | instskip(NEXT) | instid1(VALU_DEP_1)
	v_lshrrev_b32_e32 v6, 16, v6
	v_cndmask_b32_e64 v6, 0x7fc0, v6, s3
	s_wait_kmcnt 0x0
	global_store_b16 v7, v6, s[12:13] scale_offset
	s_wait_xcnt 0x0
	s_or_b32 exec_lo, exec_lo, s4
	s_and_saveexec_b32 s4, s1
	s_cbranch_execz .LBB174_48
.LBB174_77:
	v_bfe_u32 v6, v39, 16, 1
	v_cmp_o_f32_e64 s3, v39, v39
	v_add_nc_u32_e32 v7, v5, v3
	s_delay_alu instid0(VALU_DEP_3) | instskip(NEXT) | instid1(VALU_DEP_1)
	v_add3_u32 v6, v39, v6, 0x7fff
	v_lshrrev_b32_e32 v6, 16, v6
	s_delay_alu instid0(VALU_DEP_1)
	v_cndmask_b32_e64 v6, 0x7fc0, v6, s3
	s_wait_kmcnt 0x0
	global_store_b16 v7, v6, s[12:13] scale_offset
	s_wait_xcnt 0x0
	s_or_b32 exec_lo, exec_lo, s4
	s_and_saveexec_b32 s4, s2
	s_cbranch_execnz .LBB174_49
	s_branch .LBB174_50
.LBB174_78:
	v_bfe_u32 v6, v34, 16, 1
	v_cmp_o_f32_e64 s3, v34, v34
	s_delay_alu instid0(VALU_DEP_3) | instskip(NEXT) | instid1(VALU_DEP_3)
	v_add_nc_u32_e32 v7, v5, v0
	v_add3_u32 v6, v34, v6, 0x7fff
	s_delay_alu instid0(VALU_DEP_1) | instskip(NEXT) | instid1(VALU_DEP_1)
	v_lshrrev_b32_e32 v6, 16, v6
	v_cndmask_b32_e64 v6, 0x7fc0, v6, s3
	s_wait_kmcnt 0x0
	global_store_b16 v7, v6, s[12:13] scale_offset
	s_wait_xcnt 0x0
	s_or_b32 exec_lo, exec_lo, s4
	s_and_saveexec_b32 s4, s0
	s_cbranch_execz .LBB174_53
.LBB174_79:
	v_bfe_u32 v6, v32, 16, 1
	v_cmp_o_f32_e64 s3, v32, v32
	s_delay_alu instid0(VALU_DEP_3) | instskip(NEXT) | instid1(VALU_DEP_3)
	v_add_nc_u32_e32 v7, v5, v2
	v_add3_u32 v6, v32, v6, 0x7fff
	s_delay_alu instid0(VALU_DEP_1) | instskip(NEXT) | instid1(VALU_DEP_1)
	v_lshrrev_b32_e32 v6, 16, v6
	v_cndmask_b32_e64 v6, 0x7fc0, v6, s3
	s_wait_kmcnt 0x0
	global_store_b16 v7, v6, s[12:13] scale_offset
	s_wait_xcnt 0x0
	s_or_b32 exec_lo, exec_lo, s4
	s_and_saveexec_b32 s4, s1
	s_cbranch_execz .LBB174_54
.LBB174_80:
	v_bfe_u32 v6, v30, 16, 1
	v_cmp_o_f32_e64 s3, v30, v30
	v_add_nc_u32_e32 v7, v5, v3
	s_delay_alu instid0(VALU_DEP_3) | instskip(NEXT) | instid1(VALU_DEP_1)
	v_add3_u32 v6, v30, v6, 0x7fff
	v_lshrrev_b32_e32 v6, 16, v6
	s_delay_alu instid0(VALU_DEP_1)
	v_cndmask_b32_e64 v6, 0x7fc0, v6, s3
	s_wait_kmcnt 0x0
	global_store_b16 v7, v6, s[12:13] scale_offset
	s_wait_xcnt 0x0
	s_or_b32 exec_lo, exec_lo, s4
	s_and_saveexec_b32 s4, s2
	s_cbranch_execnz .LBB174_55
	s_branch .LBB174_56
.LBB174_81:
	v_bfe_u32 v5, v35, 16, 1
	v_cmp_o_f32_e32 vcc_lo, v35, v35
	s_delay_alu instid0(VALU_DEP_3) | instskip(NEXT) | instid1(VALU_DEP_3)
	v_add_nc_u32_e32 v0, v1, v0
	v_add3_u32 v5, v35, v5, 0x7fff
	s_delay_alu instid0(VALU_DEP_1) | instskip(NEXT) | instid1(VALU_DEP_1)
	v_lshrrev_b32_e32 v5, 16, v5
	v_cndmask_b32_e32 v5, 0x7fc0, v5, vcc_lo
	s_wait_kmcnt 0x0
	global_store_b16 v0, v5, s[12:13] scale_offset
	s_wait_xcnt 0x0
	s_or_b32 exec_lo, exec_lo, s3
	s_and_saveexec_b32 s3, s0
	s_cbranch_execz .LBB174_59
.LBB174_82:
	v_bfe_u32 v0, v33, 16, 1
	v_cmp_o_f32_e32 vcc_lo, v33, v33
	s_delay_alu instid0(VALU_DEP_3) | instskip(NEXT) | instid1(VALU_DEP_3)
	v_add_nc_u32_e32 v2, v1, v2
	v_add3_u32 v0, v33, v0, 0x7fff
	s_delay_alu instid0(VALU_DEP_1) | instskip(NEXT) | instid1(VALU_DEP_1)
	v_lshrrev_b32_e32 v0, 16, v0
	v_cndmask_b32_e32 v0, 0x7fc0, v0, vcc_lo
	s_wait_kmcnt 0x0
	global_store_b16 v2, v0, s[12:13] scale_offset
	s_wait_xcnt 0x0
	s_or_b32 exec_lo, exec_lo, s3
	s_and_saveexec_b32 s0, s1
	s_cbranch_execz .LBB174_60
.LBB174_83:
	v_bfe_u32 v0, v31, 16, 1
	v_cmp_o_f32_e32 vcc_lo, v31, v31
	v_add_nc_u32_e32 v2, v1, v3
	s_delay_alu instid0(VALU_DEP_3) | instskip(NEXT) | instid1(VALU_DEP_1)
	v_add3_u32 v0, v31, v0, 0x7fff
	v_lshrrev_b32_e32 v0, 16, v0
	s_delay_alu instid0(VALU_DEP_1) | instskip(SKIP_4) | instid1(SALU_CYCLE_1)
	v_cndmask_b32_e32 v0, 0x7fc0, v0, vcc_lo
	s_wait_kmcnt 0x0
	global_store_b16 v2, v0, s[12:13] scale_offset
	s_wait_xcnt 0x0
	s_or_b32 exec_lo, exec_lo, s0
	s_and_b32 exec_lo, exec_lo, s2
	s_cbranch_execnz .LBB174_61
	s_branch .LBB174_62
	.section	.rodata,"a",@progbits
	.p2align	6, 0x0
	.amdhsa_kernel _ZL12mul_mat_q5_KIN3c108BFloat16ELb1EEvPKvS3_PT_iiiii
		.amdhsa_group_segment_fixed_size 45136
		.amdhsa_private_segment_fixed_size 0
		.amdhsa_kernarg_size 44
		.amdhsa_user_sgpr_count 2
		.amdhsa_user_sgpr_dispatch_ptr 0
		.amdhsa_user_sgpr_queue_ptr 0
		.amdhsa_user_sgpr_kernarg_segment_ptr 1
		.amdhsa_user_sgpr_dispatch_id 0
		.amdhsa_user_sgpr_kernarg_preload_length 0
		.amdhsa_user_sgpr_kernarg_preload_offset 0
		.amdhsa_user_sgpr_private_segment_size 0
		.amdhsa_wavefront_size32 1
		.amdhsa_uses_dynamic_stack 0
		.amdhsa_enable_private_segment 0
		.amdhsa_system_sgpr_workgroup_id_x 1
		.amdhsa_system_sgpr_workgroup_id_y 1
		.amdhsa_system_sgpr_workgroup_id_z 0
		.amdhsa_system_sgpr_workgroup_info 0
		.amdhsa_system_vgpr_workitem_id 1
		.amdhsa_next_free_vgpr 318
		.amdhsa_next_free_sgpr 18
		.amdhsa_named_barrier_count 0
		.amdhsa_reserve_vcc 1
		.amdhsa_float_round_mode_32 0
		.amdhsa_float_round_mode_16_64 0
		.amdhsa_float_denorm_mode_32 3
		.amdhsa_float_denorm_mode_16_64 3
		.amdhsa_fp16_overflow 0
		.amdhsa_memory_ordered 1
		.amdhsa_forward_progress 1
		.amdhsa_inst_pref_size 255
		.amdhsa_round_robin_scheduling 0
		.amdhsa_exception_fp_ieee_invalid_op 0
		.amdhsa_exception_fp_denorm_src 0
		.amdhsa_exception_fp_ieee_div_zero 0
		.amdhsa_exception_fp_ieee_overflow 0
		.amdhsa_exception_fp_ieee_underflow 0
		.amdhsa_exception_fp_ieee_inexact 0
		.amdhsa_exception_int_div_zero 0
	.end_amdhsa_kernel
	.section	.text._ZL12mul_mat_q5_KIN3c108BFloat16ELb1EEvPKvS3_PT_iiiii,"axG",@progbits,_ZL12mul_mat_q5_KIN3c108BFloat16ELb1EEvPKvS3_PT_iiiii,comdat
.Lfunc_end174:
	.size	_ZL12mul_mat_q5_KIN3c108BFloat16ELb1EEvPKvS3_PT_iiiii, .Lfunc_end174-_ZL12mul_mat_q5_KIN3c108BFloat16ELb1EEvPKvS3_PT_iiiii
                                        ; -- End function
	.set _ZL12mul_mat_q5_KIN3c108BFloat16ELb1EEvPKvS3_PT_iiiii.num_vgpr, 318
	.set _ZL12mul_mat_q5_KIN3c108BFloat16ELb1EEvPKvS3_PT_iiiii.num_agpr, 0
	.set _ZL12mul_mat_q5_KIN3c108BFloat16ELb1EEvPKvS3_PT_iiiii.numbered_sgpr, 18
	.set _ZL12mul_mat_q5_KIN3c108BFloat16ELb1EEvPKvS3_PT_iiiii.num_named_barrier, 0
	.set _ZL12mul_mat_q5_KIN3c108BFloat16ELb1EEvPKvS3_PT_iiiii.private_seg_size, 0
	.set _ZL12mul_mat_q5_KIN3c108BFloat16ELb1EEvPKvS3_PT_iiiii.uses_vcc, 1
	.set _ZL12mul_mat_q5_KIN3c108BFloat16ELb1EEvPKvS3_PT_iiiii.uses_flat_scratch, 0
	.set _ZL12mul_mat_q5_KIN3c108BFloat16ELb1EEvPKvS3_PT_iiiii.has_dyn_sized_stack, 0
	.set _ZL12mul_mat_q5_KIN3c108BFloat16ELb1EEvPKvS3_PT_iiiii.has_recursion, 0
	.set _ZL12mul_mat_q5_KIN3c108BFloat16ELb1EEvPKvS3_PT_iiiii.has_indirect_call, 0
	.section	.AMDGPU.csdata,"",@progbits
; Kernel info:
; codeLenInByte = 40592
; TotalNumSgprs: 20
; NumVgprs: 318
; ScratchSize: 0
; MemoryBound: 0
; FloatMode: 240
; IeeeMode: 1
; LDSByteSize: 45136 bytes/workgroup (compile time only)
; SGPRBlocks: 0
; VGPRBlocks: 19
; NumSGPRsForWavesPerEU: 20
; NumVGPRsForWavesPerEU: 318
; NamedBarCnt: 0
; Occupancy: 3
; WaveLimiterHint : 0
; COMPUTE_PGM_RSRC2:SCRATCH_EN: 0
; COMPUTE_PGM_RSRC2:USER_SGPR: 2
; COMPUTE_PGM_RSRC2:TRAP_HANDLER: 0
; COMPUTE_PGM_RSRC2:TGID_X_EN: 1
; COMPUTE_PGM_RSRC2:TGID_Y_EN: 1
; COMPUTE_PGM_RSRC2:TGID_Z_EN: 0
; COMPUTE_PGM_RSRC2:TIDIG_COMP_CNT: 1
	.section	.text._ZL12mul_mat_q6_KIN3c108BFloat16ELb0EEvPKvS3_PT_iiiii,"axG",@progbits,_ZL12mul_mat_q6_KIN3c108BFloat16ELb0EEvPKvS3_PT_iiiii,comdat
	.globl	_ZL12mul_mat_q6_KIN3c108BFloat16ELb0EEvPKvS3_PT_iiiii ; -- Begin function _ZL12mul_mat_q6_KIN3c108BFloat16ELb0EEvPKvS3_PT_iiiii
	.p2align	8
	.type	_ZL12mul_mat_q6_KIN3c108BFloat16ELb0EEvPKvS3_PT_iiiii,@function
_ZL12mul_mat_q6_KIN3c108BFloat16ELb0EEvPKvS3_PT_iiiii: ; @_ZL12mul_mat_q6_KIN3c108BFloat16ELb0EEvPKvS3_PT_iiiii
; %bb.0:
	s_clause 0x1
	s_load_b32 s10, s[0:1], 0x18
	s_load_b96 s[4:6], s[0:1], 0x20
	s_bfe_u32 s2, ttmp6, 0x4000c
	s_bfe_u32 s7, ttmp6, 0x40010
	s_add_co_i32 s2, s2, 1
	s_and_b32 s3, ttmp6, 15
	s_mul_i32 s2, ttmp9, s2
	s_add_co_i32 s7, s7, 1
	s_add_co_i32 s3, s3, s2
	s_mul_i32 s2, ttmp7, s7
	s_bfe_u32 s7, ttmp6, 0x40004
	s_getreg_b32 s8, hwreg(HW_REG_IB_STS2, 6, 4)
	s_add_co_i32 s7, s7, s2
	s_cmp_eq_u32 s8, 0
	v_bfe_u32 v65, v0, 10, 10
	s_cselect_b32 s7, ttmp7, s7
	v_and_b32_e32 v77, 0x3ff, v0
	s_cselect_b32 s2, ttmp9, s3
	s_lshl_b32 s7, s7, 6
	s_mov_b32 s3, 0
	s_wait_kmcnt 0x0
	s_cmp_gt_i32 s10, 0xff
	s_cbranch_scc1 .LBB175_2
; %bb.1:
	v_bfe_u32 v1, v0, 10, 10
	v_and_b32_e32 v2, 0x3ff, v0
	s_delay_alu instid0(VALU_DEP_2)
	v_add_nc_u32_e32 v79, s7, v1
	s_branch .LBB175_3
.LBB175_2:
	s_mov_b32 s3, -1
                                        ; implicit-def: $vgpr1
                                        ; implicit-def: $vgpr2
                                        ; implicit-def: $vgpr79
.LBB175_3:
	s_load_b64 s[8:9], s[0:1], 0x10
	v_dual_mov_b32 v37, 0 :: v_dual_mov_b32 v36, 0
	v_dual_mov_b32 v45, 0 :: v_dual_mov_b32 v44, 0
	;; [unrolled: 1-line block ×16, first 2 shown]
	s_and_not1_b32 vcc_lo, exec_lo, s3
	s_lshl_b32 s14, s2, 7
	s_cbranch_vccnz .LBB175_11
; %bb.4:
	v_dual_add_nc_u32 v79, s7, v65 :: v_dual_bitop2_b32 v1, 31, v0 bitop3:0x40
	s_add_co_i32 s16, s4, -1
	v_bfe_u32 v26, v0, 2, 8
	v_cvt_f64_i32_e32 v[2:3], s16
	s_delay_alu instid0(VALU_DEP_3)
	v_dual_lshlrev_b32 v20, 1, v1 :: v_dual_add_nc_u32 v6, 8, v79
	v_dual_add_nc_u32 v8, 16, v79 :: v_dual_add_nc_u32 v10, 24, v79
	v_dual_add_nc_u32 v12, 32, v79 :: v_dual_add_nc_u32 v14, 40, v79
	v_add_nc_u16 v16, v1, -16
	v_cvt_f64_u32_e32 v[4:5], v79
	v_cvt_f64_u32_e32 v[6:7], v6
	;; [unrolled: 1-line block ×4, first 2 shown]
	v_cmp_gt_u32_e32 vcc_lo, 16, v1
	v_cvt_f64_u32_e32 v[12:13], v12
	v_dual_add_nc_u32 v17, 48, v79 :: v_dual_add_nc_u32 v19, 56, v79
	v_cvt_f64_u32_e32 v[14:15], v14
	v_dual_cndmask_b32 v22, v16, v1 :: v_dual_lshrrev_b32 v21, 1, v0
	s_delay_alu instid0(VALU_DEP_3) | instskip(SKIP_3) | instid1(VALU_DEP_3)
	v_cvt_f64_u32_e32 v[16:17], v17
	v_dual_mov_b32 v63, 0 :: v_dual_add_nc_u32 v18, 0xe0, v20
	v_lshlrev_b32_e32 v62, 2, v1
	v_dual_add_nc_u32 v27, 56, v65 :: v_dual_bitop2_b32 v28, 3, v0 bitop3:0x40
	v_cndmask_b32_e32 v23, v18, v20, vcc_lo
	v_cvt_f64_u32_e32 v[18:19], v19
	s_ashr_i32 s11, s10, 31
	s_ashr_i32 s12, s5, 31
	s_lshr_b32 s11, s11, 24
	v_and_b32_e32 v23, 0xfe, v23
	v_and_b32_e32 v24, 7, v0
	s_add_co_i32 s10, s10, s11
	s_lshr_b32 s12, s12, 27
	s_ashr_i32 s15, s10, 8
	v_sub_nc_u32_e32 v1, v20, v23
	v_and_or_b32 v21, v21, 8, v24
	v_dual_mov_b32 v67, v63 :: v_dual_bitop2_b32 v20, 15, v0 bitop3:0x40
	v_dual_min_num_f64 v[4:5], v[4:5], v[2:3] :: v_dual_lshlrev_b32 v85, 5, v65
	s_delay_alu instid0(VALU_DEP_3)
	v_lshlrev_b32_e32 v66, 2, v21
	v_mul_u32_u24_e32 v21, 0x41, v65
	v_min_num_f64_e32 v[6:7], v[6:7], v[2:3]
	v_min_num_f64_e32 v[8:9], v[8:9], v[2:3]
	;; [unrolled: 1-line block ×3, first 2 shown]
	v_dual_min_num_f64 v[12:13], v[12:13], v[2:3] :: v_dual_lshlrev_b32 v1, 2, v1
	v_dual_min_num_f64 v[14:15], v[14:15], v[2:3] :: v_dual_lshlrev_b32 v20, 2, v20
	;; [unrolled: 1-line block ×3, first 2 shown]
	v_dual_lshlrev_b32 v25, 3, v65 :: v_dual_lshlrev_b32 v72, 2, v28
	s_mul_i32 s10, s15, s14
	s_delay_alu instid0(VALU_DEP_2)
	v_add3_u32 v83, v1, v20, v21
	v_dual_add_nc_u32 v1, 8, v65 :: v_dual_add_nc_u32 v20, 16, v65
	v_dual_min_num_f64 v[2:3], v[18:19], v[2:3] :: v_dual_add_nc_u32 v19, v85, v77
	v_dual_add_nc_u32 v18, 24, v65 :: v_dual_add_nc_u32 v21, 32, v65
	v_add_nc_u32_e32 v29, v26, v25
	s_ashr_i32 s11, s10, 31
	s_delay_alu instid0(VALU_DEP_3) | instskip(SKIP_4) | instid1(VALU_DEP_1)
	v_lshrrev_b32_e32 v24, 3, v19
	v_and_b32_e32 v19, 0x7f, v19
	s_add_co_i32 s5, s5, s12
	s_mul_u64 s[12:13], s[10:11], 0xd2
	s_ashr_i32 s10, s5, 5
	v_dual_lshlrev_b32 v30, 2, v19 :: v_dual_bitop2_b32 v24, 12, v24 bitop3:0x40
	s_lshl_b32 s5, s15, 3
	v_cvt_i32_f64_e32 v4, v[4:5]
	v_cmp_lt_u16_e32 vcc_lo, 7, v22
	v_dual_add_nc_u32 v22, 40, v65 :: v_dual_add_nc_u32 v23, 48, v65
	v_cvt_i32_f64_e32 v5, v[6:7]
	v_cvt_i32_f64_e32 v7, v[8:9]
	;; [unrolled: 1-line block ×5, first 2 shown]
	v_add_nc_u16 v8, v26, v25
	v_and_b32_e32 v6, 0x7f, v29
	v_cvt_i32_f64_e32 v15, v[16:17]
	v_bitop3_b32 v10, v29, 64, 0x7f bitop3:0x6c
	v_and_b32_e32 v16, 63, v29
	v_lshrrev_b16 v8, 1, v8
	v_lshl_or_b32 v13, v6, 4, v72
	s_delay_alu instid0(VALU_DEP_4) | instskip(SKIP_1) | instid1(VALU_DEP_4)
	v_dual_mov_b32 v73, v63 :: v_dual_lshrrev_b32 v14, 1, v10
	v_cvt_i32_f64_e32 v17, v[2:3]
	v_and_b32_e32 v2, 60, v8
	v_lshl_or_b32 v3, v10, 4, v72
	v_mad_i32_i24 v76, s15, v65, s5
	v_and_b32_e32 v8, 60, v14
	v_or_b32_e32 v14, s7, v16
	v_add3_u32 v93, v13, v2, 0xa200
	v_lshl_or_b32 v13, v16, 4, v72
	v_add3_u32 v89, v30, v24, 0xae40
	v_lshlrev_b32_e32 v24, 2, v77
	v_add3_u32 v95, v3, v8, 0xa200
	v_dual_mov_b32 v3, v63 :: v_dual_min_i32 v8, s16, v14
	v_or_b32_e32 v14, 0x8200, v62
	v_add_nc_u32_e32 v99, 0xaa40, v13
	v_add_nc_u32_e32 v13, 64, v77
	s_wait_xcnt 0x0
	s_load_b128 s[0:3], s[0:1], 0x0
	v_bfe_u32 v64, v0, 5, 5
	v_mul_lo_u32 v101, s10, v4
	v_lshlrev_b32_e32 v4, 7, v65
	v_dual_lshrrev_b32 v16, 3, v13 :: v_dual_lshlrev_b32 v25, 7, v27
	v_mul_lo_u32 v111, s10, v12
	v_add_nc_u32_e32 v12, 32, v77
	v_lshlrev_b32_e32 v194, 5, v1
	v_mul_lo_u32 v113, s10, v15
	v_dual_lshlrev_b32 v15, 7, v23 :: v_dual_lshlrev_b32 v196, 5, v18
	s_delay_alu instid0(VALU_DEP_4) | instskip(SKIP_1) | instid1(VALU_DEP_3)
	v_lshrrev_b32_e32 v180, 3, v12
	v_add_nc_u32_e32 v78, s5, v76
	v_dual_add_nc_u32 v187, v14, v15 :: v_dual_bitop2_b32 v2, 28, v24 bitop3:0x40
	v_lshlrev_b32_e32 v199, 5, v23
	v_mul_lo_u32 v115, s10, v17
	s_delay_alu instid0(VALU_DEP_4) | instskip(SKIP_3) | instid1(VALU_DEP_3)
	v_add_nc_u32_e32 v80, s5, v78
	v_add_nc_u32_e32 v17, 0x60, v77
	v_dual_lshlrev_b32 v26, 2, v64 :: v_dual_lshlrev_b32 v202, 4, v13
	v_mad_u32 v97, v8, s10, v28
	v_dual_add_nc_u32 v82, s5, v80 :: v_dual_lshrrev_b32 v30, 3, v17
	v_mul_lo_u32 v103, s10, v5
	v_mul_lo_u32 v105, s10, v7
	;; [unrolled: 1-line block ×3, first 2 shown]
	s_delay_alu instid0(VALU_DEP_4) | instskip(SKIP_3) | instid1(VALU_DEP_4)
	v_add_nc_u32_e32 v84, s5, v82
	v_mul_lo_u32 v109, s10, v11
	v_add_nc_u32_e32 v87, 0x30c0, v83
	v_dual_lshlrev_b32 v5, 7, v1 :: v_dual_lshlrev_b32 v7, 7, v20
	v_dual_lshlrev_b32 v8, 7, v18 :: v_dual_add_nc_u32 v86, s5, v84
	v_dual_lshlrev_b32 v201, 4, v12 :: v_dual_lshlrev_b32 v9, 7, v21
	v_dual_lshlrev_b32 v11, 7, v22 :: v_dual_bitop2_b32 v28, 60, v180 bitop3:0x40
	s_delay_alu instid0(VALU_DEP_3) | instskip(SKIP_1) | instid1(VALU_DEP_4)
	v_dual_add_nc_u32 v182, v14, v5 :: v_dual_add_nc_u32 v88, s5, v86
	v_dual_add_nc_u32 v183, v14, v7 :: v_dual_bitop2_b32 v29, 60, v16 bitop3:0x40
	v_dual_add_nc_u32 v181, v14, v4 :: v_dual_add_nc_u32 v185, v14, v9
	s_delay_alu instid0(VALU_DEP_3) | instskip(SKIP_3) | instid1(VALU_DEP_3)
	v_dual_add_nc_u32 v92, s5, v88 :: v_dual_add_nc_u32 v188, v14, v25
	v_and_b32_e32 v4, 60, v30
	v_bfe_u32 v189, v0, 3, 7
	s_movk_i32 s10, 0x104
	v_add_nc_u32_e32 v94, s5, v92
	s_movk_i32 s11, 0x2080
	s_movk_i32 s16, 0x4100
	s_wait_kmcnt 0x0
	v_add_nc_u64_e32 v[90:91], s[2:3], v[2:3]
	v_mov_b64_e32 v[74:75], 0
	v_add_nc_u32_e32 v98, s5, v94
	v_mov_b64_e32 v[58:59], 0
	v_mov_b64_e32 v[50:51], 0
	v_mov_b64_e32 v[42:43], 0
	v_mov_b64_e32 v[70:71], 0
	v_add_nc_u32_e32 v104, s5, v98
	v_mov_b64_e32 v[56:57], 0
	v_mov_b64_e32 v[48:49], 0
	v_mov_b64_e32 v[40:41], 0
	;; [unrolled: 5-line block ×4, first 2 shown]
	v_cndmask_b32_e64 v81, 0, 2, vcc_lo
	v_add_nc_u32_e32 v110, s5, v108
	v_dual_add_nc_u32 v184, v14, v8 :: v_dual_add_nc_u32 v186, v14, v11
	v_add3_u32 v190, v26, v24, 0xae40
	v_add3_u32 v191, v24, v28, 0xae40
	;; [unrolled: 1-line block ×4, first 2 shown]
	v_dual_lshlrev_b32 v195, 5, v20 :: v_dual_lshlrev_b32 v197, 5, v21
	v_dual_lshlrev_b32 v198, 5, v22 :: v_dual_lshlrev_b32 v200, 5, v27
	;; [unrolled: 1-line block ×4, first 2 shown]
	v_add_nc_u32_e32 v207, 0x5140, v83
	v_add_nc_u32_e32 v208, 0x5960, v83
	v_add_nc_u32_e32 v209, 0x6180, v83
	v_add_nc_u32_e32 v210, 0x69a0, v83
	v_add_nc_u32_e32 v211, 0x71c0, v83
	v_add_nc_u32_e32 v212, 0x79e0, v83
	v_mul_i32_i24_e32 v96, s15, v19
	v_mul_i32_i24_e32 v100, s15, v6
	;; [unrolled: 1-line block ×3, first 2 shown]
	v_mul_u32_u24_e32 v213, 0x104, v77
	v_mad_u32_u24 v214, 0x104, v77, s11
	v_mad_u32_u24 v215, 0x104, v77, s16
	;; [unrolled: 1-line block ×3, first 2 shown]
	v_dual_lshlrev_b32 v217, 2, v189 :: v_dual_lshlrev_b32 v218, 2, v180
	v_add_nc_u32_e32 v219, 0x800, v83
	v_add_nc_u32_e32 v220, 0x1000, v83
	;; [unrolled: 1-line block ×8, first 2 shown]
	v_mul_i32_i24_e32 v112, s15, v65
	v_add_nc_u32_e32 v114, s5, v110
	s_mov_b32 s11, 0
	s_add_nc_u64 s[0:1], s[0:1], s[12:13]
	s_mov_b32 s10, s11
.LBB175_5:                              ; =>This Loop Header: Depth=1
                                        ;     Child Loop BB175_6 Depth 2
                                        ;     Child Loop BB175_8 Depth 2
	s_delay_alu instid0(SALU_CYCLE_1) | instskip(SKIP_4) | instid1(VALU_DEP_1)
	s_mul_u64 s[12:13], s[10:11], 0xd2
	s_lshl_b32 s5, s10, 3
	s_add_nc_u64 s[12:13], s[0:1], s[12:13]
	s_mov_b32 s16, 0
	v_mad_nc_u64_u32 v[0:1], 0xd2, v64, s[12:13]
	v_mad_nc_u64_u32 v[2:3], 0xd2, v112, v[0:1]
	;; [unrolled: 1-line block ×12, first 2 shown]
	v_add_nc_u64_e32 v[20:21], v[2:3], v[62:63]
	v_add_nc_u64_e32 v[22:23], v[2:3], v[66:67]
	;; [unrolled: 1-line block ×9, first 2 shown]
	global_load_b32 v2, v[20:21], off
	s_wait_xcnt 0x0
	v_add_nc_u64_e32 v[20:21], v[12:13], v[66:67]
	v_add_nc_u64_e32 v[116:117], v[10:11], v[62:63]
	;; [unrolled: 1-line block ×3, first 2 shown]
	s_clause 0x1
	global_load_b32 v4, v[22:23], off offset:128
	global_load_b32 v3, v[24:25], off
	s_wait_xcnt 0x1
	v_add_nc_u64_e32 v[22:23], v[14:15], v[62:63]
	s_wait_xcnt 0x0
	v_add_nc_u64_e32 v[24:25], v[14:15], v[66:67]
	s_clause 0x1
	global_load_b32 v6, v[26:27], off offset:128
	global_load_b32 v5, v[28:29], off
	s_wait_xcnt 0x1
	v_add_nc_u64_e32 v[26:27], v[16:17], v[62:63]
	s_wait_xcnt 0x0
	v_add_nc_u64_e32 v[28:29], v[16:17], v[66:67]
	s_clause 0x1
	global_load_b32 v8, v[30:31], off offset:128
	global_load_b32 v7, v[32:33], off
	s_wait_xcnt 0x1
	v_add_nc_u64_e32 v[30:31], v[18:19], v[62:63]
	s_clause 0x5
	global_load_b32 v10, v[34:35], off offset:128
	global_load_b32 v9, v[116:117], off
	global_load_b32 v12, v[118:119], off offset:128
	global_load_b32 v11, v[120:121], off
	;; [unrolled: 2-line block ×3, first 2 shown]
	s_wait_xcnt 0x1
	v_add_nc_u64_e32 v[20:21], v[18:19], v[66:67]
	s_clause 0x4
	global_load_b32 v18, v[24:25], off offset:128
	global_load_b32 v16, v[26:27], off
	global_load_b32 v17, v[28:29], off offset:128
	global_load_b32 v15, v[30:31], off
	global_load_b32 v19, v[20:21], off offset:128
	s_wait_xcnt 0x3
	v_add_nc_u32_e32 v26, s5, v189
	v_add_nc_u32_e32 v227, s5, v97
	v_mad_nc_u64_u32 v[22:23], 0xd2, v100, s[12:13]
	v_mad_nc_u64_u32 v[24:25], 0xd2, v102, s[12:13]
	s_wait_xcnt 0x0
	v_mad_nc_u64_u32 v[20:21], 0xd2, v96, s[12:13]
	v_dual_add_nc_u32 v28, v26, v101 :: v_dual_add_nc_u32 v34, v26, v107
	v_dual_add_nc_u32 v30, v26, v103 :: v_dual_add_nc_u32 v32, v26, v105
	;; [unrolled: 1-line block ×4, first 2 shown]
	v_mad_nc_u64_u32 v[26:27], v227, 36, s[2:3]
	v_mad_nc_i64_i32 v[28:29], v28, 36, v[90:91]
	v_mad_nc_i64_i32 v[30:31], v30, 36, v[90:91]
	;; [unrolled: 1-line block ×3, first 2 shown]
	v_add_nc_u64_e32 v[22:23], v[22:23], v[72:73]
	v_mad_nc_i64_i32 v[34:35], v34, 36, v[90:91]
	v_add_nc_u64_e32 v[24:25], v[24:25], v[72:73]
	v_mad_nc_i64_i32 v[116:117], v116, 36, v[90:91]
	v_mad_nc_i64_i32 v[118:119], v118, 36, v[90:91]
	;; [unrolled: 1-line block ×4, first 2 shown]
	global_load_b32 v136, v[26:27], off
	s_clause 0x2
	global_load_u16 v137, v[20:21], off offset:208
	global_load_b32 v138, v[22:23], off offset:192
	global_load_b32 v139, v[24:25], off offset:192
	s_clause 0x7
	global_load_b32 v140, v[28:29], off offset:4
	global_load_b32 v141, v[30:31], off offset:4
	;; [unrolled: 1-line block ×8, first 2 shown]
	s_wait_xcnt 0x9
	v_add_nc_u64_e32 v[22:23], v[124:125], v[66:67]
	v_mad_nc_u64_u32 v[128:129], 0xd2, v104, v[0:1]
	v_mad_nc_u64_u32 v[130:131], 0xd2, v106, v[0:1]
	;; [unrolled: 1-line block ×5, first 2 shown]
	v_add_nc_u64_e32 v[20:21], v[124:125], v[62:63]
	global_load_b32 v22, v[22:23], off offset:128
	s_wait_xcnt 0x9
	v_add_nc_u64_e32 v[24:25], v[126:127], v[62:63]
	v_add_nc_u64_e32 v[26:27], v[126:127], v[66:67]
	s_mov_b32 s12, -1
	s_wait_xcnt 0x8
	v_add_nc_u64_e32 v[28:29], v[128:129], v[62:63]
	s_wait_xcnt 0x7
	v_add_nc_u64_e32 v[30:31], v[128:129], v[66:67]
	;; [unrolled: 2-line block ×8, first 2 shown]
	v_add_nc_u64_e32 v[124:125], v[0:1], v[62:63]
	v_add_nc_u64_e32 v[0:1], v[0:1], v[66:67]
	s_clause 0xc
	global_load_b32 v23, v[20:21], off
	global_load_b32 v126, v[24:25], off
	global_load_b32 v127, v[26:27], off offset:128
	global_load_b32 v128, v[28:29], off
	global_load_b32 v129, v[30:31], off offset:128
	;; [unrolled: 2-line block ×6, first 2 shown]
	s_wait_loadcnt 0x2b
	s_wait_xcnt 0x0
	v_and_b32_e32 v0, 0xf0f0f0f, v2
	s_wait_loadcnt 0x2a
	v_dual_lshrrev_b32 v1, 4, v2 :: v_dual_ashrrev_i32 v2, v81, v4
	s_wait_loadcnt 0x29
	v_and_b32_e32 v4, 0xf0f0f0f, v3
	s_wait_loadcnt 0x28
	v_dual_lshrrev_b32 v3, 4, v3 :: v_dual_ashrrev_i32 v6, v81, v6
	s_wait_loadcnt 0x27
	;; [unrolled: 4-line block ×8, first 2 shown]
	v_and_b32_e32 v28, 0xf0f0f0f, v15
	v_dual_lshrrev_b32 v15, 4, v15 :: v_dual_lshlrev_b32 v29, 4, v2
	v_and_b32_e32 v1, 0xf0f0f0f, v1
	s_wait_loadcnt 0x1a
	v_dual_ashrrev_i32 v19, v81, v19 :: v_dual_lshlrev_b32 v30, 4, v6
	v_and_b32_e32 v3, 0xf0f0f0f, v3
	v_and_b32_e32 v5, 0xf0f0f0f, v5
	v_dual_lshlrev_b32 v31, 4, v8 :: v_dual_lshlrev_b32 v32, 4, v10
	v_and_b32_e32 v7, 0xf0f0f0f, v7
	v_and_b32_e32 v9, 0xf0f0f0f, v9
	v_dual_lshlrev_b32 v33, 4, v12 :: v_dual_lshlrev_b32 v34, 4, v14
	;; [unrolled: 3-line block ×3, first 2 shown]
	v_and_or_b32 v0, 0x30303030, v29, v0
	v_and_or_b32 v1, 0x30303030, v2, v1
	v_and_b32_e32 v16, 0xf0f0f0f, v16
	v_lshlrev_b32_e32 v117, 4, v19
	v_and_or_b32 v2, 0x30303030, v30, v4
	v_and_or_b32 v3, 0x30303030, v6, v3
	;; [unrolled: 1-line block ×13, first 2 shown]
	v_lshrrev_b32_e32 v18, 16, v0
	v_lshlrev_b16 v20, 8, v0
	v_dual_lshrrev_b32 v21, 16, v1 :: v_dual_lshrrev_b32 v25, 16, v2
	v_lshlrev_b16 v24, 8, v1
	v_and_or_b32 v16, 0x30303030, v17, v16
	v_and_or_b32 v17, 0x30303030, v117, v28
	v_lshlrev_b16 v26, 8, v2
	v_dual_lshrrev_b32 v27, 16, v3 :: v_dual_lshrrev_b32 v29, 16, v4
	v_lshlrev_b16 v28, 8, v3
	v_lshlrev_b16 v30, 8, v4
	v_dual_lshrrev_b32 v31, 16, v5 :: v_dual_lshrrev_b32 v33, 16, v6
	v_lshlrev_b16 v32, 8, v5
	;; [unrolled: 3-line block ×6, first 2 shown]
	v_lshlrev_b16 v154, 8, v14
	v_add_nc_u16 v20, 0xe000, v20
	v_lshlrev_b16 v158, 8, v18
	v_add_nc_u16 v24, 0xe000, v24
	;; [unrolled: 2-line block ×15, first 2 shown]
	v_lshlrev_b16 v172, 8, v153
	v_lshrrev_b16 v20, 8, v20
	v_add_nc_u16 v158, 0xe000, v158
	v_lshrrev_b16 v24, 8, v24
	v_add_nc_u16 v159, 0xe000, v159
	;; [unrolled: 2-line block ×10, first 2 shown]
	v_dual_lshrrev_b32 v155, 16, v16 :: v_dual_lshrrev_b32 v157, 16, v17
	v_lshlrev_b16 v156, 8, v16
	v_lshrrev_b16 v122, 8, v122
	v_add_nc_u16 v168, 0xe000, v168
	v_lshrrev_b16 v124, 8, v124
	v_add_nc_u16 v169, 0xe000, v169
	;; [unrolled: 2-line block ×5, first 2 shown]
	v_bitop3_b16 v0, v0, v20, 0x3f00 bitop3:0xec
	v_lshrrev_b16 v20, 8, v158
	v_bitop3_b16 v1, v1, v24, 0x3f00 bitop3:0xec
	v_lshrrev_b16 v24, 8, v159
	;; [unrolled: 2-line block ×10, first 2 shown]
	v_add_nc_u16 v156, 0xe000, v156
	v_lshlrev_b16 v173, 8, v155
	v_bitop3_b16 v10, v10, v122, 0x3f00 bitop3:0xec
	v_lshrrev_b16 v122, 8, v168
	v_bitop3_b16 v11, v11, v124, 0x3f00 bitop3:0xec
	v_lshrrev_b16 v124, 8, v169
	;; [unrolled: 2-line block ×5, first 2 shown]
	v_bitop3_b16 v18, v18, v20, 0x3f00 bitop3:0xec
	v_bitop3_b16 v20, v21, v24, 0x3f00 bitop3:0xec
	;; [unrolled: 1-line block ×10, first 2 shown]
	v_lshrrev_b16 v156, 8, v156
	v_add_nc_u16 v173, 0xe000, v173
	v_add_nc_u16 v0, 0xe000, v0
	v_add_nc_u16 v1, 0xe000, v1
	v_bitop3_b16 v31, v121, v122, 0x3f00 bitop3:0xec
	v_bitop3_b16 v32, v123, v124, 0x3f00 bitop3:0xec
	;; [unrolled: 1-line block ×5, first 2 shown]
	v_add_nc_u16 v18, 0xe000, v18
	v_add_nc_u16 v20, 0xe000, v20
	;; [unrolled: 1-line block ×18, first 2 shown]
	v_bitop3_b16 v16, v16, v156, 0x3f00 bitop3:0xec
	v_lshrrev_b16 v156, 8, v173
	v_add_nc_u16 v10, 0xe000, v10
	v_add_nc_u16 v11, 0xe000, v11
	;; [unrolled: 1-line block ×4, first 2 shown]
	v_and_b32_e32 v0, 0xffff, v0
	v_and_b32_e32 v1, 0xffff, v1
	v_add_nc_u16 v31, 0xe000, v31
	v_add_nc_u16 v32, 0xe000, v32
	;; [unrolled: 1-line block ×5, first 2 shown]
	v_dual_lshlrev_b32 v18, 16, v18 :: v_dual_lshlrev_b32 v20, 16, v20
	v_and_b32_e32 v2, 0xffff, v2
	v_and_b32_e32 v3, 0xffff, v3
	v_dual_lshlrev_b32 v21, 16, v21 :: v_dual_lshlrev_b32 v24, 16, v24
	v_and_b32_e32 v4, 0xffff, v4
	v_and_b32_e32 v5, 0xffff, v5
	;; [unrolled: 3-line block ×4, first 2 shown]
	v_dual_lshlrev_b32 v29, 16, v29 :: v_dual_lshlrev_b32 v30, 16, v30
	v_and_b32_e32 v15, 0xf0f0f0f, v15
	v_bitop3_b16 v116, v155, v156, 0x3f00 bitop3:0xec
	v_and_b32_e32 v10, 0xffff, v10
	v_and_b32_e32 v11, 0xffff, v11
	;; [unrolled: 1-line block ×4, first 2 shown]
	v_dual_lshlrev_b32 v31, 16, v31 :: v_dual_lshlrev_b32 v32, 16, v32
	v_dual_lshlrev_b32 v33, 16, v33 :: v_dual_lshlrev_b32 v34, 16, v34
	v_dual_lshlrev_b32 v35, 16, v35 :: v_dual_bitop2_b32 v0, v0, v18 bitop3:0x54
	v_or_b32_e32 v1, v1, v20
	v_or_b32_e32 v2, v2, v21
	;; [unrolled: 1-line block ×9, first 2 shown]
	v_add_nc_u16 v16, 0xe000, v16
	v_or_b32_e32 v10, v10, v31
	v_or_b32_e32 v11, v11, v32
	v_or_b32_e32 v12, v12, v33
	v_or_b32_e32 v13, v13, v34
	ds_store_2addr_b32 v83, v0, v1 offset1:16
	ds_store_2addr_b32 v219, v2, v3 offset0:8 offset1:24
	ds_store_2addr_b32 v220, v4, v5 offset0:16 offset1:32
	ds_store_2addr_b32 v221, v6, v7 offset0:24 offset1:40
	ds_store_2addr_b32 v222, v8, v9 offset0:32 offset1:48
	ds_store_2addr_b32 v223, v10, v11 offset0:40 offset1:56
	ds_store_2addr_b32 v87, v12, v13 offset1:16
	v_add_nc_u16 v1, 0xe000, v116
	v_and_or_b32 v3, 0x30303030, v19, v15
	v_and_b32_e32 v2, 0xffff, v16
	v_lshlrev_b16 v0, 8, v17
	v_lshlrev_b16 v4, 8, v157
	s_delay_alu instid0(VALU_DEP_4)
	v_dual_lshlrev_b32 v1, 16, v1 :: v_dual_lshrrev_b32 v6, 16, v3
	s_wait_loadcnt 0xd
	v_ashrrev_i32_e32 v8, v81, v22
	v_add_nc_u16 v0, 0xe000, v0
	v_add_nc_u16 v4, 0xe000, v4
	v_or_b32_e32 v1, v2, v1
	v_lshlrev_b16 v2, 8, v3
	v_lshlrev_b16 v7, 8, v6
	v_lshrrev_b16 v0, 8, v0
	v_lshrrev_b16 v4, 8, v4
	s_wait_loadcnt 0xc
	v_and_b32_e32 v9, 0xf0f0f0f, v23
	v_add_nc_u16 v2, 0xe000, v2
	v_add_nc_u16 v7, 0xe000, v7
	v_lshlrev_b32_e32 v10, 4, v8
	v_bitop3_b16 v0, v17, v0, 0x3f00 bitop3:0xec
	v_bitop3_b16 v4, v157, v4, 0x3f00 bitop3:0xec
	v_lshrrev_b16 v2, 8, v2
	v_lshrrev_b16 v7, 8, v7
	v_and_or_b32 v9, 0x30303030, v10, v9
	v_add_nc_u16 v14, 0xe000, v14
	v_add_nc_u16 v0, 0xe000, v0
	v_bitop3_b16 v2, v3, v2, 0x3f00 bitop3:0xec
	v_bitop3_b16 v3, v6, v7, 0x3f00 bitop3:0xec
	v_add_nc_u16 v4, 0xe000, v4
	v_lshlrev_b16 v6, 8, v9
	v_lshrrev_b32_e32 v7, 16, v9
	v_add_nc_u16 v2, 0xe000, v2
	v_add_nc_u16 v3, 0xe000, v3
	v_lshrrev_b32_e32 v10, 4, v23
	v_and_b32_e32 v14, 0xffff, v14
	v_and_b32_e32 v0, 0xffff, v0
	v_lshlrev_b32_e32 v4, 16, v4
	v_add_nc_u16 v6, 0xe000, v6
	v_and_b32_e32 v2, 0xffff, v2
	v_lshlrev_b32_e32 v3, 16, v3
	v_lshlrev_b16 v11, 8, v7
	v_and_b32_e32 v10, 0xf0f0f0f, v10
	v_or_b32_e32 v5, v14, v35
	v_lshrrev_b16 v6, 8, v6
	v_or_b32_e32 v0, v0, v4
	v_or_b32_e32 v2, v2, v3
	v_add_nc_u16 v3, 0xe000, v11
	v_and_or_b32 v4, 0x30303030, v8, v10
	v_bitop3_b16 v6, v9, v6, 0x3f00 bitop3:0xec
	ds_store_2addr_b32 v224, v5, v1 offset0:8 offset1:24
	ds_store_2addr_b32 v225, v0, v2 offset0:16 offset1:32
	v_lshrrev_b16 v0, 8, v3
	v_lshlrev_b16 v1, 8, v4
	s_wait_loadcnt 0xa
	v_dual_ashrrev_i32 v3, v81, v127 :: v_dual_lshrrev_b32 v5, 16, v4
	v_add_nc_u16 v2, 0xe000, v6
	v_bitop3_b16 v0, v7, v0, 0x3f00 bitop3:0xec
	v_add_nc_u16 v1, 0xe000, v1
	v_and_b32_e32 v6, 0xf0f0f0f, v126
	v_lshlrev_b32_e32 v7, 4, v3
	v_lshlrev_b16 v8, 8, v5
	v_add_nc_u16 v0, 0xe000, v0
	v_lshrrev_b16 v1, 8, v1
	v_and_b32_e32 v2, 0xffff, v2
	v_and_or_b32 v6, 0x30303030, v7, v6
	v_add_nc_u16 v7, 0xe000, v8
	v_dual_lshrrev_b32 v8, 4, v126 :: v_dual_lshlrev_b32 v0, 16, v0
	v_bitop3_b16 v1, v4, v1, 0x3f00 bitop3:0xec
	s_delay_alu instid0(VALU_DEP_4) | instskip(NEXT) | instid1(VALU_DEP_4)
	v_lshlrev_b16 v4, 8, v6
	v_lshrrev_b16 v7, 8, v7
	s_delay_alu instid0(VALU_DEP_4)
	v_and_b32_e32 v8, 0xf0f0f0f, v8
	v_or_b32_e32 v0, v2, v0
	v_add_nc_u16 v1, 0xe000, v1
	v_add_nc_u16 v2, 0xe000, v4
	v_bitop3_b16 v4, v5, v7, 0x3f00 bitop3:0xec
	v_and_or_b32 v3, 0x30303030, v3, v8
	v_lshrrev_b32_e32 v5, 16, v6
	v_and_b32_e32 v1, 0xffff, v1
	v_lshrrev_b16 v2, 8, v2
	v_add_nc_u16 v4, 0xe000, v4
	v_lshrrev_b32_e32 v7, 16, v3
	v_lshlrev_b16 v8, 8, v5
	v_lshlrev_b16 v9, 8, v3
	v_bitop3_b16 v2, v6, v2, 0x3f00 bitop3:0xec
	v_lshlrev_b32_e32 v4, 16, v4
	v_lshlrev_b16 v6, 8, v7
	v_add_nc_u16 v8, 0xe000, v8
	v_add_nc_u16 v9, 0xe000, v9
	;; [unrolled: 1-line block ×3, first 2 shown]
	v_or_b32_e32 v1, v1, v4
	v_add_nc_u16 v4, 0xe000, v6
	v_lshrrev_b16 v6, 8, v8
	v_lshrrev_b16 v8, 8, v9
	s_wait_loadcnt 0x8
	v_ashrrev_i32_e32 v9, v81, v129
	v_and_b32_e32 v2, 0xffff, v2
	v_lshrrev_b16 v4, 8, v4
	v_bitop3_b16 v5, v5, v6, 0x3f00 bitop3:0xec
	v_bitop3_b16 v3, v3, v8, 0x3f00 bitop3:0xec
	v_and_b32_e32 v6, 0xf0f0f0f, v128
	v_lshlrev_b32_e32 v8, 4, v9
	v_bitop3_b16 v4, v7, v4, 0x3f00 bitop3:0xec
	v_add_nc_u16 v5, 0xe000, v5
	v_add_nc_u16 v3, 0xe000, v3
	s_delay_alu instid0(VALU_DEP_4) | instskip(NEXT) | instid1(VALU_DEP_4)
	v_and_or_b32 v6, 0x30303030, v8, v6
	v_add_nc_u16 v4, 0xe000, v4
	s_delay_alu instid0(VALU_DEP_4)
	v_dual_lshlrev_b32 v5, 16, v5 :: v_dual_lshrrev_b32 v7, 4, v128
	ds_store_2addr_b32 v226, v0, v1 offset0:24 offset1:40
	v_lshlrev_b16 v8, 8, v6
	v_dual_lshlrev_b32 v4, 16, v4 :: v_dual_bitop2_b32 v2, v2, v5 bitop3:0x54
	v_lshrrev_b32_e32 v5, 16, v6
	v_and_b32_e32 v3, 0xffff, v3
	v_and_b32_e32 v7, 0xf0f0f0f, v7
	v_add_nc_u16 v8, 0xe000, v8
	s_delay_alu instid0(VALU_DEP_4) | instskip(NEXT) | instid1(VALU_DEP_3)
	v_lshlrev_b16 v0, 8, v5
	v_and_or_b32 v7, 0x30303030, v9, v7
	v_or_b32_e32 v3, v3, v4
	s_delay_alu instid0(VALU_DEP_4) | instskip(NEXT) | instid1(VALU_DEP_4)
	v_lshrrev_b16 v4, 8, v8
	v_add_nc_u16 v0, 0xe000, v0
	s_wait_loadcnt 0x7
	v_and_b32_e32 v8, 0xf0f0f0f, v130
	v_lshrrev_b32_e32 v1, 16, v7
	ds_store_2addr_b32 v207, v2, v3 offset1:16
	v_bitop3_b16 v4, v6, v4, 0x3f00 bitop3:0xec
	v_lshrrev_b16 v0, 8, v0
	v_lshlrev_b16 v2, 8, v7
	v_lshlrev_b16 v3, 8, v1
	s_delay_alu instid0(VALU_DEP_4) | instskip(NEXT) | instid1(VALU_DEP_4)
	v_add_nc_u16 v4, 0xe000, v4
	v_bitop3_b16 v0, v5, v0, 0x3f00 bitop3:0xec
	s_delay_alu instid0(VALU_DEP_4) | instskip(NEXT) | instid1(VALU_DEP_4)
	v_add_nc_u16 v2, 0xe000, v2
	v_add_nc_u16 v3, 0xe000, v3
	s_delay_alu instid0(VALU_DEP_4) | instskip(NEXT) | instid1(VALU_DEP_4)
	v_and_b32_e32 v4, 0xffff, v4
	v_add_nc_u16 v0, 0xe000, v0
	s_wait_loadcnt 0x6
	v_ashrrev_i32_e32 v6, v81, v131
	v_lshrrev_b16 v2, 8, v2
	v_lshrrev_b16 v3, 8, v3
	s_delay_alu instid0(VALU_DEP_3) | instskip(NEXT) | instid1(VALU_DEP_3)
	v_dual_lshlrev_b32 v0, 16, v0 :: v_dual_lshlrev_b32 v9, 4, v6
	v_bitop3_b16 v2, v7, v2, 0x3f00 bitop3:0xec
	s_delay_alu instid0(VALU_DEP_3) | instskip(NEXT) | instid1(VALU_DEP_3)
	v_bitop3_b16 v1, v1, v3, 0x3f00 bitop3:0xec
	v_or_b32_e32 v0, v4, v0
	s_delay_alu instid0(VALU_DEP_4) | instskip(NEXT) | instid1(VALU_DEP_4)
	v_and_or_b32 v5, 0x30303030, v9, v8
	v_add_nc_u16 v2, 0xe000, v2
	s_delay_alu instid0(VALU_DEP_4)
	v_add_nc_u16 v1, 0xe000, v1
	v_lshrrev_b32_e32 v7, 4, v130
	s_wait_loadcnt 0x5
	v_and_b32_e32 v9, 0xf0f0f0f, v132
	v_lshrrev_b32_e32 v8, 16, v5
	v_lshlrev_b16 v3, 8, v5
	v_and_b32_e32 v2, 0xffff, v2
	v_lshlrev_b32_e32 v1, 16, v1
	v_and_b32_e32 v7, 0xf0f0f0f, v7
	v_lshlrev_b16 v4, 8, v8
	v_add_nc_u16 v3, 0xe000, v3
	s_delay_alu instid0(VALU_DEP_3) | instskip(NEXT) | instid1(VALU_DEP_3)
	v_and_or_b32 v6, 0x30303030, v6, v7
	v_add_nc_u16 v4, 0xe000, v4
	s_delay_alu instid0(VALU_DEP_3) | instskip(SKIP_1) | instid1(VALU_DEP_4)
	v_lshrrev_b16 v3, 8, v3
	v_or_b32_e32 v1, v2, v1
	v_lshlrev_b16 v7, 8, v6
	s_delay_alu instid0(VALU_DEP_4) | instskip(NEXT) | instid1(VALU_DEP_4)
	v_lshrrev_b16 v4, 8, v4
	v_bitop3_b16 v2, v5, v3, 0x3f00 bitop3:0xec
	s_wait_loadcnt 0x4
	v_dual_ashrrev_i32 v3, v81, v133 :: v_dual_lshrrev_b32 v5, 16, v6
	v_add_nc_u16 v7, 0xe000, v7
	v_bitop3_b16 v4, v8, v4, 0x3f00 bitop3:0xec
	v_add_nc_u16 v2, 0xe000, v2
	s_delay_alu instid0(VALU_DEP_4) | instskip(NEXT) | instid1(VALU_DEP_4)
	v_lshlrev_b16 v11, 8, v5
	v_lshrrev_b16 v7, 8, v7
	s_delay_alu instid0(VALU_DEP_4)
	v_add_nc_u16 v4, 0xe000, v4
	v_lshlrev_b32_e32 v10, 4, v3
	v_and_b32_e32 v2, 0xffff, v2
	v_add_nc_u16 v8, 0xe000, v11
	v_bitop3_b16 v6, v6, v7, 0x3f00 bitop3:0xec
	v_lshlrev_b32_e32 v4, 16, v4
	v_and_or_b32 v9, 0x30303030, v10, v9
	s_delay_alu instid0(VALU_DEP_4) | instskip(NEXT) | instid1(VALU_DEP_4)
	v_lshrrev_b16 v8, 8, v8
	v_add_nc_u16 v6, 0xe000, v6
	s_delay_alu instid0(VALU_DEP_3) | instskip(SKIP_1) | instid1(VALU_DEP_4)
	v_dual_lshrrev_b32 v10, 16, v9 :: v_dual_bitop2_b32 v2, v2, v4 bitop3:0x54
	v_lshlrev_b16 v7, 8, v9
	v_bitop3_b16 v5, v5, v8, 0x3f00 bitop3:0xec
	s_delay_alu instid0(VALU_DEP_4) | instskip(NEXT) | instid1(VALU_DEP_4)
	v_and_b32_e32 v6, 0xffff, v6
	v_lshlrev_b16 v11, 8, v10
	s_delay_alu instid0(VALU_DEP_4) | instskip(NEXT) | instid1(VALU_DEP_4)
	v_add_nc_u16 v7, 0xe000, v7
	v_add_nc_u16 v5, 0xe000, v5
	s_delay_alu instid0(VALU_DEP_3) | instskip(SKIP_1) | instid1(VALU_DEP_4)
	v_add_nc_u16 v8, 0xe000, v11
	v_lshrrev_b32_e32 v11, 4, v132
	v_lshrrev_b16 v7, 8, v7
	s_delay_alu instid0(VALU_DEP_4) | instskip(NEXT) | instid1(VALU_DEP_4)
	v_lshlrev_b32_e32 v5, 16, v5
	v_lshrrev_b16 v8, 8, v8
	s_delay_alu instid0(VALU_DEP_4) | instskip(NEXT) | instid1(VALU_DEP_4)
	v_and_b32_e32 v11, 0xf0f0f0f, v11
	v_bitop3_b16 v4, v9, v7, 0x3f00 bitop3:0xec
	s_wait_loadcnt 0x2
	v_dual_ashrrev_i32 v6, v81, v135 :: v_dual_bitop2_b32 v5, v6, v5 bitop3:0x54
	v_bitop3_b16 v7, v10, v8, 0x3f00 bitop3:0xec
	v_and_or_b32 v3, 0x30303030, v3, v11
	v_add_nc_u16 v4, 0xe000, v4
	v_and_b32_e32 v9, 0xf0f0f0f, v134
	v_lshlrev_b32_e32 v10, 4, v6
	v_add_nc_u16 v7, 0xe000, v7
	v_lshrrev_b32_e32 v8, 16, v3
	v_lshlrev_b16 v11, 8, v3
	v_and_b32_e32 v4, 0xffff, v4
	v_and_or_b32 v9, 0x30303030, v10, v9
	v_lshlrev_b32_e32 v7, 16, v7
	v_lshlrev_b16 v12, 8, v8
	v_add_nc_u16 v10, 0xe000, v11
	s_delay_alu instid0(VALU_DEP_4) | instskip(NEXT) | instid1(VALU_DEP_4)
	v_dual_lshrrev_b32 v11, 4, v134 :: v_dual_lshrrev_b32 v13, 16, v9
	v_or_b32_e32 v4, v4, v7
	s_delay_alu instid0(VALU_DEP_4) | instskip(SKIP_3) | instid1(VALU_DEP_4)
	v_add_nc_u16 v12, 0xe000, v12
	v_lshlrev_b16 v7, 8, v9
	v_lshrrev_b16 v10, 8, v10
	v_and_b32_e32 v11, 0xf0f0f0f, v11
	v_lshrrev_b16 v12, 8, v12
	s_delay_alu instid0(VALU_DEP_4) | instskip(NEXT) | instid1(VALU_DEP_4)
	v_add_nc_u16 v7, 0xe000, v7
	v_bitop3_b16 v3, v3, v10, 0x3f00 bitop3:0xec
	s_delay_alu instid0(VALU_DEP_4)
	v_and_or_b32 v6, 0x30303030, v6, v11
	v_lshlrev_b16 v10, 8, v13
	v_bitop3_b16 v8, v8, v12, 0x3f00 bitop3:0xec
	v_lshrrev_b16 v7, 8, v7
	v_add_nc_u16 v3, 0xe000, v3
	v_lshlrev_b16 v11, 8, v6
	v_add_nc_u16 v10, 0xe000, v10
	v_add_nc_u16 v8, 0xe000, v8
	v_bitop3_b16 v7, v9, v7, 0x3f00 bitop3:0xec
	v_and_b32_e32 v3, 0xffff, v3
	v_add_nc_u16 v9, 0xe000, v11
	v_lshrrev_b16 v10, 8, v10
	s_wait_loadcnt 0x0
	v_dual_lshlrev_b32 v8, 16, v8 :: v_dual_ashrrev_i32 v11, v81, v149
	v_lshrrev_b32_e32 v12, 4, v148
	v_lshrrev_b16 v9, 8, v9
	v_bitop3_b16 v10, v13, v10, 0x3f00 bitop3:0xec
	v_and_b32_e32 v13, 0xf0f0f0f, v148
	v_lshlrev_b32_e32 v14, 4, v11
	v_and_b32_e32 v12, 0xf0f0f0f, v12
	v_bitop3_b16 v9, v6, v9, 0x3f00 bitop3:0xec
	v_add_nc_u16 v10, 0xe000, v10
	v_add_nc_u16 v7, 0xe000, v7
	v_and_or_b32 v13, 0x30303030, v14, v13
	v_and_or_b32 v11, 0x30303030, v11, v12
	v_lshrrev_b32_e32 v6, 16, v6
	v_lshlrev_b32_e32 v10, 16, v10
	v_add_nc_u16 v9, 0xe000, v9
	s_delay_alu instid0(VALU_DEP_4) | instskip(NEXT) | instid1(VALU_DEP_4)
	v_dual_lshrrev_b32 v12, 16, v13 :: v_dual_lshrrev_b32 v14, 16, v11
	v_lshlrev_b16 v15, 8, v6
	v_lshlrev_b16 v16, 8, v13
	;; [unrolled: 1-line block ×3, first 2 shown]
	s_delay_alu instid0(VALU_DEP_4)
	v_lshlrev_b16 v17, 8, v12
	v_lshlrev_b16 v19, 8, v14
	v_add_nc_u16 v15, 0xe000, v15
	v_add_nc_u16 v16, 0xe000, v16
	;; [unrolled: 1-line block ×5, first 2 shown]
	v_lshrrev_b16 v15, 8, v15
	v_lshrrev_b16 v16, 8, v16
	;; [unrolled: 1-line block ×5, first 2 shown]
	v_bitop3_b16 v6, v6, v15, 0x3f00 bitop3:0xec
	v_bitop3_b16 v13, v13, v16, 0x3f00 bitop3:0xec
	v_bitop3_b16 v11, v11, v18, 0x3f00 bitop3:0xec
	v_bitop3_b16 v12, v12, v17, 0x3f00 bitop3:0xec
	v_bitop3_b16 v14, v14, v19, 0x3f00 bitop3:0xec
	v_add_nc_u16 v6, 0xe000, v6
	v_add_nc_u16 v13, 0xe000, v13
	v_add_nc_u16 v11, 0xe000, v11
	v_add_nc_u16 v12, 0xe000, v12
	v_add_nc_u16 v14, 0xe000, v14
	v_and_b32_e32 v7, 0xffff, v7
	v_and_b32_e32 v9, 0xffff, v9
	s_delay_alu instid0(VALU_DEP_4)
	v_dual_lshlrev_b32 v6, 16, v6 :: v_dual_lshlrev_b32 v12, 16, v12
	v_and_b32_e32 v13, 0xffff, v13
	v_and_b32_e32 v11, 0xffff, v11
	v_dual_lshlrev_b32 v14, 16, v14 :: v_dual_bitop2_b32 v3, v3, v8 bitop3:0x54
	v_or_b32_e32 v7, v7, v10
	v_or_b32_e32 v6, v9, v6
	;; [unrolled: 1-line block ×3, first 2 shown]
	s_delay_alu instid0(VALU_DEP_4)
	v_or_b32_e32 v9, v11, v14
	ds_store_2addr_b32 v208, v0, v1 offset1:16
	ds_store_2addr_b32 v209, v2, v5 offset1:16
	;; [unrolled: 1-line block ×5, first 2 shown]
	v_cvt_f32_f16_e64 v0, v137
	v_cvt_f32_f16_e64 v1, v136
	ds_store_b32 v93, v138
	ds_store_b32 v95, v139
	;; [unrolled: 1-line block ×12, first 2 shown]
	s_wait_dscnt 0x0
	s_barrier_signal -1
	s_barrier_wait -1
	ds_load_b32 v116, v190
	ds_load_b32 v118, v191 offset:128
	ds_load_b32 v120, v192 offset:256
	;; [unrolled: 1-line block ×3, first 2 shown]
	s_wait_dscnt 0x2
	v_dual_mov_b32 v117, v116 :: v_dual_mov_b32 v119, v118
	s_wait_dscnt 0x0
	v_dual_mov_b32 v121, v120 :: v_dual_mov_b32 v123, v122
.LBB175_6:                              ;   Parent Loop BB175_5 Depth=1
                                        ; =>  This Inner Loop Header: Depth=2
	s_lshl_b32 s13, s16, 1
	s_lshr_b32 s17, s16, 1
	v_or_b32_e32 v0, s13, v85
	s_lshl_b32 s16, s16, 3
	s_add_co_i32 s17, s17, 0xa200
	v_add_nc_u32_e32 v148, s16, v214
	v_add3_u32 v151, s17, v217, v204
	v_dual_lshlrev_b32 v12, 2, v0 :: v_dual_lshrrev_b32 v21, 1, v0
	v_add3_u32 v154, s17, v218, v201
	s_set_vgpr_msb 64                       ;  msbs: dst=1 src0=0 src1=0 src2=0
	v_add3_u32 v17 /*v273*/, s17, v205, v202
	v_add3_u32 v18 /*v274*/, s17, v206, v203
	s_set_vgpr_msb 0                        ;  msbs: dst=0 src0=0 src1=0 src2=0
	ds_load_b128 v[4:7], v12 offset:33280
	ds_load_b128 v[0:3], v12 offset:33296
	;; [unrolled: 1-line block ×4, first 2 shown]
	s_and_b32 vcc_lo, exec_lo, s12
	s_mov_b32 s12, 0
	v_add_nc_u32_e32 v32, s16, v213
	ds_load_2addr_b32 v[124:125], v32 offset0:6 offset1:7
	ds_load_2addr_b32 v[138:139], v32 offset0:4 offset1:5
	;; [unrolled: 1-line block ×3, first 2 shown]
	ds_load_2addr_b32 v[136:137], v32 offset1:1
	ds_load_2addr_b32 v[16:17], v32 offset0:13 offset1:14
	ds_load_2addr_b32 v[130:131], v32 offset0:11 offset1:12
	;; [unrolled: 1-line block ×7, first 2 shown]
	ds_load_2addr_b32 v[140:141], v148 offset1:1
	s_wait_dscnt 0xf
	v_bfe_i32 v18, v6, 8, 8
	s_wait_dscnt 0xe
	v_ashrrev_i32_e32 v31, 24, v0
	s_wait_dscnt 0xd
	v_bfe_i32 v20, v10, 8, 8
	v_perm_b32 v230, v8, v8, 0xc0c0001
	v_perm_b32 v231, v8, v8, 0xc0c0302
	;; [unrolled: 1-line block ×3, first 2 shown]
	v_bfe_i32 v19, v9, 16, 8
	v_perm_b32 v233, v10, v9, 0xc0c0403
	v_bfe_i32 v27, v10, 0, 8
	v_perm_b32 v10, v10, v10, 0xc0c0302
	v_perm_b32 v237, v5, v5, 0xc0c0001
	s_set_vgpr_msb 64                       ;  msbs: dst=1 src0=0 src1=0 src2=0
	v_perm_b32 v1 /*v257*/, v5, v5, 0xc0c0302
	v_perm_b32 v14 /*v270*/, v6, v6, 0xc030200
	s_wait_dscnt 0xc
	s_set_vgpr_msb 0                        ;  msbs: dst=0 src0=0 src1=0 src2=0
	v_bfe_i32 v24, v12, 8, 8
	v_dual_ashrrev_i32 v157, 24, v12 :: v_dual_ashrrev_i32 v166, 24, v13
	v_bfe_i32 v158, v12, 16, 8
	v_perm_b32 v172, v14, v13, 0x7060403
	v_bfe_i32 v25, v12, 0, 8
	v_bfe_i32 v156, v13, 8, 8
	;; [unrolled: 1-line block ×5, first 2 shown]
	s_wait_dscnt 0x7
	v_perm_b32 v162, v12, v17, 0x6040501
	s_wait_dscnt 0x6
	v_perm_b32 v159, v131, v14, 0x6040501
	;; [unrolled: 2-line block ×3, first 2 shown]
	s_wait_dscnt 0x4
	v_bfe_i32 v32, v179, 8, 8
	v_bfe_i32 v33, v178, 16, 8
	v_perm_b32 v163, v16, v12, 0x6040503
	v_dot4_i32_iu8 v159, v162, v159, 0 neg_lo:[1,1,0]
	v_perm_b32 v162, v13, v131, 0x6040503
	v_mul_i32_i24_e32 v32, v32, v20
	s_set_vgpr_msb 64                       ;  msbs: dst=1 src0=0 src1=0 src2=0
	v_perm_b32 v2 /*v258*/, v17, v16, 0x7060403
	s_set_vgpr_msb 0                        ;  msbs: dst=0 src0=0 src1=0 src2=0
	v_perm_b32 v9, v9, v9, 0xc0c0302
	v_bfe_i32 v35, v0, 16, 8
	v_dot4_i32_iu8 v159, v163, v162, v159 neg_lo:[1,1,0]
	v_dot4_i32_iu8 v32, v34, v230, v32 neg_lo:[1,1,0]
	v_perm_b32 v34, v134, v134, 0xc0c0302
	v_perm_b32 v235, v0, v2, 0x6050401
	v_bfe_i32 v28, v2, 8, 8
	s_set_vgpr_msb 4                        ;  msbs: dst=0 src0=0 src1=1 src2=0
	v_dot4_i32_iu8 v167, v172, v2 /*v258*/, v159 neg_lo:[1,1,0]
	v_bfe_i32 v144, v2, 0, 8
	s_set_vgpr_msb 0                        ;  msbs: dst=0 src0=0 src1=0 src2=0
	v_dot4_i32_iu8 v8, v231, v34, v32 neg_lo:[1,1,0]
	v_perm_b32 v32, v178, v178, 0xc0c0001
	v_perm_b32 v228, v124, v139, 0x7060403
	v_lshrrev_b16 v22, 8, v1
	v_bfe_i32 v29, v0, 8, 8
	s_wait_dscnt 0x2
	v_lshrrev_b16 v155, 8, v143
	v_dot4_i32_iu8 v8, v232, v32, v8 neg_lo:[1,1,0]
	v_perm_b32 v32, v179, v178, 0xc0c0403
	v_bfe_i32 v30, v0, 0, 8
	v_bfe_i32 v22, v22, 0, 8
	v_bfe_i32 v155, v155, 0, 8
	v_mad_i32_i24 v8, v33, v19, v8
	v_perm_b32 v33, v137, v137, 0xc0c0001
	v_bfe_i32 v145, v3, 16, 8
	v_ashrrev_i32_e32 v150, 24, v3
	v_mul_i32_i24_e32 v22, v155, v22
	v_dot4_i32_iu8 v8, v233, v32, v8 neg_lo:[1,1,0]
	v_perm_b32 v32, v179, v179, 0xc0c0302
	v_bfe_i32 v155, v128, 0, 8
	s_wait_dscnt 0x1
	v_ashrrev_i32_e32 v251, 24, v133
	s_set_vgpr_msb 64                       ;  msbs: dst=1 src0=0 src1=0 src2=0
	v_perm_b32 v3 /*v259*/, v131, v17, 0x6040501
	v_perm_b32 v4 /*v260*/, v16, v131, 0x6040503
	s_set_vgpr_msb 0                        ;  msbs: dst=0 src0=0 src1=0 src2=0
	v_dot4_i32_iu8 v152, v10, v32, v8 neg_lo:[1,1,0]
	v_bfe_i32 v32, v126, 8, 8
	v_perm_b32 v8, v138, v124, 0x6050401
	s_set_vgpr_msb 64                       ;  msbs: dst=1 src0=0 src1=0 src2=0
	v_perm_b32 v32 /*v288*/, v14, v14, 0xc0c0c01
	s_wait_dscnt 0x0
	s_set_vgpr_msb 0                        ;  msbs: dst=0 src0=0 src1=0 src2=0
	v_bfe_i32 v248, v140, 16, 8
	s_set_vgpr_msb 64                       ;  msbs: dst=1 src0=0 src1=0 src2=0
	v_perm_b32 v33 /*v289*/, v15, v15, 0xc0c0001
	s_set_vgpr_msb 0                        ;  msbs: dst=0 src0=0 src1=0 src2=0
	v_mul_i32_i24_e32 v32, v32, v18
	v_dot4_i32_iu8 v8, v8, v235, 0 neg_lo:[1,1,0]
	v_bfe_i32 v245, v140, 0, 8
	v_bfe_i32 v244, v140, 8, 8
	v_lshrrev_b16 v160, 8, v141
	v_dot4_i32_iu8 v32, v136, v4, v32 neg_lo:[1,1,0]
	v_perm_b32 v241, v128, v143, 0x7060403
	s_set_vgpr_msb 64                       ;  msbs: dst=1 src0=0 src1=0 src2=0
	v_bfe_i32 v40 /*v296*/, v132, 16, 8
	s_set_vgpr_msb 0                        ;  msbs: dst=0 src0=0 src1=0 src2=0
	v_bfe_i32 v250, v133, 16, 8
	v_bfe_i32 v246, v132, 8, 8
	v_dot4_i32_iu8 v32, v237, v33, v32 neg_lo:[1,1,0]
	v_perm_b32 v33, v137, v137, 0xc0c0302
	v_bfe_i32 v249, v132, 0, 8
	v_ashrrev_i32_e32 v247, 24, v140
	s_set_vgpr_msb 64                       ;  msbs: dst=1 src0=0 src1=0 src2=0
	v_ashrrev_i32_e32 v39 /*v295*/, 24, v132
	s_set_vgpr_msb 1                        ;  msbs: dst=0 src0=1 src1=0 src2=0
	v_dot4_i32_iu8 v32, v1 /*v257*/, v33, v32 neg_lo:[1,1,0]
	s_set_vgpr_msb 0                        ;  msbs: dst=0 src0=0 src1=0 src2=0
	v_perm_b32 v33, v126, v126, 0xc030200
	s_set_vgpr_msb 4                        ;  msbs: dst=0 src0=0 src1=1 src2=0
	s_delay_alu instid0(VALU_DEP_1)
	v_dot4_i32_iu8 v153, v33, v14 /*v270*/, v32 neg_lo:[1,1,0]
	ds_load_u16 v161, v148 offset:48
	ds_load_b96 v[32:34], v148 offset:50
	ds_load_u16 v170, v148 offset:62
	s_wait_dscnt 0x2
	s_set_vgpr_msb 0                        ;  msbs: dst=0 src0=0 src1=0 src2=0
	v_lshrrev_b16 v149, 8, v161
	s_wait_dscnt 0x1
	v_lshrrev_b16 v146, 8, v32
	v_bfe_i32 v164, v32, 0, 8
	v_ashrrev_i32_e32 v163, 24, v32
	v_bfe_i32 v159, v34, 8, 8
	v_bfe_i32 v149, v149, 0, 8
	;; [unrolled: 1-line block ×3, first 2 shown]
	v_mul_i32_i24_e32 v158, v164, v158
	v_bfe_i32 v164, v14, 16, 8
	v_bfe_i32 v168, v34, 0, 8
	v_mul_i32_i24_e32 v24, v149, v24
	v_bfe_i32 v149, v161, 0, 8
	v_mul_i32_i24_e32 v146, v146, v157
	v_ashrrev_i32_e32 v157, 24, v14
	v_bfe_i32 v162, v32, 16, 8
	v_bfe_i32 v169, v33, 16, 8
	v_mul_i32_i24_e32 v25, v149, v25
	v_bfe_i32 v149, v13, 0, 8
	v_bfe_i32 v171, v33, 8, 8
	v_mul_i32_i24_e32 v164, v168, v164
	v_mul_i32_i24_e32 v157, v159, v157
	;; [unrolled: 1-line block ×3, first 2 shown]
	v_ashrrev_i32_e32 v147, 24, v33
	v_mul_i32_i24_e32 v166, v171, v166
	v_mad_i32_i24 v149, v162, v149, v164
	v_mad_i32_i24 v156, v163, v156, v157
	v_ashrrev_i32_e32 v159, 24, v34
	v_mad_i32_i24 v23, v147, v23, v25
	v_perm_b32 v25, v34, v33, 0xc0c0600
	v_add3_u32 v149, v158, v166, v149
	v_add3_u32 v146, v146, v165, v156
	v_mul_i32_i24_e32 v26, v159, v26
	v_perm_b32 v156, v1, v138, 0x6040503
	v_ashrrev_i32_e32 v162, 24, v2
	v_bfe_i32 v163, v2, 16, 8
	v_add3_u32 v24, v149, v146, v24
	v_perm_b32 v146, v15, v13, 0xc0c0402
	v_perm_b32 v2, v2, v1, 0x7060403
	v_bfe_i32 v158, v3, 8, 8
	v_perm_b32 v165, v11, v11, 0xc0c0001
	v_bfe_i32 v159, v3, 0, 8
	v_dot4_i32_iu8 v25, v25, v146, v26 neg_lo:[1,1,0]
	ds_load_2addr_b32 v[146:147], v148 offset0:10 offset1:11
	ds_load_2addr_b32 v[148:149], v148 offset0:8 offset1:9
	v_ashrrev_i32_e32 v26, 24, v142
	v_bfe_i32 v157, v143, 16, 8
	v_add3_u32 v171, v24, v23, v25
	v_perm_b32 v252, v32, v161, 0x400010c
	v_perm_b32 v253, v33, v32, 0x4020301
	;; [unrolled: 1-line block ×3, first 2 shown]
	s_wait_dscnt 0x1
	v_bfe_i32 v23, v146, 8, 8
	s_wait_dscnt 0x0
	v_perm_b32 v25, v148, v148, 0xc0c0001
	v_bfe_i32 v24, v146, 0, 8
	v_perm_b32 v164, v146, v146, 0xc0c0302
	v_perm_b32 v255, v149, v148, 0x6040503
	v_mul_i32_i24_e32 v23, v23, v20
	s_set_vgpr_msb 64                       ;  msbs: dst=1 src0=0 src1=0 src2=0
	v_perm_b32 v0 /*v256*/, v146, v149, 0x7060403
	s_set_vgpr_msb 0                        ;  msbs: dst=0 src0=0 src1=0 src2=0
	s_delay_alu instid0(VALU_DEP_2) | instskip(SKIP_1) | instid1(VALU_DEP_1)
	v_dot4_i32_iu8 v23, v25, v230, v23 neg_lo:[1,1,0]
	v_perm_b32 v25, v148, v148, 0xc0c0302
	v_dot4_i32_iu8 v23, v231, v25, v23 neg_lo:[1,1,0]
	v_perm_b32 v25, v149, v149, 0xc0c0001
	s_delay_alu instid0(VALU_DEP_1) | instskip(SKIP_1) | instid1(VALU_DEP_1)
	v_dot4_i32_iu8 v23, v232, v25, v23 neg_lo:[1,1,0]
	v_perm_b32 v25, v149, v149, 0xc0c0302
	v_dot4_i32_iu8 v9, v9, v25, v23 neg_lo:[1,1,0]
	v_bfe_i32 v25, v142, 0, 8
	v_bfe_i32 v23, v128, 8, 8
	s_delay_alu instid0(VALU_DEP_3)
	v_mad_i32_i24 v9, v24, v27, v9
	v_bfe_i32 v27, v142, 16, 8
	v_bfe_i32 v24, v142, 8, 8
	v_mul_i32_i24_e32 v25, v25, v30
	v_bfe_i32 v30, v1, 0, 8
	v_dot4_i32_iu8 v9, v10, v164, v9 neg_lo:[1,1,0]
	v_mul_i32_i24_e32 v27, v27, v35
	v_perm_b32 v35, v139, v0, 0x6040503
	v_perm_b32 v164, v147, v147, 0xc0c0001
	v_mul_i32_i24_e32 v24, v24, v29
	v_ashrrev_i32_e32 v29, 24, v1
	s_delay_alu instid0(VALU_DEP_4)
	v_dot4_i32_iu8 v8, v156, v35, v8 neg_lo:[1,1,0]
	v_ashrrev_i32_e32 v35, 24, v143
	v_dot4_i32_iu8 v173, v165, v164, v9 neg_lo:[1,1,0]
	v_bfe_i32 v9, v129, 0, 8
	v_ashrrev_i32_e32 v164, 24, v128
	v_dot4_i32_iu8 v229, v2, v228, v8 neg_lo:[1,1,0]
	v_bfe_i32 v8, v129, 8, 8
	v_bfe_i32 v165, v128, 16, 8
	v_mul_i32_i24_e32 v26, v26, v31
	v_bfe_i32 v31, v1, 16, 8
	v_bfe_i32 v156, v143, 0, 8
	v_mul_i32_i24_e32 v8, v8, v158
	v_mul_i32_i24_e32 v163, v165, v163
	;; [unrolled: 1-line block ×4, first 2 shown]
	v_bfe_i32 v158, v129, 16, 8
	v_mad_i32_i24 v8, v35, v29, v8
	v_mad_i32_i24 v30, v156, v30, v163
	s_delay_alu instid0(VALU_DEP_4) | instskip(NEXT) | instid1(VALU_DEP_4)
	v_mad_i32_i24 v9, v157, v31, v9
	v_mul_i32_i24_e32 v145, v158, v145
	s_delay_alu instid0(VALU_DEP_4) | instskip(SKIP_1) | instid1(VALU_DEP_3)
	v_add3_u32 v8, v22, v162, v8
	v_ashrrev_i32_e32 v158, 24, v129
	v_mad_i32_i24 v22, v155, v144, v145
	s_delay_alu instid0(VALU_DEP_3)
	v_add3_u32 v8, v30, v9, v8
	v_mad_i32_i24 v9, v23, v28, v24
	v_add_nc_u32_e32 v144, s16, v215
	s_set_vgpr_msb 64                       ;  msbs: dst=1 src0=0 src1=0 src2=0
	v_mul_i32_i24_e32 v15 /*v271*/, v158, v150
	s_set_vgpr_msb 0                        ;  msbs: dst=0 src0=0 src1=0 src2=0
	v_add3_u32 v155, v27, v26, v22
	v_add3_u32 v35, v8, v25, v9
	v_perm_b32 v8, v140, v132, 0x6050401
	v_perm_b32 v9, v4, v6, 0x6050401
	s_set_vgpr_msb 64                       ;  msbs: dst=1 src0=0 src1=0 src2=0
	s_delay_alu instid0(VALU_DEP_1) | instskip(SKIP_2) | instid1(VALU_DEP_1)
	v_dot4_i32_iu8 v16 /*v272*/, v8, v9, 0 neg_lo:[1,1,0]
	s_set_vgpr_msb 0                        ;  msbs: dst=0 src0=0 src1=0 src2=0
	v_or_b32_e32 v8, s13, v194
	v_dual_lshlrev_b32 v30, 2, v8 :: v_dual_lshrrev_b32 v31, 1, v8
	ds_load_b64 v[8:9], v21 offset:43584
	ds_load_b32 v21, v151
	ds_load_2addr_b32 v[156:157], v144 offset0:6 offset1:7
	ds_load_2addr_b32 v[162:163], v144 offset0:4 offset1:5
	;; [unrolled: 1-line block ×3, first 2 shown]
	ds_load_b128 v[22:25], v30 offset:33280
	ds_load_b128 v[26:29], v30 offset:33296
	s_set_vgpr_msb 64                       ;  msbs: dst=1 src0=0 src1=0 src2=0
	ds_load_b128 v[6:9] /*v[262:265]*/, v30 offset:33312
	ds_load_b128 v[10:13] /*v[266:269]*/, v30 offset:33328
	v_add_nc_u32_e32 v19 /*v275*/, s16, v216
	s_mov_b32 s16, 8
	s_set_vgpr_msb 0                        ;  msbs: dst=0 src0=0 src1=0 src2=0
	ds_load_b64 v[30:31], v31 offset:43584
	s_wait_dscnt 0x4
	s_set_vgpr_msb 64                       ;  msbs: dst=1 src0=0 src1=0 src2=0
	v_bfe_i32 v23 /*v279*/, v22, 16, 8
	s_wait_dscnt 0x3
	s_set_vgpr_msb 0                        ;  msbs: dst=0 src0=0 src1=0 src2=0
	v_perm_b32 v164, v27, v138, 0x6040503
	s_wait_dscnt 0x2
	s_set_vgpr_msb 1                        ;  msbs: dst=0 src0=1 src1=0 src2=0
	v_perm_b32 v151, v7 /*v263*/, v134, 0x6040503
	s_wait_dscnt 0x1
	s_set_vgpr_msb 5                        ;  msbs: dst=0 src0=1 src1=1 src2=0
	v_perm_b32 v145, v10 /*v266*/, v12 /*v268*/, 0x6040501
	v_perm_b32 v240, v11 /*v267*/, v10 /*v266*/, 0x6040503
	;; [unrolled: 1-line block ×3, first 2 shown]
	s_set_vgpr_msb 0x45                     ;  msbs: dst=1 src0=1 src1=1 src2=0
	v_perm_b32 v28 /*v284*/, v8 /*v264*/, v7 /*v263*/, 0x7060403
	s_set_vgpr_msb 64                       ;  msbs: dst=1 src0=0 src1=0 src2=0
	v_perm_b32 v29 /*v285*/, v28, v27, 0x7060403
	s_set_vgpr_msb 4                        ;  msbs: dst=0 src0=0 src1=1 src2=0
	v_dot4_i32_iu8 v17, v145, v3 /*v259*/, 0 neg_lo:[1,1,0]
	v_bfe_i32 v242, v21, 0, 8
	v_bfe_i32 v243, v21, 8, 8
	;; [unrolled: 1-line block ×3, first 2 shown]
	s_set_vgpr_msb 0                        ;  msbs: dst=0 src0=0 src1=0 src2=0
	v_ashrrev_i32_e32 v239, 24, v21
	s_set_vgpr_msb 4                        ;  msbs: dst=0 src0=0 src1=1 src2=0
	v_dot4_i32_iu8 v16, v240, v4 /*v260*/, v17 neg_lo:[1,1,0]
	v_perm_b32 v17, v134, v8 /*v264*/, 0x6040501
	s_set_vgpr_msb 64                       ;  msbs: dst=1 src0=0 src1=0 src2=0
	v_ashrrev_i32_e32 v43 /*v299*/, 24, v24
	s_set_vgpr_msb 0                        ;  msbs: dst=0 src0=0 src1=0 src2=0
	v_dot4_i32_iu8 v145, v11, v130, v152 neg_lo:[1,1,0]
	v_dot4_i32_iu8 v152, v15, v135, v167 neg_lo:[1,1,0]
	s_set_vgpr_msb 4                        ;  msbs: dst=0 src0=0 src1=1 src2=0
	v_dot4_i32_iu8 v16, v131, v2 /*v258*/, v16 neg_lo:[1,1,0]
	v_mul_i32_i24_e32 v161, v248, v23 /*v279*/
	s_set_vgpr_msb 0x45                     ;  msbs: dst=1 src0=1 src1=1 src2=0
	v_perm_b32 v12 /*v268*/, v12 /*v268*/, v12 /*v268*/, 0xc0c0c01
	s_set_vgpr_msb 64                       ;  msbs: dst=1 src0=0 src1=0 src2=0
	v_bfe_i32 v22 /*v278*/, v22, 0, 8
	v_ashrrev_i32_e32 v24 /*v280*/, 24, v22
	s_set_vgpr_msb 1                        ;  msbs: dst=0 src0=1 src1=0 src2=0
	v_dot4_i32_iu8 v150, v13 /*v269*/, v135, v16 neg_lo:[1,1,0]
	v_perm_b32 v16, v6 /*v262*/, v179, 0x6040501
	s_set_vgpr_msb 64                       ;  msbs: dst=1 src0=0 src1=0 src2=0
	v_bfe_i32 v21 /*v277*/, v22, 8, 8
	v_perm_b32 v38 /*v294*/, v27, v26, 0x6040503
	s_set_vgpr_msb 4                        ;  msbs: dst=0 src0=0 src1=1 src2=0
	v_mul_i32_i24_e32 v247, v247, v24 /*v280*/
	s_set_vgpr_msb 64                       ;  msbs: dst=1 src0=0 src1=0 src2=0
	v_perm_b32 v24 /*v280*/, v23, v136, 0x6040503
	s_set_vgpr_msb 0                        ;  msbs: dst=0 src0=0 src1=0 src2=0
	v_dot4_i32_iu8 v16, v17, v16, 0 neg_lo:[1,1,0]
	s_set_vgpr_msb 4                        ;  msbs: dst=0 src0=0 src1=1 src2=0
	v_perm_b32 v17, v178, v6 /*v262*/, 0x6040503
	s_set_vgpr_msb 1                        ;  msbs: dst=0 src0=1 src1=0 src2=0
	v_lshrrev_b16 v21, 8, v23
	v_mul_i32_i24_e32 v149, v21 /*v277*/, v244
	s_set_vgpr_msb 64                       ;  msbs: dst=1 src0=0 src1=0 src2=0
	v_bfe_i32 v21 /*v277*/, v141, 0, 8
	s_set_vgpr_msb 0                        ;  msbs: dst=0 src0=0 src1=0 src2=0
	v_perm_b32 v244, v141, v140, 0x6040503
	v_dot4_i32_iu8 v16, v151, v17, v16 neg_lo:[1,1,0]
	v_perm_b32 v17, v178, v178, 0xc0c0c03
	v_perm_b32 v151, v179, v179, 0x706000c
	v_bfe_i32 v21, v21, 0, 8
	s_set_vgpr_msb 64                       ;  msbs: dst=1 src0=0 src1=0 src2=0
	v_bfe_i32 v41 /*v297*/, v25, 8, 8
	v_ashrrev_i32_e32 v27 /*v283*/, 24, v25
	v_bfe_i32 v42 /*v298*/, v25, 0, 8
	v_or_b32_e32 v5 /*v261*/, v151, v17
	s_set_vgpr_msb 0                        ;  msbs: dst=0 src0=0 src1=0 src2=0
	v_perm_b32 v17, v138, v28, 0x6050401
	s_set_vgpr_msb 64                       ;  msbs: dst=1 src0=0 src1=0 src2=0
	v_bfe_i32 v44 /*v300*/, v24, 16, 8
	v_bfe_i32 v26 /*v282*/, v25, 16, 8
	;; [unrolled: 1-line block ×3, first 2 shown]
	s_set_vgpr_msb 5                        ;  msbs: dst=0 src0=1 src1=1 src2=0
	v_dot4_i32_iu8 v16, v5 /*v261*/, v28 /*v284*/, v16 neg_lo:[1,1,0]
	s_set_vgpr_msb 64                       ;  msbs: dst=1 src0=0 src1=0 src2=0
	v_bfe_i32 v20 /*v276*/, v24, 8, 8
	v_bfe_i32 v25 /*v281*/, v24, 0, 8
	s_set_vgpr_msb 1                        ;  msbs: dst=0 src0=1 src1=0 src2=0
	v_ashrrev_i32_e32 v248, 24, v141
	v_dot4_i32_iu8 v151, v9 /*v265*/, v130, v16 neg_lo:[1,1,0]
	s_set_vgpr_msb 0                        ;  msbs: dst=0 src0=0 src1=0 src2=0
	v_perm_b32 v16, v26, v124, 0x6050401
	s_delay_alu instid0(VALU_DEP_1) | instskip(SKIP_1) | instid1(VALU_DEP_1)
	v_dot4_i32_iu8 v16, v17, v16, 0 neg_lo:[1,1,0]
	v_perm_b32 v17, v139, v26, 0x6040503
	v_dot4_i32_iu8 v16, v164, v17, v16 neg_lo:[1,1,0]
	v_dot4_i32_iu8 v17, v127, v7, v153 neg_lo:[1,1,0]
	ds_load_2addr_b32 v[168:169], v144 offset1:1
	ds_load_2addr_b32 v[174:175], v144 offset0:13 offset1:14
	ds_load_2addr_b32 v[164:165], v144 offset0:11 offset1:12
	;; [unrolled: 1-line block ×4, first 2 shown]
	s_set_vgpr_msb 1                        ;  msbs: dst=0 src0=1 src1=0 src2=0
	v_dot4_i32_iu8 v16, v29 /*v285*/, v228, v16 neg_lo:[1,1,0]
	s_set_vgpr_msb 64                       ;  msbs: dst=1 src0=0 src1=0 src2=0
	v_mul_lo_u32 v30 /*v286*/, v17, v242
	s_set_vgpr_msb 0                        ;  msbs: dst=0 src0=0 src1=0 src2=0
	v_perm_b32 v17, v136, v24, 0x6050401
	v_dot4_i32_iu8 v16, v29, v125, v16 neg_lo:[1,1,0]
	s_delay_alu instid0(VALU_DEP_1) | instskip(SKIP_2) | instid1(VALU_DEP_1)
	v_mul_lo_u32 v153, v16, v243
	v_perm_b32 v16, v22, v126, 0x6050401
	s_set_vgpr_msb 64                       ;  msbs: dst=1 src0=0 src1=0 src2=0
	v_dot4_i32_iu8 v31 /*v287*/, v17, v16, 0 neg_lo:[1,1,0]
	s_wait_dscnt 0x5
	s_set_vgpr_msb 0                        ;  msbs: dst=0 src0=0 src1=0 src2=0
	v_dual_mov_b32 v16, v30 :: v_dual_mov_b32 v17, v8
	v_mul_lo_u32 v8, v150, v239
	v_mul_lo_u32 v30, v145, v238
	s_wait_dscnt 0x2
	v_perm_b32 v234, v165, v165, 0x600010c
	s_set_vgpr_msb 1                        ;  msbs: dst=0 src0=1 src1=0 src2=0
	ds_load_2addr_b32 v[144:145], v19 /*v275*/ offset0:6 offset1:7
	s_set_vgpr_msb 4                        ;  msbs: dst=0 src0=0 src1=1 src2=0
	v_or_b32_e32 v14, v234, v32 /*v288*/
	s_set_vgpr_msb 0                        ;  msbs: dst=0 src0=0 src1=0 src2=0
	v_mad_u32 v8, v151, v238, v8
	v_mad_u32 v30, v152, v239, v30
	s_set_vgpr_msb 1                        ;  msbs: dst=0 src0=1 src1=0 src2=0
	v_mul_i32_i24_e32 v152, v22 /*v278*/, v245
	s_set_vgpr_msb 0                        ;  msbs: dst=0 src0=0 src1=0 src2=0
	v_perm_b32 v245, v137, v22, 0x6040503
	s_set_vgpr_msb 64                       ;  msbs: dst=1 src0=0 src1=0 src2=0
	v_bfe_i32 v22 /*v278*/, v141, 16, 8
	s_set_vgpr_msb 0x51                     ;  msbs: dst=1 src0=1 src1=0 src2=1
	s_delay_alu instid0(VALU_DEP_2)
	v_dot4_i32_iu8 v24 /*v280*/, v24 /*v280*/, v245, v31 /*v287*/ neg_lo:[1,1,0]
	s_set_vgpr_msb 0                        ;  msbs: dst=0 src0=0 src1=0 src2=0
	v_perm_b32 v245, v132, v141, 0x7060403
	v_perm_b32 v141, v24, v23, 0x7060403
	v_cvt_f32_i32_e32 v150, v8
	v_cvt_f32_i32_e32 v151, v30
	v_mov_b32_e32 v8, v31
	v_perm_b32 v30, v12, v175, 0x6040501
	v_perm_b32 v31, v174, v12, 0x6040503
	s_set_vgpr_msb 64                       ;  msbs: dst=1 src0=0 src1=0 src2=0
	v_bfe_i32 v31 /*v287*/, v133, 0, 8
	s_set_vgpr_msb 0                        ;  msbs: dst=0 src0=0 src1=0 src2=0
	v_dot4_i32_iu8 v14, v30, v14, 0 neg_lo:[1,1,0]
	v_perm_b32 v30, v13, v165, 0x6040503
	s_delay_alu instid0(VALU_DEP_1) | instskip(SKIP_2) | instid1(VALU_DEP_1)
	v_dot4_i32_iu8 v14, v31, v30, v14 neg_lo:[1,1,0]
	v_perm_b32 v30, v174, v174, 0xc0c0c03
	v_perm_b32 v31, v175, v175, 0x706000c
	v_or_b32_e32 v236, v31, v30
	s_wait_dscnt 0x2
	v_perm_b32 v30, v167, v167, 0xc0c0001
	v_perm_b32 v31, v166, v166, 0xc0c0001
	s_delay_alu instid0(VALU_DEP_3) | instskip(SKIP_1) | instid1(VALU_DEP_1)
	v_dot4_i32_iu8 v14, v172, v236, v14 neg_lo:[1,1,0]
	s_set_vgpr_msb 0x41                     ;  msbs: dst=1 src0=1 src1=0 src2=0
	v_dot4_i32_iu8 v34 /*v290*/, v33 /*v289*/, v30, v14 neg_lo:[1,1,0]
	s_wait_dscnt 0x1
	s_set_vgpr_msb 0                        ;  msbs: dst=0 src0=0 src1=0 src2=0
	v_bfe_i32 v14, v177, 8, 8
	v_bfe_i32 v30, v176, 16, 8
	s_delay_alu instid0(VALU_DEP_2) | instskip(NEXT) | instid1(VALU_DEP_1)
	v_mul_i32_i24_e32 v14, v14, v20
	v_dot4_i32_iu8 v14, v31, v230, v14 neg_lo:[1,1,0]
	v_perm_b32 v31, v166, v166, 0xc0c0302
	s_delay_alu instid0(VALU_DEP_1) | instskip(SKIP_1) | instid1(VALU_DEP_1)
	v_dot4_i32_iu8 v14, v231, v31, v14 neg_lo:[1,1,0]
	v_perm_b32 v31, v176, v176, 0xc0c0001
	v_dot4_i32_iu8 v14, v232, v31, v14 neg_lo:[1,1,0]
	v_perm_b32 v31, v1, v162, 0x6040503
	s_delay_alu instid0(VALU_DEP_2) | instskip(SKIP_1) | instid1(VALU_DEP_1)
	v_mad_i32_i24 v14, v30, v19, v14
	v_perm_b32 v30, v177, v176, 0xc0c0403
	v_dot4_i32_iu8 v14, v233, v30, v14 neg_lo:[1,1,0]
	v_perm_b32 v30, v177, v177, 0xc0c0302
	s_set_vgpr_msb 64                       ;  msbs: dst=1 src0=0 src1=0 src2=0
	s_delay_alu instid0(VALU_DEP_1) | instskip(SKIP_3) | instid1(VALU_DEP_2)
	v_dot4_i32_iu8 v35 /*v291*/, v10, v30, v14 neg_lo:[1,1,0]
	s_set_vgpr_msb 0                        ;  msbs: dst=0 src0=0 src1=0 src2=0
	v_perm_b32 v14, v162, v156, 0x6050401
	v_perm_b32 v30, v163, v0, 0x6040503
	v_dot4_i32_iu8 v14, v14, v235, 0 neg_lo:[1,1,0]
	s_delay_alu instid0(VALU_DEP_1) | instskip(SKIP_4) | instid1(VALU_DEP_2)
	v_dot4_i32_iu8 v14, v31, v30, v14 neg_lo:[1,1,0]
	v_perm_b32 v30, v156, v163, 0x7060403
	s_set_vgpr_msb 4                        ;  msbs: dst=0 src0=0 src1=1 src2=0
	v_perm_b32 v31, v148, v8 /*v264*/, 0x6040501
	s_set_vgpr_msb 64                       ;  msbs: dst=1 src0=0 src1=0 src2=0
	v_dot4_i32_iu8 v36 /*v292*/, v2, v30, v14 neg_lo:[1,1,0]
	s_set_vgpr_msb 0                        ;  msbs: dst=0 src0=0 src1=0 src2=0
	v_bfe_i32 v14, v158, 8, 8
	v_perm_b32 v30, v169, v169, 0xc0c0001
	s_delay_alu instid0(VALU_DEP_2) | instskip(NEXT) | instid1(VALU_DEP_1)
	v_mul_i32_i24_e32 v14, v14, v18
	v_dot4_i32_iu8 v14, v168, v4, v14 neg_lo:[1,1,0]
	s_delay_alu instid0(VALU_DEP_1) | instskip(SKIP_2) | instid1(VALU_DEP_1)
	v_dot4_i32_iu8 v14, v237, v30, v14 neg_lo:[1,1,0]
	v_perm_b32 v30, v169, v169, 0xc0c0302
	s_set_vgpr_msb 1                        ;  msbs: dst=0 src0=1 src1=0 src2=0
	v_dot4_i32_iu8 v14, v1 /*v257*/, v30, v14 neg_lo:[1,1,0]
	s_set_vgpr_msb 0                        ;  msbs: dst=0 src0=0 src1=0 src2=0
	v_perm_b32 v30, v158, v158, 0xc030200
	s_set_vgpr_msb 0x44                     ;  msbs: dst=1 src0=0 src1=1 src2=0
	s_delay_alu instid0(VALU_DEP_1)
	v_dot4_i32_iu8 v37 /*v293*/, v30, v14 /*v270*/, v14 neg_lo:[1,1,0]
	s_set_vgpr_msb 1                        ;  msbs: dst=0 src0=1 src1=0 src2=0
	v_perm_b32 v14, v10 /*v266*/, v33, 0x6040503
	s_set_vgpr_msb 4                        ;  msbs: dst=0 src0=0 src1=1 src2=0
	v_or_b32_e32 v30, v252, v12 /*v268*/
	s_set_vgpr_msb 0                        ;  msbs: dst=0 src0=0 src1=0 src2=0
	s_delay_alu instid0(VALU_DEP_1) | instskip(SKIP_3) | instid1(VALU_DEP_2)
	v_dot4_i32_iu8 v14, v30, v14, 0 neg_lo:[1,1,0]
	s_set_vgpr_msb 1                        ;  msbs: dst=0 src0=1 src1=0 src2=0
	v_perm_b32 v30, v6 /*v262*/, v146, 0x6040501
	s_set_vgpr_msb 0                        ;  msbs: dst=0 src0=0 src1=0 src2=0
	v_dot4_i32_iu8 v14, v240, v253, v14 neg_lo:[1,1,0]
	s_delay_alu instid0(VALU_DEP_2)
	v_dot4_i32_iu8 v30, v31, v30, 0 neg_lo:[1,1,0]
	s_set_vgpr_msb 5                        ;  msbs: dst=0 src0=1 src1=1 src2=0
	v_perm_b32 v31, v7 /*v263*/, v6 /*v262*/, 0x6040503
	s_set_vgpr_msb 0                        ;  msbs: dst=0 src0=0 src1=0 src2=0
	v_perm_b32 v240, v143, v142, 0x6040503
	v_dot4_i32_iu8 v14, v254, v131, v14 neg_lo:[1,1,0]
	s_delay_alu instid0(VALU_DEP_3) | instskip(SKIP_2) | instid1(VALU_DEP_2)
	v_dot4_i32_iu8 v30, v255, v31, v30 neg_lo:[1,1,0]
	v_perm_b32 v31, v142, v28, 0x6050401
	s_set_vgpr_msb 5                        ;  msbs: dst=0 src0=1 src1=1 src2=0
	v_dot4_i32_iu8 v32, v0 /*v256*/, v28 /*v284*/, v30 neg_lo:[1,1,0]
	s_set_vgpr_msb 0                        ;  msbs: dst=0 src0=0 src1=0 src2=0
	v_perm_b32 v30, v26, v128, 0x6050401
	s_delay_alu instid0(VALU_DEP_1)
	v_dot4_i32_iu8 v30, v31, v30, 0 neg_lo:[1,1,0]
	v_perm_b32 v31, v5, v4, 0x6040503
	v_perm_b32 v5, v6, v5, 0x7060403
	v_perm_b32 v6, v126, v137, 0x7060403
	s_set_vgpr_msb 4                        ;  msbs: dst=0 src0=0 src1=1 src2=0
	v_dot4_i32_iu8 v30, v240, v38 /*v294*/, v30 neg_lo:[1,1,0]
	s_set_vgpr_msb 16                       ;  msbs: dst=0 src0=0 src1=0 src2=1
	v_dot4_i32_iu8 v31, v244, v31, v16 /*v272*/ neg_lo:[1,1,0]
	s_set_vgpr_msb 64                       ;  msbs: dst=1 src0=0 src1=0 src2=0
	v_bfe_i32 v16 /*v272*/, v23, 0, 8
	s_set_vgpr_msb 16                       ;  msbs: dst=0 src0=0 src1=0 src2=1
	v_dot4_i32_iu8 v6, v141, v6, v24 /*v280*/ neg_lo:[1,1,0]
	s_set_vgpr_msb 4                        ;  msbs: dst=0 src0=0 src1=1 src2=0
	v_dot4_i32_iu8 v143, v241, v29 /*v285*/, v30 neg_lo:[1,1,0]
	v_bfe_i32 v30, v160, 0, 8
	s_set_vgpr_msb 0                        ;  msbs: dst=0 src0=0 src1=0 src2=0
	v_dot4_i32_iu8 v5, v245, v5, v31 neg_lo:[1,1,0]
	v_dot4_i32_iu8 v6, v25, v127, v6 neg_lo:[1,1,0]
	s_set_vgpr_msb 64                       ;  msbs: dst=1 src0=0 src1=0 src2=0
	v_bfe_i32 v29 /*v285*/, v133, 8, 8
	s_set_vgpr_msb 0                        ;  msbs: dst=0 src0=0 src1=0 src2=0
	v_ashrrev_i32_e32 v160, 24, v23
	v_mul_i32_i24_e32 v21, v21, v30
	v_dot4_i32_iu8 v30, v125, v3, v229 neg_lo:[1,1,0]
	v_mad_u32 v6, v6, v242, v153
	s_set_vgpr_msb 1                        ;  msbs: dst=0 src0=1 src1=0 src2=0
	v_mul_i32_i24_e32 v153, v27 /*v283*/, v251
	s_set_vgpr_msb 0                        ;  msbs: dst=0 src0=0 src1=0 src2=0
	v_perm_b32 v251, v147, v147, 0x7060001
	v_dot4_i32_iu8 v5, v133, v7, v5 neg_lo:[1,1,0]
	s_set_vgpr_msb 16                       ;  msbs: dst=0 src0=0 src1=0 src2=1
	v_mad_u32 v30, v30, v243, v30 /*v286*/
	s_delay_alu instid0(VALU_DEP_1) | instskip(SKIP_4) | instid1(VALU_DEP_2)
	v_cvt_f32_i32_e32 v31, v30
	v_cvt_f32_i32_e32 v30, v6
	s_set_vgpr_msb 5                        ;  msbs: dst=0 src0=1 src1=1 src2=0
	v_mul_i32_i24_e32 v6, v44 /*v300*/, v40 /*v296*/
	s_set_vgpr_msb 0                        ;  msbs: dst=0 src0=0 src1=0 src2=0
	v_pk_fma_f32 v[30:31], v[16:17], v[30:31], 0 op_sel_hi:[1,1,0]
	s_set_vgpr_msb 5                        ;  msbs: dst=0 src0=1 src1=1 src2=0
	s_delay_alu instid0(VALU_DEP_2)
	v_mad_i32_i24 v6, v16 /*v272*/, v21 /*v277*/, v6
	s_set_vgpr_msb 64                       ;  msbs: dst=1 src0=0 src1=0 src2=0
	v_perm_b32 v16 /*v272*/, v15, v15, 0xc0c0302
	s_set_vgpr_msb 16                       ;  msbs: dst=0 src0=0 src1=0 src2=1
	v_add3_u32 v15, v35, v155, v15 /*v271*/
	s_set_vgpr_msb 0                        ;  msbs: dst=0 src0=0 src1=0 src2=0
	v_pk_fma_f32 v[30:31], v[8:9], v[150:151], v[30:31]
	s_set_vgpr_msb 5                        ;  msbs: dst=0 src0=1 src1=1 src2=0
	v_mul_i32_i24_e32 v150, v41 /*v297*/, v29 /*v285*/
	s_set_vgpr_msb 1                        ;  msbs: dst=0 src0=1 src1=0 src2=0
	v_mul_i32_i24_e32 v151, v26 /*v282*/, v250
	s_set_vgpr_msb 0                        ;  msbs: dst=0 src0=0 src1=0 src2=0
	v_perm_b32 v250, v170, v34, 0x5040203
	v_pk_fma_f32 v[74:75], v[116:117], v[30:31], v[74:75]
	s_set_vgpr_msb 5                        ;  msbs: dst=0 src0=1 src1=1 src2=0
	v_mul_i32_i24_e32 v30, v43 /*v299*/, v39 /*v295*/
	v_mul_i32_i24_e32 v31, v42 /*v298*/, v31 /*v287*/
	s_set_vgpr_msb 0                        ;  msbs: dst=0 src0=0 src1=0 src2=0
	v_mad_i32_i24 v150, v160, v248, v150
	s_set_vgpr_msb 5                        ;  msbs: dst=0 src0=1 src1=1 src2=0
	s_delay_alu instid0(VALU_DEP_2) | instskip(SKIP_1) | instid1(VALU_DEP_2)
	v_mad_i32_i24 v31, v23 /*v279*/, v22 /*v278*/, v31
	s_set_vgpr_msb 0                        ;  msbs: dst=0 src0=0 src1=0 src2=0
	v_add3_u32 v21, v21, v30, v150
	s_set_vgpr_msb 1                        ;  msbs: dst=0 src0=1 src1=0 src2=0
	v_mad_i32_i24 v30, v25 /*v281*/, v249, v151
	s_set_vgpr_msb 0                        ;  msbs: dst=0 src0=0 src1=0 src2=0
	s_delay_alu instid0(VALU_DEP_2) | instskip(SKIP_4) | instid1(VALU_DEP_2)
	v_add3_u32 v6, v6, v31, v21
	s_set_vgpr_msb 1                        ;  msbs: dst=0 src0=1 src1=0 src2=0
	v_mad_i32_i24 v21, v20 /*v276*/, v246, v149
	s_set_vgpr_msb 0                        ;  msbs: dst=0 src0=0 src1=0 src2=0
	v_perm_b32 v31, v11, v11, 0xc0c0302
	v_add3_u32 v6, v6, v152, v21
	v_add3_u32 v21, v161, v247, v30
	ds_load_b32 v30, v154
	v_add3_u32 v6, v6, v21, v153
	s_wait_dscnt 0x0
	v_bfe_i32 v248, v30, 8, 8
	v_bfe_i32 v249, v30, 0, 8
	;; [unrolled: 1-line block ×3, first 2 shown]
	v_ashrrev_i32_e32 v247, 24, v30
	s_set_vgpr_msb 5                        ;  msbs: dst=0 src0=1 src1=1 src2=0
	v_perm_b32 v30, v13 /*v269*/, v13 /*v269*/, 0x3020001
	s_set_vgpr_msb 0                        ;  msbs: dst=0 src0=0 src1=0 src2=0
	v_mul_lo_u32 v5, v5, v249
	s_delay_alu instid0(VALU_DEP_2) | instskip(SKIP_1) | instid1(VALU_DEP_1)
	v_dot4_i32_iu8 v30, v30, v250, v14 neg_lo:[1,1,0]
	v_perm_b32 v14, v147, v147, 0xc0c0302
	v_dot4_i32_iu8 v31, v31, v14, v173 neg_lo:[1,1,0]
	v_perm_b32 v14, v170, v170, 0xc0c0100
	v_mad_u32 v5, v15, v248, v5
	s_set_vgpr_msb 1                        ;  msbs: dst=0 src0=1 src1=0 src2=0
	s_delay_alu instid0(VALU_DEP_2) | instskip(SKIP_3) | instid1(VALU_DEP_1)
	v_dot4_i32_iu8 v34, v16 /*v272*/, v14, v171 neg_lo:[1,1,0]
	s_set_vgpr_msb 5                        ;  msbs: dst=0 src0=1 src1=1 src2=0
	v_perm_b32 v14, v9 /*v265*/, v9 /*v265*/, 0x3020001
	s_set_vgpr_msb 0                        ;  msbs: dst=0 src0=0 src1=0 src2=0
	v_dot4_i32_iu8 v32, v14, v251, v32 neg_lo:[1,1,0]
	v_dot4_i32_iu8 v14, v29, v129, v143 neg_lo:[1,1,0]
	v_cvt_f32_i32_e32 v15, v5
	v_mul_lo_u32 v5, v30, v247
	s_delay_alu instid0(VALU_DEP_3) | instskip(NEXT) | instid1(VALU_DEP_2)
	v_mul_lo_u32 v14, v14, v248
	v_mad_u32 v5, v32, v246, v5
	s_delay_alu instid0(VALU_DEP_2) | instskip(NEXT) | instid1(VALU_DEP_2)
	v_mad_u32 v6, v6, v249, v14
	v_cvt_f32_i32_e32 v30, v5
	s_delay_alu instid0(VALU_DEP_2) | instskip(SKIP_1) | instid1(VALU_DEP_2)
	v_cvt_f32_i32_e32 v14, v6
	v_mul_lo_u32 v6, v31, v246
	v_pk_fma_f32 v[14:15], v[16:17], v[14:15], 0 op_sel_hi:[1,1,0]
	s_delay_alu instid0(VALU_DEP_2)
	v_mad_u32 v6, v34, v247, v6
	s_set_vgpr_msb 1                        ;  msbs: dst=0 src0=1 src1=0 src2=0
	ds_load_2addr_b32 v[160:161], v19 /*v275*/ offset0:4 offset1:5
	ds_load_2addr_b32 v[34:35], v19 /*v275*/ offset0:2 offset1:3
	ds_load_2addr_b32 v[154:155], v19 /*v275*/ offset1:1
	ds_load_2addr_b32 v[170:171], v19 /*v275*/ offset0:13 offset1:14
	ds_load_2addr_b32 v[150:151], v19 /*v275*/ offset0:11 offset1:12
	;; [unrolled: 1-line block ×3, first 2 shown]
	s_set_vgpr_msb 0                        ;  msbs: dst=0 src0=0 src1=0 src2=0
	v_cvt_f32_i32_e32 v31, v6
	s_wait_dscnt 0x5
	v_perm_b32 v0, v161, v0, 0x6040503
	v_perm_b32 v1, v1, v160, 0x6040503
	s_delay_alu instid0(VALU_DEP_3)
	v_pk_fma_f32 v[14:15], v[8:9], v[30:31], v[14:15]
	s_wait_dscnt 0x2
	v_perm_b32 v5, v12, v171, 0x6040501
	s_wait_dscnt 0x1
	v_perm_b32 v149, v151, v151, 0x600010c
	v_perm_b32 v12, v170, v12, 0x6040503
	;; [unrolled: 1-line block ×3, first 2 shown]
	v_pk_fma_f32 v[70:71], v[118:119], v[14:15], v[70:71]
	v_perm_b32 v14, v23, v168, 0x6040503
	s_set_vgpr_msb 4                        ;  msbs: dst=0 src0=0 src1=1 src2=0
	v_or_b32_e32 v6, v149, v32 /*v288*/
	s_set_vgpr_msb 0                        ;  msbs: dst=0 src0=0 src1=0 src2=0
	s_delay_alu instid0(VALU_DEP_1) | instskip(SKIP_3) | instid1(VALU_DEP_2)
	v_dot4_i32_iu8 v5, v5, v6, 0 neg_lo:[1,1,0]
	v_perm_b32 v6, v13, v151, 0x6040503
	s_wait_dscnt 0x0
	v_perm_b32 v13, v152, v152, 0xc0c0001
	v_dot4_i32_iu8 v5, v12, v6, v5 neg_lo:[1,1,0]
	v_perm_b32 v6, v170, v170, 0xc0c0c03
	v_perm_b32 v12, v171, v171, 0x706000c
	s_delay_alu instid0(VALU_DEP_1) | instskip(SKIP_1) | instid1(VALU_DEP_2)
	v_or_b32_e32 v229, v12, v6
	v_perm_b32 v6, v153, v153, 0xc0c0001
	v_dot4_i32_iu8 v5, v172, v229, v5 neg_lo:[1,1,0]
	s_set_vgpr_msb 1                        ;  msbs: dst=0 src0=1 src1=0 src2=0
	ds_load_2addr_b32 v[172:173], v19 /*v275*/ offset0:9 offset1:10
	v_dot4_i32_iu8 v6, v33 /*v289*/, v6, v5 neg_lo:[1,1,0]
	s_wait_dscnt 0x0
	s_set_vgpr_msb 0                        ;  msbs: dst=0 src0=0 src1=0 src2=0
	v_bfe_i32 v5, v173, 8, 8
	v_bfe_i32 v12, v172, 16, 8
	s_delay_alu instid0(VALU_DEP_2) | instskip(NEXT) | instid1(VALU_DEP_1)
	v_mul_i32_i24_e32 v5, v5, v20
	v_dot4_i32_iu8 v5, v13, v230, v5 neg_lo:[1,1,0]
	v_perm_b32 v13, v152, v152, 0xc0c0302
	s_delay_alu instid0(VALU_DEP_1) | instskip(SKIP_1) | instid1(VALU_DEP_1)
	v_dot4_i32_iu8 v5, v231, v13, v5 neg_lo:[1,1,0]
	v_perm_b32 v13, v172, v172, 0xc0c0001
	v_dot4_i32_iu8 v5, v232, v13, v5 neg_lo:[1,1,0]
	v_perm_b32 v13, v28, v163, 0x7060403
	s_delay_alu instid0(VALU_DEP_2) | instskip(SKIP_1) | instid1(VALU_DEP_1)
	v_mad_i32_i24 v5, v12, v19, v5
	v_perm_b32 v12, v173, v172, 0xc0c0403
	v_dot4_i32_iu8 v5, v233, v12, v5 neg_lo:[1,1,0]
	v_perm_b32 v12, v173, v173, 0xc0c0302
	s_delay_alu instid0(VALU_DEP_1) | instskip(SKIP_1) | instid1(VALU_DEP_2)
	v_dot4_i32_iu8 v10, v10, v12, v5 neg_lo:[1,1,0]
	v_perm_b32 v5, v160, v144, 0x6050401
	v_dot4_i32_iu8 v10, v11, v150, v10 neg_lo:[1,1,0]
	s_delay_alu instid0(VALU_DEP_2) | instskip(SKIP_1) | instid1(VALU_DEP_2)
	v_dot4_i32_iu8 v5, v5, v235, 0 neg_lo:[1,1,0]
	v_perm_b32 v235, v163, v162, 0x6040503
	v_dot4_i32_iu8 v0, v1, v0, v5 neg_lo:[1,1,0]
	v_perm_b32 v1, v144, v161, 0x7060403
	s_set_vgpr_msb 1                        ;  msbs: dst=0 src0=1 src1=0 src2=0
	v_perm_b32 v5, v7 /*v263*/, v166, 0x6040503
	s_set_vgpr_msb 0                        ;  msbs: dst=0 src0=0 src1=0 src2=0
	s_delay_alu instid0(VALU_DEP_2) | instskip(SKIP_2) | instid1(VALU_DEP_3)
	v_dot4_i32_iu8 v2, v2, v1, v0 neg_lo:[1,1,0]
	v_bfe_i32 v0, v34, 8, 8
	v_perm_b32 v1, v155, v155, 0xc0c0001
	v_dot4_i32_iu8 v2, v145, v3, v2 neg_lo:[1,1,0]
	s_delay_alu instid0(VALU_DEP_3) | instskip(NEXT) | instid1(VALU_DEP_1)
	v_mul_i32_i24_e32 v0, v0, v18
	v_dot4_i32_iu8 v0, v154, v4, v0 neg_lo:[1,1,0]
	s_set_vgpr_msb 1                        ;  msbs: dst=0 src0=1 src1=0 src2=0
	v_perm_b32 v4, v11 /*v267*/, v165, 0x6040503
	s_set_vgpr_msb 0                        ;  msbs: dst=0 src0=0 src1=0 src2=0
	s_delay_alu instid0(VALU_DEP_2) | instskip(SKIP_2) | instid1(VALU_DEP_1)
	v_dot4_i32_iu8 v0, v237, v1, v0 neg_lo:[1,1,0]
	v_perm_b32 v1, v155, v155, 0xc0c0302
	s_set_vgpr_msb 1                        ;  msbs: dst=0 src0=1 src1=0 src2=0
	v_dot4_i32_iu8 v0, v1 /*v257*/, v1, v0 neg_lo:[1,1,0]
	s_set_vgpr_msb 0                        ;  msbs: dst=0 src0=0 src1=0 src2=0
	v_perm_b32 v1, v34, v34, 0xc030200
	s_set_vgpr_msb 4                        ;  msbs: dst=0 src0=0 src1=1 src2=0
	s_delay_alu instid0(VALU_DEP_1)
	v_dot4_i32_iu8 v12, v1, v14 /*v270*/, v0 neg_lo:[1,1,0]
	s_set_vgpr_msb 1                        ;  msbs: dst=0 src0=1 src1=0 src2=0
	v_perm_b32 v0, v10 /*v266*/, v175, 0x6040501
	s_set_vgpr_msb 4                        ;  msbs: dst=0 src0=0 src1=1 src2=0
	v_or_b32_e32 v1, v234, v12 /*v268*/
	s_set_vgpr_msb 0                        ;  msbs: dst=0 src0=0 src1=0 src2=0
	s_delay_alu instid0(VALU_DEP_1) | instskip(SKIP_3) | instid1(VALU_DEP_1)
	v_dot4_i32_iu8 v0, v1, v0, 0 neg_lo:[1,1,0]
	s_set_vgpr_msb 4                        ;  msbs: dst=0 src0=0 src1=1 src2=0
	v_perm_b32 v1, v174, v10 /*v266*/, 0x6040503
	s_set_vgpr_msb 0                        ;  msbs: dst=0 src0=0 src1=0 src2=0
	v_dot4_i32_iu8 v0, v4, v1, v0 neg_lo:[1,1,0]
	s_set_vgpr_msb 1                        ;  msbs: dst=0 src0=1 src1=0 src2=0
	v_perm_b32 v1, v6 /*v262*/, v177, 0x6040501
	s_set_vgpr_msb 4                        ;  msbs: dst=0 src0=0 src1=1 src2=0
	v_perm_b32 v4, v166, v8 /*v264*/, 0x6040501
	s_set_vgpr_msb 0                        ;  msbs: dst=0 src0=0 src1=0 src2=0
	v_dot4_i32_iu8 v0, v236, v131, v0 neg_lo:[1,1,0]
	s_delay_alu instid0(VALU_DEP_2) | instskip(SKIP_3) | instid1(VALU_DEP_1)
	v_dot4_i32_iu8 v1, v4, v1, 0 neg_lo:[1,1,0]
	s_set_vgpr_msb 4                        ;  msbs: dst=0 src0=0 src1=1 src2=0
	v_perm_b32 v4, v176, v6 /*v262*/, 0x6040503
	s_set_vgpr_msb 0                        ;  msbs: dst=0 src0=0 src1=0 src2=0
	v_dot4_i32_iu8 v1, v5, v4, v1 neg_lo:[1,1,0]
	v_perm_b32 v4, v176, v176, 0xc0c0c03
	v_perm_b32 v5, v177, v177, 0x706000c
	s_set_vgpr_msb 64                       ;  msbs: dst=1 src0=0 src1=0 src2=0
	s_delay_alu instid0(VALU_DEP_1)
	v_or_b32_e32 v1 /*v257*/, v5, v4
	s_set_vgpr_msb 0                        ;  msbs: dst=0 src0=0 src1=0 src2=0
	v_perm_b32 v4, v26, v156, 0x6050401
	v_perm_b32 v5, v162, v28, 0x6050401
	s_set_vgpr_msb 5                        ;  msbs: dst=0 src0=1 src1=1 src2=0
	v_dot4_i32_iu8 v1, v1 /*v257*/, v28 /*v284*/, v1 neg_lo:[1,1,0]
	s_set_vgpr_msb 0                        ;  msbs: dst=0 src0=0 src1=0 src2=0
	s_delay_alu instid0(VALU_DEP_2)
	v_dot4_i32_iu8 v4, v5, v4, 0 neg_lo:[1,1,0]
	v_perm_b32 v5, v156, v27, 0x7060403
	s_set_vgpr_msb 1                        ;  msbs: dst=0 src0=1 src1=0 src2=0
	v_dot4_i32_iu8 v15, v9 /*v265*/, v164, v1 neg_lo:[1,1,0]
	s_set_vgpr_msb 16                       ;  msbs: dst=0 src0=0 src1=0 src2=1
	v_dot4_i32_iu8 v1, v159, v7, v37 /*v293*/ neg_lo:[1,1,0]
	s_set_vgpr_msb 4                        ;  msbs: dst=0 src0=0 src1=1 src2=0
	v_dot4_i32_iu8 v4, v235, v38 /*v294*/, v4 neg_lo:[1,1,0]
	s_set_vgpr_msb 0                        ;  msbs: dst=0 src0=0 src1=0 src2=0
	s_delay_alu instid0(VALU_DEP_1) | instskip(SKIP_2) | instid1(VALU_DEP_1)
	v_dot4_i32_iu8 v4, v13, v5, v4 neg_lo:[1,1,0]
	v_perm_b32 v5, v22, v158, 0x6050401
	v_perm_b32 v13, v168, v24, 0x6050401
	v_dot4_i32_iu8 v5, v13, v5, 0 neg_lo:[1,1,0]
	v_perm_b32 v13, v169, v22, 0x6040503
	s_delay_alu instid0(VALU_DEP_1)
	v_dot4_i32_iu8 v5, v14, v13, v5 neg_lo:[1,1,0]
	v_perm_b32 v13, v158, v169, 0x7060403
	s_set_vgpr_msb 1                        ;  msbs: dst=0 src0=1 src1=0 src2=0
	v_dot4_i32_iu8 v14, v13 /*v269*/, v167, v0 neg_lo:[1,1,0]
	s_set_vgpr_msb 0                        ;  msbs: dst=0 src0=0 src1=0 src2=0
	v_perm_b32 v0, v167, v167, 0xc0c0302
	v_dot4_i32_iu8 v5, v141, v13, v5 neg_lo:[1,1,0]
	s_set_vgpr_msb 17                       ;  msbs: dst=0 src0=1 src1=0 src2=1
	ds_load_b32 v13, v17 /*v273*/
	v_dot4_i32_iu8 v18, v16 /*v272*/, v0, v34 /*v290*/ neg_lo:[1,1,0]
	s_set_vgpr_msb 0                        ;  msbs: dst=0 src0=0 src1=0 src2=0
	v_dot4_i32_iu8 v0, v29, v157, v4 neg_lo:[1,1,0]
	v_dot4_i32_iu8 v4, v25, v159, v5 neg_lo:[1,1,0]
	s_set_vgpr_msb 16                       ;  msbs: dst=0 src0=0 src1=0 src2=1
	v_dot4_i32_iu8 v5, v157, v3, v36 /*v292*/ neg_lo:[1,1,0]
	s_wait_dscnt 0x0
	v_bfe_i32 v232, v13, 0, 8
	v_bfe_i32 v233, v13, 8, 8
	v_ashrrev_i32_e32 v230, 24, v13
	v_bfe_i32 v231, v13, 16, 8
	v_dot4_i32_iu8 v13, v11, v164, v35 /*v291*/ neg_lo:[1,1,0]
	v_mul_lo_u32 v1, v1, v232
	v_mul_lo_u32 v0, v0, v233
	s_set_vgpr_msb 0                        ;  msbs: dst=0 src0=0 src1=0 src2=0
	s_delay_alu instid0(VALU_DEP_2) | instskip(NEXT) | instid1(VALU_DEP_2)
	v_mad_u32 v1, v5, v233, v1
	v_mad_u32 v0, v4, v232, v0
	v_mul_lo_u32 v4, v13, v231
	v_mul_lo_u32 v5, v14, v230
	v_perm_b32 v14, v23, v154, 0x6040503
	v_cvt_f32_i32_e32 v1, v1
	v_cvt_f32_i32_e32 v0, v0
	v_mad_u32 v13, v18, v230, v4
	v_mad_u32 v4, v15, v231, v5
	s_delay_alu instid0(VALU_DEP_3) | instskip(NEXT) | instid1(VALU_DEP_3)
	v_pk_fma_f32 v[0:1], v[16:17], v[0:1], 0 op_sel_hi:[1,1,0]
	v_cvt_f32_i32_e32 v5, v13
	s_delay_alu instid0(VALU_DEP_3) | instskip(SKIP_1) | instid1(VALU_DEP_2)
	v_cvt_f32_i32_e32 v4, v4
	v_perm_b32 v13, v28, v161, 0x7060403
	v_pk_fma_f32 v[0:1], v[8:9], v[4:5], v[0:1]
	s_set_vgpr_msb 1                        ;  msbs: dst=0 src0=1 src1=0 src2=0
	v_perm_b32 v4, v11 /*v267*/, v151, 0x6040503
	v_perm_b32 v5, v7 /*v263*/, v152, 0x6040503
	s_set_vgpr_msb 64                       ;  msbs: dst=1 src0=0 src1=0 src2=0
	v_perm_b32 v7 /*v263*/, v169, v168, 0x6040503
	s_set_vgpr_msb 0                        ;  msbs: dst=0 src0=0 src1=0 src2=0
	v_pk_fma_f32 v[68:69], v[120:121], v[0:1], v[68:69]
	s_set_vgpr_msb 1                        ;  msbs: dst=0 src0=1 src1=0 src2=0
	v_perm_b32 v0, v10 /*v266*/, v171, 0x6040501
	s_set_vgpr_msb 4                        ;  msbs: dst=0 src0=0 src1=1 src2=0
	v_or_b32_e32 v1, v149, v12 /*v268*/
	s_set_vgpr_msb 0                        ;  msbs: dst=0 src0=0 src1=0 src2=0
	s_delay_alu instid0(VALU_DEP_1) | instskip(SKIP_3) | instid1(VALU_DEP_1)
	v_dot4_i32_iu8 v0, v1, v0, 0 neg_lo:[1,1,0]
	s_set_vgpr_msb 4                        ;  msbs: dst=0 src0=0 src1=1 src2=0
	v_perm_b32 v1, v170, v10 /*v266*/, 0x6040503
	s_set_vgpr_msb 0                        ;  msbs: dst=0 src0=0 src1=0 src2=0
	v_dot4_i32_iu8 v0, v4, v1, v0 neg_lo:[1,1,0]
	s_set_vgpr_msb 1                        ;  msbs: dst=0 src0=1 src1=0 src2=0
	v_perm_b32 v1, v6 /*v262*/, v173, 0x6040501
	s_set_vgpr_msb 4                        ;  msbs: dst=0 src0=0 src1=1 src2=0
	v_perm_b32 v4, v152, v8 /*v264*/, 0x6040501
	s_set_vgpr_msb 64                       ;  msbs: dst=1 src0=0 src1=0 src2=0
	v_perm_b32 v8 /*v264*/, v137, v136, 0x6040503
	s_set_vgpr_msb 0                        ;  msbs: dst=0 src0=0 src1=0 src2=0
	v_dot4_i32_iu8 v0, v229, v131, v0 neg_lo:[1,1,0]
	v_dot4_i32_iu8 v1, v4, v1, 0 neg_lo:[1,1,0]
	s_set_vgpr_msb 4                        ;  msbs: dst=0 src0=0 src1=1 src2=0
	v_perm_b32 v4, v172, v6 /*v262*/, 0x6040503
	s_set_vgpr_msb 64                       ;  msbs: dst=1 src0=0 src1=0 src2=0
	v_perm_b32 v6 /*v262*/, v155, v154, 0x6040503
	s_set_vgpr_msb 1                        ;  msbs: dst=0 src0=1 src1=0 src2=0
	v_dot4_i32_iu8 v11, v13 /*v269*/, v153, v0 neg_lo:[1,1,0]
	s_set_vgpr_msb 0                        ;  msbs: dst=0 src0=0 src1=0 src2=0
	v_perm_b32 v0, v153, v153, 0xc0c0302
	v_dot4_i32_iu8 v1, v5, v4, v1 neg_lo:[1,1,0]
	v_perm_b32 v4, v172, v172, 0xc0c0c03
	v_perm_b32 v5, v173, v173, 0x706000c
	s_set_vgpr_msb 1                        ;  msbs: dst=0 src0=1 src1=0 src2=0
	v_dot4_i32_iu8 v6, v16 /*v272*/, v0, v6 neg_lo:[1,1,0]
	s_set_vgpr_msb 0                        ;  msbs: dst=0 src0=0 src1=0 src2=0
	s_delay_alu instid0(VALU_DEP_2) | instskip(SKIP_2) | instid1(VALU_DEP_1)
	v_or_b32_e32 v237, v5, v4
	v_perm_b32 v4, v26, v144, 0x6050401
	v_perm_b32 v5, v160, v28, 0x6050401
	v_dot4_i32_iu8 v4, v5, v4, 0 neg_lo:[1,1,0]
	v_perm_b32 v5, v144, v27, 0x7060403
	s_set_vgpr_msb 4                        ;  msbs: dst=0 src0=0 src1=1 src2=0
	s_delay_alu instid0(VALU_DEP_2) | instskip(SKIP_1) | instid1(VALU_DEP_1)
	v_dot4_i32_iu8 v4, v147, v38 /*v294*/, v4 neg_lo:[1,1,0]
	s_set_vgpr_msb 0                        ;  msbs: dst=0 src0=0 src1=0 src2=0
	v_dot4_i32_iu8 v4, v13, v5, v4 neg_lo:[1,1,0]
	v_perm_b32 v5, v22, v34, 0x6050401
	v_perm_b32 v13, v154, v24, 0x6050401
	s_delay_alu instid0(VALU_DEP_3) | instskip(NEXT) | instid1(VALU_DEP_2)
	v_dot4_i32_iu8 v0, v29, v145, v4 neg_lo:[1,1,0]
	v_dot4_i32_iu8 v5, v13, v5, 0 neg_lo:[1,1,0]
	v_perm_b32 v13, v155, v22, 0x6040503
	s_delay_alu instid0(VALU_DEP_1) | instskip(SKIP_1) | instid1(VALU_DEP_1)
	v_dot4_i32_iu8 v5, v14, v13, v5 neg_lo:[1,1,0]
	v_perm_b32 v13, v34, v155, 0x7060403
	v_dot4_i32_iu8 v5, v141, v13, v5 neg_lo:[1,1,0]
	s_set_vgpr_msb 1                        ;  msbs: dst=0 src0=1 src1=0 src2=0
	ds_load_b32 v13, v18 /*v274*/
	s_set_vgpr_msb 0                        ;  msbs: dst=0 src0=0 src1=0 src2=0
	v_dot4_i32_iu8 v4, v25, v35, v5 neg_lo:[1,1,0]
	s_wait_dscnt 0x0
	v_ashrrev_i32_e32 v32, 24, v13
	s_set_vgpr_msb 4                        ;  msbs: dst=0 src0=0 src1=1 src2=0
	v_dot4_i32_iu8 v1, v237, v28 /*v284*/, v1 neg_lo:[1,1,0]
	v_bfe_i32 v141, v13, 0, 8
	v_bfe_i32 v143, v13, 8, 8
	;; [unrolled: 1-line block ×3, first 2 shown]
	s_set_vgpr_msb 0                        ;  msbs: dst=0 src0=0 src1=0 src2=0
	v_mul_lo_u32 v3, v11, v32
	s_set_vgpr_msb 1                        ;  msbs: dst=0 src0=1 src1=0 src2=0
	v_dot4_i32_iu8 v13, v9 /*v265*/, v150, v1 neg_lo:[1,1,0]
	s_set_vgpr_msb 0                        ;  msbs: dst=0 src0=0 src1=0 src2=0
	v_dot4_i32_iu8 v1, v35, v7, v12 neg_lo:[1,1,0]
	v_mul_lo_u32 v0, v0, v143
	s_delay_alu instid0(VALU_DEP_2) | instskip(NEXT) | instid1(VALU_DEP_2)
	v_mul_lo_u32 v1, v1, v141
	v_mad_u32 v0, v4, v141, v0
	s_delay_alu instid0(VALU_DEP_2) | instskip(SKIP_1) | instid1(VALU_DEP_3)
	v_mad_u32 v1, v2, v143, v1
	v_mul_lo_u32 v2, v10, v131
	v_cvt_f32_i32_e32 v0, v0
	s_delay_alu instid0(VALU_DEP_3) | instskip(NEXT) | instid1(VALU_DEP_3)
	v_cvt_f32_i32_e32 v1, v1
	v_mad_u32 v4, v6, v32, v2
	v_mad_u32 v2, v13, v131, v3
	s_delay_alu instid0(VALU_DEP_3) | instskip(NEXT) | instid1(VALU_DEP_3)
	v_pk_fma_f32 v[0:1], v[16:17], v[0:1], 0 op_sel_hi:[1,1,0]
	v_cvt_f32_i32_e32 v3, v4
	s_delay_alu instid0(VALU_DEP_3) | instskip(NEXT) | instid1(VALU_DEP_1)
	v_cvt_f32_i32_e32 v2, v2
	v_pk_fma_f32 v[0:1], v[8:9], v[2:3], v[0:1]
	s_delay_alu instid0(VALU_DEP_1) | instskip(SKIP_1) | instid1(VALU_DEP_1)
	v_pk_fma_f32 v[60:61], v[122:123], v[0:1], v[60:61]
	v_or_b32_e32 v0, s13, v195
	v_lshlrev_b32_e32 v12, 2, v0
	s_set_vgpr_msb 64                       ;  msbs: dst=1 src0=0 src1=0 src2=0
	v_lshrrev_b32_e32 v9 /*v265*/, 1, v0
	s_set_vgpr_msb 0                        ;  msbs: dst=0 src0=0 src1=0 src2=0
	ds_load_b128 v[4:7], v12 offset:33280
	ds_load_b128 v[0:3], v12 offset:33296
	;; [unrolled: 1-line block ×4, first 2 shown]
	s_wait_dscnt 0x3
	v_perm_b32 v22, v126, v5, 0x7060403
	s_wait_dscnt 0x2
	v_perm_b32 v21, v1, v138, 0x6040503
	;; [unrolled: 2-line block ×4, first 2 shown]
	v_perm_b32 v17, v13, v12, 0x6040503
	v_perm_b32 v18, v14, v13, 0x7060403
	;; [unrolled: 1-line block ×4, first 2 shown]
	s_set_vgpr_msb 4                        ;  msbs: dst=0 src0=0 src1=1 src2=0
	v_dot4_i32_iu8 v16, v16, v3 /*v259*/, 0 neg_lo:[1,1,0]
	s_set_vgpr_msb 0                        ;  msbs: dst=0 src0=0 src1=0 src2=0
	v_perm_b32 v14, v14, v14, 0xc0c0c01
	s_set_vgpr_msb 4                        ;  msbs: dst=0 src0=0 src1=1 src2=0
	s_delay_alu instid0(VALU_DEP_2) | instskip(SKIP_1) | instid1(VALU_DEP_1)
	v_dot4_i32_iu8 v16, v17, v4 /*v260*/, v16 neg_lo:[1,1,0]
	s_set_vgpr_msb 0x44                     ;  msbs: dst=1 src0=0 src1=1 src2=0
	v_dot4_i32_iu8 v10 /*v266*/, v18, v2 /*v258*/, v16 neg_lo:[1,1,0]
	s_set_vgpr_msb 0                        ;  msbs: dst=0 src0=0 src1=0 src2=0
	v_perm_b32 v16, v8, v179, 0x6040501
	s_set_vgpr_msb 0x50                     ;  msbs: dst=1 src0=0 src1=0 src2=1
	s_delay_alu instid0(VALU_DEP_2) | instskip(SKIP_1) | instid1(VALU_DEP_2)
	v_dot4_i32_iu8 v10 /*v266*/, v15, v135, v10 /*v266*/ neg_lo:[1,1,0]
	s_set_vgpr_msb 0                        ;  msbs: dst=0 src0=0 src1=0 src2=0
	v_dot4_i32_iu8 v16, v19, v16, 0 neg_lo:[1,1,0]
	v_perm_b32 v19, v178, v8, 0x6040503
	s_delay_alu instid0(VALU_DEP_1) | instskip(SKIP_3) | instid1(VALU_DEP_2)
	v_dot4_i32_iu8 v16, v20, v19, v16 neg_lo:[1,1,0]
	v_perm_b32 v19, v10, v9, 0x7060403
	v_perm_b32 v20, v138, v2, 0x6050401
	s_set_vgpr_msb 0x41                     ;  msbs: dst=1 src0=1 src1=0 src2=0
	v_dot4_i32_iu8 v11 /*v267*/, v5 /*v261*/, v19, v16 neg_lo:[1,1,0]
	s_set_vgpr_msb 0                        ;  msbs: dst=0 src0=0 src1=0 src2=0
	v_perm_b32 v16, v0, v124, 0x6050401
	s_set_vgpr_msb 0x50                     ;  msbs: dst=1 src0=0 src1=0 src2=1
	s_delay_alu instid0(VALU_DEP_2) | instskip(SKIP_1) | instid1(VALU_DEP_2)
	v_dot4_i32_iu8 v11 /*v267*/, v11, v130, v11 /*v267*/ neg_lo:[1,1,0]
	s_set_vgpr_msb 0                        ;  msbs: dst=0 src0=0 src1=0 src2=0
	v_dot4_i32_iu8 v16, v20, v16, 0 neg_lo:[1,1,0]
	v_perm_b32 v20, v139, v0, 0x6040503
	s_delay_alu instid0(VALU_DEP_1) | instskip(SKIP_3) | instid1(VALU_DEP_2)
	v_dot4_i32_iu8 v16, v21, v20, v16 neg_lo:[1,1,0]
	v_perm_b32 v20, v2, v1, 0x7060403
	v_perm_b32 v21, v136, v6, 0x6050401
	s_set_vgpr_msb 64                       ;  msbs: dst=1 src0=0 src1=0 src2=0
	v_dot4_i32_iu8 v12 /*v268*/, v20, v228, v16 neg_lo:[1,1,0]
	s_set_vgpr_msb 0                        ;  msbs: dst=0 src0=0 src1=0 src2=0
	v_perm_b32 v16, v4, v126, 0x6050401
	s_delay_alu instid0(VALU_DEP_1) | instskip(SKIP_2) | instid1(VALU_DEP_1)
	v_dot4_i32_iu8 v16, v21, v16, 0 neg_lo:[1,1,0]
	v_perm_b32 v21, v5, v4, 0x6040503
	s_set_vgpr_msb 1                        ;  msbs: dst=0 src0=1 src1=0 src2=0
	v_dot4_i32_iu8 v16, v8 /*v264*/, v21, v16 neg_lo:[1,1,0]
	s_set_vgpr_msb 64                       ;  msbs: dst=1 src0=0 src1=0 src2=0
	s_delay_alu instid0(VALU_DEP_1) | instskip(SKIP_3) | instid1(VALU_DEP_1)
	v_dot4_i32_iu8 v13 /*v269*/, v23, v22, v16 neg_lo:[1,1,0]
	s_set_vgpr_msb 0                        ;  msbs: dst=0 src0=0 src1=0 src2=0
	v_perm_b32 v16, v12, v33, 0x6040503
	v_or_b32_e32 v22, v252, v14
	v_dot4_i32_iu8 v16, v22, v16, 0 neg_lo:[1,1,0]
	v_perm_b32 v22, v13, v165, 0x6040503
	v_perm_b32 v13, v13, v151, 0x6040503
	s_delay_alu instid0(VALU_DEP_3) | instskip(SKIP_2) | instid1(VALU_DEP_2)
	v_dot4_i32_iu8 v16, v17, v253, v16 neg_lo:[1,1,0]
	v_perm_b32 v17, v148, v10, 0x6040501
	s_set_vgpr_msb 64                       ;  msbs: dst=1 src0=0 src1=0 src2=0
	v_dot4_i32_iu8 v14 /*v270*/, v254, v18, v16 neg_lo:[1,1,0]
	s_set_vgpr_msb 0                        ;  msbs: dst=0 src0=0 src1=0 src2=0
	v_perm_b32 v16, v8, v146, 0x6040501
	s_delay_alu instid0(VALU_DEP_1) | instskip(SKIP_1) | instid1(VALU_DEP_1)
	v_dot4_i32_iu8 v16, v17, v16, 0 neg_lo:[1,1,0]
	v_perm_b32 v17, v9, v8, 0x6040503
	v_dot4_i32_iu8 v16, v255, v17, v16 neg_lo:[1,1,0]
	v_perm_b32 v17, v142, v2, 0x6050401
	s_set_vgpr_msb 0x41                     ;  msbs: dst=1 src0=1 src1=0 src2=0
	s_delay_alu instid0(VALU_DEP_2) | instskip(SKIP_2) | instid1(VALU_DEP_1)
	v_dot4_i32_iu8 v15 /*v271*/, v0 /*v256*/, v19, v16 neg_lo:[1,1,0]
	s_set_vgpr_msb 0                        ;  msbs: dst=0 src0=0 src1=0 src2=0
	v_perm_b32 v16, v0, v128, 0x6050401
	v_dot4_i32_iu8 v16, v17, v16, 0 neg_lo:[1,1,0]
	v_perm_b32 v17, v1, v0, 0x6040503
	s_delay_alu instid0(VALU_DEP_1) | instskip(SKIP_1) | instid1(VALU_DEP_1)
	v_dot4_i32_iu8 v16, v240, v17, v16 neg_lo:[1,1,0]
	s_set_vgpr_msb 64                       ;  msbs: dst=1 src0=0 src1=0 src2=0
	v_dot4_i32_iu8 v16 /*v272*/, v241, v20, v16 neg_lo:[1,1,0]
	s_set_vgpr_msb 0                        ;  msbs: dst=0 src0=0 src1=0 src2=0
	v_perm_b32 v16, v4, v132, 0x6050401
	v_perm_b32 v20, v140, v6, 0x6050401
	s_delay_alu instid0(VALU_DEP_1) | instskip(SKIP_1) | instid1(VALU_DEP_2)
	v_dot4_i32_iu8 v16, v20, v16, 0 neg_lo:[1,1,0]
	v_perm_b32 v20, v6, v5, 0x7060403
	v_dot4_i32_iu8 v16, v244, v21, v16 neg_lo:[1,1,0]
	s_set_vgpr_msb 64                       ;  msbs: dst=1 src0=0 src1=0 src2=0
	s_delay_alu instid0(VALU_DEP_1) | instskip(SKIP_4) | instid1(VALU_DEP_2)
	v_dot4_i32_iu8 v17 /*v273*/, v245, v20, v16 neg_lo:[1,1,0]
	s_set_vgpr_msb 0                        ;  msbs: dst=0 src0=0 src1=0 src2=0
	v_perm_b32 v16, v12, v175, 0x6040501
	v_or_b32_e32 v20, v234, v14
	v_or_b32_e32 v14, v149, v14
	v_dot4_i32_iu8 v16, v20, v16, 0 neg_lo:[1,1,0]
	v_perm_b32 v20, v174, v12, 0x6040503
	s_delay_alu instid0(VALU_DEP_1)
	v_dot4_i32_iu8 v16, v22, v20, v16 neg_lo:[1,1,0]
	v_perm_b32 v20, v166, v10, 0x6040501
	v_perm_b32 v22, v9, v166, 0x6040503
	v_perm_b32 v10, v152, v10, 0x6040501
	v_perm_b32 v9, v9, v152, 0x6040503
	s_set_vgpr_msb 64                       ;  msbs: dst=1 src0=0 src1=0 src2=0
	v_dot4_i32_iu8 v18 /*v274*/, v236, v18, v16 neg_lo:[1,1,0]
	s_set_vgpr_msb 0                        ;  msbs: dst=0 src0=0 src1=0 src2=0
	v_perm_b32 v16, v8, v177, 0x6040501
	s_delay_alu instid0(VALU_DEP_1) | instskip(SKIP_1) | instid1(VALU_DEP_1)
	v_dot4_i32_iu8 v16, v20, v16, 0 neg_lo:[1,1,0]
	v_perm_b32 v20, v176, v8, 0x6040503
	v_dot4_i32_iu8 v16, v22, v20, v16 neg_lo:[1,1,0]
	v_perm_b32 v20, v162, v2, 0x6050401
	v_perm_b32 v22, v2, v163, 0x7060403
	s_set_vgpr_msb 0x41                     ;  msbs: dst=1 src0=1 src1=0 src2=0
	s_delay_alu instid0(VALU_DEP_3) | instskip(SKIP_3) | instid1(VALU_DEP_2)
	v_dot4_i32_iu8 v19 /*v275*/, v1 /*v257*/, v19, v16 neg_lo:[1,1,0]
	s_set_vgpr_msb 0                        ;  msbs: dst=0 src0=0 src1=0 src2=0
	v_perm_b32 v16, v0, v156, 0x6050401
	v_perm_b32 v0, v0, v144, 0x6050401
	v_dot4_i32_iu8 v16, v20, v16, 0 neg_lo:[1,1,0]
	v_perm_b32 v20, v156, v1, 0x7060403
	v_perm_b32 v1, v144, v1, 0x7060403
	s_delay_alu instid0(VALU_DEP_3) | instskip(SKIP_1) | instid1(VALU_DEP_1)
	v_dot4_i32_iu8 v16, v235, v17, v16 neg_lo:[1,1,0]
	s_set_vgpr_msb 64                       ;  msbs: dst=1 src0=0 src1=0 src2=0
	v_dot4_i32_iu8 v20 /*v276*/, v22, v20, v16 neg_lo:[1,1,0]
	s_set_vgpr_msb 0                        ;  msbs: dst=0 src0=0 src1=0 src2=0
	v_perm_b32 v16, v4, v158, 0x6050401
	v_perm_b32 v20, v168, v6, 0x6050401
	;; [unrolled: 1-line block ×3, first 2 shown]
	s_delay_alu instid0(VALU_DEP_2) | instskip(SKIP_2) | instid1(VALU_DEP_2)
	v_dot4_i32_iu8 v16, v20, v16, 0 neg_lo:[1,1,0]
	v_perm_b32 v20, v158, v5, 0x7060403
	s_set_vgpr_msb 1                        ;  msbs: dst=0 src0=1 src1=0 src2=0
	v_dot4_i32_iu8 v16, v7 /*v263*/, v21, v16 neg_lo:[1,1,0]
	s_set_vgpr_msb 64                       ;  msbs: dst=1 src0=0 src1=0 src2=0
	s_delay_alu instid0(VALU_DEP_1) | instskip(SKIP_3) | instid1(VALU_DEP_2)
	v_dot4_i32_iu8 v21 /*v277*/, v22, v20, v16 neg_lo:[1,1,0]
	s_set_vgpr_msb 0                        ;  msbs: dst=0 src0=0 src1=0 src2=0
	v_perm_b32 v16, v12, v171, 0x6040501
	v_perm_b32 v12, v170, v12, 0x6040503
	v_dot4_i32_iu8 v14, v14, v16, 0 neg_lo:[1,1,0]
	s_delay_alu instid0(VALU_DEP_1) | instskip(NEXT) | instid1(VALU_DEP_1)
	v_dot4_i32_iu8 v12, v13, v12, v14 neg_lo:[1,1,0]
	v_dot4_i32_iu8 v14, v229, v18, v12 neg_lo:[1,1,0]
	v_perm_b32 v12, v8, v173, 0x6040501
	v_perm_b32 v8, v172, v8, 0x6040503
	s_delay_alu instid0(VALU_DEP_2) | instskip(NEXT) | instid1(VALU_DEP_1)
	v_dot4_i32_iu8 v10, v10, v12, 0 neg_lo:[1,1,0]
	v_dot4_i32_iu8 v8, v9, v8, v10 neg_lo:[1,1,0]
	s_delay_alu instid0(VALU_DEP_1) | instskip(SKIP_2) | instid1(VALU_DEP_3)
	v_dot4_i32_iu8 v10, v237, v19, v8 neg_lo:[1,1,0]
	v_perm_b32 v8, v160, v2, 0x6050401
	v_perm_b32 v2, v2, v161, 0x7060403
	v_dot4_i32_iu8 v10, v11, v150, v10 neg_lo:[1,1,0]
	s_delay_alu instid0(VALU_DEP_3) | instskip(NEXT) | instid1(VALU_DEP_1)
	v_dot4_i32_iu8 v0, v8, v0, 0 neg_lo:[1,1,0]
	v_dot4_i32_iu8 v0, v147, v17, v0 neg_lo:[1,1,0]
	s_delay_alu instid0(VALU_DEP_1) | instskip(SKIP_3) | instid1(VALU_DEP_4)
	v_dot4_i32_iu8 v2, v2, v1, v0 neg_lo:[1,1,0]
	v_perm_b32 v0, v4, v34, 0x6050401
	v_perm_b32 v1, v154, v6, 0x6050401
	;; [unrolled: 1-line block ×3, first 2 shown]
	v_dot4_i32_iu8 v2, v3, v145, v2 neg_lo:[1,1,0]
	s_delay_alu instid0(VALU_DEP_3) | instskip(SKIP_2) | instid1(VALU_DEP_2)
	v_dot4_i32_iu8 v0, v1, v0, 0 neg_lo:[1,1,0]
	v_perm_b32 v1, v34, v5, 0x7060403
	s_set_vgpr_msb 1                        ;  msbs: dst=0 src0=1 src1=0 src2=0
	v_dot4_i32_iu8 v0, v6 /*v262*/, v21, v0 neg_lo:[1,1,0]
	s_set_vgpr_msb 0                        ;  msbs: dst=0 src0=0 src1=0 src2=0
	s_delay_alu instid0(VALU_DEP_1) | instskip(SKIP_1) | instid1(VALU_DEP_2)
	v_dot4_i32_iu8 v6, v4, v1, v0 neg_lo:[1,1,0]
	v_or_b32_e32 v0, s13, v196
	v_dot4_i32_iu8 v6, v7, v35, v6 neg_lo:[1,1,0]
	s_delay_alu instid0(VALU_DEP_2)
	v_lshlrev_b32_e32 v1, 2, v0
	ds_load_b128 v[16:19], v1 offset:33280
	ds_load_b128 v[20:23], v1 offset:33296
	;; [unrolled: 1-line block ×4, first 2 shown]
	v_lshrrev_b32_e32 v4, 1, v0
	v_mul_lo_u32 v6, v6, v141
	s_delay_alu instid0(VALU_DEP_1)
	v_mad_u32 v2, v2, v143, v6
	v_mul_lo_u32 v6, v10, v131
	s_wait_dscnt 0x3
	s_set_vgpr_msb 64                       ;  msbs: dst=1 src0=0 src1=0 src2=0
	v_perm_b32 v26 /*v282*/, v17, v16, 0x6040503
	s_wait_dscnt 0x2
	v_perm_b32 v25 /*v281*/, v22, v21, 0x7060403
	s_wait_dscnt 0x1
	s_set_vgpr_msb 0                        ;  msbs: dst=0 src0=0 src1=0 src2=0
	v_perm_b32 v1, v134, v26, 0x6040501
	s_wait_dscnt 0x0
	v_perm_b32 v0, v28, v30, 0x6040501
	s_set_vgpr_msb 64                       ;  msbs: dst=1 src0=0 src1=0 src2=0
	v_perm_b32 v22 /*v278*/, v29, v28, 0x6040503
	v_perm_b32 v23 /*v279*/, v30, v29, 0x7060403
	s_set_vgpr_msb 0                        ;  msbs: dst=0 src0=0 src1=0 src2=0
	v_perm_b32 v5, v25, v134, 0x6040503
	s_set_vgpr_msb 64                       ;  msbs: dst=1 src0=0 src1=0 src2=0
	v_perm_b32 v24 /*v280*/, v26, v25, 0x7060403
	s_set_vgpr_msb 4                        ;  msbs: dst=0 src0=0 src1=1 src2=0
	v_dot4_i32_iu8 v0, v0, v3 /*v259*/, 0 neg_lo:[1,1,0]
	s_set_vgpr_msb 0                        ;  msbs: dst=0 src0=0 src1=0 src2=0
	v_perm_b32 v30, v30, v30, 0xc0c0c01
	s_set_vgpr_msb 5                        ;  msbs: dst=0 src0=1 src1=1 src2=0
	s_delay_alu instid0(VALU_DEP_2) | instskip(NEXT) | instid1(VALU_DEP_1)
	v_dot4_i32_iu8 v0, v22 /*v278*/, v4 /*v260*/, v0 neg_lo:[1,1,0]
	v_dot4_i32_iu8 v8, v23 /*v279*/, v2 /*v258*/, v0 neg_lo:[1,1,0]
	s_set_vgpr_msb 0                        ;  msbs: dst=0 src0=0 src1=0 src2=0
	v_perm_b32 v0, v24, v179, 0x6040501
	s_delay_alu instid0(VALU_DEP_1) | instskip(SKIP_1) | instid1(VALU_DEP_1)
	v_dot4_i32_iu8 v0, v1, v0, 0 neg_lo:[1,1,0]
	v_perm_b32 v1, v178, v24, 0x6040503
	v_dot4_i32_iu8 v0, v5, v1, v0 neg_lo:[1,1,0]
	v_perm_b32 v1, v138, v22, 0x6050401
	v_perm_b32 v5, v21, v138, 0x6040503
	s_set_vgpr_msb 5                        ;  msbs: dst=0 src0=1 src1=1 src2=0
	s_delay_alu instid0(VALU_DEP_3) | instskip(SKIP_3) | instid1(VALU_DEP_2)
	v_dot4_i32_iu8 v9, v5 /*v261*/, v24 /*v280*/, v0 neg_lo:[1,1,0]
	s_set_vgpr_msb 0                        ;  msbs: dst=0 src0=0 src1=0 src2=0
	v_perm_b32 v0, v20, v124, 0x6050401
	s_set_vgpr_msb 64                       ;  msbs: dst=1 src0=0 src1=0 src2=0
	v_dot4_i32_iu8 v27 /*v283*/, v27, v130, v9 neg_lo:[1,1,0]
	s_set_vgpr_msb 16                       ;  msbs: dst=0 src0=0 src1=0 src2=1
	s_delay_alu instid0(VALU_DEP_2) | instskip(SKIP_3) | instid1(VALU_DEP_2)
	v_dot4_i32_iu8 v0, v1, v0, 0 neg_lo:[1,1,0]
	v_perm_b32 v1, v139, v20, 0x6040503
	v_dot4_i32_iu8 v9, v7, v127, v13 /*v269*/ neg_lo:[1,1,0]
	s_set_vgpr_msb 0                        ;  msbs: dst=0 src0=0 src1=0 src2=0
	v_dot4_i32_iu8 v0, v5, v1, v0 neg_lo:[1,1,0]
	v_perm_b32 v1, v136, v18, 0x6050401
	v_perm_b32 v5, v18, v137, 0x7060403
	v_mul_lo_u32 v9, v9, v242
	s_set_vgpr_msb 1                        ;  msbs: dst=0 src0=1 src1=0 src2=0
	v_dot4_i32_iu8 v12, v25 /*v281*/, v228, v0 neg_lo:[1,1,0]
	s_set_vgpr_msb 0                        ;  msbs: dst=0 src0=0 src1=0 src2=0
	v_perm_b32 v0, v16, v126, 0x6050401
	s_delay_alu instid0(VALU_DEP_1) | instskip(SKIP_2) | instid1(VALU_DEP_2)
	v_dot4_i32_iu8 v0, v1, v0, 0 neg_lo:[1,1,0]
	v_perm_b32 v1, v126, v17, 0x7060403
	s_set_vgpr_msb 5                        ;  msbs: dst=0 src0=1 src1=1 src2=0
	v_dot4_i32_iu8 v0, v8 /*v264*/, v26 /*v282*/, v0 neg_lo:[1,1,0]
	s_set_vgpr_msb 0                        ;  msbs: dst=0 src0=0 src1=0 src2=0
	s_delay_alu instid0(VALU_DEP_1)
	v_dot4_i32_iu8 v13, v5, v1, v0 neg_lo:[1,1,0]
	s_set_vgpr_msb 1                        ;  msbs: dst=0 src0=1 src1=0 src2=0
	ds_load_b64 v[0:1], v9 /*v265*/ offset:43584
	s_set_vgpr_msb 0                        ;  msbs: dst=0 src0=0 src1=0 src2=0
	ds_load_b64 v[4:5], v4 offset:43584
	s_set_vgpr_msb 64                       ;  msbs: dst=1 src0=0 src1=0 src2=0
	v_dot4_i32_iu8 v9 /*v265*/, v31, v135, v8 neg_lo:[1,1,0]
	s_set_vgpr_msb 0                        ;  msbs: dst=0 src0=0 src1=0 src2=0
	v_dot4_i32_iu8 v8, v23, v125, v12 neg_lo:[1,1,0]
	s_set_vgpr_msb 16                       ;  msbs: dst=0 src0=0 src1=0 src2=1
	v_dot4_i32_iu8 v12, v3, v125, v12 /*v268*/ neg_lo:[1,1,0]
	s_set_vgpr_msb 0                        ;  msbs: dst=0 src0=0 src1=0 src2=0
	v_dot4_i32_iu8 v13, v19, v127, v13 neg_lo:[1,1,0]
	v_mul_lo_u32 v8, v8, v243
	s_delay_alu instid0(VALU_DEP_3) | instskip(NEXT) | instid1(VALU_DEP_2)
	v_mad_u32 v9, v12, v243, v9
	v_mad_u32 v8, v13, v242, v8
	s_wait_dscnt 0x0
	v_dual_mov_b32 v13, v0 :: v_dual_mov_b32 v12, v4
	s_set_vgpr_msb 1                        ;  msbs: dst=0 src0=1 src1=0 src2=0
	v_mul_lo_u32 v0, v11 /*v267*/, v238
	v_mul_lo_u32 v4, v9 /*v265*/, v239
	s_set_vgpr_msb 0                        ;  msbs: dst=0 src0=0 src1=0 src2=0
	v_cvt_f32_i32_e32 v9, v9
	s_set_vgpr_msb 64                       ;  msbs: dst=1 src0=0 src1=0 src2=0
	v_perm_b32 v9 /*v265*/, v21, v20, 0x6040503
	s_set_vgpr_msb 0                        ;  msbs: dst=0 src0=0 src1=0 src2=0
	v_cvt_f32_i32_e32 v8, v8
	s_set_vgpr_msb 1                        ;  msbs: dst=0 src0=1 src1=0 src2=0
	v_mad_u32 v0, v10 /*v266*/, v239, v0
	v_mad_u32 v4, v27 /*v283*/, v238, v4
	s_set_vgpr_msb 0                        ;  msbs: dst=0 src0=0 src1=0 src2=0
	v_pk_fma_f32 v[8:9], v[12:13], v[8:9], 0 op_sel_hi:[1,1,0]
	s_set_vgpr_msb 64                       ;  msbs: dst=1 src0=0 src1=0 src2=0
	s_delay_alu instid0(VALU_DEP_3) | instskip(NEXT) | instid1(VALU_DEP_3)
	v_cvt_f32_i32_e32 v11 /*v267*/, v0
	v_cvt_f32_i32_e32 v10 /*v266*/, v4
	s_set_vgpr_msb 4                        ;  msbs: dst=0 src0=0 src1=1 src2=0
	v_mov_b32_e32 v0, v5
	s_delay_alu instid0(VALU_DEP_1)
	v_pk_fma_f32 v[4:5], v[0:1], v[10:11] /*v[266:267]*/, v[8:9]
	s_set_vgpr_msb 0                        ;  msbs: dst=0 src0=0 src1=0 src2=0
	v_perm_b32 v8, v148, v26, 0x6040501
	v_perm_b32 v9, v142, v22, 0x6050401
	s_set_vgpr_msb 64                       ;  msbs: dst=1 src0=0 src1=0 src2=0
	v_perm_b32 v10 /*v266*/, v140, v18, 0x6050401
	s_set_vgpr_msb 0                        ;  msbs: dst=0 src0=0 src1=0 src2=0
	v_pk_fma_f32 v[58:59], v[116:117], v[4:5], v[58:59]
	v_perm_b32 v4, v28, v33, 0x6040503
	v_or_b32_e32 v5, v252, v30
	s_delay_alu instid0(VALU_DEP_1) | instskip(SKIP_2) | instid1(VALU_DEP_2)
	v_dot4_i32_iu8 v4, v5, v4, 0 neg_lo:[1,1,0]
	v_perm_b32 v5, v24, v146, 0x6040501
	s_set_vgpr_msb 1                        ;  msbs: dst=0 src0=1 src1=0 src2=0
	v_dot4_i32_iu8 v4, v22 /*v278*/, v253, v4 neg_lo:[1,1,0]
	s_set_vgpr_msb 0                        ;  msbs: dst=0 src0=0 src1=0 src2=0
	s_delay_alu instid0(VALU_DEP_2) | instskip(SKIP_4) | instid1(VALU_DEP_2)
	v_dot4_i32_iu8 v5, v8, v5, 0 neg_lo:[1,1,0]
	v_perm_b32 v8, v25, v24, 0x6040503
	s_set_vgpr_msb 4                        ;  msbs: dst=0 src0=0 src1=1 src2=0
	v_dot4_i32_iu8 v4, v254, v23 /*v279*/, v4 neg_lo:[1,1,0]
	s_set_vgpr_msb 0                        ;  msbs: dst=0 src0=0 src1=0 src2=0
	v_dot4_i32_iu8 v5, v255, v8, v5 neg_lo:[1,1,0]
	v_perm_b32 v8, v20, v128, 0x6050401
	s_set_vgpr_msb 5                        ;  msbs: dst=0 src0=1 src1=1 src2=0
	s_delay_alu instid0(VALU_DEP_2) | instskip(SKIP_1) | instid1(VALU_DEP_2)
	v_dot4_i32_iu8 v5, v0 /*v256*/, v24 /*v280*/, v5 neg_lo:[1,1,0]
	s_set_vgpr_msb 0                        ;  msbs: dst=0 src0=0 src1=0 src2=0
	v_dot4_i32_iu8 v8, v9, v8, 0 neg_lo:[1,1,0]
	v_perm_b32 v9, v16, v132, 0x6050401
	s_set_vgpr_msb 4                        ;  msbs: dst=0 src0=0 src1=1 src2=0
	s_delay_alu instid0(VALU_DEP_2) | instskip(SKIP_1) | instid1(VALU_DEP_2)
	v_dot4_i32_iu8 v8, v240, v9 /*v265*/, v8 neg_lo:[1,1,0]
	s_set_vgpr_msb 1                        ;  msbs: dst=0 src0=1 src1=0 src2=0
	v_dot4_i32_iu8 v9, v10 /*v266*/, v9, 0 neg_lo:[1,1,0]
	s_set_vgpr_msb 64                       ;  msbs: dst=1 src0=0 src1=0 src2=0
	v_perm_b32 v10 /*v266*/, v18, v17, 0x7060403
	s_set_vgpr_msb 4                        ;  msbs: dst=0 src0=0 src1=1 src2=0
	v_dot4_i32_iu8 v8, v241, v25 /*v281*/, v8 neg_lo:[1,1,0]
	v_dot4_i32_iu8 v9, v244, v26 /*v282*/, v9 neg_lo:[1,1,0]
	s_delay_alu instid0(VALU_DEP_1) | instskip(SKIP_3) | instid1(VALU_DEP_2)
	v_dot4_i32_iu8 v9, v245, v10 /*v266*/, v9 neg_lo:[1,1,0]
	s_set_vgpr_msb 64                       ;  msbs: dst=1 src0=0 src1=0 src2=0
	v_perm_b32 v10 /*v266*/, v31, v31, 0x3020001
	s_set_vgpr_msb 0                        ;  msbs: dst=0 src0=0 src1=0 src2=0
	v_dot4_i32_iu8 v9, v19, v133, v9 neg_lo:[1,1,0]
	s_set_vgpr_msb 0x41                     ;  msbs: dst=1 src0=1 src1=0 src2=0
	s_delay_alu instid0(VALU_DEP_2) | instskip(SKIP_3) | instid1(VALU_DEP_1)
	v_dot4_i32_iu8 v10 /*v266*/, v10 /*v266*/, v250, v4 neg_lo:[1,1,0]
	s_set_vgpr_msb 0                        ;  msbs: dst=0 src0=0 src1=0 src2=0
	v_perm_b32 v4, v11, v11, 0x3020001
	s_set_vgpr_msb 0x50                     ;  msbs: dst=1 src0=0 src1=0 src2=1
	v_dot4_i32_iu8 v11 /*v267*/, v4, v251, v15 /*v271*/ neg_lo:[1,1,0]
	s_set_vgpr_msb 0                        ;  msbs: dst=0 src0=0 src1=0 src2=0
	v_perm_b32 v4, v15, v15, 0x3020001
	s_set_vgpr_msb 0x50                     ;  msbs: dst=1 src0=0 src1=0 src2=1
	s_delay_alu instid0(VALU_DEP_1) | instskip(SKIP_3) | instid1(VALU_DEP_1)
	v_dot4_i32_iu8 v12 /*v268*/, v4, v250, v14 /*v270*/ neg_lo:[1,1,0]
	s_set_vgpr_msb 0                        ;  msbs: dst=0 src0=0 src1=0 src2=0
	v_perm_b32 v4, v27, v27, 0x3020001
	s_set_vgpr_msb 64                       ;  msbs: dst=1 src0=0 src1=0 src2=0
	v_dot4_i32_iu8 v13 /*v269*/, v4, v251, v5 neg_lo:[1,1,0]
	s_set_vgpr_msb 0                        ;  msbs: dst=0 src0=0 src1=0 src2=0
	v_dot4_i32_iu8 v4, v23, v129, v8 neg_lo:[1,1,0]
	s_set_vgpr_msb 16                       ;  msbs: dst=0 src0=0 src1=0 src2=1
	v_dot4_i32_iu8 v5, v7, v133, v17 /*v273*/ neg_lo:[1,1,0]
	v_dot4_i32_iu8 v8, v3, v129, v16 /*v272*/ neg_lo:[1,1,0]
	s_delay_alu instid0(VALU_DEP_3) | instskip(NEXT) | instid1(VALU_DEP_3)
	v_mul_lo_u32 v4, v4, v248
	v_mul_lo_u32 v5, v5, v249
	s_set_vgpr_msb 0                        ;  msbs: dst=0 src0=0 src1=0 src2=0
	s_delay_alu instid0(VALU_DEP_2) | instskip(NEXT) | instid1(VALU_DEP_2)
	v_mad_u32 v4, v9, v249, v4
	v_mad_u32 v5, v8, v248, v5
	s_set_vgpr_msb 1                        ;  msbs: dst=0 src0=1 src1=0 src2=0
	v_mul_lo_u32 v8, v11 /*v267*/, v246
	v_mul_lo_u32 v9, v10 /*v266*/, v247
	s_set_vgpr_msb 64                       ;  msbs: dst=1 src0=0 src1=0 src2=0
	v_perm_b32 v11 /*v267*/, v18, v169, 0x7060403
	s_set_vgpr_msb 0                        ;  msbs: dst=0 src0=0 src1=0 src2=0
	v_cvt_f32_i32_e32 v4, v4
	v_cvt_f32_i32_e32 v5, v5
	s_set_vgpr_msb 1                        ;  msbs: dst=0 src0=1 src1=0 src2=0
	v_mad_u32 v8, v12 /*v268*/, v247, v8
	s_set_vgpr_msb 0x41                     ;  msbs: dst=1 src0=1 src1=0 src2=0
	v_mad_u32 v10 /*v266*/, v13 /*v269*/, v246, v9
	s_set_vgpr_msb 0x50                     ;  msbs: dst=1 src0=0 src1=0 src2=1
	v_dot4_i32_iu8 v12 /*v268*/, v15, v167, v18 /*v274*/ neg_lo:[1,1,0]
	s_set_vgpr_msb 0                        ;  msbs: dst=0 src0=0 src1=0 src2=0
	v_pk_fma_f32 v[4:5], v[12:13], v[4:5], 0 op_sel_hi:[1,1,0]
	s_delay_alu instid0(VALU_DEP_4) | instskip(SKIP_1) | instid1(VALU_DEP_4)
	v_cvt_f32_i32_e32 v9, v8
	s_set_vgpr_msb 1                        ;  msbs: dst=0 src0=1 src1=0 src2=0
	v_cvt_f32_i32_e32 v8, v10 /*v266*/
	s_set_vgpr_msb 64                       ;  msbs: dst=1 src0=0 src1=0 src2=0
	v_perm_b32 v10 /*v266*/, v22, v163, 0x7060403
	s_set_vgpr_msb 0                        ;  msbs: dst=0 src0=0 src1=0 src2=0
	s_delay_alu instid0(VALU_DEP_2) | instskip(SKIP_2) | instid1(VALU_DEP_3)
	v_pk_fma_f32 v[4:5], v[0:1], v[8:9], v[4:5]
	v_perm_b32 v8, v29, v165, 0x6040503
	v_perm_b32 v9, v25, v166, 0x6040503
	v_pk_fma_f32 v[56:57], v[118:119], v[4:5], v[56:57]
	v_perm_b32 v4, v28, v175, 0x6040501
	v_or_b32_e32 v5, v234, v30
	s_delay_alu instid0(VALU_DEP_1) | instskip(SKIP_1) | instid1(VALU_DEP_1)
	v_dot4_i32_iu8 v4, v5, v4, 0 neg_lo:[1,1,0]
	v_perm_b32 v5, v174, v28, 0x6040503
	v_dot4_i32_iu8 v4, v8, v5, v4 neg_lo:[1,1,0]
	v_perm_b32 v5, v24, v177, 0x6040501
	v_perm_b32 v8, v166, v26, 0x6040501
	s_set_vgpr_msb 4                        ;  msbs: dst=0 src0=0 src1=1 src2=0
	s_delay_alu instid0(VALU_DEP_3) | instskip(SKIP_1) | instid1(VALU_DEP_2)
	v_dot4_i32_iu8 v4, v236, v23 /*v279*/, v4 neg_lo:[1,1,0]
	s_set_vgpr_msb 0                        ;  msbs: dst=0 src0=0 src1=0 src2=0
	v_dot4_i32_iu8 v5, v8, v5, 0 neg_lo:[1,1,0]
	v_perm_b32 v8, v176, v24, 0x6040503
	s_delay_alu instid0(VALU_DEP_1) | instskip(SKIP_3) | instid1(VALU_DEP_3)
	v_dot4_i32_iu8 v5, v9, v8, v5 neg_lo:[1,1,0]
	v_perm_b32 v8, v20, v156, 0x6050401
	v_perm_b32 v9, v162, v22, 0x6050401
	s_set_vgpr_msb 5                        ;  msbs: dst=0 src0=1 src1=1 src2=0
	v_dot4_i32_iu8 v5, v1 /*v257*/, v24 /*v280*/, v5 neg_lo:[1,1,0]
	s_set_vgpr_msb 0                        ;  msbs: dst=0 src0=0 src1=0 src2=0
	s_delay_alu instid0(VALU_DEP_2)
	v_dot4_i32_iu8 v8, v9, v8, 0 neg_lo:[1,1,0]
	v_perm_b32 v9, v156, v21, 0x7060403
	s_set_vgpr_msb 64                       ;  msbs: dst=1 src0=0 src1=0 src2=0
	v_dot4_i32_iu8 v13 /*v269*/, v27, v164, v5 neg_lo:[1,1,0]
	s_set_vgpr_msb 16                       ;  msbs: dst=0 src0=0 src1=0 src2=1
	v_dot4_i32_iu8 v5, v7, v159, v21 /*v277*/ neg_lo:[1,1,0]
	s_set_vgpr_msb 4                        ;  msbs: dst=0 src0=0 src1=1 src2=0
	v_dot4_i32_iu8 v8, v235, v9 /*v265*/, v8 neg_lo:[1,1,0]
	s_set_vgpr_msb 0                        ;  msbs: dst=0 src0=0 src1=0 src2=0
	s_delay_alu instid0(VALU_DEP_2) | instskip(SKIP_1) | instid1(VALU_DEP_2)
	v_mul_lo_u32 v5, v5, v232
	s_set_vgpr_msb 1                        ;  msbs: dst=0 src0=1 src1=0 src2=0
	v_dot4_i32_iu8 v8, v10 /*v266*/, v9, v8 neg_lo:[1,1,0]
	s_set_vgpr_msb 0                        ;  msbs: dst=0 src0=0 src1=0 src2=0
	v_perm_b32 v9, v16, v158, 0x6050401
	s_set_vgpr_msb 64                       ;  msbs: dst=1 src0=0 src1=0 src2=0
	v_perm_b32 v10 /*v266*/, v168, v18, 0x6050401
	s_set_vgpr_msb 1                        ;  msbs: dst=0 src0=1 src1=0 src2=0
	s_delay_alu instid0(VALU_DEP_1) | instskip(SKIP_3) | instid1(VALU_DEP_2)
	v_dot4_i32_iu8 v9, v10 /*v266*/, v9, 0 neg_lo:[1,1,0]
	s_set_vgpr_msb 64                       ;  msbs: dst=1 src0=0 src1=0 src2=0
	v_perm_b32 v10 /*v266*/, v158, v17, 0x7060403
	s_set_vgpr_msb 5                        ;  msbs: dst=0 src0=1 src1=1 src2=0
	v_dot4_i32_iu8 v9, v7 /*v263*/, v26 /*v282*/, v9 neg_lo:[1,1,0]
	s_delay_alu instid0(VALU_DEP_1)
	v_dot4_i32_iu8 v9, v11 /*v267*/, v10 /*v266*/, v9 neg_lo:[1,1,0]
	s_set_vgpr_msb 64                       ;  msbs: dst=1 src0=0 src1=0 src2=0
	v_dot4_i32_iu8 v10 /*v266*/, v31, v167, v4 neg_lo:[1,1,0]
	s_set_vgpr_msb 0                        ;  msbs: dst=0 src0=0 src1=0 src2=0
	v_dot4_i32_iu8 v4, v23, v157, v8 neg_lo:[1,1,0]
	s_set_vgpr_msb 0x50                     ;  msbs: dst=1 src0=0 src1=0 src2=1
	v_dot4_i32_iu8 v11 /*v267*/, v11, v164, v19 /*v275*/ neg_lo:[1,1,0]
	s_set_vgpr_msb 16                       ;  msbs: dst=0 src0=0 src1=0 src2=1
	v_dot4_i32_iu8 v8, v3, v157, v20 /*v276*/ neg_lo:[1,1,0]
	s_set_vgpr_msb 0                        ;  msbs: dst=0 src0=0 src1=0 src2=0
	v_dot4_i32_iu8 v9, v19, v159, v9 neg_lo:[1,1,0]
	v_dot4_i32_iu8 v11, v15, v153, v14 neg_lo:[1,1,0]
	v_mul_lo_u32 v4, v4, v233
	v_mad_u32 v5, v8, v233, v5
	s_set_vgpr_msb 1                        ;  msbs: dst=0 src0=1 src1=0 src2=0
	v_mul_lo_u32 v8, v11 /*v267*/, v231
	s_set_vgpr_msb 0                        ;  msbs: dst=0 src0=0 src1=0 src2=0
	s_delay_alu instid0(VALU_DEP_3) | instskip(SKIP_3) | instid1(VALU_DEP_4)
	v_mad_u32 v4, v9, v232, v4
	s_set_vgpr_msb 1                        ;  msbs: dst=0 src0=1 src1=0 src2=0
	v_mul_lo_u32 v9, v10 /*v266*/, v230
	s_set_vgpr_msb 0                        ;  msbs: dst=0 src0=0 src1=0 src2=0
	v_cvt_f32_i32_e32 v5, v5
	s_set_vgpr_msb 1                        ;  msbs: dst=0 src0=1 src1=0 src2=0
	s_delay_alu instid0(VALU_DEP_4) | instskip(SKIP_1) | instid1(VALU_DEP_4)
	v_mad_u32 v8, v12 /*v268*/, v230, v8
	s_set_vgpr_msb 0                        ;  msbs: dst=0 src0=0 src1=0 src2=0
	v_cvt_f32_i32_e32 v4, v4
	s_set_vgpr_msb 0x41                     ;  msbs: dst=1 src0=1 src1=0 src2=0
	s_delay_alu instid0(VALU_DEP_4) | instskip(SKIP_1) | instid1(VALU_DEP_3)
	v_mad_u32 v10 /*v266*/, v13 /*v269*/, v231, v9
	s_set_vgpr_msb 0                        ;  msbs: dst=0 src0=0 src1=0 src2=0
	v_cvt_f32_i32_e32 v9, v8
	v_pk_fma_f32 v[4:5], v[12:13], v[4:5], 0 op_sel_hi:[1,1,0]
	s_set_vgpr_msb 1                        ;  msbs: dst=0 src0=1 src1=0 src2=0
	s_delay_alu instid0(VALU_DEP_3) | instskip(SKIP_1) | instid1(VALU_DEP_1)
	v_cvt_f32_i32_e32 v8, v10 /*v266*/
	s_set_vgpr_msb 0                        ;  msbs: dst=0 src0=0 src1=0 src2=0
	v_pk_fma_f32 v[4:5], v[0:1], v[8:9], v[4:5]
	v_perm_b32 v8, v29, v151, 0x6040503
	v_perm_b32 v9, v25, v152, 0x6040503
	s_delay_alu instid0(VALU_DEP_3) | instskip(SKIP_2) | instid1(VALU_DEP_1)
	v_pk_fma_f32 v[54:55], v[120:121], v[4:5], v[54:55]
	v_perm_b32 v4, v28, v171, 0x6040501
	v_or_b32_e32 v5, v149, v30
	v_dot4_i32_iu8 v4, v5, v4, 0 neg_lo:[1,1,0]
	v_perm_b32 v5, v170, v28, 0x6040503
	s_delay_alu instid0(VALU_DEP_1) | instskip(SKIP_3) | instid1(VALU_DEP_3)
	v_dot4_i32_iu8 v4, v8, v5, v4 neg_lo:[1,1,0]
	v_perm_b32 v5, v24, v173, 0x6040501
	v_perm_b32 v8, v152, v26, 0x6040501
	s_set_vgpr_msb 4                        ;  msbs: dst=0 src0=0 src1=1 src2=0
	v_dot4_i32_iu8 v4, v229, v23 /*v279*/, v4 neg_lo:[1,1,0]
	s_set_vgpr_msb 0                        ;  msbs: dst=0 src0=0 src1=0 src2=0
	s_delay_alu instid0(VALU_DEP_2) | instskip(SKIP_1) | instid1(VALU_DEP_3)
	v_dot4_i32_iu8 v5, v8, v5, 0 neg_lo:[1,1,0]
	v_perm_b32 v8, v172, v24, 0x6040503
	v_dot4_i32_iu8 v4, v31, v153, v4 neg_lo:[1,1,0]
	s_delay_alu instid0(VALU_DEP_2)
	v_dot4_i32_iu8 v5, v9, v8, v5 neg_lo:[1,1,0]
	v_perm_b32 v8, v20, v144, 0x6050401
	v_perm_b32 v9, v160, v22, 0x6050401
	;; [unrolled: 1-line block ×3, first 2 shown]
	v_mul_lo_u32 v4, v4, v32
	s_set_vgpr_msb 4                        ;  msbs: dst=0 src0=0 src1=1 src2=0
	v_dot4_i32_iu8 v5, v237, v24 /*v280*/, v5 neg_lo:[1,1,0]
	s_set_vgpr_msb 0                        ;  msbs: dst=0 src0=0 src1=0 src2=0
	v_dot4_i32_iu8 v8, v9, v8, 0 neg_lo:[1,1,0]
	v_perm_b32 v9, v144, v21, 0x7060403
	s_delay_alu instid0(VALU_DEP_3) | instskip(SKIP_1) | instid1(VALU_DEP_3)
	v_dot4_i32_iu8 v5, v27, v150, v5 neg_lo:[1,1,0]
	s_set_vgpr_msb 4                        ;  msbs: dst=0 src0=0 src1=1 src2=0
	v_dot4_i32_iu8 v8, v147, v9 /*v265*/, v8 neg_lo:[1,1,0]
	s_set_vgpr_msb 0                        ;  msbs: dst=0 src0=0 src1=0 src2=0
	s_delay_alu instid0(VALU_DEP_2) | instskip(SKIP_1) | instid1(VALU_DEP_3)
	v_mad_u32 v4, v5, v131, v4
	v_mad_u32 v5, v11, v32, v6
	v_dot4_i32_iu8 v8, v20, v9, v8 neg_lo:[1,1,0]
	v_perm_b32 v9, v16, v34, 0x6050401
	v_perm_b32 v16, v154, v18, 0x6050401
	s_delay_alu instid0(VALU_DEP_3) | instskip(NEXT) | instid1(VALU_DEP_2)
	v_dot4_i32_iu8 v8, v23, v145, v8 neg_lo:[1,1,0]
	v_dot4_i32_iu8 v9, v16, v9, 0 neg_lo:[1,1,0]
	v_perm_b32 v16, v34, v17, 0x7060403
	v_perm_b32 v17, v18, v155, 0x7060403
	s_delay_alu instid0(VALU_DEP_4)
	v_mul_lo_u32 v7, v8, v143
	v_cvt_f32_i32_e32 v5, v5
	s_set_vgpr_msb 5                        ;  msbs: dst=0 src0=1 src1=1 src2=0
	v_dot4_i32_iu8 v9, v6 /*v262*/, v26 /*v282*/, v9 neg_lo:[1,1,0]
	s_set_vgpr_msb 0                        ;  msbs: dst=0 src0=0 src1=0 src2=0
	v_cvt_f32_i32_e32 v4, v4
	s_delay_alu instid0(VALU_DEP_2) | instskip(NEXT) | instid1(VALU_DEP_1)
	v_dot4_i32_iu8 v9, v17, v16, v9 neg_lo:[1,1,0]
	v_dot4_i32_iu8 v3, v19, v35, v9 neg_lo:[1,1,0]
	s_delay_alu instid0(VALU_DEP_1) | instskip(SKIP_1) | instid1(VALU_DEP_2)
	v_mad_u32 v7, v3, v141, v7
	v_cvt_f32_i32_e32 v3, v2
	v_cvt_f32_i32_e32 v2, v7
	s_delay_alu instid0(VALU_DEP_1) | instskip(NEXT) | instid1(VALU_DEP_1)
	v_pk_fma_f32 v[2:3], v[12:13], v[2:3], 0 op_sel_hi:[1,1,0]
	v_pk_fma_f32 v[0:1], v[0:1], v[4:5], v[2:3]
	s_delay_alu instid0(VALU_DEP_1) | instskip(SKIP_1) | instid1(VALU_DEP_1)
	v_pk_fma_f32 v[52:53], v[122:123], v[0:1], v[52:53]
	v_or_b32_e32 v0, s13, v197
	v_lshlrev_b32_e32 v12, 2, v0
	s_set_vgpr_msb 64                       ;  msbs: dst=1 src0=0 src1=0 src2=0
	v_lshrrev_b32_e32 v9 /*v265*/, 1, v0
	s_set_vgpr_msb 0                        ;  msbs: dst=0 src0=0 src1=0 src2=0
	ds_load_b128 v[4:7], v12 offset:33280
	ds_load_b128 v[0:3], v12 offset:33296
	;; [unrolled: 1-line block ×4, first 2 shown]
	s_wait_dscnt 0x3
	v_perm_b32 v22, v126, v5, 0x7060403
	s_wait_dscnt 0x2
	v_perm_b32 v21, v1, v138, 0x6040503
	s_wait_dscnt 0x1
	v_perm_b32 v19, v134, v10, 0x6040501
	s_wait_dscnt 0x0
	v_perm_b32 v16, v12, v14, 0x6040501
	v_perm_b32 v17, v13, v12, 0x6040503
	v_perm_b32 v18, v14, v13, 0x7060403
	;; [unrolled: 1-line block ×4, first 2 shown]
	s_set_vgpr_msb 4                        ;  msbs: dst=0 src0=0 src1=1 src2=0
	v_dot4_i32_iu8 v16, v16, v3 /*v259*/, 0 neg_lo:[1,1,0]
	s_set_vgpr_msb 0                        ;  msbs: dst=0 src0=0 src1=0 src2=0
	v_perm_b32 v14, v14, v14, 0xc0c0c01
	s_set_vgpr_msb 4                        ;  msbs: dst=0 src0=0 src1=1 src2=0
	s_delay_alu instid0(VALU_DEP_2) | instskip(SKIP_1) | instid1(VALU_DEP_1)
	v_dot4_i32_iu8 v16, v17, v4 /*v260*/, v16 neg_lo:[1,1,0]
	s_set_vgpr_msb 0x44                     ;  msbs: dst=1 src0=0 src1=1 src2=0
	v_dot4_i32_iu8 v10 /*v266*/, v18, v2 /*v258*/, v16 neg_lo:[1,1,0]
	s_set_vgpr_msb 0                        ;  msbs: dst=0 src0=0 src1=0 src2=0
	v_perm_b32 v16, v8, v179, 0x6040501
	s_set_vgpr_msb 0x50                     ;  msbs: dst=1 src0=0 src1=0 src2=1
	s_delay_alu instid0(VALU_DEP_2) | instskip(SKIP_1) | instid1(VALU_DEP_2)
	v_dot4_i32_iu8 v10 /*v266*/, v15, v135, v10 /*v266*/ neg_lo:[1,1,0]
	s_set_vgpr_msb 0                        ;  msbs: dst=0 src0=0 src1=0 src2=0
	v_dot4_i32_iu8 v16, v19, v16, 0 neg_lo:[1,1,0]
	v_perm_b32 v19, v178, v8, 0x6040503
	s_delay_alu instid0(VALU_DEP_1) | instskip(SKIP_3) | instid1(VALU_DEP_2)
	v_dot4_i32_iu8 v16, v20, v19, v16 neg_lo:[1,1,0]
	v_perm_b32 v19, v10, v9, 0x7060403
	v_perm_b32 v20, v138, v2, 0x6050401
	s_set_vgpr_msb 0x41                     ;  msbs: dst=1 src0=1 src1=0 src2=0
	v_dot4_i32_iu8 v11 /*v267*/, v5 /*v261*/, v19, v16 neg_lo:[1,1,0]
	s_set_vgpr_msb 0                        ;  msbs: dst=0 src0=0 src1=0 src2=0
	v_perm_b32 v16, v0, v124, 0x6050401
	s_set_vgpr_msb 0x50                     ;  msbs: dst=1 src0=0 src1=0 src2=1
	s_delay_alu instid0(VALU_DEP_2) | instskip(SKIP_1) | instid1(VALU_DEP_2)
	v_dot4_i32_iu8 v11 /*v267*/, v11, v130, v11 /*v267*/ neg_lo:[1,1,0]
	s_set_vgpr_msb 0                        ;  msbs: dst=0 src0=0 src1=0 src2=0
	v_dot4_i32_iu8 v16, v20, v16, 0 neg_lo:[1,1,0]
	v_perm_b32 v20, v139, v0, 0x6040503
	s_delay_alu instid0(VALU_DEP_1) | instskip(SKIP_3) | instid1(VALU_DEP_2)
	v_dot4_i32_iu8 v16, v21, v20, v16 neg_lo:[1,1,0]
	v_perm_b32 v20, v2, v1, 0x7060403
	v_perm_b32 v21, v136, v6, 0x6050401
	s_set_vgpr_msb 64                       ;  msbs: dst=1 src0=0 src1=0 src2=0
	v_dot4_i32_iu8 v12 /*v268*/, v20, v228, v16 neg_lo:[1,1,0]
	s_set_vgpr_msb 0                        ;  msbs: dst=0 src0=0 src1=0 src2=0
	v_perm_b32 v16, v4, v126, 0x6050401
	s_delay_alu instid0(VALU_DEP_1) | instskip(SKIP_2) | instid1(VALU_DEP_1)
	v_dot4_i32_iu8 v16, v21, v16, 0 neg_lo:[1,1,0]
	v_perm_b32 v21, v5, v4, 0x6040503
	s_set_vgpr_msb 1                        ;  msbs: dst=0 src0=1 src1=0 src2=0
	v_dot4_i32_iu8 v16, v8 /*v264*/, v21, v16 neg_lo:[1,1,0]
	s_set_vgpr_msb 64                       ;  msbs: dst=1 src0=0 src1=0 src2=0
	s_delay_alu instid0(VALU_DEP_1) | instskip(SKIP_3) | instid1(VALU_DEP_1)
	v_dot4_i32_iu8 v13 /*v269*/, v23, v22, v16 neg_lo:[1,1,0]
	s_set_vgpr_msb 0                        ;  msbs: dst=0 src0=0 src1=0 src2=0
	v_perm_b32 v16, v12, v33, 0x6040503
	v_or_b32_e32 v22, v252, v14
	v_dot4_i32_iu8 v16, v22, v16, 0 neg_lo:[1,1,0]
	v_perm_b32 v22, v13, v165, 0x6040503
	v_perm_b32 v13, v13, v151, 0x6040503
	s_delay_alu instid0(VALU_DEP_3) | instskip(SKIP_2) | instid1(VALU_DEP_2)
	v_dot4_i32_iu8 v16, v17, v253, v16 neg_lo:[1,1,0]
	v_perm_b32 v17, v148, v10, 0x6040501
	s_set_vgpr_msb 64                       ;  msbs: dst=1 src0=0 src1=0 src2=0
	v_dot4_i32_iu8 v14 /*v270*/, v254, v18, v16 neg_lo:[1,1,0]
	s_set_vgpr_msb 0                        ;  msbs: dst=0 src0=0 src1=0 src2=0
	v_perm_b32 v16, v8, v146, 0x6040501
	s_delay_alu instid0(VALU_DEP_1) | instskip(SKIP_1) | instid1(VALU_DEP_1)
	v_dot4_i32_iu8 v16, v17, v16, 0 neg_lo:[1,1,0]
	v_perm_b32 v17, v9, v8, 0x6040503
	v_dot4_i32_iu8 v16, v255, v17, v16 neg_lo:[1,1,0]
	v_perm_b32 v17, v142, v2, 0x6050401
	s_set_vgpr_msb 0x41                     ;  msbs: dst=1 src0=1 src1=0 src2=0
	s_delay_alu instid0(VALU_DEP_2) | instskip(SKIP_2) | instid1(VALU_DEP_1)
	v_dot4_i32_iu8 v15 /*v271*/, v0 /*v256*/, v19, v16 neg_lo:[1,1,0]
	s_set_vgpr_msb 0                        ;  msbs: dst=0 src0=0 src1=0 src2=0
	v_perm_b32 v16, v0, v128, 0x6050401
	v_dot4_i32_iu8 v16, v17, v16, 0 neg_lo:[1,1,0]
	v_perm_b32 v17, v1, v0, 0x6040503
	s_delay_alu instid0(VALU_DEP_1) | instskip(SKIP_1) | instid1(VALU_DEP_1)
	v_dot4_i32_iu8 v16, v240, v17, v16 neg_lo:[1,1,0]
	s_set_vgpr_msb 64                       ;  msbs: dst=1 src0=0 src1=0 src2=0
	v_dot4_i32_iu8 v16 /*v272*/, v241, v20, v16 neg_lo:[1,1,0]
	s_set_vgpr_msb 0                        ;  msbs: dst=0 src0=0 src1=0 src2=0
	v_perm_b32 v16, v4, v132, 0x6050401
	v_perm_b32 v20, v140, v6, 0x6050401
	s_delay_alu instid0(VALU_DEP_1) | instskip(SKIP_1) | instid1(VALU_DEP_2)
	v_dot4_i32_iu8 v16, v20, v16, 0 neg_lo:[1,1,0]
	v_perm_b32 v20, v6, v5, 0x7060403
	v_dot4_i32_iu8 v16, v244, v21, v16 neg_lo:[1,1,0]
	s_set_vgpr_msb 64                       ;  msbs: dst=1 src0=0 src1=0 src2=0
	s_delay_alu instid0(VALU_DEP_1) | instskip(SKIP_4) | instid1(VALU_DEP_2)
	v_dot4_i32_iu8 v17 /*v273*/, v245, v20, v16 neg_lo:[1,1,0]
	s_set_vgpr_msb 0                        ;  msbs: dst=0 src0=0 src1=0 src2=0
	v_perm_b32 v16, v12, v175, 0x6040501
	v_or_b32_e32 v20, v234, v14
	v_or_b32_e32 v14, v149, v14
	v_dot4_i32_iu8 v16, v20, v16, 0 neg_lo:[1,1,0]
	v_perm_b32 v20, v174, v12, 0x6040503
	s_delay_alu instid0(VALU_DEP_1)
	v_dot4_i32_iu8 v16, v22, v20, v16 neg_lo:[1,1,0]
	v_perm_b32 v20, v166, v10, 0x6040501
	v_perm_b32 v22, v9, v166, 0x6040503
	;; [unrolled: 1-line block ×4, first 2 shown]
	s_set_vgpr_msb 64                       ;  msbs: dst=1 src0=0 src1=0 src2=0
	v_dot4_i32_iu8 v18 /*v274*/, v236, v18, v16 neg_lo:[1,1,0]
	s_set_vgpr_msb 0                        ;  msbs: dst=0 src0=0 src1=0 src2=0
	v_perm_b32 v16, v8, v177, 0x6040501
	s_delay_alu instid0(VALU_DEP_1) | instskip(SKIP_1) | instid1(VALU_DEP_1)
	v_dot4_i32_iu8 v16, v20, v16, 0 neg_lo:[1,1,0]
	v_perm_b32 v20, v176, v8, 0x6040503
	v_dot4_i32_iu8 v16, v22, v20, v16 neg_lo:[1,1,0]
	v_perm_b32 v20, v162, v2, 0x6050401
	v_perm_b32 v22, v2, v163, 0x7060403
	s_set_vgpr_msb 0x41                     ;  msbs: dst=1 src0=1 src1=0 src2=0
	s_delay_alu instid0(VALU_DEP_3) | instskip(SKIP_3) | instid1(VALU_DEP_2)
	v_dot4_i32_iu8 v19 /*v275*/, v1 /*v257*/, v19, v16 neg_lo:[1,1,0]
	s_set_vgpr_msb 0                        ;  msbs: dst=0 src0=0 src1=0 src2=0
	v_perm_b32 v16, v0, v156, 0x6050401
	v_perm_b32 v0, v0, v144, 0x6050401
	v_dot4_i32_iu8 v16, v20, v16, 0 neg_lo:[1,1,0]
	v_perm_b32 v20, v156, v1, 0x7060403
	v_perm_b32 v1, v144, v1, 0x7060403
	s_delay_alu instid0(VALU_DEP_3) | instskip(SKIP_1) | instid1(VALU_DEP_1)
	v_dot4_i32_iu8 v16, v235, v17, v16 neg_lo:[1,1,0]
	s_set_vgpr_msb 64                       ;  msbs: dst=1 src0=0 src1=0 src2=0
	v_dot4_i32_iu8 v20 /*v276*/, v22, v20, v16 neg_lo:[1,1,0]
	s_set_vgpr_msb 0                        ;  msbs: dst=0 src0=0 src1=0 src2=0
	v_perm_b32 v16, v4, v158, 0x6050401
	v_perm_b32 v20, v168, v6, 0x6050401
	;; [unrolled: 1-line block ×3, first 2 shown]
	s_delay_alu instid0(VALU_DEP_2) | instskip(SKIP_2) | instid1(VALU_DEP_2)
	v_dot4_i32_iu8 v16, v20, v16, 0 neg_lo:[1,1,0]
	v_perm_b32 v20, v158, v5, 0x7060403
	s_set_vgpr_msb 1                        ;  msbs: dst=0 src0=1 src1=0 src2=0
	v_dot4_i32_iu8 v16, v7 /*v263*/, v21, v16 neg_lo:[1,1,0]
	s_set_vgpr_msb 64                       ;  msbs: dst=1 src0=0 src1=0 src2=0
	s_delay_alu instid0(VALU_DEP_1) | instskip(SKIP_3) | instid1(VALU_DEP_2)
	v_dot4_i32_iu8 v21 /*v277*/, v22, v20, v16 neg_lo:[1,1,0]
	s_set_vgpr_msb 0                        ;  msbs: dst=0 src0=0 src1=0 src2=0
	v_perm_b32 v16, v12, v171, 0x6040501
	v_perm_b32 v12, v170, v12, 0x6040503
	v_dot4_i32_iu8 v14, v14, v16, 0 neg_lo:[1,1,0]
	s_delay_alu instid0(VALU_DEP_1) | instskip(NEXT) | instid1(VALU_DEP_1)
	v_dot4_i32_iu8 v12, v13, v12, v14 neg_lo:[1,1,0]
	v_dot4_i32_iu8 v14, v229, v18, v12 neg_lo:[1,1,0]
	v_perm_b32 v12, v8, v173, 0x6040501
	v_perm_b32 v8, v172, v8, 0x6040503
	s_delay_alu instid0(VALU_DEP_2) | instskip(NEXT) | instid1(VALU_DEP_1)
	v_dot4_i32_iu8 v10, v10, v12, 0 neg_lo:[1,1,0]
	v_dot4_i32_iu8 v8, v9, v8, v10 neg_lo:[1,1,0]
	s_delay_alu instid0(VALU_DEP_1) | instskip(SKIP_2) | instid1(VALU_DEP_3)
	v_dot4_i32_iu8 v10, v237, v19, v8 neg_lo:[1,1,0]
	v_perm_b32 v8, v160, v2, 0x6050401
	v_perm_b32 v2, v2, v161, 0x7060403
	v_dot4_i32_iu8 v10, v11, v150, v10 neg_lo:[1,1,0]
	s_delay_alu instid0(VALU_DEP_3) | instskip(NEXT) | instid1(VALU_DEP_1)
	v_dot4_i32_iu8 v0, v8, v0, 0 neg_lo:[1,1,0]
	v_dot4_i32_iu8 v0, v147, v17, v0 neg_lo:[1,1,0]
	s_delay_alu instid0(VALU_DEP_1) | instskip(SKIP_3) | instid1(VALU_DEP_4)
	v_dot4_i32_iu8 v2, v2, v1, v0 neg_lo:[1,1,0]
	v_perm_b32 v0, v4, v34, 0x6050401
	v_perm_b32 v1, v154, v6, 0x6050401
	;; [unrolled: 1-line block ×3, first 2 shown]
	v_dot4_i32_iu8 v2, v3, v145, v2 neg_lo:[1,1,0]
	s_delay_alu instid0(VALU_DEP_3) | instskip(SKIP_2) | instid1(VALU_DEP_2)
	v_dot4_i32_iu8 v0, v1, v0, 0 neg_lo:[1,1,0]
	v_perm_b32 v1, v34, v5, 0x7060403
	s_set_vgpr_msb 1                        ;  msbs: dst=0 src0=1 src1=0 src2=0
	v_dot4_i32_iu8 v0, v6 /*v262*/, v21, v0 neg_lo:[1,1,0]
	s_set_vgpr_msb 0                        ;  msbs: dst=0 src0=0 src1=0 src2=0
	s_delay_alu instid0(VALU_DEP_1) | instskip(SKIP_1) | instid1(VALU_DEP_2)
	v_dot4_i32_iu8 v6, v4, v1, v0 neg_lo:[1,1,0]
	v_or_b32_e32 v0, s13, v198
	v_dot4_i32_iu8 v6, v7, v35, v6 neg_lo:[1,1,0]
	s_delay_alu instid0(VALU_DEP_2)
	v_lshlrev_b32_e32 v1, 2, v0
	ds_load_b128 v[16:19], v1 offset:33280
	ds_load_b128 v[20:23], v1 offset:33296
	;; [unrolled: 1-line block ×4, first 2 shown]
	v_lshrrev_b32_e32 v4, 1, v0
	v_mul_lo_u32 v6, v6, v141
	s_delay_alu instid0(VALU_DEP_1)
	v_mad_u32 v2, v2, v143, v6
	v_mul_lo_u32 v6, v10, v131
	s_wait_dscnt 0x3
	s_set_vgpr_msb 64                       ;  msbs: dst=1 src0=0 src1=0 src2=0
	v_perm_b32 v26 /*v282*/, v17, v16, 0x6040503
	s_wait_dscnt 0x2
	v_perm_b32 v25 /*v281*/, v22, v21, 0x7060403
	s_wait_dscnt 0x1
	s_set_vgpr_msb 0                        ;  msbs: dst=0 src0=0 src1=0 src2=0
	v_perm_b32 v1, v134, v26, 0x6040501
	s_wait_dscnt 0x0
	v_perm_b32 v0, v28, v30, 0x6040501
	s_set_vgpr_msb 64                       ;  msbs: dst=1 src0=0 src1=0 src2=0
	v_perm_b32 v22 /*v278*/, v29, v28, 0x6040503
	v_perm_b32 v23 /*v279*/, v30, v29, 0x7060403
	s_set_vgpr_msb 0                        ;  msbs: dst=0 src0=0 src1=0 src2=0
	v_perm_b32 v5, v25, v134, 0x6040503
	s_set_vgpr_msb 64                       ;  msbs: dst=1 src0=0 src1=0 src2=0
	v_perm_b32 v24 /*v280*/, v26, v25, 0x7060403
	s_set_vgpr_msb 4                        ;  msbs: dst=0 src0=0 src1=1 src2=0
	v_dot4_i32_iu8 v0, v0, v3 /*v259*/, 0 neg_lo:[1,1,0]
	s_set_vgpr_msb 0                        ;  msbs: dst=0 src0=0 src1=0 src2=0
	v_perm_b32 v30, v30, v30, 0xc0c0c01
	s_set_vgpr_msb 5                        ;  msbs: dst=0 src0=1 src1=1 src2=0
	s_delay_alu instid0(VALU_DEP_2) | instskip(NEXT) | instid1(VALU_DEP_1)
	v_dot4_i32_iu8 v0, v22 /*v278*/, v4 /*v260*/, v0 neg_lo:[1,1,0]
	v_dot4_i32_iu8 v8, v23 /*v279*/, v2 /*v258*/, v0 neg_lo:[1,1,0]
	s_set_vgpr_msb 0                        ;  msbs: dst=0 src0=0 src1=0 src2=0
	v_perm_b32 v0, v24, v179, 0x6040501
	s_delay_alu instid0(VALU_DEP_1) | instskip(SKIP_1) | instid1(VALU_DEP_1)
	v_dot4_i32_iu8 v0, v1, v0, 0 neg_lo:[1,1,0]
	v_perm_b32 v1, v178, v24, 0x6040503
	v_dot4_i32_iu8 v0, v5, v1, v0 neg_lo:[1,1,0]
	v_perm_b32 v1, v138, v22, 0x6050401
	v_perm_b32 v5, v21, v138, 0x6040503
	s_set_vgpr_msb 5                        ;  msbs: dst=0 src0=1 src1=1 src2=0
	s_delay_alu instid0(VALU_DEP_3) | instskip(SKIP_3) | instid1(VALU_DEP_2)
	v_dot4_i32_iu8 v9, v5 /*v261*/, v24 /*v280*/, v0 neg_lo:[1,1,0]
	s_set_vgpr_msb 0                        ;  msbs: dst=0 src0=0 src1=0 src2=0
	v_perm_b32 v0, v20, v124, 0x6050401
	s_set_vgpr_msb 64                       ;  msbs: dst=1 src0=0 src1=0 src2=0
	v_dot4_i32_iu8 v27 /*v283*/, v27, v130, v9 neg_lo:[1,1,0]
	s_set_vgpr_msb 16                       ;  msbs: dst=0 src0=0 src1=0 src2=1
	s_delay_alu instid0(VALU_DEP_2) | instskip(SKIP_3) | instid1(VALU_DEP_2)
	v_dot4_i32_iu8 v0, v1, v0, 0 neg_lo:[1,1,0]
	v_perm_b32 v1, v139, v20, 0x6040503
	v_dot4_i32_iu8 v9, v7, v127, v13 /*v269*/ neg_lo:[1,1,0]
	s_set_vgpr_msb 0                        ;  msbs: dst=0 src0=0 src1=0 src2=0
	v_dot4_i32_iu8 v0, v5, v1, v0 neg_lo:[1,1,0]
	v_perm_b32 v1, v136, v18, 0x6050401
	v_perm_b32 v5, v18, v137, 0x7060403
	v_mul_lo_u32 v9, v9, v242
	s_set_vgpr_msb 1                        ;  msbs: dst=0 src0=1 src1=0 src2=0
	v_dot4_i32_iu8 v12, v25 /*v281*/, v228, v0 neg_lo:[1,1,0]
	s_set_vgpr_msb 0                        ;  msbs: dst=0 src0=0 src1=0 src2=0
	v_perm_b32 v0, v16, v126, 0x6050401
	s_delay_alu instid0(VALU_DEP_1) | instskip(SKIP_2) | instid1(VALU_DEP_2)
	v_dot4_i32_iu8 v0, v1, v0, 0 neg_lo:[1,1,0]
	v_perm_b32 v1, v126, v17, 0x7060403
	s_set_vgpr_msb 5                        ;  msbs: dst=0 src0=1 src1=1 src2=0
	v_dot4_i32_iu8 v0, v8 /*v264*/, v26 /*v282*/, v0 neg_lo:[1,1,0]
	s_set_vgpr_msb 0                        ;  msbs: dst=0 src0=0 src1=0 src2=0
	s_delay_alu instid0(VALU_DEP_1)
	v_dot4_i32_iu8 v13, v5, v1, v0 neg_lo:[1,1,0]
	s_set_vgpr_msb 1                        ;  msbs: dst=0 src0=1 src1=0 src2=0
	ds_load_b64 v[0:1], v9 /*v265*/ offset:43584
	s_set_vgpr_msb 0                        ;  msbs: dst=0 src0=0 src1=0 src2=0
	ds_load_b64 v[4:5], v4 offset:43584
	s_set_vgpr_msb 64                       ;  msbs: dst=1 src0=0 src1=0 src2=0
	v_dot4_i32_iu8 v9 /*v265*/, v31, v135, v8 neg_lo:[1,1,0]
	s_set_vgpr_msb 0                        ;  msbs: dst=0 src0=0 src1=0 src2=0
	v_dot4_i32_iu8 v8, v23, v125, v12 neg_lo:[1,1,0]
	s_set_vgpr_msb 16                       ;  msbs: dst=0 src0=0 src1=0 src2=1
	v_dot4_i32_iu8 v12, v3, v125, v12 /*v268*/ neg_lo:[1,1,0]
	s_set_vgpr_msb 0                        ;  msbs: dst=0 src0=0 src1=0 src2=0
	v_dot4_i32_iu8 v13, v19, v127, v13 neg_lo:[1,1,0]
	v_mul_lo_u32 v8, v8, v243
	s_delay_alu instid0(VALU_DEP_3) | instskip(NEXT) | instid1(VALU_DEP_2)
	v_mad_u32 v9, v12, v243, v9
	v_mad_u32 v8, v13, v242, v8
	s_wait_dscnt 0x0
	v_dual_mov_b32 v13, v0 :: v_dual_mov_b32 v12, v4
	s_set_vgpr_msb 1                        ;  msbs: dst=0 src0=1 src1=0 src2=0
	v_mul_lo_u32 v0, v11 /*v267*/, v238
	v_mul_lo_u32 v4, v9 /*v265*/, v239
	s_set_vgpr_msb 0                        ;  msbs: dst=0 src0=0 src1=0 src2=0
	v_cvt_f32_i32_e32 v9, v9
	s_set_vgpr_msb 64                       ;  msbs: dst=1 src0=0 src1=0 src2=0
	v_perm_b32 v9 /*v265*/, v21, v20, 0x6040503
	s_set_vgpr_msb 0                        ;  msbs: dst=0 src0=0 src1=0 src2=0
	v_cvt_f32_i32_e32 v8, v8
	s_set_vgpr_msb 1                        ;  msbs: dst=0 src0=1 src1=0 src2=0
	v_mad_u32 v0, v10 /*v266*/, v239, v0
	v_mad_u32 v4, v27 /*v283*/, v238, v4
	s_set_vgpr_msb 0                        ;  msbs: dst=0 src0=0 src1=0 src2=0
	v_pk_fma_f32 v[8:9], v[12:13], v[8:9], 0 op_sel_hi:[1,1,0]
	s_set_vgpr_msb 64                       ;  msbs: dst=1 src0=0 src1=0 src2=0
	s_delay_alu instid0(VALU_DEP_3) | instskip(NEXT) | instid1(VALU_DEP_3)
	v_cvt_f32_i32_e32 v11 /*v267*/, v0
	v_cvt_f32_i32_e32 v10 /*v266*/, v4
	s_set_vgpr_msb 4                        ;  msbs: dst=0 src0=0 src1=1 src2=0
	v_mov_b32_e32 v0, v5
	s_delay_alu instid0(VALU_DEP_1)
	v_pk_fma_f32 v[4:5], v[0:1], v[10:11] /*v[266:267]*/, v[8:9]
	s_set_vgpr_msb 0                        ;  msbs: dst=0 src0=0 src1=0 src2=0
	v_perm_b32 v8, v148, v26, 0x6040501
	v_perm_b32 v9, v142, v22, 0x6050401
	s_set_vgpr_msb 64                       ;  msbs: dst=1 src0=0 src1=0 src2=0
	v_perm_b32 v10 /*v266*/, v140, v18, 0x6050401
	s_set_vgpr_msb 0                        ;  msbs: dst=0 src0=0 src1=0 src2=0
	v_pk_fma_f32 v[50:51], v[116:117], v[4:5], v[50:51]
	v_perm_b32 v4, v28, v33, 0x6040503
	v_or_b32_e32 v5, v252, v30
	s_delay_alu instid0(VALU_DEP_1) | instskip(SKIP_2) | instid1(VALU_DEP_2)
	v_dot4_i32_iu8 v4, v5, v4, 0 neg_lo:[1,1,0]
	v_perm_b32 v5, v24, v146, 0x6040501
	s_set_vgpr_msb 1                        ;  msbs: dst=0 src0=1 src1=0 src2=0
	v_dot4_i32_iu8 v4, v22 /*v278*/, v253, v4 neg_lo:[1,1,0]
	s_set_vgpr_msb 0                        ;  msbs: dst=0 src0=0 src1=0 src2=0
	s_delay_alu instid0(VALU_DEP_2) | instskip(SKIP_4) | instid1(VALU_DEP_2)
	v_dot4_i32_iu8 v5, v8, v5, 0 neg_lo:[1,1,0]
	v_perm_b32 v8, v25, v24, 0x6040503
	s_set_vgpr_msb 4                        ;  msbs: dst=0 src0=0 src1=1 src2=0
	v_dot4_i32_iu8 v4, v254, v23 /*v279*/, v4 neg_lo:[1,1,0]
	s_set_vgpr_msb 0                        ;  msbs: dst=0 src0=0 src1=0 src2=0
	v_dot4_i32_iu8 v5, v255, v8, v5 neg_lo:[1,1,0]
	v_perm_b32 v8, v20, v128, 0x6050401
	s_set_vgpr_msb 5                        ;  msbs: dst=0 src0=1 src1=1 src2=0
	s_delay_alu instid0(VALU_DEP_2) | instskip(SKIP_1) | instid1(VALU_DEP_2)
	v_dot4_i32_iu8 v5, v0 /*v256*/, v24 /*v280*/, v5 neg_lo:[1,1,0]
	s_set_vgpr_msb 0                        ;  msbs: dst=0 src0=0 src1=0 src2=0
	v_dot4_i32_iu8 v8, v9, v8, 0 neg_lo:[1,1,0]
	v_perm_b32 v9, v16, v132, 0x6050401
	s_set_vgpr_msb 4                        ;  msbs: dst=0 src0=0 src1=1 src2=0
	s_delay_alu instid0(VALU_DEP_2) | instskip(SKIP_1) | instid1(VALU_DEP_2)
	v_dot4_i32_iu8 v8, v240, v9 /*v265*/, v8 neg_lo:[1,1,0]
	s_set_vgpr_msb 1                        ;  msbs: dst=0 src0=1 src1=0 src2=0
	v_dot4_i32_iu8 v9, v10 /*v266*/, v9, 0 neg_lo:[1,1,0]
	s_set_vgpr_msb 64                       ;  msbs: dst=1 src0=0 src1=0 src2=0
	v_perm_b32 v10 /*v266*/, v18, v17, 0x7060403
	s_set_vgpr_msb 4                        ;  msbs: dst=0 src0=0 src1=1 src2=0
	v_dot4_i32_iu8 v8, v241, v25 /*v281*/, v8 neg_lo:[1,1,0]
	v_dot4_i32_iu8 v9, v244, v26 /*v282*/, v9 neg_lo:[1,1,0]
	s_delay_alu instid0(VALU_DEP_1) | instskip(SKIP_3) | instid1(VALU_DEP_2)
	v_dot4_i32_iu8 v9, v245, v10 /*v266*/, v9 neg_lo:[1,1,0]
	s_set_vgpr_msb 64                       ;  msbs: dst=1 src0=0 src1=0 src2=0
	v_perm_b32 v10 /*v266*/, v31, v31, 0x3020001
	s_set_vgpr_msb 0                        ;  msbs: dst=0 src0=0 src1=0 src2=0
	v_dot4_i32_iu8 v9, v19, v133, v9 neg_lo:[1,1,0]
	s_set_vgpr_msb 0x41                     ;  msbs: dst=1 src0=1 src1=0 src2=0
	s_delay_alu instid0(VALU_DEP_2) | instskip(SKIP_3) | instid1(VALU_DEP_1)
	v_dot4_i32_iu8 v10 /*v266*/, v10 /*v266*/, v250, v4 neg_lo:[1,1,0]
	s_set_vgpr_msb 0                        ;  msbs: dst=0 src0=0 src1=0 src2=0
	v_perm_b32 v4, v11, v11, 0x3020001
	s_set_vgpr_msb 0x50                     ;  msbs: dst=1 src0=0 src1=0 src2=1
	v_dot4_i32_iu8 v11 /*v267*/, v4, v251, v15 /*v271*/ neg_lo:[1,1,0]
	s_set_vgpr_msb 0                        ;  msbs: dst=0 src0=0 src1=0 src2=0
	v_perm_b32 v4, v15, v15, 0x3020001
	s_set_vgpr_msb 0x50                     ;  msbs: dst=1 src0=0 src1=0 src2=1
	s_delay_alu instid0(VALU_DEP_1) | instskip(SKIP_3) | instid1(VALU_DEP_1)
	v_dot4_i32_iu8 v12 /*v268*/, v4, v250, v14 /*v270*/ neg_lo:[1,1,0]
	s_set_vgpr_msb 0                        ;  msbs: dst=0 src0=0 src1=0 src2=0
	v_perm_b32 v4, v27, v27, 0x3020001
	s_set_vgpr_msb 64                       ;  msbs: dst=1 src0=0 src1=0 src2=0
	v_dot4_i32_iu8 v13 /*v269*/, v4, v251, v5 neg_lo:[1,1,0]
	s_set_vgpr_msb 0                        ;  msbs: dst=0 src0=0 src1=0 src2=0
	v_dot4_i32_iu8 v4, v23, v129, v8 neg_lo:[1,1,0]
	s_set_vgpr_msb 16                       ;  msbs: dst=0 src0=0 src1=0 src2=1
	v_dot4_i32_iu8 v5, v7, v133, v17 /*v273*/ neg_lo:[1,1,0]
	v_dot4_i32_iu8 v8, v3, v129, v16 /*v272*/ neg_lo:[1,1,0]
	s_delay_alu instid0(VALU_DEP_3) | instskip(NEXT) | instid1(VALU_DEP_3)
	v_mul_lo_u32 v4, v4, v248
	v_mul_lo_u32 v5, v5, v249
	s_set_vgpr_msb 0                        ;  msbs: dst=0 src0=0 src1=0 src2=0
	s_delay_alu instid0(VALU_DEP_2) | instskip(NEXT) | instid1(VALU_DEP_2)
	v_mad_u32 v4, v9, v249, v4
	v_mad_u32 v5, v8, v248, v5
	s_set_vgpr_msb 1                        ;  msbs: dst=0 src0=1 src1=0 src2=0
	v_mul_lo_u32 v8, v11 /*v267*/, v246
	v_mul_lo_u32 v9, v10 /*v266*/, v247
	s_set_vgpr_msb 64                       ;  msbs: dst=1 src0=0 src1=0 src2=0
	v_perm_b32 v11 /*v267*/, v18, v169, 0x7060403
	s_set_vgpr_msb 0                        ;  msbs: dst=0 src0=0 src1=0 src2=0
	v_cvt_f32_i32_e32 v4, v4
	v_cvt_f32_i32_e32 v5, v5
	s_set_vgpr_msb 1                        ;  msbs: dst=0 src0=1 src1=0 src2=0
	v_mad_u32 v8, v12 /*v268*/, v247, v8
	s_set_vgpr_msb 0x41                     ;  msbs: dst=1 src0=1 src1=0 src2=0
	v_mad_u32 v10 /*v266*/, v13 /*v269*/, v246, v9
	s_set_vgpr_msb 0x50                     ;  msbs: dst=1 src0=0 src1=0 src2=1
	v_dot4_i32_iu8 v12 /*v268*/, v15, v167, v18 /*v274*/ neg_lo:[1,1,0]
	s_set_vgpr_msb 0                        ;  msbs: dst=0 src0=0 src1=0 src2=0
	v_pk_fma_f32 v[4:5], v[12:13], v[4:5], 0 op_sel_hi:[1,1,0]
	s_delay_alu instid0(VALU_DEP_4) | instskip(SKIP_1) | instid1(VALU_DEP_4)
	v_cvt_f32_i32_e32 v9, v8
	s_set_vgpr_msb 1                        ;  msbs: dst=0 src0=1 src1=0 src2=0
	v_cvt_f32_i32_e32 v8, v10 /*v266*/
	s_set_vgpr_msb 64                       ;  msbs: dst=1 src0=0 src1=0 src2=0
	v_perm_b32 v10 /*v266*/, v22, v163, 0x7060403
	s_set_vgpr_msb 0                        ;  msbs: dst=0 src0=0 src1=0 src2=0
	s_delay_alu instid0(VALU_DEP_2) | instskip(SKIP_2) | instid1(VALU_DEP_3)
	v_pk_fma_f32 v[4:5], v[0:1], v[8:9], v[4:5]
	v_perm_b32 v8, v29, v165, 0x6040503
	v_perm_b32 v9, v25, v166, 0x6040503
	v_pk_fma_f32 v[48:49], v[118:119], v[4:5], v[48:49]
	v_perm_b32 v4, v28, v175, 0x6040501
	v_or_b32_e32 v5, v234, v30
	s_delay_alu instid0(VALU_DEP_1) | instskip(SKIP_1) | instid1(VALU_DEP_1)
	v_dot4_i32_iu8 v4, v5, v4, 0 neg_lo:[1,1,0]
	v_perm_b32 v5, v174, v28, 0x6040503
	v_dot4_i32_iu8 v4, v8, v5, v4 neg_lo:[1,1,0]
	v_perm_b32 v5, v24, v177, 0x6040501
	v_perm_b32 v8, v166, v26, 0x6040501
	s_set_vgpr_msb 4                        ;  msbs: dst=0 src0=0 src1=1 src2=0
	s_delay_alu instid0(VALU_DEP_3) | instskip(SKIP_1) | instid1(VALU_DEP_2)
	v_dot4_i32_iu8 v4, v236, v23 /*v279*/, v4 neg_lo:[1,1,0]
	s_set_vgpr_msb 0                        ;  msbs: dst=0 src0=0 src1=0 src2=0
	v_dot4_i32_iu8 v5, v8, v5, 0 neg_lo:[1,1,0]
	v_perm_b32 v8, v176, v24, 0x6040503
	s_delay_alu instid0(VALU_DEP_1) | instskip(SKIP_3) | instid1(VALU_DEP_3)
	v_dot4_i32_iu8 v5, v9, v8, v5 neg_lo:[1,1,0]
	v_perm_b32 v8, v20, v156, 0x6050401
	v_perm_b32 v9, v162, v22, 0x6050401
	s_set_vgpr_msb 5                        ;  msbs: dst=0 src0=1 src1=1 src2=0
	v_dot4_i32_iu8 v5, v1 /*v257*/, v24 /*v280*/, v5 neg_lo:[1,1,0]
	s_set_vgpr_msb 0                        ;  msbs: dst=0 src0=0 src1=0 src2=0
	s_delay_alu instid0(VALU_DEP_2)
	v_dot4_i32_iu8 v8, v9, v8, 0 neg_lo:[1,1,0]
	v_perm_b32 v9, v156, v21, 0x7060403
	s_set_vgpr_msb 64                       ;  msbs: dst=1 src0=0 src1=0 src2=0
	v_dot4_i32_iu8 v13 /*v269*/, v27, v164, v5 neg_lo:[1,1,0]
	s_set_vgpr_msb 16                       ;  msbs: dst=0 src0=0 src1=0 src2=1
	v_dot4_i32_iu8 v5, v7, v159, v21 /*v277*/ neg_lo:[1,1,0]
	s_set_vgpr_msb 4                        ;  msbs: dst=0 src0=0 src1=1 src2=0
	v_dot4_i32_iu8 v8, v235, v9 /*v265*/, v8 neg_lo:[1,1,0]
	s_set_vgpr_msb 0                        ;  msbs: dst=0 src0=0 src1=0 src2=0
	s_delay_alu instid0(VALU_DEP_2) | instskip(SKIP_1) | instid1(VALU_DEP_2)
	v_mul_lo_u32 v5, v5, v232
	s_set_vgpr_msb 1                        ;  msbs: dst=0 src0=1 src1=0 src2=0
	v_dot4_i32_iu8 v8, v10 /*v266*/, v9, v8 neg_lo:[1,1,0]
	s_set_vgpr_msb 0                        ;  msbs: dst=0 src0=0 src1=0 src2=0
	v_perm_b32 v9, v16, v158, 0x6050401
	s_set_vgpr_msb 64                       ;  msbs: dst=1 src0=0 src1=0 src2=0
	v_perm_b32 v10 /*v266*/, v168, v18, 0x6050401
	s_set_vgpr_msb 1                        ;  msbs: dst=0 src0=1 src1=0 src2=0
	s_delay_alu instid0(VALU_DEP_1) | instskip(SKIP_3) | instid1(VALU_DEP_2)
	v_dot4_i32_iu8 v9, v10 /*v266*/, v9, 0 neg_lo:[1,1,0]
	s_set_vgpr_msb 64                       ;  msbs: dst=1 src0=0 src1=0 src2=0
	v_perm_b32 v10 /*v266*/, v158, v17, 0x7060403
	s_set_vgpr_msb 5                        ;  msbs: dst=0 src0=1 src1=1 src2=0
	v_dot4_i32_iu8 v9, v7 /*v263*/, v26 /*v282*/, v9 neg_lo:[1,1,0]
	s_delay_alu instid0(VALU_DEP_1)
	v_dot4_i32_iu8 v9, v11 /*v267*/, v10 /*v266*/, v9 neg_lo:[1,1,0]
	s_set_vgpr_msb 64                       ;  msbs: dst=1 src0=0 src1=0 src2=0
	v_dot4_i32_iu8 v10 /*v266*/, v31, v167, v4 neg_lo:[1,1,0]
	s_set_vgpr_msb 0                        ;  msbs: dst=0 src0=0 src1=0 src2=0
	v_dot4_i32_iu8 v4, v23, v157, v8 neg_lo:[1,1,0]
	s_set_vgpr_msb 0x50                     ;  msbs: dst=1 src0=0 src1=0 src2=1
	v_dot4_i32_iu8 v11 /*v267*/, v11, v164, v19 /*v275*/ neg_lo:[1,1,0]
	s_set_vgpr_msb 16                       ;  msbs: dst=0 src0=0 src1=0 src2=1
	v_dot4_i32_iu8 v8, v3, v157, v20 /*v276*/ neg_lo:[1,1,0]
	s_set_vgpr_msb 0                        ;  msbs: dst=0 src0=0 src1=0 src2=0
	v_dot4_i32_iu8 v9, v19, v159, v9 neg_lo:[1,1,0]
	v_dot4_i32_iu8 v11, v15, v153, v14 neg_lo:[1,1,0]
	v_mul_lo_u32 v4, v4, v233
	v_mad_u32 v5, v8, v233, v5
	s_set_vgpr_msb 1                        ;  msbs: dst=0 src0=1 src1=0 src2=0
	v_mul_lo_u32 v8, v11 /*v267*/, v231
	s_set_vgpr_msb 0                        ;  msbs: dst=0 src0=0 src1=0 src2=0
	s_delay_alu instid0(VALU_DEP_3) | instskip(SKIP_3) | instid1(VALU_DEP_4)
	v_mad_u32 v4, v9, v232, v4
	s_set_vgpr_msb 1                        ;  msbs: dst=0 src0=1 src1=0 src2=0
	v_mul_lo_u32 v9, v10 /*v266*/, v230
	s_set_vgpr_msb 0                        ;  msbs: dst=0 src0=0 src1=0 src2=0
	v_cvt_f32_i32_e32 v5, v5
	s_set_vgpr_msb 1                        ;  msbs: dst=0 src0=1 src1=0 src2=0
	s_delay_alu instid0(VALU_DEP_4) | instskip(SKIP_1) | instid1(VALU_DEP_4)
	v_mad_u32 v8, v12 /*v268*/, v230, v8
	s_set_vgpr_msb 0                        ;  msbs: dst=0 src0=0 src1=0 src2=0
	v_cvt_f32_i32_e32 v4, v4
	s_set_vgpr_msb 0x41                     ;  msbs: dst=1 src0=1 src1=0 src2=0
	s_delay_alu instid0(VALU_DEP_4) | instskip(SKIP_1) | instid1(VALU_DEP_3)
	v_mad_u32 v10 /*v266*/, v13 /*v269*/, v231, v9
	s_set_vgpr_msb 0                        ;  msbs: dst=0 src0=0 src1=0 src2=0
	v_cvt_f32_i32_e32 v9, v8
	v_pk_fma_f32 v[4:5], v[12:13], v[4:5], 0 op_sel_hi:[1,1,0]
	s_set_vgpr_msb 1                        ;  msbs: dst=0 src0=1 src1=0 src2=0
	s_delay_alu instid0(VALU_DEP_3) | instskip(SKIP_1) | instid1(VALU_DEP_1)
	v_cvt_f32_i32_e32 v8, v10 /*v266*/
	s_set_vgpr_msb 0                        ;  msbs: dst=0 src0=0 src1=0 src2=0
	v_pk_fma_f32 v[4:5], v[0:1], v[8:9], v[4:5]
	v_perm_b32 v8, v29, v151, 0x6040503
	v_perm_b32 v9, v25, v152, 0x6040503
	s_delay_alu instid0(VALU_DEP_3) | instskip(SKIP_2) | instid1(VALU_DEP_1)
	v_pk_fma_f32 v[46:47], v[120:121], v[4:5], v[46:47]
	v_perm_b32 v4, v28, v171, 0x6040501
	v_or_b32_e32 v5, v149, v30
	v_dot4_i32_iu8 v4, v5, v4, 0 neg_lo:[1,1,0]
	v_perm_b32 v5, v170, v28, 0x6040503
	s_delay_alu instid0(VALU_DEP_1) | instskip(SKIP_3) | instid1(VALU_DEP_3)
	v_dot4_i32_iu8 v4, v8, v5, v4 neg_lo:[1,1,0]
	v_perm_b32 v5, v24, v173, 0x6040501
	v_perm_b32 v8, v152, v26, 0x6040501
	s_set_vgpr_msb 4                        ;  msbs: dst=0 src0=0 src1=1 src2=0
	v_dot4_i32_iu8 v4, v229, v23 /*v279*/, v4 neg_lo:[1,1,0]
	s_set_vgpr_msb 0                        ;  msbs: dst=0 src0=0 src1=0 src2=0
	s_delay_alu instid0(VALU_DEP_2) | instskip(SKIP_1) | instid1(VALU_DEP_3)
	v_dot4_i32_iu8 v5, v8, v5, 0 neg_lo:[1,1,0]
	v_perm_b32 v8, v172, v24, 0x6040503
	v_dot4_i32_iu8 v4, v31, v153, v4 neg_lo:[1,1,0]
	s_delay_alu instid0(VALU_DEP_2)
	v_dot4_i32_iu8 v5, v9, v8, v5 neg_lo:[1,1,0]
	v_perm_b32 v8, v20, v144, 0x6050401
	v_perm_b32 v9, v160, v22, 0x6050401
	;; [unrolled: 1-line block ×3, first 2 shown]
	v_mul_lo_u32 v4, v4, v32
	s_set_vgpr_msb 4                        ;  msbs: dst=0 src0=0 src1=1 src2=0
	v_dot4_i32_iu8 v5, v237, v24 /*v280*/, v5 neg_lo:[1,1,0]
	s_set_vgpr_msb 0                        ;  msbs: dst=0 src0=0 src1=0 src2=0
	v_dot4_i32_iu8 v8, v9, v8, 0 neg_lo:[1,1,0]
	v_perm_b32 v9, v144, v21, 0x7060403
	s_delay_alu instid0(VALU_DEP_3) | instskip(SKIP_1) | instid1(VALU_DEP_3)
	v_dot4_i32_iu8 v5, v27, v150, v5 neg_lo:[1,1,0]
	s_set_vgpr_msb 4                        ;  msbs: dst=0 src0=0 src1=1 src2=0
	v_dot4_i32_iu8 v8, v147, v9 /*v265*/, v8 neg_lo:[1,1,0]
	s_set_vgpr_msb 0                        ;  msbs: dst=0 src0=0 src1=0 src2=0
	s_delay_alu instid0(VALU_DEP_2) | instskip(SKIP_1) | instid1(VALU_DEP_3)
	v_mad_u32 v4, v5, v131, v4
	v_mad_u32 v5, v11, v32, v6
	v_dot4_i32_iu8 v8, v20, v9, v8 neg_lo:[1,1,0]
	v_perm_b32 v9, v16, v34, 0x6050401
	v_perm_b32 v16, v154, v18, 0x6050401
	s_delay_alu instid0(VALU_DEP_3) | instskip(NEXT) | instid1(VALU_DEP_2)
	v_dot4_i32_iu8 v8, v23, v145, v8 neg_lo:[1,1,0]
	v_dot4_i32_iu8 v9, v16, v9, 0 neg_lo:[1,1,0]
	v_perm_b32 v16, v34, v17, 0x7060403
	v_perm_b32 v17, v18, v155, 0x7060403
	s_delay_alu instid0(VALU_DEP_4)
	v_mul_lo_u32 v7, v8, v143
	v_cvt_f32_i32_e32 v5, v5
	s_set_vgpr_msb 5                        ;  msbs: dst=0 src0=1 src1=1 src2=0
	v_dot4_i32_iu8 v9, v6 /*v262*/, v26 /*v282*/, v9 neg_lo:[1,1,0]
	s_set_vgpr_msb 0                        ;  msbs: dst=0 src0=0 src1=0 src2=0
	v_cvt_f32_i32_e32 v4, v4
	s_delay_alu instid0(VALU_DEP_2) | instskip(NEXT) | instid1(VALU_DEP_1)
	v_dot4_i32_iu8 v9, v17, v16, v9 neg_lo:[1,1,0]
	v_dot4_i32_iu8 v3, v19, v35, v9 neg_lo:[1,1,0]
	s_delay_alu instid0(VALU_DEP_1) | instskip(SKIP_1) | instid1(VALU_DEP_2)
	v_mad_u32 v7, v3, v141, v7
	v_cvt_f32_i32_e32 v3, v2
	v_cvt_f32_i32_e32 v2, v7
	s_delay_alu instid0(VALU_DEP_1) | instskip(NEXT) | instid1(VALU_DEP_1)
	v_pk_fma_f32 v[2:3], v[12:13], v[2:3], 0 op_sel_hi:[1,1,0]
	v_pk_fma_f32 v[0:1], v[0:1], v[4:5], v[2:3]
	s_delay_alu instid0(VALU_DEP_1) | instskip(SKIP_1) | instid1(VALU_DEP_1)
	v_pk_fma_f32 v[44:45], v[122:123], v[0:1], v[44:45]
	v_or_b32_e32 v0, s13, v199
	v_lshlrev_b32_e32 v12, 2, v0
	s_set_vgpr_msb 64                       ;  msbs: dst=1 src0=0 src1=0 src2=0
	v_lshrrev_b32_e32 v16 /*v272*/, 1, v0
	s_set_vgpr_msb 0                        ;  msbs: dst=0 src0=0 src1=0 src2=0
	ds_load_b128 v[4:7], v12 offset:33280
	ds_load_b128 v[0:3], v12 offset:33296
	;; [unrolled: 1-line block ×4, first 2 shown]
	s_wait_dscnt 0x3
	v_perm_b32 v22, v126, v5, 0x7060403
	s_wait_dscnt 0x2
	v_perm_b32 v21, v1, v138, 0x6040503
	;; [unrolled: 2-line block ×4, first 2 shown]
	v_perm_b32 v17, v13, v12, 0x6040503
	v_perm_b32 v18, v14, v13, 0x7060403
	;; [unrolled: 1-line block ×4, first 2 shown]
	s_set_vgpr_msb 4                        ;  msbs: dst=0 src0=0 src1=1 src2=0
	v_dot4_i32_iu8 v16, v16, v3 /*v259*/, 0 neg_lo:[1,1,0]
	s_delay_alu instid0(VALU_DEP_1) | instskip(SKIP_1) | instid1(VALU_DEP_1)
	v_dot4_i32_iu8 v16, v17, v4 /*v260*/, v16 neg_lo:[1,1,0]
	s_set_vgpr_msb 0x44                     ;  msbs: dst=1 src0=0 src1=1 src2=0
	v_dot4_i32_iu8 v17 /*v273*/, v18, v2 /*v258*/, v16 neg_lo:[1,1,0]
	s_set_vgpr_msb 0                        ;  msbs: dst=0 src0=0 src1=0 src2=0
	v_perm_b32 v16, v8, v179, 0x6040501
	s_delay_alu instid0(VALU_DEP_1) | instskip(SKIP_1) | instid1(VALU_DEP_1)
	v_dot4_i32_iu8 v16, v19, v16, 0 neg_lo:[1,1,0]
	v_perm_b32 v19, v178, v8, 0x6040503
	v_dot4_i32_iu8 v16, v20, v19, v16 neg_lo:[1,1,0]
	v_perm_b32 v19, v10, v9, 0x7060403
	v_perm_b32 v20, v138, v2, 0x6050401
	s_set_vgpr_msb 0x41                     ;  msbs: dst=1 src0=1 src1=0 src2=0
	s_delay_alu instid0(VALU_DEP_2) | instskip(SKIP_2) | instid1(VALU_DEP_1)
	v_dot4_i32_iu8 v18 /*v274*/, v5 /*v261*/, v19, v16 neg_lo:[1,1,0]
	s_set_vgpr_msb 0                        ;  msbs: dst=0 src0=0 src1=0 src2=0
	v_perm_b32 v16, v0, v124, 0x6050401
	v_dot4_i32_iu8 v16, v20, v16, 0 neg_lo:[1,1,0]
	v_perm_b32 v20, v139, v0, 0x6040503
	s_delay_alu instid0(VALU_DEP_1) | instskip(SKIP_3) | instid1(VALU_DEP_2)
	v_dot4_i32_iu8 v16, v21, v20, v16 neg_lo:[1,1,0]
	v_perm_b32 v20, v2, v1, 0x7060403
	v_perm_b32 v21, v136, v6, 0x6050401
	s_set_vgpr_msb 64                       ;  msbs: dst=1 src0=0 src1=0 src2=0
	v_dot4_i32_iu8 v19 /*v275*/, v20, v228, v16 neg_lo:[1,1,0]
	s_set_vgpr_msb 0                        ;  msbs: dst=0 src0=0 src1=0 src2=0
	v_perm_b32 v16, v4, v126, 0x6050401
	s_delay_alu instid0(VALU_DEP_1) | instskip(SKIP_2) | instid1(VALU_DEP_1)
	v_dot4_i32_iu8 v16, v21, v16, 0 neg_lo:[1,1,0]
	v_perm_b32 v21, v5, v4, 0x6040503
	s_set_vgpr_msb 1                        ;  msbs: dst=0 src0=1 src1=0 src2=0
	v_dot4_i32_iu8 v16, v8 /*v264*/, v21, v16 neg_lo:[1,1,0]
	s_set_vgpr_msb 64                       ;  msbs: dst=1 src0=0 src1=0 src2=0
	s_delay_alu instid0(VALU_DEP_1) | instskip(SKIP_4) | instid1(VALU_DEP_3)
	v_dot4_i32_iu8 v20 /*v276*/, v23, v22, v16 neg_lo:[1,1,0]
	s_set_vgpr_msb 0                        ;  msbs: dst=0 src0=0 src1=0 src2=0
	v_perm_b32 v22, v14, v14, 0xc0c0c01
	v_perm_b32 v16, v12, v33, 0x6040503
	;; [unrolled: 1-line block ×3, first 2 shown]
	v_or_b32_e32 v14, v252, v22
	s_delay_alu instid0(VALU_DEP_1) | instskip(SKIP_1) | instid1(VALU_DEP_2)
	v_dot4_i32_iu8 v14, v14, v16, 0 neg_lo:[1,1,0]
	v_perm_b32 v16, v148, v10, 0x6040501
	v_dot4_i32_iu8 v14, v17, v253, v14 neg_lo:[1,1,0]
	v_perm_b32 v17, v140, v6, 0x6050401
	s_set_vgpr_msb 64                       ;  msbs: dst=1 src0=0 src1=0 src2=0
	s_delay_alu instid0(VALU_DEP_2) | instskip(SKIP_2) | instid1(VALU_DEP_1)
	v_dot4_i32_iu8 v12 /*v268*/, v254, v18, v14 neg_lo:[1,1,0]
	s_set_vgpr_msb 0                        ;  msbs: dst=0 src0=0 src1=0 src2=0
	v_perm_b32 v14, v8, v146, 0x6040501
	v_dot4_i32_iu8 v14, v16, v14, 0 neg_lo:[1,1,0]
	v_perm_b32 v16, v9, v8, 0x6040503
	v_perm_b32 v9, v9, v152, 0x6040503
	s_delay_alu instid0(VALU_DEP_2) | instskip(SKIP_2) | instid1(VALU_DEP_2)
	v_dot4_i32_iu8 v14, v255, v16, v14 neg_lo:[1,1,0]
	v_perm_b32 v16, v142, v2, 0x6050401
	s_set_vgpr_msb 0x41                     ;  msbs: dst=1 src0=1 src1=0 src2=0
	v_dot4_i32_iu8 v14 /*v270*/, v0 /*v256*/, v19, v14 neg_lo:[1,1,0]
	s_set_vgpr_msb 0                        ;  msbs: dst=0 src0=0 src1=0 src2=0
	v_perm_b32 v14, v0, v128, 0x6050401
	s_delay_alu instid0(VALU_DEP_1) | instskip(SKIP_1) | instid1(VALU_DEP_1)
	v_dot4_i32_iu8 v14, v16, v14, 0 neg_lo:[1,1,0]
	v_perm_b32 v16, v1, v0, 0x6040503
	v_dot4_i32_iu8 v14, v240, v16, v14 neg_lo:[1,1,0]
	s_set_vgpr_msb 64                       ;  msbs: dst=1 src0=0 src1=0 src2=0
	s_delay_alu instid0(VALU_DEP_1) | instskip(SKIP_4) | instid1(VALU_DEP_3)
	v_dot4_i32_iu8 v13 /*v269*/, v241, v20, v14 neg_lo:[1,1,0]
	s_set_vgpr_msb 0                        ;  msbs: dst=0 src0=0 src1=0 src2=0
	v_perm_b32 v14, v4, v132, 0x6050401
	v_perm_b32 v20, v13, v165, 0x6040503
	;; [unrolled: 1-line block ×3, first 2 shown]
	v_dot4_i32_iu8 v14, v17, v14, 0 neg_lo:[1,1,0]
	v_perm_b32 v17, v6, v5, 0x7060403
	s_delay_alu instid0(VALU_DEP_2) | instskip(SKIP_1) | instid1(VALU_DEP_1)
	v_dot4_i32_iu8 v14, v244, v21, v14 neg_lo:[1,1,0]
	s_set_vgpr_msb 64                       ;  msbs: dst=1 src0=0 src1=0 src2=0
	v_dot4_i32_iu8 v15 /*v271*/, v245, v17, v14 neg_lo:[1,1,0]
	s_set_vgpr_msb 0                        ;  msbs: dst=0 src0=0 src1=0 src2=0
	v_perm_b32 v14, v12, v175, 0x6040501
	v_or_b32_e32 v17, v234, v22
	s_delay_alu instid0(VALU_DEP_1) | instskip(SKIP_1) | instid1(VALU_DEP_1)
	v_dot4_i32_iu8 v14, v17, v14, 0 neg_lo:[1,1,0]
	v_perm_b32 v17, v174, v12, 0x6040503
	v_dot4_i32_iu8 v14, v20, v17, v14 neg_lo:[1,1,0]
	v_perm_b32 v17, v8, v177, 0x6040501
	v_perm_b32 v20, v166, v10, 0x6040501
	;; [unrolled: 1-line block ×3, first 2 shown]
	s_delay_alu instid0(VALU_DEP_4) | instskip(NEXT) | instid1(VALU_DEP_3)
	v_dot4_i32_iu8 v14, v236, v18, v14 neg_lo:[1,1,0]
	v_dot4_i32_iu8 v17, v20, v17, 0 neg_lo:[1,1,0]
	v_perm_b32 v20, v176, v8, 0x6040503
	s_delay_alu instid0(VALU_DEP_3) | instskip(NEXT) | instid1(VALU_DEP_2)
	v_dot4_i32_iu8 v14, v15, v167, v14 neg_lo:[1,1,0]
	v_dot4_i32_iu8 v17, v23, v20, v17 neg_lo:[1,1,0]
	v_perm_b32 v20, v162, v2, 0x6050401
	v_perm_b32 v23, v2, v163, 0x7060403
	s_set_vgpr_msb 0x41                     ;  msbs: dst=1 src0=1 src1=0 src2=0
	s_delay_alu instid0(VALU_DEP_3) | instskip(SKIP_3) | instid1(VALU_DEP_2)
	v_dot4_i32_iu8 v9 /*v265*/, v1 /*v257*/, v19, v17 neg_lo:[1,1,0]
	s_set_vgpr_msb 0                        ;  msbs: dst=0 src0=0 src1=0 src2=0
	v_perm_b32 v17, v0, v156, 0x6050401
	v_perm_b32 v0, v0, v144, 0x6050401
	v_dot4_i32_iu8 v17, v20, v17, 0 neg_lo:[1,1,0]
	v_perm_b32 v20, v156, v1, 0x7060403
	v_perm_b32 v1, v144, v1, 0x7060403
	s_delay_alu instid0(VALU_DEP_3) | instskip(SKIP_1) | instid1(VALU_DEP_1)
	v_dot4_i32_iu8 v17, v235, v16, v17 neg_lo:[1,1,0]
	s_set_vgpr_msb 64                       ;  msbs: dst=1 src0=0 src1=0 src2=0
	v_dot4_i32_iu8 v10 /*v266*/, v23, v20, v17 neg_lo:[1,1,0]
	s_set_vgpr_msb 0                        ;  msbs: dst=0 src0=0 src1=0 src2=0
	v_perm_b32 v17, v4, v158, 0x6050401
	v_perm_b32 v20, v168, v6, 0x6050401
	;; [unrolled: 1-line block ×3, first 2 shown]
	s_delay_alu instid0(VALU_DEP_2) | instskip(SKIP_2) | instid1(VALU_DEP_2)
	v_dot4_i32_iu8 v17, v20, v17, 0 neg_lo:[1,1,0]
	v_perm_b32 v20, v158, v5, 0x7060403
	s_set_vgpr_msb 1                        ;  msbs: dst=0 src0=1 src1=0 src2=0
	v_dot4_i32_iu8 v17, v7 /*v263*/, v21, v17 neg_lo:[1,1,0]
	s_set_vgpr_msb 64                       ;  msbs: dst=1 src0=0 src1=0 src2=0
	s_delay_alu instid0(VALU_DEP_1) | instskip(SKIP_4) | instid1(VALU_DEP_2)
	v_dot4_i32_iu8 v11 /*v267*/, v23, v20, v17 neg_lo:[1,1,0]
	s_set_vgpr_msb 0                        ;  msbs: dst=0 src0=0 src1=0 src2=0
	v_perm_b32 v17, v12, v171, 0x6040501
	v_or_b32_e32 v20, v149, v22
	v_perm_b32 v12, v170, v12, 0x6040503
	v_dot4_i32_iu8 v17, v20, v17, 0 neg_lo:[1,1,0]
	s_delay_alu instid0(VALU_DEP_1) | instskip(SKIP_2) | instid1(VALU_DEP_3)
	v_dot4_i32_iu8 v12, v13, v12, v17 neg_lo:[1,1,0]
	v_perm_b32 v13, v8, v173, 0x6040501
	v_perm_b32 v8, v172, v8, 0x6040503
	v_dot4_i32_iu8 v12, v229, v18, v12 neg_lo:[1,1,0]
	s_delay_alu instid0(VALU_DEP_3) | instskip(NEXT) | instid1(VALU_DEP_1)
	v_dot4_i32_iu8 v10, v10, v13, 0 neg_lo:[1,1,0]
	v_dot4_i32_iu8 v8, v9, v8, v10 neg_lo:[1,1,0]
	v_perm_b32 v9, v160, v2, 0x6050401
	v_perm_b32 v2, v2, v161, 0x7060403
	s_delay_alu instid0(VALU_DEP_3) | instskip(NEXT) | instid1(VALU_DEP_3)
	v_dot4_i32_iu8 v8, v237, v19, v8 neg_lo:[1,1,0]
	v_dot4_i32_iu8 v0, v9, v0, 0 neg_lo:[1,1,0]
	s_delay_alu instid0(VALU_DEP_2) | instskip(NEXT) | instid1(VALU_DEP_2)
	v_dot4_i32_iu8 v8, v11, v150, v8 neg_lo:[1,1,0]
	v_dot4_i32_iu8 v0, v147, v16, v0 neg_lo:[1,1,0]
	s_delay_alu instid0(VALU_DEP_1) | instskip(SKIP_3) | instid1(VALU_DEP_4)
	v_dot4_i32_iu8 v2, v2, v1, v0 neg_lo:[1,1,0]
	v_perm_b32 v0, v4, v34, 0x6050401
	v_perm_b32 v1, v154, v6, 0x6050401
	;; [unrolled: 1-line block ×3, first 2 shown]
	v_dot4_i32_iu8 v2, v3, v145, v2 neg_lo:[1,1,0]
	s_delay_alu instid0(VALU_DEP_3) | instskip(SKIP_2) | instid1(VALU_DEP_2)
	v_dot4_i32_iu8 v0, v1, v0, 0 neg_lo:[1,1,0]
	v_perm_b32 v1, v34, v5, 0x7060403
	s_set_vgpr_msb 1                        ;  msbs: dst=0 src0=1 src1=0 src2=0
	v_dot4_i32_iu8 v0, v6 /*v262*/, v21, v0 neg_lo:[1,1,0]
	s_set_vgpr_msb 0                        ;  msbs: dst=0 src0=0 src1=0 src2=0
	s_delay_alu instid0(VALU_DEP_1) | instskip(SKIP_1) | instid1(VALU_DEP_2)
	v_dot4_i32_iu8 v6, v4, v1, v0 neg_lo:[1,1,0]
	v_or_b32_e32 v0, s13, v200
	v_dot4_i32_iu8 v6, v7, v35, v6 neg_lo:[1,1,0]
	s_delay_alu instid0(VALU_DEP_2)
	v_lshlrev_b32_e32 v1, 2, v0
	ds_load_b128 v[16:19], v1 offset:33280
	ds_load_b128 v[20:23], v1 offset:33296
	ds_load_b128 v[24:27], v1 offset:33312
	ds_load_b128 v[28:31], v1 offset:33328
	v_lshrrev_b32_e32 v4, 1, v0
	v_mul_lo_u32 v6, v6, v141
	s_delay_alu instid0(VALU_DEP_1)
	v_mad_u32 v2, v2, v143, v6
	s_wait_dscnt 0x1
	v_perm_b32 v1, v134, v26, 0x6040501
	s_wait_dscnt 0x0
	v_perm_b32 v0, v28, v30, 0x6040501
	v_perm_b32 v13, v29, v28, 0x6040503
	;; [unrolled: 1-line block ×5, first 2 shown]
	s_set_vgpr_msb 4                        ;  msbs: dst=0 src0=0 src1=1 src2=0
	v_dot4_i32_iu8 v0, v0, v3 /*v259*/, 0 neg_lo:[1,1,0]
	s_set_vgpr_msb 0                        ;  msbs: dst=0 src0=0 src1=0 src2=0
	v_perm_b32 v33, v28, v33, 0x6040503
	s_set_vgpr_msb 4                        ;  msbs: dst=0 src0=0 src1=1 src2=0
	s_delay_alu instid0(VALU_DEP_2) | instskip(NEXT) | instid1(VALU_DEP_1)
	v_dot4_i32_iu8 v0, v13, v4 /*v260*/, v0 neg_lo:[1,1,0]
	v_dot4_i32_iu8 v5, v9, v2 /*v258*/, v0 neg_lo:[1,1,0]
	s_set_vgpr_msb 16                       ;  msbs: dst=0 src0=0 src1=0 src2=1
	v_perm_b32 v0, v24, v179, 0x6040501
	v_dot4_i32_iu8 v179, v11, v130, v18 /*v274*/ neg_lo:[1,1,0]
	s_delay_alu instid0(VALU_DEP_2)
	v_dot4_i32_iu8 v0, v1, v0, 0 neg_lo:[1,1,0]
	v_perm_b32 v1, v178, v24, 0x6040503
	s_set_vgpr_msb 0                        ;  msbs: dst=0 src0=0 src1=0 src2=0
	v_dot4_i32_iu8 v178, v31, v135, v5 neg_lo:[1,1,0]
	s_set_vgpr_msb 16                       ;  msbs: dst=0 src0=0 src1=0 src2=1
	v_dot4_i32_iu8 v5, v7, v127, v20 /*v276*/ neg_lo:[1,1,0]
	v_dot4_i32_iu8 v135, v15, v135, v17 /*v273*/ neg_lo:[1,1,0]
	s_set_vgpr_msb 0                        ;  msbs: dst=0 src0=0 src1=0 src2=0
	v_dot4_i32_iu8 v0, v10, v1, v0 neg_lo:[1,1,0]
	v_perm_b32 v10, v26, v25, 0x7060403
	v_perm_b32 v1, v138, v22, 0x6050401
	v_mul_lo_u32 v5, v5, v242
	s_set_vgpr_msb 1                        ;  msbs: dst=0 src0=1 src1=0 src2=0
	s_delay_alu instid0(VALU_DEP_3)
	v_dot4_i32_iu8 v134, v5 /*v261*/, v10, v0 neg_lo:[1,1,0]
	s_set_vgpr_msb 0                        ;  msbs: dst=0 src0=0 src1=0 src2=0
	v_perm_b32 v0, v20, v124, 0x6050401
	v_perm_b32 v124, v21, v138, 0x6040503
	;; [unrolled: 1-line block ×3, first 2 shown]
	v_dot4_i32_iu8 v130, v27, v130, v134 neg_lo:[1,1,0]
	s_delay_alu instid0(VALU_DEP_4) | instskip(SKIP_2) | instid1(VALU_DEP_2)
	v_dot4_i32_iu8 v0, v1, v0, 0 neg_lo:[1,1,0]
	v_perm_b32 v1, v139, v20, 0x6040503
	v_perm_b32 v139, v17, v16, 0x6040503
	v_dot4_i32_iu8 v0, v124, v1, v0 neg_lo:[1,1,0]
	v_perm_b32 v1, v136, v18, 0x6050401
	s_delay_alu instid0(VALU_DEP_2) | instskip(SKIP_1) | instid1(VALU_DEP_1)
	v_dot4_i32_iu8 v124, v138, v228, v0 neg_lo:[1,1,0]
	v_perm_b32 v0, v16, v126, 0x6050401
	v_dot4_i32_iu8 v0, v1, v0, 0 neg_lo:[1,1,0]
	v_perm_b32 v1, v126, v17, 0x7060403
	v_perm_b32 v126, v18, v137, 0x7060403
	s_set_vgpr_msb 1                        ;  msbs: dst=0 src0=1 src1=0 src2=0
	s_delay_alu instid0(VALU_DEP_3) | instskip(SKIP_1) | instid1(VALU_DEP_1)
	v_dot4_i32_iu8 v0, v8 /*v264*/, v139, v0 neg_lo:[1,1,0]
	s_set_vgpr_msb 0                        ;  msbs: dst=0 src0=0 src1=0 src2=0
	v_dot4_i32_iu8 v126, v126, v1, v0 neg_lo:[1,1,0]
	s_set_vgpr_msb 1                        ;  msbs: dst=0 src0=1 src1=0 src2=0
	ds_load_b64 v[0:1], v16 /*v272*/ offset:43584
	s_set_vgpr_msb 0                        ;  msbs: dst=0 src0=0 src1=0 src2=0
	ds_load_b64 v[136:137], v4 offset:43584
	v_dot4_i32_iu8 v4, v23, v125, v124 neg_lo:[1,1,0]
	s_set_vgpr_msb 16                       ;  msbs: dst=0 src0=0 src1=0 src2=1
	v_dot4_i32_iu8 v124, v3, v125, v19 /*v275*/ neg_lo:[1,1,0]
	s_set_vgpr_msb 0                        ;  msbs: dst=0 src0=0 src1=0 src2=0
	v_dot4_i32_iu8 v125, v19, v127, v126 neg_lo:[1,1,0]
	v_mul_lo_u32 v126, v178, v239
	v_mul_lo_u32 v4, v4, v243
	v_mad_u32 v5, v124, v243, v5
	s_delay_alu instid0(VALU_DEP_3) | instskip(NEXT) | instid1(VALU_DEP_3)
	v_mad_u32 v126, v130, v238, v126
	v_mad_u32 v4, v125, v242, v4
	s_delay_alu instid0(VALU_DEP_3)
	v_cvt_f32_i32_e32 v125, v5
	s_wait_dscnt 0x1
	v_mov_b32_e32 v5, v0
	v_mul_lo_u32 v0, v179, v238
	v_perm_b32 v130, v27, v27, 0x3020001
	v_cvt_f32_i32_e32 v126, v126
	v_cvt_f32_i32_e32 v124, v4
	s_wait_dscnt 0x0
	v_mov_b32_e32 v4, v136
	v_mad_u32 v0, v135, v239, v0
	s_delay_alu instid0(VALU_DEP_2) | instskip(NEXT) | instid1(VALU_DEP_2)
	v_pk_fma_f32 v[124:125], v[4:5], v[124:125], 0 op_sel_hi:[1,1,0]
	v_cvt_f32_i32_e32 v127, v0
	v_mov_b32_e32 v0, v137
	s_delay_alu instid0(VALU_DEP_1) | instskip(SKIP_2) | instid1(VALU_DEP_3)
	v_pk_fma_f32 v[124:125], v[0:1], v[126:127], v[124:125]
	v_perm_b32 v126, v140, v18, 0x6050401
	v_perm_b32 v127, v15, v15, 0x3020001
	v_pk_fma_f32 v[42:43], v[116:117], v[124:125], v[42:43]
	v_or_b32_e32 v124, v252, v30
	v_perm_b32 v125, v142, v22, 0x6050401
	s_set_vgpr_msb 16                       ;  msbs: dst=0 src0=0 src1=0 src2=1
	v_dot4_i32_iu8 v127, v127, v250, v12 /*v268*/ neg_lo:[1,1,0]
	s_delay_alu instid0(VALU_DEP_3) | instskip(SKIP_2) | instid1(VALU_DEP_2)
	v_dot4_i32_iu8 v33, v124, v33, 0 neg_lo:[1,1,0]
	v_perm_b32 v124, v148, v26, 0x6040501
	s_set_vgpr_msb 0                        ;  msbs: dst=0 src0=0 src1=0 src2=0
	v_dot4_i32_iu8 v13, v13, v253, v33 neg_lo:[1,1,0]
	v_perm_b32 v33, v24, v146, 0x6040501
	s_delay_alu instid0(VALU_DEP_2) | instskip(NEXT) | instid1(VALU_DEP_2)
	v_dot4_i32_iu8 v13, v254, v9, v13 neg_lo:[1,1,0]
	v_dot4_i32_iu8 v33, v124, v33, 0 neg_lo:[1,1,0]
	v_perm_b32 v124, v25, v24, 0x6040503
	s_delay_alu instid0(VALU_DEP_1) | instskip(SKIP_3) | instid1(VALU_DEP_3)
	v_dot4_i32_iu8 v33, v255, v124, v33 neg_lo:[1,1,0]
	v_perm_b32 v124, v20, v128, 0x6050401
	v_perm_b32 v128, v21, v20, 0x6040503
	s_set_vgpr_msb 1                        ;  msbs: dst=0 src0=1 src1=0 src2=0
	v_dot4_i32_iu8 v33, v0 /*v256*/, v10, v33 neg_lo:[1,1,0]
	s_set_vgpr_msb 0                        ;  msbs: dst=0 src0=0 src1=0 src2=0
	v_dot4_i32_iu8 v124, v125, v124, 0 neg_lo:[1,1,0]
	v_perm_b32 v125, v16, v132, 0x6050401
	s_delay_alu instid0(VALU_DEP_3) | instskip(NEXT) | instid1(VALU_DEP_3)
	v_dot4_i32_iu8 v33, v130, v251, v33 neg_lo:[1,1,0]
	v_dot4_i32_iu8 v124, v240, v128, v124 neg_lo:[1,1,0]
	s_delay_alu instid0(VALU_DEP_3)
	v_dot4_i32_iu8 v125, v126, v125, 0 neg_lo:[1,1,0]
	v_perm_b32 v126, v18, v17, 0x7060403
	s_set_vgpr_msb 16                       ;  msbs: dst=0 src0=0 src1=0 src2=1
	v_dot4_i32_iu8 v130, v7, v133, v15 /*v271*/ neg_lo:[1,1,0]
	s_set_vgpr_msb 0                        ;  msbs: dst=0 src0=0 src1=0 src2=0
	v_dot4_i32_iu8 v124, v241, v138, v124 neg_lo:[1,1,0]
	v_dot4_i32_iu8 v125, v244, v139, v125 neg_lo:[1,1,0]
	s_delay_alu instid0(VALU_DEP_3) | instskip(NEXT) | instid1(VALU_DEP_3)
	v_mul_lo_u32 v130, v130, v249
	v_dot4_i32_iu8 v124, v23, v129, v124 neg_lo:[1,1,0]
	s_delay_alu instid0(VALU_DEP_3)
	v_dot4_i32_iu8 v125, v245, v126, v125 neg_lo:[1,1,0]
	v_perm_b32 v126, v31, v31, 0x3020001
	s_set_vgpr_msb 16                       ;  msbs: dst=0 src0=0 src1=0 src2=1
	v_dot4_i32_iu8 v129, v3, v129, v13 /*v269*/ neg_lo:[1,1,0]
	v_mul_lo_u32 v124, v124, v248
	s_set_vgpr_msb 0                        ;  msbs: dst=0 src0=0 src1=0 src2=0
	v_dot4_i32_iu8 v125, v19, v133, v125 neg_lo:[1,1,0]
	v_dot4_i32_iu8 v13, v126, v250, v13 neg_lo:[1,1,0]
	v_perm_b32 v126, v11, v11, 0x3020001
	s_delay_alu instid0(VALU_DEP_2) | instskip(SKIP_1) | instid1(VALU_DEP_2)
	v_mul_lo_u32 v13, v13, v247
	s_set_vgpr_msb 16                       ;  msbs: dst=0 src0=0 src1=0 src2=1
	v_dot4_i32_iu8 v126, v126, v251, v14 /*v270*/ neg_lo:[1,1,0]
	s_set_vgpr_msb 0                        ;  msbs: dst=0 src0=0 src1=0 src2=0
	v_mad_u32 v124, v125, v249, v124
	v_mad_u32 v125, v129, v248, v130
	s_delay_alu instid0(VALU_DEP_3)
	v_mul_lo_u32 v126, v126, v246
	s_set_vgpr_msb 16                       ;  msbs: dst=0 src0=0 src1=0 src2=1
	v_dot4_i32_iu8 v129, v3, v157, v10 /*v266*/ neg_lo:[1,1,0]
	s_set_vgpr_msb 0                        ;  msbs: dst=0 src0=0 src1=0 src2=0
	v_mad_u32 v13, v33, v246, v13
	v_cvt_f32_i32_e32 v124, v124
	v_cvt_f32_i32_e32 v125, v125
	v_mad_u32 v33, v127, v247, v126
	s_delay_alu instid0(VALU_DEP_2) | instskip(SKIP_2) | instid1(VALU_DEP_4)
	v_pk_fma_f32 v[124:125], v[4:5], v[124:125], 0 op_sel_hi:[1,1,0]
	v_cvt_f32_i32_e32 v126, v13
	v_perm_b32 v13, v28, v175, 0x6040501
	v_cvt_f32_i32_e32 v127, v33
	v_or_b32_e32 v33, v234, v30
	s_delay_alu instid0(VALU_DEP_2) | instskip(NEXT) | instid1(VALU_DEP_2)
	v_pk_fma_f32 v[124:125], v[0:1], v[126:127], v[124:125]
	v_dot4_i32_iu8 v13, v33, v13, 0 neg_lo:[1,1,0]
	v_perm_b32 v33, v174, v28, 0x6040503
	v_perm_b32 v126, v22, v163, 0x7060403
	;; [unrolled: 1-line block ×3, first 2 shown]
	v_pk_fma_f32 v[40:41], v[118:119], v[124:125], v[40:41]
	v_perm_b32 v124, v29, v165, 0x6040503
	v_perm_b32 v125, v25, v166, 0x6040503
	s_delay_alu instid0(VALU_DEP_2) | instskip(SKIP_2) | instid1(VALU_DEP_3)
	v_dot4_i32_iu8 v13, v124, v33, v13 neg_lo:[1,1,0]
	v_perm_b32 v33, v24, v177, 0x6040501
	v_perm_b32 v124, v166, v26, 0x6040501
	v_dot4_i32_iu8 v13, v236, v9, v13 neg_lo:[1,1,0]
	s_delay_alu instid0(VALU_DEP_2) | instskip(SKIP_1) | instid1(VALU_DEP_3)
	v_dot4_i32_iu8 v33, v124, v33, 0 neg_lo:[1,1,0]
	v_perm_b32 v124, v176, v24, 0x6040503
	v_dot4_i32_iu8 v13, v31, v167, v13 neg_lo:[1,1,0]
	s_delay_alu instid0(VALU_DEP_2) | instskip(SKIP_2) | instid1(VALU_DEP_4)
	v_dot4_i32_iu8 v33, v125, v124, v33 neg_lo:[1,1,0]
	v_perm_b32 v124, v20, v156, 0x6050401
	v_perm_b32 v125, v162, v22, 0x6050401
	v_mul_lo_u32 v13, v13, v230
	s_set_vgpr_msb 1                        ;  msbs: dst=0 src0=1 src1=0 src2=0
	v_dot4_i32_iu8 v33, v1 /*v257*/, v10, v33 neg_lo:[1,1,0]
	s_set_vgpr_msb 0                        ;  msbs: dst=0 src0=0 src1=0 src2=0
	v_dot4_i32_iu8 v124, v125, v124, 0 neg_lo:[1,1,0]
	v_perm_b32 v125, v156, v21, 0x7060403
	s_delay_alu instid0(VALU_DEP_3) | instskip(NEXT) | instid1(VALU_DEP_3)
	v_dot4_i32_iu8 v33, v27, v164, v33 neg_lo:[1,1,0]
	v_dot4_i32_iu8 v124, v235, v128, v124 neg_lo:[1,1,0]
	s_delay_alu instid0(VALU_DEP_2) | instskip(NEXT) | instid1(VALU_DEP_2)
	v_mad_u32 v13, v33, v231, v13
	v_dot4_i32_iu8 v124, v126, v125, v124 neg_lo:[1,1,0]
	v_perm_b32 v125, v16, v158, 0x6050401
	v_perm_b32 v126, v168, v18, 0x6050401
	s_delay_alu instid0(VALU_DEP_3) | instskip(NEXT) | instid1(VALU_DEP_2)
	v_dot4_i32_iu8 v124, v23, v157, v124 neg_lo:[1,1,0]
	v_dot4_i32_iu8 v125, v126, v125, 0 neg_lo:[1,1,0]
	v_perm_b32 v126, v158, v17, 0x7060403
	s_delay_alu instid0(VALU_DEP_3) | instskip(SKIP_1) | instid1(VALU_DEP_3)
	v_mul_lo_u32 v124, v124, v233
	s_set_vgpr_msb 1                        ;  msbs: dst=0 src0=1 src1=0 src2=0
	v_dot4_i32_iu8 v125, v7 /*v263*/, v139, v125 neg_lo:[1,1,0]
	s_set_vgpr_msb 0                        ;  msbs: dst=0 src0=0 src1=0 src2=0
	s_delay_alu instid0(VALU_DEP_1)
	v_dot4_i32_iu8 v125, v127, v126, v125 neg_lo:[1,1,0]
	s_set_vgpr_msb 16                       ;  msbs: dst=0 src0=0 src1=0 src2=1
	v_dot4_i32_iu8 v126, v11, v164, v9 /*v265*/ neg_lo:[1,1,0]
	v_dot4_i32_iu8 v127, v7, v159, v11 /*v267*/ neg_lo:[1,1,0]
	s_set_vgpr_msb 0                        ;  msbs: dst=0 src0=0 src1=0 src2=0
	v_dot4_i32_iu8 v11, v15, v153, v12 neg_lo:[1,1,0]
	v_dot4_i32_iu8 v125, v19, v159, v125 neg_lo:[1,1,0]
	v_mul_lo_u32 v126, v126, v231
	v_mul_lo_u32 v127, v127, v232
	s_delay_alu instid0(VALU_DEP_3) | instskip(NEXT) | instid1(VALU_DEP_3)
	v_mad_u32 v124, v125, v232, v124
	v_mad_u32 v14, v14, v230, v126
	s_delay_alu instid0(VALU_DEP_3)
	v_mad_u32 v125, v129, v233, v127
	v_cvt_f32_i32_e32 v126, v13
	v_perm_b32 v13, v28, v171, 0x6040501
	v_cvt_f32_i32_e32 v124, v124
	v_cvt_f32_i32_e32 v127, v14
	v_or_b32_e32 v14, v149, v30
	v_cvt_f32_i32_e32 v125, v125
	s_delay_alu instid0(VALU_DEP_2) | instskip(SKIP_2) | instid1(VALU_DEP_4)
	v_dot4_i32_iu8 v13, v14, v13, 0 neg_lo:[1,1,0]
	v_perm_b32 v14, v170, v28, 0x6040503
	v_perm_b32 v28, v29, v151, 0x6040503
	v_pk_fma_f32 v[124:125], v[4:5], v[124:125], 0 op_sel_hi:[1,1,0]
	s_delay_alu instid0(VALU_DEP_2) | instskip(SKIP_1) | instid1(VALU_DEP_3)
	v_dot4_i32_iu8 v13, v28, v14, v13 neg_lo:[1,1,0]
	v_perm_b32 v14, v152, v26, 0x6040501
	v_pk_fma_f32 v[124:125], v[0:1], v[126:127], v[124:125]
	s_delay_alu instid0(VALU_DEP_3) | instskip(SKIP_1) | instid1(VALU_DEP_3)
	v_dot4_i32_iu8 v9, v229, v9, v13 neg_lo:[1,1,0]
	v_perm_b32 v13, v24, v173, 0x6040501
	v_pk_fma_f32 v[38:39], v[120:121], v[124:125], v[38:39]
	s_delay_alu instid0(VALU_DEP_3) | instskip(NEXT) | instid1(VALU_DEP_3)
	v_dot4_i32_iu8 v9, v31, v153, v9 neg_lo:[1,1,0]
	v_dot4_i32_iu8 v13, v14, v13, 0 neg_lo:[1,1,0]
	v_perm_b32 v14, v172, v24, 0x6040503
	v_perm_b32 v24, v25, v152, 0x6040503
	s_delay_alu instid0(VALU_DEP_1) | instskip(SKIP_1) | instid1(VALU_DEP_2)
	v_dot4_i32_iu8 v13, v24, v14, v13 neg_lo:[1,1,0]
	v_perm_b32 v14, v160, v22, 0x6050401
	v_dot4_i32_iu8 v10, v237, v10, v13 neg_lo:[1,1,0]
	v_perm_b32 v13, v20, v144, 0x6050401
	v_perm_b32 v20, v22, v161, 0x7060403
	s_delay_alu instid0(VALU_DEP_3) | instskip(NEXT) | instid1(VALU_DEP_3)
	v_dot4_i32_iu8 v10, v27, v150, v10 neg_lo:[1,1,0]
	v_dot4_i32_iu8 v13, v14, v13, 0 neg_lo:[1,1,0]
	v_perm_b32 v14, v144, v21, 0x7060403
	s_delay_alu instid0(VALU_DEP_2) | instskip(NEXT) | instid1(VALU_DEP_1)
	v_dot4_i32_iu8 v13, v147, v128, v13 neg_lo:[1,1,0]
	v_dot4_i32_iu8 v13, v20, v14, v13 neg_lo:[1,1,0]
	v_perm_b32 v14, v16, v34, 0x6050401
	v_perm_b32 v16, v154, v18, 0x6050401
	s_delay_alu instid0(VALU_DEP_3) | instskip(NEXT) | instid1(VALU_DEP_2)
	v_dot4_i32_iu8 v12, v23, v145, v13 neg_lo:[1,1,0]
	v_dot4_i32_iu8 v14, v16, v14, 0 neg_lo:[1,1,0]
	v_perm_b32 v16, v34, v17, 0x7060403
	v_perm_b32 v17, v18, v155, 0x7060403
	s_delay_alu instid0(VALU_DEP_4) | instskip(SKIP_3) | instid1(VALU_DEP_1)
	v_mul_lo_u32 v7, v12, v143
	s_set_vgpr_msb 1                        ;  msbs: dst=0 src0=1 src1=0 src2=0
	v_dot4_i32_iu8 v14, v6 /*v262*/, v139, v14 neg_lo:[1,1,0]
	s_set_vgpr_msb 0                        ;  msbs: dst=0 src0=0 src1=0 src2=0
	v_dot4_i32_iu8 v14, v17, v16, v14 neg_lo:[1,1,0]
	s_delay_alu instid0(VALU_DEP_1) | instskip(NEXT) | instid1(VALU_DEP_1)
	v_dot4_i32_iu8 v3, v19, v35, v14 neg_lo:[1,1,0]
	v_mad_u32 v7, v3, v141, v7
	v_cvt_f32_i32_e32 v3, v2
	s_delay_alu instid0(VALU_DEP_2) | instskip(NEXT) | instid1(VALU_DEP_1)
	v_cvt_f32_i32_e32 v2, v7
	v_pk_fma_f32 v[2:3], v[4:5], v[2:3], 0 op_sel_hi:[1,1,0]
	v_mul_lo_u32 v4, v8, v131
	v_mul_lo_u32 v5, v9, v32
	s_delay_alu instid0(VALU_DEP_2) | instskip(NEXT) | instid1(VALU_DEP_2)
	v_mad_u32 v4, v11, v32, v4
	v_mad_u32 v6, v10, v131, v5
	s_delay_alu instid0(VALU_DEP_2) | instskip(NEXT) | instid1(VALU_DEP_2)
	v_cvt_f32_i32_e32 v5, v4
	v_cvt_f32_i32_e32 v4, v6
	s_delay_alu instid0(VALU_DEP_1) | instskip(NEXT) | instid1(VALU_DEP_1)
	v_pk_fma_f32 v[0:1], v[0:1], v[4:5], v[2:3]
	v_pk_fma_f32 v[36:37], v[122:123], v[0:1], v[36:37]
	s_cbranch_vccnz .LBB175_6
; %bb.7:                                ;   in Loop: Header=BB175_5 Depth=1
	v_dual_add_nc_u32 v8, s5, v180 :: v_dual_add_nc_u32 v4, 4, v227
	s_barrier_signal -1
	s_barrier_wait -1
	s_delay_alu instid0(VALU_DEP_1) | instskip(SKIP_3) | instid1(VALU_DEP_4)
	v_dual_add_nc_u32 v6, v8, v115 :: v_dual_add_nc_u32 v12, v8, v109
	v_dual_add_nc_u32 v0, v8, v101 :: v_dual_add_nc_u32 v2, v8, v103
	;; [unrolled: 1-line block ×3, first 2 shown]
	v_mad_nc_u64_u32 v[4:5], v4, 36, s[2:3]
	v_mad_nc_i64_i32 v[6:7], v6, 36, v[90:91]
	s_delay_alu instid0(VALU_DEP_4)
	v_mad_nc_i64_i32 v[0:1], v0, 36, v[90:91]
	v_dual_add_nc_u32 v14, v8, v111 :: v_dual_add_nc_u32 v16, v8, v113
	v_mad_nc_i64_i32 v[2:3], v2, 36, v[90:91]
	v_mad_nc_i64_i32 v[8:9], v9, 36, v[90:91]
	;; [unrolled: 1-line block ×6, first 2 shown]
	s_clause 0x8
	global_load_b32 v18, v[4:5], off
	global_load_b32 v19, v[6:7], off offset:4
	global_load_b32 v20, v[0:1], off offset:4
	;; [unrolled: 1-line block ×8, first 2 shown]
	s_mov_b32 s5, 16
	s_wait_loadcnt 0x8
	s_wait_xcnt 0x6
	v_cvt_f32_f16_e32 v0, v18
	s_wait_loadcnt 0x7
	ds_store_b32 v188, v19
	s_wait_loadcnt 0x6
	ds_store_b32 v181, v20
	s_wait_loadcnt 0x5
	ds_store_b32 v182, v21
	s_wait_loadcnt 0x4
	ds_store_b32 v183, v22
	s_wait_loadcnt 0x3
	ds_store_b32 v184, v23
	s_wait_loadcnt 0x2
	ds_store_b32 v185, v24
	s_wait_loadcnt 0x1
	ds_store_b32 v186, v25
	s_wait_loadcnt 0x0
	ds_store_b32 v187, v26
	ds_store_b32 v99, v0
	s_wait_dscnt 0x0
	s_barrier_signal -1
	s_barrier_wait -1
	ds_load_b32 v116, v190
	ds_load_b32 v118, v191 offset:128
	ds_load_b32 v120, v192 offset:256
	;; [unrolled: 1-line block ×3, first 2 shown]
	s_wait_dscnt 0x2
	v_dual_mov_b32 v117, v116 :: v_dual_mov_b32 v119, v118
	s_wait_dscnt 0x0
	v_dual_mov_b32 v121, v120 :: v_dual_mov_b32 v123, v122
.LBB175_8:                              ;   Parent Loop BB175_5 Depth=1
                                        ; =>  This Inner Loop Header: Depth=2
	s_lshl_b32 s12, s5, 1
	s_lshl_b32 s16, s5, 3
	s_and_b32 s12, s12, 16
	s_lshr_b32 s13, s5, 1
	v_or_b32_e32 v0, s12, v85
	s_add_co_i32 s13, s13, 0xa200
	v_add_nc_u32_e32 v152, s16, v214
	v_add3_u32 v150, s13, v217, v204
	v_add3_u32 v162, s13, v218, v201
	v_lshlrev_b32_e32 v1, 2, v0
	ds_load_b128 v[8:11], v1 offset:33280
	ds_load_b128 v[4:7], v1 offset:33296
	;; [unrolled: 1-line block ×4, first 2 shown]
	s_set_vgpr_msb 64                       ;  msbs: dst=1 src0=0 src1=0 src2=0
	v_add3_u32 v23 /*v279*/, s13, v205, v202
	v_add3_u32 v24 /*v280*/, s13, v206, v203
	v_add_nc_u32_e32 v25 /*v281*/, s16, v216
	s_wait_dscnt 0x3
	s_set_vgpr_msb 0                        ;  msbs: dst=0 src0=0 src1=0 src2=0
	v_bfe_i32 v24, v10, 8, 8
	s_wait_dscnt 0x2
	v_bfe_i32 v25, v6, 8, 8
	s_wait_dscnt 0x1
	v_dual_ashrrev_i32 v157, 24, v18 :: v_dual_lshrrev_b32 v30, 1, v0
	v_add_nc_u32_e32 v0, s16, v213
	ds_load_2addr_b32 v[134:135], v0 offset0:6 offset1:7
	ds_load_2addr_b32 v[140:141], v0 offset0:4 offset1:5
	;; [unrolled: 1-line block ×3, first 2 shown]
	ds_load_2addr_b32 v[138:139], v0 offset1:1
	ds_load_2addr_b32 v[22:23], v0 offset0:13 offset1:14
	ds_load_2addr_b32 v[20:21], v0 offset0:11 offset1:12
	;; [unrolled: 1-line block ×4, first 2 shown]
	v_bfe_i32 v28, v18, 8, 8
	v_perm_b32 v179, v16, v16, 0xc0c0001
	v_perm_b32 v227, v16, v16, 0xc0c0302
	v_perm_b32 v228, v17, v17, 0xc0c0001
	v_bfe_i32 v27, v17, 16, 8
	v_perm_b32 v229, v18, v17, 0xc0c0403
	v_perm_b32 v230, v18, v18, 0xc0c0302
	v_perm_b32 v231, v4, v4, 0xc0c0100
	;; [unrolled: 4-line block ×3, first 2 shown]
	ds_load_2addr_b32 v[124:125], v152 offset0:6 offset1:7
	ds_load_2addr_b32 v[130:131], v152 offset0:4 offset1:5
	;; [unrolled: 1-line block ×3, first 2 shown]
	ds_load_2addr_b32 v[128:129], v152 offset1:1
	s_wait_dscnt 0xc
	v_dual_ashrrev_i32 v161, 24, v12 :: v_dual_ashrrev_i32 v178, 24, v13
	s_wait_dscnt 0x7
	v_perm_b32 v167, v12, v23, 0x6040501
	s_wait_dscnt 0x6
	v_perm_b32 v166, v21, v14, 0x6040501
	;; [unrolled: 2-line block ×3, first 2 shown]
	s_wait_dscnt 0x4
	v_bfe_i32 v0, v173, 8, 8
	v_bfe_i32 v1, v172, 16, 8
	;; [unrolled: 1-line block ×3, first 2 shown]
	v_dot4_i32_iu8 v166, v167, v166, 0 neg_lo:[1,1,0]
	v_perm_b32 v167, v13, v21, 0x6040503
	v_mul_i32_i24_e32 v0, v0, v28
	v_perm_b32 v169, v22, v12, 0x6040503
	v_bfe_i32 v29, v14, 8, 8
	v_bfe_i32 v176, v14, 16, 8
	;; [unrolled: 1-line block ×3, first 2 shown]
	v_dot4_i32_iu8 v0, v179, v2, v0 neg_lo:[1,1,0]
	v_perm_b32 v2, v170, v170, 0xc0c0302
	v_dot4_i32_iu8 v166, v169, v167, v166 neg_lo:[1,1,0]
	v_perm_b32 v234, v13, v13, 0xc0c0c03
	v_bfe_i32 v35, v12, 8, 8
	v_perm_b32 v255, v23, v22, 0x7060403
	v_dot4_i32_iu8 v0, v227, v2, v0 neg_lo:[1,1,0]
	v_perm_b32 v2, v172, v172, 0xc0c0001
	v_bfe_i32 v132, v12, 0, 8
	v_bfe_i32 v160, v13, 0, 8
	;; [unrolled: 1-line block ×4, first 2 shown]
	v_dot4_i32_iu8 v0, v228, v2, v0 neg_lo:[1,1,0]
	v_perm_b32 v2, v140, v140, 0xc0c0100
	v_dual_ashrrev_i32 v145, 24, v4 :: v_dual_ashrrev_i32 v148, 24, v6
	s_wait_dscnt 0x2
	v_lshrrev_b16 v153, 8, v131
	v_mad_i32_i24 v0, v1, v27, v0
	v_perm_b32 v1, v173, v172, 0xc0c0403
	v_lshrrev_b16 v31, 8, v5
	v_bfe_i32 v142, v16, 8, 8
	v_bfe_i32 v144, v4, 0, 8
	;; [unrolled: 1-line block ×3, first 2 shown]
	v_dot4_i32_iu8 v0, v229, v1, v0 neg_lo:[1,1,0]
	v_perm_b32 v1, v173, v173, 0xc0c0302
	v_bfe_i32 v31, v31, 0, 8
	v_bfe_i32 v146, v6, 0, 8
	v_bfe_i32 v149, v7, 8, 8
	s_wait_dscnt 0x0
	v_ashrrev_i32_e32 v239, 24, v128
	v_dot4_i32_iu8 v154, v230, v1, v0 neg_lo:[1,1,0]
	v_bfe_i32 v0, v134, 8, 8
	v_bfe_i32 v1, v140, 16, 8
	s_set_vgpr_msb 64                       ;  msbs: dst=1 src0=0 src1=0 src2=0
	v_perm_b32 v1 /*v257*/, v21, v23, 0x6040501
	v_perm_b32 v2 /*v258*/, v22, v21, 0x6040503
	s_set_vgpr_msb 0                        ;  msbs: dst=0 src0=0 src1=0 src2=0
	v_perm_b32 v245, v171, v171, 0x3020001
	v_mul_i32_i24_e32 v0, v0, v25
	v_perm_b32 v244, v20, v20, 0x3020001
	s_set_vgpr_msb 64                       ;  msbs: dst=1 src0=0 src1=0 src2=0
	v_perm_b32 v37 /*v293*/, v19, v19, 0x7060001
	s_set_vgpr_msb 0                        ;  msbs: dst=0 src0=0 src1=0 src2=0
	v_perm_b32 v247, v134, v141, 0x7060403
	s_set_vgpr_msb 64                       ;  msbs: dst=1 src0=0 src1=0 src2=0
	v_perm_b32 v42 /*v298*/, v12, v12, 0xc0c0001
	s_set_vgpr_msb 0                        ;  msbs: dst=0 src0=0 src1=0 src2=0
	v_dot4_i32_iu8 v0, v231, v2, v0 neg_lo:[1,1,0]
	s_set_vgpr_msb 64                       ;  msbs: dst=1 src0=0 src1=0 src2=0
	v_perm_b32 v48 /*v304*/, v170, v173, 0x6040501
	s_set_vgpr_msb 0                        ;  msbs: dst=0 src0=0 src1=0 src2=0
	v_perm_b32 v16, v17, v16, 0x5030200
	s_set_vgpr_msb 64                       ;  msbs: dst=1 src0=0 src1=0 src2=0
	v_perm_b32 v50 /*v306*/, v172, v170, 0x6040503
	s_set_vgpr_msb 0                        ;  msbs: dst=0 src0=0 src1=0 src2=0
	v_bfe_i32 v156, v18, 16, 8
	v_mad_i32_i24 v151, v1, v26, v0
	v_bfe_i32 v0, v136, 8, 8
	v_perm_b32 v1, v139, v139, 0xc0c0001
	s_set_vgpr_msb 64                       ;  msbs: dst=1 src0=0 src1=0 src2=0
	v_perm_b32 v59 /*v315*/, v15, v15, 0x7060001
	v_bfe_i32 v5 /*v261*/, v128, 16, 8
	s_set_vgpr_msb 0                        ;  msbs: dst=0 src0=0 src1=0 src2=0
	v_lshrrev_b16 v163, 8, v129
	v_mul_i32_i24_e32 v0, v0, v24
	v_bfe_i32 v238, v128, 8, 8
	s_set_vgpr_msb 64                       ;  msbs: dst=1 src0=0 src1=0 src2=0
	v_bfe_i32 v19 /*v275*/, v126, 16, 8
	s_set_vgpr_msb 0                        ;  msbs: dst=0 src0=0 src1=0 src2=0
	v_bfe_i32 v237, v126, 8, 8
	s_set_vgpr_msb 64                       ;  msbs: dst=1 src0=0 src1=0 src2=0
	v_bfe_i32 v18 /*v274*/, v126, 0, 8
	s_set_vgpr_msb 0                        ;  msbs: dst=0 src0=0 src1=0 src2=0
	v_dot4_i32_iu8 v0, v138, v8, v0 neg_lo:[1,1,0]
	s_set_vgpr_msb 64                       ;  msbs: dst=1 src0=0 src1=0 src2=0
	v_bfe_i32 v21 /*v277*/, v127, 8, 8
	s_set_vgpr_msb 0                        ;  msbs: dst=0 src0=0 src1=0 src2=0
	s_delay_alu instid0(VALU_DEP_2) | instskip(SKIP_1) | instid1(VALU_DEP_1)
	v_dot4_i32_iu8 v0, v232, v1, v0 neg_lo:[1,1,0]
	v_perm_b32 v1, v139, v139, 0xc0c0302
	v_dot4_i32_iu8 v0, v233, v1, v0 neg_lo:[1,1,0]
	v_perm_b32 v1, v136, v136, 0xc030200
	s_delay_alu instid0(VALU_DEP_1)
	v_dot4_i32_iu8 v155, v1, v246, v0 neg_lo:[1,1,0]
	ds_load_u16 v164, v152 offset:32
	ds_load_b128 v[0:3], v152 offset:34
	ds_load_b96 v[32:34], v152 offset:50
	ds_load_u16 v174, v152 offset:62
	s_wait_dscnt 0x1
	v_dual_ashrrev_i32 v159, 24, v3 :: v_dual_ashrrev_i32 v158, 24, v33
	v_lshrrev_b16 v152, 8, v32
	v_ashrrev_i32_e32 v167, 24, v32
	v_bfe_i32 v169, v32, 16, 8
	s_delay_alu instid0(VALU_DEP_4)
	v_mul_i32_i24_e32 v35, v159, v35
	v_bfe_i32 v159, v3, 16, 8
	v_bfe_i32 v152, v152, 0, 8
	;; [unrolled: 1-line block ×5, first 2 shown]
	v_mul_i32_i24_e32 v132, v159, v132
	v_mul_i32_i24_e32 v152, v152, v161
	v_bfe_i32 v161, v33, 0, 8
	v_bfe_i32 v159, v13, 8, 8
	v_mul_i32_i24_e32 v175, v175, v168
	v_mul_i32_i24_e32 v178, v236, v178
	;; [unrolled: 1-line block ×4, first 2 shown]
	v_ashrrev_i32_e32 v161, 24, v14
	v_perm_b32 v14, v14, v14, 0x706000c
	v_mad_i32_i24 v132, v158, v29, v132
	v_bfe_i32 v158, v5, 0, 8
	v_lshrrev_b16 v165, 8, v0
	s_set_vgpr_msb 64                       ;  msbs: dst=1 src0=0 src1=0 src2=0
	v_bfe_i32 v47 /*v303*/, v0, 16, 8
	v_or_b32_e32 v0 /*v256*/, v14, v234
	s_set_vgpr_msb 0                        ;  msbs: dst=0 src0=0 src1=0 src2=0
	v_bfe_i32 v234, v34, 0, 8
	s_set_vgpr_msb 64                       ;  msbs: dst=1 src0=0 src1=0 src2=0
	v_bfe_i32 v52 /*v308*/, v1, 8, 8
	s_set_vgpr_msb 0                        ;  msbs: dst=0 src0=0 src1=0 src2=0
	v_bfe_i32 v165, v165, 0, 8
	v_bfe_i32 v235, v128, 0, 8
	s_set_vgpr_msb 1                        ;  msbs: dst=0 src0=1 src1=0 src2=0
	v_dot4_i32_iu8 v14, v0 /*v256*/, v255, v166 neg_lo:[1,1,0]
	s_set_vgpr_msb 0                        ;  msbs: dst=0 src0=0 src1=0 src2=0
	v_bfe_i32 v166, v34, 8, 8
	v_mul_i32_i24_e32 v176, v234, v176
	v_perm_b32 v250, v34, v33, 0x5040201
	s_delay_alu instid0(VALU_DEP_3) | instskip(NEXT) | instid1(VALU_DEP_3)
	v_mul_i32_i24_e32 v161, v166, v161
	v_mad_i32_i24 v160, v169, v160, v176
	v_bfe_i32 v169, v164, 0, 8
	v_add_nc_u32_e32 v166, s16, v215
	s_delay_alu instid0(VALU_DEP_4) | instskip(NEXT) | instid1(VALU_DEP_1)
	v_mad_i32_i24 v159, v167, v159, v161
	v_add3_u32 v152, v152, v177, v159
	v_add3_u32 v159, v175, v178, v160
	v_perm_b32 v160, v5, v140, 0x6040503
	v_ashrrev_i32_e32 v175, 24, v1
	v_bfe_i32 v178, v1, 0, 8
	s_delay_alu instid0(VALU_DEP_4) | instskip(SKIP_2) | instid1(VALU_DEP_3)
	v_add3_u32 v35, v159, v152, v35
	v_perm_b32 v159, v141, v4, 0x6040503
	v_bfe_i32 v152, v5, 16, 8
	v_add3_u32 v35, v35, v132, v133
	v_lshrrev_b16 v133, 8, v164
	s_delay_alu instid0(VALU_DEP_4) | instskip(SKIP_2) | instid1(VALU_DEP_4)
	v_dot4_i32_iu8 v151, v160, v159, v151 neg_lo:[1,1,0]
	v_perm_b32 v159, v6, v141, 0x7060403
	v_perm_b32 v160, v134, v5, 0x7060403
	v_bfe_i32 v176, v133, 0, 8
	v_bfe_i32 v133, v130, 8, 8
	s_delay_alu instid0(VALU_DEP_3) | instskip(SKIP_2) | instid1(VALU_DEP_4)
	v_dot4_i32_iu8 v236, v160, v159, v151 neg_lo:[1,1,0]
	v_bfe_i32 v151, v153, 0, 8
	v_ashrrev_i32_e32 v153, 24, v131
	v_mul_i32_i24_e32 v133, v133, v143
	v_ashrrev_i32_e32 v143, 24, v130
	v_mul_i32_i24_e32 v132, v175, v28
	v_bfe_i32 v159, v131, 16, 8
	v_bfe_i32 v160, v131, 0, 8
	s_delay_alu instid0(VALU_DEP_4)
	v_mul_i32_i24_e32 v143, v143, v145
	v_ashrrev_i32_e32 v145, 24, v5
	v_mad_i32_i24 v234, v176, v142, v132
	v_bfe_i32 v142, v130, 0, 8
	v_mul_i32_i24_e32 v152, v159, v152
	v_bfe_i32 v159, v124, 16, 8
	v_mul_i32_i24_e32 v145, v153, v145
	;; [unrolled: 2-line block ×5, first 2 shown]
	v_bfe_i32 v160, v125, 8, 8
	v_mad_i32_i24 v31, v151, v31, v145
	v_mul_i32_i24_e32 v144, v144, v26
	v_ashrrev_i32_e32 v159, 24, v124
	v_mad_i32_i24 v132, v132, v25, v133
	v_mul_i32_i24_e32 v149, v160, v149
	v_add3_u32 v31, v158, v152, v31
	v_mad_i32_i24 v133, v153, v146, v147
	s_delay_alu instid0(VALU_DEP_3) | instskip(NEXT) | instid1(VALU_DEP_3)
	v_mad_i32_i24 v145, v159, v148, v149
	v_add3_u32 v31, v31, v142, v132
	s_delay_alu instid0(VALU_DEP_3) | instskip(SKIP_3) | instid1(VALU_DEP_2)
	v_add3_u32 v132, v144, v143, v133
	s_set_vgpr_msb 4                        ;  msbs: dst=0 src0=0 src1=1 src2=0
	v_dot4_i32_iu8 v148, v244, v37 /*v293*/, v154 neg_lo:[1,1,0]
	s_set_vgpr_msb 64                       ;  msbs: dst=1 src0=0 src1=0 src2=0
	v_add3_u32 v3 /*v259*/, v31, v132, v145
	s_set_vgpr_msb 0                        ;  msbs: dst=0 src0=0 src1=0 src2=0
	v_perm_b32 v31, v128, v126, 0x6050401
	v_perm_b32 v132, v8, v10, 0x6050401
	s_set_vgpr_msb 64                       ;  msbs: dst=1 src0=0 src1=0 src2=0
	s_delay_alu instid0(VALU_DEP_1) | instskip(SKIP_2) | instid1(VALU_DEP_1)
	v_dot4_i32_iu8 v22 /*v278*/, v31, v132, 0 neg_lo:[1,1,0]
	s_set_vgpr_msb 0                        ;  msbs: dst=0 src0=0 src1=0 src2=0
	v_or_b32_e32 v31, s12, v194
	v_dual_lshlrev_b32 v132, 2, v31 :: v_dual_lshrrev_b32 v133, 1, v31
	ds_load_b64 v[30:31], v30 offset:43584
	ds_load_b32 v142, v150
	s_wait_dscnt 0x0
	v_bfe_i32 v242, v142, 0, 8
	v_bfe_i32 v243, v142, 8, 8
	;; [unrolled: 1-line block ×3, first 2 shown]
	v_ashrrev_i32_e32 v241, 24, v142
	ds_load_2addr_b32 v[142:143], v166 offset0:6 offset1:7
	ds_load_2addr_b32 v[146:147], v166 offset0:4 offset1:5
	;; [unrolled: 1-line block ×3, first 2 shown]
	s_set_vgpr_msb 64                       ;  msbs: dst=1 src0=0 src1=0 src2=0
	ds_load_b128 v[6:9] /*v[262:265]*/, v132 offset:33280
	ds_load_b128 v[10:13] /*v[266:269]*/, v132 offset:33296
	s_set_vgpr_msb 0                        ;  msbs: dst=0 src0=0 src1=0 src2=0
	ds_load_b128 v[150:153], v132 offset:33312
	s_set_vgpr_msb 64                       ;  msbs: dst=1 src0=0 src1=0 src2=0
	ds_load_b128 v[14:17] /*v[270:273]*/, v132 offset:33328
	s_set_vgpr_msb 0                        ;  msbs: dst=0 src0=0 src1=0 src2=0
	ds_load_b64 v[132:133], v133 offset:43584
	s_set_vgpr_msb 64                       ;  msbs: dst=1 src0=0 src1=0 src2=0
	v_ashrrev_i32_e32 v20 /*v276*/, 24, v126
	v_mul_lo_u32 v41 /*v297*/, v148, v240
	s_wait_dscnt 0x4
	s_set_vgpr_msb 0x41                     ;  msbs: dst=1 src0=1 src1=0 src2=0
	v_bfe_i32 v30 /*v286*/, v6 /*v262*/, 0, 8
	s_wait_dscnt 0x3
	s_set_vgpr_msb 1                        ;  msbs: dst=0 src0=1 src1=0 src2=0
	v_perm_b32 v20, v10 /*v266*/, v134, 0x6050401
	v_perm_b32 v154, v11 /*v267*/, v140, 0x6040503
	s_wait_dscnt 0x1
	s_set_vgpr_msb 5                        ;  msbs: dst=0 src0=1 src1=1 src2=0
	v_perm_b32 v23, v14 /*v270*/, v16 /*v272*/, 0x6040501
	v_perm_b32 v22, v15 /*v271*/, v14 /*v270*/, 0x6040503
	s_set_vgpr_msb 0x45                     ;  msbs: dst=1 src0=1 src1=1 src2=0
	v_perm_b32 v38 /*v294*/, v17 /*v273*/, v17 /*v273*/, 0x7060001
	s_set_vgpr_msb 4                        ;  msbs: dst=0 src0=0 src1=1 src2=0
	v_bfe_i32 v251, v150, 8, 8
	v_bfe_i32 v252, v150, 0, 8
	v_dot4_i32_iu8 v23, v23, v1 /*v257*/, 0 neg_lo:[1,1,0]
	s_set_vgpr_msb 64                       ;  msbs: dst=1 src0=0 src1=0 src2=0
	v_perm_b32 v49 /*v305*/, v150, v152, 0x6040501
	s_set_vgpr_msb 0                        ;  msbs: dst=0 src0=0 src1=0 src2=0
	v_bfe_i32 v253, v151, 16, 8
	s_set_vgpr_msb 64                       ;  msbs: dst=1 src0=0 src1=0 src2=0
	v_bfe_i32 v4 /*v260*/, v150, 16, 8
	v_perm_b32 v51 /*v307*/, v151, v150, 0x6040503
	s_set_vgpr_msb 4                        ;  msbs: dst=0 src0=0 src1=1 src2=0
	v_dot4_i32_iu8 v21, v22, v2 /*v258*/, v23 neg_lo:[1,1,0]
	s_set_vgpr_msb 5                        ;  msbs: dst=0 src0=1 src1=1 src2=0
	v_perm_b32 v23, v16 /*v272*/, v15 /*v271*/, 0x7060403
	s_set_vgpr_msb 0x45                     ;  msbs: dst=1 src0=1 src1=1 src2=0
	v_dot4_i32_iu8 v48 /*v304*/, v49 /*v305*/, v48 /*v304*/, 0 neg_lo:[1,1,0]
	s_set_vgpr_msb 0                        ;  msbs: dst=0 src0=0 src1=0 src2=0
	v_mul_i32_i24_e32 v178, v253, v178
	v_bfe_i32 v253, v2, 0, 8
	s_set_vgpr_msb 64                       ;  msbs: dst=1 src0=0 src1=0 src2=0
	v_perm_b32 v58 /*v314*/, v153, v153, 0x7060001
	s_set_vgpr_msb 0                        ;  msbs: dst=0 src0=0 src1=0 src2=0
	v_dot4_i32_iu8 v21, v23, v255, v21 neg_lo:[1,1,0]
	s_set_vgpr_msb 64                       ;  msbs: dst=1 src0=0 src1=0 src2=0
	v_ashrrev_i32_e32 v53 /*v309*/, 24, v152
	v_bfe_i32 v54 /*v310*/, v152, 16, 8
	s_set_vgpr_msb 0                        ;  msbs: dst=0 src0=0 src1=0 src2=0
	v_mul_i32_i24_e32 v156, v253, v156
	s_set_vgpr_msb 64                       ;  msbs: dst=1 src0=0 src1=0 src2=0
	v_bfe_i32 v55 /*v311*/, v152, 0, 8
	s_set_vgpr_msb 4                        ;  msbs: dst=0 src0=0 src1=1 src2=0
	v_dot4_i32_iu8 v149, v245, v38 /*v294*/, v21 neg_lo:[1,1,0]
	v_perm_b32 v21, v140, v12 /*v268*/, 0x6050401
	s_set_vgpr_msb 64                       ;  msbs: dst=1 src0=0 src1=0 src2=0
	v_bfe_i32 v27 /*v283*/, v152, 8, 8
	s_set_vgpr_msb 0x41                     ;  msbs: dst=1 src0=1 src1=0 src2=0
	v_bfe_i32 v31 /*v287*/, v6 /*v262*/, 16, 8
	s_set_vgpr_msb 0x44                     ;  msbs: dst=1 src0=0 src1=1 src2=0
	v_lshrrev_b16 v26 /*v282*/, 8, v7 /*v263*/
	s_set_vgpr_msb 0x41                     ;  msbs: dst=1 src0=1 src1=0 src2=0
	v_bfe_i32 v29 /*v285*/, v6 /*v262*/, 8, 8
	s_set_vgpr_msb 0                        ;  msbs: dst=0 src0=0 src1=0 src2=0
	v_dot4_i32_iu8 v20, v21, v20, 0 neg_lo:[1,1,0]
	s_set_vgpr_msb 4                        ;  msbs: dst=0 src0=0 src1=1 src2=0
	v_perm_b32 v21, v141, v10 /*v266*/, 0x6040503
	s_set_vgpr_msb 0x41                     ;  msbs: dst=1 src0=1 src1=0 src2=0
	v_bfe_i32 v34 /*v290*/, v8 /*v264*/, 16, 8
	v_bfe_i32 v28 /*v284*/, v8 /*v264*/, 8, 8
	s_set_vgpr_msb 0x44                     ;  msbs: dst=1 src0=0 src1=1 src2=0
	v_dual_ashrrev_i32 v32 /*v288*/, 24, v6 /*v262*/ :: v_dual_ashrrev_i32 v35 /*v291*/, 24, v8 /*v264*/
	s_set_vgpr_msb 0                        ;  msbs: dst=0 src0=0 src1=0 src2=0
	v_dot4_i32_iu8 v20, v154, v21, v20 neg_lo:[1,1,0]
	s_set_vgpr_msb 5                        ;  msbs: dst=0 src0=1 src1=1 src2=0
	v_perm_b32 v21, v12 /*v268*/, v11 /*v267*/, 0x7060403
	s_set_vgpr_msb 0x41                     ;  msbs: dst=1 src0=1 src1=0 src2=0
	v_bfe_i32 v33 /*v289*/, v8 /*v264*/, 0, 8
	v_bfe_i32 v36 /*v292*/, v9 /*v265*/, 8, 8
	s_set_vgpr_msb 0                        ;  msbs: dst=0 src0=0 src1=0 src2=0
	v_ashrrev_i32_e32 v254, 24, v150
	s_set_vgpr_msb 21                       ;  msbs: dst=0 src0=1 src1=1 src2=1
	v_dot4_i32_iu8 v150, v51 /*v307*/, v50 /*v306*/, v48 /*v304*/ neg_lo:[1,1,0]
	s_set_vgpr_msb 0                        ;  msbs: dst=0 src0=0 src1=0 src2=0
	v_dot4_i32_iu8 v20, v21, v247, v20 neg_lo:[1,1,0]
	v_dot4_i32_iu8 v21, v137, v11, v155 neg_lo:[1,1,0]
	s_set_vgpr_msb 64                       ;  msbs: dst=1 src0=0 src1=0 src2=0
	v_bfe_i32 v50 /*v306*/, v1, 16, 8
	s_set_vgpr_msb 0                        ;  msbs: dst=0 src0=0 src1=0 src2=0
	v_mul_i32_i24_e32 v165, v254, v165
	v_perm_b32 v254, v1, v0, 0x6050402
	s_set_vgpr_msb 4                        ;  msbs: dst=0 src0=0 src1=1 src2=0
	v_dot4_i32_iu8 v20, v135, v13 /*v269*/, v20 neg_lo:[1,1,0]
	s_set_vgpr_msb 64                       ;  msbs: dst=1 src0=0 src1=0 src2=0
	v_mul_lo_u32 v39 /*v295*/, v21, v242
	s_set_vgpr_msb 4                        ;  msbs: dst=0 src0=0 src1=1 src2=0
	v_perm_b32 v21, v138, v8 /*v264*/, 0x6050401
	s_set_vgpr_msb 0                        ;  msbs: dst=0 src0=0 src1=0 src2=0
	v_perm_b32 v1, v173, v173, 0x706000c
	v_mul_lo_u32 v171, v20, v243
	s_set_vgpr_msb 1                        ;  msbs: dst=0 src0=1 src1=0 src2=0
	v_perm_b32 v20, v6 /*v262*/, v136, 0x6050401
	s_set_vgpr_msb 64                       ;  msbs: dst=1 src0=0 src1=0 src2=0
	s_delay_alu instid0(VALU_DEP_1)
	v_dot4_i32_iu8 v40 /*v296*/, v21, v20, 0 neg_lo:[1,1,0]
	s_wait_dscnt 0x0
	s_set_vgpr_msb 0                        ;  msbs: dst=0 src0=0 src1=0 src2=0
	v_mov_b32_e32 v20, v132
	v_mul_lo_u32 v132, v149, v241
	ds_load_2addr_b32 v[148:149], v166 offset1:1
	ds_load_2addr_b32 v[158:159], v166 offset0:13 offset1:14
	ds_load_2addr_b32 v[160:161], v166 offset0:11 offset1:12
	v_dual_mov_b32 v21, v30 :: v_dual_mov_b32 v30, v133
	ds_load_2addr_b32 v[154:155], v166 offset0:8 offset1:15
	s_wait_dscnt 0x2
	v_bfe_i32 v133, v159, 8, 8
	s_wait_dscnt 0x1
	v_perm_b32 v177, v161, v161, 0xc0c0001
	v_bfe_i32 v167, v161, 16, 8
	s_wait_dscnt 0x0
	v_perm_b32 v249, v154, v154, 0xc0c0001
	v_mul_i32_i24_e32 v133, v133, v29
	s_set_vgpr_msb 1                        ;  msbs: dst=0 src0=1 src1=0 src2=0
	s_delay_alu instid0(VALU_DEP_1) | instskip(SKIP_2) | instid1(VALU_DEP_2)
	v_dot4_i32_iu8 v133, v42 /*v298*/, v177, v133 neg_lo:[1,1,0]
	s_set_vgpr_msb 0                        ;  msbs: dst=0 src0=0 src1=0 src2=0
	v_perm_b32 v177, v158, v12, 0x6040503
	v_mad_i32_i24 v133, v168, v167, v133
	v_perm_b32 v167, v13, v161, 0x6040503
	s_delay_alu instid0(VALU_DEP_1) | instskip(SKIP_2) | instid1(VALU_DEP_1)
	v_dot4_i32_iu8 v133, v177, v167, v133 neg_lo:[1,1,0]
	v_perm_b32 v167, v158, v158, 0xc0c0c03
	v_perm_b32 v177, v159, v159, 0x706000c
	v_or_b32_e32 v177, v177, v167
	ds_load_2addr_b32 v[166:167], v166 offset0:9 offset1:10
	s_set_vgpr_msb 0x41                     ;  msbs: dst=1 src0=1 src1=0 src2=0
	v_dot4_i32_iu8 v43 /*v299*/, v0 /*v256*/, v177, v133 neg_lo:[1,1,0]
	s_wait_dscnt 0x0
	s_set_vgpr_msb 0                        ;  msbs: dst=0 src0=0 src1=0 src2=0
	v_bfe_i32 v133, v167, 8, 8
	v_bfe_i32 v248, v166, 16, 8
	s_delay_alu instid0(VALU_DEP_2) | instskip(NEXT) | instid1(VALU_DEP_1)
	v_mul_i32_i24_e32 v133, v133, v28
	v_dot4_i32_iu8 v133, v179, v249, v133 neg_lo:[1,1,0]
	v_perm_b32 v249, v154, v154, 0xc0c0302
	s_delay_alu instid0(VALU_DEP_1) | instskip(SKIP_1) | instid1(VALU_DEP_1)
	v_dot4_i32_iu8 v133, v227, v249, v133 neg_lo:[1,1,0]
	v_perm_b32 v249, v166, v166, 0xc0c0001
	v_dot4_i32_iu8 v133, v228, v249, v133 neg_lo:[1,1,0]
	v_perm_b32 v249, v146, v146, 0xc0c0100
	s_delay_alu instid0(VALU_DEP_2) | instskip(SKIP_1) | instid1(VALU_DEP_1)
	v_mad_i32_i24 v133, v248, v27, v133
	v_perm_b32 v248, v167, v166, 0xc0c0403
	v_dot4_i32_iu8 v133, v229, v248, v133 neg_lo:[1,1,0]
	v_perm_b32 v248, v167, v167, 0xc0c0302
	s_set_vgpr_msb 64                       ;  msbs: dst=1 src0=0 src1=0 src2=0
	s_delay_alu instid0(VALU_DEP_1) | instskip(SKIP_3) | instid1(VALU_DEP_2)
	v_dot4_i32_iu8 v44 /*v300*/, v230, v248, v133 neg_lo:[1,1,0]
	s_set_vgpr_msb 0                        ;  msbs: dst=0 src0=0 src1=0 src2=0
	v_bfe_i32 v133, v142, 8, 8
	v_bfe_i32 v248, v146, 16, 8
	v_mul_i32_i24_e32 v133, v133, v25
	s_delay_alu instid0(VALU_DEP_1) | instskip(SKIP_1) | instid1(VALU_DEP_2)
	v_dot4_i32_iu8 v133, v231, v249, v133 neg_lo:[1,1,0]
	v_perm_b32 v249, v5, v146, 0x6040503
	v_mad_i32_i24 v133, v248, v26, v133
	v_perm_b32 v248, v147, v4, 0x6040503
	s_delay_alu instid0(VALU_DEP_1) | instskip(SKIP_3) | instid1(VALU_DEP_1)
	v_dot4_i32_iu8 v133, v249, v248, v133 neg_lo:[1,1,0]
	v_perm_b32 v248, v6, v147, 0x7060403
	v_perm_b32 v249, v142, v5, 0x7060403
	s_set_vgpr_msb 64                       ;  msbs: dst=1 src0=0 src1=0 src2=0
	v_dot4_i32_iu8 v45 /*v301*/, v249, v248, v133 neg_lo:[1,1,0]
	s_set_vgpr_msb 0                        ;  msbs: dst=0 src0=0 src1=0 src2=0
	v_bfe_i32 v133, v144, 8, 8
	v_perm_b32 v248, v149, v149, 0xc0c0001
	s_set_vgpr_msb 5                        ;  msbs: dst=0 src0=1 src1=1 src2=0
	v_perm_b32 v249, v16 /*v272*/, v16 /*v272*/, 0xc0c0c01
	s_set_vgpr_msb 0                        ;  msbs: dst=0 src0=0 src1=0 src2=0
	v_mul_i32_i24_e32 v133, v133, v24
	s_delay_alu instid0(VALU_DEP_1) | instskip(NEXT) | instid1(VALU_DEP_1)
	v_dot4_i32_iu8 v133, v148, v8, v133 neg_lo:[1,1,0]
	v_dot4_i32_iu8 v133, v232, v248, v133 neg_lo:[1,1,0]
	v_perm_b32 v248, v149, v149, 0xc0c0302
	s_delay_alu instid0(VALU_DEP_1) | instskip(SKIP_2) | instid1(VALU_DEP_1)
	v_dot4_i32_iu8 v133, v233, v248, v133 neg_lo:[1,1,0]
	v_perm_b32 v248, v144, v144, 0xc030200
	s_set_vgpr_msb 64                       ;  msbs: dst=1 src0=0 src1=0 src2=0
	v_dot4_i32_iu8 v46 /*v302*/, v248, v246, v133 neg_lo:[1,1,0]
	s_set_vgpr_msb 0                        ;  msbs: dst=0 src0=0 src1=0 src2=0
	v_perm_b32 v248, v32, v3, 0x402030c
	s_set_vgpr_msb 1                        ;  msbs: dst=0 src0=1 src1=0 src2=0
	v_perm_b32 v133, v14 /*v270*/, v33, 0x6040503
	s_set_vgpr_msb 0                        ;  msbs: dst=0 src0=0 src1=0 src2=0
	s_delay_alu instid0(VALU_DEP_2) | instskip(NEXT) | instid1(VALU_DEP_1)
	v_or_b32_e32 v249, v248, v249
	v_dot4_i32_iu8 v133, v249, v133, 0 neg_lo:[1,1,0]
	v_perm_b32 v249, v33, v32, 0x4020301
	v_mul_i32_i24_e32 v32, v251, v176
	v_perm_b32 v251, v0, v164, 0x7050400
	v_bfe_i32 v164, v151, 8, 8
	s_delay_alu instid0(VALU_DEP_4)
	v_dot4_i32_iu8 v22, v22, v249, v133 neg_lo:[1,1,0]
	v_mul_i32_i24_e32 v133, v252, v169
	v_bfe_i32 v252, v0, 0, 8
	v_ashrrev_i32_e32 v169, 24, v0
	v_dot4_i32_iu8 v16, v251, v16, v234 neg_lo:[1,1,0]
	v_perm_b32 v0, v18, v17, 0x4030200
	v_bfe_i32 v234, v151, 0, 8
	s_set_vgpr_msb 0x41                     ;  msbs: dst=1 src0=1 src1=0 src2=0
	v_mul_i32_i24_e32 v48 /*v304*/, v4 /*v260*/, v252
	s_set_vgpr_msb 0                        ;  msbs: dst=0 src0=0 src1=0 src2=0
	v_bfe_i32 v252, v2, 8, 8
	s_set_vgpr_msb 1                        ;  msbs: dst=0 src0=1 src1=0 src2=0
	v_mul_i32_i24_e32 v17, v54 /*v310*/, v253
	s_set_vgpr_msb 0                        ;  msbs: dst=0 src0=0 src1=0 src2=0
	v_dot4_i32_iu8 v0, v254, v0, v16 neg_lo:[1,1,0]
	s_set_vgpr_msb 5                        ;  msbs: dst=0 src0=1 src1=1 src2=0
	v_mul_i32_i24_e32 v16, v55 /*v311*/, v50 /*v306*/
	s_set_vgpr_msb 0                        ;  msbs: dst=0 src0=0 src1=0 src2=0
	v_dot4_i32_iu8 v22, v250, v23, v22 neg_lo:[1,1,0]
	v_mul_i32_i24_e32 v157, v252, v157
	s_set_vgpr_msb 4                        ;  msbs: dst=0 src0=0 src1=1 src2=0
	v_mad_i32_i24 v17, v234, v47 /*v303*/, v17
	s_set_vgpr_msb 0                        ;  msbs: dst=0 src0=0 src1=0 src2=0
	v_perm_b32 v234, v131, v130, 0x6040503
	v_add3_u32 v18, v0, v156, v157
	v_perm_b32 v0, v172, v172, 0xc0c0c03
	s_set_vgpr_msb 64                       ;  msbs: dst=1 src0=0 src1=0 src2=0
	v_ashrrev_i32_e32 v56 /*v312*/, 24, v151
	s_set_vgpr_msb 0                        ;  msbs: dst=0 src0=0 src1=0 src2=0
	v_ashrrev_i32_e32 v157, 24, v129
	v_bfe_i32 v156, v163, 0, 8
	v_bfe_i32 v163, v129, 16, 8
	s_set_vgpr_msb 64                       ;  msbs: dst=1 src0=0 src1=0 src2=0
	v_or_b32_e32 v4 /*v260*/, v1, v0
	s_set_vgpr_msb 0                        ;  msbs: dst=0 src0=0 src1=0 src2=0
	v_perm_b32 v0, v151, v151, 0xc0c0c03
	v_perm_b32 v1, v152, v152, 0x706000c
	s_set_vgpr_msb 5                        ;  msbs: dst=0 src0=1 src1=1 src2=0
	v_mul_i32_i24_e32 v151, v5 /*v261*/, v31 /*v287*/
	s_set_vgpr_msb 0x45                     ;  msbs: dst=1 src0=1 src1=1 src2=0
	v_perm_b32 v5 /*v261*/, v8 /*v264*/, v7 /*v263*/, 0x7060403
	s_set_vgpr_msb 4                        ;  msbs: dst=0 src0=0 src1=1 src2=0
	v_mul_i32_i24_e32 v152, v239, v32 /*v288*/
	s_set_vgpr_msb 64                       ;  msbs: dst=1 src0=0 src1=0 src2=0
	v_or_b32_e32 v57 /*v313*/, v1, v0
	s_set_vgpr_msb 1                        ;  msbs: dst=0 src0=1 src1=0 src2=0
	v_dot4_i32_iu8 v1, v59 /*v315*/, v245, v14 neg_lo:[1,1,0]
	s_set_vgpr_msb 5                        ;  msbs: dst=0 src0=1 src1=1 src2=0
	v_mul_i32_i24_e32 v14, v56 /*v312*/, v52 /*v308*/
	v_dot4_i32_iu8 v0, v57 /*v313*/, v4 /*v260*/, v150 neg_lo:[1,1,0]
	s_set_vgpr_msb 4                        ;  msbs: dst=0 src0=0 src1=1 src2=0
	v_mul_i32_i24_e32 v150, v235, v30 /*v286*/
	s_set_vgpr_msb 1                        ;  msbs: dst=0 src0=1 src1=0 src2=0
	v_add3_u32 v14, v48 /*v304*/, v14, v17
	s_set_vgpr_msb 4                        ;  msbs: dst=0 src0=0 src1=1 src2=0
	v_perm_b32 v17, v130, v12 /*v268*/, 0x6050401
	s_set_vgpr_msb 0                        ;  msbs: dst=0 src0=0 src1=0 src2=0
	v_perm_b32 v235, v129, v128, 0x6040503
	s_set_vgpr_msb 1                        ;  msbs: dst=0 src0=1 src1=0 src2=0
	v_dot4_i32_iu8 v0, v58 /*v314*/, v244, v0 neg_lo:[1,1,0]
	s_set_vgpr_msb 16                       ;  msbs: dst=0 src0=0 src1=0 src2=1
	v_mad_u32 v1, v1, v241, v41 /*v297*/
	s_set_vgpr_msb 0                        ;  msbs: dst=0 src0=0 src1=0 src2=0
	s_delay_alu instid0(VALU_DEP_2) | instskip(SKIP_3) | instid1(VALU_DEP_1)
	v_mad_u32 v0, v0, v240, v132
	s_set_vgpr_msb 1                        ;  msbs: dst=0 src0=1 src1=0 src2=0
	v_mul_i32_i24_e32 v132, v53 /*v309*/, v252
	s_set_vgpr_msb 0                        ;  msbs: dst=0 src0=0 src1=0 src2=0
	v_mad_i32_i24 v132, v164, v169, v132
	s_delay_alu instid0(VALU_DEP_4)
	v_cvt_f32_i32_e32 v1, v1
	v_bfe_i32 v164, v129, 0, 8
	s_set_vgpr_msb 1                        ;  msbs: dst=0 src0=1 src1=0 src2=0
	v_bfe_i32 v169, v7 /*v263*/, 16, 8
	s_set_vgpr_msb 0                        ;  msbs: dst=0 src0=0 src1=0 src2=0
	v_add3_u32 v16, v165, v16, v132
	s_set_vgpr_msb 1                        ;  msbs: dst=0 src0=1 src1=0 src2=0
	v_perm_b32 v132, v12 /*v268*/, v131, 0x7060403
	s_set_vgpr_msb 4                        ;  msbs: dst=0 src0=0 src1=1 src2=0
	v_cvt_f32_i32_e32 v0, v0
	v_ashrrev_i32_e32 v165, 24, v7 /*v263*/
	s_set_vgpr_msb 0                        ;  msbs: dst=0 src0=0 src1=0 src2=0
	v_add3_u32 v14, v14, v16, v32
	s_set_vgpr_msb 1                        ;  msbs: dst=0 src0=1 src1=0 src2=0
	v_mad_i32_i24 v16, v27 /*v283*/, v175, v133
	s_set_vgpr_msb 5                        ;  msbs: dst=0 src0=1 src1=1 src2=0
	v_perm_b32 v32, v11 /*v267*/, v10 /*v266*/, 0x6040503
	s_set_vgpr_msb 4                        ;  msbs: dst=0 src0=0 src1=1 src2=0
	v_mul_i32_i24_e32 v133, v238, v29 /*v285*/
	s_set_vgpr_msb 0                        ;  msbs: dst=0 src0=0 src1=0 src2=0
	v_add3_u32 v14, v14, v16, v178
	s_set_vgpr_msb 1                        ;  msbs: dst=0 src0=1 src1=0 src2=0
	v_perm_b32 v16, v10 /*v266*/, v124, 0x6050401
	v_bfe_i32 v178, v7 /*v263*/, 0, 8
	s_set_vgpr_msb 0                        ;  msbs: dst=0 src0=0 src1=0 src2=0
	s_delay_alu instid0(VALU_DEP_2) | instskip(SKIP_3) | instid1(VALU_DEP_2)
	v_dot4_i32_iu8 v16, v17, v16, 0 neg_lo:[1,1,0]
	s_set_vgpr_msb 4                        ;  msbs: dst=0 src0=0 src1=1 src2=0
	v_perm_b32 v17, v124, v11 /*v267*/, 0x7060403
	s_set_vgpr_msb 0                        ;  msbs: dst=0 src0=0 src1=0 src2=0
	v_dot4_i32_iu8 v16, v234, v32, v16 neg_lo:[1,1,0]
	s_delay_alu instid0(VALU_DEP_1)
	v_dot4_i32_iu8 v132, v132, v17, v16 neg_lo:[1,1,0]
	v_perm_b32 v16, v9, v8, 0x6040503
	v_perm_b32 v17, v126, v129, 0x7060403
	v_perm_b32 v9, v10, v9, 0x7060403
	s_set_vgpr_msb 1                        ;  msbs: dst=0 src0=1 src1=0 src2=0
	v_bfe_i32 v10, v26 /*v282*/, 0, 8
	s_set_vgpr_msb 16                       ;  msbs: dst=0 src0=0 src1=0 src2=1
	v_dot4_i32_iu8 v16, v235, v16, v22 /*v278*/ neg_lo:[1,1,0]
	s_set_vgpr_msb 0                        ;  msbs: dst=0 src0=0 src1=0 src2=0
	s_delay_alu instid0(VALU_DEP_1)
	v_dot4_i32_iu8 v9, v17, v9, v16 neg_lo:[1,1,0]
	s_set_vgpr_msb 4                        ;  msbs: dst=0 src0=0 src1=1 src2=0
	v_perm_b32 v16, v139, v6 /*v262*/, 0x6040503
	s_set_vgpr_msb 1                        ;  msbs: dst=0 src0=1 src1=0 src2=0
	v_perm_b32 v17, v7 /*v263*/, v138, 0x6040503
	s_set_vgpr_msb 0                        ;  msbs: dst=0 src0=0 src1=0 src2=0
	v_dot4_i32_iu8 v9, v127, v11, v9 neg_lo:[1,1,0]
	s_set_vgpr_msb 16                       ;  msbs: dst=0 src0=0 src1=0 src2=1
	s_delay_alu instid0(VALU_DEP_2) | instskip(SKIP_2) | instid1(VALU_DEP_1)
	v_dot4_i32_iu8 v16, v17, v16, v40 /*v296*/ neg_lo:[1,1,0]
	v_perm_b32 v17, v136, v139, 0x7060403
	s_set_vgpr_msb 1                        ;  msbs: dst=0 src0=1 src1=0 src2=0
	v_dot4_i32_iu8 v16, v5 /*v261*/, v17, v16 neg_lo:[1,1,0]
	s_set_vgpr_msb 0                        ;  msbs: dst=0 src0=0 src1=0 src2=0
	v_dot4_i32_iu8 v17, v7, v135, v236 neg_lo:[1,1,0]
	s_set_vgpr_msb 1                        ;  msbs: dst=0 src0=1 src1=0 src2=0
	s_delay_alu instid0(VALU_DEP_2) | instskip(SKIP_1) | instid1(VALU_DEP_2)
	v_dot4_i32_iu8 v16, v9 /*v265*/, v137, v16 neg_lo:[1,1,0]
	s_set_vgpr_msb 16                       ;  msbs: dst=0 src0=0 src1=0 src2=1
	v_mad_u32 v17, v17, v243, v39 /*v295*/
	s_set_vgpr_msb 0                        ;  msbs: dst=0 src0=0 src1=0 src2=0
	s_delay_alu instid0(VALU_DEP_2) | instskip(NEXT) | instid1(VALU_DEP_2)
	v_mad_u32 v16, v16, v242, v171
	v_cvt_f32_i32_e32 v17, v17
	s_delay_alu instid0(VALU_DEP_2) | instskip(NEXT) | instid1(VALU_DEP_1)
	v_cvt_f32_i32_e32 v16, v16
	v_pk_fma_f32 v[16:17], v[20:21], v[16:17], 0 op_sel_hi:[1,1,0]
	s_delay_alu instid0(VALU_DEP_1)
	v_pk_fma_f32 v[0:1], v[30:31], v[0:1], v[16:17]
	v_mul_i32_i24_e32 v16, v165, v157
	s_set_vgpr_msb 5                        ;  msbs: dst=0 src0=1 src1=1 src2=0
	v_mul_i32_i24_e32 v17, v34 /*v290*/, v19 /*v275*/
	v_mul_i32_i24_e32 v157, v36 /*v292*/, v21 /*v277*/
	s_set_vgpr_msb 0                        ;  msbs: dst=0 src0=0 src1=0 src2=0
	v_pk_fma_f32 v[74:75], v[116:117], v[0:1], v[74:75]
	v_mul_i32_i24_e32 v0, v178, v164
	v_mul_i32_i24_e32 v1, v169, v163
	v_mad_i32_i24 v10, v10, v156, v16
	s_set_vgpr_msb 5                        ;  msbs: dst=0 src0=1 src1=1 src2=0
	v_mad_i32_i24 v16, v35 /*v291*/, v20 /*v276*/, v157
	s_set_vgpr_msb 0                        ;  msbs: dst=0 src0=0 src1=0 src2=0
	s_delay_alu instid0(VALU_DEP_2)
	v_add3_u32 v0, v0, v1, v10
	s_set_vgpr_msb 1                        ;  msbs: dst=0 src0=1 src1=0 src2=0
	v_mad_i32_i24 v1, v28 /*v284*/, v237, v133
	s_set_vgpr_msb 5                        ;  msbs: dst=0 src0=1 src1=1 src2=0
	v_mad_i32_i24 v10, v33 /*v289*/, v18 /*v274*/, v17
	s_set_vgpr_msb 0                        ;  msbs: dst=0 src0=0 src1=0 src2=0
	v_perm_b32 v17, v3, v153, 0x5040001
	v_add3_u32 v0, v0, v150, v1
	s_delay_alu instid0(VALU_DEP_3) | instskip(SKIP_1) | instid1(VALU_DEP_2)
	v_add3_u32 v1, v151, v152, v10
	v_perm_b32 v10, v3, v19, 0x5040001
	v_add3_u32 v0, v0, v1, v16
	ds_load_b32 v1, v162
	s_set_vgpr_msb 4                        ;  msbs: dst=0 src0=0 src1=1 src2=0
	v_perm_b32 v16, v174, v17 /*v273*/, 0x5040001
	s_wait_dscnt 0x0
	v_bfe_i32 v238, v1, 8, 8
	v_bfe_i32 v239, v1, 0, 8
	s_set_vgpr_msb 0                        ;  msbs: dst=0 src0=0 src1=0 src2=0
	v_ashrrev_i32_e32 v236, 24, v1
	v_bfe_i32 v237, v1, 16, 8
	v_perm_b32 v1, v19, v2, 0x7060203
	s_set_vgpr_msb 5                        ;  msbs: dst=0 src0=1 src1=1 src2=0
	v_perm_b32 v19, v9 /*v265*/, v9 /*v265*/, 0xc030200
	s_set_vgpr_msb 0                        ;  msbs: dst=0 src0=0 src1=0 src2=0
	v_mul_lo_u32 v9, v9, v239
	v_dot4_i32_iu8 v10, v10, v1, v18 neg_lo:[1,1,0]
	s_set_vgpr_msb 1                        ;  msbs: dst=0 src0=1 src1=0 src2=0
	v_perm_b32 v1, v17 /*v273*/, v34, 0x7060203
	s_set_vgpr_msb 0                        ;  msbs: dst=0 src0=0 src1=0 src2=0
	v_perm_b32 v18, v7, v7, 0xc030200
	s_delay_alu instid0(VALU_DEP_2) | instskip(SKIP_1) | instid1(VALU_DEP_1)
	v_dot4_i32_iu8 v16, v16, v1, v22 neg_lo:[1,1,0]
	v_perm_b32 v1, v153, v2, 0x7060203
	v_dot4_i32_iu8 v14, v17, v1, v14 neg_lo:[1,1,0]
	v_perm_b32 v1, v15, v34, 0x7060203
	v_perm_b32 v15, v174, v15, 0x5040001
	;; [unrolled: 1-line block ×3, first 2 shown]
	s_delay_alu instid0(VALU_DEP_2)
	v_dot4_i32_iu8 v15, v15, v1, v35 neg_lo:[1,1,0]
	s_set_vgpr_msb 4                        ;  msbs: dst=0 src0=0 src1=1 src2=0
	v_dot4_i32_iu8 v1, v125, v13 /*v269*/, v132 neg_lo:[1,1,0]
	s_set_vgpr_msb 16                       ;  msbs: dst=0 src0=0 src1=0 src2=1
	v_dot4_i32_iu8 v17, v18, v17, v3 /*v259*/ neg_lo:[1,1,0]
	v_perm_b32 v18, v127, v127, 0xc030200
	s_set_vgpr_msb 64                       ;  msbs: dst=1 src0=0 src1=0 src2=0
	v_perm_b32 v3 /*v259*/, v149, v148, 0x6040503
	s_set_vgpr_msb 0                        ;  msbs: dst=0 src0=0 src1=0 src2=0
	v_mul_lo_u32 v1, v1, v238
	v_dot4_i32_iu8 v0, v19, v18, v0 neg_lo:[1,1,0]
	s_delay_alu instid0(VALU_DEP_1) | instskip(SKIP_3) | instid1(VALU_DEP_4)
	v_mad_u32 v0, v0, v239, v1
	v_mad_u32 v1, v17, v238, v9
	v_mul_lo_u32 v9, v10, v237
	v_mul_lo_u32 v10, v16, v236
	v_cvt_f32_i32_e32 v0, v0
	s_delay_alu instid0(VALU_DEP_4) | instskip(NEXT) | instid1(VALU_DEP_4)
	v_cvt_f32_i32_e32 v1, v1
	v_mad_u32 v9, v15, v236, v9
	s_delay_alu instid0(VALU_DEP_4) | instskip(NEXT) | instid1(VALU_DEP_3)
	v_mad_u32 v10, v14, v237, v10
	v_pk_fma_f32 v[0:1], v[20:21], v[0:1], 0 op_sel_hi:[1,1,0]
	s_delay_alu instid0(VALU_DEP_3) | instskip(NEXT) | instid1(VALU_DEP_3)
	v_cvt_f32_i32_e32 v15, v9
	v_cvt_f32_i32_e32 v14, v10
	s_delay_alu instid0(VALU_DEP_1)
	v_pk_fma_f32 v[14:15], v[30:31], v[14:15], v[0:1]
	s_set_vgpr_msb 1                        ;  msbs: dst=0 src0=1 src1=0 src2=0
	ds_load_2addr_b32 v[132:133], v25 /*v281*/ offset0:6 offset1:7
	ds_load_2addr_b32 v[152:153], v25 /*v281*/ offset0:4 offset1:5
	;; [unrolled: 1-line block ×3, first 2 shown]
	ds_load_2addr_b32 v[150:151], v25 /*v281*/ offset1:1
	ds_load_2addr_b32 v[162:163], v25 /*v281*/ offset0:13 offset1:14
	ds_load_2addr_b32 v[164:165], v25 /*v281*/ offset0:11 offset1:12
	;; [unrolled: 1-line block ×3, first 2 shown]
	s_set_vgpr_msb 0                        ;  msbs: dst=0 src0=0 src1=0 src2=0
	v_pk_fma_f32 v[70:71], v[118:119], v[14:15], v[70:71]
	s_set_vgpr_msb 1                        ;  msbs: dst=0 src0=1 src1=0 src2=0
	v_perm_b32 v14, v12 /*v268*/, v147, 0x7060403
	v_perm_b32 v15, v7 /*v263*/, v148, 0x6040503
	s_wait_dscnt 0x5
	s_set_vgpr_msb 0                        ;  msbs: dst=0 src0=0 src1=0 src2=0
	v_perm_b32 v4, v153, v4, 0x6040503
	v_perm_b32 v6, v6, v153, 0x7060403
	;; [unrolled: 1-line block ×3, first 2 shown]
	s_wait_dscnt 0x2
	v_bfe_i32 v9, v163, 8, 8
	s_wait_dscnt 0x1
	v_perm_b32 v16, v165, v165, 0xc0c0001
	v_bfe_i32 v10, v165, 16, 8
	v_perm_b32 v12, v162, v12, 0x6040503
	v_perm_b32 v164, v164, v164, 0x3020001
	v_mul_i32_i24_e32 v9, v9, v29
	s_wait_dscnt 0x0
	v_perm_b32 v157, v157, v157, 0x3020001
	s_set_vgpr_msb 1                        ;  msbs: dst=0 src0=1 src1=0 src2=0
	s_delay_alu instid0(VALU_DEP_2) | instskip(SKIP_2) | instid1(VALU_DEP_2)
	v_dot4_i32_iu8 v9, v42 /*v298*/, v16, v9 neg_lo:[1,1,0]
	s_set_vgpr_msb 0                        ;  msbs: dst=0 src0=0 src1=0 src2=0
	v_perm_b32 v16, v152, v152, 0xc0c0100
	v_mad_i32_i24 v9, v168, v10, v9
	s_set_vgpr_msb 1                        ;  msbs: dst=0 src0=1 src1=0 src2=0
	ds_load_2addr_b32 v[168:169], v25 /*v281*/ offset0:9 offset1:10
	s_set_vgpr_msb 0                        ;  msbs: dst=0 src0=0 src1=0 src2=0
	v_perm_b32 v10, v13, v165, 0x6040503
	v_perm_b32 v13, v156, v156, 0xc0c0001
	s_delay_alu instid0(VALU_DEP_2) | instskip(SKIP_2) | instid1(VALU_DEP_1)
	v_dot4_i32_iu8 v9, v12, v10, v9 neg_lo:[1,1,0]
	v_perm_b32 v10, v162, v162, 0xc0c0c03
	v_perm_b32 v12, v163, v163, 0x706000c
	v_or_b32_e32 v178, v12, v10
	s_set_vgpr_msb 1                        ;  msbs: dst=0 src0=1 src1=0 src2=0
	s_delay_alu instid0(VALU_DEP_1)
	v_dot4_i32_iu8 v10, v0 /*v256*/, v178, v9 neg_lo:[1,1,0]
	s_set_vgpr_msb 64                       ;  msbs: dst=1 src0=0 src1=0 src2=0
	v_perm_b32 v0 /*v256*/, v151, v150, 0x6040503
	s_wait_dscnt 0x0
	s_set_vgpr_msb 4                        ;  msbs: dst=0 src0=0 src1=1 src2=0
	v_bfe_i32 v9, v169, 8, 8
	v_bfe_i32 v12, v168, 16, 8
	v_dot4_i32_iu8 v10, v157, v59 /*v315*/, v10 neg_lo:[1,1,0]
	s_set_vgpr_msb 0                        ;  msbs: dst=0 src0=0 src1=0 src2=0
	s_delay_alu instid0(VALU_DEP_3) | instskip(NEXT) | instid1(VALU_DEP_1)
	v_mul_i32_i24_e32 v9, v9, v28
	v_dot4_i32_iu8 v9, v179, v13, v9 neg_lo:[1,1,0]
	v_perm_b32 v13, v156, v156, 0xc0c0302
	s_delay_alu instid0(VALU_DEP_1) | instskip(SKIP_1) | instid1(VALU_DEP_1)
	v_dot4_i32_iu8 v9, v227, v13, v9 neg_lo:[1,1,0]
	v_perm_b32 v13, v168, v168, 0xc0c0001
	v_dot4_i32_iu8 v9, v228, v13, v9 neg_lo:[1,1,0]
	v_bfe_i32 v13, v152, 16, 8
	s_delay_alu instid0(VALU_DEP_2) | instskip(SKIP_1) | instid1(VALU_DEP_1)
	v_mad_i32_i24 v9, v12, v27, v9
	v_perm_b32 v12, v169, v168, 0xc0c0403
	v_dot4_i32_iu8 v9, v229, v12, v9 neg_lo:[1,1,0]
	v_perm_b32 v12, v169, v169, 0xc0c0302
	s_delay_alu instid0(VALU_DEP_1) | instskip(SKIP_3) | instid1(VALU_DEP_3)
	v_dot4_i32_iu8 v12, v230, v12, v9 neg_lo:[1,1,0]
	v_bfe_i32 v9, v132, 8, 8
	v_perm_b32 v230, v160, v160, 0x3020001
	s_set_vgpr_msb 4                        ;  msbs: dst=0 src0=0 src1=1 src2=0
	v_dot4_i32_iu8 v12, v164, v37 /*v293*/, v12 neg_lo:[1,1,0]
	s_set_vgpr_msb 0                        ;  msbs: dst=0 src0=0 src1=0 src2=0
	v_mul_i32_i24_e32 v9, v9, v25
	s_delay_alu instid0(VALU_DEP_1) | instskip(SKIP_1) | instid1(VALU_DEP_2)
	v_dot4_i32_iu8 v9, v231, v16, v9 neg_lo:[1,1,0]
	v_perm_b32 v231, v155, v155, 0x3020001
	v_mad_i32_i24 v9, v13, v26, v9
	v_perm_b32 v13, v5, v152, 0x6040503
	v_perm_b32 v5, v132, v5, 0x7060403
	s_set_vgpr_msb 20                       ;  msbs: dst=0 src0=0 src1=1 src2=1
	v_dot4_i32_iu8 v16, v231, v59 /*v315*/, v43 /*v299*/ neg_lo:[1,1,0]
	s_set_vgpr_msb 0                        ;  msbs: dst=0 src0=0 src1=0 src2=0
	v_dot4_i32_iu8 v4, v13, v4, v9 neg_lo:[1,1,0]
	v_perm_b32 v9, v167, v167, 0x706000c
	s_delay_alu instid0(VALU_DEP_2) | instskip(SKIP_2) | instid1(VALU_DEP_3)
	v_dot4_i32_iu8 v6, v5, v6, v4 neg_lo:[1,1,0]
	v_bfe_i32 v4, v0, 8, 8
	v_perm_b32 v5, v151, v151, 0xc0c0001
	v_dot4_i32_iu8 v6, v7, v133, v6 neg_lo:[1,1,0]
	s_delay_alu instid0(VALU_DEP_3) | instskip(NEXT) | instid1(VALU_DEP_1)
	v_mul_i32_i24_e32 v4, v4, v24
	v_dot4_i32_iu8 v4, v150, v8, v4 neg_lo:[1,1,0]
	s_set_vgpr_msb 1                        ;  msbs: dst=0 src0=1 src1=0 src2=0
	v_perm_b32 v8, v15 /*v271*/, v161, 0x6040503
	s_set_vgpr_msb 0                        ;  msbs: dst=0 src0=0 src1=0 src2=0
	s_delay_alu instid0(VALU_DEP_2) | instskip(SKIP_1) | instid1(VALU_DEP_1)
	v_dot4_i32_iu8 v4, v232, v5, v4 neg_lo:[1,1,0]
	v_perm_b32 v5, v151, v151, 0xc0c0302
	v_dot4_i32_iu8 v4, v233, v5, v4 neg_lo:[1,1,0]
	v_perm_b32 v5, v0, v0, 0xc030200
	v_perm_b32 v233, v147, v146, 0x6040503
	s_delay_alu instid0(VALU_DEP_2)
	v_dot4_i32_iu8 v13, v5, v246, v4 neg_lo:[1,1,0]
	s_set_vgpr_msb 1                        ;  msbs: dst=0 src0=1 src1=0 src2=0
	v_perm_b32 v4, v14 /*v270*/, v159, 0x6040501
	s_set_vgpr_msb 4                        ;  msbs: dst=0 src0=0 src1=1 src2=0
	v_perm_b32 v5, v161, v16 /*v272*/, 0x6040501
	s_set_vgpr_msb 0                        ;  msbs: dst=0 src0=0 src1=0 src2=0
	s_delay_alu instid0(VALU_DEP_1) | instskip(SKIP_3) | instid1(VALU_DEP_1)
	v_dot4_i32_iu8 v4, v5, v4, 0 neg_lo:[1,1,0]
	s_set_vgpr_msb 4                        ;  msbs: dst=0 src0=0 src1=1 src2=0
	v_perm_b32 v5, v158, v14 /*v270*/, 0x6040503
	s_set_vgpr_msb 0                        ;  msbs: dst=0 src0=0 src1=0 src2=0
	v_dot4_i32_iu8 v4, v8, v5, v4 neg_lo:[1,1,0]
	v_perm_b32 v5, v154, v167, 0x6040501
	v_perm_b32 v8, v166, v154, 0x6040503
	s_delay_alu instid0(VALU_DEP_3) | instskip(SKIP_1) | instid1(VALU_DEP_3)
	v_dot4_i32_iu8 v4, v177, v23, v4 neg_lo:[1,1,0]
	s_set_vgpr_msb 1                        ;  msbs: dst=0 src0=1 src1=0 src2=0
	v_dot4_i32_iu8 v5, v49 /*v305*/, v5, 0 neg_lo:[1,1,0]
	s_delay_alu instid0(VALU_DEP_1) | instskip(SKIP_2) | instid1(VALU_DEP_1)
	v_dot4_i32_iu8 v5, v51 /*v307*/, v8, v5 neg_lo:[1,1,0]
	s_set_vgpr_msb 0                        ;  msbs: dst=0 src0=0 src1=0 src2=0
	v_perm_b32 v8, v166, v166, 0xc0c0c03
	v_or_b32_e32 v246, v9, v8
	s_set_vgpr_msb 1                        ;  msbs: dst=0 src0=1 src1=0 src2=0
	v_perm_b32 v8, v10 /*v266*/, v142, 0x6050401
	s_set_vgpr_msb 4                        ;  msbs: dst=0 src0=0 src1=1 src2=0
	v_perm_b32 v9, v146, v12 /*v268*/, 0x6050401
	s_set_vgpr_msb 1                        ;  msbs: dst=0 src0=1 src1=0 src2=0
	v_dot4_i32_iu8 v5, v57 /*v313*/, v246, v5 neg_lo:[1,1,0]
	s_set_vgpr_msb 0                        ;  msbs: dst=0 src0=0 src1=0 src2=0
	s_delay_alu instid0(VALU_DEP_2)
	v_dot4_i32_iu8 v8, v9, v8, 0 neg_lo:[1,1,0]
	s_set_vgpr_msb 4                        ;  msbs: dst=0 src0=0 src1=1 src2=0
	v_perm_b32 v9, v142, v11 /*v267*/, 0x7060403
	v_dot4_i32_iu8 v17, v230, v58 /*v314*/, v5 neg_lo:[1,1,0]
	s_set_vgpr_msb 16                       ;  msbs: dst=0 src0=0 src1=0 src2=1
	v_dot4_i32_iu8 v5, v145, v11, v46 /*v302*/ neg_lo:[1,1,0]
	s_set_vgpr_msb 0                        ;  msbs: dst=0 src0=0 src1=0 src2=0
	v_dot4_i32_iu8 v8, v233, v32, v8 neg_lo:[1,1,0]
	s_delay_alu instid0(VALU_DEP_1)
	v_dot4_i32_iu8 v8, v14, v9, v8 neg_lo:[1,1,0]
	s_set_vgpr_msb 1                        ;  msbs: dst=0 src0=1 src1=0 src2=0
	v_perm_b32 v9, v6 /*v262*/, v144, 0x6050401
	s_set_vgpr_msb 4                        ;  msbs: dst=0 src0=0 src1=1 src2=0
	v_perm_b32 v14, v148, v8 /*v264*/, 0x6050401
	s_set_vgpr_msb 0                        ;  msbs: dst=0 src0=0 src1=0 src2=0
	s_delay_alu instid0(VALU_DEP_1) | instskip(SKIP_3) | instid1(VALU_DEP_1)
	v_dot4_i32_iu8 v9, v14, v9, 0 neg_lo:[1,1,0]
	s_set_vgpr_msb 4                        ;  msbs: dst=0 src0=0 src1=1 src2=0
	v_perm_b32 v14, v149, v6 /*v262*/, 0x6040503
	s_set_vgpr_msb 0                        ;  msbs: dst=0 src0=0 src1=0 src2=0
	v_dot4_i32_iu8 v9, v15, v14, v9 neg_lo:[1,1,0]
	v_perm_b32 v14, v144, v149, 0x7060403
	s_set_vgpr_msb 4                        ;  msbs: dst=0 src0=0 src1=1 src2=0
	v_dot4_i32_iu8 v15, v231, v38 /*v294*/, v4 neg_lo:[1,1,0]
	v_dot4_i32_iu8 v4, v143, v13 /*v269*/, v8 neg_lo:[1,1,0]
	s_set_vgpr_msb 16                       ;  msbs: dst=0 src0=0 src1=0 src2=1
	v_dot4_i32_iu8 v8, v7, v143, v45 /*v301*/ neg_lo:[1,1,0]
	s_set_vgpr_msb 1                        ;  msbs: dst=0 src0=1 src1=0 src2=0
	v_dot4_i32_iu8 v9, v5 /*v261*/, v14, v9 neg_lo:[1,1,0]
	ds_load_b32 v14, v23 /*v279*/
	v_dot4_i32_iu8 v9, v9 /*v265*/, v145, v9 neg_lo:[1,1,0]
	s_wait_dscnt 0x0
	s_set_vgpr_msb 0                        ;  msbs: dst=0 src0=0 src1=0 src2=0
	v_bfe_i32 v228, v14, 0, 8
	v_bfe_i32 v229, v14, 8, 8
	v_ashrrev_i32_e32 v179, 24, v14
	v_bfe_i32 v227, v14, 16, 8
	s_set_vgpr_msb 20                       ;  msbs: dst=0 src0=0 src1=1 src2=1
	v_dot4_i32_iu8 v14, v230, v37 /*v293*/, v44 /*v300*/ neg_lo:[1,1,0]
	s_set_vgpr_msb 0                        ;  msbs: dst=0 src0=0 src1=0 src2=0
	v_mul_lo_u32 v5, v5, v228
	v_mul_lo_u32 v4, v4, v229
	s_delay_alu instid0(VALU_DEP_2) | instskip(NEXT) | instid1(VALU_DEP_2)
	v_mad_u32 v5, v8, v229, v5
	v_mad_u32 v4, v9, v228, v4
	v_mul_lo_u32 v8, v14, v227
	v_mul_lo_u32 v9, v15, v179
	s_set_vgpr_msb 1                        ;  msbs: dst=0 src0=1 src1=0 src2=0
	v_perm_b32 v15, v7 /*v263*/, v150, 0x6040503
	s_set_vgpr_msb 0                        ;  msbs: dst=0 src0=0 src1=0 src2=0
	v_cvt_f32_i32_e32 v5, v5
	v_cvt_f32_i32_e32 v4, v4
	v_mad_u32 v8, v16, v179, v8
	v_mad_u32 v14, v17, v227, v9
	s_delay_alu instid0(VALU_DEP_3) | instskip(NEXT) | instid1(VALU_DEP_3)
	v_pk_fma_f32 v[4:5], v[20:21], v[4:5], 0 op_sel_hi:[1,1,0]
	v_cvt_f32_i32_e32 v9, v8
	s_delay_alu instid0(VALU_DEP_3) | instskip(SKIP_3) | instid1(VALU_DEP_2)
	v_cvt_f32_i32_e32 v8, v14
	s_set_vgpr_msb 1                        ;  msbs: dst=0 src0=1 src1=0 src2=0
	v_perm_b32 v14, v12 /*v268*/, v153, 0x7060403
	s_set_vgpr_msb 0                        ;  msbs: dst=0 src0=0 src1=0 src2=0
	v_pk_fma_f32 v[4:5], v[30:31], v[8:9], v[4:5]
	s_set_vgpr_msb 1                        ;  msbs: dst=0 src0=1 src1=0 src2=0
	v_perm_b32 v8, v15 /*v271*/, v165, 0x6040503
	s_set_vgpr_msb 0                        ;  msbs: dst=0 src0=0 src1=0 src2=0
	v_perm_b32 v9, v169, v169, 0x706000c
	v_pk_fma_f32 v[68:69], v[120:121], v[4:5], v[68:69]
	s_set_vgpr_msb 1                        ;  msbs: dst=0 src0=1 src1=0 src2=0
	v_perm_b32 v4, v14 /*v270*/, v163, 0x6040501
	s_set_vgpr_msb 4                        ;  msbs: dst=0 src0=0 src1=1 src2=0
	v_perm_b32 v5, v165, v16 /*v272*/, 0x6040501
	s_set_vgpr_msb 0                        ;  msbs: dst=0 src0=0 src1=0 src2=0
	s_delay_alu instid0(VALU_DEP_1) | instskip(SKIP_3) | instid1(VALU_DEP_1)
	v_dot4_i32_iu8 v4, v5, v4, 0 neg_lo:[1,1,0]
	s_set_vgpr_msb 4                        ;  msbs: dst=0 src0=0 src1=1 src2=0
	v_perm_b32 v5, v162, v14 /*v270*/, 0x6040503
	s_set_vgpr_msb 0                        ;  msbs: dst=0 src0=0 src1=0 src2=0
	v_dot4_i32_iu8 v4, v8, v5, v4 neg_lo:[1,1,0]
	v_perm_b32 v5, v156, v169, 0x6040501
	v_perm_b32 v8, v168, v156, 0x6040503
	s_delay_alu instid0(VALU_DEP_3) | instskip(SKIP_1) | instid1(VALU_DEP_3)
	v_dot4_i32_iu8 v4, v178, v23, v4 neg_lo:[1,1,0]
	s_set_vgpr_msb 1                        ;  msbs: dst=0 src0=1 src1=0 src2=0
	v_dot4_i32_iu8 v5, v49 /*v305*/, v5, 0 neg_lo:[1,1,0]
	s_delay_alu instid0(VALU_DEP_1) | instskip(SKIP_2) | instid1(VALU_DEP_1)
	v_dot4_i32_iu8 v5, v51 /*v307*/, v8, v5 neg_lo:[1,1,0]
	s_set_vgpr_msb 0                        ;  msbs: dst=0 src0=0 src1=0 src2=0
	v_perm_b32 v8, v168, v168, 0xc0c0c03
	v_or_b32_e32 v232, v9, v8
	s_set_vgpr_msb 1                        ;  msbs: dst=0 src0=1 src1=0 src2=0
	v_perm_b32 v8, v10 /*v266*/, v132, 0x6050401
	s_set_vgpr_msb 4                        ;  msbs: dst=0 src0=0 src1=1 src2=0
	v_perm_b32 v9, v152, v12 /*v268*/, 0x6050401
	s_set_vgpr_msb 1                        ;  msbs: dst=0 src0=1 src1=0 src2=0
	v_dot4_i32_iu8 v5, v57 /*v313*/, v232, v5 neg_lo:[1,1,0]
	s_set_vgpr_msb 0                        ;  msbs: dst=0 src0=0 src1=0 src2=0
	s_delay_alu instid0(VALU_DEP_2) | instskip(SKIP_3) | instid1(VALU_DEP_2)
	v_dot4_i32_iu8 v8, v9, v8, 0 neg_lo:[1,1,0]
	s_set_vgpr_msb 4                        ;  msbs: dst=0 src0=0 src1=1 src2=0
	v_perm_b32 v9, v132, v11 /*v267*/, 0x7060403
	s_set_vgpr_msb 0                        ;  msbs: dst=0 src0=0 src1=0 src2=0
	v_dot4_i32_iu8 v8, v171, v32, v8 neg_lo:[1,1,0]
	s_delay_alu instid0(VALU_DEP_1)
	v_dot4_i32_iu8 v8, v14, v9, v8 neg_lo:[1,1,0]
	s_set_vgpr_msb 1                        ;  msbs: dst=0 src0=1 src1=0 src2=0
	v_perm_b32 v9, v6 /*v262*/, v0, 0x6050401
	s_set_vgpr_msb 4                        ;  msbs: dst=0 src0=0 src1=1 src2=0
	v_perm_b32 v14, v150, v8 /*v264*/, 0x6050401
	s_set_vgpr_msb 0                        ;  msbs: dst=0 src0=0 src1=0 src2=0
	s_delay_alu instid0(VALU_DEP_1) | instskip(SKIP_3) | instid1(VALU_DEP_1)
	v_dot4_i32_iu8 v9, v14, v9, 0 neg_lo:[1,1,0]
	s_set_vgpr_msb 4                        ;  msbs: dst=0 src0=0 src1=1 src2=0
	v_perm_b32 v14, v151, v6 /*v262*/, 0x6040503
	s_set_vgpr_msb 0                        ;  msbs: dst=0 src0=0 src1=0 src2=0
	v_dot4_i32_iu8 v9, v15, v14, v9 neg_lo:[1,1,0]
	v_perm_b32 v14, v0, v151, 0x7060403
	s_set_vgpr_msb 4                        ;  msbs: dst=0 src0=0 src1=1 src2=0
	v_dot4_i32_iu8 v15, v164, v58 /*v314*/, v5 neg_lo:[1,1,0]
	s_set_vgpr_msb 0                        ;  msbs: dst=0 src0=0 src1=0 src2=0
	v_dot4_i32_iu8 v5, v1, v11, v13 neg_lo:[1,1,0]
	s_set_vgpr_msb 1                        ;  msbs: dst=0 src0=1 src1=0 src2=0
	v_dot4_i32_iu8 v9, v5 /*v261*/, v14, v9 neg_lo:[1,1,0]
	ds_load_b32 v14, v24 /*v280*/
	s_set_vgpr_msb 64                       ;  msbs: dst=1 src0=0 src1=0 src2=0
	v_perm_b32 v5 /*v261*/, v139, v138, 0x6040503
	s_set_vgpr_msb 1                        ;  msbs: dst=0 src0=1 src1=0 src2=0
	v_dot4_i32_iu8 v7, v9 /*v265*/, v1, v9 neg_lo:[1,1,0]
	s_wait_dscnt 0x0
	s_set_vgpr_msb 0                        ;  msbs: dst=0 src0=0 src1=0 src2=0
	v_bfe_i32 v155, v14, 0, 8
	v_bfe_i32 v160, v14, 8, 8
	v_ashrrev_i32_e32 v32, 24, v14
	v_bfe_i32 v35, v14, 16, 8
	s_set_vgpr_msb 4                        ;  msbs: dst=0 src0=0 src1=1 src2=0
	v_dot4_i32_iu8 v14, v157, v38 /*v294*/, v4 neg_lo:[1,1,0]
	v_dot4_i32_iu8 v4, v133, v13 /*v269*/, v8 neg_lo:[1,1,0]
	s_set_vgpr_msb 0                        ;  msbs: dst=0 src0=0 src1=0 src2=0
	v_mul_lo_u32 v5, v5, v155
	s_delay_alu instid0(VALU_DEP_2) | instskip(NEXT) | instid1(VALU_DEP_2)
	v_mul_lo_u32 v4, v4, v160
	v_mad_u32 v5, v6, v160, v5
	v_mul_lo_u32 v6, v12, v35
	s_delay_alu instid0(VALU_DEP_3) | instskip(SKIP_1) | instid1(VALU_DEP_4)
	v_mad_u32 v4, v7, v155, v4
	v_mul_lo_u32 v7, v14, v32
	v_cvt_f32_i32_e32 v5, v5
	s_delay_alu instid0(VALU_DEP_4) | instskip(NEXT) | instid1(VALU_DEP_4)
	v_mad_u32 v6, v10, v32, v6
	v_cvt_f32_i32_e32 v4, v4
	s_delay_alu instid0(VALU_DEP_4) | instskip(NEXT) | instid1(VALU_DEP_2)
	v_mad_u32 v8, v15, v35, v7
	v_pk_fma_f32 v[4:5], v[20:21], v[4:5], 0 op_sel_hi:[1,1,0]
	s_delay_alu instid0(VALU_DEP_4) | instskip(NEXT) | instid1(VALU_DEP_3)
	v_cvt_f32_i32_e32 v7, v6
	v_cvt_f32_i32_e32 v6, v8
	s_delay_alu instid0(VALU_DEP_1) | instskip(NEXT) | instid1(VALU_DEP_1)
	v_pk_fma_f32 v[4:5], v[30:31], v[6:7], v[4:5]
	v_pk_fma_f32 v[60:61], v[122:123], v[4:5], v[60:61]
	v_or_b32_e32 v4, s12, v195
	s_delay_alu instid0(VALU_DEP_1)
	v_lshlrev_b32_e32 v16, 2, v4
	s_set_vgpr_msb 64                       ;  msbs: dst=1 src0=0 src1=0 src2=0
	v_lshrrev_b32_e32 v6 /*v262*/, 1, v4
	s_set_vgpr_msb 0                        ;  msbs: dst=0 src0=0 src1=0 src2=0
	ds_load_b128 v[8:11], v16 offset:33280
	ds_load_b128 v[4:7], v16 offset:33296
	;; [unrolled: 1-line block ×4, first 2 shown]
	s_wait_dscnt 0x3
	v_perm_b32 v30, v10, v139, 0x7060403
	s_wait_dscnt 0x2
	v_perm_b32 v29, v5, v140, 0x6040503
	s_wait_dscnt 0x1
	v_bfe_i32 v20, v14, 8, 8
	s_wait_dscnt 0x0
	v_perm_b32 v24, v16, v18, 0x6040501
	v_perm_b32 v25, v17, v16, 0x6040503
	v_bfe_i32 v21, v12, 8, 8
	v_perm_b32 v26, v18, v17, 0x7060403
	v_mul_i32_i24_e32 v20, v20, v175
	s_set_vgpr_msb 4                        ;  msbs: dst=0 src0=0 src1=1 src2=0
	v_dot4_i32_iu8 v24, v24, v1 /*v257*/, 0 neg_lo:[1,1,0]
	s_set_vgpr_msb 0                        ;  msbs: dst=0 src0=0 src1=0 src2=0
	v_perm_b32 v27, v170, v14, 0x6040501
	v_bfe_i32 v22, v14, 16, 8
	v_ashrrev_i32_e32 v23, 24, v14
	v_mad_i32_i24 v20, v21, v176, v20
	s_set_vgpr_msb 4                        ;  msbs: dst=0 src0=0 src1=1 src2=0
	v_dot4_i32_iu8 v24, v25, v2 /*v258*/, v24 neg_lo:[1,1,0]
	s_set_vgpr_msb 0                        ;  msbs: dst=0 src0=0 src1=0 src2=0
	v_perm_b32 v21, v13, v12, 0x5030200
	v_perm_b32 v28, v13, v170, 0x6040503
	v_mul_i32_i24_e32 v22, v253, v22
	v_mul_i32_i24_e32 v23, v252, v23
	s_set_vgpr_msb 64                       ;  msbs: dst=1 src0=0 src1=0 src2=0
	v_dot4_i32_iu8 v7 /*v263*/, v26, v255, v24 neg_lo:[1,1,0]
	s_set_vgpr_msb 0                        ;  msbs: dst=0 src0=0 src1=0 src2=0
	v_perm_b32 v24, v12, v173, 0x6040501
	v_dot4_i32_iu8 v20, v251, v21, v20 neg_lo:[1,1,0]
	v_perm_b32 v21, v14, v13, 0x4030200
	s_set_vgpr_msb 64                       ;  msbs: dst=1 src0=0 src1=0 src2=0
	v_perm_b32 v33 /*v289*/, v15, v15, 0x7060001
	s_set_vgpr_msb 0                        ;  msbs: dst=0 src0=0 src1=0 src2=0
	v_dot4_i32_iu8 v24, v27, v24, 0 neg_lo:[1,1,0]
	v_perm_b32 v27, v172, v12, 0x6040503
	v_dot4_i32_iu8 v20, v254, v21, v20 neg_lo:[1,1,0]
	v_perm_b32 v21, v130, v6, 0x6050401
	s_delay_alu instid0(VALU_DEP_3)
	v_dot4_i32_iu8 v24, v28, v27, v24 neg_lo:[1,1,0]
	v_perm_b32 v27, v14, v13, 0x7060403
	v_perm_b32 v28, v140, v6, 0x6050401
	s_set_vgpr_msb 64                       ;  msbs: dst=1 src0=0 src1=0 src2=0
	v_add3_u32 v16 /*v272*/, v20, v22, v23
	s_set_vgpr_msb 0                        ;  msbs: dst=0 src0=0 src1=0 src2=0
	v_perm_b32 v20, v4, v124, 0x6050401
	v_perm_b32 v22, v124, v5, 0x7060403
	s_set_vgpr_msb 0x41                     ;  msbs: dst=1 src0=1 src1=0 src2=0
	v_dot4_i32_iu8 v12 /*v268*/, v4 /*v260*/, v27, v24 neg_lo:[1,1,0]
	s_set_vgpr_msb 0                        ;  msbs: dst=0 src0=0 src1=0 src2=0
	v_perm_b32 v24, v4, v134, 0x6050401
	v_perm_b32 v23, v6, v131, 0x7060403
	v_dot4_i32_iu8 v20, v21, v20, 0 neg_lo:[1,1,0]
	v_perm_b32 v21, v5, v4, 0x6040503
	s_delay_alu instid0(VALU_DEP_4) | instskip(SKIP_1) | instid1(VALU_DEP_3)
	v_dot4_i32_iu8 v24, v28, v24, 0 neg_lo:[1,1,0]
	v_perm_b32 v28, v141, v4, 0x6040503
	v_dot4_i32_iu8 v20, v234, v21, v20 neg_lo:[1,1,0]
	s_delay_alu instid0(VALU_DEP_2) | instskip(SKIP_2) | instid1(VALU_DEP_3)
	v_dot4_i32_iu8 v24, v29, v28, v24 neg_lo:[1,1,0]
	v_perm_b32 v28, v6, v5, 0x7060403
	s_set_vgpr_msb 64                       ;  msbs: dst=1 src0=0 src1=0 src2=0
	v_dot4_i32_iu8 v17 /*v273*/, v23, v22, v20 neg_lo:[1,1,0]
	s_set_vgpr_msb 0                        ;  msbs: dst=0 src0=0 src1=0 src2=0
	v_perm_b32 v20, v8, v126, 0x6050401
	v_perm_b32 v22, v128, v10, 0x6050401
	;; [unrolled: 1-line block ×3, first 2 shown]
	s_set_vgpr_msb 64                       ;  msbs: dst=1 src0=0 src1=0 src2=0
	v_dot4_i32_iu8 v13 /*v269*/, v28, v247, v24 neg_lo:[1,1,0]
	s_set_vgpr_msb 0                        ;  msbs: dst=0 src0=0 src1=0 src2=0
	v_perm_b32 v24, v8, v136, 0x6050401
	v_perm_b32 v28, v138, v10, 0x6050401
	v_dot4_i32_iu8 v20, v22, v20, 0 neg_lo:[1,1,0]
	v_perm_b32 v22, v126, v9, 0x7060403
	v_perm_b32 v29, v136, v9, 0x7060403
	s_delay_alu instid0(VALU_DEP_4) | instskip(SKIP_1) | instid1(VALU_DEP_1)
	v_dot4_i32_iu8 v24, v28, v24, 0 neg_lo:[1,1,0]
	v_perm_b32 v28, v9, v8, 0x6040503
	v_dot4_i32_iu8 v20, v235, v28, v20 neg_lo:[1,1,0]
	s_set_vgpr_msb 1                        ;  msbs: dst=0 src0=1 src1=0 src2=0
	s_delay_alu instid0(VALU_DEP_3) | instskip(SKIP_1) | instid1(VALU_DEP_2)
	v_dot4_i32_iu8 v24, v5 /*v261*/, v28, v24 neg_lo:[1,1,0]
	s_set_vgpr_msb 64                       ;  msbs: dst=1 src0=0 src1=0 src2=0
	v_dot4_i32_iu8 v18 /*v274*/, v23, v22, v20 neg_lo:[1,1,0]
	s_set_vgpr_msb 0                        ;  msbs: dst=0 src0=0 src1=0 src2=0
	v_perm_b32 v20, v16, v159, 0x6040501
	v_perm_b32 v22, v161, v18, 0x6040501
	;; [unrolled: 1-line block ×3, first 2 shown]
	s_set_vgpr_msb 64                       ;  msbs: dst=1 src0=0 src1=0 src2=0
	v_dot4_i32_iu8 v14 /*v270*/, v30, v29, v24 neg_lo:[1,1,0]
	s_set_vgpr_msb 0                        ;  msbs: dst=0 src0=0 src1=0 src2=0
	v_perm_b32 v29, v18, v18, 0xc0c0c01
	v_perm_b32 v18, v165, v18, 0x6040501
	v_dot4_i32_iu8 v20, v22, v20, 0 neg_lo:[1,1,0]
	v_perm_b32 v22, v158, v16, 0x6040503
	v_perm_b32 v24, v16, v33, 0x6040503
	;; [unrolled: 1-line block ×3, first 2 shown]
	s_delay_alu instid0(VALU_DEP_3)
	v_dot4_i32_iu8 v20, v23, v22, v20 neg_lo:[1,1,0]
	v_perm_b32 v22, v154, v14, 0x6040501
	v_perm_b32 v23, v13, v154, 0x6040503
	;; [unrolled: 1-line block ×4, first 2 shown]
	s_set_vgpr_msb 64                       ;  msbs: dst=1 src0=0 src1=0 src2=0
	v_dot4_i32_iu8 v19 /*v275*/, v177, v26, v20 neg_lo:[1,1,0]
	s_set_vgpr_msb 0                        ;  msbs: dst=0 src0=0 src1=0 src2=0
	v_perm_b32 v20, v12, v167, 0x6040501
	s_delay_alu instid0(VALU_DEP_1) | instskip(SKIP_1) | instid1(VALU_DEP_1)
	v_dot4_i32_iu8 v20, v22, v20, 0 neg_lo:[1,1,0]
	v_perm_b32 v22, v166, v12, 0x6040503
	v_dot4_i32_iu8 v20, v23, v22, v20 neg_lo:[1,1,0]
	v_perm_b32 v22, v146, v6, 0x6050401
	v_perm_b32 v23, v6, v147, 0x7060403
	s_set_vgpr_msb 64                       ;  msbs: dst=1 src0=0 src1=0 src2=0
	s_delay_alu instid0(VALU_DEP_3) | instskip(SKIP_3) | instid1(VALU_DEP_2)
	v_dot4_i32_iu8 v20 /*v276*/, v246, v27, v20 neg_lo:[1,1,0]
	s_set_vgpr_msb 0                        ;  msbs: dst=0 src0=0 src1=0 src2=0
	v_perm_b32 v20, v4, v142, 0x6050401
	v_perm_b32 v4, v4, v132, 0x6050401
	v_dot4_i32_iu8 v20, v22, v20, 0 neg_lo:[1,1,0]
	v_perm_b32 v22, v142, v5, 0x7060403
	v_perm_b32 v5, v132, v5, 0x7060403
	s_delay_alu instid0(VALU_DEP_3) | instskip(SKIP_1) | instid1(VALU_DEP_1)
	v_dot4_i32_iu8 v20, v233, v21, v20 neg_lo:[1,1,0]
	s_set_vgpr_msb 64                       ;  msbs: dst=1 src0=0 src1=0 src2=0
	v_dot4_i32_iu8 v21 /*v277*/, v23, v22, v20 neg_lo:[1,1,0]
	s_set_vgpr_msb 0                        ;  msbs: dst=0 src0=0 src1=0 src2=0
	v_perm_b32 v20, v8, v144, 0x6050401
	v_perm_b32 v22, v148, v10, 0x6050401
	;; [unrolled: 1-line block ×3, first 2 shown]
	s_delay_alu instid0(VALU_DEP_2) | instskip(SKIP_2) | instid1(VALU_DEP_2)
	v_dot4_i32_iu8 v20, v22, v20, 0 neg_lo:[1,1,0]
	v_perm_b32 v22, v144, v9, 0x7060403
	s_set_vgpr_msb 1                        ;  msbs: dst=0 src0=1 src1=0 src2=0
	v_dot4_i32_iu8 v20, v3 /*v259*/, v28, v20 neg_lo:[1,1,0]
	s_set_vgpr_msb 64                       ;  msbs: dst=1 src0=0 src1=0 src2=0
	s_delay_alu instid0(VALU_DEP_1) | instskip(SKIP_3) | instid1(VALU_DEP_2)
	v_dot4_i32_iu8 v22 /*v278*/, v23, v22, v20 neg_lo:[1,1,0]
	s_set_vgpr_msb 0                        ;  msbs: dst=0 src0=0 src1=0 src2=0
	v_perm_b32 v20, v16, v163, 0x6040501
	v_perm_b32 v16, v162, v16, 0x6040503
	v_dot4_i32_iu8 v18, v18, v20, 0 neg_lo:[1,1,0]
	s_delay_alu instid0(VALU_DEP_1) | instskip(SKIP_1) | instid1(VALU_DEP_1)
	v_dot4_i32_iu8 v16, v17, v16, v18 neg_lo:[1,1,0]
	s_set_vgpr_msb 64                       ;  msbs: dst=1 src0=0 src1=0 src2=0
	v_dot4_i32_iu8 v23 /*v279*/, v178, v26, v16 neg_lo:[1,1,0]
	s_set_vgpr_msb 0                        ;  msbs: dst=0 src0=0 src1=0 src2=0
	v_perm_b32 v16, v12, v169, 0x6040501
	v_perm_b32 v12, v168, v12, 0x6040503
	s_delay_alu instid0(VALU_DEP_2) | instskip(NEXT) | instid1(VALU_DEP_1)
	v_dot4_i32_iu8 v14, v14, v16, 0 neg_lo:[1,1,0]
	v_dot4_i32_iu8 v12, v13, v12, v14 neg_lo:[1,1,0]
	s_delay_alu instid0(VALU_DEP_1) | instskip(SKIP_3) | instid1(VALU_DEP_3)
	v_dot4_i32_iu8 v14, v232, v27, v12 neg_lo:[1,1,0]
	v_perm_b32 v12, v152, v6, 0x6050401
	v_perm_b32 v6, v6, v153, 0x7060403
	s_set_vgpr_msb 4                        ;  msbs: dst=0 src0=0 src1=1 src2=0
	v_dot4_i32_iu8 v14, v164, v33 /*v289*/, v14 neg_lo:[1,1,0]
	s_set_vgpr_msb 0                        ;  msbs: dst=0 src0=0 src1=0 src2=0
	v_dot4_i32_iu8 v4, v12, v4, 0 neg_lo:[1,1,0]
	s_delay_alu instid0(VALU_DEP_1) | instskip(NEXT) | instid1(VALU_DEP_1)
	v_dot4_i32_iu8 v4, v171, v21, v4 neg_lo:[1,1,0]
	v_dot4_i32_iu8 v6, v6, v5, v4 neg_lo:[1,1,0]
	v_perm_b32 v4, v8, v0, 0x6050401
	v_perm_b32 v5, v150, v10, 0x6050401
	;; [unrolled: 1-line block ×3, first 2 shown]
	s_delay_alu instid0(VALU_DEP_4) | instskip(NEXT) | instid1(VALU_DEP_3)
	v_dot4_i32_iu8 v6, v7, v133, v6 neg_lo:[1,1,0]
	v_dot4_i32_iu8 v4, v5, v4, 0 neg_lo:[1,1,0]
	v_perm_b32 v5, v0, v9, 0x7060403
	s_set_vgpr_msb 1                        ;  msbs: dst=0 src0=1 src1=0 src2=0
	s_delay_alu instid0(VALU_DEP_2) | instskip(SKIP_1) | instid1(VALU_DEP_1)
	v_dot4_i32_iu8 v4, v0 /*v256*/, v28, v4 neg_lo:[1,1,0]
	s_set_vgpr_msb 0                        ;  msbs: dst=0 src0=0 src1=0 src2=0
	v_dot4_i32_iu8 v10, v8, v5, v4 neg_lo:[1,1,0]
	v_or_b32_e32 v4, s12, v196
	v_or_b32_e32 v29, v248, v29
	s_delay_alu instid0(VALU_DEP_3) | instskip(NEXT) | instid1(VALU_DEP_3)
	v_dot4_i32_iu8 v10, v1, v11, v10 neg_lo:[1,1,0]
	v_lshlrev_b32_e32 v5, 2, v4
	s_delay_alu instid0(VALU_DEP_3) | instskip(SKIP_1) | instid1(VALU_DEP_4)
	v_dot4_i32_iu8 v24, v29, v24, 0 neg_lo:[1,1,0]
	v_lshrrev_b32_e32 v8, 1, v4
	v_mul_lo_u32 v10, v10, v155
	s_delay_alu instid0(VALU_DEP_3) | instskip(SKIP_1) | instid1(VALU_DEP_1)
	v_dot4_i32_iu8 v24, v25, v249, v24 neg_lo:[1,1,0]
	s_set_vgpr_msb 64                       ;  msbs: dst=1 src0=0 src1=0 src2=0
	v_dot4_i32_iu8 v15 /*v271*/, v250, v26, v24 neg_lo:[1,1,0]
	s_set_vgpr_msb 0                        ;  msbs: dst=0 src0=0 src1=0 src2=0
	ds_load_b128 v[20:23], v5 offset:33280
	ds_load_b128 v[24:27], v5 offset:33296
	;; [unrolled: 1-line block ×3, first 2 shown]
	s_set_vgpr_msb 64                       ;  msbs: dst=1 src0=0 src1=0 src2=0
	ds_load_b128 v[8:11] /*v[264:267]*/, v5 offset:33328
	s_set_vgpr_msb 0                        ;  msbs: dst=0 src0=0 src1=0 src2=0
	v_mad_u32 v6, v6, v160, v10
	v_mul_lo_u32 v10, v14, v35
	s_wait_dscnt 0x3
	s_set_vgpr_msb 64                       ;  msbs: dst=1 src0=0 src1=0 src2=0
	v_perm_b32 v31 /*v287*/, v21, v20, 0x6040503
	s_wait_dscnt 0x1
	s_set_vgpr_msb 0                        ;  msbs: dst=0 src0=0 src1=0 src2=0
	v_perm_b32 v5, v170, v30, 0x6040501
	s_wait_dscnt 0x0
	s_set_vgpr_msb 5                        ;  msbs: dst=0 src0=1 src1=1 src2=0
	v_perm_b32 v4, v8 /*v264*/, v10 /*v266*/, 0x6040501
	s_set_vgpr_msb 0x45                     ;  msbs: dst=1 src0=1 src1=1 src2=0
	v_perm_b32 v28 /*v284*/, v9 /*v265*/, v8 /*v264*/, 0x6040503
	v_perm_b32 v29 /*v285*/, v10 /*v266*/, v9 /*v265*/, 0x7060403
	s_set_vgpr_msb 0                        ;  msbs: dst=0 src0=0 src1=0 src2=0
	v_perm_b32 v9, v29, v170, 0x6040503
	s_set_vgpr_msb 64                       ;  msbs: dst=1 src0=0 src1=0 src2=0
	v_perm_b32 v30 /*v286*/, v30, v29, 0x7060403
	s_set_vgpr_msb 4                        ;  msbs: dst=0 src0=0 src1=1 src2=0
	v_dot4_i32_iu8 v4, v4, v1 /*v257*/, 0 neg_lo:[1,1,0]
	s_set_vgpr_msb 0x45                     ;  msbs: dst=1 src0=1 src1=1 src2=0
	v_perm_b32 v32 /*v288*/, v11 /*v267*/, v11 /*v267*/, 0x7060001
	s_set_vgpr_msb 0                        ;  msbs: dst=0 src0=0 src1=0 src2=0
	v_perm_b32 v31, v31, v31, 0x7060001
	s_set_vgpr_msb 64                       ;  msbs: dst=1 src0=0 src1=0 src2=0
	v_bfe_i32 v24 /*v280*/, v30, 8, 8
	v_bfe_i32 v25 /*v281*/, v28, 8, 8
	s_set_vgpr_msb 5                        ;  msbs: dst=0 src0=1 src1=1 src2=0
	v_dot4_i32_iu8 v4, v28 /*v284*/, v2 /*v258*/, v4 neg_lo:[1,1,0]
	s_set_vgpr_msb 64                       ;  msbs: dst=1 src0=0 src1=0 src2=0
	v_bfe_i32 v26 /*v282*/, v30, 16, 8
	v_ashrrev_i32_e32 v27 /*v283*/, 24, v30
	s_set_vgpr_msb 1                        ;  msbs: dst=0 src0=1 src1=0 src2=0
	v_dot4_i32_iu8 v12, v29 /*v285*/, v255, v4 neg_lo:[1,1,0]
	s_set_vgpr_msb 0                        ;  msbs: dst=0 src0=0 src1=0 src2=0
	v_perm_b32 v4, v28, v173, 0x6040501
	s_set_vgpr_msb 4                        ;  msbs: dst=0 src0=0 src1=1 src2=0
	s_delay_alu instid0(VALU_DEP_2) | instskip(SKIP_1) | instid1(VALU_DEP_2)
	v_dot4_i32_iu8 v18, v245, v32 /*v288*/, v12 neg_lo:[1,1,0]
	s_set_vgpr_msb 0                        ;  msbs: dst=0 src0=0 src1=0 src2=0
	v_dot4_i32_iu8 v4, v5, v4, 0 neg_lo:[1,1,0]
	v_perm_b32 v5, v172, v28, 0x6040503
	s_delay_alu instid0(VALU_DEP_1) | instskip(SKIP_3) | instid1(VALU_DEP_3)
	v_dot4_i32_iu8 v4, v9, v5, v4 neg_lo:[1,1,0]
	v_perm_b32 v5, v140, v26, 0x6050401
	v_perm_b32 v9, v25, v140, 0x6040503
	s_set_vgpr_msb 5                        ;  msbs: dst=0 src0=1 src1=1 src2=0
	v_dot4_i32_iu8 v13, v4 /*v260*/, v30 /*v286*/, v4 neg_lo:[1,1,0]
	s_set_vgpr_msb 0                        ;  msbs: dst=0 src0=0 src1=0 src2=0
	v_perm_b32 v4, v24, v134, 0x6050401
	s_delay_alu instid0(VALU_DEP_1) | instskip(SKIP_1) | instid1(VALU_DEP_1)
	v_dot4_i32_iu8 v4, v5, v4, 0 neg_lo:[1,1,0]
	v_perm_b32 v5, v141, v24, 0x6040503
	v_dot4_i32_iu8 v4, v9, v5, v4 neg_lo:[1,1,0]
	v_perm_b32 v5, v26, v25, 0x7060403
	v_perm_b32 v9, v22, v139, 0x7060403
	s_delay_alu instid0(VALU_DEP_2) | instskip(SKIP_2) | instid1(VALU_DEP_3)
	v_dot4_i32_iu8 v16, v5, v247, v4 neg_lo:[1,1,0]
	v_perm_b32 v4, v20, v136, 0x6050401
	v_perm_b32 v5, v138, v22, 0x6050401
	v_dot4_i32_iu8 v12, v135, v27, v16 neg_lo:[1,1,0]
	s_set_vgpr_msb 16                       ;  msbs: dst=0 src0=0 src1=0 src2=1
	v_dot4_i32_iu8 v16, v7, v135, v13 /*v269*/ neg_lo:[1,1,0]
	s_delay_alu instid0(VALU_DEP_3) | instskip(SKIP_3) | instid1(VALU_DEP_3)
	v_dot4_i32_iu8 v4, v5, v4, 0 neg_lo:[1,1,0]
	v_perm_b32 v5, v136, v21, 0x7060403
	v_mul_lo_u32 v12, v12, v243
	s_set_vgpr_msb 5                        ;  msbs: dst=0 src0=1 src1=1 src2=0
	v_dot4_i32_iu8 v4, v5 /*v261*/, v31 /*v287*/, v4 neg_lo:[1,1,0]
	s_set_vgpr_msb 0                        ;  msbs: dst=0 src0=0 src1=0 src2=0
	s_delay_alu instid0(VALU_DEP_1)
	v_dot4_i32_iu8 v17, v9, v5, v4 neg_lo:[1,1,0]
	s_set_vgpr_msb 1                        ;  msbs: dst=0 src0=1 src1=0 src2=0
	ds_load_b64 v[4:5], v6 /*v262*/ offset:43584
	s_set_vgpr_msb 0                        ;  msbs: dst=0 src0=0 src1=0 src2=0
	ds_load_b64 v[8:9], v8 offset:43584
	s_set_vgpr_msb 0x54                     ;  msbs: dst=1 src0=0 src1=1 src2=1
	v_dot4_i32_iu8 v6 /*v262*/, v244, v33 /*v289*/, v12 /*v268*/ neg_lo:[1,1,0]
	s_set_vgpr_msb 64                       ;  msbs: dst=1 src0=0 src1=0 src2=0
	v_perm_b32 v12 /*v268*/, v19, v19, 0x7060001
	s_set_vgpr_msb 0                        ;  msbs: dst=0 src0=0 src1=0 src2=0
	v_dot4_i32_iu8 v17, v23, v137, v17 neg_lo:[1,1,0]
	s_set_vgpr_msb 17                       ;  msbs: dst=0 src0=1 src1=0 src2=1
	s_delay_alu instid0(VALU_DEP_2)
	v_dot4_i32_iu8 v19, v12 /*v268*/, v245, v7 /*v263*/ neg_lo:[1,1,0]
	s_set_vgpr_msb 64                       ;  msbs: dst=1 src0=0 src1=0 src2=0
	v_dot4_i32_iu8 v7 /*v263*/, v31, v244, v13 neg_lo:[1,1,0]
	s_set_vgpr_msb 16                       ;  msbs: dst=0 src0=0 src1=0 src2=1
	v_dot4_i32_iu8 v13, v137, v11, v14 /*v270*/ neg_lo:[1,1,0]
	s_set_vgpr_msb 0                        ;  msbs: dst=0 src0=0 src1=0 src2=0
	v_mad_u32 v12, v17, v242, v12
	s_delay_alu instid0(VALU_DEP_2)
	v_mul_lo_u32 v13, v13, v242
	s_wait_dscnt 0x1
	v_mov_b32_e32 v17, v4
	s_set_vgpr_msb 1                        ;  msbs: dst=0 src0=1 src1=0 src2=0
	v_mul_lo_u32 v4, v6 /*v262*/, v240
	s_set_vgpr_msb 0                        ;  msbs: dst=0 src0=0 src1=0 src2=0
	s_delay_alu instid0(VALU_DEP_4)
	v_cvt_f32_i32_e32 v12, v12
	s_set_vgpr_msb 64                       ;  msbs: dst=1 src0=0 src1=0 src2=0
	v_perm_b32 v6 /*v262*/, v22, v129, 0x7060403
	s_set_vgpr_msb 0                        ;  msbs: dst=0 src0=0 src1=0 src2=0
	v_mad_u32 v13, v16, v243, v13
	s_wait_dscnt 0x0
	v_mov_b32_e32 v16, v8
	v_mul_lo_u32 v8, v18, v241
	v_mad_u32 v4, v19, v241, v4
	s_delay_alu instid0(VALU_DEP_4) | instskip(SKIP_1) | instid1(VALU_DEP_3)
	v_cvt_f32_i32_e32 v13, v13
	s_set_vgpr_msb 1                        ;  msbs: dst=0 src0=1 src1=0 src2=0
	v_mad_u32 v8, v7 /*v263*/, v240, v8
	s_set_vgpr_msb 64                       ;  msbs: dst=1 src0=0 src1=0 src2=0
	v_perm_b32 v7 /*v263*/, v174, v34, 0x5040203
	s_set_vgpr_msb 0                        ;  msbs: dst=0 src0=0 src1=0 src2=0
	v_pk_fma_f32 v[12:13], v[16:17], v[12:13], 0 op_sel_hi:[1,1,0]
	v_cvt_f32_i32_e32 v19, v4
	v_mov_b32_e32 v4, v9
	s_set_vgpr_msb 0x55                     ;  msbs: dst=1 src0=1 src1=1 src2=1
	v_dot4_i32_iu8 v13 /*v269*/, v12 /*v268*/, v7 /*v263*/, v15 /*v271*/ neg_lo:[1,1,0]
	s_set_vgpr_msb 0                        ;  msbs: dst=0 src0=0 src1=0 src2=0
	v_cvt_f32_i32_e32 v18, v8
	s_delay_alu instid0(VALU_DEP_1)
	v_pk_fma_f32 v[8:9], v[4:5], v[18:19], v[12:13]
	v_perm_b32 v18, v29, v28, 0x5030200
	s_set_vgpr_msb 4                        ;  msbs: dst=0 src0=0 src1=1 src2=0
	v_mul_i32_i24_e32 v12, v253, v26 /*v282*/
	v_mul_i32_i24_e32 v13, v252, v27 /*v283*/
	s_set_vgpr_msb 0                        ;  msbs: dst=0 src0=0 src1=0 src2=0
	v_perm_b32 v19, v26, v131, 0x7060403
	v_pk_fma_f32 v[58:59], v[116:117], v[8:9], v[58:59]
	s_set_vgpr_msb 5                        ;  msbs: dst=0 src0=1 src1=1 src2=0
	v_perm_b32 v9, v10 /*v266*/, v10 /*v266*/, 0xc0c0c01
	s_set_vgpr_msb 1                        ;  msbs: dst=0 src0=1 src1=0 src2=0
	v_perm_b32 v8, v8 /*v264*/, v33, 0x6040503
	s_set_vgpr_msb 0                        ;  msbs: dst=0 src0=0 src1=0 src2=0
	s_delay_alu instid0(VALU_DEP_2) | instskip(NEXT) | instid1(VALU_DEP_1)
	v_or_b32_e32 v9, v248, v9
	v_dot4_i32_iu8 v8, v9, v8, 0 neg_lo:[1,1,0]
	s_set_vgpr_msb 1                        ;  msbs: dst=0 src0=1 src1=0 src2=0
	v_mul_i32_i24_e32 v9, v24 /*v280*/, v175
	s_delay_alu instid0(VALU_DEP_2) | instskip(NEXT) | instid1(VALU_DEP_2)
	v_dot4_i32_iu8 v8, v28 /*v284*/, v249, v8 neg_lo:[1,1,0]
	v_mad_i32_i24 v9, v25 /*v281*/, v176, v9
	s_set_vgpr_msb 4                        ;  msbs: dst=0 src0=0 src1=1 src2=0
	s_delay_alu instid0(VALU_DEP_2) | instskip(SKIP_1) | instid1(VALU_DEP_2)
	v_dot4_i32_iu8 v8, v250, v29 /*v285*/, v8 neg_lo:[1,1,0]
	s_set_vgpr_msb 0                        ;  msbs: dst=0 src0=0 src1=0 src2=0
	v_dot4_i32_iu8 v9, v251, v18, v9 neg_lo:[1,1,0]
	v_perm_b32 v18, v30, v29, 0x4030200
	s_delay_alu instid0(VALU_DEP_1) | instskip(SKIP_1) | instid1(VALU_DEP_2)
	v_dot4_i32_iu8 v9, v254, v18, v9 neg_lo:[1,1,0]
	v_perm_b32 v18, v25, v24, 0x6040503
	v_add3_u32 v9, v9, v12, v13
	v_perm_b32 v12, v24, v124, 0x6050401
	v_perm_b32 v13, v130, v26, 0x6050401
	s_delay_alu instid0(VALU_DEP_1) | instskip(SKIP_1) | instid1(VALU_DEP_2)
	v_dot4_i32_iu8 v12, v13, v12, 0 neg_lo:[1,1,0]
	v_perm_b32 v13, v124, v25, 0x7060403
	v_dot4_i32_iu8 v12, v234, v18, v12 neg_lo:[1,1,0]
	s_delay_alu instid0(VALU_DEP_1) | instskip(SKIP_2) | instid1(VALU_DEP_1)
	v_dot4_i32_iu8 v12, v19, v13, v12 neg_lo:[1,1,0]
	v_perm_b32 v13, v20, v126, 0x6050401
	v_perm_b32 v19, v128, v22, 0x6050401
	v_dot4_i32_iu8 v13, v19, v13, 0 neg_lo:[1,1,0]
	v_perm_b32 v19, v126, v21, 0x7060403
	s_set_vgpr_msb 4                        ;  msbs: dst=0 src0=0 src1=1 src2=0
	s_delay_alu instid0(VALU_DEP_2) | instskip(SKIP_1) | instid1(VALU_DEP_1)
	v_dot4_i32_iu8 v13, v235, v31 /*v287*/, v13 neg_lo:[1,1,0]
	s_set_vgpr_msb 1                        ;  msbs: dst=0 src0=1 src1=0 src2=0
	v_dot4_i32_iu8 v13, v6 /*v262*/, v19, v13 neg_lo:[1,1,0]
	s_set_vgpr_msb 0                        ;  msbs: dst=0 src0=0 src1=0 src2=0
	v_perm_b32 v19, v15, v2, 0x7060203
	v_perm_b32 v15, v3, v15, 0x5040001
	s_set_vgpr_msb 0x44                     ;  msbs: dst=1 src0=0 src1=1 src2=0
	v_perm_b32 v6 /*v262*/, v174, v11 /*v267*/, 0x5040001
	s_set_vgpr_msb 0                        ;  msbs: dst=0 src0=0 src1=0 src2=0
	v_dot4_i32_iu8 v13, v23, v127, v13 neg_lo:[1,1,0]
	s_set_vgpr_msb 16                       ;  msbs: dst=0 src0=0 src1=0 src2=1
	v_dot4_i32_iu8 v15, v15, v19, v16 /*v272*/ neg_lo:[1,1,0]
	s_set_vgpr_msb 1                        ;  msbs: dst=0 src0=1 src1=0 src2=0
	v_perm_b32 v19, v11 /*v267*/, v34, 0x7060203
	s_delay_alu instid0(VALU_DEP_1)
	v_dot4_i32_iu8 v19, v6 /*v262*/, v19, v8 neg_lo:[1,1,0]
	s_set_vgpr_msb 64                       ;  msbs: dst=1 src0=0 src1=0 src2=0
	v_perm_b32 v6 /*v262*/, v3, v2, 0x5040203
	s_set_vgpr_msb 0                        ;  msbs: dst=0 src0=0 src1=0 src2=0
	v_dot4_i32_iu8 v8, v125, v27, v12 neg_lo:[1,1,0]
	s_set_vgpr_msb 16                       ;  msbs: dst=0 src0=0 src1=0 src2=1
	v_dot4_i32_iu8 v12, v7, v125, v17 /*v273*/ neg_lo:[1,1,0]
	s_set_vgpr_msb 0x44                     ;  msbs: dst=1 src0=0 src1=1 src2=0
	v_dot4_i32_iu8 v11 /*v267*/, v31, v6 /*v262*/, v9 neg_lo:[1,1,0]
	s_set_vgpr_msb 16                       ;  msbs: dst=0 src0=0 src1=0 src2=1
	v_dot4_i32_iu8 v9, v127, v11, v18 /*v274*/ neg_lo:[1,1,0]
	v_mul_lo_u32 v8, v8, v238
	s_delay_alu instid0(VALU_DEP_2) | instskip(SKIP_1) | instid1(VALU_DEP_2)
	v_mul_lo_u32 v9, v9, v239
	s_set_vgpr_msb 0                        ;  msbs: dst=0 src0=0 src1=0 src2=0
	v_mad_u32 v8, v13, v239, v8
	v_mul_lo_u32 v13, v19, v236
	v_perm_b32 v19, v22, v149, 0x7060403
	s_delay_alu instid0(VALU_DEP_4) | instskip(SKIP_2) | instid1(VALU_DEP_3)
	v_mad_u32 v9, v12, v238, v9
	v_mul_lo_u32 v12, v15, v237
	v_cvt_f32_i32_e32 v8, v8
	v_cvt_f32_i32_e32 v9, v9
	s_set_vgpr_msb 1                        ;  msbs: dst=0 src0=1 src1=0 src2=0
	s_delay_alu instid0(VALU_DEP_3)
	v_mad_u32 v15, v13 /*v269*/, v236, v12
	v_mad_u32 v12, v11 /*v267*/, v237, v13
	s_set_vgpr_msb 0x51                     ;  msbs: dst=1 src0=1 src1=0 src2=1
	v_dot4_i32_iu8 v11 /*v267*/, v12 /*v268*/, v231, v19 /*v275*/ neg_lo:[1,1,0]
	s_set_vgpr_msb 0                        ;  msbs: dst=0 src0=0 src1=0 src2=0
	v_pk_fma_f32 v[8:9], v[16:17], v[8:9], 0 op_sel_hi:[1,1,0]
	s_delay_alu instid0(VALU_DEP_4) | instskip(NEXT) | instid1(VALU_DEP_4)
	v_cvt_f32_i32_e32 v13, v15
	v_cvt_f32_i32_e32 v12, v12
	v_perm_b32 v15, v26, v147, 0x7060403
	s_delay_alu instid0(VALU_DEP_2)
	v_pk_fma_f32 v[8:9], v[4:5], v[12:13], v[8:9]
	s_set_vgpr_msb 1                        ;  msbs: dst=0 src0=1 src1=0 src2=0
	v_perm_b32 v12, v9 /*v265*/, v161, 0x6040503
	s_set_vgpr_msb 0                        ;  msbs: dst=0 src0=0 src1=0 src2=0
	v_perm_b32 v13, v29, v154, 0x6040503
	v_pk_fma_f32 v[56:57], v[118:119], v[8:9], v[56:57]
	s_set_vgpr_msb 1                        ;  msbs: dst=0 src0=1 src1=0 src2=0
	v_perm_b32 v8, v8 /*v264*/, v159, 0x6040501
	s_set_vgpr_msb 4                        ;  msbs: dst=0 src0=0 src1=1 src2=0
	v_perm_b32 v9, v161, v10 /*v266*/, 0x6040501
	s_set_vgpr_msb 0                        ;  msbs: dst=0 src0=0 src1=0 src2=0
	s_delay_alu instid0(VALU_DEP_1) | instskip(SKIP_3) | instid1(VALU_DEP_1)
	v_dot4_i32_iu8 v8, v9, v8, 0 neg_lo:[1,1,0]
	s_set_vgpr_msb 4                        ;  msbs: dst=0 src0=0 src1=1 src2=0
	v_perm_b32 v9, v158, v8 /*v264*/, 0x6040503
	s_set_vgpr_msb 0                        ;  msbs: dst=0 src0=0 src1=0 src2=0
	v_dot4_i32_iu8 v8, v12, v9, v8 neg_lo:[1,1,0]
	v_perm_b32 v9, v28, v167, 0x6040501
	v_perm_b32 v12, v154, v30, 0x6040501
	s_set_vgpr_msb 4                        ;  msbs: dst=0 src0=0 src1=1 src2=0
	s_delay_alu instid0(VALU_DEP_3) | instskip(SKIP_1) | instid1(VALU_DEP_2)
	v_dot4_i32_iu8 v8, v177, v29 /*v285*/, v8 neg_lo:[1,1,0]
	s_set_vgpr_msb 0                        ;  msbs: dst=0 src0=0 src1=0 src2=0
	v_dot4_i32_iu8 v9, v12, v9, 0 neg_lo:[1,1,0]
	v_perm_b32 v12, v166, v28, 0x6040503
	s_delay_alu instid0(VALU_DEP_1) | instskip(SKIP_3) | instid1(VALU_DEP_3)
	v_dot4_i32_iu8 v9, v13, v12, v9 neg_lo:[1,1,0]
	v_perm_b32 v12, v24, v142, 0x6050401
	v_perm_b32 v13, v146, v26, 0x6050401
	s_set_vgpr_msb 4                        ;  msbs: dst=0 src0=0 src1=1 src2=0
	v_dot4_i32_iu8 v9, v246, v30 /*v286*/, v9 neg_lo:[1,1,0]
	s_set_vgpr_msb 0                        ;  msbs: dst=0 src0=0 src1=0 src2=0
	s_delay_alu instid0(VALU_DEP_2)
	v_dot4_i32_iu8 v12, v13, v12, 0 neg_lo:[1,1,0]
	v_perm_b32 v13, v142, v25, 0x7060403
	s_set_vgpr_msb 64                       ;  msbs: dst=1 src0=0 src1=0 src2=0
	v_dot4_i32_iu8 v13 /*v269*/, v31, v230, v9 neg_lo:[1,1,0]
	s_set_vgpr_msb 16                       ;  msbs: dst=0 src0=0 src1=0 src2=1
	v_dot4_i32_iu8 v9, v145, v11, v22 /*v278*/ neg_lo:[1,1,0]
	s_set_vgpr_msb 0                        ;  msbs: dst=0 src0=0 src1=0 src2=0
	v_dot4_i32_iu8 v12, v233, v18, v12 neg_lo:[1,1,0]
	s_delay_alu instid0(VALU_DEP_2) | instskip(NEXT) | instid1(VALU_DEP_2)
	v_mul_lo_u32 v9, v9, v228
	v_dot4_i32_iu8 v12, v15, v13, v12 neg_lo:[1,1,0]
	v_perm_b32 v13, v20, v144, 0x6050401
	v_perm_b32 v15, v148, v22, 0x6050401
	s_delay_alu instid0(VALU_DEP_1) | instskip(SKIP_2) | instid1(VALU_DEP_2)
	v_dot4_i32_iu8 v13, v15, v13, 0 neg_lo:[1,1,0]
	v_perm_b32 v15, v144, v21, 0x7060403
	s_set_vgpr_msb 5                        ;  msbs: dst=0 src0=1 src1=1 src2=0
	v_dot4_i32_iu8 v13, v3 /*v259*/, v31 /*v287*/, v13 neg_lo:[1,1,0]
	s_set_vgpr_msb 0                        ;  msbs: dst=0 src0=0 src1=0 src2=0
	s_delay_alu instid0(VALU_DEP_1)
	v_dot4_i32_iu8 v13, v19, v15, v13 neg_lo:[1,1,0]
	s_set_vgpr_msb 4                        ;  msbs: dst=0 src0=0 src1=1 src2=0
	v_dot4_i32_iu8 v15, v231, v32 /*v288*/, v8 neg_lo:[1,1,0]
	s_set_vgpr_msb 0                        ;  msbs: dst=0 src0=0 src1=0 src2=0
	v_dot4_i32_iu8 v8, v143, v27, v12 neg_lo:[1,1,0]
	s_set_vgpr_msb 20                       ;  msbs: dst=0 src0=0 src1=1 src2=1
	v_dot4_i32_iu8 v19, v230, v33 /*v289*/, v20 /*v276*/ neg_lo:[1,1,0]
	s_set_vgpr_msb 16                       ;  msbs: dst=0 src0=0 src1=0 src2=1
	v_dot4_i32_iu8 v12, v7, v143, v21 /*v277*/ neg_lo:[1,1,0]
	s_set_vgpr_msb 0                        ;  msbs: dst=0 src0=0 src1=0 src2=0
	v_dot4_i32_iu8 v13, v23, v145, v13 neg_lo:[1,1,0]
	v_mul_lo_u32 v8, v8, v229
	s_delay_alu instid0(VALU_DEP_3) | instskip(SKIP_1) | instid1(VALU_DEP_3)
	v_mad_u32 v9, v12, v229, v9
	v_mul_lo_u32 v12, v19, v227
	v_mad_u32 v8, v13, v228, v8
	v_mul_lo_u32 v13, v15, v179
	s_delay_alu instid0(VALU_DEP_4) | instskip(SKIP_1) | instid1(VALU_DEP_4)
	v_cvt_f32_i32_e32 v9, v9
	s_set_vgpr_msb 1                        ;  msbs: dst=0 src0=1 src1=0 src2=0
	v_mad_u32 v12, v11 /*v267*/, v179, v12
	s_set_vgpr_msb 0                        ;  msbs: dst=0 src0=0 src1=0 src2=0
	s_delay_alu instid0(VALU_DEP_4) | instskip(SKIP_1) | instid1(VALU_DEP_4)
	v_cvt_f32_i32_e32 v8, v8
	s_set_vgpr_msb 1                        ;  msbs: dst=0 src0=1 src1=0 src2=0
	v_mad_u32 v15, v13 /*v269*/, v227, v13
	s_set_vgpr_msb 0                        ;  msbs: dst=0 src0=0 src1=0 src2=0
	s_delay_alu instid0(VALU_DEP_3) | instskip(SKIP_1) | instid1(VALU_DEP_3)
	v_cvt_f32_i32_e32 v13, v12
	v_pk_fma_f32 v[8:9], v[16:17], v[8:9], 0 op_sel_hi:[1,1,0]
	v_cvt_f32_i32_e32 v12, v15
	v_perm_b32 v15, v26, v153, 0x7060403
	s_delay_alu instid0(VALU_DEP_2)
	v_pk_fma_f32 v[8:9], v[4:5], v[12:13], v[8:9]
	s_set_vgpr_msb 1                        ;  msbs: dst=0 src0=1 src1=0 src2=0
	v_perm_b32 v12, v9 /*v265*/, v165, 0x6040503
	s_set_vgpr_msb 0                        ;  msbs: dst=0 src0=0 src1=0 src2=0
	v_perm_b32 v13, v29, v156, 0x6040503
	v_pk_fma_f32 v[54:55], v[120:121], v[8:9], v[54:55]
	s_set_vgpr_msb 1                        ;  msbs: dst=0 src0=1 src1=0 src2=0
	v_perm_b32 v8, v8 /*v264*/, v163, 0x6040501
	s_set_vgpr_msb 4                        ;  msbs: dst=0 src0=0 src1=1 src2=0
	v_perm_b32 v9, v165, v10 /*v266*/, 0x6040501
	s_set_vgpr_msb 0                        ;  msbs: dst=0 src0=0 src1=0 src2=0
	s_delay_alu instid0(VALU_DEP_1) | instskip(SKIP_3) | instid1(VALU_DEP_1)
	v_dot4_i32_iu8 v8, v9, v8, 0 neg_lo:[1,1,0]
	s_set_vgpr_msb 4                        ;  msbs: dst=0 src0=0 src1=1 src2=0
	v_perm_b32 v9, v162, v8 /*v264*/, 0x6040503
	s_set_vgpr_msb 0                        ;  msbs: dst=0 src0=0 src1=0 src2=0
	v_dot4_i32_iu8 v8, v12, v9, v8 neg_lo:[1,1,0]
	v_perm_b32 v9, v28, v169, 0x6040501
	v_perm_b32 v12, v156, v30, 0x6040501
	s_set_vgpr_msb 4                        ;  msbs: dst=0 src0=0 src1=1 src2=0
	s_delay_alu instid0(VALU_DEP_3) | instskip(SKIP_1) | instid1(VALU_DEP_2)
	v_dot4_i32_iu8 v8, v178, v29 /*v285*/, v8 neg_lo:[1,1,0]
	s_set_vgpr_msb 0                        ;  msbs: dst=0 src0=0 src1=0 src2=0
	v_dot4_i32_iu8 v9, v12, v9, 0 neg_lo:[1,1,0]
	v_perm_b32 v12, v168, v28, 0x6040503
	s_set_vgpr_msb 4                        ;  msbs: dst=0 src0=0 src1=1 src2=0
	v_dot4_i32_iu8 v8, v157, v32 /*v288*/, v8 neg_lo:[1,1,0]
	s_set_vgpr_msb 0                        ;  msbs: dst=0 src0=0 src1=0 src2=0
	s_delay_alu instid0(VALU_DEP_2)
	v_dot4_i32_iu8 v9, v13, v12, v9 neg_lo:[1,1,0]
	v_perm_b32 v12, v24, v132, 0x6050401
	v_perm_b32 v13, v152, v26, 0x6050401
	v_mul_lo_u32 v8, v8, v32
	s_set_vgpr_msb 4                        ;  msbs: dst=0 src0=0 src1=1 src2=0
	v_dot4_i32_iu8 v9, v232, v30 /*v286*/, v9 neg_lo:[1,1,0]
	s_set_vgpr_msb 0                        ;  msbs: dst=0 src0=0 src1=0 src2=0
	v_dot4_i32_iu8 v12, v13, v12, 0 neg_lo:[1,1,0]
	v_perm_b32 v13, v132, v25, 0x7060403
	s_delay_alu instid0(VALU_DEP_3) | instskip(NEXT) | instid1(VALU_DEP_3)
	v_dot4_i32_iu8 v9, v31, v164, v9 neg_lo:[1,1,0]
	v_dot4_i32_iu8 v12, v171, v18, v12 neg_lo:[1,1,0]
	v_perm_b32 v18, v22, v151, 0x7060403
	s_delay_alu instid0(VALU_DEP_3) | instskip(NEXT) | instid1(VALU_DEP_3)
	v_mad_u32 v8, v9, v35, v8
	v_dot4_i32_iu8 v12, v15, v13, v12 neg_lo:[1,1,0]
	v_perm_b32 v13, v20, v0, 0x6050401
	v_perm_b32 v15, v150, v22, 0x6050401
	s_delay_alu instid0(VALU_DEP_3) | instskip(NEXT) | instid1(VALU_DEP_2)
	v_dot4_i32_iu8 v12, v133, v27, v12 neg_lo:[1,1,0]
	v_dot4_i32_iu8 v13, v15, v13, 0 neg_lo:[1,1,0]
	v_perm_b32 v15, v0, v21, 0x7060403
	v_cvt_f32_i32_e32 v8, v8
	s_delay_alu instid0(VALU_DEP_4) | instskip(SKIP_3) | instid1(VALU_DEP_1)
	v_mul_lo_u32 v11, v12, v160
	s_set_vgpr_msb 5                        ;  msbs: dst=0 src0=1 src1=1 src2=0
	v_dot4_i32_iu8 v13, v0 /*v256*/, v31 /*v287*/, v13 neg_lo:[1,1,0]
	s_set_vgpr_msb 0                        ;  msbs: dst=0 src0=0 src1=0 src2=0
	v_dot4_i32_iu8 v13, v18, v15, v13 neg_lo:[1,1,0]
	s_set_vgpr_msb 17                       ;  msbs: dst=0 src0=1 src1=0 src2=1
	v_dot4_i32_iu8 v15, v12 /*v268*/, v157, v23 /*v279*/ neg_lo:[1,1,0]
	s_set_vgpr_msb 0                        ;  msbs: dst=0 src0=0 src1=0 src2=0
	s_delay_alu instid0(VALU_DEP_2) | instskip(NEXT) | instid1(VALU_DEP_2)
	v_dot4_i32_iu8 v7, v23, v1, v13 neg_lo:[1,1,0]
	v_mad_u32 v9, v15, v32, v10
	s_delay_alu instid0(VALU_DEP_2) | instskip(SKIP_1) | instid1(VALU_DEP_3)
	v_mad_u32 v11, v7, v155, v11
	v_cvt_f32_i32_e32 v7, v6
	v_cvt_f32_i32_e32 v9, v9
	s_delay_alu instid0(VALU_DEP_3) | instskip(NEXT) | instid1(VALU_DEP_1)
	v_cvt_f32_i32_e32 v6, v11
	v_pk_fma_f32 v[6:7], v[16:17], v[6:7], 0 op_sel_hi:[1,1,0]
	s_delay_alu instid0(VALU_DEP_1) | instskip(NEXT) | instid1(VALU_DEP_1)
	v_pk_fma_f32 v[4:5], v[4:5], v[8:9], v[6:7]
	v_pk_fma_f32 v[52:53], v[122:123], v[4:5], v[52:53]
	v_or_b32_e32 v4, s12, v197
	s_delay_alu instid0(VALU_DEP_1)
	v_lshlrev_b32_e32 v16, 2, v4
	s_set_vgpr_msb 64                       ;  msbs: dst=1 src0=0 src1=0 src2=0
	v_lshrrev_b32_e32 v12 /*v268*/, 1, v4
	s_set_vgpr_msb 0                        ;  msbs: dst=0 src0=0 src1=0 src2=0
	ds_load_b128 v[8:11], v16 offset:33280
	ds_load_b128 v[4:7], v16 offset:33296
	;; [unrolled: 1-line block ×4, first 2 shown]
	s_wait_dscnt 0x3
	v_perm_b32 v30, v10, v139, 0x7060403
	s_wait_dscnt 0x2
	v_perm_b32 v29, v5, v140, 0x6040503
	s_wait_dscnt 0x1
	v_bfe_i32 v20, v14, 8, 8
	s_wait_dscnt 0x0
	v_perm_b32 v24, v16, v18, 0x6040501
	v_perm_b32 v25, v17, v16, 0x6040503
	v_bfe_i32 v21, v12, 8, 8
	v_perm_b32 v26, v18, v17, 0x7060403
	v_mul_i32_i24_e32 v20, v20, v175
	s_set_vgpr_msb 4                        ;  msbs: dst=0 src0=0 src1=1 src2=0
	v_dot4_i32_iu8 v24, v24, v1 /*v257*/, 0 neg_lo:[1,1,0]
	s_set_vgpr_msb 0                        ;  msbs: dst=0 src0=0 src1=0 src2=0
	v_perm_b32 v27, v170, v14, 0x6040501
	v_bfe_i32 v22, v14, 16, 8
	v_ashrrev_i32_e32 v23, 24, v14
	v_mad_i32_i24 v20, v21, v176, v20
	s_set_vgpr_msb 4                        ;  msbs: dst=0 src0=0 src1=1 src2=0
	v_dot4_i32_iu8 v24, v25, v2 /*v258*/, v24 neg_lo:[1,1,0]
	s_set_vgpr_msb 0                        ;  msbs: dst=0 src0=0 src1=0 src2=0
	v_perm_b32 v21, v13, v12, 0x5030200
	v_perm_b32 v28, v13, v170, 0x6040503
	v_mul_i32_i24_e32 v22, v253, v22
	v_mul_i32_i24_e32 v23, v252, v23
	s_set_vgpr_msb 64                       ;  msbs: dst=1 src0=0 src1=0 src2=0
	v_dot4_i32_iu8 v13 /*v269*/, v26, v255, v24 neg_lo:[1,1,0]
	s_set_vgpr_msb 0                        ;  msbs: dst=0 src0=0 src1=0 src2=0
	v_perm_b32 v24, v12, v173, 0x6040501
	v_dot4_i32_iu8 v20, v251, v21, v20 neg_lo:[1,1,0]
	v_perm_b32 v21, v14, v13, 0x4030200
	s_set_vgpr_msb 64                       ;  msbs: dst=1 src0=0 src1=0 src2=0
	v_perm_b32 v35 /*v291*/, v19, v19, 0x7060001
	v_perm_b32 v34 /*v290*/, v15, v15, 0x7060001
	s_set_vgpr_msb 0                        ;  msbs: dst=0 src0=0 src1=0 src2=0
	v_dot4_i32_iu8 v24, v27, v24, 0 neg_lo:[1,1,0]
	v_perm_b32 v27, v172, v12, 0x6040503
	v_dot4_i32_iu8 v20, v254, v21, v20 neg_lo:[1,1,0]
	v_perm_b32 v21, v130, v6, 0x6050401
	s_set_vgpr_msb 17                       ;  msbs: dst=0 src0=1 src1=0 src2=1
	v_dot4_i32_iu8 v19, v35 /*v291*/, v245, v13 /*v269*/ neg_lo:[1,1,0]
	s_set_vgpr_msb 0                        ;  msbs: dst=0 src0=0 src1=0 src2=0
	v_dot4_i32_iu8 v24, v28, v27, v24 neg_lo:[1,1,0]
	v_perm_b32 v27, v14, v13, 0x7060403
	v_perm_b32 v28, v140, v6, 0x6050401
	s_set_vgpr_msb 64                       ;  msbs: dst=1 src0=0 src1=0 src2=0
	v_add3_u32 v18 /*v274*/, v20, v22, v23
	s_set_vgpr_msb 0                        ;  msbs: dst=0 src0=0 src1=0 src2=0
	v_perm_b32 v20, v4, v124, 0x6050401
	v_perm_b32 v22, v124, v5, 0x7060403
	s_set_vgpr_msb 0x41                     ;  msbs: dst=1 src0=1 src1=0 src2=0
	v_dot4_i32_iu8 v14 /*v270*/, v4 /*v260*/, v27, v24 neg_lo:[1,1,0]
	s_set_vgpr_msb 0                        ;  msbs: dst=0 src0=0 src1=0 src2=0
	v_perm_b32 v24, v4, v134, 0x6050401
	v_perm_b32 v23, v6, v131, 0x7060403
	v_dot4_i32_iu8 v20, v21, v20, 0 neg_lo:[1,1,0]
	v_perm_b32 v21, v5, v4, 0x6040503
	s_set_vgpr_msb 0x54                     ;  msbs: dst=1 src0=0 src1=1 src2=1
	v_dot4_i32_iu8 v14 /*v270*/, v244, v34 /*v290*/, v14 /*v270*/ neg_lo:[1,1,0]
	s_set_vgpr_msb 0                        ;  msbs: dst=0 src0=0 src1=0 src2=0
	v_dot4_i32_iu8 v24, v28, v24, 0 neg_lo:[1,1,0]
	v_perm_b32 v28, v141, v4, 0x6040503
	v_dot4_i32_iu8 v20, v234, v21, v20 neg_lo:[1,1,0]
	s_delay_alu instid0(VALU_DEP_2) | instskip(SKIP_2) | instid1(VALU_DEP_3)
	v_dot4_i32_iu8 v24, v29, v28, v24 neg_lo:[1,1,0]
	v_perm_b32 v28, v6, v5, 0x7060403
	s_set_vgpr_msb 64                       ;  msbs: dst=1 src0=0 src1=0 src2=0
	v_dot4_i32_iu8 v19 /*v275*/, v23, v22, v20 neg_lo:[1,1,0]
	s_set_vgpr_msb 0                        ;  msbs: dst=0 src0=0 src1=0 src2=0
	v_perm_b32 v20, v8, v126, 0x6050401
	v_perm_b32 v22, v128, v10, 0x6050401
	;; [unrolled: 1-line block ×3, first 2 shown]
	s_set_vgpr_msb 64                       ;  msbs: dst=1 src0=0 src1=0 src2=0
	v_dot4_i32_iu8 v15 /*v271*/, v28, v247, v24 neg_lo:[1,1,0]
	s_set_vgpr_msb 0                        ;  msbs: dst=0 src0=0 src1=0 src2=0
	v_perm_b32 v24, v8, v136, 0x6050401
	v_perm_b32 v28, v138, v10, 0x6050401
	v_dot4_i32_iu8 v20, v22, v20, 0 neg_lo:[1,1,0]
	v_perm_b32 v22, v126, v9, 0x7060403
	v_perm_b32 v29, v136, v9, 0x7060403
	s_delay_alu instid0(VALU_DEP_4) | instskip(SKIP_1) | instid1(VALU_DEP_1)
	v_dot4_i32_iu8 v24, v28, v24, 0 neg_lo:[1,1,0]
	v_perm_b32 v28, v9, v8, 0x6040503
	v_dot4_i32_iu8 v20, v235, v28, v20 neg_lo:[1,1,0]
	s_set_vgpr_msb 1                        ;  msbs: dst=0 src0=1 src1=0 src2=0
	s_delay_alu instid0(VALU_DEP_3) | instskip(SKIP_1) | instid1(VALU_DEP_2)
	v_dot4_i32_iu8 v24, v5 /*v261*/, v28, v24 neg_lo:[1,1,0]
	s_set_vgpr_msb 64                       ;  msbs: dst=1 src0=0 src1=0 src2=0
	v_dot4_i32_iu8 v20 /*v276*/, v23, v22, v20 neg_lo:[1,1,0]
	s_set_vgpr_msb 0                        ;  msbs: dst=0 src0=0 src1=0 src2=0
	v_perm_b32 v20, v16, v159, 0x6040501
	v_perm_b32 v22, v161, v18, 0x6040501
	;; [unrolled: 1-line block ×3, first 2 shown]
	s_set_vgpr_msb 64                       ;  msbs: dst=1 src0=0 src1=0 src2=0
	v_dot4_i32_iu8 v16 /*v272*/, v30, v29, v24 neg_lo:[1,1,0]
	s_set_vgpr_msb 0                        ;  msbs: dst=0 src0=0 src1=0 src2=0
	v_perm_b32 v29, v18, v18, 0xc0c0c01
	v_perm_b32 v18, v165, v18, 0x6040501
	v_dot4_i32_iu8 v20, v22, v20, 0 neg_lo:[1,1,0]
	v_perm_b32 v22, v158, v16, 0x6040503
	v_perm_b32 v24, v16, v33, 0x6040503
	;; [unrolled: 1-line block ×3, first 2 shown]
	v_or_b32_e32 v29, v248, v29
	s_delay_alu instid0(VALU_DEP_4)
	v_dot4_i32_iu8 v20, v23, v22, v20 neg_lo:[1,1,0]
	v_perm_b32 v22, v154, v14, 0x6040501
	v_perm_b32 v23, v13, v154, 0x6040503
	;; [unrolled: 1-line block ×4, first 2 shown]
	s_set_vgpr_msb 64                       ;  msbs: dst=1 src0=0 src1=0 src2=0
	v_dot4_i32_iu8 v21 /*v277*/, v177, v26, v20 neg_lo:[1,1,0]
	s_set_vgpr_msb 0                        ;  msbs: dst=0 src0=0 src1=0 src2=0
	v_perm_b32 v20, v12, v167, 0x6040501
	v_dot4_i32_iu8 v24, v29, v24, 0 neg_lo:[1,1,0]
	s_delay_alu instid0(VALU_DEP_2) | instskip(SKIP_1) | instid1(VALU_DEP_3)
	v_dot4_i32_iu8 v20, v22, v20, 0 neg_lo:[1,1,0]
	v_perm_b32 v22, v166, v12, 0x6040503
	v_dot4_i32_iu8 v24, v25, v249, v24 neg_lo:[1,1,0]
	s_delay_alu instid0(VALU_DEP_2)
	v_dot4_i32_iu8 v20, v23, v22, v20 neg_lo:[1,1,0]
	v_perm_b32 v22, v146, v6, 0x6050401
	v_perm_b32 v23, v6, v147, 0x7060403
	s_set_vgpr_msb 64                       ;  msbs: dst=1 src0=0 src1=0 src2=0
	v_dot4_i32_iu8 v17 /*v273*/, v250, v26, v24 neg_lo:[1,1,0]
	v_dot4_i32_iu8 v22 /*v278*/, v246, v27, v20 neg_lo:[1,1,0]
	s_set_vgpr_msb 0                        ;  msbs: dst=0 src0=0 src1=0 src2=0
	v_perm_b32 v20, v4, v142, 0x6050401
	v_perm_b32 v4, v4, v132, 0x6050401
	s_delay_alu instid0(VALU_DEP_2) | instskip(SKIP_2) | instid1(VALU_DEP_3)
	v_dot4_i32_iu8 v20, v22, v20, 0 neg_lo:[1,1,0]
	v_perm_b32 v22, v142, v5, 0x7060403
	v_perm_b32 v5, v132, v5, 0x7060403
	v_dot4_i32_iu8 v20, v233, v21, v20 neg_lo:[1,1,0]
	s_set_vgpr_msb 64                       ;  msbs: dst=1 src0=0 src1=0 src2=0
	s_delay_alu instid0(VALU_DEP_1) | instskip(SKIP_4) | instid1(VALU_DEP_2)
	v_dot4_i32_iu8 v23 /*v279*/, v23, v22, v20 neg_lo:[1,1,0]
	s_set_vgpr_msb 0                        ;  msbs: dst=0 src0=0 src1=0 src2=0
	v_perm_b32 v20, v8, v144, 0x6050401
	v_perm_b32 v22, v148, v10, 0x6050401
	;; [unrolled: 1-line block ×3, first 2 shown]
	v_dot4_i32_iu8 v20, v22, v20, 0 neg_lo:[1,1,0]
	v_perm_b32 v22, v144, v9, 0x7060403
	s_set_vgpr_msb 1                        ;  msbs: dst=0 src0=1 src1=0 src2=0
	s_delay_alu instid0(VALU_DEP_2) | instskip(SKIP_1) | instid1(VALU_DEP_1)
	v_dot4_i32_iu8 v20, v3 /*v259*/, v28, v20 neg_lo:[1,1,0]
	s_set_vgpr_msb 64                       ;  msbs: dst=1 src0=0 src1=0 src2=0
	v_dot4_i32_iu8 v24 /*v280*/, v23, v22, v20 neg_lo:[1,1,0]
	s_set_vgpr_msb 0                        ;  msbs: dst=0 src0=0 src1=0 src2=0
	v_perm_b32 v20, v16, v163, 0x6040501
	v_perm_b32 v16, v162, v16, 0x6040503
	s_delay_alu instid0(VALU_DEP_2) | instskip(NEXT) | instid1(VALU_DEP_1)
	v_dot4_i32_iu8 v18, v18, v20, 0 neg_lo:[1,1,0]
	v_dot4_i32_iu8 v16, v17, v16, v18 neg_lo:[1,1,0]
	s_set_vgpr_msb 64                       ;  msbs: dst=1 src0=0 src1=0 src2=0
	s_delay_alu instid0(VALU_DEP_1) | instskip(SKIP_3) | instid1(VALU_DEP_2)
	v_dot4_i32_iu8 v25 /*v281*/, v178, v26, v16 neg_lo:[1,1,0]
	s_set_vgpr_msb 0                        ;  msbs: dst=0 src0=0 src1=0 src2=0
	v_perm_b32 v16, v12, v169, 0x6040501
	v_perm_b32 v12, v168, v12, 0x6040503
	v_dot4_i32_iu8 v14, v14, v16, 0 neg_lo:[1,1,0]
	s_delay_alu instid0(VALU_DEP_1) | instskip(NEXT) | instid1(VALU_DEP_1)
	v_dot4_i32_iu8 v12, v13, v12, v14 neg_lo:[1,1,0]
	v_dot4_i32_iu8 v14, v232, v27, v12 neg_lo:[1,1,0]
	v_perm_b32 v12, v152, v6, 0x6050401
	v_perm_b32 v6, v6, v153, 0x7060403
	s_set_vgpr_msb 4                        ;  msbs: dst=0 src0=0 src1=1 src2=0
	s_delay_alu instid0(VALU_DEP_3) | instskip(SKIP_2) | instid1(VALU_DEP_1)
	v_dot4_i32_iu8 v14, v164, v34 /*v290*/, v14 neg_lo:[1,1,0]
	s_set_vgpr_msb 0                        ;  msbs: dst=0 src0=0 src1=0 src2=0
	v_dot4_i32_iu8 v4, v12, v4, 0 neg_lo:[1,1,0]
	v_dot4_i32_iu8 v4, v171, v21, v4 neg_lo:[1,1,0]
	s_delay_alu instid0(VALU_DEP_1) | instskip(SKIP_3) | instid1(VALU_DEP_4)
	v_dot4_i32_iu8 v6, v6, v5, v4 neg_lo:[1,1,0]
	v_perm_b32 v4, v8, v0, 0x6050401
	v_perm_b32 v5, v150, v10, 0x6050401
	;; [unrolled: 1-line block ×3, first 2 shown]
	v_dot4_i32_iu8 v6, v7, v133, v6 neg_lo:[1,1,0]
	s_delay_alu instid0(VALU_DEP_3) | instskip(SKIP_2) | instid1(VALU_DEP_2)
	v_dot4_i32_iu8 v4, v5, v4, 0 neg_lo:[1,1,0]
	v_perm_b32 v5, v0, v9, 0x7060403
	s_set_vgpr_msb 1                        ;  msbs: dst=0 src0=1 src1=0 src2=0
	v_dot4_i32_iu8 v4, v0 /*v256*/, v28, v4 neg_lo:[1,1,0]
	s_set_vgpr_msb 0                        ;  msbs: dst=0 src0=0 src1=0 src2=0
	s_delay_alu instid0(VALU_DEP_1) | instskip(SKIP_1) | instid1(VALU_DEP_2)
	v_dot4_i32_iu8 v10, v8, v5, v4 neg_lo:[1,1,0]
	v_or_b32_e32 v4, s12, v198
	v_dot4_i32_iu8 v10, v1, v11, v10 neg_lo:[1,1,0]
	s_delay_alu instid0(VALU_DEP_2)
	v_dual_lshlrev_b32 v5, 2, v4 :: v_dual_lshrrev_b32 v8, 1, v4
	ds_load_b128 v[20:23], v5 offset:33280
	ds_load_b128 v[24:27], v5 offset:33296
	ds_load_b128 v[28:31], v5 offset:33312
	s_set_vgpr_msb 64                       ;  msbs: dst=1 src0=0 src1=0 src2=0
	ds_load_b128 v[8:11] /*v[264:267]*/, v5 offset:33328
	s_set_vgpr_msb 0                        ;  msbs: dst=0 src0=0 src1=0 src2=0
	v_mul_lo_u32 v10, v10, v155
	s_delay_alu instid0(VALU_DEP_1)
	v_mad_u32 v6, v6, v160, v10
	v_mul_lo_u32 v10, v14, v35
	s_wait_dscnt 0x3
	s_set_vgpr_msb 64                       ;  msbs: dst=1 src0=0 src1=0 src2=0
	v_perm_b32 v33 /*v289*/, v21, v20, 0x6040503
	s_wait_dscnt 0x1
	s_set_vgpr_msb 0                        ;  msbs: dst=0 src0=0 src1=0 src2=0
	v_perm_b32 v5, v170, v30, 0x6040501
	s_wait_dscnt 0x0
	s_set_vgpr_msb 5                        ;  msbs: dst=0 src0=1 src1=1 src2=0
	v_perm_b32 v4, v8 /*v264*/, v10 /*v266*/, 0x6040501
	s_set_vgpr_msb 0x45                     ;  msbs: dst=1 src0=1 src1=1 src2=0
	v_perm_b32 v30 /*v286*/, v9 /*v265*/, v8 /*v264*/, 0x6040503
	v_perm_b32 v31 /*v287*/, v10 /*v266*/, v9 /*v265*/, 0x7060403
	s_set_vgpr_msb 0                        ;  msbs: dst=0 src0=0 src1=0 src2=0
	v_perm_b32 v9, v29, v170, 0x6040503
	s_set_vgpr_msb 64                       ;  msbs: dst=1 src0=0 src1=0 src2=0
	v_perm_b32 v32 /*v288*/, v30, v29, 0x7060403
	s_set_vgpr_msb 4                        ;  msbs: dst=0 src0=0 src1=1 src2=0
	v_dot4_i32_iu8 v4, v4, v1 /*v257*/, 0 neg_lo:[1,1,0]
	s_set_vgpr_msb 0                        ;  msbs: dst=0 src0=0 src1=0 src2=0
	v_perm_b32 v31, v31, v31, 0x7060001
	s_set_vgpr_msb 64                       ;  msbs: dst=1 src0=0 src1=0 src2=0
	v_bfe_i32 v26 /*v282*/, v30, 8, 8
	v_bfe_i32 v27 /*v283*/, v28, 8, 8
	;; [unrolled: 1-line block ×3, first 2 shown]
	s_set_vgpr_msb 5                        ;  msbs: dst=0 src0=1 src1=1 src2=0
	v_dot4_i32_iu8 v4, v30 /*v286*/, v2 /*v258*/, v4 neg_lo:[1,1,0]
	s_set_vgpr_msb 64                       ;  msbs: dst=1 src0=0 src1=0 src2=0
	v_ashrrev_i32_e32 v29 /*v285*/, 24, v30
	s_set_vgpr_msb 1                        ;  msbs: dst=0 src0=1 src1=0 src2=0
	s_delay_alu instid0(VALU_DEP_2) | instskip(SKIP_2) | instid1(VALU_DEP_1)
	v_dot4_i32_iu8 v12, v31 /*v287*/, v255, v4 neg_lo:[1,1,0]
	s_set_vgpr_msb 0                        ;  msbs: dst=0 src0=0 src1=0 src2=0
	v_perm_b32 v4, v28, v173, 0x6040501
	v_dot4_i32_iu8 v4, v5, v4, 0 neg_lo:[1,1,0]
	v_perm_b32 v5, v172, v28, 0x6040503
	s_delay_alu instid0(VALU_DEP_1) | instskip(SKIP_3) | instid1(VALU_DEP_3)
	v_dot4_i32_iu8 v4, v9, v5, v4 neg_lo:[1,1,0]
	v_perm_b32 v5, v140, v26, 0x6050401
	v_perm_b32 v9, v25, v140, 0x6040503
	s_set_vgpr_msb 5                        ;  msbs: dst=0 src0=1 src1=1 src2=0
	v_dot4_i32_iu8 v13, v4 /*v260*/, v32 /*v288*/, v4 neg_lo:[1,1,0]
	s_set_vgpr_msb 0                        ;  msbs: dst=0 src0=0 src1=0 src2=0
	v_perm_b32 v4, v24, v134, 0x6050401
	s_set_vgpr_msb 64                       ;  msbs: dst=1 src0=0 src1=0 src2=0
	s_delay_alu instid0(VALU_DEP_2) | instskip(SKIP_1) | instid1(VALU_DEP_2)
	v_dot4_i32_iu8 v13 /*v269*/, v31, v244, v13 neg_lo:[1,1,0]
	s_set_vgpr_msb 16                       ;  msbs: dst=0 src0=0 src1=0 src2=1
	v_dot4_i32_iu8 v4, v5, v4, 0 neg_lo:[1,1,0]
	v_perm_b32 v5, v141, v24, 0x6040503
	v_dot4_i32_iu8 v13, v137, v11, v16 /*v272*/ neg_lo:[1,1,0]
	s_set_vgpr_msb 0                        ;  msbs: dst=0 src0=0 src1=0 src2=0
	s_delay_alu instid0(VALU_DEP_2) | instskip(SKIP_3) | instid1(VALU_DEP_3)
	v_dot4_i32_iu8 v4, v9, v5, v4 neg_lo:[1,1,0]
	v_perm_b32 v5, v26, v25, 0x7060403
	v_perm_b32 v9, v22, v139, 0x7060403
	v_mul_lo_u32 v13, v13, v242
	v_dot4_i32_iu8 v16, v5, v247, v4 neg_lo:[1,1,0]
	v_perm_b32 v4, v20, v136, 0x6050401
	v_perm_b32 v5, v138, v22, 0x6050401
	s_delay_alu instid0(VALU_DEP_1) | instskip(SKIP_2) | instid1(VALU_DEP_2)
	v_dot4_i32_iu8 v4, v5, v4, 0 neg_lo:[1,1,0]
	v_perm_b32 v5, v136, v21, 0x7060403
	s_set_vgpr_msb 5                        ;  msbs: dst=0 src0=1 src1=1 src2=0
	v_dot4_i32_iu8 v4, v5 /*v261*/, v33 /*v289*/, v4 neg_lo:[1,1,0]
	s_set_vgpr_msb 0                        ;  msbs: dst=0 src0=0 src1=0 src2=0
	s_delay_alu instid0(VALU_DEP_1)
	v_dot4_i32_iu8 v17, v9, v5, v4 neg_lo:[1,1,0]
	s_set_vgpr_msb 1                        ;  msbs: dst=0 src0=1 src1=0 src2=0
	ds_load_b64 v[4:5], v12 /*v268*/ offset:43584
	s_set_vgpr_msb 0                        ;  msbs: dst=0 src0=0 src1=0 src2=0
	ds_load_b64 v[8:9], v8 offset:43584
	s_set_vgpr_msb 0x45                     ;  msbs: dst=1 src0=1 src1=1 src2=0
	v_perm_b32 v12 /*v268*/, v11 /*v267*/, v11 /*v267*/, 0x7060001
	s_set_vgpr_msb 0                        ;  msbs: dst=0 src0=0 src1=0 src2=0
	v_dot4_i32_iu8 v17, v23, v137, v17 neg_lo:[1,1,0]
	s_set_vgpr_msb 4                        ;  msbs: dst=0 src0=0 src1=1 src2=0
	s_delay_alu instid0(VALU_DEP_2) | instskip(SKIP_4) | instid1(VALU_DEP_2)
	v_dot4_i32_iu8 v18, v245, v12 /*v268*/, v12 neg_lo:[1,1,0]
	s_set_vgpr_msb 0                        ;  msbs: dst=0 src0=0 src1=0 src2=0
	v_dot4_i32_iu8 v12, v135, v27, v16 neg_lo:[1,1,0]
	s_set_vgpr_msb 16                       ;  msbs: dst=0 src0=0 src1=0 src2=1
	v_dot4_i32_iu8 v16, v7, v135, v15 /*v271*/ neg_lo:[1,1,0]
	v_mul_lo_u32 v12, v12, v243
	s_set_vgpr_msb 0                        ;  msbs: dst=0 src0=0 src1=0 src2=0
	s_delay_alu instid0(VALU_DEP_2) | instskip(SKIP_3) | instid1(VALU_DEP_4)
	v_mad_u32 v13, v16, v243, v13
	s_wait_dscnt 0x0
	v_mov_b32_e32 v16, v8
	v_mul_lo_u32 v8, v18, v241
	v_mad_u32 v12, v17, v242, v12
	v_mov_b32_e32 v17, v4
	s_set_vgpr_msb 1                        ;  msbs: dst=0 src0=1 src1=0 src2=0
	v_mul_lo_u32 v4, v14 /*v270*/, v240
	s_set_vgpr_msb 0                        ;  msbs: dst=0 src0=0 src1=0 src2=0
	v_cvt_f32_i32_e32 v13, v13
	s_set_vgpr_msb 1                        ;  msbs: dst=0 src0=1 src1=0 src2=0
	v_mad_u32 v8, v13 /*v269*/, v240, v8
	s_set_vgpr_msb 64                       ;  msbs: dst=1 src0=0 src1=0 src2=0
	v_perm_b32 v13 /*v269*/, v22, v129, 0x7060403
	s_set_vgpr_msb 0                        ;  msbs: dst=0 src0=0 src1=0 src2=0
	v_cvt_f32_i32_e32 v12, v12
	v_mad_u32 v4, v19, v241, v4
	s_delay_alu instid0(VALU_DEP_4) | instskip(NEXT) | instid1(VALU_DEP_2)
	v_cvt_f32_i32_e32 v18, v8
	v_cvt_f32_i32_e32 v19, v4
	v_mov_b32_e32 v4, v9
	v_pk_fma_f32 v[12:13], v[16:17], v[12:13], 0 op_sel_hi:[1,1,0]
	s_delay_alu instid0(VALU_DEP_1)
	v_pk_fma_f32 v[8:9], v[4:5], v[18:19], v[12:13]
	v_perm_b32 v18, v29, v28, 0x5030200
	s_set_vgpr_msb 4                        ;  msbs: dst=0 src0=0 src1=1 src2=0
	v_mul_i32_i24_e32 v12, v253, v28 /*v284*/
	v_mul_i32_i24_e32 v13, v252, v29 /*v285*/
	s_set_vgpr_msb 0                        ;  msbs: dst=0 src0=0 src1=0 src2=0
	v_perm_b32 v19, v26, v131, 0x7060403
	v_pk_fma_f32 v[50:51], v[116:117], v[8:9], v[50:51]
	s_set_vgpr_msb 5                        ;  msbs: dst=0 src0=1 src1=1 src2=0
	v_perm_b32 v9, v10 /*v266*/, v10 /*v266*/, 0xc0c0c01
	s_set_vgpr_msb 1                        ;  msbs: dst=0 src0=1 src1=0 src2=0
	v_perm_b32 v8, v8 /*v264*/, v33, 0x6040503
	s_set_vgpr_msb 0                        ;  msbs: dst=0 src0=0 src1=0 src2=0
	s_delay_alu instid0(VALU_DEP_2) | instskip(NEXT) | instid1(VALU_DEP_1)
	v_or_b32_e32 v9, v248, v9
	v_dot4_i32_iu8 v8, v9, v8, 0 neg_lo:[1,1,0]
	s_set_vgpr_msb 1                        ;  msbs: dst=0 src0=1 src1=0 src2=0
	v_mul_i32_i24_e32 v9, v26 /*v282*/, v175
	s_delay_alu instid0(VALU_DEP_2) | instskip(NEXT) | instid1(VALU_DEP_2)
	v_dot4_i32_iu8 v8, v30 /*v286*/, v249, v8 neg_lo:[1,1,0]
	v_mad_i32_i24 v9, v27 /*v283*/, v176, v9
	s_set_vgpr_msb 4                        ;  msbs: dst=0 src0=0 src1=1 src2=0
	s_delay_alu instid0(VALU_DEP_2) | instskip(SKIP_1) | instid1(VALU_DEP_2)
	v_dot4_i32_iu8 v8, v250, v31 /*v287*/, v8 neg_lo:[1,1,0]
	s_set_vgpr_msb 0                        ;  msbs: dst=0 src0=0 src1=0 src2=0
	v_dot4_i32_iu8 v9, v251, v18, v9 neg_lo:[1,1,0]
	v_perm_b32 v18, v30, v29, 0x4030200
	s_delay_alu instid0(VALU_DEP_1) | instskip(SKIP_1) | instid1(VALU_DEP_2)
	v_dot4_i32_iu8 v9, v254, v18, v9 neg_lo:[1,1,0]
	v_perm_b32 v18, v25, v24, 0x6040503
	v_add3_u32 v9, v9, v12, v13
	v_perm_b32 v12, v24, v124, 0x6050401
	v_perm_b32 v13, v130, v26, 0x6050401
	s_delay_alu instid0(VALU_DEP_1) | instskip(SKIP_1) | instid1(VALU_DEP_2)
	v_dot4_i32_iu8 v12, v13, v12, 0 neg_lo:[1,1,0]
	v_perm_b32 v13, v124, v25, 0x7060403
	v_dot4_i32_iu8 v12, v234, v18, v12 neg_lo:[1,1,0]
	s_delay_alu instid0(VALU_DEP_1) | instskip(SKIP_2) | instid1(VALU_DEP_1)
	v_dot4_i32_iu8 v12, v19, v13, v12 neg_lo:[1,1,0]
	v_perm_b32 v13, v20, v126, 0x6050401
	v_perm_b32 v19, v128, v22, 0x6050401
	v_dot4_i32_iu8 v13, v19, v13, 0 neg_lo:[1,1,0]
	v_perm_b32 v19, v126, v21, 0x7060403
	s_set_vgpr_msb 4                        ;  msbs: dst=0 src0=0 src1=1 src2=0
	s_delay_alu instid0(VALU_DEP_2) | instskip(SKIP_1) | instid1(VALU_DEP_1)
	v_dot4_i32_iu8 v13, v235, v33 /*v289*/, v13 neg_lo:[1,1,0]
	s_set_vgpr_msb 1                        ;  msbs: dst=0 src0=1 src1=0 src2=0
	v_dot4_i32_iu8 v13, v13 /*v269*/, v19, v13 neg_lo:[1,1,0]
	s_set_vgpr_msb 0                        ;  msbs: dst=0 src0=0 src1=0 src2=0
	v_perm_b32 v19, v15, v2, 0x7060203
	v_perm_b32 v15, v3, v15, 0x5040001
	s_set_vgpr_msb 0x55                     ;  msbs: dst=1 src0=1 src1=1 src2=1
	v_dot4_i32_iu8 v13 /*v269*/, v35 /*v291*/, v7 /*v263*/, v17 /*v273*/ neg_lo:[1,1,0]
	s_set_vgpr_msb 0                        ;  msbs: dst=0 src0=0 src1=0 src2=0
	v_dot4_i32_iu8 v13, v23, v127, v13 neg_lo:[1,1,0]
	s_set_vgpr_msb 16                       ;  msbs: dst=0 src0=0 src1=0 src2=1
	v_dot4_i32_iu8 v15, v15, v19, v18 /*v274*/ neg_lo:[1,1,0]
	s_set_vgpr_msb 1                        ;  msbs: dst=0 src0=1 src1=0 src2=0
	v_perm_b32 v19, v11 /*v267*/, v34, 0x7060203
	s_set_vgpr_msb 0x44                     ;  msbs: dst=1 src0=0 src1=1 src2=0
	v_perm_b32 v11 /*v267*/, v174, v11 /*v267*/, 0x5040001
	s_set_vgpr_msb 1                        ;  msbs: dst=0 src0=1 src1=0 src2=0
	s_delay_alu instid0(VALU_DEP_1)
	v_dot4_i32_iu8 v19, v11 /*v267*/, v19, v8 neg_lo:[1,1,0]
	s_set_vgpr_msb 0x44                     ;  msbs: dst=1 src0=0 src1=1 src2=0
	v_dot4_i32_iu8 v11 /*v267*/, v31, v6 /*v262*/, v9 neg_lo:[1,1,0]
	s_set_vgpr_msb 0                        ;  msbs: dst=0 src0=0 src1=0 src2=0
	v_dot4_i32_iu8 v8, v125, v27, v12 neg_lo:[1,1,0]
	s_set_vgpr_msb 16                       ;  msbs: dst=0 src0=0 src1=0 src2=1
	v_dot4_i32_iu8 v9, v127, v11, v20 /*v276*/ neg_lo:[1,1,0]
	v_dot4_i32_iu8 v12, v7, v125, v19 /*v275*/ neg_lo:[1,1,0]
	s_delay_alu instid0(VALU_DEP_3) | instskip(NEXT) | instid1(VALU_DEP_3)
	v_mul_lo_u32 v8, v8, v238
	v_mul_lo_u32 v9, v9, v239
	s_set_vgpr_msb 0                        ;  msbs: dst=0 src0=0 src1=0 src2=0
	s_delay_alu instid0(VALU_DEP_2) | instskip(NEXT) | instid1(VALU_DEP_2)
	v_mad_u32 v8, v13, v239, v8
	v_mad_u32 v9, v12, v238, v9
	v_mul_lo_u32 v12, v15, v237
	v_mul_lo_u32 v13, v19, v236
	v_perm_b32 v19, v22, v149, 0x7060403
	v_cvt_f32_i32_e32 v8, v8
	v_cvt_f32_i32_e32 v9, v9
	s_set_vgpr_msb 1                        ;  msbs: dst=0 src0=1 src1=0 src2=0
	v_mad_u32 v15, v13 /*v269*/, v236, v12
	v_mad_u32 v12, v11 /*v267*/, v237, v13
	s_set_vgpr_msb 0x51                     ;  msbs: dst=1 src0=1 src1=0 src2=1
	v_dot4_i32_iu8 v11 /*v267*/, v35 /*v291*/, v231, v21 /*v277*/ neg_lo:[1,1,0]
	s_set_vgpr_msb 0                        ;  msbs: dst=0 src0=0 src1=0 src2=0
	v_pk_fma_f32 v[8:9], v[16:17], v[8:9], 0 op_sel_hi:[1,1,0]
	s_delay_alu instid0(VALU_DEP_4) | instskip(NEXT) | instid1(VALU_DEP_4)
	v_cvt_f32_i32_e32 v13, v15
	v_cvt_f32_i32_e32 v12, v12
	v_perm_b32 v15, v26, v147, 0x7060403
	s_delay_alu instid0(VALU_DEP_2)
	v_pk_fma_f32 v[8:9], v[4:5], v[12:13], v[8:9]
	s_set_vgpr_msb 1                        ;  msbs: dst=0 src0=1 src1=0 src2=0
	v_perm_b32 v12, v9 /*v265*/, v161, 0x6040503
	s_set_vgpr_msb 0                        ;  msbs: dst=0 src0=0 src1=0 src2=0
	v_perm_b32 v13, v29, v154, 0x6040503
	v_pk_fma_f32 v[48:49], v[118:119], v[8:9], v[48:49]
	s_set_vgpr_msb 1                        ;  msbs: dst=0 src0=1 src1=0 src2=0
	v_perm_b32 v8, v8 /*v264*/, v159, 0x6040501
	s_set_vgpr_msb 4                        ;  msbs: dst=0 src0=0 src1=1 src2=0
	v_perm_b32 v9, v161, v10 /*v266*/, 0x6040501
	s_set_vgpr_msb 0                        ;  msbs: dst=0 src0=0 src1=0 src2=0
	s_delay_alu instid0(VALU_DEP_1) | instskip(SKIP_3) | instid1(VALU_DEP_1)
	v_dot4_i32_iu8 v8, v9, v8, 0 neg_lo:[1,1,0]
	s_set_vgpr_msb 4                        ;  msbs: dst=0 src0=0 src1=1 src2=0
	v_perm_b32 v9, v158, v8 /*v264*/, 0x6040503
	s_set_vgpr_msb 0                        ;  msbs: dst=0 src0=0 src1=0 src2=0
	v_dot4_i32_iu8 v8, v12, v9, v8 neg_lo:[1,1,0]
	v_perm_b32 v9, v28, v167, 0x6040501
	v_perm_b32 v12, v154, v30, 0x6040501
	s_set_vgpr_msb 4                        ;  msbs: dst=0 src0=0 src1=1 src2=0
	s_delay_alu instid0(VALU_DEP_3) | instskip(SKIP_1) | instid1(VALU_DEP_2)
	v_dot4_i32_iu8 v8, v177, v31 /*v287*/, v8 neg_lo:[1,1,0]
	s_set_vgpr_msb 0                        ;  msbs: dst=0 src0=0 src1=0 src2=0
	v_dot4_i32_iu8 v9, v12, v9, 0 neg_lo:[1,1,0]
	v_perm_b32 v12, v166, v28, 0x6040503
	s_delay_alu instid0(VALU_DEP_1) | instskip(SKIP_3) | instid1(VALU_DEP_3)
	v_dot4_i32_iu8 v9, v13, v12, v9 neg_lo:[1,1,0]
	v_perm_b32 v12, v24, v142, 0x6050401
	v_perm_b32 v13, v146, v26, 0x6050401
	s_set_vgpr_msb 4                        ;  msbs: dst=0 src0=0 src1=1 src2=0
	v_dot4_i32_iu8 v9, v246, v32 /*v288*/, v9 neg_lo:[1,1,0]
	s_set_vgpr_msb 0                        ;  msbs: dst=0 src0=0 src1=0 src2=0
	s_delay_alu instid0(VALU_DEP_2)
	v_dot4_i32_iu8 v12, v13, v12, 0 neg_lo:[1,1,0]
	v_perm_b32 v13, v142, v25, 0x7060403
	s_set_vgpr_msb 64                       ;  msbs: dst=1 src0=0 src1=0 src2=0
	v_dot4_i32_iu8 v13 /*v269*/, v31, v230, v9 neg_lo:[1,1,0]
	s_set_vgpr_msb 16                       ;  msbs: dst=0 src0=0 src1=0 src2=1
	v_dot4_i32_iu8 v9, v145, v11, v24 /*v280*/ neg_lo:[1,1,0]
	s_set_vgpr_msb 0                        ;  msbs: dst=0 src0=0 src1=0 src2=0
	v_dot4_i32_iu8 v12, v233, v18, v12 neg_lo:[1,1,0]
	s_delay_alu instid0(VALU_DEP_2) | instskip(NEXT) | instid1(VALU_DEP_2)
	v_mul_lo_u32 v9, v9, v228
	v_dot4_i32_iu8 v12, v15, v13, v12 neg_lo:[1,1,0]
	v_perm_b32 v13, v20, v144, 0x6050401
	v_perm_b32 v15, v148, v22, 0x6050401
	s_delay_alu instid0(VALU_DEP_1) | instskip(SKIP_2) | instid1(VALU_DEP_2)
	v_dot4_i32_iu8 v13, v15, v13, 0 neg_lo:[1,1,0]
	v_perm_b32 v15, v144, v21, 0x7060403
	s_set_vgpr_msb 5                        ;  msbs: dst=0 src0=1 src1=1 src2=0
	v_dot4_i32_iu8 v13, v3 /*v259*/, v33 /*v289*/, v13 neg_lo:[1,1,0]
	s_set_vgpr_msb 0                        ;  msbs: dst=0 src0=0 src1=0 src2=0
	s_delay_alu instid0(VALU_DEP_1)
	v_dot4_i32_iu8 v13, v19, v15, v13 neg_lo:[1,1,0]
	s_set_vgpr_msb 4                        ;  msbs: dst=0 src0=0 src1=1 src2=0
	v_dot4_i32_iu8 v15, v231, v12 /*v268*/, v8 neg_lo:[1,1,0]
	s_set_vgpr_msb 0                        ;  msbs: dst=0 src0=0 src1=0 src2=0
	v_dot4_i32_iu8 v8, v143, v27, v12 neg_lo:[1,1,0]
	s_set_vgpr_msb 20                       ;  msbs: dst=0 src0=0 src1=1 src2=1
	v_dot4_i32_iu8 v19, v230, v34 /*v290*/, v22 /*v278*/ neg_lo:[1,1,0]
	s_set_vgpr_msb 16                       ;  msbs: dst=0 src0=0 src1=0 src2=1
	v_dot4_i32_iu8 v12, v7, v143, v23 /*v279*/ neg_lo:[1,1,0]
	s_set_vgpr_msb 0                        ;  msbs: dst=0 src0=0 src1=0 src2=0
	v_dot4_i32_iu8 v13, v23, v145, v13 neg_lo:[1,1,0]
	v_mul_lo_u32 v8, v8, v229
	s_delay_alu instid0(VALU_DEP_3) | instskip(SKIP_1) | instid1(VALU_DEP_3)
	v_mad_u32 v9, v12, v229, v9
	v_mul_lo_u32 v12, v19, v227
	v_mad_u32 v8, v13, v228, v8
	v_mul_lo_u32 v13, v15, v179
	s_delay_alu instid0(VALU_DEP_4) | instskip(SKIP_1) | instid1(VALU_DEP_4)
	v_cvt_f32_i32_e32 v9, v9
	s_set_vgpr_msb 1                        ;  msbs: dst=0 src0=1 src1=0 src2=0
	v_mad_u32 v12, v11 /*v267*/, v179, v12
	s_set_vgpr_msb 0                        ;  msbs: dst=0 src0=0 src1=0 src2=0
	s_delay_alu instid0(VALU_DEP_4) | instskip(SKIP_1) | instid1(VALU_DEP_4)
	v_cvt_f32_i32_e32 v8, v8
	s_set_vgpr_msb 1                        ;  msbs: dst=0 src0=1 src1=0 src2=0
	v_mad_u32 v15, v13 /*v269*/, v227, v13
	s_set_vgpr_msb 0                        ;  msbs: dst=0 src0=0 src1=0 src2=0
	s_delay_alu instid0(VALU_DEP_3) | instskip(SKIP_1) | instid1(VALU_DEP_3)
	v_cvt_f32_i32_e32 v13, v12
	v_pk_fma_f32 v[8:9], v[16:17], v[8:9], 0 op_sel_hi:[1,1,0]
	v_cvt_f32_i32_e32 v12, v15
	v_perm_b32 v15, v26, v153, 0x7060403
	s_delay_alu instid0(VALU_DEP_2)
	v_pk_fma_f32 v[8:9], v[4:5], v[12:13], v[8:9]
	s_set_vgpr_msb 1                        ;  msbs: dst=0 src0=1 src1=0 src2=0
	v_perm_b32 v12, v9 /*v265*/, v165, 0x6040503
	s_set_vgpr_msb 0                        ;  msbs: dst=0 src0=0 src1=0 src2=0
	v_perm_b32 v13, v29, v156, 0x6040503
	v_pk_fma_f32 v[46:47], v[120:121], v[8:9], v[46:47]
	s_set_vgpr_msb 1                        ;  msbs: dst=0 src0=1 src1=0 src2=0
	v_perm_b32 v8, v8 /*v264*/, v163, 0x6040501
	s_set_vgpr_msb 4                        ;  msbs: dst=0 src0=0 src1=1 src2=0
	v_perm_b32 v9, v165, v10 /*v266*/, 0x6040501
	s_set_vgpr_msb 0                        ;  msbs: dst=0 src0=0 src1=0 src2=0
	s_delay_alu instid0(VALU_DEP_1) | instskip(SKIP_3) | instid1(VALU_DEP_1)
	v_dot4_i32_iu8 v8, v9, v8, 0 neg_lo:[1,1,0]
	s_set_vgpr_msb 4                        ;  msbs: dst=0 src0=0 src1=1 src2=0
	v_perm_b32 v9, v162, v8 /*v264*/, 0x6040503
	s_set_vgpr_msb 0                        ;  msbs: dst=0 src0=0 src1=0 src2=0
	v_dot4_i32_iu8 v8, v12, v9, v8 neg_lo:[1,1,0]
	v_perm_b32 v9, v28, v169, 0x6040501
	v_perm_b32 v12, v156, v30, 0x6040501
	s_set_vgpr_msb 4                        ;  msbs: dst=0 src0=0 src1=1 src2=0
	s_delay_alu instid0(VALU_DEP_3) | instskip(SKIP_1) | instid1(VALU_DEP_2)
	v_dot4_i32_iu8 v8, v178, v31 /*v287*/, v8 neg_lo:[1,1,0]
	s_set_vgpr_msb 0                        ;  msbs: dst=0 src0=0 src1=0 src2=0
	v_dot4_i32_iu8 v9, v12, v9, 0 neg_lo:[1,1,0]
	v_perm_b32 v12, v168, v28, 0x6040503
	s_set_vgpr_msb 4                        ;  msbs: dst=0 src0=0 src1=1 src2=0
	v_dot4_i32_iu8 v8, v157, v12 /*v268*/, v8 neg_lo:[1,1,0]
	s_set_vgpr_msb 0                        ;  msbs: dst=0 src0=0 src1=0 src2=0
	s_delay_alu instid0(VALU_DEP_2)
	v_dot4_i32_iu8 v9, v13, v12, v9 neg_lo:[1,1,0]
	v_perm_b32 v12, v24, v132, 0x6050401
	v_perm_b32 v13, v152, v26, 0x6050401
	v_mul_lo_u32 v8, v8, v32
	s_set_vgpr_msb 4                        ;  msbs: dst=0 src0=0 src1=1 src2=0
	v_dot4_i32_iu8 v9, v232, v32 /*v288*/, v9 neg_lo:[1,1,0]
	s_set_vgpr_msb 0                        ;  msbs: dst=0 src0=0 src1=0 src2=0
	v_dot4_i32_iu8 v12, v13, v12, 0 neg_lo:[1,1,0]
	v_perm_b32 v13, v132, v25, 0x7060403
	s_delay_alu instid0(VALU_DEP_3) | instskip(NEXT) | instid1(VALU_DEP_3)
	v_dot4_i32_iu8 v9, v31, v164, v9 neg_lo:[1,1,0]
	v_dot4_i32_iu8 v12, v171, v18, v12 neg_lo:[1,1,0]
	v_perm_b32 v18, v22, v151, 0x7060403
	s_delay_alu instid0(VALU_DEP_3) | instskip(NEXT) | instid1(VALU_DEP_3)
	v_mad_u32 v8, v9, v35, v8
	v_dot4_i32_iu8 v12, v15, v13, v12 neg_lo:[1,1,0]
	v_perm_b32 v13, v20, v0, 0x6050401
	v_perm_b32 v15, v150, v22, 0x6050401
	s_delay_alu instid0(VALU_DEP_3) | instskip(NEXT) | instid1(VALU_DEP_2)
	v_dot4_i32_iu8 v12, v133, v27, v12 neg_lo:[1,1,0]
	v_dot4_i32_iu8 v13, v15, v13, 0 neg_lo:[1,1,0]
	v_perm_b32 v15, v0, v21, 0x7060403
	v_cvt_f32_i32_e32 v8, v8
	s_delay_alu instid0(VALU_DEP_4) | instskip(SKIP_3) | instid1(VALU_DEP_1)
	v_mul_lo_u32 v11, v12, v160
	s_set_vgpr_msb 5                        ;  msbs: dst=0 src0=1 src1=1 src2=0
	v_dot4_i32_iu8 v13, v0 /*v256*/, v33 /*v289*/, v13 neg_lo:[1,1,0]
	s_set_vgpr_msb 0                        ;  msbs: dst=0 src0=0 src1=0 src2=0
	v_dot4_i32_iu8 v13, v18, v15, v13 neg_lo:[1,1,0]
	s_set_vgpr_msb 17                       ;  msbs: dst=0 src0=1 src1=0 src2=1
	v_dot4_i32_iu8 v15, v35 /*v291*/, v157, v25 /*v281*/ neg_lo:[1,1,0]
	s_set_vgpr_msb 0                        ;  msbs: dst=0 src0=0 src1=0 src2=0
	s_delay_alu instid0(VALU_DEP_2) | instskip(NEXT) | instid1(VALU_DEP_2)
	v_dot4_i32_iu8 v7, v23, v1, v13 neg_lo:[1,1,0]
	v_mad_u32 v9, v15, v32, v10
	s_delay_alu instid0(VALU_DEP_2) | instskip(SKIP_1) | instid1(VALU_DEP_3)
	v_mad_u32 v11, v7, v155, v11
	v_cvt_f32_i32_e32 v7, v6
	v_cvt_f32_i32_e32 v9, v9
	s_delay_alu instid0(VALU_DEP_3) | instskip(NEXT) | instid1(VALU_DEP_1)
	v_cvt_f32_i32_e32 v6, v11
	v_pk_fma_f32 v[6:7], v[16:17], v[6:7], 0 op_sel_hi:[1,1,0]
	s_delay_alu instid0(VALU_DEP_1) | instskip(NEXT) | instid1(VALU_DEP_1)
	v_pk_fma_f32 v[4:5], v[4:5], v[8:9], v[6:7]
	v_pk_fma_f32 v[44:45], v[122:123], v[4:5], v[44:45]
	v_or_b32_e32 v4, s12, v199
	s_delay_alu instid0(VALU_DEP_1)
	v_lshlrev_b32_e32 v5, 2, v4
	ds_load_b128 v[10:13], v5 offset:33280
	ds_load_b128 v[6:9], v5 offset:33296
	;; [unrolled: 1-line block ×4, first 2 shown]
	s_set_vgpr_msb 64                       ;  msbs: dst=1 src0=0 src1=0 src2=0
	v_lshrrev_b32_e32 v16 /*v272*/, 1, v4
	s_wait_dscnt 0x3
	s_set_vgpr_msb 0                        ;  msbs: dst=0 src0=0 src1=0 src2=0
	v_perm_b32 v30, v12, v139, 0x7060403
	s_wait_dscnt 0x2
	v_perm_b32 v29, v7, v140, 0x6040503
	s_wait_dscnt 0x1
	v_bfe_i32 v4, v16, 8, 8
	s_wait_dscnt 0x0
	v_perm_b32 v24, v20, v22, 0x6040501
	v_perm_b32 v25, v21, v20, 0x6040503
	v_bfe_i32 v5, v14, 8, 8
	v_perm_b32 v26, v22, v21, 0x7060403
	v_mul_i32_i24_e32 v4, v4, v175
	s_set_vgpr_msb 4                        ;  msbs: dst=0 src0=0 src1=1 src2=0
	v_dot4_i32_iu8 v24, v24, v1 /*v257*/, 0 neg_lo:[1,1,0]
	s_set_vgpr_msb 0                        ;  msbs: dst=0 src0=0 src1=0 src2=0
	v_perm_b32 v27, v170, v16, 0x6040501
	v_bfe_i32 v18, v16, 16, 8
	v_ashrrev_i32_e32 v19, 24, v16
	v_mad_i32_i24 v4, v5, v176, v4
	s_set_vgpr_msb 4                        ;  msbs: dst=0 src0=0 src1=1 src2=0
	v_dot4_i32_iu8 v24, v25, v2 /*v258*/, v24 neg_lo:[1,1,0]
	s_set_vgpr_msb 0                        ;  msbs: dst=0 src0=0 src1=0 src2=0
	v_perm_b32 v5, v15, v14, 0x5030200
	v_perm_b32 v28, v15, v170, 0x6040503
	v_mul_i32_i24_e32 v18, v253, v18
	v_mul_i32_i24_e32 v19, v252, v19
	s_set_vgpr_msb 64                       ;  msbs: dst=1 src0=0 src1=0 src2=0
	v_dot4_i32_iu8 v17 /*v273*/, v26, v255, v24 neg_lo:[1,1,0]
	s_set_vgpr_msb 0                        ;  msbs: dst=0 src0=0 src1=0 src2=0
	v_perm_b32 v24, v14, v173, 0x6040501
	v_dot4_i32_iu8 v4, v251, v5, v4 neg_lo:[1,1,0]
	v_perm_b32 v5, v16, v15, 0x4030200
	v_perm_b32 v23, v23, v23, 0x7060001
	;; [unrolled: 1-line block ×3, first 2 shown]
	v_dot4_i32_iu8 v24, v27, v24, 0 neg_lo:[1,1,0]
	v_perm_b32 v27, v172, v14, 0x6040503
	v_dot4_i32_iu8 v4, v254, v5, v4 neg_lo:[1,1,0]
	v_perm_b32 v5, v130, v8, 0x6050401
	v_perm_b32 v3, v3, v17, 0x5040001
	s_delay_alu instid0(VALU_DEP_4)
	v_dot4_i32_iu8 v24, v28, v27, v24 neg_lo:[1,1,0]
	v_perm_b32 v27, v16, v15, 0x7060403
	v_perm_b32 v28, v140, v8, 0x6050401
	s_set_vgpr_msb 64                       ;  msbs: dst=1 src0=0 src1=0 src2=0
	v_add3_u32 v14 /*v270*/, v4, v18, v19
	s_set_vgpr_msb 0                        ;  msbs: dst=0 src0=0 src1=0 src2=0
	v_perm_b32 v4, v6, v124, 0x6050401
	v_perm_b32 v18, v124, v7, 0x7060403
	s_set_vgpr_msb 0x41                     ;  msbs: dst=1 src0=1 src1=0 src2=0
	v_dot4_i32_iu8 v19 /*v275*/, v4 /*v260*/, v27, v24 neg_lo:[1,1,0]
	s_set_vgpr_msb 0                        ;  msbs: dst=0 src0=0 src1=0 src2=0
	v_perm_b32 v24, v6, v134, 0x6050401
	v_perm_b32 v19, v8, v131, 0x7060403
	v_dot4_i32_iu8 v4, v5, v4, 0 neg_lo:[1,1,0]
	v_perm_b32 v5, v7, v6, 0x6040503
	s_delay_alu instid0(VALU_DEP_4) | instskip(SKIP_1) | instid1(VALU_DEP_3)
	v_dot4_i32_iu8 v24, v28, v24, 0 neg_lo:[1,1,0]
	v_perm_b32 v28, v141, v6, 0x6040503
	v_dot4_i32_iu8 v4, v234, v5, v4 neg_lo:[1,1,0]
	s_delay_alu instid0(VALU_DEP_2) | instskip(SKIP_2) | instid1(VALU_DEP_3)
	v_dot4_i32_iu8 v24, v29, v28, v24 neg_lo:[1,1,0]
	v_perm_b32 v28, v8, v7, 0x7060403
	s_set_vgpr_msb 64                       ;  msbs: dst=1 src0=0 src1=0 src2=0
	v_dot4_i32_iu8 v13 /*v269*/, v19, v18, v4 neg_lo:[1,1,0]
	s_set_vgpr_msb 0                        ;  msbs: dst=0 src0=0 src1=0 src2=0
	v_perm_b32 v4, v10, v126, 0x6050401
	v_perm_b32 v18, v128, v12, 0x6050401
	;; [unrolled: 1-line block ×3, first 2 shown]
	s_set_vgpr_msb 64                       ;  msbs: dst=1 src0=0 src1=0 src2=0
	v_dot4_i32_iu8 v18 /*v274*/, v28, v247, v24 neg_lo:[1,1,0]
	s_set_vgpr_msb 0                        ;  msbs: dst=0 src0=0 src1=0 src2=0
	v_perm_b32 v24, v10, v136, 0x6050401
	v_perm_b32 v28, v138, v12, 0x6050401
	v_dot4_i32_iu8 v4, v18, v4, 0 neg_lo:[1,1,0]
	v_perm_b32 v18, v126, v11, 0x7060403
	v_perm_b32 v29, v136, v11, 0x7060403
	s_delay_alu instid0(VALU_DEP_4) | instskip(SKIP_1) | instid1(VALU_DEP_1)
	v_dot4_i32_iu8 v24, v28, v24, 0 neg_lo:[1,1,0]
	v_perm_b32 v28, v11, v10, 0x6040503
	v_dot4_i32_iu8 v4, v235, v28, v4 neg_lo:[1,1,0]
	s_set_vgpr_msb 1                        ;  msbs: dst=0 src0=1 src1=0 src2=0
	s_delay_alu instid0(VALU_DEP_3) | instskip(SKIP_1) | instid1(VALU_DEP_2)
	v_dot4_i32_iu8 v24, v5 /*v261*/, v28, v24 neg_lo:[1,1,0]
	s_set_vgpr_msb 64                       ;  msbs: dst=1 src0=0 src1=0 src2=0
	v_dot4_i32_iu8 v15 /*v271*/, v19, v18, v4 neg_lo:[1,1,0]
	s_set_vgpr_msb 0                        ;  msbs: dst=0 src0=0 src1=0 src2=0
	v_perm_b32 v4, v20, v159, 0x6040501
	v_perm_b32 v18, v161, v22, 0x6040501
	;; [unrolled: 1-line block ×3, first 2 shown]
	s_set_vgpr_msb 64                       ;  msbs: dst=1 src0=0 src1=0 src2=0
	v_dot4_i32_iu8 v20 /*v276*/, v30, v29, v24 neg_lo:[1,1,0]
	s_set_vgpr_msb 0                        ;  msbs: dst=0 src0=0 src1=0 src2=0
	v_perm_b32 v29, v22, v22, 0xc0c0c01
	v_perm_b32 v24, v20, v33, 0x6040503
	v_dot4_i32_iu8 v4, v18, v4, 0 neg_lo:[1,1,0]
	v_perm_b32 v18, v158, v20, 0x6040503
	s_delay_alu instid0(VALU_DEP_1)
	v_dot4_i32_iu8 v4, v19, v18, v4 neg_lo:[1,1,0]
	v_perm_b32 v18, v154, v16, 0x6040501
	v_perm_b32 v19, v15, v154, 0x6040503
	;; [unrolled: 1-line block ×4, first 2 shown]
	s_set_vgpr_msb 64                       ;  msbs: dst=1 src0=0 src1=0 src2=0
	v_dot4_i32_iu8 v8 /*v264*/, v177, v26, v4 neg_lo:[1,1,0]
	s_set_vgpr_msb 0                        ;  msbs: dst=0 src0=0 src1=0 src2=0
	v_perm_b32 v4, v14, v167, 0x6040501
	s_delay_alu instid0(VALU_DEP_1) | instskip(SKIP_1) | instid1(VALU_DEP_1)
	v_dot4_i32_iu8 v4, v18, v4, 0 neg_lo:[1,1,0]
	v_perm_b32 v18, v166, v14, 0x6040503
	v_dot4_i32_iu8 v4, v19, v18, v4 neg_lo:[1,1,0]
	v_perm_b32 v18, v146, v8, 0x6050401
	v_perm_b32 v19, v8, v147, 0x7060403
	s_set_vgpr_msb 64                       ;  msbs: dst=1 src0=0 src1=0 src2=0
	s_delay_alu instid0(VALU_DEP_3) | instskip(SKIP_2) | instid1(VALU_DEP_1)
	v_dot4_i32_iu8 v9 /*v265*/, v246, v27, v4 neg_lo:[1,1,0]
	s_set_vgpr_msb 0                        ;  msbs: dst=0 src0=0 src1=0 src2=0
	v_perm_b32 v4, v6, v142, 0x6050401
	v_dot4_i32_iu8 v4, v18, v4, 0 neg_lo:[1,1,0]
	v_perm_b32 v18, v142, v7, 0x7060403
	s_delay_alu instid0(VALU_DEP_2) | instskip(SKIP_1) | instid1(VALU_DEP_1)
	v_dot4_i32_iu8 v4, v233, v5, v4 neg_lo:[1,1,0]
	s_set_vgpr_msb 64                       ;  msbs: dst=1 src0=0 src1=0 src2=0
	v_dot4_i32_iu8 v10 /*v266*/, v19, v18, v4 neg_lo:[1,1,0]
	s_set_vgpr_msb 0                        ;  msbs: dst=0 src0=0 src1=0 src2=0
	v_perm_b32 v4, v10, v144, 0x6050401
	v_perm_b32 v18, v148, v12, 0x6050401
	;; [unrolled: 1-line block ×3, first 2 shown]
	s_delay_alu instid0(VALU_DEP_2) | instskip(SKIP_2) | instid1(VALU_DEP_2)
	v_dot4_i32_iu8 v4, v18, v4, 0 neg_lo:[1,1,0]
	v_perm_b32 v18, v144, v11, 0x7060403
	s_set_vgpr_msb 1                        ;  msbs: dst=0 src0=1 src1=0 src2=0
	v_dot4_i32_iu8 v4, v3 /*v259*/, v28, v4 neg_lo:[1,1,0]
	s_set_vgpr_msb 64                       ;  msbs: dst=1 src0=0 src1=0 src2=0
	s_delay_alu instid0(VALU_DEP_1) | instskip(SKIP_4) | instid1(VALU_DEP_2)
	v_dot4_i32_iu8 v11 /*v267*/, v19, v18, v4 neg_lo:[1,1,0]
	s_set_vgpr_msb 0                        ;  msbs: dst=0 src0=0 src1=0 src2=0
	v_perm_b32 v4, v20, v163, 0x6040501
	v_perm_b32 v18, v165, v22, 0x6040501
	;; [unrolled: 1-line block ×3, first 2 shown]
	v_dot4_i32_iu8 v4, v18, v4, 0 neg_lo:[1,1,0]
	v_perm_b32 v18, v162, v20, 0x6040503
	s_delay_alu instid0(VALU_DEP_1) | instskip(NEXT) | instid1(VALU_DEP_1)
	v_dot4_i32_iu8 v4, v19, v18, v4 neg_lo:[1,1,0]
	v_dot4_i32_iu8 v22, v178, v26, v4 neg_lo:[1,1,0]
	v_perm_b32 v4, v14, v169, 0x6040501
	v_perm_b32 v14, v168, v14, 0x6040503
	s_delay_alu instid0(VALU_DEP_2) | instskip(NEXT) | instid1(VALU_DEP_1)
	v_dot4_i32_iu8 v4, v16, v4, 0 neg_lo:[1,1,0]
	v_dot4_i32_iu8 v4, v15, v14, v4 neg_lo:[1,1,0]
	s_delay_alu instid0(VALU_DEP_1) | instskip(SKIP_2) | instid1(VALU_DEP_1)
	v_dot4_i32_iu8 v16, v232, v27, v4 neg_lo:[1,1,0]
	v_perm_b32 v4, v6, v132, 0x6050401
	v_perm_b32 v6, v152, v8, 0x6050401
	v_dot4_i32_iu8 v4, v6, v4, 0 neg_lo:[1,1,0]
	v_perm_b32 v6, v8, v153, 0x7060403
	s_delay_alu instid0(VALU_DEP_2) | instskip(SKIP_1) | instid1(VALU_DEP_1)
	v_dot4_i32_iu8 v4, v171, v5, v4 neg_lo:[1,1,0]
	v_perm_b32 v5, v132, v7, 0x7060403
	v_dot4_i32_iu8 v8, v6, v5, v4 neg_lo:[1,1,0]
	v_perm_b32 v4, v10, v0, 0x6050401
	v_perm_b32 v5, v150, v12, 0x6050401
	;; [unrolled: 1-line block ×3, first 2 shown]
	s_delay_alu instid0(VALU_DEP_4) | instskip(NEXT) | instid1(VALU_DEP_3)
	v_dot4_i32_iu8 v8, v9, v133, v8 neg_lo:[1,1,0]
	v_dot4_i32_iu8 v4, v5, v4, 0 neg_lo:[1,1,0]
	v_perm_b32 v5, v0, v11, 0x7060403
	s_set_vgpr_msb 1                        ;  msbs: dst=0 src0=1 src1=0 src2=0
	s_delay_alu instid0(VALU_DEP_2) | instskip(SKIP_1) | instid1(VALU_DEP_1)
	v_dot4_i32_iu8 v4, v0 /*v256*/, v28, v4 neg_lo:[1,1,0]
	s_set_vgpr_msb 0                        ;  msbs: dst=0 src0=0 src1=0 src2=0
	v_dot4_i32_iu8 v12, v6, v5, v4 neg_lo:[1,1,0]
	v_or_b32_e32 v4, s12, v200
	v_or_b32_e32 v29, v248, v29
	s_add_co_i32 s12, s5, 8
	s_cmp_lt_u32 s5, 24
	s_mov_b32 s5, s12
	v_lshlrev_b32_e32 v10, 2, v4
	v_dot4_i32_iu8 v24, v29, v24, 0 neg_lo:[1,1,0]
	v_lshrrev_b32_e32 v14, 1, v4
	s_delay_alu instid0(VALU_DEP_2) | instskip(SKIP_1) | instid1(VALU_DEP_1)
	v_dot4_i32_iu8 v24, v25, v249, v24 neg_lo:[1,1,0]
	s_set_vgpr_msb 64                       ;  msbs: dst=1 src0=0 src1=0 src2=0
	v_dot4_i32_iu8 v12 /*v268*/, v250, v26, v24 neg_lo:[1,1,0]
	s_set_vgpr_msb 0                        ;  msbs: dst=0 src0=0 src1=0 src2=0
	ds_load_b128 v[4:7], v10 offset:33280
	ds_load_b128 v[18:21], v10 offset:33296
	;; [unrolled: 1-line block ×4, first 2 shown]
	s_wait_dscnt 0x3
	v_perm_b32 v128, v128, v6, 0x6050401
	s_wait_dscnt 0x2
	v_perm_b32 v130, v130, v20, 0x6050401
	;; [unrolled: 2-line block ×4, first 2 shown]
	s_set_vgpr_msb 64                       ;  msbs: dst=1 src0=0 src1=0 src2=0
	v_perm_b32 v25 /*v281*/, v29, v28, 0x6040503
	s_set_vgpr_msb 0                        ;  msbs: dst=0 src0=0 src1=0 src2=0
	v_perm_b32 v170, v25, v170, 0x6040503
	v_perm_b32 v27, v27, v27, 0x7060001
	s_set_vgpr_msb 64                       ;  msbs: dst=1 src0=0 src1=0 src2=0
	v_bfe_i32 v22 /*v278*/, v26, 8, 8
	s_set_vgpr_msb 4                        ;  msbs: dst=0 src0=0 src1=1 src2=0
	v_dot4_i32_iu8 v10, v10, v1 /*v257*/, 0 neg_lo:[1,1,0]
	s_set_vgpr_msb 64                       ;  msbs: dst=1 src0=0 src1=0 src2=0
	v_perm_b32 v1 /*v257*/, v30, v29, 0x7060403
	s_set_vgpr_msb 0                        ;  msbs: dst=0 src0=0 src1=0 src2=0
	v_perm_b32 v33, v28, v33, 0x6040503
	s_set_vgpr_msb 64                       ;  msbs: dst=1 src0=0 src1=0 src2=0
	v_bfe_i32 v21 /*v277*/, v24, 8, 8
	v_bfe_i32 v23 /*v279*/, v26, 16, 8
	s_set_vgpr_msb 5                        ;  msbs: dst=0 src0=1 src1=1 src2=0
	v_dot4_i32_iu8 v10, v25 /*v281*/, v2 /*v258*/, v10 neg_lo:[1,1,0]
	s_set_vgpr_msb 64                       ;  msbs: dst=1 src0=0 src1=0 src2=0
	v_ashrrev_i32_e32 v24 /*v280*/, 24, v26
	s_set_vgpr_msb 0                        ;  msbs: dst=0 src0=0 src1=0 src2=0
	v_perm_b32 v131, v20, v131, 0x7060403
	v_perm_b32 v129, v6, v129, 0x7060403
	s_set_vgpr_msb 1                        ;  msbs: dst=0 src0=1 src1=0 src2=0
	v_dot4_i32_iu8 v15, v1 /*v257*/, v255, v10 neg_lo:[1,1,0]
	s_set_vgpr_msb 0                        ;  msbs: dst=0 src0=0 src1=0 src2=0
	v_perm_b32 v10, v24, v173, 0x6040501
	s_delay_alu instid0(VALU_DEP_1) | instskip(SKIP_1) | instid1(VALU_DEP_1)
	v_dot4_i32_iu8 v10, v11, v10, 0 neg_lo:[1,1,0]
	v_perm_b32 v11, v172, v24, 0x6040503
	v_dot4_i32_iu8 v10, v170, v11, v10 neg_lo:[1,1,0]
	v_perm_b32 v170, v26, v25, 0x7060403
	v_perm_b32 v11, v140, v20, 0x6050401
	s_set_vgpr_msb 1                        ;  msbs: dst=0 src0=1 src1=0 src2=0
	s_delay_alu instid0(VALU_DEP_2)
	v_dot4_i32_iu8 v172, v4 /*v260*/, v170, v10 neg_lo:[1,1,0]
	s_set_vgpr_msb 0                        ;  msbs: dst=0 src0=0 src1=0 src2=0
	v_perm_b32 v10, v18, v134, 0x6050401
	v_perm_b32 v134, v19, v140, 0x6040503
	;; [unrolled: 1-line block ×3, first 2 shown]
	v_dot4_i32_iu8 v172, v27, v244, v172 neg_lo:[1,1,0]
	s_delay_alu instid0(VALU_DEP_4) | instskip(SKIP_2) | instid1(VALU_DEP_2)
	v_dot4_i32_iu8 v10, v11, v10, 0 neg_lo:[1,1,0]
	v_perm_b32 v11, v141, v18, 0x6040503
	v_perm_b32 v141, v31, v31, 0x7060001
	v_dot4_i32_iu8 v10, v134, v11, v10 neg_lo:[1,1,0]
	v_perm_b32 v11, v20, v19, 0x7060403
	s_delay_alu instid0(VALU_DEP_3)
	v_dot4_i32_iu8 v173, v245, v141, v15 neg_lo:[1,1,0]
	s_set_vgpr_msb 16                       ;  msbs: dst=0 src0=0 src1=0 src2=1
	v_dot4_i32_iu8 v15, v137, v13, v20 /*v276*/ neg_lo:[1,1,0]
	v_dot4_i32_iu8 v245, v23, v245, v17 /*v273*/ neg_lo:[1,1,0]
	s_set_vgpr_msb 0                        ;  msbs: dst=0 src0=0 src1=0 src2=0
	v_dot4_i32_iu8 v134, v11, v247, v10 neg_lo:[1,1,0]
	v_perm_b32 v10, v4, v136, 0x6050401
	v_perm_b32 v11, v138, v6, 0x6050401
	v_mul_lo_u32 v15, v15, v242
	v_perm_b32 v247, v17, v17, 0x7060001
	s_set_vgpr_msb 16                       ;  msbs: dst=0 src0=0 src1=0 src2=1
	v_dot4_i32_iu8 v17, v3, v2, v14 /*v270*/ neg_lo:[1,1,0]
	v_perm_b32 v2, v31, v34, 0x7060203
	v_dot4_i32_iu8 v10, v11, v10, 0 neg_lo:[1,1,0]
	v_perm_b32 v11, v136, v5, 0x7060403
	v_perm_b32 v136, v6, v139, 0x7060403
	v_dot4_i32_iu8 v255, v244, v247, v19 /*v275*/ neg_lo:[1,1,0]
	v_perm_b32 v3, v174, v31, 0x5040001
	s_set_vgpr_msb 1                        ;  msbs: dst=0 src0=1 src1=0 src2=0
	v_dot4_i32_iu8 v10, v5 /*v261*/, v140, v10 neg_lo:[1,1,0]
	s_set_vgpr_msb 0                        ;  msbs: dst=0 src0=0 src1=0 src2=0
	v_mul_lo_u32 v17, v17, v237
	s_set_vgpr_msb 20                       ;  msbs: dst=0 src0=0 src1=1 src2=1
	v_dot4_i32_iu8 v34, v23, v7 /*v263*/, v12 /*v268*/ neg_lo:[1,1,0]
	s_set_vgpr_msb 0                        ;  msbs: dst=0 src0=0 src1=0 src2=0
	v_dot4_i32_iu8 v136, v136, v11, v10 neg_lo:[1,1,0]
	s_set_vgpr_msb 1                        ;  msbs: dst=0 src0=1 src1=0 src2=0
	ds_load_b64 v[10:11], v16 /*v272*/ offset:43584
	s_set_vgpr_msb 0                        ;  msbs: dst=0 src0=0 src1=0 src2=0
	ds_load_b64 v[138:139], v14 offset:43584
	v_dot4_i32_iu8 v14, v135, v21, v134 neg_lo:[1,1,0]
	s_set_vgpr_msb 16                       ;  msbs: dst=0 src0=0 src1=0 src2=1
	v_dot4_i32_iu8 v134, v9, v135, v18 /*v274*/ neg_lo:[1,1,0]
	s_set_vgpr_msb 0                        ;  msbs: dst=0 src0=0 src1=0 src2=0
	v_dot4_i32_iu8 v135, v7, v137, v136 neg_lo:[1,1,0]
	v_mul_lo_u32 v136, v173, v241
	v_mul_lo_u32 v14, v14, v243
	v_mad_u32 v15, v134, v243, v15
	v_mad_u32 v17, v34, v236, v17
	v_perm_b32 v34, v6, v149, 0x7060403
	v_mad_u32 v136, v172, v240, v136
	v_mad_u32 v14, v135, v242, v14
	v_cvt_f32_i32_e32 v135, v15
	s_wait_dscnt 0x1
	v_mov_b32_e32 v15, v10
	v_mul_lo_u32 v10, v255, v240
	v_cvt_f32_i32_e32 v136, v136
	v_cvt_f32_i32_e32 v134, v14
	s_wait_dscnt 0x0
	v_mov_b32_e32 v14, v138
	s_delay_alu instid0(VALU_DEP_4) | instskip(NEXT) | instid1(VALU_DEP_2)
	v_mad_u32 v10, v245, v241, v10
	v_pk_fma_f32 v[134:135], v[14:15], v[134:135], 0 op_sel_hi:[1,1,0]
	s_delay_alu instid0(VALU_DEP_2) | instskip(SKIP_1) | instid1(VALU_DEP_1)
	v_cvt_f32_i32_e32 v137, v10
	v_mov_b32_e32 v10, v139
	v_pk_fma_f32 v[134:135], v[10:11], v[136:137], v[134:135]
	v_perm_b32 v137, v25, v24, 0x5030200
	s_set_vgpr_msb 4                        ;  msbs: dst=0 src0=0 src1=1 src2=0
	v_mul_i32_i24_e32 v136, v252, v24 /*v280*/
	s_set_vgpr_msb 0                        ;  msbs: dst=0 src0=0 src1=0 src2=0
	v_pk_fma_f32 v[42:43], v[116:117], v[134:135], v[42:43]
	v_perm_b32 v134, v30, v30, 0xc0c0c01
	s_set_vgpr_msb 4                        ;  msbs: dst=0 src0=0 src1=1 src2=0
	v_mul_i32_i24_e32 v135, v253, v23 /*v279*/
	s_set_vgpr_msb 0                        ;  msbs: dst=0 src0=0 src1=0 src2=0
	s_delay_alu instid0(VALU_DEP_2) | instskip(NEXT) | instid1(VALU_DEP_1)
	v_or_b32_e32 v134, v248, v134
	v_dot4_i32_iu8 v33, v134, v33, 0 neg_lo:[1,1,0]
	s_set_vgpr_msb 1                        ;  msbs: dst=0 src0=1 src1=0 src2=0
	v_mul_i32_i24_e32 v134, v22 /*v278*/, v175
	s_delay_alu instid0(VALU_DEP_2) | instskip(NEXT) | instid1(VALU_DEP_2)
	v_dot4_i32_iu8 v33, v25 /*v281*/, v249, v33 neg_lo:[1,1,0]
	v_mad_i32_i24 v134, v21 /*v277*/, v176, v134
	s_set_vgpr_msb 4                        ;  msbs: dst=0 src0=0 src1=1 src2=0
	s_delay_alu instid0(VALU_DEP_2) | instskip(SKIP_1) | instid1(VALU_DEP_2)
	v_dot4_i32_iu8 v33, v250, v1 /*v257*/, v33 neg_lo:[1,1,0]
	s_set_vgpr_msb 0                        ;  msbs: dst=0 src0=0 src1=0 src2=0
	v_dot4_i32_iu8 v134, v251, v137, v134 neg_lo:[1,1,0]
	v_perm_b32 v137, v26, v25, 0x4030200
	s_delay_alu instid0(VALU_DEP_3)
	v_dot4_i32_iu8 v31, v3, v2, v33 neg_lo:[1,1,0]
	s_set_vgpr_msb 16                       ;  msbs: dst=0 src0=0 src1=0 src2=1
	v_dot4_i32_iu8 v3, v127, v13, v15 /*v271*/ neg_lo:[1,1,0]
	s_set_vgpr_msb 0                        ;  msbs: dst=0 src0=0 src1=0 src2=0
	v_dot4_i32_iu8 v134, v254, v137, v134 neg_lo:[1,1,0]
	v_mul_lo_u32 v31, v31, v236
	s_delay_alu instid0(VALU_DEP_3) | instskip(NEXT) | instid1(VALU_DEP_3)
	v_mul_lo_u32 v3, v3, v239
	v_add3_u32 v134, v134, v135, v136
	v_perm_b32 v135, v18, v124, 0x6050401
	v_perm_b32 v124, v124, v19, 0x7060403
	s_set_vgpr_msb 4                        ;  msbs: dst=0 src0=0 src1=1 src2=0
	s_delay_alu instid0(VALU_DEP_3) | instskip(SKIP_3) | instid1(VALU_DEP_3)
	v_dot4_i32_iu8 v33, v27, v6 /*v262*/, v134 neg_lo:[1,1,0]
	s_set_vgpr_msb 0                        ;  msbs: dst=0 src0=0 src1=0 src2=0
	v_dot4_i32_iu8 v130, v130, v135, 0 neg_lo:[1,1,0]
	v_perm_b32 v135, v19, v18, 0x6040503
	v_mad_u32 v31, v33, v237, v31
	v_perm_b32 v33, v20, v147, 0x7060403
	s_delay_alu instid0(VALU_DEP_3) | instskip(NEXT) | instid1(VALU_DEP_1)
	v_dot4_i32_iu8 v130, v234, v135, v130 neg_lo:[1,1,0]
	v_dot4_i32_iu8 v124, v131, v124, v130 neg_lo:[1,1,0]
	v_perm_b32 v130, v4, v126, 0x6050401
	v_perm_b32 v126, v126, v5, 0x7060403
	s_delay_alu instid0(VALU_DEP_3) | instskip(NEXT) | instid1(VALU_DEP_3)
	v_dot4_i32_iu8 v2, v125, v21, v124 neg_lo:[1,1,0]
	v_dot4_i32_iu8 v128, v128, v130, 0 neg_lo:[1,1,0]
	s_set_vgpr_msb 16                       ;  msbs: dst=0 src0=0 src1=0 src2=1
	v_dot4_i32_iu8 v124, v9, v125, v13 /*v269*/ neg_lo:[1,1,0]
	s_delay_alu instid0(VALU_DEP_3) | instskip(SKIP_2) | instid1(VALU_DEP_3)
	v_mul_lo_u32 v2, v2, v238
	s_set_vgpr_msb 0                        ;  msbs: dst=0 src0=0 src1=0 src2=0
	v_dot4_i32_iu8 v128, v235, v140, v128 neg_lo:[1,1,0]
	v_mad_u32 v3, v124, v238, v3
	v_cvt_f32_i32_e32 v124, v31
	v_perm_b32 v31, v25, v154, 0x6040503
	s_delay_alu instid0(VALU_DEP_4) | instskip(NEXT) | instid1(VALU_DEP_1)
	v_dot4_i32_iu8 v126, v129, v126, v128 neg_lo:[1,1,0]
	v_dot4_i32_iu8 v125, v7, v127, v126 neg_lo:[1,1,0]
	v_cvt_f32_i32_e32 v3, v3
	s_delay_alu instid0(VALU_DEP_2) | instskip(SKIP_2) | instid1(VALU_DEP_3)
	v_mad_u32 v2, v125, v239, v2
	v_cvt_f32_i32_e32 v125, v17
	v_perm_b32 v17, v29, v161, 0x6040503
	v_cvt_f32_i32_e32 v2, v2
	s_delay_alu instid0(VALU_DEP_1) | instskip(NEXT) | instid1(VALU_DEP_1)
	v_pk_fma_f32 v[2:3], v[14:15], v[2:3], 0 op_sel_hi:[1,1,0]
	v_pk_fma_f32 v[2:3], v[10:11], v[124:125], v[2:3]
	s_set_vgpr_msb 16                       ;  msbs: dst=0 src0=0 src1=0 src2=1
	v_dot4_i32_iu8 v124, v23, v231, v8 /*v264*/ neg_lo:[1,1,0]
	s_set_vgpr_msb 0                        ;  msbs: dst=0 src0=0 src1=0 src2=0
	s_delay_alu instid0(VALU_DEP_2) | instskip(SKIP_2) | instid1(VALU_DEP_1)
	v_pk_fma_f32 v[40:41], v[118:119], v[2:3], v[40:41]
	v_perm_b32 v2, v28, v159, 0x6040501
	v_perm_b32 v3, v161, v30, 0x6040501
	v_dot4_i32_iu8 v2, v3, v2, 0 neg_lo:[1,1,0]
	v_perm_b32 v3, v158, v28, 0x6040503
	s_delay_alu instid0(VALU_DEP_1) | instskip(SKIP_3) | instid1(VALU_DEP_3)
	v_dot4_i32_iu8 v2, v17, v3, v2 neg_lo:[1,1,0]
	v_perm_b32 v3, v24, v167, 0x6040501
	v_perm_b32 v17, v154, v26, 0x6040501
	s_set_vgpr_msb 4                        ;  msbs: dst=0 src0=0 src1=1 src2=0
	v_dot4_i32_iu8 v2, v177, v1 /*v257*/, v2 neg_lo:[1,1,0]
	s_set_vgpr_msb 0                        ;  msbs: dst=0 src0=0 src1=0 src2=0
	s_delay_alu instid0(VALU_DEP_2) | instskip(SKIP_1) | instid1(VALU_DEP_1)
	v_dot4_i32_iu8 v3, v17, v3, 0 neg_lo:[1,1,0]
	v_perm_b32 v17, v166, v24, 0x6040503
	v_dot4_i32_iu8 v3, v31, v17, v3 neg_lo:[1,1,0]
	v_perm_b32 v17, v18, v142, 0x6050401
	v_perm_b32 v31, v146, v20, 0x6050401
	s_delay_alu instid0(VALU_DEP_3) | instskip(NEXT) | instid1(VALU_DEP_2)
	v_dot4_i32_iu8 v3, v246, v170, v3 neg_lo:[1,1,0]
	v_dot4_i32_iu8 v17, v31, v17, 0 neg_lo:[1,1,0]
	v_perm_b32 v31, v142, v19, 0x7060403
	s_delay_alu instid0(VALU_DEP_3) | instskip(SKIP_4) | instid1(VALU_DEP_2)
	v_dot4_i32_iu8 v125, v27, v230, v3 neg_lo:[1,1,0]
	s_set_vgpr_msb 16                       ;  msbs: dst=0 src0=0 src1=0 src2=1
	v_dot4_i32_iu8 v3, v145, v13, v11 /*v267*/ neg_lo:[1,1,0]
	s_set_vgpr_msb 0                        ;  msbs: dst=0 src0=0 src1=0 src2=0
	v_dot4_i32_iu8 v17, v233, v135, v17 neg_lo:[1,1,0]
	v_mul_lo_u32 v3, v3, v228
	s_delay_alu instid0(VALU_DEP_2) | instskip(SKIP_4) | instid1(VALU_DEP_3)
	v_dot4_i32_iu8 v17, v33, v31, v17 neg_lo:[1,1,0]
	v_perm_b32 v31, v4, v144, 0x6050401
	v_perm_b32 v33, v148, v6, 0x6050401
	;; [unrolled: 1-line block ×4, first 2 shown]
	v_dot4_i32_iu8 v31, v33, v31, 0 neg_lo:[1,1,0]
	v_perm_b32 v33, v144, v5, 0x7060403
	v_perm_b32 v5, v6, v151, 0x7060403
	s_set_vgpr_msb 1                        ;  msbs: dst=0 src0=1 src1=0 src2=0
	s_delay_alu instid0(VALU_DEP_3) | instskip(SKIP_1) | instid1(VALU_DEP_1)
	v_dot4_i32_iu8 v31, v3 /*v259*/, v140, v31 neg_lo:[1,1,0]
	s_set_vgpr_msb 0                        ;  msbs: dst=0 src0=0 src1=0 src2=0
	v_dot4_i32_iu8 v31, v34, v33, v31 neg_lo:[1,1,0]
	v_dot4_i32_iu8 v33, v231, v141, v2 neg_lo:[1,1,0]
	;; [unrolled: 1-line block ×3, first 2 shown]
	s_set_vgpr_msb 16                       ;  msbs: dst=0 src0=0 src1=0 src2=1
	v_dot4_i32_iu8 v34, v230, v247, v9 /*v265*/ neg_lo:[1,1,0]
	v_dot4_i32_iu8 v17, v9, v143, v10 /*v266*/ neg_lo:[1,1,0]
	s_set_vgpr_msb 0                        ;  msbs: dst=0 src0=0 src1=0 src2=0
	v_dot4_i32_iu8 v31, v7, v145, v31 neg_lo:[1,1,0]
	v_mul_lo_u32 v2, v2, v229
	s_delay_alu instid0(VALU_DEP_3) | instskip(SKIP_1) | instid1(VALU_DEP_3)
	v_mad_u32 v3, v17, v229, v3
	v_mul_lo_u32 v17, v34, v227
	v_mad_u32 v2, v31, v228, v2
	v_mul_lo_u32 v31, v33, v179
	s_delay_alu instid0(VALU_DEP_4) | instskip(NEXT) | instid1(VALU_DEP_4)
	v_cvt_f32_i32_e32 v3, v3
	v_mad_u32 v17, v124, v179, v17
	s_delay_alu instid0(VALU_DEP_4) | instskip(NEXT) | instid1(VALU_DEP_4)
	v_cvt_f32_i32_e32 v2, v2
	v_mad_u32 v31, v125, v227, v31
	s_delay_alu instid0(VALU_DEP_3) | instskip(SKIP_1) | instid1(VALU_DEP_4)
	v_cvt_f32_i32_e32 v125, v17
	v_perm_b32 v17, v29, v165, 0x6040503
	v_pk_fma_f32 v[2:3], v[14:15], v[2:3], 0 op_sel_hi:[1,1,0]
	s_delay_alu instid0(VALU_DEP_4) | instskip(NEXT) | instid1(VALU_DEP_1)
	v_cvt_f32_i32_e32 v124, v31
	v_pk_fma_f32 v[2:3], v[10:11], v[124:125], v[2:3]
	s_delay_alu instid0(VALU_DEP_1) | instskip(SKIP_2) | instid1(VALU_DEP_1)
	v_pk_fma_f32 v[38:39], v[120:121], v[2:3], v[38:39]
	v_perm_b32 v2, v28, v163, 0x6040501
	v_perm_b32 v3, v165, v30, 0x6040501
	v_dot4_i32_iu8 v2, v3, v2, 0 neg_lo:[1,1,0]
	v_perm_b32 v3, v162, v28, 0x6040503
	s_delay_alu instid0(VALU_DEP_1) | instskip(SKIP_3) | instid1(VALU_DEP_3)
	v_dot4_i32_iu8 v2, v17, v3, v2 neg_lo:[1,1,0]
	v_perm_b32 v3, v24, v169, 0x6040501
	v_perm_b32 v17, v156, v26, 0x6040501
	s_set_vgpr_msb 4                        ;  msbs: dst=0 src0=0 src1=1 src2=0
	v_dot4_i32_iu8 v2, v178, v1 /*v257*/, v2 neg_lo:[1,1,0]
	s_set_vgpr_msb 0                        ;  msbs: dst=0 src0=0 src1=0 src2=0
	s_delay_alu instid0(VALU_DEP_2) | instskip(SKIP_2) | instid1(VALU_DEP_1)
	v_dot4_i32_iu8 v3, v17, v3, 0 neg_lo:[1,1,0]
	v_perm_b32 v17, v168, v24, 0x6040503
	v_perm_b32 v24, v25, v156, 0x6040503
	v_dot4_i32_iu8 v3, v24, v17, v3 neg_lo:[1,1,0]
	v_perm_b32 v17, v18, v132, 0x6050401
	v_perm_b32 v18, v152, v20, 0x6050401
	s_delay_alu instid0(VALU_DEP_3) | instskip(NEXT) | instid1(VALU_DEP_2)
	v_dot4_i32_iu8 v3, v232, v170, v3 neg_lo:[1,1,0]
	v_dot4_i32_iu8 v17, v18, v17, 0 neg_lo:[1,1,0]
	v_perm_b32 v18, v132, v19, 0x7060403
	v_perm_b32 v19, v20, v153, 0x7060403
	s_delay_alu instid0(VALU_DEP_4) | instskip(NEXT) | instid1(VALU_DEP_4)
	v_dot4_i32_iu8 v3, v27, v164, v3 neg_lo:[1,1,0]
	v_dot4_i32_iu8 v17, v171, v135, v17 neg_lo:[1,1,0]
	s_delay_alu instid0(VALU_DEP_1) | instskip(SKIP_2) | instid1(VALU_DEP_2)
	v_dot4_i32_iu8 v17, v19, v18, v17 neg_lo:[1,1,0]
	v_perm_b32 v18, v150, v6, 0x6050401
	v_dot4_i32_iu8 v6, v1, v13, v12 neg_lo:[1,1,0]
	v_dot4_i32_iu8 v4, v18, v4, 0 neg_lo:[1,1,0]
	s_delay_alu instid0(VALU_DEP_2) | instskip(SKIP_1) | instid1(VALU_DEP_2)
	v_mul_lo_u32 v6, v6, v155
	s_set_vgpr_msb 1                        ;  msbs: dst=0 src0=1 src1=0 src2=0
	v_dot4_i32_iu8 v4, v0 /*v256*/, v140, v4 neg_lo:[1,1,0]
	s_set_vgpr_msb 0                        ;  msbs: dst=0 src0=0 src1=0 src2=0
	s_delay_alu instid0(VALU_DEP_1)
	v_dot4_i32_iu8 v0, v5, v0, v4 neg_lo:[1,1,0]
	v_dot4_i32_iu8 v5, v164, v247, v16 neg_lo:[1,1,0]
	;; [unrolled: 1-line block ×6, first 2 shown]
	v_mul_lo_u32 v5, v5, v35
	v_mul_lo_u32 v12, v16, v160
	;; [unrolled: 1-line block ×3, first 2 shown]
	v_mad_u32 v1, v8, v160, v6
	s_delay_alu instid0(VALU_DEP_4) | instskip(NEXT) | instid1(VALU_DEP_4)
	v_mad_u32 v2, v2, v32, v5
	v_mad_u32 v0, v0, v155, v12
	s_delay_alu instid0(VALU_DEP_4) | instskip(NEXT) | instid1(VALU_DEP_4)
	v_mad_u32 v4, v3, v35, v4
	v_cvt_f32_i32_e32 v1, v1
	s_delay_alu instid0(VALU_DEP_4) | instskip(NEXT) | instid1(VALU_DEP_4)
	v_cvt_f32_i32_e32 v3, v2
	v_cvt_f32_i32_e32 v0, v0
	s_delay_alu instid0(VALU_DEP_4) | instskip(NEXT) | instid1(VALU_DEP_2)
	v_cvt_f32_i32_e32 v2, v4
	v_pk_fma_f32 v[0:1], v[14:15], v[0:1], 0 op_sel_hi:[1,1,0]
	s_delay_alu instid0(VALU_DEP_1) | instskip(NEXT) | instid1(VALU_DEP_1)
	v_pk_fma_f32 v[0:1], v[10:11], v[2:3], v[0:1]
	v_pk_fma_f32 v[36:37], v[122:123], v[0:1], v[36:37]
	s_cbranch_scc1 .LBB175_8
; %bb.9:                                ;   in Loop: Header=BB175_5 Depth=1
	s_add_co_i32 s10, s10, 1
	s_delay_alu instid0(SALU_CYCLE_1)
	s_cmp_eq_u32 s10, s15
	s_barrier_signal -1
	s_barrier_wait -1
	s_cbranch_scc0 .LBB175_5
; %bb.10:
	v_dual_mov_b32 v1, v65 :: v_dual_mov_b32 v2, v77
.LBB175_11:
	s_wait_xcnt 0x0
	s_mov_b32 s0, exec_lo
	v_cmpx_gt_u32_e64 s4, v79
	s_cbranch_execz .LBB175_62
; %bb.12:
	v_mul_lo_u32 v5, v79, s6
	v_add_nc_u32_e32 v0, s14, v2
	s_delay_alu instid0(VALU_DEP_1)
	v_cmp_gt_u32_e32 vcc_lo, s6, v0
	s_and_saveexec_b32 s1, vcc_lo
	s_cbranch_execz .LBB175_14
; %bb.13:
	v_bfe_u32 v2, v75, 16, 1
	v_cmp_o_f32_e64 s0, v75, v75
	v_add_nc_u32_e32 v3, v0, v5
	s_delay_alu instid0(VALU_DEP_3) | instskip(NEXT) | instid1(VALU_DEP_1)
	v_add3_u32 v2, v75, v2, 0x7fff
	v_lshrrev_b32_e32 v2, 16, v2
	s_delay_alu instid0(VALU_DEP_1)
	v_cndmask_b32_e64 v2, 0x7fc0, v2, s0
	s_wait_kmcnt 0x0
	global_store_b16 v3, v2, s[8:9] scale_offset
.LBB175_14:
	s_wait_xcnt 0x0
	s_or_b32 exec_lo, exec_lo, s1
	v_add_nc_u32_e32 v2, 32, v0
	s_delay_alu instid0(VALU_DEP_1)
	v_cmp_gt_u32_e64 s0, s6, v2
	s_and_saveexec_b32 s2, s0
	s_cbranch_execz .LBB175_16
; %bb.15:
	v_bfe_u32 v3, v71, 16, 1
	v_cmp_o_f32_e64 s1, v71, v71
	v_add_nc_u32_e32 v4, v2, v5
	s_delay_alu instid0(VALU_DEP_3) | instskip(NEXT) | instid1(VALU_DEP_1)
	v_add3_u32 v3, v71, v3, 0x7fff
	v_lshrrev_b32_e32 v3, 16, v3
	s_delay_alu instid0(VALU_DEP_1)
	v_cndmask_b32_e64 v3, 0x7fc0, v3, s1
	s_wait_kmcnt 0x0
	global_store_b16 v4, v3, s[8:9] scale_offset
.LBB175_16:
	s_wait_xcnt 0x0
	s_or_b32 exec_lo, exec_lo, s2
	v_add_nc_u32_e32 v3, 64, v0
	s_delay_alu instid0(VALU_DEP_1)
	v_cmp_gt_u32_e64 s1, s6, v3
	s_and_saveexec_b32 s3, s1
	;; [unrolled: 19-line block ×3, first 2 shown]
	s_cbranch_execz .LBB175_20
; %bb.19:
	v_bfe_u32 v6, v61, 16, 1
	v_cmp_o_f32_e64 s3, v61, v61
	v_add_nc_u32_e32 v5, v4, v5
	s_delay_alu instid0(VALU_DEP_3) | instskip(NEXT) | instid1(VALU_DEP_1)
	v_add3_u32 v6, v61, v6, 0x7fff
	v_lshrrev_b32_e32 v6, 16, v6
	s_delay_alu instid0(VALU_DEP_1)
	v_cndmask_b32_e64 v6, 0x7fc0, v6, s3
	s_wait_kmcnt 0x0
	global_store_b16 v5, v6, s[8:9] scale_offset
.LBB175_20:
	s_wait_xcnt 0x0
	s_or_b32 exec_lo, exec_lo, s5
	v_add3_u32 v5, v1, s7, 8
	s_delay_alu instid0(VALU_DEP_1)
	v_cmp_gt_u32_e64 s3, s4, v5
	s_and_b32 exec_lo, exec_lo, s3
	s_cbranch_execz .LBB175_62
; %bb.21:
	v_mul_lo_u32 v5, v5, s6
	s_and_saveexec_b32 s5, vcc_lo
	s_cbranch_execnz .LBB175_63
; %bb.22:
	s_or_b32 exec_lo, exec_lo, s5
	s_and_saveexec_b32 s5, s0
	s_cbranch_execnz .LBB175_64
.LBB175_23:
	s_or_b32 exec_lo, exec_lo, s5
	s_and_saveexec_b32 s5, s1
	s_cbranch_execnz .LBB175_65
.LBB175_24:
	s_or_b32 exec_lo, exec_lo, s5
	s_and_saveexec_b32 s5, s2
	s_cbranch_execz .LBB175_26
.LBB175_25:
	v_bfe_u32 v6, v60, 16, 1
	v_cmp_o_f32_e64 s3, v60, v60
	v_add_nc_u32_e32 v5, v5, v4
	s_delay_alu instid0(VALU_DEP_3) | instskip(NEXT) | instid1(VALU_DEP_1)
	v_add3_u32 v6, v60, v6, 0x7fff
	v_lshrrev_b32_e32 v6, 16, v6
	s_delay_alu instid0(VALU_DEP_1)
	v_cndmask_b32_e64 v6, 0x7fc0, v6, s3
	s_wait_kmcnt 0x0
	global_store_b16 v5, v6, s[8:9] scale_offset
.LBB175_26:
	s_wait_xcnt 0x0
	s_or_b32 exec_lo, exec_lo, s5
	v_add3_u32 v5, v1, s7, 16
	s_delay_alu instid0(VALU_DEP_1)
	v_cmp_gt_u32_e64 s3, s4, v5
	s_and_b32 exec_lo, exec_lo, s3
	s_cbranch_execz .LBB175_62
; %bb.27:
	v_mul_lo_u32 v5, v5, s6
	s_and_saveexec_b32 s5, vcc_lo
	s_cbranch_execnz .LBB175_66
; %bb.28:
	s_or_b32 exec_lo, exec_lo, s5
	s_and_saveexec_b32 s5, s0
	s_cbranch_execnz .LBB175_67
.LBB175_29:
	s_or_b32 exec_lo, exec_lo, s5
	s_and_saveexec_b32 s5, s1
	s_cbranch_execnz .LBB175_68
.LBB175_30:
	s_or_b32 exec_lo, exec_lo, s5
	s_and_saveexec_b32 s5, s2
	s_cbranch_execz .LBB175_32
.LBB175_31:
	v_bfe_u32 v6, v53, 16, 1
	v_cmp_o_f32_e64 s3, v53, v53
	v_add_nc_u32_e32 v5, v5, v4
	s_delay_alu instid0(VALU_DEP_3) | instskip(NEXT) | instid1(VALU_DEP_1)
	v_add3_u32 v6, v53, v6, 0x7fff
	v_lshrrev_b32_e32 v6, 16, v6
	s_delay_alu instid0(VALU_DEP_1)
	v_cndmask_b32_e64 v6, 0x7fc0, v6, s3
	s_wait_kmcnt 0x0
	global_store_b16 v5, v6, s[8:9] scale_offset
.LBB175_32:
	s_wait_xcnt 0x0
	s_or_b32 exec_lo, exec_lo, s5
	v_add3_u32 v5, v1, s7, 24
	s_delay_alu instid0(VALU_DEP_1)
	v_cmp_gt_u32_e64 s3, s4, v5
	s_and_b32 exec_lo, exec_lo, s3
	s_cbranch_execz .LBB175_62
; %bb.33:
	v_mul_lo_u32 v5, v5, s6
	s_and_saveexec_b32 s5, vcc_lo
	s_cbranch_execnz .LBB175_69
; %bb.34:
	s_or_b32 exec_lo, exec_lo, s5
	s_and_saveexec_b32 s5, s0
	s_cbranch_execnz .LBB175_70
.LBB175_35:
	s_or_b32 exec_lo, exec_lo, s5
	s_and_saveexec_b32 s5, s1
	s_cbranch_execnz .LBB175_71
.LBB175_36:
	s_or_b32 exec_lo, exec_lo, s5
	s_and_saveexec_b32 s5, s2
	s_cbranch_execz .LBB175_38
.LBB175_37:
	v_bfe_u32 v6, v52, 16, 1
	v_cmp_o_f32_e64 s3, v52, v52
	v_add_nc_u32_e32 v5, v5, v4
	s_delay_alu instid0(VALU_DEP_3) | instskip(NEXT) | instid1(VALU_DEP_1)
	v_add3_u32 v6, v52, v6, 0x7fff
	v_lshrrev_b32_e32 v6, 16, v6
	s_delay_alu instid0(VALU_DEP_1)
	v_cndmask_b32_e64 v6, 0x7fc0, v6, s3
	s_wait_kmcnt 0x0
	global_store_b16 v5, v6, s[8:9] scale_offset
.LBB175_38:
	s_wait_xcnt 0x0
	s_or_b32 exec_lo, exec_lo, s5
	v_add3_u32 v5, v1, s7, 32
	s_delay_alu instid0(VALU_DEP_1)
	v_cmp_gt_u32_e64 s3, s4, v5
	s_and_b32 exec_lo, exec_lo, s3
	s_cbranch_execz .LBB175_62
; %bb.39:
	v_mul_lo_u32 v5, v5, s6
	s_and_saveexec_b32 s5, vcc_lo
	s_cbranch_execnz .LBB175_72
; %bb.40:
	s_or_b32 exec_lo, exec_lo, s5
	s_and_saveexec_b32 s5, s0
	s_cbranch_execnz .LBB175_73
.LBB175_41:
	s_or_b32 exec_lo, exec_lo, s5
	s_and_saveexec_b32 s5, s1
	s_cbranch_execnz .LBB175_74
.LBB175_42:
	s_or_b32 exec_lo, exec_lo, s5
	s_and_saveexec_b32 s5, s2
	s_cbranch_execz .LBB175_44
.LBB175_43:
	v_bfe_u32 v6, v45, 16, 1
	v_cmp_o_f32_e64 s3, v45, v45
	v_add_nc_u32_e32 v5, v5, v4
	s_delay_alu instid0(VALU_DEP_3) | instskip(NEXT) | instid1(VALU_DEP_1)
	v_add3_u32 v6, v45, v6, 0x7fff
	v_lshrrev_b32_e32 v6, 16, v6
	s_delay_alu instid0(VALU_DEP_1)
	v_cndmask_b32_e64 v6, 0x7fc0, v6, s3
	s_wait_kmcnt 0x0
	global_store_b16 v5, v6, s[8:9] scale_offset
.LBB175_44:
	s_wait_xcnt 0x0
	s_or_b32 exec_lo, exec_lo, s5
	v_add3_u32 v5, v1, s7, 40
	s_delay_alu instid0(VALU_DEP_1)
	v_cmp_gt_u32_e64 s3, s4, v5
	s_and_b32 exec_lo, exec_lo, s3
	s_cbranch_execz .LBB175_62
; %bb.45:
	v_mul_lo_u32 v5, v5, s6
	s_and_saveexec_b32 s5, vcc_lo
	s_cbranch_execnz .LBB175_75
; %bb.46:
	s_or_b32 exec_lo, exec_lo, s5
	s_and_saveexec_b32 s5, s0
	s_cbranch_execnz .LBB175_76
.LBB175_47:
	s_or_b32 exec_lo, exec_lo, s5
	s_and_saveexec_b32 s5, s1
	s_cbranch_execnz .LBB175_77
.LBB175_48:
	s_or_b32 exec_lo, exec_lo, s5
	s_and_saveexec_b32 s5, s2
	s_cbranch_execz .LBB175_50
.LBB175_49:
	v_bfe_u32 v6, v44, 16, 1
	v_cmp_o_f32_e64 s3, v44, v44
	v_add_nc_u32_e32 v5, v5, v4
	s_delay_alu instid0(VALU_DEP_3) | instskip(NEXT) | instid1(VALU_DEP_1)
	v_add3_u32 v6, v44, v6, 0x7fff
	v_lshrrev_b32_e32 v6, 16, v6
	s_delay_alu instid0(VALU_DEP_1)
	v_cndmask_b32_e64 v6, 0x7fc0, v6, s3
	s_wait_kmcnt 0x0
	global_store_b16 v5, v6, s[8:9] scale_offset
.LBB175_50:
	s_wait_xcnt 0x0
	s_or_b32 exec_lo, exec_lo, s5
	v_add3_u32 v5, v1, s7, 48
	s_delay_alu instid0(VALU_DEP_1)
	v_cmp_gt_u32_e64 s3, s4, v5
	s_and_b32 exec_lo, exec_lo, s3
	s_cbranch_execz .LBB175_62
; %bb.51:
	v_mul_lo_u32 v5, v5, s6
	s_and_saveexec_b32 s5, vcc_lo
	s_cbranch_execnz .LBB175_78
; %bb.52:
	s_or_b32 exec_lo, exec_lo, s5
	s_and_saveexec_b32 s5, s0
	s_cbranch_execnz .LBB175_79
.LBB175_53:
	s_or_b32 exec_lo, exec_lo, s5
	s_and_saveexec_b32 s5, s1
	s_cbranch_execnz .LBB175_80
.LBB175_54:
	s_or_b32 exec_lo, exec_lo, s5
	s_and_saveexec_b32 s5, s2
	s_cbranch_execz .LBB175_56
.LBB175_55:
	v_bfe_u32 v6, v37, 16, 1
	v_cmp_o_f32_e64 s3, v37, v37
	v_add_nc_u32_e32 v5, v5, v4
	s_delay_alu instid0(VALU_DEP_3) | instskip(NEXT) | instid1(VALU_DEP_1)
	v_add3_u32 v6, v37, v6, 0x7fff
	v_lshrrev_b32_e32 v6, 16, v6
	s_delay_alu instid0(VALU_DEP_1)
	v_cndmask_b32_e64 v6, 0x7fc0, v6, s3
	s_wait_kmcnt 0x0
	global_store_b16 v5, v6, s[8:9] scale_offset
.LBB175_56:
	s_wait_xcnt 0x0
	s_or_b32 exec_lo, exec_lo, s5
	v_add3_u32 v1, v1, s7, 56
	s_delay_alu instid0(VALU_DEP_1)
	v_cmp_gt_u32_e64 s3, s4, v1
	s_and_b32 exec_lo, exec_lo, s3
	s_cbranch_execz .LBB175_62
; %bb.57:
	v_mul_lo_u32 v1, v1, s6
	s_and_saveexec_b32 s3, vcc_lo
	s_cbranch_execnz .LBB175_81
; %bb.58:
	s_or_b32 exec_lo, exec_lo, s3
	s_and_saveexec_b32 s3, s0
	s_cbranch_execnz .LBB175_82
.LBB175_59:
	s_or_b32 exec_lo, exec_lo, s3
	s_and_saveexec_b32 s0, s1
	s_cbranch_execnz .LBB175_83
.LBB175_60:
	s_or_b32 exec_lo, exec_lo, s0
	s_delay_alu instid0(SALU_CYCLE_1)
	s_and_b32 exec_lo, exec_lo, s2
	s_cbranch_execz .LBB175_62
.LBB175_61:
	v_bfe_u32 v0, v36, 16, 1
	v_cmp_o_f32_e32 vcc_lo, v36, v36
	v_add_nc_u32_e32 v1, v1, v4
	s_delay_alu instid0(VALU_DEP_3) | instskip(NEXT) | instid1(VALU_DEP_1)
	v_add3_u32 v0, v36, v0, 0x7fff
	v_lshrrev_b32_e32 v0, 16, v0
	s_delay_alu instid0(VALU_DEP_1)
	v_cndmask_b32_e32 v0, 0x7fc0, v0, vcc_lo
	s_wait_kmcnt 0x0
	global_store_b16 v1, v0, s[8:9] scale_offset
.LBB175_62:
	s_sendmsg sendmsg(MSG_DEALLOC_VGPRS)
	s_endpgm
.LBB175_63:
	v_bfe_u32 v6, v74, 16, 1
	v_cmp_o_f32_e64 s3, v74, v74
	s_delay_alu instid0(VALU_DEP_3) | instskip(NEXT) | instid1(VALU_DEP_3)
	v_add_nc_u32_e32 v7, v5, v0
	v_add3_u32 v6, v74, v6, 0x7fff
	s_delay_alu instid0(VALU_DEP_1) | instskip(NEXT) | instid1(VALU_DEP_1)
	v_lshrrev_b32_e32 v6, 16, v6
	v_cndmask_b32_e64 v6, 0x7fc0, v6, s3
	s_wait_kmcnt 0x0
	global_store_b16 v7, v6, s[8:9] scale_offset
	s_wait_xcnt 0x0
	s_or_b32 exec_lo, exec_lo, s5
	s_and_saveexec_b32 s5, s0
	s_cbranch_execz .LBB175_23
.LBB175_64:
	v_bfe_u32 v6, v70, 16, 1
	v_cmp_o_f32_e64 s3, v70, v70
	s_delay_alu instid0(VALU_DEP_3) | instskip(NEXT) | instid1(VALU_DEP_3)
	v_add_nc_u32_e32 v7, v5, v2
	v_add3_u32 v6, v70, v6, 0x7fff
	s_delay_alu instid0(VALU_DEP_1) | instskip(NEXT) | instid1(VALU_DEP_1)
	v_lshrrev_b32_e32 v6, 16, v6
	v_cndmask_b32_e64 v6, 0x7fc0, v6, s3
	s_wait_kmcnt 0x0
	global_store_b16 v7, v6, s[8:9] scale_offset
	s_wait_xcnt 0x0
	s_or_b32 exec_lo, exec_lo, s5
	s_and_saveexec_b32 s5, s1
	s_cbranch_execz .LBB175_24
.LBB175_65:
	v_bfe_u32 v6, v68, 16, 1
	v_cmp_o_f32_e64 s3, v68, v68
	v_add_nc_u32_e32 v7, v5, v3
	s_delay_alu instid0(VALU_DEP_3) | instskip(NEXT) | instid1(VALU_DEP_1)
	v_add3_u32 v6, v68, v6, 0x7fff
	v_lshrrev_b32_e32 v6, 16, v6
	s_delay_alu instid0(VALU_DEP_1)
	v_cndmask_b32_e64 v6, 0x7fc0, v6, s3
	s_wait_kmcnt 0x0
	global_store_b16 v7, v6, s[8:9] scale_offset
	s_wait_xcnt 0x0
	s_or_b32 exec_lo, exec_lo, s5
	s_and_saveexec_b32 s5, s2
	s_cbranch_execnz .LBB175_25
	s_branch .LBB175_26
.LBB175_66:
	v_bfe_u32 v6, v59, 16, 1
	v_cmp_o_f32_e64 s3, v59, v59
	s_delay_alu instid0(VALU_DEP_3) | instskip(NEXT) | instid1(VALU_DEP_3)
	v_add_nc_u32_e32 v7, v5, v0
	v_add3_u32 v6, v59, v6, 0x7fff
	s_delay_alu instid0(VALU_DEP_1) | instskip(NEXT) | instid1(VALU_DEP_1)
	v_lshrrev_b32_e32 v6, 16, v6
	v_cndmask_b32_e64 v6, 0x7fc0, v6, s3
	s_wait_kmcnt 0x0
	global_store_b16 v7, v6, s[8:9] scale_offset
	s_wait_xcnt 0x0
	s_or_b32 exec_lo, exec_lo, s5
	s_and_saveexec_b32 s5, s0
	s_cbranch_execz .LBB175_29
.LBB175_67:
	v_bfe_u32 v6, v57, 16, 1
	v_cmp_o_f32_e64 s3, v57, v57
	s_delay_alu instid0(VALU_DEP_3) | instskip(NEXT) | instid1(VALU_DEP_3)
	v_add_nc_u32_e32 v7, v5, v2
	v_add3_u32 v6, v57, v6, 0x7fff
	s_delay_alu instid0(VALU_DEP_1) | instskip(NEXT) | instid1(VALU_DEP_1)
	v_lshrrev_b32_e32 v6, 16, v6
	v_cndmask_b32_e64 v6, 0x7fc0, v6, s3
	s_wait_kmcnt 0x0
	global_store_b16 v7, v6, s[8:9] scale_offset
	s_wait_xcnt 0x0
	s_or_b32 exec_lo, exec_lo, s5
	s_and_saveexec_b32 s5, s1
	s_cbranch_execz .LBB175_30
.LBB175_68:
	v_bfe_u32 v6, v55, 16, 1
	v_cmp_o_f32_e64 s3, v55, v55
	v_add_nc_u32_e32 v7, v5, v3
	s_delay_alu instid0(VALU_DEP_3) | instskip(NEXT) | instid1(VALU_DEP_1)
	v_add3_u32 v6, v55, v6, 0x7fff
	v_lshrrev_b32_e32 v6, 16, v6
	s_delay_alu instid0(VALU_DEP_1)
	v_cndmask_b32_e64 v6, 0x7fc0, v6, s3
	s_wait_kmcnt 0x0
	global_store_b16 v7, v6, s[8:9] scale_offset
	s_wait_xcnt 0x0
	s_or_b32 exec_lo, exec_lo, s5
	s_and_saveexec_b32 s5, s2
	s_cbranch_execnz .LBB175_31
	s_branch .LBB175_32
.LBB175_69:
	v_bfe_u32 v6, v58, 16, 1
	v_cmp_o_f32_e64 s3, v58, v58
	s_delay_alu instid0(VALU_DEP_3) | instskip(NEXT) | instid1(VALU_DEP_3)
	v_add_nc_u32_e32 v7, v5, v0
	v_add3_u32 v6, v58, v6, 0x7fff
	s_delay_alu instid0(VALU_DEP_1) | instskip(NEXT) | instid1(VALU_DEP_1)
	v_lshrrev_b32_e32 v6, 16, v6
	v_cndmask_b32_e64 v6, 0x7fc0, v6, s3
	s_wait_kmcnt 0x0
	global_store_b16 v7, v6, s[8:9] scale_offset
	s_wait_xcnt 0x0
	s_or_b32 exec_lo, exec_lo, s5
	s_and_saveexec_b32 s5, s0
	s_cbranch_execz .LBB175_35
.LBB175_70:
	v_bfe_u32 v6, v56, 16, 1
	v_cmp_o_f32_e64 s3, v56, v56
	s_delay_alu instid0(VALU_DEP_3) | instskip(NEXT) | instid1(VALU_DEP_3)
	v_add_nc_u32_e32 v7, v5, v2
	v_add3_u32 v6, v56, v6, 0x7fff
	s_delay_alu instid0(VALU_DEP_1) | instskip(NEXT) | instid1(VALU_DEP_1)
	v_lshrrev_b32_e32 v6, 16, v6
	v_cndmask_b32_e64 v6, 0x7fc0, v6, s3
	s_wait_kmcnt 0x0
	global_store_b16 v7, v6, s[8:9] scale_offset
	s_wait_xcnt 0x0
	s_or_b32 exec_lo, exec_lo, s5
	s_and_saveexec_b32 s5, s1
	s_cbranch_execz .LBB175_36
.LBB175_71:
	v_bfe_u32 v6, v54, 16, 1
	v_cmp_o_f32_e64 s3, v54, v54
	v_add_nc_u32_e32 v7, v5, v3
	s_delay_alu instid0(VALU_DEP_3) | instskip(NEXT) | instid1(VALU_DEP_1)
	v_add3_u32 v6, v54, v6, 0x7fff
	v_lshrrev_b32_e32 v6, 16, v6
	s_delay_alu instid0(VALU_DEP_1)
	v_cndmask_b32_e64 v6, 0x7fc0, v6, s3
	s_wait_kmcnt 0x0
	global_store_b16 v7, v6, s[8:9] scale_offset
	s_wait_xcnt 0x0
	s_or_b32 exec_lo, exec_lo, s5
	s_and_saveexec_b32 s5, s2
	s_cbranch_execnz .LBB175_37
	s_branch .LBB175_38
.LBB175_72:
	v_bfe_u32 v6, v51, 16, 1
	v_cmp_o_f32_e64 s3, v51, v51
	s_delay_alu instid0(VALU_DEP_3) | instskip(NEXT) | instid1(VALU_DEP_3)
	v_add_nc_u32_e32 v7, v5, v0
	v_add3_u32 v6, v51, v6, 0x7fff
	s_delay_alu instid0(VALU_DEP_1) | instskip(NEXT) | instid1(VALU_DEP_1)
	v_lshrrev_b32_e32 v6, 16, v6
	v_cndmask_b32_e64 v6, 0x7fc0, v6, s3
	s_wait_kmcnt 0x0
	global_store_b16 v7, v6, s[8:9] scale_offset
	s_wait_xcnt 0x0
	s_or_b32 exec_lo, exec_lo, s5
	s_and_saveexec_b32 s5, s0
	s_cbranch_execz .LBB175_41
.LBB175_73:
	v_bfe_u32 v6, v49, 16, 1
	v_cmp_o_f32_e64 s3, v49, v49
	s_delay_alu instid0(VALU_DEP_3) | instskip(NEXT) | instid1(VALU_DEP_3)
	v_add_nc_u32_e32 v7, v5, v2
	v_add3_u32 v6, v49, v6, 0x7fff
	s_delay_alu instid0(VALU_DEP_1) | instskip(NEXT) | instid1(VALU_DEP_1)
	v_lshrrev_b32_e32 v6, 16, v6
	v_cndmask_b32_e64 v6, 0x7fc0, v6, s3
	s_wait_kmcnt 0x0
	global_store_b16 v7, v6, s[8:9] scale_offset
	s_wait_xcnt 0x0
	s_or_b32 exec_lo, exec_lo, s5
	s_and_saveexec_b32 s5, s1
	s_cbranch_execz .LBB175_42
.LBB175_74:
	v_bfe_u32 v6, v47, 16, 1
	v_cmp_o_f32_e64 s3, v47, v47
	v_add_nc_u32_e32 v7, v5, v3
	s_delay_alu instid0(VALU_DEP_3) | instskip(NEXT) | instid1(VALU_DEP_1)
	v_add3_u32 v6, v47, v6, 0x7fff
	v_lshrrev_b32_e32 v6, 16, v6
	s_delay_alu instid0(VALU_DEP_1)
	v_cndmask_b32_e64 v6, 0x7fc0, v6, s3
	s_wait_kmcnt 0x0
	global_store_b16 v7, v6, s[8:9] scale_offset
	s_wait_xcnt 0x0
	s_or_b32 exec_lo, exec_lo, s5
	s_and_saveexec_b32 s5, s2
	s_cbranch_execnz .LBB175_43
	s_branch .LBB175_44
.LBB175_75:
	v_bfe_u32 v6, v50, 16, 1
	v_cmp_o_f32_e64 s3, v50, v50
	s_delay_alu instid0(VALU_DEP_3) | instskip(NEXT) | instid1(VALU_DEP_3)
	v_add_nc_u32_e32 v7, v5, v0
	v_add3_u32 v6, v50, v6, 0x7fff
	s_delay_alu instid0(VALU_DEP_1) | instskip(NEXT) | instid1(VALU_DEP_1)
	v_lshrrev_b32_e32 v6, 16, v6
	v_cndmask_b32_e64 v6, 0x7fc0, v6, s3
	s_wait_kmcnt 0x0
	global_store_b16 v7, v6, s[8:9] scale_offset
	s_wait_xcnt 0x0
	s_or_b32 exec_lo, exec_lo, s5
	s_and_saveexec_b32 s5, s0
	s_cbranch_execz .LBB175_47
.LBB175_76:
	v_bfe_u32 v6, v48, 16, 1
	v_cmp_o_f32_e64 s3, v48, v48
	s_delay_alu instid0(VALU_DEP_3) | instskip(NEXT) | instid1(VALU_DEP_3)
	v_add_nc_u32_e32 v7, v5, v2
	v_add3_u32 v6, v48, v6, 0x7fff
	s_delay_alu instid0(VALU_DEP_1) | instskip(NEXT) | instid1(VALU_DEP_1)
	v_lshrrev_b32_e32 v6, 16, v6
	v_cndmask_b32_e64 v6, 0x7fc0, v6, s3
	s_wait_kmcnt 0x0
	global_store_b16 v7, v6, s[8:9] scale_offset
	s_wait_xcnt 0x0
	s_or_b32 exec_lo, exec_lo, s5
	s_and_saveexec_b32 s5, s1
	s_cbranch_execz .LBB175_48
.LBB175_77:
	v_bfe_u32 v6, v46, 16, 1
	v_cmp_o_f32_e64 s3, v46, v46
	v_add_nc_u32_e32 v7, v5, v3
	s_delay_alu instid0(VALU_DEP_3) | instskip(NEXT) | instid1(VALU_DEP_1)
	v_add3_u32 v6, v46, v6, 0x7fff
	v_lshrrev_b32_e32 v6, 16, v6
	s_delay_alu instid0(VALU_DEP_1)
	v_cndmask_b32_e64 v6, 0x7fc0, v6, s3
	s_wait_kmcnt 0x0
	global_store_b16 v7, v6, s[8:9] scale_offset
	s_wait_xcnt 0x0
	s_or_b32 exec_lo, exec_lo, s5
	s_and_saveexec_b32 s5, s2
	s_cbranch_execnz .LBB175_49
	s_branch .LBB175_50
.LBB175_78:
	v_bfe_u32 v6, v43, 16, 1
	v_cmp_o_f32_e64 s3, v43, v43
	s_delay_alu instid0(VALU_DEP_3) | instskip(NEXT) | instid1(VALU_DEP_3)
	v_add_nc_u32_e32 v7, v5, v0
	v_add3_u32 v6, v43, v6, 0x7fff
	s_delay_alu instid0(VALU_DEP_1) | instskip(NEXT) | instid1(VALU_DEP_1)
	v_lshrrev_b32_e32 v6, 16, v6
	v_cndmask_b32_e64 v6, 0x7fc0, v6, s3
	s_wait_kmcnt 0x0
	global_store_b16 v7, v6, s[8:9] scale_offset
	s_wait_xcnt 0x0
	s_or_b32 exec_lo, exec_lo, s5
	s_and_saveexec_b32 s5, s0
	s_cbranch_execz .LBB175_53
.LBB175_79:
	v_bfe_u32 v6, v41, 16, 1
	v_cmp_o_f32_e64 s3, v41, v41
	s_delay_alu instid0(VALU_DEP_3) | instskip(NEXT) | instid1(VALU_DEP_3)
	v_add_nc_u32_e32 v7, v5, v2
	v_add3_u32 v6, v41, v6, 0x7fff
	s_delay_alu instid0(VALU_DEP_1) | instskip(NEXT) | instid1(VALU_DEP_1)
	v_lshrrev_b32_e32 v6, 16, v6
	v_cndmask_b32_e64 v6, 0x7fc0, v6, s3
	s_wait_kmcnt 0x0
	global_store_b16 v7, v6, s[8:9] scale_offset
	s_wait_xcnt 0x0
	s_or_b32 exec_lo, exec_lo, s5
	s_and_saveexec_b32 s5, s1
	s_cbranch_execz .LBB175_54
.LBB175_80:
	v_bfe_u32 v6, v39, 16, 1
	v_cmp_o_f32_e64 s3, v39, v39
	v_add_nc_u32_e32 v7, v5, v3
	s_delay_alu instid0(VALU_DEP_3) | instskip(NEXT) | instid1(VALU_DEP_1)
	v_add3_u32 v6, v39, v6, 0x7fff
	v_lshrrev_b32_e32 v6, 16, v6
	s_delay_alu instid0(VALU_DEP_1)
	v_cndmask_b32_e64 v6, 0x7fc0, v6, s3
	s_wait_kmcnt 0x0
	global_store_b16 v7, v6, s[8:9] scale_offset
	s_wait_xcnt 0x0
	s_or_b32 exec_lo, exec_lo, s5
	s_and_saveexec_b32 s5, s2
	s_cbranch_execnz .LBB175_55
	s_branch .LBB175_56
.LBB175_81:
	v_bfe_u32 v5, v42, 16, 1
	v_cmp_o_f32_e32 vcc_lo, v42, v42
	s_delay_alu instid0(VALU_DEP_3) | instskip(NEXT) | instid1(VALU_DEP_3)
	v_add_nc_u32_e32 v0, v1, v0
	v_add3_u32 v5, v42, v5, 0x7fff
	s_delay_alu instid0(VALU_DEP_1) | instskip(NEXT) | instid1(VALU_DEP_1)
	v_lshrrev_b32_e32 v5, 16, v5
	v_cndmask_b32_e32 v5, 0x7fc0, v5, vcc_lo
	s_wait_kmcnt 0x0
	global_store_b16 v0, v5, s[8:9] scale_offset
	s_wait_xcnt 0x0
	s_or_b32 exec_lo, exec_lo, s3
	s_and_saveexec_b32 s3, s0
	s_cbranch_execz .LBB175_59
.LBB175_82:
	v_bfe_u32 v0, v40, 16, 1
	v_cmp_o_f32_e32 vcc_lo, v40, v40
	s_delay_alu instid0(VALU_DEP_3) | instskip(NEXT) | instid1(VALU_DEP_3)
	v_add_nc_u32_e32 v2, v1, v2
	v_add3_u32 v0, v40, v0, 0x7fff
	s_delay_alu instid0(VALU_DEP_1) | instskip(NEXT) | instid1(VALU_DEP_1)
	v_lshrrev_b32_e32 v0, 16, v0
	v_cndmask_b32_e32 v0, 0x7fc0, v0, vcc_lo
	s_wait_kmcnt 0x0
	global_store_b16 v2, v0, s[8:9] scale_offset
	s_wait_xcnt 0x0
	s_or_b32 exec_lo, exec_lo, s3
	s_and_saveexec_b32 s0, s1
	s_cbranch_execz .LBB175_60
.LBB175_83:
	v_bfe_u32 v0, v38, 16, 1
	v_cmp_o_f32_e32 vcc_lo, v38, v38
	v_add_nc_u32_e32 v2, v1, v3
	s_delay_alu instid0(VALU_DEP_3) | instskip(NEXT) | instid1(VALU_DEP_1)
	v_add3_u32 v0, v38, v0, 0x7fff
	v_lshrrev_b32_e32 v0, 16, v0
	s_delay_alu instid0(VALU_DEP_1) | instskip(SKIP_4) | instid1(SALU_CYCLE_1)
	v_cndmask_b32_e32 v0, 0x7fc0, v0, vcc_lo
	s_wait_kmcnt 0x0
	global_store_b16 v2, v0, s[8:9] scale_offset
	s_wait_xcnt 0x0
	s_or_b32 exec_lo, exec_lo, s0
	s_and_b32 exec_lo, exec_lo, s2
	s_cbranch_execnz .LBB175_61
	s_branch .LBB175_62
	.section	.rodata,"a",@progbits
	.p2align	6, 0x0
	.amdhsa_kernel _ZL12mul_mat_q6_KIN3c108BFloat16ELb0EEvPKvS3_PT_iiiii
		.amdhsa_group_segment_fixed_size 45136
		.amdhsa_private_segment_fixed_size 0
		.amdhsa_kernarg_size 44
		.amdhsa_user_sgpr_count 2
		.amdhsa_user_sgpr_dispatch_ptr 0
		.amdhsa_user_sgpr_queue_ptr 0
		.amdhsa_user_sgpr_kernarg_segment_ptr 1
		.amdhsa_user_sgpr_dispatch_id 0
		.amdhsa_user_sgpr_kernarg_preload_length 0
		.amdhsa_user_sgpr_kernarg_preload_offset 0
		.amdhsa_user_sgpr_private_segment_size 0
		.amdhsa_wavefront_size32 1
		.amdhsa_uses_dynamic_stack 0
		.amdhsa_enable_private_segment 0
		.amdhsa_system_sgpr_workgroup_id_x 1
		.amdhsa_system_sgpr_workgroup_id_y 1
		.amdhsa_system_sgpr_workgroup_id_z 0
		.amdhsa_system_sgpr_workgroup_info 0
		.amdhsa_system_vgpr_workitem_id 1
		.amdhsa_next_free_vgpr 316
		.amdhsa_next_free_sgpr 18
		.amdhsa_named_barrier_count 0
		.amdhsa_reserve_vcc 1
		.amdhsa_float_round_mode_32 0
		.amdhsa_float_round_mode_16_64 0
		.amdhsa_float_denorm_mode_32 3
		.amdhsa_float_denorm_mode_16_64 3
		.amdhsa_fp16_overflow 0
		.amdhsa_memory_ordered 1
		.amdhsa_forward_progress 1
		.amdhsa_inst_pref_size 255
		.amdhsa_round_robin_scheduling 0
		.amdhsa_exception_fp_ieee_invalid_op 0
		.amdhsa_exception_fp_denorm_src 0
		.amdhsa_exception_fp_ieee_div_zero 0
		.amdhsa_exception_fp_ieee_overflow 0
		.amdhsa_exception_fp_ieee_underflow 0
		.amdhsa_exception_fp_ieee_inexact 0
		.amdhsa_exception_int_div_zero 0
	.end_amdhsa_kernel
	.section	.text._ZL12mul_mat_q6_KIN3c108BFloat16ELb0EEvPKvS3_PT_iiiii,"axG",@progbits,_ZL12mul_mat_q6_KIN3c108BFloat16ELb0EEvPKvS3_PT_iiiii,comdat
.Lfunc_end175:
	.size	_ZL12mul_mat_q6_KIN3c108BFloat16ELb0EEvPKvS3_PT_iiiii, .Lfunc_end175-_ZL12mul_mat_q6_KIN3c108BFloat16ELb0EEvPKvS3_PT_iiiii
                                        ; -- End function
	.set _ZL12mul_mat_q6_KIN3c108BFloat16ELb0EEvPKvS3_PT_iiiii.num_vgpr, 316
	.set _ZL12mul_mat_q6_KIN3c108BFloat16ELb0EEvPKvS3_PT_iiiii.num_agpr, 0
	.set _ZL12mul_mat_q6_KIN3c108BFloat16ELb0EEvPKvS3_PT_iiiii.numbered_sgpr, 18
	.set _ZL12mul_mat_q6_KIN3c108BFloat16ELb0EEvPKvS3_PT_iiiii.num_named_barrier, 0
	.set _ZL12mul_mat_q6_KIN3c108BFloat16ELb0EEvPKvS3_PT_iiiii.private_seg_size, 0
	.set _ZL12mul_mat_q6_KIN3c108BFloat16ELb0EEvPKvS3_PT_iiiii.uses_vcc, 1
	.set _ZL12mul_mat_q6_KIN3c108BFloat16ELb0EEvPKvS3_PT_iiiii.uses_flat_scratch, 0
	.set _ZL12mul_mat_q6_KIN3c108BFloat16ELb0EEvPKvS3_PT_iiiii.has_dyn_sized_stack, 0
	.set _ZL12mul_mat_q6_KIN3c108BFloat16ELb0EEvPKvS3_PT_iiiii.has_recursion, 0
	.set _ZL12mul_mat_q6_KIN3c108BFloat16ELb0EEvPKvS3_PT_iiiii.has_indirect_call, 0
	.section	.AMDGPU.csdata,"",@progbits
; Kernel info:
; codeLenInByte = 49532
; TotalNumSgprs: 20
; NumVgprs: 316
; ScratchSize: 0
; MemoryBound: 0
; FloatMode: 240
; IeeeMode: 1
; LDSByteSize: 45136 bytes/workgroup (compile time only)
; SGPRBlocks: 0
; VGPRBlocks: 19
; NumSGPRsForWavesPerEU: 20
; NumVGPRsForWavesPerEU: 316
; NamedBarCnt: 0
; Occupancy: 3
; WaveLimiterHint : 0
; COMPUTE_PGM_RSRC2:SCRATCH_EN: 0
; COMPUTE_PGM_RSRC2:USER_SGPR: 2
; COMPUTE_PGM_RSRC2:TRAP_HANDLER: 0
; COMPUTE_PGM_RSRC2:TGID_X_EN: 1
; COMPUTE_PGM_RSRC2:TGID_Y_EN: 1
; COMPUTE_PGM_RSRC2:TGID_Z_EN: 0
; COMPUTE_PGM_RSRC2:TIDIG_COMP_CNT: 1
	.section	.text._ZL12mul_mat_q6_KIN3c108BFloat16ELb1EEvPKvS3_PT_iiiii,"axG",@progbits,_ZL12mul_mat_q6_KIN3c108BFloat16ELb1EEvPKvS3_PT_iiiii,comdat
	.globl	_ZL12mul_mat_q6_KIN3c108BFloat16ELb1EEvPKvS3_PT_iiiii ; -- Begin function _ZL12mul_mat_q6_KIN3c108BFloat16ELb1EEvPKvS3_PT_iiiii
	.p2align	8
	.type	_ZL12mul_mat_q6_KIN3c108BFloat16ELb1EEvPKvS3_PT_iiiii,@function
_ZL12mul_mat_q6_KIN3c108BFloat16ELb1EEvPKvS3_PT_iiiii: ; @_ZL12mul_mat_q6_KIN3c108BFloat16ELb1EEvPKvS3_PT_iiiii
; %bb.0:
	s_clause 0x1
	s_load_b128 s[4:7], s[0:1], 0x18
	s_load_b32 s12, s[0:1], 0x28
	s_bfe_u32 s2, ttmp6, 0x4000c
	s_bfe_u32 s8, ttmp6, 0x40010
	s_add_co_i32 s2, s2, 1
	s_and_b32 s3, ttmp6, 15
	s_mul_i32 s2, ttmp9, s2
	s_add_co_i32 s8, s8, 1
	s_add_co_i32 s3, s3, s2
	s_mul_i32 s2, ttmp7, s8
	s_bfe_u32 s8, ttmp6, 0x40004
	s_getreg_b32 s9, hwreg(HW_REG_IB_STS2, 6, 4)
	s_add_co_i32 s8, s8, s2
	s_cmp_eq_u32 s9, 0
	v_bfe_u32 v75, v0, 10, 10
	s_cselect_b32 s8, ttmp7, s8
	v_and_b32_e32 v79, 0x3ff, v0
	s_cselect_b32 s2, ttmp9, s3
	s_lshl_b32 s13, s8, 6
	s_mov_b32 s3, 0
	s_wait_kmcnt 0x0
	s_cmp_gt_i32 s4, 0xff
	s_cbranch_scc1 .LBB176_2
; %bb.1:
	v_bfe_u32 v1, v0, 10, 10
	v_and_b32_e32 v2, 0x3ff, v0
	s_delay_alu instid0(VALU_DEP_2)
	v_add_nc_u32_e32 v81, s13, v1
	s_branch .LBB176_3
.LBB176_2:
	s_mov_b32 s3, -1
                                        ; implicit-def: $vgpr1
                                        ; implicit-def: $vgpr2
                                        ; implicit-def: $vgpr81
.LBB176_3:
	s_load_b64 s[8:9], s[0:1], 0x10
	v_dual_mov_b32 v37, 0 :: v_dual_mov_b32 v36, 0
	v_dual_mov_b32 v45, 0 :: v_dual_mov_b32 v44, 0
	;; [unrolled: 1-line block ×16, first 2 shown]
	s_and_not1_b32 vcc_lo, exec_lo, s3
	s_lshl_b32 s14, s2, 7
	s_cbranch_vccnz .LBB176_11
; %bb.4:
	v_and_b32_e32 v1, 31, v0
	s_ashr_i32 s2, s4, 31
	v_dual_add_nc_u32 v23, 16, v75 :: v_dual_add_nc_u32 v24, 24, v75
	s_lshr_b32 s10, s2, 24
	s_delay_alu instid0(VALU_DEP_2)
	v_add_nc_u16 v3, v1, -16
	v_cmp_gt_u32_e32 vcc_lo, 16, v1
	v_lshlrev_b32_e32 v2, 1, v1
	s_add_co_i32 s4, s4, s10
	s_ashr_i32 s10, s7, 31
	v_dual_mov_b32 v53, 0 :: v_dual_cndmask_b32 v20, v3, v1
	s_delay_alu instid0(VALU_DEP_2) | instskip(SKIP_3) | instid1(VALU_DEP_2)
	v_add_nc_u32_e32 v4, 0xe0, v2
	s_ashr_i32 s15, s4, 8
	s_lshr_b32 s4, s10, 27
	v_dual_lshlrev_b32 v87, 5, v75 :: v_dual_bitop2_b32 v5, 7, v0 bitop3:0x40
	v_dual_add_nc_u32 v81, s13, v75 :: v_dual_cndmask_b32 v3, v4, v2, vcc_lo
	v_lshrrev_b32_e32 v4, 1, v0
	s_add_co_i32 s4, s7, s4
	s_not_b32 s7, s14
	s_delay_alu instid0(VALU_DEP_2) | instskip(SKIP_4) | instid1(VALU_DEP_3)
	v_add_nc_u32_e32 v6, 8, v81
	v_and_b32_e32 v3, 0xfe, v3
	s_add_co_i32 s5, s5, s7
	v_and_or_b32 v4, v4, 8, v5
	v_dual_add_nc_u32 v8, 16, v81 :: v_dual_min_i32 v26, s5, v23
	v_dual_add_nc_u32 v10, 24, v81 :: v_dual_sub_nc_u32 v2, v2, v3
	v_and_b32_e32 v3, 15, v0
	v_dual_add_nc_u32 v28, 32, v75 :: v_dual_min_i32 v27, s5, v24
	s_add_co_i32 s7, s6, -1
	v_dual_lshlrev_b32 v52, 2, v1 :: v_dual_lshlrev_b32 v54, 2, v4
	s_delay_alu instid0(VALU_DEP_3)
	v_add_lshl_u32 v22, v2, v3, 2
	v_cvt_f64_i32_e32 v[2:3], s7
	v_cvt_f64_u32_e32 v[4:5], v81
	v_cvt_f64_u32_e32 v[6:7], v6
	v_dual_add_nc_u32 v12, 32, v81 :: v_dual_add_nc_u32 v14, 40, v81
	v_cvt_f64_u32_e32 v[8:9], v8
	v_dual_add_nc_u32 v18, v87, v79 :: v_dual_min_i32 v29, s5, v28
	v_dual_add_nc_u32 v16, 48, v81 :: v_dual_add_nc_u32 v19, 56, v81
	v_cvt_f64_u32_e32 v[10:11], v10
	v_cvt_f64_u32_e32 v[12:13], v12
	s_delay_alu instid0(VALU_DEP_4)
	v_and_b32_e32 v32, 0x7f, v18
	v_cvt_f64_u32_e32 v[14:15], v14
	v_cvt_f64_u32_e32 v[16:17], v16
	;; [unrolled: 1-line block ×3, first 2 shown]
	v_bfe_u32 v30, v0, 2, 8
	v_dual_add_nc_u32 v31, 40, v75 :: v_dual_min_i32 v32, s5, v32
	v_dual_add_nc_u32 v34, 48, v75 :: v_dual_add_nc_u32 v36, 56, v75
	s_delay_alu instid0(VALU_DEP_3) | instskip(NEXT) | instid1(VALU_DEP_3)
	v_lshl_add_u32 v30, v75, 3, v30
	v_dual_ashrrev_i32 v37, 31, v32 :: v_dual_min_i32 v33, s5, v31
	s_delay_alu instid0(VALU_DEP_3) | instskip(SKIP_1) | instid1(VALU_DEP_4)
	v_dual_add_nc_u32 v1, 8, v75 :: v_dual_min_i32 v38, s5, v34
	v_min_i32_e32 v21, s5, v75
	v_and_b32_e32 v35, 0x7f, v30
	s_delay_alu instid0(VALU_DEP_4) | instskip(SKIP_2) | instid1(VALU_DEP_3)
	v_lshrrev_b32_e32 v37, 27, v37
	v_bitop3_b32 v39, v30, 64, 0x7f bitop3:0x6c
	v_dual_lshlrev_b32 v44, 2, v32 :: v_dual_bitop2_b32 v30, 63, v30 bitop3:0x40
	v_dual_add_nc_u32 v37, v32, v37 :: v_dual_min_i32 v35, s5, v35
	v_dual_min_num_f64 v[4:5], v[4:5], v[2:3] :: v_dual_min_i32 v40, s5, v36
	s_ashr_i32 s4, s4, 5
	s_delay_alu instid0(VALU_DEP_2)
	v_dual_min_num_f64 v[8:9], v[8:9], v[2:3] :: v_dual_ashrrev_i32 v37, 5, v37
	v_min_num_f64_e32 v[6:7], v[6:7], v[2:3]
	v_ashrrev_i32_e32 v42, 31, v35
	v_min_i32_e32 v39, s5, v39
	v_min_num_f64_e32 v[10:11], v[10:11], v[2:3]
	v_min_num_f64_e32 v[12:13], v[12:13], v[2:3]
	s_wait_xcnt 0x0
	s_load_b128 s[0:3], s[0:1], 0x0
	v_min_num_f64_e32 v[14:15], v[14:15], v[2:3]
	v_min_num_f64_e32 v[16:17], v[16:17], v[2:3]
	;; [unrolled: 1-line block ×3, first 2 shown]
	v_dual_lshrrev_b32 v42, 29, v42 :: v_dual_ashrrev_i32 v43, 31, v39
	v_dual_lshlrev_b32 v18, 2, v37 :: v_dual_bitop2_b32 v37, 3, v0 bitop3:0x40
	v_dual_mov_b32 v55, v53 :: v_dual_min_i32 v25, s5, v1
	s_delay_alu instid0(VALU_DEP_3) | instskip(NEXT) | instid1(VALU_DEP_3)
	v_dual_add_nc_u32 v42, v35, v42 :: v_dual_lshrrev_b32 v43, 29, v43
	v_lshlrev_b32_e32 v72, 2, v37
	s_delay_alu instid0(VALU_DEP_4) | instskip(SKIP_1) | instid1(VALU_DEP_4)
	v_add3_u32 v97, v18, v44, 0xae40
	v_add_min_i32_e64 v41, v75, 64, s5
	v_dual_ashrrev_i32 v42, 3, v42 :: v_dual_add_nc_u32 v19, v39, v43
	v_or_b32_e32 v43, s13, v30
	v_bfe_u32 v74, v0, 5, 5
	v_mov_b32_e32 v73, v53
	v_mad_u32 v83, 0x104, v21, v22
	v_ashrrev_i32_e32 v19, 3, v19
	v_cvt_i32_f64_e32 v4, v[4:5]
	v_dual_lshlrev_b32 v42, 2, v42 :: v_dual_min_i32 v43, s7, v43
	v_cvt_i32_f64_e32 v8, v[8:9]
	v_mad_u32 v85, 0x104, v25, v22
	v_cvt_i32_f64_e32 v6, v[6:7]
	s_delay_alu instid0(VALU_DEP_4)
	v_add3_u32 v42, v42, v72, 0xa200
	v_mad_u32 v99, v43, s4, v37
	v_cvt_i32_f64_e32 v10, v[10:11]
	v_cvt_i32_f64_e32 v12, v[12:13]
	v_lshlrev_b32_e32 v11, 7, v1
	v_cvt_i32_f64_e32 v14, v[14:15]
	v_lshlrev_b32_e32 v15, 7, v24
	;; [unrolled: 2-line block ×3, first 2 shown]
	v_cvt_i32_f64_e32 v43, v[2:3]
	v_dual_lshlrev_b32 v37, 4, v35 :: v_dual_lshlrev_b32 v3, 7, v34
	v_lshlrev_b32_e32 v18, 2, v19
	v_or_b32_e32 v7, 0x8200, v52
	s_delay_alu instid0(VALU_DEP_3) | instskip(SKIP_1) | instid1(VALU_DEP_4)
	v_dual_lshlrev_b32 v13, 7, v23 :: v_dual_add_nc_u32 v101, v42, v37
	v_add_min_i32_e64 v19, 0x48, v75, s5
	v_add3_u32 v18, v18, v72, 0xa200
	v_lshlrev_b32_e32 v9, 7, v75
	v_lshlrev_b32_e32 v5, 4, v39
	v_dual_add_nc_u32 v107, v7, v11 :: v_dual_add_nc_u32 v113, v7, v17
	s_delay_alu instid0(VALU_DEP_3) | instskip(NEXT) | instid1(VALU_DEP_3)
	v_dual_lshlrev_b32 v17, 2, v79 :: v_dual_add_nc_u32 v105, v7, v9
	v_dual_add_nc_u32 v103, v18, v5 :: v_dual_lshlrev_b32 v5, 7, v36
	v_dual_lshlrev_b32 v2, 7, v31 :: v_dual_add_nc_u32 v109, v7, v13
	v_mul_lo_u32 v193, s4, v4
	v_mul_lo_u32 v195, s4, v8
	v_add_nc_u32_e32 v4, 32, v79
	v_mul_lo_u32 v194, s4, v6
	v_add_nc_u32_e32 v6, 64, v79
	v_add_nc_u32_e32 v8, 0x60, v79
	v_dual_add_nc_u32 v111, v7, v15 :: v_dual_add_nc_u32 v115, v7, v2
	v_dual_add_nc_u32 v180, v7, v3 :: v_dual_add_nc_u32 v181, v7, v5
	v_add_min_i32_e64 v5, 0x50, v75, s5
	v_add_min_i32_e64 v7, 0x58, v75, s5
	;; [unrolled: 1-line block ×6, first 2 shown]
	v_lshl_or_b32 v18, v30, 4, v72
	v_mul_lo_u32 v196, s4, v10
	v_mul_lo_u32 v197, s4, v12
	v_dual_lshrrev_b32 v200, 3, v4 :: v_dual_lshrrev_b32 v10, 3, v6
	v_dual_lshrrev_b32 v12, 3, v8 :: v_dual_bitop2_b32 v2, 28, v17 bitop3:0x40
	v_mov_b32_e32 v3, v53
	v_mad_u32 v89, 0x104, v26, v22
	v_mad_u32 v91, 0x104, v27, v22
	v_mad_u32 v93, 0x104, v29, v22
	v_mad_u32 v95, 0x104, v33, v22
	v_mad_u32 v182, 0x104, v38, v22
	v_mad_u32 v183, 0x104, v40, v22
	v_mad_u32 v184, 0x104, v41, v22
	v_mad_u32 v185, 0x104, v19, v22
	v_mad_u32 v186, 0x104, v5, v22
	v_mad_u32 v187, 0x104, v7, v22
	v_mad_u32 v188, 0x104, v9, v22
	v_mad_u32 v189, 0x104, v11, v22
	v_mad_u32 v190, 0x104, v13, v22
	v_mad_u32 v191, 0x104, v15, v22
	v_mul_lo_u32 v198, s4, v14
	v_mul_lo_u32 v199, s4, v16
	;; [unrolled: 1-line block ×22, first 2 shown]
	v_add_nc_u32_e32 v192, 0xaa40, v18
	v_dual_lshlrev_b32 v14, 2, v74 :: v_dual_bitop2_b32 v16, 60, v200 bitop3:0x40
	v_dual_lshlrev_b32 v207, 5, v1 :: v_dual_bitop2_b32 v18, 60, v10 bitop3:0x40
	;; [unrolled: 1-line block ×3, first 2 shown]
	v_lshlrev_b32_e32 v211, 5, v31
	v_bfe_u32 v202, v0, 3, 7
	v_cmp_lt_u16_e32 vcc_lo, 7, v20
	s_mul_i32 s10, s15, s14
	v_dual_lshlrev_b32 v213, 5, v36 :: v_dual_lshlrev_b32 v217, 2, v17
	s_movk_i32 s4, 0x2080
	s_movk_i32 s5, 0x4100
	;; [unrolled: 1-line block ×3, first 2 shown]
	s_wait_kmcnt 0x0
	v_add_nc_u64_e32 v[76:77], s[2:3], v[2:3]
	v_mov_b64_e32 v[70:71], 0
	v_mov_b64_e32 v[62:63], 0
	;; [unrolled: 1-line block ×16, first 2 shown]
	s_ashr_i32 s11, s10, 31
	v_add3_u32 v203, v14, v17, 0xae40
	v_add3_u32 v204, v17, v16, 0xae40
	;; [unrolled: 1-line block ×4, first 2 shown]
	v_dual_lshlrev_b32 v209, 5, v24 :: v_dual_lshlrev_b32 v212, 5, v34
	v_dual_lshlrev_b32 v210, 5, v28 :: v_dual_lshlrev_b32 v215, 4, v6
	;; [unrolled: 1-line block ×4, first 2 shown]
	v_lshlrev_b32_e32 v219, 2, v12
	v_cndmask_b32_e64 v220, 0, 2, vcc_lo
	v_mul_u32_u24_e32 v221, 0x104, v79
	v_mad_u32_u24 v222, 0x104, v79, s4
	v_mad_u32_u24 v223, 0x104, v79, s5
	;; [unrolled: 1-line block ×3, first 2 shown]
	v_lshlrev_b32_e32 v226, 2, v200
	s_mul_u64 s[10:11], s[10:11], 0xd2
	s_mov_b32 s5, 0
	s_add_nc_u64 s[0:1], s[0:1], s[10:11]
	s_mov_b32 s4, s5
.LBB176_5:                              ; =>This Loop Header: Depth=1
                                        ;     Child Loop BB176_6 Depth 2
                                        ;     Child Loop BB176_8 Depth 2
	s_delay_alu instid0(SALU_CYCLE_1)
	s_mul_u64 s[10:11], s[4:5], 0xd2
	s_lshl_b32 s7, s4, 3
	s_add_nc_u64 s[10:11], s[0:1], s[10:11]
	s_mov_b32 s16, 0
	v_mad_nc_u64_u32 v[0:1], 0xd2, v74, s[10:11]
	v_add_nc_u32_e32 v227, s7, v99
	s_delay_alu instid0(VALU_DEP_2)
	v_mad_nc_i64_i32 v[2:3], 0xd2, v78, v[0:1]
	v_mad_nc_i64_i32 v[4:5], 0xd2, v80, v[0:1]
	;; [unrolled: 1-line block ×11, first 2 shown]
	v_add_nc_u64_e32 v[14:15], v[2:3], v[52:53]
	v_add_nc_u64_e32 v[2:3], v[2:3], v[54:55]
	;; [unrolled: 1-line block ×12, first 2 shown]
	s_clause 0x2
	global_load_b32 v11, v[14:15], off
	global_load_b32 v13, v[2:3], off offset:128
	global_load_b32 v12, v[18:19], off
	s_wait_xcnt 0x1
	v_add_nc_u64_e32 v[2:3], v[16:17], v[52:53]
	s_clause 0x1
	global_load_b32 v15, v[4:5], off offset:128
	global_load_b32 v14, v[22:23], off
	s_wait_xcnt 0x1
	v_add_nc_u64_e32 v[4:5], v[16:17], v[54:55]
	s_clause 0x1
	;; [unrolled: 5-line block ×6, first 2 shown]
	global_load_b32 v28, v[4:5], off offset:128
	global_load_b32 v26, v[6:7], off
	global_load_b32 v27, v[8:9], off offset:128
	global_load_b32 v24, v[30:31], off
	global_load_b32 v25, v[2:3], off offset:128
	s_wait_xcnt 0x3
	v_add_nc_u32_e32 v6, s7, v202
	s_wait_xcnt 0x0
	v_mad_nc_i64_i32 v[2:3], 0xd2, v112, s[10:11]
	v_mad_nc_i64_i32 v[4:5], 0xd2, v114, s[10:11]
	v_mad_nc_u64_u32 v[32:33], v227, 36, s[2:3]
	v_mad_nc_i64_i32 v[30:31], 0xd2, v110, s[10:11]
	v_dual_add_nc_u32 v7, v6, v193 :: v_dual_add_nc_u32 v8, v6, v194
	v_dual_add_nc_u32 v9, v6, v195 :: v_dual_add_nc_u32 v10, v6, v196
	;; [unrolled: 1-line block ×3, first 2 shown]
	s_delay_alu instid0(VALU_DEP_3)
	v_mad_nc_i64_i32 v[34:35], v7, 36, v[76:77]
	v_mad_nc_i64_i32 v[134:135], 0xd2, v100, v[0:1]
	v_dual_add_nc_u32 v126, v6, v199 :: v_dual_add_nc_u32 v6, v6, v201
	v_mad_nc_i64_i32 v[116:117], v8, 36, v[76:77]
	v_mad_nc_i64_i32 v[118:119], v9, 36, v[76:77]
	;; [unrolled: 1-line block ×3, first 2 shown]
	v_add_nc_u64_e32 v[138:139], v[2:3], v[72:73]
	v_mad_nc_i64_i32 v[120:121], v10, 36, v[76:77]
	v_add_nc_u64_e32 v[140:141], v[4:5], v[72:73]
	v_mad_nc_i64_i32 v[142:143], 0xd2, v104, v[0:1]
	v_mad_nc_i64_i32 v[144:145], 0xd2, v106, v[0:1]
	;; [unrolled: 1-line block ×7, first 2 shown]
	global_load_b32 v6, v[32:33], off
	s_clause 0x2
	global_load_u16 v29, v[30:31], off offset:208
	global_load_b32 v4, v[138:139], off offset:192
	global_load_b32 v5, v[140:141], off offset:192
	s_clause 0x7
	global_load_b32 v0, v[34:35], off offset:4
	global_load_b32 v7, v[116:117], off offset:4
	;; [unrolled: 1-line block ×8, first 2 shown]
	s_wait_xcnt 0xa
	v_add_nc_u64_e32 v[30:31], v[130:131], v[52:53]
	v_add_nc_u64_e32 v[32:33], v[130:131], v[54:55]
	s_wait_xcnt 0x7
	v_add_nc_u64_e32 v[34:35], v[132:133], v[52:53]
	s_wait_xcnt 0x6
	;; [unrolled: 2-line block ×8, first 2 shown]
	v_add_nc_u64_e32 v[128:129], v[142:143], v[54:55]
	v_add_nc_u64_e32 v[130:131], v[144:145], v[52:53]
	;; [unrolled: 1-line block ×5, first 2 shown]
	s_clause 0xd
	global_load_b32 v138, v[30:31], off
	global_load_b32 v139, v[32:33], off offset:128
	global_load_b32 v140, v[34:35], off
	global_load_b32 v141, v[116:117], off offset:128
	;; [unrolled: 2-line block ×7, first 2 shown]
	s_mov_b32 s10, -1
	s_wait_loadcnt 0x2b
	s_wait_xcnt 0xd
	v_and_b32_e32 v30, 0xf0f0f0f, v11
	s_wait_loadcnt 0x2a
	v_dual_lshrrev_b32 v11, 4, v11 :: v_dual_ashrrev_i32 v13, v220, v13
	s_wait_loadcnt 0x29
	v_and_b32_e32 v31, 0xf0f0f0f, v12
	s_wait_loadcnt 0x28
	v_dual_lshrrev_b32 v12, 4, v12 :: v_dual_ashrrev_i32 v15, v220, v15
	s_wait_loadcnt 0x27
	s_wait_xcnt 0xc
	v_and_b32_e32 v32, 0xf0f0f0f, v14
	s_wait_loadcnt 0x26
	v_dual_lshrrev_b32 v14, 4, v14 :: v_dual_ashrrev_i32 v17, v220, v17
	s_wait_loadcnt 0x25
	v_and_b32_e32 v33, 0xf0f0f0f, v16
	s_wait_loadcnt 0x24
	v_dual_lshrrev_b32 v16, 4, v16 :: v_dual_ashrrev_i32 v19, v220, v19
	;; [unrolled: 9-line block ×4, first 2 shown]
	v_and_b32_e32 v11, 0xf0f0f0f, v11
	s_wait_xcnt 0x8
	v_dual_lshlrev_b32 v119, 4, v13 :: v_dual_lshlrev_b32 v120, 4, v15
	s_wait_loadcnt 0x1b
	v_and_b32_e32 v118, 0xf0f0f0f, v24
	s_wait_loadcnt 0x1a
	v_dual_lshrrev_b32 v24, 4, v24 :: v_dual_ashrrev_i32 v25, v220, v25
	v_and_b32_e32 v12, 0xf0f0f0f, v12
	v_and_b32_e32 v14, 0xf0f0f0f, v14
	s_wait_xcnt 0x7
	v_dual_lshlrev_b32 v121, 4, v17 :: v_dual_lshlrev_b32 v122, 4, v19
	v_and_b32_e32 v16, 0xf0f0f0f, v16
	v_and_b32_e32 v18, 0xf0f0f0f, v18
	s_wait_xcnt 0x6
	v_dual_lshlrev_b32 v123, 4, v21 :: v_dual_lshlrev_b32 v124, 4, v23
	;; [unrolled: 4-line block ×3, first 2 shown]
	v_and_or_b32 v30, 0x30303030, v119, v30
	v_and_or_b32 v11, 0x30303030, v13, v11
	v_and_b32_e32 v26, 0xf0f0f0f, v26
	v_lshlrev_b32_e32 v127, 4, v25
	v_and_or_b32 v13, 0x30303030, v120, v31
	v_and_or_b32 v12, 0x30303030, v15, v12
	;; [unrolled: 1-line block ×13, first 2 shown]
	v_lshrrev_b32_e32 v31, 16, v30
	v_lshlrev_b16 v32, 8, v30
	v_dual_lshrrev_b32 v33, 16, v11 :: v_dual_lshrrev_b32 v35, 16, v13
	v_lshlrev_b16 v34, 8, v11
	v_and_or_b32 v26, 0x30303030, v27, v26
	v_and_or_b32 v27, 0x30303030, v127, v118
	v_lshlrev_b16 v116, 8, v13
	v_dual_lshrrev_b32 v117, 16, v12 :: v_dual_lshrrev_b32 v119, 16, v15
	v_lshlrev_b16 v118, 8, v12
	v_lshlrev_b16 v120, 8, v15
	v_dual_lshrrev_b32 v121, 16, v14 :: v_dual_lshrrev_b32 v123, 16, v17
	v_lshlrev_b16 v122, 8, v14
	;; [unrolled: 3-line block ×3, first 2 shown]
	s_wait_xcnt 0x4
	v_lshlrev_b16 v128, 8, v19
	s_wait_xcnt 0x3
	v_dual_lshrrev_b32 v129, 16, v18 :: v_dual_lshrrev_b32 v131, 16, v21
	v_lshlrev_b16 v130, 8, v18
	s_wait_xcnt 0x2
	v_lshlrev_b16 v132, 8, v21
	s_wait_xcnt 0x1
	v_dual_lshrrev_b32 v133, 16, v20 :: v_dual_lshrrev_b32 v135, 16, v23
	v_lshlrev_b16 v134, 8, v20
	s_wait_xcnt 0x0
	v_lshlrev_b16 v136, 8, v23
	v_dual_lshrrev_b32 v137, 16, v22 :: v_dual_lshrrev_b32 v153, 16, v28
	v_lshlrev_b16 v152, 8, v22
	v_lshlrev_b16 v154, 8, v28
	v_add_nc_u16 v32, 0xe000, v32
	v_lshlrev_b16 v158, 8, v31
	v_add_nc_u16 v34, 0xe000, v34
	;; [unrolled: 2-line block ×15, first 2 shown]
	v_lshlrev_b16 v172, 8, v153
	v_lshrrev_b16 v32, 8, v32
	v_add_nc_u16 v158, 0xe000, v158
	v_lshrrev_b16 v34, 8, v34
	v_add_nc_u16 v159, 0xe000, v159
	;; [unrolled: 2-line block ×15, first 2 shown]
	v_bitop3_b16 v30, v30, v32, 0x3f00 bitop3:0xec
	v_lshrrev_b16 v32, 8, v158
	v_bitop3_b16 v11, v11, v34, 0x3f00 bitop3:0xec
	v_lshrrev_b16 v34, 8, v159
	;; [unrolled: 2-line block ×10, first 2 shown]
	v_dual_lshrrev_b32 v155, 16, v26 :: v_dual_lshrrev_b32 v157, 16, v27
	v_lshlrev_b16 v156, 8, v26
	v_bitop3_b16 v21, v21, v132, 0x3f00 bitop3:0xec
	v_lshrrev_b16 v132, 8, v168
	v_bitop3_b16 v20, v20, v134, 0x3f00 bitop3:0xec
	v_lshrrev_b16 v134, 8, v169
	;; [unrolled: 2-line block ×5, first 2 shown]
	v_bitop3_b16 v31, v31, v32, 0x3f00 bitop3:0xec
	v_bitop3_b16 v32, v33, v34, 0x3f00 bitop3:0xec
	v_bitop3_b16 v33, v35, v116, 0x3f00 bitop3:0xec
	v_bitop3_b16 v34, v117, v118, 0x3f00 bitop3:0xec
	v_bitop3_b16 v35, v119, v120, 0x3f00 bitop3:0xec
	v_bitop3_b16 v116, v121, v122, 0x3f00 bitop3:0xec
	v_bitop3_b16 v117, v123, v124, 0x3f00 bitop3:0xec
	v_bitop3_b16 v118, v125, v126, 0x3f00 bitop3:0xec
	v_bitop3_b16 v119, v127, v128, 0x3f00 bitop3:0xec
	v_bitop3_b16 v120, v129, v130, 0x3f00 bitop3:0xec
	v_add_nc_u16 v156, 0xe000, v156
	v_lshlrev_b16 v173, 8, v155
	v_add_nc_u16 v30, 0xe000, v30
	v_add_nc_u16 v11, 0xe000, v11
	v_bitop3_b16 v121, v131, v132, 0x3f00 bitop3:0xec
	v_bitop3_b16 v122, v133, v134, 0x3f00 bitop3:0xec
	;; [unrolled: 1-line block ×5, first 2 shown]
	v_add_nc_u16 v31, 0xe000, v31
	v_add_nc_u16 v32, 0xe000, v32
	;; [unrolled: 1-line block ×18, first 2 shown]
	v_lshrrev_b16 v156, 8, v156
	v_add_nc_u16 v173, 0xe000, v173
	v_add_nc_u16 v21, 0xe000, v21
	;; [unrolled: 1-line block ×5, first 2 shown]
	v_and_b32_e32 v30, 0xffff, v30
	v_and_b32_e32 v11, 0xffff, v11
	v_add_nc_u16 v121, 0xe000, v121
	v_add_nc_u16 v122, 0xe000, v122
	;; [unrolled: 1-line block ×5, first 2 shown]
	v_dual_lshlrev_b32 v31, 16, v31 :: v_dual_lshlrev_b32 v32, 16, v32
	v_and_b32_e32 v13, 0xffff, v13
	v_and_b32_e32 v12, 0xffff, v12
	v_dual_lshlrev_b32 v33, 16, v33 :: v_dual_lshlrev_b32 v34, 16, v34
	v_and_b32_e32 v15, 0xffff, v15
	v_and_b32_e32 v14, 0xffff, v14
	;; [unrolled: 3-line block ×4, first 2 shown]
	v_dual_lshlrev_b32 v119, 16, v119 :: v_dual_lshlrev_b32 v120, 16, v120
	v_and_b32_e32 v24, 0xf0f0f0f, v24
	v_bitop3_b16 v26, v26, v156, 0x3f00 bitop3:0xec
	v_lshrrev_b16 v156, 8, v173
	v_and_b32_e32 v21, 0xffff, v21
	v_and_b32_e32 v20, 0xffff, v20
	;; [unrolled: 1-line block ×4, first 2 shown]
	v_dual_lshlrev_b32 v121, 16, v121 :: v_dual_lshlrev_b32 v122, 16, v122
	v_dual_lshlrev_b32 v123, 16, v123 :: v_dual_lshlrev_b32 v124, 16, v124
	v_dual_lshlrev_b32 v125, 16, v125 :: v_dual_bitop2_b32 v30, v30, v31 bitop3:0x54
	v_or_b32_e32 v11, v11, v32
	v_or_b32_e32 v13, v13, v33
	;; [unrolled: 1-line block ×9, first 2 shown]
	v_bitop3_b16 v126, v155, v156, 0x3f00 bitop3:0xec
	v_or_b32_e32 v21, v21, v121
	v_or_b32_e32 v20, v20, v122
	;; [unrolled: 1-line block ×4, first 2 shown]
	ds_store_2addr_b32 v83, v30, v11 offset1:16
	ds_store_2addr_b32 v85, v13, v12 offset1:16
	;; [unrolled: 1-line block ×7, first 2 shown]
	v_and_or_b32 v12, 0x30303030, v25, v24
	v_add_nc_u16 v11, 0xe000, v26
	v_add_nc_u16 v14, 0xe000, v126
	v_lshlrev_b16 v15, 8, v157
	v_lshlrev_b16 v13, 8, v27
	v_lshrrev_b32_e32 v16, 16, v12
	v_and_b32_e32 v11, 0xffff, v11
	v_lshlrev_b32_e32 v14, 16, v14
	v_add_nc_u16 v15, 0xe000, v15
	v_lshlrev_b16 v17, 8, v12
	v_lshlrev_b16 v18, 8, v16
	v_add_nc_u16 v13, 0xe000, v13
	v_or_b32_e32 v11, v11, v14
	v_lshrrev_b16 v14, 8, v15
	v_add_nc_u16 v15, 0xe000, v17
	v_add_nc_u16 v17, 0xe000, v18
	s_wait_loadcnt 0xc
	v_ashrrev_i32_e32 v18, v220, v139
	v_lshrrev_b16 v13, 8, v13
	v_and_b32_e32 v19, 0xf0f0f0f, v138
	v_lshrrev_b16 v15, 8, v15
	v_lshrrev_b16 v17, 8, v17
	v_lshlrev_b32_e32 v20, 4, v18
	v_bitop3_b16 v13, v27, v13, 0x3f00 bitop3:0xec
	v_bitop3_b16 v14, v157, v14, 0x3f00 bitop3:0xec
	v_bitop3_b16 v12, v12, v15, 0x3f00 bitop3:0xec
	v_bitop3_b16 v15, v16, v17, 0x3f00 bitop3:0xec
	v_and_or_b32 v16, 0x30303030, v20, v19
	v_add_nc_u16 v28, 0xe000, v28
	v_add_nc_u16 v13, 0xe000, v13
	;; [unrolled: 1-line block ×5, first 2 shown]
	v_dual_lshrrev_b32 v17, 16, v16 :: v_dual_lshrrev_b32 v19, 4, v138
	v_and_b32_e32 v28, 0xffff, v28
	v_and_b32_e32 v13, 0xffff, v13
	v_lshlrev_b32_e32 v14, 16, v14
	v_and_b32_e32 v12, 0xffff, v12
	v_lshlrev_b16 v20, 8, v16
	v_lshlrev_b32_e32 v15, 16, v15
	v_lshlrev_b16 v21, 8, v17
	v_and_b32_e32 v19, 0xf0f0f0f, v19
	v_or_b32_e32 v28, v28, v125
	v_or_b32_e32 v13, v13, v14
	v_add_nc_u16 v14, 0xe000, v20
	v_or_b32_e32 v12, v12, v15
	v_add_nc_u16 v15, 0xe000, v21
	v_and_or_b32 v18, 0x30303030, v18, v19
	ds_store_2addr_b32 v183, v28, v11 offset1:16
	v_lshrrev_b16 v11, 8, v14
	ds_store_2addr_b32 v184, v13, v12 offset1:16
	v_lshrrev_b16 v12, 8, v15
	s_wait_loadcnt 0xa
	v_dual_lshrrev_b32 v13, 16, v18 :: v_dual_ashrrev_i32 v15, v220, v141
	v_bitop3_b16 v11, v16, v11, 0x3f00 bitop3:0xec
	v_lshlrev_b16 v14, 8, v18
	v_bitop3_b16 v12, v17, v12, 0x3f00 bitop3:0xec
	s_delay_alu instid0(VALU_DEP_4)
	v_lshlrev_b16 v16, 8, v13
	v_and_b32_e32 v17, 0xf0f0f0f, v140
	v_lshlrev_b32_e32 v19, 4, v15
	v_add_nc_u16 v14, 0xe000, v14
	v_add_nc_u16 v11, 0xe000, v11
	;; [unrolled: 1-line block ×4, first 2 shown]
	v_and_or_b32 v17, 0x30303030, v19, v17
	v_lshrrev_b16 v14, 8, v14
	v_and_b32_e32 v11, 0xffff, v11
	v_lshrrev_b16 v16, 8, v16
	s_delay_alu instid0(VALU_DEP_4) | instskip(NEXT) | instid1(VALU_DEP_4)
	v_dual_lshlrev_b32 v12, 16, v12 :: v_dual_lshrrev_b32 v19, 16, v17
	v_bitop3_b16 v14, v18, v14, 0x3f00 bitop3:0xec
	v_lshlrev_b16 v18, 8, v17
	s_delay_alu instid0(VALU_DEP_4)
	v_bitop3_b16 v13, v13, v16, 0x3f00 bitop3:0xec
	v_lshrrev_b32_e32 v16, 4, v140
	v_lshlrev_b16 v20, 8, v19
	v_add_nc_u16 v14, 0xe000, v14
	v_add_nc_u16 v18, 0xe000, v18
	v_add_nc_u16 v13, 0xe000, v13
	v_and_b32_e32 v16, 0xf0f0f0f, v16
	v_add_nc_u16 v20, 0xe000, v20
	v_and_b32_e32 v14, 0xffff, v14
	v_lshrrev_b16 v18, 8, v18
	v_lshlrev_b32_e32 v13, 16, v13
	v_and_or_b32 v15, 0x30303030, v15, v16
	v_lshrrev_b16 v16, 8, v20
	v_or_b32_e32 v11, v11, v12
	v_bitop3_b16 v12, v17, v18, 0x3f00 bitop3:0xec
	s_wait_loadcnt 0x9
	v_and_b32_e32 v18, 0xf0f0f0f, v142
	v_lshlrev_b16 v17, 8, v15
	v_bitop3_b16 v16, v19, v16, 0x3f00 bitop3:0xec
	v_lshrrev_b32_e32 v19, 4, v142
	v_add_nc_u16 v12, 0xe000, v12
	v_cvt_f32_f16_e32 v6, v6
	s_delay_alu instid0(VALU_DEP_4) | instskip(SKIP_1) | instid1(VALU_DEP_4)
	v_add_nc_u16 v16, 0xe000, v16
	v_dual_lshrrev_b32 v14, 16, v15 :: v_dual_bitop2_b32 v13, v14, v13 bitop3:0x54
	v_and_b32_e32 v12, 0xffff, v12
	s_delay_alu instid0(VALU_DEP_3)
	v_lshlrev_b32_e32 v16, 16, v16
	ds_store_2addr_b32 v185, v11, v13 offset1:16
	v_lshlrev_b16 v11, 8, v14
	v_add_nc_u16 v13, 0xe000, v17
	s_wait_loadcnt 0x8
	v_ashrrev_i32_e32 v17, v220, v143
	v_or_b32_e32 v12, v12, v16
	v_add_nc_u16 v11, 0xe000, v11
	v_lshrrev_b16 v13, 8, v13
	s_delay_alu instid0(VALU_DEP_4) | instskip(NEXT) | instid1(VALU_DEP_3)
	v_lshlrev_b32_e32 v20, 4, v17
	v_lshrrev_b16 v11, 8, v11
	s_delay_alu instid0(VALU_DEP_3) | instskip(SKIP_1) | instid1(VALU_DEP_4)
	v_bitop3_b16 v13, v15, v13, 0x3f00 bitop3:0xec
	v_and_b32_e32 v15, 0xf0f0f0f, v19
	v_and_or_b32 v18, 0x30303030, v20, v18
	s_delay_alu instid0(VALU_DEP_4) | instskip(NEXT) | instid1(VALU_DEP_4)
	v_bitop3_b16 v11, v14, v11, 0x3f00 bitop3:0xec
	v_add_nc_u16 v13, 0xe000, v13
	s_delay_alu instid0(VALU_DEP_4) | instskip(NEXT) | instid1(VALU_DEP_4)
	v_and_or_b32 v14, 0x30303030, v17, v15
	v_lshlrev_b16 v15, 8, v18
	s_delay_alu instid0(VALU_DEP_4) | instskip(SKIP_2) | instid1(VALU_DEP_4)
	v_add_nc_u16 v11, 0xe000, v11
	v_lshrrev_b32_e32 v16, 16, v18
	v_and_b32_e32 v13, 0xffff, v13
	v_add_nc_u16 v15, 0xe000, v15
	v_lshlrev_b16 v20, 8, v14
	v_dual_lshlrev_b32 v11, 16, v11 :: v_dual_lshrrev_b32 v17, 16, v14
	v_lshlrev_b16 v19, 8, v16
	s_delay_alu instid0(VALU_DEP_4) | instskip(NEXT) | instid1(VALU_DEP_3)
	v_lshrrev_b16 v15, 8, v15
	v_or_b32_e32 v11, v13, v11
	s_delay_alu instid0(VALU_DEP_4) | instskip(NEXT) | instid1(VALU_DEP_4)
	v_lshlrev_b16 v21, 8, v17
	v_add_nc_u16 v13, 0xe000, v19
	v_add_nc_u16 v19, 0xe000, v20
	v_bitop3_b16 v15, v18, v15, 0x3f00 bitop3:0xec
	s_wait_loadcnt 0x6
	v_ashrrev_i32_e32 v18, v220, v145
	v_add_nc_u16 v20, 0xe000, v21
	v_lshrrev_b16 v13, 8, v13
	v_lshrrev_b16 v19, 8, v19
	v_and_b32_e32 v21, 0xf0f0f0f, v144
	v_add_nc_u16 v15, 0xe000, v15
	v_lshrrev_b16 v20, 8, v20
	v_bitop3_b16 v13, v16, v13, 0x3f00 bitop3:0xec
	v_bitop3_b16 v14, v14, v19, 0x3f00 bitop3:0xec
	ds_store_2addr_b32 v186, v12, v11 offset1:16
	v_and_b32_e32 v15, 0xffff, v15
	v_bitop3_b16 v16, v17, v20, 0x3f00 bitop3:0xec
	v_add_nc_u16 v13, 0xe000, v13
	v_dual_lshrrev_b32 v20, 4, v144 :: v_dual_lshlrev_b32 v22, 4, v18
	v_add_nc_u16 v14, 0xe000, v14
	s_delay_alu instid0(VALU_DEP_4) | instskip(NEXT) | instid1(VALU_DEP_4)
	v_add_nc_u16 v16, 0xe000, v16
	v_lshlrev_b32_e32 v13, 16, v13
	s_delay_alu instid0(VALU_DEP_4) | instskip(SKIP_2) | instid1(VALU_DEP_4)
	v_and_b32_e32 v20, 0xf0f0f0f, v20
	v_and_or_b32 v17, 0x30303030, v22, v21
	v_and_b32_e32 v14, 0xffff, v14
	v_dual_lshlrev_b32 v16, 16, v16 :: v_dual_bitop2_b32 v13, v15, v13 bitop3:0x54
	s_delay_alu instid0(VALU_DEP_4) | instskip(NEXT) | instid1(VALU_DEP_4)
	v_and_or_b32 v12, 0x30303030, v18, v20
	v_lshlrev_b16 v19, 8, v17
	s_delay_alu instid0(VALU_DEP_3) | instskip(SKIP_2) | instid1(VALU_DEP_3)
	v_dual_lshrrev_b32 v15, 16, v17 :: v_dual_bitop2_b32 v14, v14, v16 bitop3:0x54
	s_wait_loadcnt 0x5
	v_and_b32_e32 v18, 0xf0f0f0f, v146
	v_add_nc_u16 v19, 0xe000, v19
	s_delay_alu instid0(VALU_DEP_3)
	v_lshlrev_b16 v11, 8, v15
	ds_store_2addr_b32 v187, v13, v14 offset1:16
	s_wait_loadcnt 0x4
	v_ashrrev_i32_e32 v14, v220, v147
	v_lshrrev_b16 v16, 8, v19
	v_add_nc_u16 v11, 0xe000, v11
	s_delay_alu instid0(VALU_DEP_2) | instskip(SKIP_1) | instid1(VALU_DEP_3)
	v_bitop3_b16 v13, v17, v16, 0x3f00 bitop3:0xec
	v_lshrrev_b32_e32 v16, 16, v12
	v_lshrrev_b16 v11, 8, v11
	v_lshlrev_b16 v17, 8, v12
	s_delay_alu instid0(VALU_DEP_4) | instskip(NEXT) | instid1(VALU_DEP_4)
	v_add_nc_u16 v13, 0xe000, v13
	v_lshlrev_b16 v20, 8, v16
	s_delay_alu instid0(VALU_DEP_4) | instskip(NEXT) | instid1(VALU_DEP_4)
	v_bitop3_b16 v11, v15, v11, 0x3f00 bitop3:0xec
	v_add_nc_u16 v17, 0xe000, v17
	s_delay_alu instid0(VALU_DEP_4) | instskip(NEXT) | instid1(VALU_DEP_4)
	v_and_b32_e32 v13, 0xffff, v13
	v_add_nc_u16 v15, 0xe000, v20
	s_delay_alu instid0(VALU_DEP_4) | instskip(SKIP_2) | instid1(VALU_DEP_4)
	v_add_nc_u16 v11, 0xe000, v11
	v_lshlrev_b32_e32 v19, 4, v14
	v_lshrrev_b16 v17, 8, v17
	v_lshrrev_b16 v15, 8, v15
	s_delay_alu instid0(VALU_DEP_4) | instskip(NEXT) | instid1(VALU_DEP_4)
	v_lshlrev_b32_e32 v11, 16, v11
	v_and_or_b32 v18, 0x30303030, v19, v18
	s_delay_alu instid0(VALU_DEP_4) | instskip(NEXT) | instid1(VALU_DEP_4)
	v_bitop3_b16 v12, v12, v17, 0x3f00 bitop3:0xec
	v_bitop3_b16 v15, v16, v15, 0x3f00 bitop3:0xec
	s_delay_alu instid0(VALU_DEP_4) | instskip(NEXT) | instid1(VALU_DEP_4)
	v_or_b32_e32 v11, v13, v11
	v_lshlrev_b16 v17, 8, v18
	s_delay_alu instid0(VALU_DEP_4) | instskip(NEXT) | instid1(VALU_DEP_4)
	v_add_nc_u16 v12, 0xe000, v12
	v_add_nc_u16 v15, 0xe000, v15
	v_lshrrev_b32_e32 v19, 16, v18
	s_delay_alu instid0(VALU_DEP_4) | instskip(NEXT) | instid1(VALU_DEP_4)
	v_add_nc_u16 v16, 0xe000, v17
	v_and_b32_e32 v12, 0xffff, v12
	s_delay_alu instid0(VALU_DEP_4) | instskip(NEXT) | instid1(VALU_DEP_4)
	v_lshlrev_b32_e32 v15, 16, v15
	v_lshlrev_b16 v20, 8, v19
	s_delay_alu instid0(VALU_DEP_4) | instskip(NEXT) | instid1(VALU_DEP_2)
	v_lshrrev_b16 v16, 8, v16
	v_add_nc_u16 v17, 0xe000, v20
	v_lshrrev_b32_e32 v20, 4, v146
	s_delay_alu instid0(VALU_DEP_3)
	v_bitop3_b16 v13, v18, v16, 0x3f00 bitop3:0xec
	s_wait_loadcnt 0x3
	v_and_b32_e32 v18, 0xf0f0f0f, v148
	v_lshrrev_b16 v17, 8, v17
	v_and_b32_e32 v20, 0xf0f0f0f, v20
	v_add_nc_u16 v13, 0xe000, v13
	s_delay_alu instid0(VALU_DEP_3) | instskip(NEXT) | instid1(VALU_DEP_3)
	v_bitop3_b16 v16, v19, v17, 0x3f00 bitop3:0xec
	v_and_or_b32 v14, 0x30303030, v14, v20
	v_or_b32_e32 v12, v12, v15
	s_delay_alu instid0(VALU_DEP_4) | instskip(NEXT) | instid1(VALU_DEP_4)
	v_and_b32_e32 v13, 0xffff, v13
	v_add_nc_u16 v16, 0xe000, v16
	s_wait_loadcnt 0x2
	v_dual_ashrrev_i32 v15, v220, v149 :: v_dual_lshrrev_b32 v17, 16, v14
	v_lshlrev_b16 v20, 8, v14
	ds_store_2addr_b32 v188, v11, v12 offset1:16
	v_dual_lshlrev_b32 v16, 16, v16 :: v_dual_lshlrev_b32 v19, 4, v15
	v_lshlrev_b16 v21, 8, v17
	v_cvt_f32_f16_e32 v11, v29
	s_delay_alu instid0(VALU_DEP_3) | instskip(SKIP_3) | instid1(VALU_DEP_4)
	v_and_or_b32 v18, 0x30303030, v19, v18
	v_add_nc_u16 v19, 0xe000, v20
	v_lshrrev_b32_e32 v20, 4, v148
	v_add_nc_u16 v21, 0xe000, v21
	v_dual_lshrrev_b32 v22, 16, v18 :: v_dual_bitop2_b32 v13, v13, v16 bitop3:0x54
	v_lshlrev_b16 v16, 8, v18
	v_lshrrev_b16 v19, 8, v19
	v_and_b32_e32 v20, 0xf0f0f0f, v20
	v_lshrrev_b16 v21, 8, v21
	s_delay_alu instid0(VALU_DEP_4) | instskip(NEXT) | instid1(VALU_DEP_4)
	v_add_nc_u16 v16, 0xe000, v16
	v_bitop3_b16 v14, v14, v19, 0x3f00 bitop3:0xec
	s_delay_alu instid0(VALU_DEP_4) | instskip(NEXT) | instid1(VALU_DEP_4)
	v_and_or_b32 v15, 0x30303030, v15, v20
	v_bitop3_b16 v17, v17, v21, 0x3f00 bitop3:0xec
	v_lshlrev_b16 v19, 8, v22
	v_lshrrev_b16 v16, 8, v16
	v_add_nc_u16 v14, 0xe000, v14
	v_lshlrev_b16 v20, 8, v15
	v_add_nc_u16 v17, 0xe000, v17
	v_add_nc_u16 v19, 0xe000, v19
	v_bitop3_b16 v16, v18, v16, 0x3f00 bitop3:0xec
	v_and_b32_e32 v14, 0xffff, v14
	v_add_nc_u16 v18, 0xe000, v20
	s_wait_loadcnt 0x0
	v_dual_lshlrev_b32 v17, 16, v17 :: v_dual_ashrrev_i32 v20, v220, v151
	v_lshrrev_b16 v19, 8, v19
	v_lshrrev_b32_e32 v21, 4, v150
	v_lshrrev_b16 v18, 8, v18
	v_add_nc_u16 v16, 0xe000, v16
	v_lshlrev_b32_e32 v23, 4, v20
	v_bitop3_b16 v19, v22, v19, 0x3f00 bitop3:0xec
	v_and_b32_e32 v22, 0xf0f0f0f, v150
	v_and_b32_e32 v21, 0xf0f0f0f, v21
	v_bitop3_b16 v18, v15, v18, 0x3f00 bitop3:0xec
	v_and_b32_e32 v16, 0xffff, v16
	v_add_nc_u16 v19, 0xe000, v19
	v_and_or_b32 v22, 0x30303030, v23, v22
	v_and_or_b32 v20, 0x30303030, v20, v21
	v_lshrrev_b32_e32 v15, 16, v15
	v_add_nc_u16 v18, 0xe000, v18
	s_delay_alu instid0(VALU_DEP_4) | instskip(NEXT) | instid1(VALU_DEP_4)
	v_dual_lshlrev_b32 v19, 16, v19 :: v_dual_lshrrev_b32 v21, 16, v22
	v_lshrrev_b32_e32 v23, 16, v20
	s_delay_alu instid0(VALU_DEP_4)
	v_lshlrev_b16 v24, 8, v15
	v_lshlrev_b16 v25, 8, v22
	v_lshlrev_b16 v27, 8, v20
	v_lshlrev_b16 v26, 8, v21
	v_lshlrev_b16 v28, 8, v23
	v_add_nc_u16 v24, 0xe000, v24
	v_add_nc_u16 v25, 0xe000, v25
	;; [unrolled: 1-line block ×5, first 2 shown]
	v_lshrrev_b16 v24, 8, v24
	v_lshrrev_b16 v25, 8, v25
	v_lshrrev_b16 v27, 8, v27
	v_lshrrev_b16 v26, 8, v26
	v_lshrrev_b16 v28, 8, v28
	v_bitop3_b16 v15, v15, v24, 0x3f00 bitop3:0xec
	v_bitop3_b16 v22, v22, v25, 0x3f00 bitop3:0xec
	;; [unrolled: 1-line block ×5, first 2 shown]
	v_add_nc_u16 v15, 0xe000, v15
	v_add_nc_u16 v22, 0xe000, v22
	;; [unrolled: 1-line block ×5, first 2 shown]
	v_and_b32_e32 v18, 0xffff, v18
	v_lshlrev_b32_e32 v15, 16, v15
	v_and_b32_e32 v22, 0xffff, v22
	v_lshlrev_b32_e32 v21, 16, v21
	v_and_b32_e32 v20, 0xffff, v20
	v_dual_lshlrev_b32 v23, 16, v23 :: v_dual_bitop2_b32 v14, v14, v17 bitop3:0x54
	v_or_b32_e32 v16, v16, v19
	v_or_b32_e32 v15, v18, v15
	;; [unrolled: 1-line block ×3, first 2 shown]
	s_delay_alu instid0(VALU_DEP_4)
	v_or_b32_e32 v18, v20, v23
	ds_store_2addr_b32 v189, v13, v14 offset1:16
	ds_store_2addr_b32 v190, v16, v15 offset1:16
	;; [unrolled: 1-line block ×3, first 2 shown]
	ds_store_b32 v97, v11
	ds_store_b32 v101, v4
	;; [unrolled: 1-line block ×12, first 2 shown]
	s_wait_dscnt 0x0
	s_barrier_signal -1
	s_barrier_wait -1
	ds_load_b32 v116, v203
	ds_load_b32 v118, v204 offset:128
	ds_load_b32 v120, v205 offset:256
	;; [unrolled: 1-line block ×3, first 2 shown]
	s_wait_dscnt 0x2
	v_dual_mov_b32 v117, v116 :: v_dual_mov_b32 v119, v118
	s_wait_dscnt 0x0
	v_dual_mov_b32 v121, v120 :: v_dual_mov_b32 v123, v122
.LBB176_6:                              ;   Parent Loop BB176_5 Depth=1
                                        ; =>  This Inner Loop Header: Depth=2
	s_lshl_b32 s11, s16, 1
	s_lshr_b32 s17, s16, 1
	s_lshl_b32 s16, s16, 3
	s_delay_alu instid0(SALU_CYCLE_1) | instskip(SKIP_3) | instid1(VALU_DEP_2)
	v_dual_add_nc_u32 v32, s16, v221 :: v_dual_bitop2_b32 v0, s11, v87 bitop3:0x54
	v_add_nc_u32_e32 v148, s16, v222
	s_add_co_i32 s17, s17, 0xa200
	s_and_b32 vcc_lo, exec_lo, s10
	v_dual_lshlrev_b32 v12, 2, v0 :: v_dual_lshrrev_b32 v21, 1, v0
	v_add3_u32 v151, s17, v225, v217
	v_add3_u32 v154, s17, v226, v214
	ds_load_b128 v[4:7], v12 offset:33280
	ds_load_b128 v[0:3], v12 offset:33296
	;; [unrolled: 1-line block ×4, first 2 shown]
	ds_load_2addr_b32 v[124:125], v32 offset0:6 offset1:7
	ds_load_2addr_b32 v[138:139], v32 offset0:4 offset1:5
	ds_load_2addr_b32 v[126:127], v32 offset0:2 offset1:3
	ds_load_2addr_b32 v[136:137], v32 offset1:1
	ds_load_2addr_b32 v[16:17], v32 offset0:13 offset1:14
	ds_load_2addr_b32 v[130:131], v32 offset0:11 offset1:12
	;; [unrolled: 1-line block ×7, first 2 shown]
	ds_load_2addr_b32 v[140:141], v148 offset1:1
	s_set_vgpr_msb 64                       ;  msbs: dst=1 src0=0 src1=0 src2=0
	v_add3_u32 v17 /*v273*/, s17, v218, v215
	v_add3_u32 v18 /*v274*/, s17, v219, v216
	s_mov_b32 s10, 0
	s_wait_dscnt 0xa
	s_set_vgpr_msb 0                        ;  msbs: dst=0 src0=0 src1=0 src2=0
	v_perm_b32 v228, v124, v139, 0x7060403
	v_bfe_i32 v18, v6, 8, 8
	v_perm_b32 v237, v5, v5, 0xc0c0001
	v_bfe_i32 v20, v10, 8, 8
	s_wait_dscnt 0x5
	v_perm_b32 v34, v134, v134, 0xc0c0001
	s_wait_dscnt 0x4
	v_bfe_i32 v32, v179, 8, 8
	v_perm_b32 v230, v8, v8, 0xc0c0001
	v_perm_b32 v231, v8, v8, 0xc0c0302
	;; [unrolled: 1-line block ×3, first 2 shown]
	v_bfe_i32 v19, v9, 16, 8
	v_mul_i32_i24_e32 v32, v32, v20
	v_bfe_i32 v33, v178, 16, 8
	v_perm_b32 v233, v10, v9, 0xc0c0403
	v_bfe_i32 v27, v10, 0, 8
	v_perm_b32 v10, v10, v10, 0xc0c0302
	v_dot4_i32_iu8 v32, v34, v230, v32 neg_lo:[1,1,0]
	v_perm_b32 v34, v134, v134, 0xc0c0302
	s_set_vgpr_msb 64                       ;  msbs: dst=1 src0=0 src1=0 src2=0
	v_perm_b32 v1 /*v257*/, v5, v5, 0xc0c0302
	v_perm_b32 v14 /*v270*/, v6, v6, 0xc030200
	s_set_vgpr_msb 0                        ;  msbs: dst=0 src0=0 src1=0 src2=0
	v_perm_b32 v159, v131, v14, 0x6040501
	v_perm_b32 v162, v12, v17, 0x6040501
	v_dot4_i32_iu8 v8, v231, v34, v32 neg_lo:[1,1,0]
	v_perm_b32 v32, v178, v178, 0xc0c0001
	v_perm_b32 v163, v16, v12, 0x6040503
	v_bfe_i32 v24, v12, 8, 8
	v_dot4_i32_iu8 v159, v162, v159, 0 neg_lo:[1,1,0]
	v_perm_b32 v162, v13, v131, 0x6040503
	v_dot4_i32_iu8 v8, v232, v32, v8 neg_lo:[1,1,0]
	v_perm_b32 v32, v179, v178, 0xc0c0403
	v_dual_ashrrev_i32 v157, 24, v12 :: v_dual_ashrrev_i32 v166, 24, v13
	v_bfe_i32 v158, v12, 16, 8
	s_delay_alu instid0(VALU_DEP_4)
	v_mad_i32_i24 v8, v33, v19, v8
	v_perm_b32 v33, v137, v137, 0xc0c0001
	v_dot4_i32_iu8 v159, v163, v162, v159 neg_lo:[1,1,0]
	v_perm_b32 v172, v14, v13, 0x7060403
	s_set_vgpr_msb 64                       ;  msbs: dst=1 src0=0 src1=0 src2=0
	v_perm_b32 v2 /*v258*/, v17, v16, 0x7060403
	s_set_vgpr_msb 0                        ;  msbs: dst=0 src0=0 src1=0 src2=0
	v_dot4_i32_iu8 v8, v233, v32, v8 neg_lo:[1,1,0]
	v_perm_b32 v32, v179, v179, 0xc0c0302
	v_bfe_i32 v25, v12, 0, 8
	v_bfe_i32 v156, v13, 8, 8
	s_set_vgpr_msb 4                        ;  msbs: dst=0 src0=0 src1=1 src2=0
	v_dot4_i32_iu8 v167, v172, v2 /*v258*/, v159 neg_lo:[1,1,0]
	v_bfe_i32 v165, v14, 0, 8
	s_set_vgpr_msb 0                        ;  msbs: dst=0 src0=0 src1=0 src2=0
	v_dot4_i32_iu8 v152, v10, v32, v8 neg_lo:[1,1,0]
	v_bfe_i32 v32, v126, 8, 8
	v_bfe_i32 v23, v14, 8, 8
	;; [unrolled: 1-line block ×3, first 2 shown]
	v_perm_b32 v9, v9, v9, 0xc0c0302
	v_bfe_i32 v35, v0, 16, 8
	v_mul_i32_i24_e32 v32, v32, v18
	v_perm_b32 v8, v138, v124, 0x6050401
	v_perm_b32 v235, v0, v2, 0x6050401
	v_bfe_i32 v28, v2, 8, 8
	v_bfe_i32 v144, v2, 0, 8
	v_dot4_i32_iu8 v32, v136, v4, v32 neg_lo:[1,1,0]
	v_lshrrev_b16 v22, 8, v1
	v_dot4_i32_iu8 v8, v8, v235, 0 neg_lo:[1,1,0]
	v_bfe_i32 v29, v0, 8, 8
	s_wait_dscnt 0x2
	v_lshrrev_b16 v155, 8, v143
	v_dot4_i32_iu8 v32, v237, v33, v32 neg_lo:[1,1,0]
	v_perm_b32 v33, v137, v137, 0xc0c0302
	v_bfe_i32 v30, v0, 0, 8
	v_dual_ashrrev_i32 v31, 24, v0 :: v_dual_ashrrev_i32 v150, 24, v3
	v_bfe_i32 v22, v22, 0, 8
	s_set_vgpr_msb 1                        ;  msbs: dst=0 src0=1 src1=0 src2=0
	v_dot4_i32_iu8 v32, v1 /*v257*/, v33, v32 neg_lo:[1,1,0]
	s_set_vgpr_msb 0                        ;  msbs: dst=0 src0=0 src1=0 src2=0
	v_perm_b32 v33, v126, v126, 0xc030200
	v_bfe_i32 v155, v155, 0, 8
	v_bfe_i32 v145, v3, 16, 8
	s_wait_dscnt 0x1
	v_ashrrev_i32_e32 v251, 24, v133
	s_set_vgpr_msb 64                       ;  msbs: dst=1 src0=0 src1=0 src2=0
	v_perm_b32 v3 /*v259*/, v131, v17, 0x6040501
	s_set_vgpr_msb 4                        ;  msbs: dst=0 src0=0 src1=1 src2=0
	v_dot4_i32_iu8 v153, v33, v14 /*v270*/, v32 neg_lo:[1,1,0]
	ds_load_u16 v161, v148 offset:48
	ds_load_b96 v[32:34], v148 offset:50
	ds_load_u16 v170, v148 offset:62
	s_set_vgpr_msb 0                        ;  msbs: dst=0 src0=0 src1=0 src2=0
	v_mul_i32_i24_e32 v22, v155, v22
	v_bfe_i32 v155, v128, 0, 8
	s_set_vgpr_msb 64                       ;  msbs: dst=1 src0=0 src1=0 src2=0
	v_perm_b32 v4 /*v260*/, v16, v131, 0x6040503
	v_perm_b32 v32 /*v288*/, v14, v14, 0xc0c0c01
	s_wait_dscnt 0x3
	s_set_vgpr_msb 0                        ;  msbs: dst=0 src0=0 src1=0 src2=0
	v_bfe_i32 v248, v140, 16, 8
	s_set_vgpr_msb 64                       ;  msbs: dst=1 src0=0 src1=0 src2=0
	v_perm_b32 v33 /*v289*/, v15, v15, 0xc0c0001
	s_set_vgpr_msb 0                        ;  msbs: dst=0 src0=0 src1=0 src2=0
	v_bfe_i32 v245, v140, 0, 8
	v_bfe_i32 v244, v140, 8, 8
	v_lshrrev_b16 v160, 8, v141
	v_perm_b32 v241, v128, v143, 0x7060403
	s_set_vgpr_msb 64                       ;  msbs: dst=1 src0=0 src1=0 src2=0
	v_bfe_i32 v40 /*v296*/, v132, 16, 8
	s_set_vgpr_msb 0                        ;  msbs: dst=0 src0=0 src1=0 src2=0
	v_bfe_i32 v250, v133, 16, 8
	v_bfe_i32 v246, v132, 8, 8
	;; [unrolled: 1-line block ×3, first 2 shown]
	v_ashrrev_i32_e32 v247, 24, v140
	s_set_vgpr_msb 64                       ;  msbs: dst=1 src0=0 src1=0 src2=0
	v_ashrrev_i32_e32 v39 /*v295*/, 24, v132
	s_wait_dscnt 0x2
	s_set_vgpr_msb 0                        ;  msbs: dst=0 src0=0 src1=0 src2=0
	v_lshrrev_b16 v149, 8, v161
	s_wait_dscnt 0x1
	v_lshrrev_b16 v146, 8, v32
	v_bfe_i32 v164, v32, 0, 8
	v_ashrrev_i32_e32 v163, 24, v32
	v_bfe_i32 v159, v34, 8, 8
	v_bfe_i32 v149, v149, 0, 8
	;; [unrolled: 1-line block ×3, first 2 shown]
	v_mul_i32_i24_e32 v158, v164, v158
	v_bfe_i32 v164, v14, 16, 8
	v_bfe_i32 v168, v34, 0, 8
	v_mul_i32_i24_e32 v24, v149, v24
	v_bfe_i32 v149, v161, 0, 8
	v_mul_i32_i24_e32 v146, v146, v157
	v_ashrrev_i32_e32 v157, 24, v14
	v_bfe_i32 v162, v32, 16, 8
	v_bfe_i32 v169, v33, 16, 8
	v_mul_i32_i24_e32 v25, v149, v25
	v_bfe_i32 v149, v13, 0, 8
	v_bfe_i32 v171, v33, 8, 8
	v_mul_i32_i24_e32 v164, v168, v164
	v_mul_i32_i24_e32 v157, v159, v157
	;; [unrolled: 1-line block ×3, first 2 shown]
	v_ashrrev_i32_e32 v147, 24, v33
	v_mul_i32_i24_e32 v166, v171, v166
	v_mad_i32_i24 v149, v162, v149, v164
	v_mad_i32_i24 v156, v163, v156, v157
	v_ashrrev_i32_e32 v159, 24, v34
	v_mad_i32_i24 v23, v147, v23, v25
	v_perm_b32 v25, v34, v33, 0xc0c0600
	v_add3_u32 v149, v158, v166, v149
	v_add3_u32 v146, v146, v165, v156
	v_mul_i32_i24_e32 v26, v159, v26
	v_perm_b32 v156, v1, v138, 0x6040503
	v_ashrrev_i32_e32 v162, 24, v2
	v_bfe_i32 v163, v2, 16, 8
	v_add3_u32 v24, v149, v146, v24
	v_perm_b32 v146, v15, v13, 0xc0c0402
	v_perm_b32 v2, v2, v1, 0x7060403
	v_bfe_i32 v158, v3, 8, 8
	v_perm_b32 v165, v11, v11, 0xc0c0001
	v_bfe_i32 v159, v3, 0, 8
	v_dot4_i32_iu8 v25, v25, v146, v26 neg_lo:[1,1,0]
	ds_load_2addr_b32 v[146:147], v148 offset0:10 offset1:11
	ds_load_2addr_b32 v[148:149], v148 offset0:8 offset1:9
	v_ashrrev_i32_e32 v26, 24, v142
	v_bfe_i32 v157, v143, 16, 8
	v_add3_u32 v171, v24, v23, v25
	v_perm_b32 v252, v32, v161, 0x400010c
	v_perm_b32 v253, v33, v32, 0x4020301
	;; [unrolled: 1-line block ×3, first 2 shown]
	s_wait_dscnt 0x1
	v_bfe_i32 v23, v146, 8, 8
	s_wait_dscnt 0x0
	v_perm_b32 v25, v148, v148, 0xc0c0001
	v_bfe_i32 v24, v146, 0, 8
	v_perm_b32 v164, v146, v146, 0xc0c0302
	v_perm_b32 v255, v149, v148, 0x6040503
	v_mul_i32_i24_e32 v23, v23, v20
	s_set_vgpr_msb 64                       ;  msbs: dst=1 src0=0 src1=0 src2=0
	v_perm_b32 v0 /*v256*/, v146, v149, 0x7060403
	s_set_vgpr_msb 0                        ;  msbs: dst=0 src0=0 src1=0 src2=0
	s_delay_alu instid0(VALU_DEP_2) | instskip(SKIP_1) | instid1(VALU_DEP_1)
	v_dot4_i32_iu8 v23, v25, v230, v23 neg_lo:[1,1,0]
	v_perm_b32 v25, v148, v148, 0xc0c0302
	v_dot4_i32_iu8 v23, v231, v25, v23 neg_lo:[1,1,0]
	v_perm_b32 v25, v149, v149, 0xc0c0001
	s_delay_alu instid0(VALU_DEP_1) | instskip(SKIP_1) | instid1(VALU_DEP_1)
	v_dot4_i32_iu8 v23, v232, v25, v23 neg_lo:[1,1,0]
	v_perm_b32 v25, v149, v149, 0xc0c0302
	v_dot4_i32_iu8 v9, v9, v25, v23 neg_lo:[1,1,0]
	v_bfe_i32 v25, v142, 0, 8
	v_bfe_i32 v23, v128, 8, 8
	s_delay_alu instid0(VALU_DEP_3)
	v_mad_i32_i24 v9, v24, v27, v9
	v_bfe_i32 v27, v142, 16, 8
	v_bfe_i32 v24, v142, 8, 8
	v_mul_i32_i24_e32 v25, v25, v30
	v_bfe_i32 v30, v1, 0, 8
	v_dot4_i32_iu8 v9, v10, v164, v9 neg_lo:[1,1,0]
	v_mul_i32_i24_e32 v27, v27, v35
	v_perm_b32 v35, v139, v0, 0x6040503
	v_perm_b32 v164, v147, v147, 0xc0c0001
	v_mul_i32_i24_e32 v24, v24, v29
	v_ashrrev_i32_e32 v29, 24, v1
	s_delay_alu instid0(VALU_DEP_4)
	v_dot4_i32_iu8 v8, v156, v35, v8 neg_lo:[1,1,0]
	v_ashrrev_i32_e32 v35, 24, v143
	v_dot4_i32_iu8 v173, v165, v164, v9 neg_lo:[1,1,0]
	v_bfe_i32 v9, v129, 0, 8
	v_ashrrev_i32_e32 v164, 24, v128
	v_dot4_i32_iu8 v229, v2, v228, v8 neg_lo:[1,1,0]
	v_bfe_i32 v8, v129, 8, 8
	v_bfe_i32 v165, v128, 16, 8
	v_mul_i32_i24_e32 v26, v26, v31
	v_bfe_i32 v31, v1, 16, 8
	v_bfe_i32 v156, v143, 0, 8
	v_mul_i32_i24_e32 v8, v8, v158
	v_mul_i32_i24_e32 v163, v165, v163
	;; [unrolled: 1-line block ×4, first 2 shown]
	v_bfe_i32 v158, v129, 16, 8
	v_mad_i32_i24 v8, v35, v29, v8
	v_mad_i32_i24 v30, v156, v30, v163
	s_delay_alu instid0(VALU_DEP_4) | instskip(NEXT) | instid1(VALU_DEP_4)
	v_mad_i32_i24 v9, v157, v31, v9
	v_mul_i32_i24_e32 v145, v158, v145
	s_delay_alu instid0(VALU_DEP_4) | instskip(SKIP_1) | instid1(VALU_DEP_3)
	v_add3_u32 v8, v22, v162, v8
	v_ashrrev_i32_e32 v158, 24, v129
	v_mad_i32_i24 v22, v155, v144, v145
	s_delay_alu instid0(VALU_DEP_3)
	v_add3_u32 v8, v30, v9, v8
	v_mad_i32_i24 v9, v23, v28, v24
	v_add_nc_u32_e32 v144, s16, v223
	s_set_vgpr_msb 64                       ;  msbs: dst=1 src0=0 src1=0 src2=0
	v_mul_i32_i24_e32 v15 /*v271*/, v158, v150
	s_set_vgpr_msb 0                        ;  msbs: dst=0 src0=0 src1=0 src2=0
	v_add3_u32 v155, v27, v26, v22
	v_add3_u32 v35, v8, v25, v9
	v_perm_b32 v8, v140, v132, 0x6050401
	v_perm_b32 v9, v4, v6, 0x6050401
	s_set_vgpr_msb 64                       ;  msbs: dst=1 src0=0 src1=0 src2=0
	s_delay_alu instid0(VALU_DEP_1) | instskip(SKIP_2) | instid1(VALU_DEP_1)
	v_dot4_i32_iu8 v16 /*v272*/, v8, v9, 0 neg_lo:[1,1,0]
	s_set_vgpr_msb 0                        ;  msbs: dst=0 src0=0 src1=0 src2=0
	v_or_b32_e32 v8, s11, v207
	v_dual_lshlrev_b32 v30, 2, v8 :: v_dual_lshrrev_b32 v31, 1, v8
	ds_load_b64 v[8:9], v21 offset:43584
	ds_load_b32 v21, v151
	ds_load_2addr_b32 v[156:157], v144 offset0:6 offset1:7
	ds_load_2addr_b32 v[162:163], v144 offset0:4 offset1:5
	;; [unrolled: 1-line block ×3, first 2 shown]
	ds_load_b128 v[22:25], v30 offset:33280
	ds_load_b128 v[26:29], v30 offset:33296
	s_set_vgpr_msb 64                       ;  msbs: dst=1 src0=0 src1=0 src2=0
	ds_load_b128 v[6:9] /*v[262:265]*/, v30 offset:33312
	ds_load_b128 v[10:13] /*v[266:269]*/, v30 offset:33328
	v_add_nc_u32_e32 v19 /*v275*/, s16, v224
	s_mov_b32 s16, 8
	s_set_vgpr_msb 0                        ;  msbs: dst=0 src0=0 src1=0 src2=0
	ds_load_b64 v[30:31], v31 offset:43584
	s_wait_dscnt 0x4
	s_set_vgpr_msb 64                       ;  msbs: dst=1 src0=0 src1=0 src2=0
	v_bfe_i32 v23 /*v279*/, v22, 16, 8
	s_wait_dscnt 0x3
	s_set_vgpr_msb 0                        ;  msbs: dst=0 src0=0 src1=0 src2=0
	v_perm_b32 v164, v27, v138, 0x6040503
	s_wait_dscnt 0x2
	s_set_vgpr_msb 1                        ;  msbs: dst=0 src0=1 src1=0 src2=0
	v_perm_b32 v151, v7 /*v263*/, v134, 0x6040503
	s_wait_dscnt 0x1
	s_set_vgpr_msb 5                        ;  msbs: dst=0 src0=1 src1=1 src2=0
	v_perm_b32 v145, v10 /*v266*/, v12 /*v268*/, 0x6040501
	v_perm_b32 v240, v11 /*v267*/, v10 /*v266*/, 0x6040503
	;; [unrolled: 1-line block ×3, first 2 shown]
	s_set_vgpr_msb 0x45                     ;  msbs: dst=1 src0=1 src1=1 src2=0
	v_perm_b32 v28 /*v284*/, v8 /*v264*/, v7 /*v263*/, 0x7060403
	s_set_vgpr_msb 64                       ;  msbs: dst=1 src0=0 src1=0 src2=0
	v_perm_b32 v29 /*v285*/, v28, v27, 0x7060403
	s_set_vgpr_msb 4                        ;  msbs: dst=0 src0=0 src1=1 src2=0
	v_dot4_i32_iu8 v17, v145, v3 /*v259*/, 0 neg_lo:[1,1,0]
	v_bfe_i32 v242, v21, 0, 8
	v_bfe_i32 v243, v21, 8, 8
	;; [unrolled: 1-line block ×3, first 2 shown]
	s_set_vgpr_msb 64                       ;  msbs: dst=1 src0=0 src1=0 src2=0
	v_ashrrev_i32_e32 v43 /*v299*/, 24, v24
	s_set_vgpr_msb 4                        ;  msbs: dst=0 src0=0 src1=1 src2=0
	v_dot4_i32_iu8 v16, v240, v4 /*v260*/, v17 neg_lo:[1,1,0]
	v_perm_b32 v17, v134, v8 /*v264*/, 0x6040501
	s_set_vgpr_msb 0                        ;  msbs: dst=0 src0=0 src1=0 src2=0
	v_ashrrev_i32_e32 v239, 24, v21
	v_dot4_i32_iu8 v145, v11, v130, v152 neg_lo:[1,1,0]
	v_dot4_i32_iu8 v152, v15, v135, v167 neg_lo:[1,1,0]
	s_set_vgpr_msb 4                        ;  msbs: dst=0 src0=0 src1=1 src2=0
	v_dot4_i32_iu8 v16, v131, v2 /*v258*/, v16 neg_lo:[1,1,0]
	v_mul_i32_i24_e32 v161, v248, v23 /*v279*/
	s_set_vgpr_msb 0x45                     ;  msbs: dst=1 src0=1 src1=1 src2=0
	v_perm_b32 v12 /*v268*/, v12 /*v268*/, v12 /*v268*/, 0xc0c0c01
	s_set_vgpr_msb 64                       ;  msbs: dst=1 src0=0 src1=0 src2=0
	v_bfe_i32 v22 /*v278*/, v22, 0, 8
	v_ashrrev_i32_e32 v24 /*v280*/, 24, v22
	s_set_vgpr_msb 1                        ;  msbs: dst=0 src0=1 src1=0 src2=0
	v_dot4_i32_iu8 v150, v13 /*v269*/, v135, v16 neg_lo:[1,1,0]
	v_perm_b32 v16, v6 /*v262*/, v179, 0x6040501
	s_set_vgpr_msb 64                       ;  msbs: dst=1 src0=0 src1=0 src2=0
	v_bfe_i32 v21 /*v277*/, v22, 8, 8
	v_perm_b32 v38 /*v294*/, v27, v26, 0x6040503
	s_set_vgpr_msb 4                        ;  msbs: dst=0 src0=0 src1=1 src2=0
	v_mul_i32_i24_e32 v247, v247, v24 /*v280*/
	s_set_vgpr_msb 64                       ;  msbs: dst=1 src0=0 src1=0 src2=0
	v_perm_b32 v24 /*v280*/, v23, v136, 0x6040503
	s_set_vgpr_msb 0                        ;  msbs: dst=0 src0=0 src1=0 src2=0
	v_dot4_i32_iu8 v16, v17, v16, 0 neg_lo:[1,1,0]
	s_set_vgpr_msb 4                        ;  msbs: dst=0 src0=0 src1=1 src2=0
	v_perm_b32 v17, v178, v6 /*v262*/, 0x6040503
	s_set_vgpr_msb 1                        ;  msbs: dst=0 src0=1 src1=0 src2=0
	v_lshrrev_b16 v21, 8, v23
	v_mul_i32_i24_e32 v149, v21 /*v277*/, v244
	s_set_vgpr_msb 64                       ;  msbs: dst=1 src0=0 src1=0 src2=0
	v_bfe_i32 v21 /*v277*/, v141, 0, 8
	s_set_vgpr_msb 0                        ;  msbs: dst=0 src0=0 src1=0 src2=0
	v_perm_b32 v244, v141, v140, 0x6040503
	v_dot4_i32_iu8 v16, v151, v17, v16 neg_lo:[1,1,0]
	v_perm_b32 v17, v178, v178, 0xc0c0c03
	v_perm_b32 v151, v179, v179, 0x706000c
	v_bfe_i32 v21, v21, 0, 8
	s_set_vgpr_msb 64                       ;  msbs: dst=1 src0=0 src1=0 src2=0
	v_bfe_i32 v41 /*v297*/, v25, 8, 8
	v_ashrrev_i32_e32 v27 /*v283*/, 24, v25
	v_bfe_i32 v42 /*v298*/, v25, 0, 8
	v_or_b32_e32 v5 /*v261*/, v151, v17
	s_set_vgpr_msb 0                        ;  msbs: dst=0 src0=0 src1=0 src2=0
	v_perm_b32 v17, v138, v28, 0x6050401
	s_set_vgpr_msb 64                       ;  msbs: dst=1 src0=0 src1=0 src2=0
	v_bfe_i32 v44 /*v300*/, v24, 16, 8
	v_bfe_i32 v26 /*v282*/, v25, 16, 8
	;; [unrolled: 1-line block ×3, first 2 shown]
	s_set_vgpr_msb 5                        ;  msbs: dst=0 src0=1 src1=1 src2=0
	v_dot4_i32_iu8 v16, v5 /*v261*/, v28 /*v284*/, v16 neg_lo:[1,1,0]
	s_set_vgpr_msb 64                       ;  msbs: dst=1 src0=0 src1=0 src2=0
	v_bfe_i32 v20 /*v276*/, v24, 8, 8
	v_bfe_i32 v25 /*v281*/, v24, 0, 8
	s_set_vgpr_msb 1                        ;  msbs: dst=0 src0=1 src1=0 src2=0
	v_ashrrev_i32_e32 v248, 24, v141
	v_dot4_i32_iu8 v151, v9 /*v265*/, v130, v16 neg_lo:[1,1,0]
	s_set_vgpr_msb 0                        ;  msbs: dst=0 src0=0 src1=0 src2=0
	v_perm_b32 v16, v26, v124, 0x6050401
	s_delay_alu instid0(VALU_DEP_1) | instskip(SKIP_1) | instid1(VALU_DEP_1)
	v_dot4_i32_iu8 v16, v17, v16, 0 neg_lo:[1,1,0]
	v_perm_b32 v17, v139, v26, 0x6040503
	v_dot4_i32_iu8 v16, v164, v17, v16 neg_lo:[1,1,0]
	v_dot4_i32_iu8 v17, v127, v7, v153 neg_lo:[1,1,0]
	ds_load_2addr_b32 v[168:169], v144 offset1:1
	ds_load_2addr_b32 v[174:175], v144 offset0:13 offset1:14
	ds_load_2addr_b32 v[164:165], v144 offset0:11 offset1:12
	;; [unrolled: 1-line block ×4, first 2 shown]
	s_set_vgpr_msb 1                        ;  msbs: dst=0 src0=1 src1=0 src2=0
	v_dot4_i32_iu8 v16, v29 /*v285*/, v228, v16 neg_lo:[1,1,0]
	s_set_vgpr_msb 64                       ;  msbs: dst=1 src0=0 src1=0 src2=0
	v_mul_lo_u32 v30 /*v286*/, v17, v242
	s_set_vgpr_msb 0                        ;  msbs: dst=0 src0=0 src1=0 src2=0
	v_perm_b32 v17, v136, v24, 0x6050401
	v_dot4_i32_iu8 v16, v29, v125, v16 neg_lo:[1,1,0]
	s_delay_alu instid0(VALU_DEP_1) | instskip(SKIP_2) | instid1(VALU_DEP_1)
	v_mul_lo_u32 v153, v16, v243
	v_perm_b32 v16, v22, v126, 0x6050401
	s_set_vgpr_msb 64                       ;  msbs: dst=1 src0=0 src1=0 src2=0
	v_dot4_i32_iu8 v31 /*v287*/, v17, v16, 0 neg_lo:[1,1,0]
	s_wait_dscnt 0x5
	s_set_vgpr_msb 0                        ;  msbs: dst=0 src0=0 src1=0 src2=0
	v_dual_mov_b32 v16, v30 :: v_dual_mov_b32 v17, v8
	v_mul_lo_u32 v8, v150, v239
	v_mul_lo_u32 v30, v145, v238
	s_wait_dscnt 0x2
	v_perm_b32 v234, v165, v165, 0x600010c
	s_set_vgpr_msb 1                        ;  msbs: dst=0 src0=1 src1=0 src2=0
	ds_load_2addr_b32 v[144:145], v19 /*v275*/ offset0:6 offset1:7
	s_set_vgpr_msb 4                        ;  msbs: dst=0 src0=0 src1=1 src2=0
	v_or_b32_e32 v14, v234, v32 /*v288*/
	s_set_vgpr_msb 0                        ;  msbs: dst=0 src0=0 src1=0 src2=0
	v_mad_u32 v8, v151, v238, v8
	v_mad_u32 v30, v152, v239, v30
	s_set_vgpr_msb 1                        ;  msbs: dst=0 src0=1 src1=0 src2=0
	v_mul_i32_i24_e32 v152, v22 /*v278*/, v245
	s_set_vgpr_msb 0                        ;  msbs: dst=0 src0=0 src1=0 src2=0
	v_perm_b32 v245, v137, v22, 0x6040503
	s_set_vgpr_msb 64                       ;  msbs: dst=1 src0=0 src1=0 src2=0
	v_bfe_i32 v22 /*v278*/, v141, 16, 8
	s_set_vgpr_msb 0x51                     ;  msbs: dst=1 src0=1 src1=0 src2=1
	s_delay_alu instid0(VALU_DEP_2)
	v_dot4_i32_iu8 v24 /*v280*/, v24 /*v280*/, v245, v31 /*v287*/ neg_lo:[1,1,0]
	s_set_vgpr_msb 0                        ;  msbs: dst=0 src0=0 src1=0 src2=0
	v_perm_b32 v245, v132, v141, 0x7060403
	v_perm_b32 v141, v24, v23, 0x7060403
	v_cvt_f32_i32_e32 v150, v8
	v_cvt_f32_i32_e32 v151, v30
	v_mov_b32_e32 v8, v31
	v_perm_b32 v30, v12, v175, 0x6040501
	v_perm_b32 v31, v174, v12, 0x6040503
	s_set_vgpr_msb 64                       ;  msbs: dst=1 src0=0 src1=0 src2=0
	v_bfe_i32 v31 /*v287*/, v133, 0, 8
	s_set_vgpr_msb 0                        ;  msbs: dst=0 src0=0 src1=0 src2=0
	v_dot4_i32_iu8 v14, v30, v14, 0 neg_lo:[1,1,0]
	v_perm_b32 v30, v13, v165, 0x6040503
	s_delay_alu instid0(VALU_DEP_1) | instskip(SKIP_2) | instid1(VALU_DEP_1)
	v_dot4_i32_iu8 v14, v31, v30, v14 neg_lo:[1,1,0]
	v_perm_b32 v30, v174, v174, 0xc0c0c03
	v_perm_b32 v31, v175, v175, 0x706000c
	v_or_b32_e32 v236, v31, v30
	s_wait_dscnt 0x2
	v_perm_b32 v30, v167, v167, 0xc0c0001
	v_perm_b32 v31, v166, v166, 0xc0c0001
	s_delay_alu instid0(VALU_DEP_3) | instskip(SKIP_1) | instid1(VALU_DEP_1)
	v_dot4_i32_iu8 v14, v172, v236, v14 neg_lo:[1,1,0]
	s_set_vgpr_msb 0x41                     ;  msbs: dst=1 src0=1 src1=0 src2=0
	v_dot4_i32_iu8 v34 /*v290*/, v33 /*v289*/, v30, v14 neg_lo:[1,1,0]
	s_wait_dscnt 0x1
	s_set_vgpr_msb 0                        ;  msbs: dst=0 src0=0 src1=0 src2=0
	v_bfe_i32 v14, v177, 8, 8
	v_bfe_i32 v30, v176, 16, 8
	s_delay_alu instid0(VALU_DEP_2) | instskip(NEXT) | instid1(VALU_DEP_1)
	v_mul_i32_i24_e32 v14, v14, v20
	v_dot4_i32_iu8 v14, v31, v230, v14 neg_lo:[1,1,0]
	v_perm_b32 v31, v166, v166, 0xc0c0302
	s_delay_alu instid0(VALU_DEP_1) | instskip(SKIP_1) | instid1(VALU_DEP_1)
	v_dot4_i32_iu8 v14, v231, v31, v14 neg_lo:[1,1,0]
	v_perm_b32 v31, v176, v176, 0xc0c0001
	v_dot4_i32_iu8 v14, v232, v31, v14 neg_lo:[1,1,0]
	v_perm_b32 v31, v1, v162, 0x6040503
	s_delay_alu instid0(VALU_DEP_2) | instskip(SKIP_1) | instid1(VALU_DEP_1)
	v_mad_i32_i24 v14, v30, v19, v14
	v_perm_b32 v30, v177, v176, 0xc0c0403
	v_dot4_i32_iu8 v14, v233, v30, v14 neg_lo:[1,1,0]
	v_perm_b32 v30, v177, v177, 0xc0c0302
	s_set_vgpr_msb 64                       ;  msbs: dst=1 src0=0 src1=0 src2=0
	s_delay_alu instid0(VALU_DEP_1) | instskip(SKIP_3) | instid1(VALU_DEP_2)
	v_dot4_i32_iu8 v35 /*v291*/, v10, v30, v14 neg_lo:[1,1,0]
	s_set_vgpr_msb 0                        ;  msbs: dst=0 src0=0 src1=0 src2=0
	v_perm_b32 v14, v162, v156, 0x6050401
	v_perm_b32 v30, v163, v0, 0x6040503
	v_dot4_i32_iu8 v14, v14, v235, 0 neg_lo:[1,1,0]
	s_delay_alu instid0(VALU_DEP_1) | instskip(SKIP_4) | instid1(VALU_DEP_2)
	v_dot4_i32_iu8 v14, v31, v30, v14 neg_lo:[1,1,0]
	v_perm_b32 v30, v156, v163, 0x7060403
	s_set_vgpr_msb 4                        ;  msbs: dst=0 src0=0 src1=1 src2=0
	v_perm_b32 v31, v148, v8 /*v264*/, 0x6040501
	s_set_vgpr_msb 64                       ;  msbs: dst=1 src0=0 src1=0 src2=0
	v_dot4_i32_iu8 v36 /*v292*/, v2, v30, v14 neg_lo:[1,1,0]
	s_set_vgpr_msb 0                        ;  msbs: dst=0 src0=0 src1=0 src2=0
	v_bfe_i32 v14, v158, 8, 8
	v_perm_b32 v30, v169, v169, 0xc0c0001
	s_delay_alu instid0(VALU_DEP_2) | instskip(NEXT) | instid1(VALU_DEP_1)
	v_mul_i32_i24_e32 v14, v14, v18
	v_dot4_i32_iu8 v14, v168, v4, v14 neg_lo:[1,1,0]
	s_delay_alu instid0(VALU_DEP_1) | instskip(SKIP_2) | instid1(VALU_DEP_1)
	v_dot4_i32_iu8 v14, v237, v30, v14 neg_lo:[1,1,0]
	v_perm_b32 v30, v169, v169, 0xc0c0302
	s_set_vgpr_msb 1                        ;  msbs: dst=0 src0=1 src1=0 src2=0
	v_dot4_i32_iu8 v14, v1 /*v257*/, v30, v14 neg_lo:[1,1,0]
	s_set_vgpr_msb 0                        ;  msbs: dst=0 src0=0 src1=0 src2=0
	v_perm_b32 v30, v158, v158, 0xc030200
	s_set_vgpr_msb 0x44                     ;  msbs: dst=1 src0=0 src1=1 src2=0
	s_delay_alu instid0(VALU_DEP_1)
	v_dot4_i32_iu8 v37 /*v293*/, v30, v14 /*v270*/, v14 neg_lo:[1,1,0]
	s_set_vgpr_msb 1                        ;  msbs: dst=0 src0=1 src1=0 src2=0
	v_perm_b32 v14, v10 /*v266*/, v33, 0x6040503
	s_set_vgpr_msb 4                        ;  msbs: dst=0 src0=0 src1=1 src2=0
	v_or_b32_e32 v30, v252, v12 /*v268*/
	s_set_vgpr_msb 0                        ;  msbs: dst=0 src0=0 src1=0 src2=0
	s_delay_alu instid0(VALU_DEP_1) | instskip(SKIP_3) | instid1(VALU_DEP_2)
	v_dot4_i32_iu8 v14, v30, v14, 0 neg_lo:[1,1,0]
	s_set_vgpr_msb 1                        ;  msbs: dst=0 src0=1 src1=0 src2=0
	v_perm_b32 v30, v6 /*v262*/, v146, 0x6040501
	s_set_vgpr_msb 0                        ;  msbs: dst=0 src0=0 src1=0 src2=0
	v_dot4_i32_iu8 v14, v240, v253, v14 neg_lo:[1,1,0]
	s_delay_alu instid0(VALU_DEP_2)
	v_dot4_i32_iu8 v30, v31, v30, 0 neg_lo:[1,1,0]
	s_set_vgpr_msb 5                        ;  msbs: dst=0 src0=1 src1=1 src2=0
	v_perm_b32 v31, v7 /*v263*/, v6 /*v262*/, 0x6040503
	s_set_vgpr_msb 0                        ;  msbs: dst=0 src0=0 src1=0 src2=0
	v_perm_b32 v240, v143, v142, 0x6040503
	v_dot4_i32_iu8 v14, v254, v131, v14 neg_lo:[1,1,0]
	s_delay_alu instid0(VALU_DEP_3) | instskip(SKIP_2) | instid1(VALU_DEP_2)
	v_dot4_i32_iu8 v30, v255, v31, v30 neg_lo:[1,1,0]
	v_perm_b32 v31, v142, v28, 0x6050401
	s_set_vgpr_msb 5                        ;  msbs: dst=0 src0=1 src1=1 src2=0
	v_dot4_i32_iu8 v32, v0 /*v256*/, v28 /*v284*/, v30 neg_lo:[1,1,0]
	s_set_vgpr_msb 0                        ;  msbs: dst=0 src0=0 src1=0 src2=0
	v_perm_b32 v30, v26, v128, 0x6050401
	s_delay_alu instid0(VALU_DEP_1)
	v_dot4_i32_iu8 v30, v31, v30, 0 neg_lo:[1,1,0]
	v_perm_b32 v31, v5, v4, 0x6040503
	v_perm_b32 v5, v6, v5, 0x7060403
	;; [unrolled: 1-line block ×3, first 2 shown]
	s_set_vgpr_msb 4                        ;  msbs: dst=0 src0=0 src1=1 src2=0
	v_dot4_i32_iu8 v30, v240, v38 /*v294*/, v30 neg_lo:[1,1,0]
	s_set_vgpr_msb 16                       ;  msbs: dst=0 src0=0 src1=0 src2=1
	v_dot4_i32_iu8 v31, v244, v31, v16 /*v272*/ neg_lo:[1,1,0]
	s_set_vgpr_msb 64                       ;  msbs: dst=1 src0=0 src1=0 src2=0
	v_bfe_i32 v16 /*v272*/, v23, 0, 8
	s_set_vgpr_msb 16                       ;  msbs: dst=0 src0=0 src1=0 src2=1
	v_dot4_i32_iu8 v6, v141, v6, v24 /*v280*/ neg_lo:[1,1,0]
	s_set_vgpr_msb 4                        ;  msbs: dst=0 src0=0 src1=1 src2=0
	v_dot4_i32_iu8 v143, v241, v29 /*v285*/, v30 neg_lo:[1,1,0]
	v_bfe_i32 v30, v160, 0, 8
	s_set_vgpr_msb 0                        ;  msbs: dst=0 src0=0 src1=0 src2=0
	v_dot4_i32_iu8 v5, v245, v5, v31 neg_lo:[1,1,0]
	v_dot4_i32_iu8 v6, v25, v127, v6 neg_lo:[1,1,0]
	s_set_vgpr_msb 64                       ;  msbs: dst=1 src0=0 src1=0 src2=0
	v_bfe_i32 v29 /*v285*/, v133, 8, 8
	s_set_vgpr_msb 0                        ;  msbs: dst=0 src0=0 src1=0 src2=0
	v_ashrrev_i32_e32 v160, 24, v23
	v_mul_i32_i24_e32 v21, v21, v30
	v_dot4_i32_iu8 v30, v125, v3, v229 neg_lo:[1,1,0]
	v_mad_u32 v6, v6, v242, v153
	s_set_vgpr_msb 1                        ;  msbs: dst=0 src0=1 src1=0 src2=0
	v_mul_i32_i24_e32 v153, v27 /*v283*/, v251
	s_set_vgpr_msb 0                        ;  msbs: dst=0 src0=0 src1=0 src2=0
	v_perm_b32 v251, v147, v147, 0x7060001
	v_dot4_i32_iu8 v5, v133, v7, v5 neg_lo:[1,1,0]
	s_set_vgpr_msb 16                       ;  msbs: dst=0 src0=0 src1=0 src2=1
	v_mad_u32 v30, v30, v243, v30 /*v286*/
	s_delay_alu instid0(VALU_DEP_1) | instskip(SKIP_4) | instid1(VALU_DEP_2)
	v_cvt_f32_i32_e32 v31, v30
	v_cvt_f32_i32_e32 v30, v6
	s_set_vgpr_msb 5                        ;  msbs: dst=0 src0=1 src1=1 src2=0
	v_mul_i32_i24_e32 v6, v44 /*v300*/, v40 /*v296*/
	s_set_vgpr_msb 0                        ;  msbs: dst=0 src0=0 src1=0 src2=0
	v_pk_fma_f32 v[30:31], v[16:17], v[30:31], 0 op_sel_hi:[1,1,0]
	s_set_vgpr_msb 5                        ;  msbs: dst=0 src0=1 src1=1 src2=0
	s_delay_alu instid0(VALU_DEP_2)
	v_mad_i32_i24 v6, v16 /*v272*/, v21 /*v277*/, v6
	s_set_vgpr_msb 64                       ;  msbs: dst=1 src0=0 src1=0 src2=0
	v_perm_b32 v16 /*v272*/, v15, v15, 0xc0c0302
	s_set_vgpr_msb 16                       ;  msbs: dst=0 src0=0 src1=0 src2=1
	v_add3_u32 v15, v35, v155, v15 /*v271*/
	s_set_vgpr_msb 0                        ;  msbs: dst=0 src0=0 src1=0 src2=0
	v_pk_fma_f32 v[30:31], v[8:9], v[150:151], v[30:31]
	s_set_vgpr_msb 5                        ;  msbs: dst=0 src0=1 src1=1 src2=0
	v_mul_i32_i24_e32 v150, v41 /*v297*/, v29 /*v285*/
	s_set_vgpr_msb 1                        ;  msbs: dst=0 src0=1 src1=0 src2=0
	v_mul_i32_i24_e32 v151, v26 /*v282*/, v250
	s_set_vgpr_msb 0                        ;  msbs: dst=0 src0=0 src1=0 src2=0
	v_perm_b32 v250, v170, v34, 0x5040203
	v_pk_fma_f32 v[70:71], v[116:117], v[30:31], v[70:71]
	s_set_vgpr_msb 5                        ;  msbs: dst=0 src0=1 src1=1 src2=0
	v_mul_i32_i24_e32 v30, v43 /*v299*/, v39 /*v295*/
	v_mul_i32_i24_e32 v31, v42 /*v298*/, v31 /*v287*/
	s_set_vgpr_msb 0                        ;  msbs: dst=0 src0=0 src1=0 src2=0
	v_mad_i32_i24 v150, v160, v248, v150
	s_set_vgpr_msb 5                        ;  msbs: dst=0 src0=1 src1=1 src2=0
	s_delay_alu instid0(VALU_DEP_2) | instskip(SKIP_1) | instid1(VALU_DEP_2)
	v_mad_i32_i24 v31, v23 /*v279*/, v22 /*v278*/, v31
	s_set_vgpr_msb 0                        ;  msbs: dst=0 src0=0 src1=0 src2=0
	v_add3_u32 v21, v21, v30, v150
	s_set_vgpr_msb 1                        ;  msbs: dst=0 src0=1 src1=0 src2=0
	v_mad_i32_i24 v30, v25 /*v281*/, v249, v151
	s_set_vgpr_msb 0                        ;  msbs: dst=0 src0=0 src1=0 src2=0
	s_delay_alu instid0(VALU_DEP_2) | instskip(SKIP_4) | instid1(VALU_DEP_2)
	v_add3_u32 v6, v6, v31, v21
	s_set_vgpr_msb 1                        ;  msbs: dst=0 src0=1 src1=0 src2=0
	v_mad_i32_i24 v21, v20 /*v276*/, v246, v149
	s_set_vgpr_msb 0                        ;  msbs: dst=0 src0=0 src1=0 src2=0
	v_perm_b32 v31, v11, v11, 0xc0c0302
	v_add3_u32 v6, v6, v152, v21
	v_add3_u32 v21, v161, v247, v30
	ds_load_b32 v30, v154
	v_add3_u32 v6, v6, v21, v153
	s_wait_dscnt 0x0
	v_bfe_i32 v248, v30, 8, 8
	v_bfe_i32 v249, v30, 0, 8
	;; [unrolled: 1-line block ×3, first 2 shown]
	v_ashrrev_i32_e32 v247, 24, v30
	s_set_vgpr_msb 5                        ;  msbs: dst=0 src0=1 src1=1 src2=0
	v_perm_b32 v30, v13 /*v269*/, v13 /*v269*/, 0x3020001
	s_set_vgpr_msb 0                        ;  msbs: dst=0 src0=0 src1=0 src2=0
	v_mul_lo_u32 v5, v5, v249
	s_delay_alu instid0(VALU_DEP_2) | instskip(SKIP_1) | instid1(VALU_DEP_1)
	v_dot4_i32_iu8 v30, v30, v250, v14 neg_lo:[1,1,0]
	v_perm_b32 v14, v147, v147, 0xc0c0302
	v_dot4_i32_iu8 v31, v31, v14, v173 neg_lo:[1,1,0]
	v_perm_b32 v14, v170, v170, 0xc0c0100
	v_mad_u32 v5, v15, v248, v5
	s_set_vgpr_msb 1                        ;  msbs: dst=0 src0=1 src1=0 src2=0
	s_delay_alu instid0(VALU_DEP_2) | instskip(SKIP_3) | instid1(VALU_DEP_1)
	v_dot4_i32_iu8 v34, v16 /*v272*/, v14, v171 neg_lo:[1,1,0]
	s_set_vgpr_msb 5                        ;  msbs: dst=0 src0=1 src1=1 src2=0
	v_perm_b32 v14, v9 /*v265*/, v9 /*v265*/, 0x3020001
	s_set_vgpr_msb 0                        ;  msbs: dst=0 src0=0 src1=0 src2=0
	v_dot4_i32_iu8 v32, v14, v251, v32 neg_lo:[1,1,0]
	v_dot4_i32_iu8 v14, v29, v129, v143 neg_lo:[1,1,0]
	v_cvt_f32_i32_e32 v15, v5
	v_mul_lo_u32 v5, v30, v247
	s_delay_alu instid0(VALU_DEP_3) | instskip(NEXT) | instid1(VALU_DEP_2)
	v_mul_lo_u32 v14, v14, v248
	v_mad_u32 v5, v32, v246, v5
	s_delay_alu instid0(VALU_DEP_2) | instskip(NEXT) | instid1(VALU_DEP_2)
	v_mad_u32 v6, v6, v249, v14
	v_cvt_f32_i32_e32 v30, v5
	s_delay_alu instid0(VALU_DEP_2) | instskip(SKIP_1) | instid1(VALU_DEP_2)
	v_cvt_f32_i32_e32 v14, v6
	v_mul_lo_u32 v6, v31, v246
	v_pk_fma_f32 v[14:15], v[16:17], v[14:15], 0 op_sel_hi:[1,1,0]
	s_delay_alu instid0(VALU_DEP_2)
	v_mad_u32 v6, v34, v247, v6
	s_set_vgpr_msb 1                        ;  msbs: dst=0 src0=1 src1=0 src2=0
	ds_load_2addr_b32 v[160:161], v19 /*v275*/ offset0:4 offset1:5
	ds_load_2addr_b32 v[34:35], v19 /*v275*/ offset0:2 offset1:3
	ds_load_2addr_b32 v[154:155], v19 /*v275*/ offset1:1
	ds_load_2addr_b32 v[170:171], v19 /*v275*/ offset0:13 offset1:14
	ds_load_2addr_b32 v[150:151], v19 /*v275*/ offset0:11 offset1:12
	;; [unrolled: 1-line block ×3, first 2 shown]
	s_set_vgpr_msb 0                        ;  msbs: dst=0 src0=0 src1=0 src2=0
	v_cvt_f32_i32_e32 v31, v6
	s_wait_dscnt 0x5
	v_perm_b32 v0, v161, v0, 0x6040503
	v_perm_b32 v1, v1, v160, 0x6040503
	s_delay_alu instid0(VALU_DEP_3)
	v_pk_fma_f32 v[14:15], v[8:9], v[30:31], v[14:15]
	s_wait_dscnt 0x2
	v_perm_b32 v5, v12, v171, 0x6040501
	s_wait_dscnt 0x1
	v_perm_b32 v149, v151, v151, 0x600010c
	v_perm_b32 v12, v170, v12, 0x6040503
	;; [unrolled: 1-line block ×3, first 2 shown]
	v_pk_fma_f32 v[68:69], v[118:119], v[14:15], v[68:69]
	v_perm_b32 v14, v23, v168, 0x6040503
	s_set_vgpr_msb 4                        ;  msbs: dst=0 src0=0 src1=1 src2=0
	v_or_b32_e32 v6, v149, v32 /*v288*/
	s_set_vgpr_msb 0                        ;  msbs: dst=0 src0=0 src1=0 src2=0
	s_delay_alu instid0(VALU_DEP_1) | instskip(SKIP_3) | instid1(VALU_DEP_2)
	v_dot4_i32_iu8 v5, v5, v6, 0 neg_lo:[1,1,0]
	v_perm_b32 v6, v13, v151, 0x6040503
	s_wait_dscnt 0x0
	v_perm_b32 v13, v152, v152, 0xc0c0001
	v_dot4_i32_iu8 v5, v12, v6, v5 neg_lo:[1,1,0]
	v_perm_b32 v6, v170, v170, 0xc0c0c03
	v_perm_b32 v12, v171, v171, 0x706000c
	s_delay_alu instid0(VALU_DEP_1) | instskip(SKIP_1) | instid1(VALU_DEP_2)
	v_or_b32_e32 v229, v12, v6
	v_perm_b32 v6, v153, v153, 0xc0c0001
	v_dot4_i32_iu8 v5, v172, v229, v5 neg_lo:[1,1,0]
	s_set_vgpr_msb 1                        ;  msbs: dst=0 src0=1 src1=0 src2=0
	ds_load_2addr_b32 v[172:173], v19 /*v275*/ offset0:9 offset1:10
	v_dot4_i32_iu8 v6, v33 /*v289*/, v6, v5 neg_lo:[1,1,0]
	s_wait_dscnt 0x0
	s_set_vgpr_msb 0                        ;  msbs: dst=0 src0=0 src1=0 src2=0
	v_bfe_i32 v5, v173, 8, 8
	v_bfe_i32 v12, v172, 16, 8
	s_delay_alu instid0(VALU_DEP_2) | instskip(NEXT) | instid1(VALU_DEP_1)
	v_mul_i32_i24_e32 v5, v5, v20
	v_dot4_i32_iu8 v5, v13, v230, v5 neg_lo:[1,1,0]
	v_perm_b32 v13, v152, v152, 0xc0c0302
	s_delay_alu instid0(VALU_DEP_1) | instskip(SKIP_1) | instid1(VALU_DEP_1)
	v_dot4_i32_iu8 v5, v231, v13, v5 neg_lo:[1,1,0]
	v_perm_b32 v13, v172, v172, 0xc0c0001
	v_dot4_i32_iu8 v5, v232, v13, v5 neg_lo:[1,1,0]
	v_perm_b32 v13, v28, v163, 0x7060403
	s_delay_alu instid0(VALU_DEP_2) | instskip(SKIP_1) | instid1(VALU_DEP_1)
	v_mad_i32_i24 v5, v12, v19, v5
	v_perm_b32 v12, v173, v172, 0xc0c0403
	v_dot4_i32_iu8 v5, v233, v12, v5 neg_lo:[1,1,0]
	v_perm_b32 v12, v173, v173, 0xc0c0302
	s_delay_alu instid0(VALU_DEP_1) | instskip(SKIP_1) | instid1(VALU_DEP_2)
	v_dot4_i32_iu8 v10, v10, v12, v5 neg_lo:[1,1,0]
	v_perm_b32 v5, v160, v144, 0x6050401
	v_dot4_i32_iu8 v10, v11, v150, v10 neg_lo:[1,1,0]
	s_delay_alu instid0(VALU_DEP_2) | instskip(SKIP_1) | instid1(VALU_DEP_2)
	v_dot4_i32_iu8 v5, v5, v235, 0 neg_lo:[1,1,0]
	v_perm_b32 v235, v163, v162, 0x6040503
	v_dot4_i32_iu8 v0, v1, v0, v5 neg_lo:[1,1,0]
	v_perm_b32 v1, v144, v161, 0x7060403
	s_set_vgpr_msb 1                        ;  msbs: dst=0 src0=1 src1=0 src2=0
	v_perm_b32 v5, v7 /*v263*/, v166, 0x6040503
	s_set_vgpr_msb 0                        ;  msbs: dst=0 src0=0 src1=0 src2=0
	s_delay_alu instid0(VALU_DEP_2) | instskip(SKIP_2) | instid1(VALU_DEP_3)
	v_dot4_i32_iu8 v2, v2, v1, v0 neg_lo:[1,1,0]
	v_bfe_i32 v0, v34, 8, 8
	v_perm_b32 v1, v155, v155, 0xc0c0001
	v_dot4_i32_iu8 v2, v145, v3, v2 neg_lo:[1,1,0]
	s_delay_alu instid0(VALU_DEP_3) | instskip(NEXT) | instid1(VALU_DEP_1)
	v_mul_i32_i24_e32 v0, v0, v18
	v_dot4_i32_iu8 v0, v154, v4, v0 neg_lo:[1,1,0]
	s_set_vgpr_msb 1                        ;  msbs: dst=0 src0=1 src1=0 src2=0
	v_perm_b32 v4, v11 /*v267*/, v165, 0x6040503
	s_set_vgpr_msb 0                        ;  msbs: dst=0 src0=0 src1=0 src2=0
	s_delay_alu instid0(VALU_DEP_2) | instskip(SKIP_2) | instid1(VALU_DEP_1)
	v_dot4_i32_iu8 v0, v237, v1, v0 neg_lo:[1,1,0]
	v_perm_b32 v1, v155, v155, 0xc0c0302
	s_set_vgpr_msb 1                        ;  msbs: dst=0 src0=1 src1=0 src2=0
	v_dot4_i32_iu8 v0, v1 /*v257*/, v1, v0 neg_lo:[1,1,0]
	s_set_vgpr_msb 0                        ;  msbs: dst=0 src0=0 src1=0 src2=0
	v_perm_b32 v1, v34, v34, 0xc030200
	s_set_vgpr_msb 4                        ;  msbs: dst=0 src0=0 src1=1 src2=0
	s_delay_alu instid0(VALU_DEP_1)
	v_dot4_i32_iu8 v12, v1, v14 /*v270*/, v0 neg_lo:[1,1,0]
	s_set_vgpr_msb 1                        ;  msbs: dst=0 src0=1 src1=0 src2=0
	v_perm_b32 v0, v10 /*v266*/, v175, 0x6040501
	s_set_vgpr_msb 4                        ;  msbs: dst=0 src0=0 src1=1 src2=0
	v_or_b32_e32 v1, v234, v12 /*v268*/
	s_set_vgpr_msb 0                        ;  msbs: dst=0 src0=0 src1=0 src2=0
	s_delay_alu instid0(VALU_DEP_1) | instskip(SKIP_3) | instid1(VALU_DEP_1)
	v_dot4_i32_iu8 v0, v1, v0, 0 neg_lo:[1,1,0]
	s_set_vgpr_msb 4                        ;  msbs: dst=0 src0=0 src1=1 src2=0
	v_perm_b32 v1, v174, v10 /*v266*/, 0x6040503
	s_set_vgpr_msb 0                        ;  msbs: dst=0 src0=0 src1=0 src2=0
	v_dot4_i32_iu8 v0, v4, v1, v0 neg_lo:[1,1,0]
	s_set_vgpr_msb 1                        ;  msbs: dst=0 src0=1 src1=0 src2=0
	v_perm_b32 v1, v6 /*v262*/, v177, 0x6040501
	s_set_vgpr_msb 4                        ;  msbs: dst=0 src0=0 src1=1 src2=0
	v_perm_b32 v4, v166, v8 /*v264*/, 0x6040501
	s_set_vgpr_msb 0                        ;  msbs: dst=0 src0=0 src1=0 src2=0
	v_dot4_i32_iu8 v0, v236, v131, v0 neg_lo:[1,1,0]
	s_delay_alu instid0(VALU_DEP_2) | instskip(SKIP_3) | instid1(VALU_DEP_1)
	v_dot4_i32_iu8 v1, v4, v1, 0 neg_lo:[1,1,0]
	s_set_vgpr_msb 4                        ;  msbs: dst=0 src0=0 src1=1 src2=0
	v_perm_b32 v4, v176, v6 /*v262*/, 0x6040503
	s_set_vgpr_msb 0                        ;  msbs: dst=0 src0=0 src1=0 src2=0
	v_dot4_i32_iu8 v1, v5, v4, v1 neg_lo:[1,1,0]
	v_perm_b32 v4, v176, v176, 0xc0c0c03
	v_perm_b32 v5, v177, v177, 0x706000c
	s_set_vgpr_msb 64                       ;  msbs: dst=1 src0=0 src1=0 src2=0
	s_delay_alu instid0(VALU_DEP_1)
	v_or_b32_e32 v1 /*v257*/, v5, v4
	s_set_vgpr_msb 0                        ;  msbs: dst=0 src0=0 src1=0 src2=0
	v_perm_b32 v4, v26, v156, 0x6050401
	v_perm_b32 v5, v162, v28, 0x6050401
	s_set_vgpr_msb 5                        ;  msbs: dst=0 src0=1 src1=1 src2=0
	v_dot4_i32_iu8 v1, v1 /*v257*/, v28 /*v284*/, v1 neg_lo:[1,1,0]
	s_set_vgpr_msb 0                        ;  msbs: dst=0 src0=0 src1=0 src2=0
	s_delay_alu instid0(VALU_DEP_2)
	v_dot4_i32_iu8 v4, v5, v4, 0 neg_lo:[1,1,0]
	v_perm_b32 v5, v156, v27, 0x7060403
	s_set_vgpr_msb 1                        ;  msbs: dst=0 src0=1 src1=0 src2=0
	v_dot4_i32_iu8 v15, v9 /*v265*/, v164, v1 neg_lo:[1,1,0]
	s_set_vgpr_msb 16                       ;  msbs: dst=0 src0=0 src1=0 src2=1
	v_dot4_i32_iu8 v1, v159, v7, v37 /*v293*/ neg_lo:[1,1,0]
	s_set_vgpr_msb 4                        ;  msbs: dst=0 src0=0 src1=1 src2=0
	v_dot4_i32_iu8 v4, v235, v38 /*v294*/, v4 neg_lo:[1,1,0]
	s_set_vgpr_msb 0                        ;  msbs: dst=0 src0=0 src1=0 src2=0
	s_delay_alu instid0(VALU_DEP_1) | instskip(SKIP_2) | instid1(VALU_DEP_1)
	v_dot4_i32_iu8 v4, v13, v5, v4 neg_lo:[1,1,0]
	v_perm_b32 v5, v22, v158, 0x6050401
	v_perm_b32 v13, v168, v24, 0x6050401
	v_dot4_i32_iu8 v5, v13, v5, 0 neg_lo:[1,1,0]
	v_perm_b32 v13, v169, v22, 0x6040503
	s_delay_alu instid0(VALU_DEP_1)
	v_dot4_i32_iu8 v5, v14, v13, v5 neg_lo:[1,1,0]
	v_perm_b32 v13, v158, v169, 0x7060403
	s_set_vgpr_msb 1                        ;  msbs: dst=0 src0=1 src1=0 src2=0
	v_dot4_i32_iu8 v14, v13 /*v269*/, v167, v0 neg_lo:[1,1,0]
	s_set_vgpr_msb 0                        ;  msbs: dst=0 src0=0 src1=0 src2=0
	v_perm_b32 v0, v167, v167, 0xc0c0302
	v_dot4_i32_iu8 v5, v141, v13, v5 neg_lo:[1,1,0]
	s_set_vgpr_msb 17                       ;  msbs: dst=0 src0=1 src1=0 src2=1
	ds_load_b32 v13, v17 /*v273*/
	v_dot4_i32_iu8 v18, v16 /*v272*/, v0, v34 /*v290*/ neg_lo:[1,1,0]
	s_set_vgpr_msb 0                        ;  msbs: dst=0 src0=0 src1=0 src2=0
	v_dot4_i32_iu8 v0, v29, v157, v4 neg_lo:[1,1,0]
	v_dot4_i32_iu8 v4, v25, v159, v5 neg_lo:[1,1,0]
	s_set_vgpr_msb 16                       ;  msbs: dst=0 src0=0 src1=0 src2=1
	v_dot4_i32_iu8 v5, v157, v3, v36 /*v292*/ neg_lo:[1,1,0]
	s_wait_dscnt 0x0
	v_bfe_i32 v232, v13, 0, 8
	v_bfe_i32 v233, v13, 8, 8
	v_ashrrev_i32_e32 v230, 24, v13
	v_bfe_i32 v231, v13, 16, 8
	v_dot4_i32_iu8 v13, v11, v164, v35 /*v291*/ neg_lo:[1,1,0]
	v_mul_lo_u32 v1, v1, v232
	v_mul_lo_u32 v0, v0, v233
	s_set_vgpr_msb 0                        ;  msbs: dst=0 src0=0 src1=0 src2=0
	s_delay_alu instid0(VALU_DEP_2) | instskip(NEXT) | instid1(VALU_DEP_2)
	v_mad_u32 v1, v5, v233, v1
	v_mad_u32 v0, v4, v232, v0
	v_mul_lo_u32 v4, v13, v231
	v_mul_lo_u32 v5, v14, v230
	v_perm_b32 v14, v23, v154, 0x6040503
	v_cvt_f32_i32_e32 v1, v1
	v_cvt_f32_i32_e32 v0, v0
	v_mad_u32 v13, v18, v230, v4
	v_mad_u32 v4, v15, v231, v5
	s_delay_alu instid0(VALU_DEP_3) | instskip(NEXT) | instid1(VALU_DEP_3)
	v_pk_fma_f32 v[0:1], v[16:17], v[0:1], 0 op_sel_hi:[1,1,0]
	v_cvt_f32_i32_e32 v5, v13
	s_delay_alu instid0(VALU_DEP_3) | instskip(SKIP_1) | instid1(VALU_DEP_2)
	v_cvt_f32_i32_e32 v4, v4
	v_perm_b32 v13, v28, v161, 0x7060403
	v_pk_fma_f32 v[0:1], v[8:9], v[4:5], v[0:1]
	s_set_vgpr_msb 1                        ;  msbs: dst=0 src0=1 src1=0 src2=0
	v_perm_b32 v4, v11 /*v267*/, v151, 0x6040503
	v_perm_b32 v5, v7 /*v263*/, v152, 0x6040503
	s_set_vgpr_msb 64                       ;  msbs: dst=1 src0=0 src1=0 src2=0
	v_perm_b32 v7 /*v263*/, v169, v168, 0x6040503
	s_set_vgpr_msb 0                        ;  msbs: dst=0 src0=0 src1=0 src2=0
	v_pk_fma_f32 v[66:67], v[120:121], v[0:1], v[66:67]
	s_set_vgpr_msb 1                        ;  msbs: dst=0 src0=1 src1=0 src2=0
	v_perm_b32 v0, v10 /*v266*/, v171, 0x6040501
	s_set_vgpr_msb 4                        ;  msbs: dst=0 src0=0 src1=1 src2=0
	v_or_b32_e32 v1, v149, v12 /*v268*/
	s_set_vgpr_msb 0                        ;  msbs: dst=0 src0=0 src1=0 src2=0
	s_delay_alu instid0(VALU_DEP_1) | instskip(SKIP_3) | instid1(VALU_DEP_1)
	v_dot4_i32_iu8 v0, v1, v0, 0 neg_lo:[1,1,0]
	s_set_vgpr_msb 4                        ;  msbs: dst=0 src0=0 src1=1 src2=0
	v_perm_b32 v1, v170, v10 /*v266*/, 0x6040503
	s_set_vgpr_msb 0                        ;  msbs: dst=0 src0=0 src1=0 src2=0
	v_dot4_i32_iu8 v0, v4, v1, v0 neg_lo:[1,1,0]
	s_set_vgpr_msb 1                        ;  msbs: dst=0 src0=1 src1=0 src2=0
	v_perm_b32 v1, v6 /*v262*/, v173, 0x6040501
	s_set_vgpr_msb 4                        ;  msbs: dst=0 src0=0 src1=1 src2=0
	v_perm_b32 v4, v152, v8 /*v264*/, 0x6040501
	s_set_vgpr_msb 64                       ;  msbs: dst=1 src0=0 src1=0 src2=0
	v_perm_b32 v8 /*v264*/, v137, v136, 0x6040503
	s_set_vgpr_msb 0                        ;  msbs: dst=0 src0=0 src1=0 src2=0
	v_dot4_i32_iu8 v0, v229, v131, v0 neg_lo:[1,1,0]
	v_dot4_i32_iu8 v1, v4, v1, 0 neg_lo:[1,1,0]
	s_set_vgpr_msb 4                        ;  msbs: dst=0 src0=0 src1=1 src2=0
	v_perm_b32 v4, v172, v6 /*v262*/, 0x6040503
	s_set_vgpr_msb 64                       ;  msbs: dst=1 src0=0 src1=0 src2=0
	v_perm_b32 v6 /*v262*/, v155, v154, 0x6040503
	s_set_vgpr_msb 1                        ;  msbs: dst=0 src0=1 src1=0 src2=0
	v_dot4_i32_iu8 v11, v13 /*v269*/, v153, v0 neg_lo:[1,1,0]
	s_set_vgpr_msb 0                        ;  msbs: dst=0 src0=0 src1=0 src2=0
	v_perm_b32 v0, v153, v153, 0xc0c0302
	v_dot4_i32_iu8 v1, v5, v4, v1 neg_lo:[1,1,0]
	v_perm_b32 v4, v172, v172, 0xc0c0c03
	v_perm_b32 v5, v173, v173, 0x706000c
	s_set_vgpr_msb 1                        ;  msbs: dst=0 src0=1 src1=0 src2=0
	v_dot4_i32_iu8 v6, v16 /*v272*/, v0, v6 neg_lo:[1,1,0]
	s_set_vgpr_msb 0                        ;  msbs: dst=0 src0=0 src1=0 src2=0
	s_delay_alu instid0(VALU_DEP_2) | instskip(SKIP_2) | instid1(VALU_DEP_1)
	v_or_b32_e32 v237, v5, v4
	v_perm_b32 v4, v26, v144, 0x6050401
	v_perm_b32 v5, v160, v28, 0x6050401
	v_dot4_i32_iu8 v4, v5, v4, 0 neg_lo:[1,1,0]
	v_perm_b32 v5, v144, v27, 0x7060403
	s_set_vgpr_msb 4                        ;  msbs: dst=0 src0=0 src1=1 src2=0
	s_delay_alu instid0(VALU_DEP_2) | instskip(SKIP_1) | instid1(VALU_DEP_1)
	v_dot4_i32_iu8 v4, v147, v38 /*v294*/, v4 neg_lo:[1,1,0]
	s_set_vgpr_msb 0                        ;  msbs: dst=0 src0=0 src1=0 src2=0
	v_dot4_i32_iu8 v4, v13, v5, v4 neg_lo:[1,1,0]
	v_perm_b32 v5, v22, v34, 0x6050401
	v_perm_b32 v13, v154, v24, 0x6050401
	s_delay_alu instid0(VALU_DEP_3) | instskip(NEXT) | instid1(VALU_DEP_2)
	v_dot4_i32_iu8 v0, v29, v145, v4 neg_lo:[1,1,0]
	v_dot4_i32_iu8 v5, v13, v5, 0 neg_lo:[1,1,0]
	v_perm_b32 v13, v155, v22, 0x6040503
	s_delay_alu instid0(VALU_DEP_1) | instskip(SKIP_1) | instid1(VALU_DEP_1)
	v_dot4_i32_iu8 v5, v14, v13, v5 neg_lo:[1,1,0]
	v_perm_b32 v13, v34, v155, 0x7060403
	v_dot4_i32_iu8 v5, v141, v13, v5 neg_lo:[1,1,0]
	s_set_vgpr_msb 1                        ;  msbs: dst=0 src0=1 src1=0 src2=0
	ds_load_b32 v13, v18 /*v274*/
	s_set_vgpr_msb 0                        ;  msbs: dst=0 src0=0 src1=0 src2=0
	v_dot4_i32_iu8 v4, v25, v35, v5 neg_lo:[1,1,0]
	s_wait_dscnt 0x0
	v_ashrrev_i32_e32 v32, 24, v13
	s_set_vgpr_msb 4                        ;  msbs: dst=0 src0=0 src1=1 src2=0
	v_dot4_i32_iu8 v1, v237, v28 /*v284*/, v1 neg_lo:[1,1,0]
	v_bfe_i32 v141, v13, 0, 8
	v_bfe_i32 v143, v13, 8, 8
	;; [unrolled: 1-line block ×3, first 2 shown]
	s_set_vgpr_msb 0                        ;  msbs: dst=0 src0=0 src1=0 src2=0
	v_mul_lo_u32 v3, v11, v32
	s_set_vgpr_msb 1                        ;  msbs: dst=0 src0=1 src1=0 src2=0
	v_dot4_i32_iu8 v13, v9 /*v265*/, v150, v1 neg_lo:[1,1,0]
	s_set_vgpr_msb 0                        ;  msbs: dst=0 src0=0 src1=0 src2=0
	v_dot4_i32_iu8 v1, v35, v7, v12 neg_lo:[1,1,0]
	v_mul_lo_u32 v0, v0, v143
	s_delay_alu instid0(VALU_DEP_2) | instskip(NEXT) | instid1(VALU_DEP_2)
	v_mul_lo_u32 v1, v1, v141
	v_mad_u32 v0, v4, v141, v0
	s_delay_alu instid0(VALU_DEP_2) | instskip(SKIP_1) | instid1(VALU_DEP_3)
	v_mad_u32 v1, v2, v143, v1
	v_mul_lo_u32 v2, v10, v131
	v_cvt_f32_i32_e32 v0, v0
	s_delay_alu instid0(VALU_DEP_3) | instskip(NEXT) | instid1(VALU_DEP_3)
	v_cvt_f32_i32_e32 v1, v1
	v_mad_u32 v4, v6, v32, v2
	v_mad_u32 v2, v13, v131, v3
	s_delay_alu instid0(VALU_DEP_3) | instskip(NEXT) | instid1(VALU_DEP_3)
	v_pk_fma_f32 v[0:1], v[16:17], v[0:1], 0 op_sel_hi:[1,1,0]
	v_cvt_f32_i32_e32 v3, v4
	s_delay_alu instid0(VALU_DEP_3) | instskip(NEXT) | instid1(VALU_DEP_1)
	v_cvt_f32_i32_e32 v2, v2
	v_pk_fma_f32 v[0:1], v[8:9], v[2:3], v[0:1]
	s_delay_alu instid0(VALU_DEP_1) | instskip(SKIP_1) | instid1(VALU_DEP_1)
	v_pk_fma_f32 v[64:65], v[122:123], v[0:1], v[64:65]
	v_or_b32_e32 v0, s11, v208
	v_lshlrev_b32_e32 v12, 2, v0
	s_set_vgpr_msb 64                       ;  msbs: dst=1 src0=0 src1=0 src2=0
	v_lshrrev_b32_e32 v9 /*v265*/, 1, v0
	s_set_vgpr_msb 0                        ;  msbs: dst=0 src0=0 src1=0 src2=0
	ds_load_b128 v[4:7], v12 offset:33280
	ds_load_b128 v[0:3], v12 offset:33296
	;; [unrolled: 1-line block ×4, first 2 shown]
	s_wait_dscnt 0x3
	v_perm_b32 v22, v126, v5, 0x7060403
	s_wait_dscnt 0x2
	v_perm_b32 v21, v1, v138, 0x6040503
	;; [unrolled: 2-line block ×4, first 2 shown]
	v_perm_b32 v17, v13, v12, 0x6040503
	v_perm_b32 v18, v14, v13, 0x7060403
	;; [unrolled: 1-line block ×4, first 2 shown]
	s_set_vgpr_msb 4                        ;  msbs: dst=0 src0=0 src1=1 src2=0
	v_dot4_i32_iu8 v16, v16, v3 /*v259*/, 0 neg_lo:[1,1,0]
	s_set_vgpr_msb 0                        ;  msbs: dst=0 src0=0 src1=0 src2=0
	v_perm_b32 v14, v14, v14, 0xc0c0c01
	s_set_vgpr_msb 4                        ;  msbs: dst=0 src0=0 src1=1 src2=0
	s_delay_alu instid0(VALU_DEP_2) | instskip(SKIP_1) | instid1(VALU_DEP_1)
	v_dot4_i32_iu8 v16, v17, v4 /*v260*/, v16 neg_lo:[1,1,0]
	s_set_vgpr_msb 0x44                     ;  msbs: dst=1 src0=0 src1=1 src2=0
	v_dot4_i32_iu8 v10 /*v266*/, v18, v2 /*v258*/, v16 neg_lo:[1,1,0]
	s_set_vgpr_msb 0                        ;  msbs: dst=0 src0=0 src1=0 src2=0
	v_perm_b32 v16, v8, v179, 0x6040501
	s_set_vgpr_msb 0x50                     ;  msbs: dst=1 src0=0 src1=0 src2=1
	s_delay_alu instid0(VALU_DEP_2) | instskip(SKIP_1) | instid1(VALU_DEP_2)
	v_dot4_i32_iu8 v10 /*v266*/, v15, v135, v10 /*v266*/ neg_lo:[1,1,0]
	s_set_vgpr_msb 0                        ;  msbs: dst=0 src0=0 src1=0 src2=0
	v_dot4_i32_iu8 v16, v19, v16, 0 neg_lo:[1,1,0]
	v_perm_b32 v19, v178, v8, 0x6040503
	s_delay_alu instid0(VALU_DEP_1) | instskip(SKIP_3) | instid1(VALU_DEP_2)
	v_dot4_i32_iu8 v16, v20, v19, v16 neg_lo:[1,1,0]
	v_perm_b32 v19, v10, v9, 0x7060403
	v_perm_b32 v20, v138, v2, 0x6050401
	s_set_vgpr_msb 0x41                     ;  msbs: dst=1 src0=1 src1=0 src2=0
	v_dot4_i32_iu8 v11 /*v267*/, v5 /*v261*/, v19, v16 neg_lo:[1,1,0]
	s_set_vgpr_msb 0                        ;  msbs: dst=0 src0=0 src1=0 src2=0
	v_perm_b32 v16, v0, v124, 0x6050401
	s_set_vgpr_msb 0x50                     ;  msbs: dst=1 src0=0 src1=0 src2=1
	s_delay_alu instid0(VALU_DEP_2) | instskip(SKIP_1) | instid1(VALU_DEP_2)
	v_dot4_i32_iu8 v11 /*v267*/, v11, v130, v11 /*v267*/ neg_lo:[1,1,0]
	s_set_vgpr_msb 0                        ;  msbs: dst=0 src0=0 src1=0 src2=0
	v_dot4_i32_iu8 v16, v20, v16, 0 neg_lo:[1,1,0]
	v_perm_b32 v20, v139, v0, 0x6040503
	s_delay_alu instid0(VALU_DEP_1) | instskip(SKIP_3) | instid1(VALU_DEP_2)
	v_dot4_i32_iu8 v16, v21, v20, v16 neg_lo:[1,1,0]
	v_perm_b32 v20, v2, v1, 0x7060403
	v_perm_b32 v21, v136, v6, 0x6050401
	s_set_vgpr_msb 64                       ;  msbs: dst=1 src0=0 src1=0 src2=0
	v_dot4_i32_iu8 v12 /*v268*/, v20, v228, v16 neg_lo:[1,1,0]
	s_set_vgpr_msb 0                        ;  msbs: dst=0 src0=0 src1=0 src2=0
	v_perm_b32 v16, v4, v126, 0x6050401
	s_delay_alu instid0(VALU_DEP_1) | instskip(SKIP_2) | instid1(VALU_DEP_1)
	v_dot4_i32_iu8 v16, v21, v16, 0 neg_lo:[1,1,0]
	v_perm_b32 v21, v5, v4, 0x6040503
	s_set_vgpr_msb 1                        ;  msbs: dst=0 src0=1 src1=0 src2=0
	v_dot4_i32_iu8 v16, v8 /*v264*/, v21, v16 neg_lo:[1,1,0]
	s_set_vgpr_msb 64                       ;  msbs: dst=1 src0=0 src1=0 src2=0
	s_delay_alu instid0(VALU_DEP_1) | instskip(SKIP_3) | instid1(VALU_DEP_1)
	v_dot4_i32_iu8 v13 /*v269*/, v23, v22, v16 neg_lo:[1,1,0]
	s_set_vgpr_msb 0                        ;  msbs: dst=0 src0=0 src1=0 src2=0
	v_perm_b32 v16, v12, v33, 0x6040503
	v_or_b32_e32 v22, v252, v14
	v_dot4_i32_iu8 v16, v22, v16, 0 neg_lo:[1,1,0]
	v_perm_b32 v22, v13, v165, 0x6040503
	v_perm_b32 v13, v13, v151, 0x6040503
	s_delay_alu instid0(VALU_DEP_3) | instskip(SKIP_2) | instid1(VALU_DEP_2)
	v_dot4_i32_iu8 v16, v17, v253, v16 neg_lo:[1,1,0]
	v_perm_b32 v17, v148, v10, 0x6040501
	s_set_vgpr_msb 64                       ;  msbs: dst=1 src0=0 src1=0 src2=0
	v_dot4_i32_iu8 v14 /*v270*/, v254, v18, v16 neg_lo:[1,1,0]
	s_set_vgpr_msb 0                        ;  msbs: dst=0 src0=0 src1=0 src2=0
	v_perm_b32 v16, v8, v146, 0x6040501
	s_delay_alu instid0(VALU_DEP_1) | instskip(SKIP_1) | instid1(VALU_DEP_1)
	v_dot4_i32_iu8 v16, v17, v16, 0 neg_lo:[1,1,0]
	v_perm_b32 v17, v9, v8, 0x6040503
	v_dot4_i32_iu8 v16, v255, v17, v16 neg_lo:[1,1,0]
	v_perm_b32 v17, v142, v2, 0x6050401
	s_set_vgpr_msb 0x41                     ;  msbs: dst=1 src0=1 src1=0 src2=0
	s_delay_alu instid0(VALU_DEP_2) | instskip(SKIP_2) | instid1(VALU_DEP_1)
	v_dot4_i32_iu8 v15 /*v271*/, v0 /*v256*/, v19, v16 neg_lo:[1,1,0]
	s_set_vgpr_msb 0                        ;  msbs: dst=0 src0=0 src1=0 src2=0
	v_perm_b32 v16, v0, v128, 0x6050401
	v_dot4_i32_iu8 v16, v17, v16, 0 neg_lo:[1,1,0]
	v_perm_b32 v17, v1, v0, 0x6040503
	s_delay_alu instid0(VALU_DEP_1) | instskip(SKIP_1) | instid1(VALU_DEP_1)
	v_dot4_i32_iu8 v16, v240, v17, v16 neg_lo:[1,1,0]
	s_set_vgpr_msb 64                       ;  msbs: dst=1 src0=0 src1=0 src2=0
	v_dot4_i32_iu8 v16 /*v272*/, v241, v20, v16 neg_lo:[1,1,0]
	s_set_vgpr_msb 0                        ;  msbs: dst=0 src0=0 src1=0 src2=0
	v_perm_b32 v16, v4, v132, 0x6050401
	v_perm_b32 v20, v140, v6, 0x6050401
	s_delay_alu instid0(VALU_DEP_1) | instskip(SKIP_1) | instid1(VALU_DEP_2)
	v_dot4_i32_iu8 v16, v20, v16, 0 neg_lo:[1,1,0]
	v_perm_b32 v20, v6, v5, 0x7060403
	v_dot4_i32_iu8 v16, v244, v21, v16 neg_lo:[1,1,0]
	s_set_vgpr_msb 64                       ;  msbs: dst=1 src0=0 src1=0 src2=0
	s_delay_alu instid0(VALU_DEP_1) | instskip(SKIP_4) | instid1(VALU_DEP_2)
	v_dot4_i32_iu8 v17 /*v273*/, v245, v20, v16 neg_lo:[1,1,0]
	s_set_vgpr_msb 0                        ;  msbs: dst=0 src0=0 src1=0 src2=0
	v_perm_b32 v16, v12, v175, 0x6040501
	v_or_b32_e32 v20, v234, v14
	v_or_b32_e32 v14, v149, v14
	v_dot4_i32_iu8 v16, v20, v16, 0 neg_lo:[1,1,0]
	v_perm_b32 v20, v174, v12, 0x6040503
	s_delay_alu instid0(VALU_DEP_1)
	v_dot4_i32_iu8 v16, v22, v20, v16 neg_lo:[1,1,0]
	v_perm_b32 v20, v166, v10, 0x6040501
	v_perm_b32 v22, v9, v166, 0x6040503
	;; [unrolled: 1-line block ×4, first 2 shown]
	s_set_vgpr_msb 64                       ;  msbs: dst=1 src0=0 src1=0 src2=0
	v_dot4_i32_iu8 v18 /*v274*/, v236, v18, v16 neg_lo:[1,1,0]
	s_set_vgpr_msb 0                        ;  msbs: dst=0 src0=0 src1=0 src2=0
	v_perm_b32 v16, v8, v177, 0x6040501
	s_delay_alu instid0(VALU_DEP_1) | instskip(SKIP_1) | instid1(VALU_DEP_1)
	v_dot4_i32_iu8 v16, v20, v16, 0 neg_lo:[1,1,0]
	v_perm_b32 v20, v176, v8, 0x6040503
	v_dot4_i32_iu8 v16, v22, v20, v16 neg_lo:[1,1,0]
	v_perm_b32 v20, v162, v2, 0x6050401
	v_perm_b32 v22, v2, v163, 0x7060403
	s_set_vgpr_msb 0x41                     ;  msbs: dst=1 src0=1 src1=0 src2=0
	s_delay_alu instid0(VALU_DEP_3) | instskip(SKIP_3) | instid1(VALU_DEP_2)
	v_dot4_i32_iu8 v19 /*v275*/, v1 /*v257*/, v19, v16 neg_lo:[1,1,0]
	s_set_vgpr_msb 0                        ;  msbs: dst=0 src0=0 src1=0 src2=0
	v_perm_b32 v16, v0, v156, 0x6050401
	v_perm_b32 v0, v0, v144, 0x6050401
	v_dot4_i32_iu8 v16, v20, v16, 0 neg_lo:[1,1,0]
	v_perm_b32 v20, v156, v1, 0x7060403
	v_perm_b32 v1, v144, v1, 0x7060403
	s_delay_alu instid0(VALU_DEP_3) | instskip(SKIP_1) | instid1(VALU_DEP_1)
	v_dot4_i32_iu8 v16, v235, v17, v16 neg_lo:[1,1,0]
	s_set_vgpr_msb 64                       ;  msbs: dst=1 src0=0 src1=0 src2=0
	v_dot4_i32_iu8 v20 /*v276*/, v22, v20, v16 neg_lo:[1,1,0]
	s_set_vgpr_msb 0                        ;  msbs: dst=0 src0=0 src1=0 src2=0
	v_perm_b32 v16, v4, v158, 0x6050401
	v_perm_b32 v20, v168, v6, 0x6050401
	v_perm_b32 v22, v6, v169, 0x7060403
	s_delay_alu instid0(VALU_DEP_2) | instskip(SKIP_2) | instid1(VALU_DEP_2)
	v_dot4_i32_iu8 v16, v20, v16, 0 neg_lo:[1,1,0]
	v_perm_b32 v20, v158, v5, 0x7060403
	s_set_vgpr_msb 1                        ;  msbs: dst=0 src0=1 src1=0 src2=0
	v_dot4_i32_iu8 v16, v7 /*v263*/, v21, v16 neg_lo:[1,1,0]
	s_set_vgpr_msb 64                       ;  msbs: dst=1 src0=0 src1=0 src2=0
	s_delay_alu instid0(VALU_DEP_1) | instskip(SKIP_3) | instid1(VALU_DEP_2)
	v_dot4_i32_iu8 v21 /*v277*/, v22, v20, v16 neg_lo:[1,1,0]
	s_set_vgpr_msb 0                        ;  msbs: dst=0 src0=0 src1=0 src2=0
	v_perm_b32 v16, v12, v171, 0x6040501
	v_perm_b32 v12, v170, v12, 0x6040503
	v_dot4_i32_iu8 v14, v14, v16, 0 neg_lo:[1,1,0]
	s_delay_alu instid0(VALU_DEP_1) | instskip(NEXT) | instid1(VALU_DEP_1)
	v_dot4_i32_iu8 v12, v13, v12, v14 neg_lo:[1,1,0]
	v_dot4_i32_iu8 v14, v229, v18, v12 neg_lo:[1,1,0]
	v_perm_b32 v12, v8, v173, 0x6040501
	v_perm_b32 v8, v172, v8, 0x6040503
	s_delay_alu instid0(VALU_DEP_2) | instskip(NEXT) | instid1(VALU_DEP_1)
	v_dot4_i32_iu8 v10, v10, v12, 0 neg_lo:[1,1,0]
	v_dot4_i32_iu8 v8, v9, v8, v10 neg_lo:[1,1,0]
	s_delay_alu instid0(VALU_DEP_1) | instskip(SKIP_2) | instid1(VALU_DEP_3)
	v_dot4_i32_iu8 v10, v237, v19, v8 neg_lo:[1,1,0]
	v_perm_b32 v8, v160, v2, 0x6050401
	v_perm_b32 v2, v2, v161, 0x7060403
	v_dot4_i32_iu8 v10, v11, v150, v10 neg_lo:[1,1,0]
	s_delay_alu instid0(VALU_DEP_3) | instskip(NEXT) | instid1(VALU_DEP_1)
	v_dot4_i32_iu8 v0, v8, v0, 0 neg_lo:[1,1,0]
	v_dot4_i32_iu8 v0, v147, v17, v0 neg_lo:[1,1,0]
	s_delay_alu instid0(VALU_DEP_1) | instskip(SKIP_3) | instid1(VALU_DEP_4)
	v_dot4_i32_iu8 v2, v2, v1, v0 neg_lo:[1,1,0]
	v_perm_b32 v0, v4, v34, 0x6050401
	v_perm_b32 v1, v154, v6, 0x6050401
	;; [unrolled: 1-line block ×3, first 2 shown]
	v_dot4_i32_iu8 v2, v3, v145, v2 neg_lo:[1,1,0]
	s_delay_alu instid0(VALU_DEP_3) | instskip(SKIP_2) | instid1(VALU_DEP_2)
	v_dot4_i32_iu8 v0, v1, v0, 0 neg_lo:[1,1,0]
	v_perm_b32 v1, v34, v5, 0x7060403
	s_set_vgpr_msb 1                        ;  msbs: dst=0 src0=1 src1=0 src2=0
	v_dot4_i32_iu8 v0, v6 /*v262*/, v21, v0 neg_lo:[1,1,0]
	s_set_vgpr_msb 0                        ;  msbs: dst=0 src0=0 src1=0 src2=0
	s_delay_alu instid0(VALU_DEP_1) | instskip(SKIP_1) | instid1(VALU_DEP_2)
	v_dot4_i32_iu8 v6, v4, v1, v0 neg_lo:[1,1,0]
	v_or_b32_e32 v0, s11, v209
	v_dot4_i32_iu8 v6, v7, v35, v6 neg_lo:[1,1,0]
	s_delay_alu instid0(VALU_DEP_2)
	v_lshlrev_b32_e32 v1, 2, v0
	ds_load_b128 v[16:19], v1 offset:33280
	ds_load_b128 v[20:23], v1 offset:33296
	;; [unrolled: 1-line block ×4, first 2 shown]
	v_lshrrev_b32_e32 v4, 1, v0
	v_mul_lo_u32 v6, v6, v141
	s_delay_alu instid0(VALU_DEP_1)
	v_mad_u32 v2, v2, v143, v6
	v_mul_lo_u32 v6, v10, v131
	s_wait_dscnt 0x3
	s_set_vgpr_msb 64                       ;  msbs: dst=1 src0=0 src1=0 src2=0
	v_perm_b32 v26 /*v282*/, v17, v16, 0x6040503
	s_wait_dscnt 0x2
	v_perm_b32 v25 /*v281*/, v22, v21, 0x7060403
	s_wait_dscnt 0x1
	s_set_vgpr_msb 0                        ;  msbs: dst=0 src0=0 src1=0 src2=0
	v_perm_b32 v1, v134, v26, 0x6040501
	s_wait_dscnt 0x0
	v_perm_b32 v0, v28, v30, 0x6040501
	s_set_vgpr_msb 64                       ;  msbs: dst=1 src0=0 src1=0 src2=0
	v_perm_b32 v22 /*v278*/, v29, v28, 0x6040503
	v_perm_b32 v23 /*v279*/, v30, v29, 0x7060403
	s_set_vgpr_msb 0                        ;  msbs: dst=0 src0=0 src1=0 src2=0
	v_perm_b32 v5, v25, v134, 0x6040503
	s_set_vgpr_msb 64                       ;  msbs: dst=1 src0=0 src1=0 src2=0
	v_perm_b32 v24 /*v280*/, v26, v25, 0x7060403
	s_set_vgpr_msb 4                        ;  msbs: dst=0 src0=0 src1=1 src2=0
	v_dot4_i32_iu8 v0, v0, v3 /*v259*/, 0 neg_lo:[1,1,0]
	s_set_vgpr_msb 0                        ;  msbs: dst=0 src0=0 src1=0 src2=0
	v_perm_b32 v30, v30, v30, 0xc0c0c01
	s_set_vgpr_msb 5                        ;  msbs: dst=0 src0=1 src1=1 src2=0
	s_delay_alu instid0(VALU_DEP_2) | instskip(NEXT) | instid1(VALU_DEP_1)
	v_dot4_i32_iu8 v0, v22 /*v278*/, v4 /*v260*/, v0 neg_lo:[1,1,0]
	v_dot4_i32_iu8 v8, v23 /*v279*/, v2 /*v258*/, v0 neg_lo:[1,1,0]
	s_set_vgpr_msb 0                        ;  msbs: dst=0 src0=0 src1=0 src2=0
	v_perm_b32 v0, v24, v179, 0x6040501
	s_delay_alu instid0(VALU_DEP_1) | instskip(SKIP_1) | instid1(VALU_DEP_1)
	v_dot4_i32_iu8 v0, v1, v0, 0 neg_lo:[1,1,0]
	v_perm_b32 v1, v178, v24, 0x6040503
	v_dot4_i32_iu8 v0, v5, v1, v0 neg_lo:[1,1,0]
	v_perm_b32 v1, v138, v22, 0x6050401
	v_perm_b32 v5, v21, v138, 0x6040503
	s_set_vgpr_msb 5                        ;  msbs: dst=0 src0=1 src1=1 src2=0
	s_delay_alu instid0(VALU_DEP_3) | instskip(SKIP_3) | instid1(VALU_DEP_2)
	v_dot4_i32_iu8 v9, v5 /*v261*/, v24 /*v280*/, v0 neg_lo:[1,1,0]
	s_set_vgpr_msb 0                        ;  msbs: dst=0 src0=0 src1=0 src2=0
	v_perm_b32 v0, v20, v124, 0x6050401
	s_set_vgpr_msb 64                       ;  msbs: dst=1 src0=0 src1=0 src2=0
	v_dot4_i32_iu8 v27 /*v283*/, v27, v130, v9 neg_lo:[1,1,0]
	s_set_vgpr_msb 16                       ;  msbs: dst=0 src0=0 src1=0 src2=1
	s_delay_alu instid0(VALU_DEP_2) | instskip(SKIP_3) | instid1(VALU_DEP_2)
	v_dot4_i32_iu8 v0, v1, v0, 0 neg_lo:[1,1,0]
	v_perm_b32 v1, v139, v20, 0x6040503
	v_dot4_i32_iu8 v9, v7, v127, v13 /*v269*/ neg_lo:[1,1,0]
	s_set_vgpr_msb 0                        ;  msbs: dst=0 src0=0 src1=0 src2=0
	v_dot4_i32_iu8 v0, v5, v1, v0 neg_lo:[1,1,0]
	v_perm_b32 v1, v136, v18, 0x6050401
	v_perm_b32 v5, v18, v137, 0x7060403
	v_mul_lo_u32 v9, v9, v242
	s_set_vgpr_msb 1                        ;  msbs: dst=0 src0=1 src1=0 src2=0
	v_dot4_i32_iu8 v12, v25 /*v281*/, v228, v0 neg_lo:[1,1,0]
	s_set_vgpr_msb 0                        ;  msbs: dst=0 src0=0 src1=0 src2=0
	v_perm_b32 v0, v16, v126, 0x6050401
	s_delay_alu instid0(VALU_DEP_1) | instskip(SKIP_2) | instid1(VALU_DEP_2)
	v_dot4_i32_iu8 v0, v1, v0, 0 neg_lo:[1,1,0]
	v_perm_b32 v1, v126, v17, 0x7060403
	s_set_vgpr_msb 5                        ;  msbs: dst=0 src0=1 src1=1 src2=0
	v_dot4_i32_iu8 v0, v8 /*v264*/, v26 /*v282*/, v0 neg_lo:[1,1,0]
	s_set_vgpr_msb 0                        ;  msbs: dst=0 src0=0 src1=0 src2=0
	s_delay_alu instid0(VALU_DEP_1)
	v_dot4_i32_iu8 v13, v5, v1, v0 neg_lo:[1,1,0]
	s_set_vgpr_msb 1                        ;  msbs: dst=0 src0=1 src1=0 src2=0
	ds_load_b64 v[0:1], v9 /*v265*/ offset:43584
	s_set_vgpr_msb 0                        ;  msbs: dst=0 src0=0 src1=0 src2=0
	ds_load_b64 v[4:5], v4 offset:43584
	s_set_vgpr_msb 64                       ;  msbs: dst=1 src0=0 src1=0 src2=0
	v_dot4_i32_iu8 v9 /*v265*/, v31, v135, v8 neg_lo:[1,1,0]
	s_set_vgpr_msb 0                        ;  msbs: dst=0 src0=0 src1=0 src2=0
	v_dot4_i32_iu8 v8, v23, v125, v12 neg_lo:[1,1,0]
	s_set_vgpr_msb 16                       ;  msbs: dst=0 src0=0 src1=0 src2=1
	v_dot4_i32_iu8 v12, v3, v125, v12 /*v268*/ neg_lo:[1,1,0]
	s_set_vgpr_msb 0                        ;  msbs: dst=0 src0=0 src1=0 src2=0
	v_dot4_i32_iu8 v13, v19, v127, v13 neg_lo:[1,1,0]
	v_mul_lo_u32 v8, v8, v243
	s_delay_alu instid0(VALU_DEP_3) | instskip(NEXT) | instid1(VALU_DEP_2)
	v_mad_u32 v9, v12, v243, v9
	v_mad_u32 v8, v13, v242, v8
	s_wait_dscnt 0x0
	v_dual_mov_b32 v13, v0 :: v_dual_mov_b32 v12, v4
	s_set_vgpr_msb 1                        ;  msbs: dst=0 src0=1 src1=0 src2=0
	v_mul_lo_u32 v0, v11 /*v267*/, v238
	v_mul_lo_u32 v4, v9 /*v265*/, v239
	s_set_vgpr_msb 0                        ;  msbs: dst=0 src0=0 src1=0 src2=0
	v_cvt_f32_i32_e32 v9, v9
	s_set_vgpr_msb 64                       ;  msbs: dst=1 src0=0 src1=0 src2=0
	v_perm_b32 v9 /*v265*/, v21, v20, 0x6040503
	s_set_vgpr_msb 0                        ;  msbs: dst=0 src0=0 src1=0 src2=0
	v_cvt_f32_i32_e32 v8, v8
	s_set_vgpr_msb 1                        ;  msbs: dst=0 src0=1 src1=0 src2=0
	v_mad_u32 v0, v10 /*v266*/, v239, v0
	v_mad_u32 v4, v27 /*v283*/, v238, v4
	s_set_vgpr_msb 0                        ;  msbs: dst=0 src0=0 src1=0 src2=0
	v_pk_fma_f32 v[8:9], v[12:13], v[8:9], 0 op_sel_hi:[1,1,0]
	s_set_vgpr_msb 64                       ;  msbs: dst=1 src0=0 src1=0 src2=0
	s_delay_alu instid0(VALU_DEP_3) | instskip(NEXT) | instid1(VALU_DEP_3)
	v_cvt_f32_i32_e32 v11 /*v267*/, v0
	v_cvt_f32_i32_e32 v10 /*v266*/, v4
	s_set_vgpr_msb 4                        ;  msbs: dst=0 src0=0 src1=1 src2=0
	v_mov_b32_e32 v0, v5
	s_delay_alu instid0(VALU_DEP_1)
	v_pk_fma_f32 v[4:5], v[0:1], v[10:11] /*v[266:267]*/, v[8:9]
	s_set_vgpr_msb 0                        ;  msbs: dst=0 src0=0 src1=0 src2=0
	v_perm_b32 v8, v148, v26, 0x6040501
	v_perm_b32 v9, v142, v22, 0x6050401
	s_set_vgpr_msb 64                       ;  msbs: dst=1 src0=0 src1=0 src2=0
	v_perm_b32 v10 /*v266*/, v140, v18, 0x6050401
	s_set_vgpr_msb 0                        ;  msbs: dst=0 src0=0 src1=0 src2=0
	v_pk_fma_f32 v[62:63], v[116:117], v[4:5], v[62:63]
	v_perm_b32 v4, v28, v33, 0x6040503
	v_or_b32_e32 v5, v252, v30
	s_delay_alu instid0(VALU_DEP_1) | instskip(SKIP_2) | instid1(VALU_DEP_2)
	v_dot4_i32_iu8 v4, v5, v4, 0 neg_lo:[1,1,0]
	v_perm_b32 v5, v24, v146, 0x6040501
	s_set_vgpr_msb 1                        ;  msbs: dst=0 src0=1 src1=0 src2=0
	v_dot4_i32_iu8 v4, v22 /*v278*/, v253, v4 neg_lo:[1,1,0]
	s_set_vgpr_msb 0                        ;  msbs: dst=0 src0=0 src1=0 src2=0
	s_delay_alu instid0(VALU_DEP_2) | instskip(SKIP_4) | instid1(VALU_DEP_2)
	v_dot4_i32_iu8 v5, v8, v5, 0 neg_lo:[1,1,0]
	v_perm_b32 v8, v25, v24, 0x6040503
	s_set_vgpr_msb 4                        ;  msbs: dst=0 src0=0 src1=1 src2=0
	v_dot4_i32_iu8 v4, v254, v23 /*v279*/, v4 neg_lo:[1,1,0]
	s_set_vgpr_msb 0                        ;  msbs: dst=0 src0=0 src1=0 src2=0
	v_dot4_i32_iu8 v5, v255, v8, v5 neg_lo:[1,1,0]
	v_perm_b32 v8, v20, v128, 0x6050401
	s_set_vgpr_msb 5                        ;  msbs: dst=0 src0=1 src1=1 src2=0
	s_delay_alu instid0(VALU_DEP_2) | instskip(SKIP_1) | instid1(VALU_DEP_2)
	v_dot4_i32_iu8 v5, v0 /*v256*/, v24 /*v280*/, v5 neg_lo:[1,1,0]
	s_set_vgpr_msb 0                        ;  msbs: dst=0 src0=0 src1=0 src2=0
	v_dot4_i32_iu8 v8, v9, v8, 0 neg_lo:[1,1,0]
	v_perm_b32 v9, v16, v132, 0x6050401
	s_set_vgpr_msb 4                        ;  msbs: dst=0 src0=0 src1=1 src2=0
	s_delay_alu instid0(VALU_DEP_2) | instskip(SKIP_1) | instid1(VALU_DEP_2)
	v_dot4_i32_iu8 v8, v240, v9 /*v265*/, v8 neg_lo:[1,1,0]
	s_set_vgpr_msb 1                        ;  msbs: dst=0 src0=1 src1=0 src2=0
	v_dot4_i32_iu8 v9, v10 /*v266*/, v9, 0 neg_lo:[1,1,0]
	s_set_vgpr_msb 64                       ;  msbs: dst=1 src0=0 src1=0 src2=0
	v_perm_b32 v10 /*v266*/, v18, v17, 0x7060403
	s_set_vgpr_msb 4                        ;  msbs: dst=0 src0=0 src1=1 src2=0
	v_dot4_i32_iu8 v8, v241, v25 /*v281*/, v8 neg_lo:[1,1,0]
	v_dot4_i32_iu8 v9, v244, v26 /*v282*/, v9 neg_lo:[1,1,0]
	s_delay_alu instid0(VALU_DEP_1) | instskip(SKIP_3) | instid1(VALU_DEP_2)
	v_dot4_i32_iu8 v9, v245, v10 /*v266*/, v9 neg_lo:[1,1,0]
	s_set_vgpr_msb 64                       ;  msbs: dst=1 src0=0 src1=0 src2=0
	v_perm_b32 v10 /*v266*/, v31, v31, 0x3020001
	s_set_vgpr_msb 0                        ;  msbs: dst=0 src0=0 src1=0 src2=0
	v_dot4_i32_iu8 v9, v19, v133, v9 neg_lo:[1,1,0]
	s_set_vgpr_msb 0x41                     ;  msbs: dst=1 src0=1 src1=0 src2=0
	s_delay_alu instid0(VALU_DEP_2) | instskip(SKIP_3) | instid1(VALU_DEP_1)
	v_dot4_i32_iu8 v10 /*v266*/, v10 /*v266*/, v250, v4 neg_lo:[1,1,0]
	s_set_vgpr_msb 0                        ;  msbs: dst=0 src0=0 src1=0 src2=0
	v_perm_b32 v4, v11, v11, 0x3020001
	s_set_vgpr_msb 0x50                     ;  msbs: dst=1 src0=0 src1=0 src2=1
	v_dot4_i32_iu8 v11 /*v267*/, v4, v251, v15 /*v271*/ neg_lo:[1,1,0]
	s_set_vgpr_msb 0                        ;  msbs: dst=0 src0=0 src1=0 src2=0
	v_perm_b32 v4, v15, v15, 0x3020001
	s_set_vgpr_msb 0x50                     ;  msbs: dst=1 src0=0 src1=0 src2=1
	s_delay_alu instid0(VALU_DEP_1) | instskip(SKIP_3) | instid1(VALU_DEP_1)
	v_dot4_i32_iu8 v12 /*v268*/, v4, v250, v14 /*v270*/ neg_lo:[1,1,0]
	s_set_vgpr_msb 0                        ;  msbs: dst=0 src0=0 src1=0 src2=0
	v_perm_b32 v4, v27, v27, 0x3020001
	s_set_vgpr_msb 64                       ;  msbs: dst=1 src0=0 src1=0 src2=0
	v_dot4_i32_iu8 v13 /*v269*/, v4, v251, v5 neg_lo:[1,1,0]
	s_set_vgpr_msb 0                        ;  msbs: dst=0 src0=0 src1=0 src2=0
	v_dot4_i32_iu8 v4, v23, v129, v8 neg_lo:[1,1,0]
	s_set_vgpr_msb 16                       ;  msbs: dst=0 src0=0 src1=0 src2=1
	v_dot4_i32_iu8 v5, v7, v133, v17 /*v273*/ neg_lo:[1,1,0]
	v_dot4_i32_iu8 v8, v3, v129, v16 /*v272*/ neg_lo:[1,1,0]
	s_delay_alu instid0(VALU_DEP_3) | instskip(NEXT) | instid1(VALU_DEP_3)
	v_mul_lo_u32 v4, v4, v248
	v_mul_lo_u32 v5, v5, v249
	s_set_vgpr_msb 0                        ;  msbs: dst=0 src0=0 src1=0 src2=0
	s_delay_alu instid0(VALU_DEP_2) | instskip(NEXT) | instid1(VALU_DEP_2)
	v_mad_u32 v4, v9, v249, v4
	v_mad_u32 v5, v8, v248, v5
	s_set_vgpr_msb 1                        ;  msbs: dst=0 src0=1 src1=0 src2=0
	v_mul_lo_u32 v8, v11 /*v267*/, v246
	v_mul_lo_u32 v9, v10 /*v266*/, v247
	s_set_vgpr_msb 64                       ;  msbs: dst=1 src0=0 src1=0 src2=0
	v_perm_b32 v11 /*v267*/, v18, v169, 0x7060403
	s_set_vgpr_msb 0                        ;  msbs: dst=0 src0=0 src1=0 src2=0
	v_cvt_f32_i32_e32 v4, v4
	v_cvt_f32_i32_e32 v5, v5
	s_set_vgpr_msb 1                        ;  msbs: dst=0 src0=1 src1=0 src2=0
	v_mad_u32 v8, v12 /*v268*/, v247, v8
	s_set_vgpr_msb 0x41                     ;  msbs: dst=1 src0=1 src1=0 src2=0
	v_mad_u32 v10 /*v266*/, v13 /*v269*/, v246, v9
	s_set_vgpr_msb 0x50                     ;  msbs: dst=1 src0=0 src1=0 src2=1
	v_dot4_i32_iu8 v12 /*v268*/, v15, v167, v18 /*v274*/ neg_lo:[1,1,0]
	s_set_vgpr_msb 0                        ;  msbs: dst=0 src0=0 src1=0 src2=0
	v_pk_fma_f32 v[4:5], v[12:13], v[4:5], 0 op_sel_hi:[1,1,0]
	s_delay_alu instid0(VALU_DEP_4) | instskip(SKIP_1) | instid1(VALU_DEP_4)
	v_cvt_f32_i32_e32 v9, v8
	s_set_vgpr_msb 1                        ;  msbs: dst=0 src0=1 src1=0 src2=0
	v_cvt_f32_i32_e32 v8, v10 /*v266*/
	s_set_vgpr_msb 64                       ;  msbs: dst=1 src0=0 src1=0 src2=0
	v_perm_b32 v10 /*v266*/, v22, v163, 0x7060403
	s_set_vgpr_msb 0                        ;  msbs: dst=0 src0=0 src1=0 src2=0
	s_delay_alu instid0(VALU_DEP_2) | instskip(SKIP_2) | instid1(VALU_DEP_3)
	v_pk_fma_f32 v[4:5], v[0:1], v[8:9], v[4:5]
	v_perm_b32 v8, v29, v165, 0x6040503
	v_perm_b32 v9, v25, v166, 0x6040503
	v_pk_fma_f32 v[60:61], v[118:119], v[4:5], v[60:61]
	v_perm_b32 v4, v28, v175, 0x6040501
	v_or_b32_e32 v5, v234, v30
	s_delay_alu instid0(VALU_DEP_1) | instskip(SKIP_1) | instid1(VALU_DEP_1)
	v_dot4_i32_iu8 v4, v5, v4, 0 neg_lo:[1,1,0]
	v_perm_b32 v5, v174, v28, 0x6040503
	v_dot4_i32_iu8 v4, v8, v5, v4 neg_lo:[1,1,0]
	v_perm_b32 v5, v24, v177, 0x6040501
	v_perm_b32 v8, v166, v26, 0x6040501
	s_set_vgpr_msb 4                        ;  msbs: dst=0 src0=0 src1=1 src2=0
	s_delay_alu instid0(VALU_DEP_3) | instskip(SKIP_1) | instid1(VALU_DEP_2)
	v_dot4_i32_iu8 v4, v236, v23 /*v279*/, v4 neg_lo:[1,1,0]
	s_set_vgpr_msb 0                        ;  msbs: dst=0 src0=0 src1=0 src2=0
	v_dot4_i32_iu8 v5, v8, v5, 0 neg_lo:[1,1,0]
	v_perm_b32 v8, v176, v24, 0x6040503
	s_delay_alu instid0(VALU_DEP_1) | instskip(SKIP_3) | instid1(VALU_DEP_3)
	v_dot4_i32_iu8 v5, v9, v8, v5 neg_lo:[1,1,0]
	v_perm_b32 v8, v20, v156, 0x6050401
	v_perm_b32 v9, v162, v22, 0x6050401
	s_set_vgpr_msb 5                        ;  msbs: dst=0 src0=1 src1=1 src2=0
	v_dot4_i32_iu8 v5, v1 /*v257*/, v24 /*v280*/, v5 neg_lo:[1,1,0]
	s_set_vgpr_msb 0                        ;  msbs: dst=0 src0=0 src1=0 src2=0
	s_delay_alu instid0(VALU_DEP_2)
	v_dot4_i32_iu8 v8, v9, v8, 0 neg_lo:[1,1,0]
	v_perm_b32 v9, v156, v21, 0x7060403
	s_set_vgpr_msb 64                       ;  msbs: dst=1 src0=0 src1=0 src2=0
	v_dot4_i32_iu8 v13 /*v269*/, v27, v164, v5 neg_lo:[1,1,0]
	s_set_vgpr_msb 16                       ;  msbs: dst=0 src0=0 src1=0 src2=1
	v_dot4_i32_iu8 v5, v7, v159, v21 /*v277*/ neg_lo:[1,1,0]
	s_set_vgpr_msb 4                        ;  msbs: dst=0 src0=0 src1=1 src2=0
	v_dot4_i32_iu8 v8, v235, v9 /*v265*/, v8 neg_lo:[1,1,0]
	s_set_vgpr_msb 0                        ;  msbs: dst=0 src0=0 src1=0 src2=0
	s_delay_alu instid0(VALU_DEP_2) | instskip(SKIP_1) | instid1(VALU_DEP_2)
	v_mul_lo_u32 v5, v5, v232
	s_set_vgpr_msb 1                        ;  msbs: dst=0 src0=1 src1=0 src2=0
	v_dot4_i32_iu8 v8, v10 /*v266*/, v9, v8 neg_lo:[1,1,0]
	s_set_vgpr_msb 0                        ;  msbs: dst=0 src0=0 src1=0 src2=0
	v_perm_b32 v9, v16, v158, 0x6050401
	s_set_vgpr_msb 64                       ;  msbs: dst=1 src0=0 src1=0 src2=0
	v_perm_b32 v10 /*v266*/, v168, v18, 0x6050401
	s_set_vgpr_msb 1                        ;  msbs: dst=0 src0=1 src1=0 src2=0
	s_delay_alu instid0(VALU_DEP_1) | instskip(SKIP_3) | instid1(VALU_DEP_2)
	v_dot4_i32_iu8 v9, v10 /*v266*/, v9, 0 neg_lo:[1,1,0]
	s_set_vgpr_msb 64                       ;  msbs: dst=1 src0=0 src1=0 src2=0
	v_perm_b32 v10 /*v266*/, v158, v17, 0x7060403
	s_set_vgpr_msb 5                        ;  msbs: dst=0 src0=1 src1=1 src2=0
	v_dot4_i32_iu8 v9, v7 /*v263*/, v26 /*v282*/, v9 neg_lo:[1,1,0]
	s_delay_alu instid0(VALU_DEP_1)
	v_dot4_i32_iu8 v9, v11 /*v267*/, v10 /*v266*/, v9 neg_lo:[1,1,0]
	s_set_vgpr_msb 64                       ;  msbs: dst=1 src0=0 src1=0 src2=0
	v_dot4_i32_iu8 v10 /*v266*/, v31, v167, v4 neg_lo:[1,1,0]
	s_set_vgpr_msb 0                        ;  msbs: dst=0 src0=0 src1=0 src2=0
	v_dot4_i32_iu8 v4, v23, v157, v8 neg_lo:[1,1,0]
	s_set_vgpr_msb 0x50                     ;  msbs: dst=1 src0=0 src1=0 src2=1
	v_dot4_i32_iu8 v11 /*v267*/, v11, v164, v19 /*v275*/ neg_lo:[1,1,0]
	s_set_vgpr_msb 16                       ;  msbs: dst=0 src0=0 src1=0 src2=1
	v_dot4_i32_iu8 v8, v3, v157, v20 /*v276*/ neg_lo:[1,1,0]
	s_set_vgpr_msb 0                        ;  msbs: dst=0 src0=0 src1=0 src2=0
	v_dot4_i32_iu8 v9, v19, v159, v9 neg_lo:[1,1,0]
	v_dot4_i32_iu8 v11, v15, v153, v14 neg_lo:[1,1,0]
	v_mul_lo_u32 v4, v4, v233
	v_mad_u32 v5, v8, v233, v5
	s_set_vgpr_msb 1                        ;  msbs: dst=0 src0=1 src1=0 src2=0
	v_mul_lo_u32 v8, v11 /*v267*/, v231
	s_set_vgpr_msb 0                        ;  msbs: dst=0 src0=0 src1=0 src2=0
	s_delay_alu instid0(VALU_DEP_3) | instskip(SKIP_3) | instid1(VALU_DEP_4)
	v_mad_u32 v4, v9, v232, v4
	s_set_vgpr_msb 1                        ;  msbs: dst=0 src0=1 src1=0 src2=0
	v_mul_lo_u32 v9, v10 /*v266*/, v230
	s_set_vgpr_msb 0                        ;  msbs: dst=0 src0=0 src1=0 src2=0
	v_cvt_f32_i32_e32 v5, v5
	s_set_vgpr_msb 1                        ;  msbs: dst=0 src0=1 src1=0 src2=0
	s_delay_alu instid0(VALU_DEP_4) | instskip(SKIP_1) | instid1(VALU_DEP_4)
	v_mad_u32 v8, v12 /*v268*/, v230, v8
	s_set_vgpr_msb 0                        ;  msbs: dst=0 src0=0 src1=0 src2=0
	v_cvt_f32_i32_e32 v4, v4
	s_set_vgpr_msb 0x41                     ;  msbs: dst=1 src0=1 src1=0 src2=0
	s_delay_alu instid0(VALU_DEP_4) | instskip(SKIP_1) | instid1(VALU_DEP_3)
	v_mad_u32 v10 /*v266*/, v13 /*v269*/, v231, v9
	s_set_vgpr_msb 0                        ;  msbs: dst=0 src0=0 src1=0 src2=0
	v_cvt_f32_i32_e32 v9, v8
	v_pk_fma_f32 v[4:5], v[12:13], v[4:5], 0 op_sel_hi:[1,1,0]
	s_set_vgpr_msb 1                        ;  msbs: dst=0 src0=1 src1=0 src2=0
	s_delay_alu instid0(VALU_DEP_3) | instskip(SKIP_1) | instid1(VALU_DEP_1)
	v_cvt_f32_i32_e32 v8, v10 /*v266*/
	s_set_vgpr_msb 0                        ;  msbs: dst=0 src0=0 src1=0 src2=0
	v_pk_fma_f32 v[4:5], v[0:1], v[8:9], v[4:5]
	v_perm_b32 v8, v29, v151, 0x6040503
	v_perm_b32 v9, v25, v152, 0x6040503
	s_delay_alu instid0(VALU_DEP_3) | instskip(SKIP_2) | instid1(VALU_DEP_1)
	v_pk_fma_f32 v[58:59], v[120:121], v[4:5], v[58:59]
	v_perm_b32 v4, v28, v171, 0x6040501
	v_or_b32_e32 v5, v149, v30
	v_dot4_i32_iu8 v4, v5, v4, 0 neg_lo:[1,1,0]
	v_perm_b32 v5, v170, v28, 0x6040503
	s_delay_alu instid0(VALU_DEP_1) | instskip(SKIP_3) | instid1(VALU_DEP_3)
	v_dot4_i32_iu8 v4, v8, v5, v4 neg_lo:[1,1,0]
	v_perm_b32 v5, v24, v173, 0x6040501
	v_perm_b32 v8, v152, v26, 0x6040501
	s_set_vgpr_msb 4                        ;  msbs: dst=0 src0=0 src1=1 src2=0
	v_dot4_i32_iu8 v4, v229, v23 /*v279*/, v4 neg_lo:[1,1,0]
	s_set_vgpr_msb 0                        ;  msbs: dst=0 src0=0 src1=0 src2=0
	s_delay_alu instid0(VALU_DEP_2) | instskip(SKIP_1) | instid1(VALU_DEP_3)
	v_dot4_i32_iu8 v5, v8, v5, 0 neg_lo:[1,1,0]
	v_perm_b32 v8, v172, v24, 0x6040503
	v_dot4_i32_iu8 v4, v31, v153, v4 neg_lo:[1,1,0]
	s_delay_alu instid0(VALU_DEP_2)
	v_dot4_i32_iu8 v5, v9, v8, v5 neg_lo:[1,1,0]
	v_perm_b32 v8, v20, v144, 0x6050401
	v_perm_b32 v9, v160, v22, 0x6050401
	;; [unrolled: 1-line block ×3, first 2 shown]
	v_mul_lo_u32 v4, v4, v32
	s_set_vgpr_msb 4                        ;  msbs: dst=0 src0=0 src1=1 src2=0
	v_dot4_i32_iu8 v5, v237, v24 /*v280*/, v5 neg_lo:[1,1,0]
	s_set_vgpr_msb 0                        ;  msbs: dst=0 src0=0 src1=0 src2=0
	v_dot4_i32_iu8 v8, v9, v8, 0 neg_lo:[1,1,0]
	v_perm_b32 v9, v144, v21, 0x7060403
	s_delay_alu instid0(VALU_DEP_3) | instskip(SKIP_1) | instid1(VALU_DEP_3)
	v_dot4_i32_iu8 v5, v27, v150, v5 neg_lo:[1,1,0]
	s_set_vgpr_msb 4                        ;  msbs: dst=0 src0=0 src1=1 src2=0
	v_dot4_i32_iu8 v8, v147, v9 /*v265*/, v8 neg_lo:[1,1,0]
	s_set_vgpr_msb 0                        ;  msbs: dst=0 src0=0 src1=0 src2=0
	s_delay_alu instid0(VALU_DEP_2) | instskip(SKIP_1) | instid1(VALU_DEP_3)
	v_mad_u32 v4, v5, v131, v4
	v_mad_u32 v5, v11, v32, v6
	v_dot4_i32_iu8 v8, v20, v9, v8 neg_lo:[1,1,0]
	v_perm_b32 v9, v16, v34, 0x6050401
	v_perm_b32 v16, v154, v18, 0x6050401
	s_delay_alu instid0(VALU_DEP_3) | instskip(NEXT) | instid1(VALU_DEP_2)
	v_dot4_i32_iu8 v8, v23, v145, v8 neg_lo:[1,1,0]
	v_dot4_i32_iu8 v9, v16, v9, 0 neg_lo:[1,1,0]
	v_perm_b32 v16, v34, v17, 0x7060403
	v_perm_b32 v17, v18, v155, 0x7060403
	s_delay_alu instid0(VALU_DEP_4)
	v_mul_lo_u32 v7, v8, v143
	v_cvt_f32_i32_e32 v5, v5
	s_set_vgpr_msb 5                        ;  msbs: dst=0 src0=1 src1=1 src2=0
	v_dot4_i32_iu8 v9, v6 /*v262*/, v26 /*v282*/, v9 neg_lo:[1,1,0]
	s_set_vgpr_msb 0                        ;  msbs: dst=0 src0=0 src1=0 src2=0
	v_cvt_f32_i32_e32 v4, v4
	s_delay_alu instid0(VALU_DEP_2) | instskip(NEXT) | instid1(VALU_DEP_1)
	v_dot4_i32_iu8 v9, v17, v16, v9 neg_lo:[1,1,0]
	v_dot4_i32_iu8 v3, v19, v35, v9 neg_lo:[1,1,0]
	s_delay_alu instid0(VALU_DEP_1) | instskip(SKIP_1) | instid1(VALU_DEP_2)
	v_mad_u32 v7, v3, v141, v7
	v_cvt_f32_i32_e32 v3, v2
	v_cvt_f32_i32_e32 v2, v7
	s_delay_alu instid0(VALU_DEP_1) | instskip(NEXT) | instid1(VALU_DEP_1)
	v_pk_fma_f32 v[2:3], v[12:13], v[2:3], 0 op_sel_hi:[1,1,0]
	v_pk_fma_f32 v[0:1], v[0:1], v[4:5], v[2:3]
	s_delay_alu instid0(VALU_DEP_1) | instskip(SKIP_1) | instid1(VALU_DEP_1)
	v_pk_fma_f32 v[56:57], v[122:123], v[0:1], v[56:57]
	v_or_b32_e32 v0, s11, v210
	v_lshlrev_b32_e32 v12, 2, v0
	s_set_vgpr_msb 64                       ;  msbs: dst=1 src0=0 src1=0 src2=0
	v_lshrrev_b32_e32 v9 /*v265*/, 1, v0
	s_set_vgpr_msb 0                        ;  msbs: dst=0 src0=0 src1=0 src2=0
	ds_load_b128 v[4:7], v12 offset:33280
	ds_load_b128 v[0:3], v12 offset:33296
	;; [unrolled: 1-line block ×4, first 2 shown]
	s_wait_dscnt 0x3
	v_perm_b32 v22, v126, v5, 0x7060403
	s_wait_dscnt 0x2
	v_perm_b32 v21, v1, v138, 0x6040503
	;; [unrolled: 2-line block ×4, first 2 shown]
	v_perm_b32 v17, v13, v12, 0x6040503
	v_perm_b32 v18, v14, v13, 0x7060403
	;; [unrolled: 1-line block ×4, first 2 shown]
	s_set_vgpr_msb 4                        ;  msbs: dst=0 src0=0 src1=1 src2=0
	v_dot4_i32_iu8 v16, v16, v3 /*v259*/, 0 neg_lo:[1,1,0]
	s_set_vgpr_msb 0                        ;  msbs: dst=0 src0=0 src1=0 src2=0
	v_perm_b32 v14, v14, v14, 0xc0c0c01
	s_set_vgpr_msb 4                        ;  msbs: dst=0 src0=0 src1=1 src2=0
	s_delay_alu instid0(VALU_DEP_2) | instskip(SKIP_1) | instid1(VALU_DEP_1)
	v_dot4_i32_iu8 v16, v17, v4 /*v260*/, v16 neg_lo:[1,1,0]
	s_set_vgpr_msb 0x44                     ;  msbs: dst=1 src0=0 src1=1 src2=0
	v_dot4_i32_iu8 v10 /*v266*/, v18, v2 /*v258*/, v16 neg_lo:[1,1,0]
	s_set_vgpr_msb 0                        ;  msbs: dst=0 src0=0 src1=0 src2=0
	v_perm_b32 v16, v8, v179, 0x6040501
	s_set_vgpr_msb 0x50                     ;  msbs: dst=1 src0=0 src1=0 src2=1
	s_delay_alu instid0(VALU_DEP_2) | instskip(SKIP_1) | instid1(VALU_DEP_2)
	v_dot4_i32_iu8 v10 /*v266*/, v15, v135, v10 /*v266*/ neg_lo:[1,1,0]
	s_set_vgpr_msb 0                        ;  msbs: dst=0 src0=0 src1=0 src2=0
	v_dot4_i32_iu8 v16, v19, v16, 0 neg_lo:[1,1,0]
	v_perm_b32 v19, v178, v8, 0x6040503
	s_delay_alu instid0(VALU_DEP_1) | instskip(SKIP_3) | instid1(VALU_DEP_2)
	v_dot4_i32_iu8 v16, v20, v19, v16 neg_lo:[1,1,0]
	v_perm_b32 v19, v10, v9, 0x7060403
	v_perm_b32 v20, v138, v2, 0x6050401
	s_set_vgpr_msb 0x41                     ;  msbs: dst=1 src0=1 src1=0 src2=0
	v_dot4_i32_iu8 v11 /*v267*/, v5 /*v261*/, v19, v16 neg_lo:[1,1,0]
	s_set_vgpr_msb 0                        ;  msbs: dst=0 src0=0 src1=0 src2=0
	v_perm_b32 v16, v0, v124, 0x6050401
	s_set_vgpr_msb 0x50                     ;  msbs: dst=1 src0=0 src1=0 src2=1
	s_delay_alu instid0(VALU_DEP_2) | instskip(SKIP_1) | instid1(VALU_DEP_2)
	v_dot4_i32_iu8 v11 /*v267*/, v11, v130, v11 /*v267*/ neg_lo:[1,1,0]
	s_set_vgpr_msb 0                        ;  msbs: dst=0 src0=0 src1=0 src2=0
	v_dot4_i32_iu8 v16, v20, v16, 0 neg_lo:[1,1,0]
	v_perm_b32 v20, v139, v0, 0x6040503
	s_delay_alu instid0(VALU_DEP_1) | instskip(SKIP_3) | instid1(VALU_DEP_2)
	v_dot4_i32_iu8 v16, v21, v20, v16 neg_lo:[1,1,0]
	v_perm_b32 v20, v2, v1, 0x7060403
	v_perm_b32 v21, v136, v6, 0x6050401
	s_set_vgpr_msb 64                       ;  msbs: dst=1 src0=0 src1=0 src2=0
	v_dot4_i32_iu8 v12 /*v268*/, v20, v228, v16 neg_lo:[1,1,0]
	s_set_vgpr_msb 0                        ;  msbs: dst=0 src0=0 src1=0 src2=0
	v_perm_b32 v16, v4, v126, 0x6050401
	s_delay_alu instid0(VALU_DEP_1) | instskip(SKIP_2) | instid1(VALU_DEP_1)
	v_dot4_i32_iu8 v16, v21, v16, 0 neg_lo:[1,1,0]
	v_perm_b32 v21, v5, v4, 0x6040503
	s_set_vgpr_msb 1                        ;  msbs: dst=0 src0=1 src1=0 src2=0
	v_dot4_i32_iu8 v16, v8 /*v264*/, v21, v16 neg_lo:[1,1,0]
	s_set_vgpr_msb 64                       ;  msbs: dst=1 src0=0 src1=0 src2=0
	s_delay_alu instid0(VALU_DEP_1) | instskip(SKIP_3) | instid1(VALU_DEP_1)
	v_dot4_i32_iu8 v13 /*v269*/, v23, v22, v16 neg_lo:[1,1,0]
	s_set_vgpr_msb 0                        ;  msbs: dst=0 src0=0 src1=0 src2=0
	v_perm_b32 v16, v12, v33, 0x6040503
	v_or_b32_e32 v22, v252, v14
	v_dot4_i32_iu8 v16, v22, v16, 0 neg_lo:[1,1,0]
	v_perm_b32 v22, v13, v165, 0x6040503
	v_perm_b32 v13, v13, v151, 0x6040503
	s_delay_alu instid0(VALU_DEP_3) | instskip(SKIP_2) | instid1(VALU_DEP_2)
	v_dot4_i32_iu8 v16, v17, v253, v16 neg_lo:[1,1,0]
	v_perm_b32 v17, v148, v10, 0x6040501
	s_set_vgpr_msb 64                       ;  msbs: dst=1 src0=0 src1=0 src2=0
	v_dot4_i32_iu8 v14 /*v270*/, v254, v18, v16 neg_lo:[1,1,0]
	s_set_vgpr_msb 0                        ;  msbs: dst=0 src0=0 src1=0 src2=0
	v_perm_b32 v16, v8, v146, 0x6040501
	s_delay_alu instid0(VALU_DEP_1) | instskip(SKIP_1) | instid1(VALU_DEP_1)
	v_dot4_i32_iu8 v16, v17, v16, 0 neg_lo:[1,1,0]
	v_perm_b32 v17, v9, v8, 0x6040503
	v_dot4_i32_iu8 v16, v255, v17, v16 neg_lo:[1,1,0]
	v_perm_b32 v17, v142, v2, 0x6050401
	s_set_vgpr_msb 0x41                     ;  msbs: dst=1 src0=1 src1=0 src2=0
	s_delay_alu instid0(VALU_DEP_2) | instskip(SKIP_2) | instid1(VALU_DEP_1)
	v_dot4_i32_iu8 v15 /*v271*/, v0 /*v256*/, v19, v16 neg_lo:[1,1,0]
	s_set_vgpr_msb 0                        ;  msbs: dst=0 src0=0 src1=0 src2=0
	v_perm_b32 v16, v0, v128, 0x6050401
	v_dot4_i32_iu8 v16, v17, v16, 0 neg_lo:[1,1,0]
	v_perm_b32 v17, v1, v0, 0x6040503
	s_delay_alu instid0(VALU_DEP_1) | instskip(SKIP_1) | instid1(VALU_DEP_1)
	v_dot4_i32_iu8 v16, v240, v17, v16 neg_lo:[1,1,0]
	s_set_vgpr_msb 64                       ;  msbs: dst=1 src0=0 src1=0 src2=0
	v_dot4_i32_iu8 v16 /*v272*/, v241, v20, v16 neg_lo:[1,1,0]
	s_set_vgpr_msb 0                        ;  msbs: dst=0 src0=0 src1=0 src2=0
	v_perm_b32 v16, v4, v132, 0x6050401
	v_perm_b32 v20, v140, v6, 0x6050401
	s_delay_alu instid0(VALU_DEP_1) | instskip(SKIP_1) | instid1(VALU_DEP_2)
	v_dot4_i32_iu8 v16, v20, v16, 0 neg_lo:[1,1,0]
	v_perm_b32 v20, v6, v5, 0x7060403
	v_dot4_i32_iu8 v16, v244, v21, v16 neg_lo:[1,1,0]
	s_set_vgpr_msb 64                       ;  msbs: dst=1 src0=0 src1=0 src2=0
	s_delay_alu instid0(VALU_DEP_1) | instskip(SKIP_4) | instid1(VALU_DEP_2)
	v_dot4_i32_iu8 v17 /*v273*/, v245, v20, v16 neg_lo:[1,1,0]
	s_set_vgpr_msb 0                        ;  msbs: dst=0 src0=0 src1=0 src2=0
	v_perm_b32 v16, v12, v175, 0x6040501
	v_or_b32_e32 v20, v234, v14
	v_or_b32_e32 v14, v149, v14
	v_dot4_i32_iu8 v16, v20, v16, 0 neg_lo:[1,1,0]
	v_perm_b32 v20, v174, v12, 0x6040503
	s_delay_alu instid0(VALU_DEP_1)
	v_dot4_i32_iu8 v16, v22, v20, v16 neg_lo:[1,1,0]
	v_perm_b32 v20, v166, v10, 0x6040501
	v_perm_b32 v22, v9, v166, 0x6040503
	;; [unrolled: 1-line block ×4, first 2 shown]
	s_set_vgpr_msb 64                       ;  msbs: dst=1 src0=0 src1=0 src2=0
	v_dot4_i32_iu8 v18 /*v274*/, v236, v18, v16 neg_lo:[1,1,0]
	s_set_vgpr_msb 0                        ;  msbs: dst=0 src0=0 src1=0 src2=0
	v_perm_b32 v16, v8, v177, 0x6040501
	s_delay_alu instid0(VALU_DEP_1) | instskip(SKIP_1) | instid1(VALU_DEP_1)
	v_dot4_i32_iu8 v16, v20, v16, 0 neg_lo:[1,1,0]
	v_perm_b32 v20, v176, v8, 0x6040503
	v_dot4_i32_iu8 v16, v22, v20, v16 neg_lo:[1,1,0]
	v_perm_b32 v20, v162, v2, 0x6050401
	v_perm_b32 v22, v2, v163, 0x7060403
	s_set_vgpr_msb 0x41                     ;  msbs: dst=1 src0=1 src1=0 src2=0
	s_delay_alu instid0(VALU_DEP_3) | instskip(SKIP_3) | instid1(VALU_DEP_2)
	v_dot4_i32_iu8 v19 /*v275*/, v1 /*v257*/, v19, v16 neg_lo:[1,1,0]
	s_set_vgpr_msb 0                        ;  msbs: dst=0 src0=0 src1=0 src2=0
	v_perm_b32 v16, v0, v156, 0x6050401
	v_perm_b32 v0, v0, v144, 0x6050401
	v_dot4_i32_iu8 v16, v20, v16, 0 neg_lo:[1,1,0]
	v_perm_b32 v20, v156, v1, 0x7060403
	v_perm_b32 v1, v144, v1, 0x7060403
	s_delay_alu instid0(VALU_DEP_3) | instskip(SKIP_1) | instid1(VALU_DEP_1)
	v_dot4_i32_iu8 v16, v235, v17, v16 neg_lo:[1,1,0]
	s_set_vgpr_msb 64                       ;  msbs: dst=1 src0=0 src1=0 src2=0
	v_dot4_i32_iu8 v20 /*v276*/, v22, v20, v16 neg_lo:[1,1,0]
	s_set_vgpr_msb 0                        ;  msbs: dst=0 src0=0 src1=0 src2=0
	v_perm_b32 v16, v4, v158, 0x6050401
	v_perm_b32 v20, v168, v6, 0x6050401
	;; [unrolled: 1-line block ×3, first 2 shown]
	s_delay_alu instid0(VALU_DEP_2) | instskip(SKIP_2) | instid1(VALU_DEP_2)
	v_dot4_i32_iu8 v16, v20, v16, 0 neg_lo:[1,1,0]
	v_perm_b32 v20, v158, v5, 0x7060403
	s_set_vgpr_msb 1                        ;  msbs: dst=0 src0=1 src1=0 src2=0
	v_dot4_i32_iu8 v16, v7 /*v263*/, v21, v16 neg_lo:[1,1,0]
	s_set_vgpr_msb 64                       ;  msbs: dst=1 src0=0 src1=0 src2=0
	s_delay_alu instid0(VALU_DEP_1) | instskip(SKIP_3) | instid1(VALU_DEP_2)
	v_dot4_i32_iu8 v21 /*v277*/, v22, v20, v16 neg_lo:[1,1,0]
	s_set_vgpr_msb 0                        ;  msbs: dst=0 src0=0 src1=0 src2=0
	v_perm_b32 v16, v12, v171, 0x6040501
	v_perm_b32 v12, v170, v12, 0x6040503
	v_dot4_i32_iu8 v14, v14, v16, 0 neg_lo:[1,1,0]
	s_delay_alu instid0(VALU_DEP_1) | instskip(NEXT) | instid1(VALU_DEP_1)
	v_dot4_i32_iu8 v12, v13, v12, v14 neg_lo:[1,1,0]
	v_dot4_i32_iu8 v14, v229, v18, v12 neg_lo:[1,1,0]
	v_perm_b32 v12, v8, v173, 0x6040501
	v_perm_b32 v8, v172, v8, 0x6040503
	s_delay_alu instid0(VALU_DEP_2) | instskip(NEXT) | instid1(VALU_DEP_1)
	v_dot4_i32_iu8 v10, v10, v12, 0 neg_lo:[1,1,0]
	v_dot4_i32_iu8 v8, v9, v8, v10 neg_lo:[1,1,0]
	s_delay_alu instid0(VALU_DEP_1) | instskip(SKIP_2) | instid1(VALU_DEP_3)
	v_dot4_i32_iu8 v10, v237, v19, v8 neg_lo:[1,1,0]
	v_perm_b32 v8, v160, v2, 0x6050401
	v_perm_b32 v2, v2, v161, 0x7060403
	v_dot4_i32_iu8 v10, v11, v150, v10 neg_lo:[1,1,0]
	s_delay_alu instid0(VALU_DEP_3) | instskip(NEXT) | instid1(VALU_DEP_1)
	v_dot4_i32_iu8 v0, v8, v0, 0 neg_lo:[1,1,0]
	v_dot4_i32_iu8 v0, v147, v17, v0 neg_lo:[1,1,0]
	s_delay_alu instid0(VALU_DEP_1) | instskip(SKIP_3) | instid1(VALU_DEP_4)
	v_dot4_i32_iu8 v2, v2, v1, v0 neg_lo:[1,1,0]
	v_perm_b32 v0, v4, v34, 0x6050401
	v_perm_b32 v1, v154, v6, 0x6050401
	;; [unrolled: 1-line block ×3, first 2 shown]
	v_dot4_i32_iu8 v2, v3, v145, v2 neg_lo:[1,1,0]
	s_delay_alu instid0(VALU_DEP_3) | instskip(SKIP_2) | instid1(VALU_DEP_2)
	v_dot4_i32_iu8 v0, v1, v0, 0 neg_lo:[1,1,0]
	v_perm_b32 v1, v34, v5, 0x7060403
	s_set_vgpr_msb 1                        ;  msbs: dst=0 src0=1 src1=0 src2=0
	v_dot4_i32_iu8 v0, v6 /*v262*/, v21, v0 neg_lo:[1,1,0]
	s_set_vgpr_msb 0                        ;  msbs: dst=0 src0=0 src1=0 src2=0
	s_delay_alu instid0(VALU_DEP_1) | instskip(SKIP_1) | instid1(VALU_DEP_2)
	v_dot4_i32_iu8 v6, v4, v1, v0 neg_lo:[1,1,0]
	v_or_b32_e32 v0, s11, v211
	v_dot4_i32_iu8 v6, v7, v35, v6 neg_lo:[1,1,0]
	s_delay_alu instid0(VALU_DEP_2)
	v_lshlrev_b32_e32 v1, 2, v0
	ds_load_b128 v[16:19], v1 offset:33280
	ds_load_b128 v[20:23], v1 offset:33296
	;; [unrolled: 1-line block ×4, first 2 shown]
	v_lshrrev_b32_e32 v4, 1, v0
	v_mul_lo_u32 v6, v6, v141
	s_delay_alu instid0(VALU_DEP_1)
	v_mad_u32 v2, v2, v143, v6
	v_mul_lo_u32 v6, v10, v131
	s_wait_dscnt 0x3
	s_set_vgpr_msb 64                       ;  msbs: dst=1 src0=0 src1=0 src2=0
	v_perm_b32 v26 /*v282*/, v17, v16, 0x6040503
	s_wait_dscnt 0x2
	v_perm_b32 v25 /*v281*/, v22, v21, 0x7060403
	s_wait_dscnt 0x1
	s_set_vgpr_msb 0                        ;  msbs: dst=0 src0=0 src1=0 src2=0
	v_perm_b32 v1, v134, v26, 0x6040501
	s_wait_dscnt 0x0
	v_perm_b32 v0, v28, v30, 0x6040501
	s_set_vgpr_msb 64                       ;  msbs: dst=1 src0=0 src1=0 src2=0
	v_perm_b32 v22 /*v278*/, v29, v28, 0x6040503
	v_perm_b32 v23 /*v279*/, v30, v29, 0x7060403
	s_set_vgpr_msb 0                        ;  msbs: dst=0 src0=0 src1=0 src2=0
	v_perm_b32 v5, v25, v134, 0x6040503
	s_set_vgpr_msb 64                       ;  msbs: dst=1 src0=0 src1=0 src2=0
	v_perm_b32 v24 /*v280*/, v26, v25, 0x7060403
	s_set_vgpr_msb 4                        ;  msbs: dst=0 src0=0 src1=1 src2=0
	v_dot4_i32_iu8 v0, v0, v3 /*v259*/, 0 neg_lo:[1,1,0]
	s_set_vgpr_msb 0                        ;  msbs: dst=0 src0=0 src1=0 src2=0
	v_perm_b32 v30, v30, v30, 0xc0c0c01
	s_set_vgpr_msb 5                        ;  msbs: dst=0 src0=1 src1=1 src2=0
	s_delay_alu instid0(VALU_DEP_2) | instskip(NEXT) | instid1(VALU_DEP_1)
	v_dot4_i32_iu8 v0, v22 /*v278*/, v4 /*v260*/, v0 neg_lo:[1,1,0]
	v_dot4_i32_iu8 v8, v23 /*v279*/, v2 /*v258*/, v0 neg_lo:[1,1,0]
	s_set_vgpr_msb 0                        ;  msbs: dst=0 src0=0 src1=0 src2=0
	v_perm_b32 v0, v24, v179, 0x6040501
	s_delay_alu instid0(VALU_DEP_1) | instskip(SKIP_1) | instid1(VALU_DEP_1)
	v_dot4_i32_iu8 v0, v1, v0, 0 neg_lo:[1,1,0]
	v_perm_b32 v1, v178, v24, 0x6040503
	v_dot4_i32_iu8 v0, v5, v1, v0 neg_lo:[1,1,0]
	v_perm_b32 v1, v138, v22, 0x6050401
	v_perm_b32 v5, v21, v138, 0x6040503
	s_set_vgpr_msb 5                        ;  msbs: dst=0 src0=1 src1=1 src2=0
	s_delay_alu instid0(VALU_DEP_3) | instskip(SKIP_3) | instid1(VALU_DEP_2)
	v_dot4_i32_iu8 v9, v5 /*v261*/, v24 /*v280*/, v0 neg_lo:[1,1,0]
	s_set_vgpr_msb 0                        ;  msbs: dst=0 src0=0 src1=0 src2=0
	v_perm_b32 v0, v20, v124, 0x6050401
	s_set_vgpr_msb 64                       ;  msbs: dst=1 src0=0 src1=0 src2=0
	v_dot4_i32_iu8 v27 /*v283*/, v27, v130, v9 neg_lo:[1,1,0]
	s_set_vgpr_msb 16                       ;  msbs: dst=0 src0=0 src1=0 src2=1
	s_delay_alu instid0(VALU_DEP_2) | instskip(SKIP_3) | instid1(VALU_DEP_2)
	v_dot4_i32_iu8 v0, v1, v0, 0 neg_lo:[1,1,0]
	v_perm_b32 v1, v139, v20, 0x6040503
	v_dot4_i32_iu8 v9, v7, v127, v13 /*v269*/ neg_lo:[1,1,0]
	s_set_vgpr_msb 0                        ;  msbs: dst=0 src0=0 src1=0 src2=0
	v_dot4_i32_iu8 v0, v5, v1, v0 neg_lo:[1,1,0]
	v_perm_b32 v1, v136, v18, 0x6050401
	v_perm_b32 v5, v18, v137, 0x7060403
	v_mul_lo_u32 v9, v9, v242
	s_set_vgpr_msb 1                        ;  msbs: dst=0 src0=1 src1=0 src2=0
	v_dot4_i32_iu8 v12, v25 /*v281*/, v228, v0 neg_lo:[1,1,0]
	s_set_vgpr_msb 0                        ;  msbs: dst=0 src0=0 src1=0 src2=0
	v_perm_b32 v0, v16, v126, 0x6050401
	s_delay_alu instid0(VALU_DEP_1) | instskip(SKIP_2) | instid1(VALU_DEP_2)
	v_dot4_i32_iu8 v0, v1, v0, 0 neg_lo:[1,1,0]
	v_perm_b32 v1, v126, v17, 0x7060403
	s_set_vgpr_msb 5                        ;  msbs: dst=0 src0=1 src1=1 src2=0
	v_dot4_i32_iu8 v0, v8 /*v264*/, v26 /*v282*/, v0 neg_lo:[1,1,0]
	s_set_vgpr_msb 0                        ;  msbs: dst=0 src0=0 src1=0 src2=0
	s_delay_alu instid0(VALU_DEP_1)
	v_dot4_i32_iu8 v13, v5, v1, v0 neg_lo:[1,1,0]
	s_set_vgpr_msb 1                        ;  msbs: dst=0 src0=1 src1=0 src2=0
	ds_load_b64 v[0:1], v9 /*v265*/ offset:43584
	s_set_vgpr_msb 0                        ;  msbs: dst=0 src0=0 src1=0 src2=0
	ds_load_b64 v[4:5], v4 offset:43584
	s_set_vgpr_msb 64                       ;  msbs: dst=1 src0=0 src1=0 src2=0
	v_dot4_i32_iu8 v9 /*v265*/, v31, v135, v8 neg_lo:[1,1,0]
	s_set_vgpr_msb 0                        ;  msbs: dst=0 src0=0 src1=0 src2=0
	v_dot4_i32_iu8 v8, v23, v125, v12 neg_lo:[1,1,0]
	s_set_vgpr_msb 16                       ;  msbs: dst=0 src0=0 src1=0 src2=1
	v_dot4_i32_iu8 v12, v3, v125, v12 /*v268*/ neg_lo:[1,1,0]
	s_set_vgpr_msb 0                        ;  msbs: dst=0 src0=0 src1=0 src2=0
	v_dot4_i32_iu8 v13, v19, v127, v13 neg_lo:[1,1,0]
	v_mul_lo_u32 v8, v8, v243
	s_delay_alu instid0(VALU_DEP_3) | instskip(NEXT) | instid1(VALU_DEP_2)
	v_mad_u32 v9, v12, v243, v9
	v_mad_u32 v8, v13, v242, v8
	s_wait_dscnt 0x0
	v_dual_mov_b32 v13, v0 :: v_dual_mov_b32 v12, v4
	s_set_vgpr_msb 1                        ;  msbs: dst=0 src0=1 src1=0 src2=0
	v_mul_lo_u32 v0, v11 /*v267*/, v238
	v_mul_lo_u32 v4, v9 /*v265*/, v239
	s_set_vgpr_msb 0                        ;  msbs: dst=0 src0=0 src1=0 src2=0
	v_cvt_f32_i32_e32 v9, v9
	s_set_vgpr_msb 64                       ;  msbs: dst=1 src0=0 src1=0 src2=0
	v_perm_b32 v9 /*v265*/, v21, v20, 0x6040503
	s_set_vgpr_msb 0                        ;  msbs: dst=0 src0=0 src1=0 src2=0
	v_cvt_f32_i32_e32 v8, v8
	s_set_vgpr_msb 1                        ;  msbs: dst=0 src0=1 src1=0 src2=0
	v_mad_u32 v0, v10 /*v266*/, v239, v0
	v_mad_u32 v4, v27 /*v283*/, v238, v4
	s_set_vgpr_msb 0                        ;  msbs: dst=0 src0=0 src1=0 src2=0
	v_pk_fma_f32 v[8:9], v[12:13], v[8:9], 0 op_sel_hi:[1,1,0]
	s_set_vgpr_msb 64                       ;  msbs: dst=1 src0=0 src1=0 src2=0
	s_delay_alu instid0(VALU_DEP_3) | instskip(NEXT) | instid1(VALU_DEP_3)
	v_cvt_f32_i32_e32 v11 /*v267*/, v0
	v_cvt_f32_i32_e32 v10 /*v266*/, v4
	s_set_vgpr_msb 4                        ;  msbs: dst=0 src0=0 src1=1 src2=0
	v_mov_b32_e32 v0, v5
	s_delay_alu instid0(VALU_DEP_1)
	v_pk_fma_f32 v[4:5], v[0:1], v[10:11] /*v[266:267]*/, v[8:9]
	s_set_vgpr_msb 0                        ;  msbs: dst=0 src0=0 src1=0 src2=0
	v_perm_b32 v8, v148, v26, 0x6040501
	v_perm_b32 v9, v142, v22, 0x6050401
	s_set_vgpr_msb 64                       ;  msbs: dst=1 src0=0 src1=0 src2=0
	v_perm_b32 v10 /*v266*/, v140, v18, 0x6050401
	s_set_vgpr_msb 0                        ;  msbs: dst=0 src0=0 src1=0 src2=0
	v_pk_fma_f32 v[50:51], v[116:117], v[4:5], v[50:51]
	v_perm_b32 v4, v28, v33, 0x6040503
	v_or_b32_e32 v5, v252, v30
	s_delay_alu instid0(VALU_DEP_1) | instskip(SKIP_2) | instid1(VALU_DEP_2)
	v_dot4_i32_iu8 v4, v5, v4, 0 neg_lo:[1,1,0]
	v_perm_b32 v5, v24, v146, 0x6040501
	s_set_vgpr_msb 1                        ;  msbs: dst=0 src0=1 src1=0 src2=0
	v_dot4_i32_iu8 v4, v22 /*v278*/, v253, v4 neg_lo:[1,1,0]
	s_set_vgpr_msb 0                        ;  msbs: dst=0 src0=0 src1=0 src2=0
	s_delay_alu instid0(VALU_DEP_2) | instskip(SKIP_4) | instid1(VALU_DEP_2)
	v_dot4_i32_iu8 v5, v8, v5, 0 neg_lo:[1,1,0]
	v_perm_b32 v8, v25, v24, 0x6040503
	s_set_vgpr_msb 4                        ;  msbs: dst=0 src0=0 src1=1 src2=0
	v_dot4_i32_iu8 v4, v254, v23 /*v279*/, v4 neg_lo:[1,1,0]
	s_set_vgpr_msb 0                        ;  msbs: dst=0 src0=0 src1=0 src2=0
	v_dot4_i32_iu8 v5, v255, v8, v5 neg_lo:[1,1,0]
	v_perm_b32 v8, v20, v128, 0x6050401
	s_set_vgpr_msb 5                        ;  msbs: dst=0 src0=1 src1=1 src2=0
	s_delay_alu instid0(VALU_DEP_2) | instskip(SKIP_1) | instid1(VALU_DEP_2)
	v_dot4_i32_iu8 v5, v0 /*v256*/, v24 /*v280*/, v5 neg_lo:[1,1,0]
	s_set_vgpr_msb 0                        ;  msbs: dst=0 src0=0 src1=0 src2=0
	v_dot4_i32_iu8 v8, v9, v8, 0 neg_lo:[1,1,0]
	v_perm_b32 v9, v16, v132, 0x6050401
	s_set_vgpr_msb 4                        ;  msbs: dst=0 src0=0 src1=1 src2=0
	s_delay_alu instid0(VALU_DEP_2) | instskip(SKIP_1) | instid1(VALU_DEP_2)
	v_dot4_i32_iu8 v8, v240, v9 /*v265*/, v8 neg_lo:[1,1,0]
	s_set_vgpr_msb 1                        ;  msbs: dst=0 src0=1 src1=0 src2=0
	v_dot4_i32_iu8 v9, v10 /*v266*/, v9, 0 neg_lo:[1,1,0]
	s_set_vgpr_msb 64                       ;  msbs: dst=1 src0=0 src1=0 src2=0
	v_perm_b32 v10 /*v266*/, v18, v17, 0x7060403
	s_set_vgpr_msb 4                        ;  msbs: dst=0 src0=0 src1=1 src2=0
	v_dot4_i32_iu8 v8, v241, v25 /*v281*/, v8 neg_lo:[1,1,0]
	v_dot4_i32_iu8 v9, v244, v26 /*v282*/, v9 neg_lo:[1,1,0]
	s_delay_alu instid0(VALU_DEP_1) | instskip(SKIP_3) | instid1(VALU_DEP_2)
	v_dot4_i32_iu8 v9, v245, v10 /*v266*/, v9 neg_lo:[1,1,0]
	s_set_vgpr_msb 64                       ;  msbs: dst=1 src0=0 src1=0 src2=0
	v_perm_b32 v10 /*v266*/, v31, v31, 0x3020001
	s_set_vgpr_msb 0                        ;  msbs: dst=0 src0=0 src1=0 src2=0
	v_dot4_i32_iu8 v9, v19, v133, v9 neg_lo:[1,1,0]
	s_set_vgpr_msb 0x41                     ;  msbs: dst=1 src0=1 src1=0 src2=0
	s_delay_alu instid0(VALU_DEP_2) | instskip(SKIP_3) | instid1(VALU_DEP_1)
	v_dot4_i32_iu8 v10 /*v266*/, v10 /*v266*/, v250, v4 neg_lo:[1,1,0]
	s_set_vgpr_msb 0                        ;  msbs: dst=0 src0=0 src1=0 src2=0
	v_perm_b32 v4, v11, v11, 0x3020001
	s_set_vgpr_msb 0x50                     ;  msbs: dst=1 src0=0 src1=0 src2=1
	v_dot4_i32_iu8 v11 /*v267*/, v4, v251, v15 /*v271*/ neg_lo:[1,1,0]
	s_set_vgpr_msb 0                        ;  msbs: dst=0 src0=0 src1=0 src2=0
	v_perm_b32 v4, v15, v15, 0x3020001
	s_set_vgpr_msb 0x50                     ;  msbs: dst=1 src0=0 src1=0 src2=1
	s_delay_alu instid0(VALU_DEP_1) | instskip(SKIP_3) | instid1(VALU_DEP_1)
	v_dot4_i32_iu8 v12 /*v268*/, v4, v250, v14 /*v270*/ neg_lo:[1,1,0]
	s_set_vgpr_msb 0                        ;  msbs: dst=0 src0=0 src1=0 src2=0
	v_perm_b32 v4, v27, v27, 0x3020001
	s_set_vgpr_msb 64                       ;  msbs: dst=1 src0=0 src1=0 src2=0
	v_dot4_i32_iu8 v13 /*v269*/, v4, v251, v5 neg_lo:[1,1,0]
	s_set_vgpr_msb 0                        ;  msbs: dst=0 src0=0 src1=0 src2=0
	v_dot4_i32_iu8 v4, v23, v129, v8 neg_lo:[1,1,0]
	s_set_vgpr_msb 16                       ;  msbs: dst=0 src0=0 src1=0 src2=1
	v_dot4_i32_iu8 v5, v7, v133, v17 /*v273*/ neg_lo:[1,1,0]
	v_dot4_i32_iu8 v8, v3, v129, v16 /*v272*/ neg_lo:[1,1,0]
	s_delay_alu instid0(VALU_DEP_3) | instskip(NEXT) | instid1(VALU_DEP_3)
	v_mul_lo_u32 v4, v4, v248
	v_mul_lo_u32 v5, v5, v249
	s_set_vgpr_msb 0                        ;  msbs: dst=0 src0=0 src1=0 src2=0
	s_delay_alu instid0(VALU_DEP_2) | instskip(NEXT) | instid1(VALU_DEP_2)
	v_mad_u32 v4, v9, v249, v4
	v_mad_u32 v5, v8, v248, v5
	s_set_vgpr_msb 1                        ;  msbs: dst=0 src0=1 src1=0 src2=0
	v_mul_lo_u32 v8, v11 /*v267*/, v246
	v_mul_lo_u32 v9, v10 /*v266*/, v247
	s_set_vgpr_msb 64                       ;  msbs: dst=1 src0=0 src1=0 src2=0
	v_perm_b32 v11 /*v267*/, v18, v169, 0x7060403
	s_set_vgpr_msb 0                        ;  msbs: dst=0 src0=0 src1=0 src2=0
	v_cvt_f32_i32_e32 v4, v4
	v_cvt_f32_i32_e32 v5, v5
	s_set_vgpr_msb 1                        ;  msbs: dst=0 src0=1 src1=0 src2=0
	v_mad_u32 v8, v12 /*v268*/, v247, v8
	s_set_vgpr_msb 0x41                     ;  msbs: dst=1 src0=1 src1=0 src2=0
	v_mad_u32 v10 /*v266*/, v13 /*v269*/, v246, v9
	s_set_vgpr_msb 0x50                     ;  msbs: dst=1 src0=0 src1=0 src2=1
	v_dot4_i32_iu8 v12 /*v268*/, v15, v167, v18 /*v274*/ neg_lo:[1,1,0]
	s_set_vgpr_msb 0                        ;  msbs: dst=0 src0=0 src1=0 src2=0
	v_pk_fma_f32 v[4:5], v[12:13], v[4:5], 0 op_sel_hi:[1,1,0]
	s_delay_alu instid0(VALU_DEP_4) | instskip(SKIP_1) | instid1(VALU_DEP_4)
	v_cvt_f32_i32_e32 v9, v8
	s_set_vgpr_msb 1                        ;  msbs: dst=0 src0=1 src1=0 src2=0
	v_cvt_f32_i32_e32 v8, v10 /*v266*/
	s_set_vgpr_msb 64                       ;  msbs: dst=1 src0=0 src1=0 src2=0
	v_perm_b32 v10 /*v266*/, v22, v163, 0x7060403
	s_set_vgpr_msb 0                        ;  msbs: dst=0 src0=0 src1=0 src2=0
	s_delay_alu instid0(VALU_DEP_2) | instskip(SKIP_2) | instid1(VALU_DEP_3)
	v_pk_fma_f32 v[4:5], v[0:1], v[8:9], v[4:5]
	v_perm_b32 v8, v29, v165, 0x6040503
	v_perm_b32 v9, v25, v166, 0x6040503
	v_pk_fma_f32 v[48:49], v[118:119], v[4:5], v[48:49]
	v_perm_b32 v4, v28, v175, 0x6040501
	v_or_b32_e32 v5, v234, v30
	s_delay_alu instid0(VALU_DEP_1) | instskip(SKIP_1) | instid1(VALU_DEP_1)
	v_dot4_i32_iu8 v4, v5, v4, 0 neg_lo:[1,1,0]
	v_perm_b32 v5, v174, v28, 0x6040503
	v_dot4_i32_iu8 v4, v8, v5, v4 neg_lo:[1,1,0]
	v_perm_b32 v5, v24, v177, 0x6040501
	v_perm_b32 v8, v166, v26, 0x6040501
	s_set_vgpr_msb 4                        ;  msbs: dst=0 src0=0 src1=1 src2=0
	s_delay_alu instid0(VALU_DEP_3) | instskip(SKIP_1) | instid1(VALU_DEP_2)
	v_dot4_i32_iu8 v4, v236, v23 /*v279*/, v4 neg_lo:[1,1,0]
	s_set_vgpr_msb 0                        ;  msbs: dst=0 src0=0 src1=0 src2=0
	v_dot4_i32_iu8 v5, v8, v5, 0 neg_lo:[1,1,0]
	v_perm_b32 v8, v176, v24, 0x6040503
	s_delay_alu instid0(VALU_DEP_1) | instskip(SKIP_3) | instid1(VALU_DEP_3)
	v_dot4_i32_iu8 v5, v9, v8, v5 neg_lo:[1,1,0]
	v_perm_b32 v8, v20, v156, 0x6050401
	v_perm_b32 v9, v162, v22, 0x6050401
	s_set_vgpr_msb 5                        ;  msbs: dst=0 src0=1 src1=1 src2=0
	v_dot4_i32_iu8 v5, v1 /*v257*/, v24 /*v280*/, v5 neg_lo:[1,1,0]
	s_set_vgpr_msb 0                        ;  msbs: dst=0 src0=0 src1=0 src2=0
	s_delay_alu instid0(VALU_DEP_2)
	v_dot4_i32_iu8 v8, v9, v8, 0 neg_lo:[1,1,0]
	v_perm_b32 v9, v156, v21, 0x7060403
	s_set_vgpr_msb 64                       ;  msbs: dst=1 src0=0 src1=0 src2=0
	v_dot4_i32_iu8 v13 /*v269*/, v27, v164, v5 neg_lo:[1,1,0]
	s_set_vgpr_msb 16                       ;  msbs: dst=0 src0=0 src1=0 src2=1
	v_dot4_i32_iu8 v5, v7, v159, v21 /*v277*/ neg_lo:[1,1,0]
	s_set_vgpr_msb 4                        ;  msbs: dst=0 src0=0 src1=1 src2=0
	v_dot4_i32_iu8 v8, v235, v9 /*v265*/, v8 neg_lo:[1,1,0]
	s_set_vgpr_msb 0                        ;  msbs: dst=0 src0=0 src1=0 src2=0
	s_delay_alu instid0(VALU_DEP_2) | instskip(SKIP_1) | instid1(VALU_DEP_2)
	v_mul_lo_u32 v5, v5, v232
	s_set_vgpr_msb 1                        ;  msbs: dst=0 src0=1 src1=0 src2=0
	v_dot4_i32_iu8 v8, v10 /*v266*/, v9, v8 neg_lo:[1,1,0]
	s_set_vgpr_msb 0                        ;  msbs: dst=0 src0=0 src1=0 src2=0
	v_perm_b32 v9, v16, v158, 0x6050401
	s_set_vgpr_msb 64                       ;  msbs: dst=1 src0=0 src1=0 src2=0
	v_perm_b32 v10 /*v266*/, v168, v18, 0x6050401
	s_set_vgpr_msb 1                        ;  msbs: dst=0 src0=1 src1=0 src2=0
	s_delay_alu instid0(VALU_DEP_1) | instskip(SKIP_3) | instid1(VALU_DEP_2)
	v_dot4_i32_iu8 v9, v10 /*v266*/, v9, 0 neg_lo:[1,1,0]
	s_set_vgpr_msb 64                       ;  msbs: dst=1 src0=0 src1=0 src2=0
	v_perm_b32 v10 /*v266*/, v158, v17, 0x7060403
	s_set_vgpr_msb 5                        ;  msbs: dst=0 src0=1 src1=1 src2=0
	v_dot4_i32_iu8 v9, v7 /*v263*/, v26 /*v282*/, v9 neg_lo:[1,1,0]
	s_delay_alu instid0(VALU_DEP_1)
	v_dot4_i32_iu8 v9, v11 /*v267*/, v10 /*v266*/, v9 neg_lo:[1,1,0]
	s_set_vgpr_msb 64                       ;  msbs: dst=1 src0=0 src1=0 src2=0
	v_dot4_i32_iu8 v10 /*v266*/, v31, v167, v4 neg_lo:[1,1,0]
	s_set_vgpr_msb 0                        ;  msbs: dst=0 src0=0 src1=0 src2=0
	v_dot4_i32_iu8 v4, v23, v157, v8 neg_lo:[1,1,0]
	s_set_vgpr_msb 0x50                     ;  msbs: dst=1 src0=0 src1=0 src2=1
	v_dot4_i32_iu8 v11 /*v267*/, v11, v164, v19 /*v275*/ neg_lo:[1,1,0]
	s_set_vgpr_msb 16                       ;  msbs: dst=0 src0=0 src1=0 src2=1
	v_dot4_i32_iu8 v8, v3, v157, v20 /*v276*/ neg_lo:[1,1,0]
	s_set_vgpr_msb 0                        ;  msbs: dst=0 src0=0 src1=0 src2=0
	v_dot4_i32_iu8 v9, v19, v159, v9 neg_lo:[1,1,0]
	v_dot4_i32_iu8 v11, v15, v153, v14 neg_lo:[1,1,0]
	v_mul_lo_u32 v4, v4, v233
	v_mad_u32 v5, v8, v233, v5
	s_set_vgpr_msb 1                        ;  msbs: dst=0 src0=1 src1=0 src2=0
	v_mul_lo_u32 v8, v11 /*v267*/, v231
	s_set_vgpr_msb 0                        ;  msbs: dst=0 src0=0 src1=0 src2=0
	s_delay_alu instid0(VALU_DEP_3) | instskip(SKIP_3) | instid1(VALU_DEP_4)
	v_mad_u32 v4, v9, v232, v4
	s_set_vgpr_msb 1                        ;  msbs: dst=0 src0=1 src1=0 src2=0
	v_mul_lo_u32 v9, v10 /*v266*/, v230
	s_set_vgpr_msb 0                        ;  msbs: dst=0 src0=0 src1=0 src2=0
	v_cvt_f32_i32_e32 v5, v5
	s_set_vgpr_msb 1                        ;  msbs: dst=0 src0=1 src1=0 src2=0
	s_delay_alu instid0(VALU_DEP_4) | instskip(SKIP_1) | instid1(VALU_DEP_4)
	v_mad_u32 v8, v12 /*v268*/, v230, v8
	s_set_vgpr_msb 0                        ;  msbs: dst=0 src0=0 src1=0 src2=0
	v_cvt_f32_i32_e32 v4, v4
	s_set_vgpr_msb 0x41                     ;  msbs: dst=1 src0=1 src1=0 src2=0
	s_delay_alu instid0(VALU_DEP_4) | instskip(SKIP_1) | instid1(VALU_DEP_3)
	v_mad_u32 v10 /*v266*/, v13 /*v269*/, v231, v9
	s_set_vgpr_msb 0                        ;  msbs: dst=0 src0=0 src1=0 src2=0
	v_cvt_f32_i32_e32 v9, v8
	v_pk_fma_f32 v[4:5], v[12:13], v[4:5], 0 op_sel_hi:[1,1,0]
	s_set_vgpr_msb 1                        ;  msbs: dst=0 src0=1 src1=0 src2=0
	s_delay_alu instid0(VALU_DEP_3) | instskip(SKIP_1) | instid1(VALU_DEP_1)
	v_cvt_f32_i32_e32 v8, v10 /*v266*/
	s_set_vgpr_msb 0                        ;  msbs: dst=0 src0=0 src1=0 src2=0
	v_pk_fma_f32 v[4:5], v[0:1], v[8:9], v[4:5]
	v_perm_b32 v8, v29, v151, 0x6040503
	v_perm_b32 v9, v25, v152, 0x6040503
	s_delay_alu instid0(VALU_DEP_3) | instskip(SKIP_2) | instid1(VALU_DEP_1)
	v_pk_fma_f32 v[46:47], v[120:121], v[4:5], v[46:47]
	v_perm_b32 v4, v28, v171, 0x6040501
	v_or_b32_e32 v5, v149, v30
	v_dot4_i32_iu8 v4, v5, v4, 0 neg_lo:[1,1,0]
	v_perm_b32 v5, v170, v28, 0x6040503
	s_delay_alu instid0(VALU_DEP_1) | instskip(SKIP_3) | instid1(VALU_DEP_3)
	v_dot4_i32_iu8 v4, v8, v5, v4 neg_lo:[1,1,0]
	v_perm_b32 v5, v24, v173, 0x6040501
	v_perm_b32 v8, v152, v26, 0x6040501
	s_set_vgpr_msb 4                        ;  msbs: dst=0 src0=0 src1=1 src2=0
	v_dot4_i32_iu8 v4, v229, v23 /*v279*/, v4 neg_lo:[1,1,0]
	s_set_vgpr_msb 0                        ;  msbs: dst=0 src0=0 src1=0 src2=0
	s_delay_alu instid0(VALU_DEP_2) | instskip(SKIP_1) | instid1(VALU_DEP_3)
	v_dot4_i32_iu8 v5, v8, v5, 0 neg_lo:[1,1,0]
	v_perm_b32 v8, v172, v24, 0x6040503
	v_dot4_i32_iu8 v4, v31, v153, v4 neg_lo:[1,1,0]
	s_delay_alu instid0(VALU_DEP_2)
	v_dot4_i32_iu8 v5, v9, v8, v5 neg_lo:[1,1,0]
	v_perm_b32 v8, v20, v144, 0x6050401
	v_perm_b32 v9, v160, v22, 0x6050401
	;; [unrolled: 1-line block ×3, first 2 shown]
	v_mul_lo_u32 v4, v4, v32
	s_set_vgpr_msb 4                        ;  msbs: dst=0 src0=0 src1=1 src2=0
	v_dot4_i32_iu8 v5, v237, v24 /*v280*/, v5 neg_lo:[1,1,0]
	s_set_vgpr_msb 0                        ;  msbs: dst=0 src0=0 src1=0 src2=0
	v_dot4_i32_iu8 v8, v9, v8, 0 neg_lo:[1,1,0]
	v_perm_b32 v9, v144, v21, 0x7060403
	s_delay_alu instid0(VALU_DEP_3) | instskip(SKIP_1) | instid1(VALU_DEP_3)
	v_dot4_i32_iu8 v5, v27, v150, v5 neg_lo:[1,1,0]
	s_set_vgpr_msb 4                        ;  msbs: dst=0 src0=0 src1=1 src2=0
	v_dot4_i32_iu8 v8, v147, v9 /*v265*/, v8 neg_lo:[1,1,0]
	s_set_vgpr_msb 0                        ;  msbs: dst=0 src0=0 src1=0 src2=0
	s_delay_alu instid0(VALU_DEP_2) | instskip(SKIP_1) | instid1(VALU_DEP_3)
	v_mad_u32 v4, v5, v131, v4
	v_mad_u32 v5, v11, v32, v6
	v_dot4_i32_iu8 v8, v20, v9, v8 neg_lo:[1,1,0]
	v_perm_b32 v9, v16, v34, 0x6050401
	v_perm_b32 v16, v154, v18, 0x6050401
	s_delay_alu instid0(VALU_DEP_3) | instskip(NEXT) | instid1(VALU_DEP_2)
	v_dot4_i32_iu8 v8, v23, v145, v8 neg_lo:[1,1,0]
	v_dot4_i32_iu8 v9, v16, v9, 0 neg_lo:[1,1,0]
	v_perm_b32 v16, v34, v17, 0x7060403
	v_perm_b32 v17, v18, v155, 0x7060403
	s_delay_alu instid0(VALU_DEP_4)
	v_mul_lo_u32 v7, v8, v143
	v_cvt_f32_i32_e32 v5, v5
	s_set_vgpr_msb 5                        ;  msbs: dst=0 src0=1 src1=1 src2=0
	v_dot4_i32_iu8 v9, v6 /*v262*/, v26 /*v282*/, v9 neg_lo:[1,1,0]
	s_set_vgpr_msb 0                        ;  msbs: dst=0 src0=0 src1=0 src2=0
	v_cvt_f32_i32_e32 v4, v4
	s_delay_alu instid0(VALU_DEP_2) | instskip(NEXT) | instid1(VALU_DEP_1)
	v_dot4_i32_iu8 v9, v17, v16, v9 neg_lo:[1,1,0]
	v_dot4_i32_iu8 v3, v19, v35, v9 neg_lo:[1,1,0]
	s_delay_alu instid0(VALU_DEP_1) | instskip(SKIP_1) | instid1(VALU_DEP_2)
	v_mad_u32 v7, v3, v141, v7
	v_cvt_f32_i32_e32 v3, v2
	v_cvt_f32_i32_e32 v2, v7
	s_delay_alu instid0(VALU_DEP_1) | instskip(NEXT) | instid1(VALU_DEP_1)
	v_pk_fma_f32 v[2:3], v[12:13], v[2:3], 0 op_sel_hi:[1,1,0]
	v_pk_fma_f32 v[0:1], v[0:1], v[4:5], v[2:3]
	s_delay_alu instid0(VALU_DEP_1) | instskip(SKIP_1) | instid1(VALU_DEP_1)
	v_pk_fma_f32 v[44:45], v[122:123], v[0:1], v[44:45]
	v_or_b32_e32 v0, s11, v212
	v_lshlrev_b32_e32 v12, 2, v0
	s_set_vgpr_msb 64                       ;  msbs: dst=1 src0=0 src1=0 src2=0
	v_lshrrev_b32_e32 v16 /*v272*/, 1, v0
	s_set_vgpr_msb 0                        ;  msbs: dst=0 src0=0 src1=0 src2=0
	ds_load_b128 v[4:7], v12 offset:33280
	ds_load_b128 v[0:3], v12 offset:33296
	;; [unrolled: 1-line block ×4, first 2 shown]
	s_wait_dscnt 0x3
	v_perm_b32 v22, v126, v5, 0x7060403
	s_wait_dscnt 0x2
	v_perm_b32 v21, v1, v138, 0x6040503
	;; [unrolled: 2-line block ×4, first 2 shown]
	v_perm_b32 v17, v13, v12, 0x6040503
	v_perm_b32 v18, v14, v13, 0x7060403
	;; [unrolled: 1-line block ×4, first 2 shown]
	s_set_vgpr_msb 4                        ;  msbs: dst=0 src0=0 src1=1 src2=0
	v_dot4_i32_iu8 v16, v16, v3 /*v259*/, 0 neg_lo:[1,1,0]
	s_delay_alu instid0(VALU_DEP_1) | instskip(SKIP_1) | instid1(VALU_DEP_1)
	v_dot4_i32_iu8 v16, v17, v4 /*v260*/, v16 neg_lo:[1,1,0]
	s_set_vgpr_msb 0x44                     ;  msbs: dst=1 src0=0 src1=1 src2=0
	v_dot4_i32_iu8 v17 /*v273*/, v18, v2 /*v258*/, v16 neg_lo:[1,1,0]
	s_set_vgpr_msb 0                        ;  msbs: dst=0 src0=0 src1=0 src2=0
	v_perm_b32 v16, v8, v179, 0x6040501
	s_delay_alu instid0(VALU_DEP_1) | instskip(SKIP_1) | instid1(VALU_DEP_1)
	v_dot4_i32_iu8 v16, v19, v16, 0 neg_lo:[1,1,0]
	v_perm_b32 v19, v178, v8, 0x6040503
	v_dot4_i32_iu8 v16, v20, v19, v16 neg_lo:[1,1,0]
	v_perm_b32 v19, v10, v9, 0x7060403
	v_perm_b32 v20, v138, v2, 0x6050401
	s_set_vgpr_msb 0x41                     ;  msbs: dst=1 src0=1 src1=0 src2=0
	s_delay_alu instid0(VALU_DEP_2) | instskip(SKIP_2) | instid1(VALU_DEP_1)
	v_dot4_i32_iu8 v18 /*v274*/, v5 /*v261*/, v19, v16 neg_lo:[1,1,0]
	s_set_vgpr_msb 0                        ;  msbs: dst=0 src0=0 src1=0 src2=0
	v_perm_b32 v16, v0, v124, 0x6050401
	v_dot4_i32_iu8 v16, v20, v16, 0 neg_lo:[1,1,0]
	v_perm_b32 v20, v139, v0, 0x6040503
	s_delay_alu instid0(VALU_DEP_1) | instskip(SKIP_3) | instid1(VALU_DEP_2)
	v_dot4_i32_iu8 v16, v21, v20, v16 neg_lo:[1,1,0]
	v_perm_b32 v20, v2, v1, 0x7060403
	v_perm_b32 v21, v136, v6, 0x6050401
	s_set_vgpr_msb 64                       ;  msbs: dst=1 src0=0 src1=0 src2=0
	v_dot4_i32_iu8 v19 /*v275*/, v20, v228, v16 neg_lo:[1,1,0]
	s_set_vgpr_msb 0                        ;  msbs: dst=0 src0=0 src1=0 src2=0
	v_perm_b32 v16, v4, v126, 0x6050401
	s_delay_alu instid0(VALU_DEP_1) | instskip(SKIP_2) | instid1(VALU_DEP_1)
	v_dot4_i32_iu8 v16, v21, v16, 0 neg_lo:[1,1,0]
	v_perm_b32 v21, v5, v4, 0x6040503
	s_set_vgpr_msb 1                        ;  msbs: dst=0 src0=1 src1=0 src2=0
	v_dot4_i32_iu8 v16, v8 /*v264*/, v21, v16 neg_lo:[1,1,0]
	s_set_vgpr_msb 64                       ;  msbs: dst=1 src0=0 src1=0 src2=0
	s_delay_alu instid0(VALU_DEP_1) | instskip(SKIP_4) | instid1(VALU_DEP_3)
	v_dot4_i32_iu8 v20 /*v276*/, v23, v22, v16 neg_lo:[1,1,0]
	s_set_vgpr_msb 0                        ;  msbs: dst=0 src0=0 src1=0 src2=0
	v_perm_b32 v22, v14, v14, 0xc0c0c01
	v_perm_b32 v16, v12, v33, 0x6040503
	v_perm_b32 v23, v9, v166, 0x6040503
	v_or_b32_e32 v14, v252, v22
	s_delay_alu instid0(VALU_DEP_1) | instskip(SKIP_1) | instid1(VALU_DEP_2)
	v_dot4_i32_iu8 v14, v14, v16, 0 neg_lo:[1,1,0]
	v_perm_b32 v16, v148, v10, 0x6040501
	v_dot4_i32_iu8 v14, v17, v253, v14 neg_lo:[1,1,0]
	v_perm_b32 v17, v140, v6, 0x6050401
	s_set_vgpr_msb 64                       ;  msbs: dst=1 src0=0 src1=0 src2=0
	s_delay_alu instid0(VALU_DEP_2) | instskip(SKIP_2) | instid1(VALU_DEP_1)
	v_dot4_i32_iu8 v12 /*v268*/, v254, v18, v14 neg_lo:[1,1,0]
	s_set_vgpr_msb 0                        ;  msbs: dst=0 src0=0 src1=0 src2=0
	v_perm_b32 v14, v8, v146, 0x6040501
	v_dot4_i32_iu8 v14, v16, v14, 0 neg_lo:[1,1,0]
	v_perm_b32 v16, v9, v8, 0x6040503
	v_perm_b32 v9, v9, v152, 0x6040503
	s_delay_alu instid0(VALU_DEP_2) | instskip(SKIP_2) | instid1(VALU_DEP_2)
	v_dot4_i32_iu8 v14, v255, v16, v14 neg_lo:[1,1,0]
	v_perm_b32 v16, v142, v2, 0x6050401
	s_set_vgpr_msb 0x41                     ;  msbs: dst=1 src0=1 src1=0 src2=0
	v_dot4_i32_iu8 v14 /*v270*/, v0 /*v256*/, v19, v14 neg_lo:[1,1,0]
	s_set_vgpr_msb 0                        ;  msbs: dst=0 src0=0 src1=0 src2=0
	v_perm_b32 v14, v0, v128, 0x6050401
	s_delay_alu instid0(VALU_DEP_1) | instskip(SKIP_1) | instid1(VALU_DEP_1)
	v_dot4_i32_iu8 v14, v16, v14, 0 neg_lo:[1,1,0]
	v_perm_b32 v16, v1, v0, 0x6040503
	v_dot4_i32_iu8 v14, v240, v16, v14 neg_lo:[1,1,0]
	s_set_vgpr_msb 64                       ;  msbs: dst=1 src0=0 src1=0 src2=0
	s_delay_alu instid0(VALU_DEP_1) | instskip(SKIP_4) | instid1(VALU_DEP_3)
	v_dot4_i32_iu8 v13 /*v269*/, v241, v20, v14 neg_lo:[1,1,0]
	s_set_vgpr_msb 0                        ;  msbs: dst=0 src0=0 src1=0 src2=0
	v_perm_b32 v14, v4, v132, 0x6050401
	v_perm_b32 v20, v13, v165, 0x6040503
	;; [unrolled: 1-line block ×3, first 2 shown]
	v_dot4_i32_iu8 v14, v17, v14, 0 neg_lo:[1,1,0]
	v_perm_b32 v17, v6, v5, 0x7060403
	s_delay_alu instid0(VALU_DEP_2) | instskip(SKIP_1) | instid1(VALU_DEP_1)
	v_dot4_i32_iu8 v14, v244, v21, v14 neg_lo:[1,1,0]
	s_set_vgpr_msb 64                       ;  msbs: dst=1 src0=0 src1=0 src2=0
	v_dot4_i32_iu8 v15 /*v271*/, v245, v17, v14 neg_lo:[1,1,0]
	s_set_vgpr_msb 0                        ;  msbs: dst=0 src0=0 src1=0 src2=0
	v_perm_b32 v14, v12, v175, 0x6040501
	v_or_b32_e32 v17, v234, v22
	s_delay_alu instid0(VALU_DEP_1) | instskip(SKIP_1) | instid1(VALU_DEP_1)
	v_dot4_i32_iu8 v14, v17, v14, 0 neg_lo:[1,1,0]
	v_perm_b32 v17, v174, v12, 0x6040503
	v_dot4_i32_iu8 v14, v20, v17, v14 neg_lo:[1,1,0]
	v_perm_b32 v17, v8, v177, 0x6040501
	v_perm_b32 v20, v166, v10, 0x6040501
	;; [unrolled: 1-line block ×3, first 2 shown]
	s_delay_alu instid0(VALU_DEP_4) | instskip(NEXT) | instid1(VALU_DEP_3)
	v_dot4_i32_iu8 v14, v236, v18, v14 neg_lo:[1,1,0]
	v_dot4_i32_iu8 v17, v20, v17, 0 neg_lo:[1,1,0]
	v_perm_b32 v20, v176, v8, 0x6040503
	s_delay_alu instid0(VALU_DEP_3) | instskip(NEXT) | instid1(VALU_DEP_2)
	v_dot4_i32_iu8 v14, v15, v167, v14 neg_lo:[1,1,0]
	v_dot4_i32_iu8 v17, v23, v20, v17 neg_lo:[1,1,0]
	v_perm_b32 v20, v162, v2, 0x6050401
	v_perm_b32 v23, v2, v163, 0x7060403
	s_set_vgpr_msb 0x41                     ;  msbs: dst=1 src0=1 src1=0 src2=0
	s_delay_alu instid0(VALU_DEP_3) | instskip(SKIP_3) | instid1(VALU_DEP_2)
	v_dot4_i32_iu8 v9 /*v265*/, v1 /*v257*/, v19, v17 neg_lo:[1,1,0]
	s_set_vgpr_msb 0                        ;  msbs: dst=0 src0=0 src1=0 src2=0
	v_perm_b32 v17, v0, v156, 0x6050401
	v_perm_b32 v0, v0, v144, 0x6050401
	v_dot4_i32_iu8 v17, v20, v17, 0 neg_lo:[1,1,0]
	v_perm_b32 v20, v156, v1, 0x7060403
	v_perm_b32 v1, v144, v1, 0x7060403
	s_delay_alu instid0(VALU_DEP_3) | instskip(SKIP_1) | instid1(VALU_DEP_1)
	v_dot4_i32_iu8 v17, v235, v16, v17 neg_lo:[1,1,0]
	s_set_vgpr_msb 64                       ;  msbs: dst=1 src0=0 src1=0 src2=0
	v_dot4_i32_iu8 v10 /*v266*/, v23, v20, v17 neg_lo:[1,1,0]
	s_set_vgpr_msb 0                        ;  msbs: dst=0 src0=0 src1=0 src2=0
	v_perm_b32 v17, v4, v158, 0x6050401
	v_perm_b32 v20, v168, v6, 0x6050401
	;; [unrolled: 1-line block ×3, first 2 shown]
	s_delay_alu instid0(VALU_DEP_2) | instskip(SKIP_2) | instid1(VALU_DEP_2)
	v_dot4_i32_iu8 v17, v20, v17, 0 neg_lo:[1,1,0]
	v_perm_b32 v20, v158, v5, 0x7060403
	s_set_vgpr_msb 1                        ;  msbs: dst=0 src0=1 src1=0 src2=0
	v_dot4_i32_iu8 v17, v7 /*v263*/, v21, v17 neg_lo:[1,1,0]
	s_set_vgpr_msb 64                       ;  msbs: dst=1 src0=0 src1=0 src2=0
	s_delay_alu instid0(VALU_DEP_1) | instskip(SKIP_4) | instid1(VALU_DEP_2)
	v_dot4_i32_iu8 v11 /*v267*/, v23, v20, v17 neg_lo:[1,1,0]
	s_set_vgpr_msb 0                        ;  msbs: dst=0 src0=0 src1=0 src2=0
	v_perm_b32 v17, v12, v171, 0x6040501
	v_or_b32_e32 v20, v149, v22
	v_perm_b32 v12, v170, v12, 0x6040503
	v_dot4_i32_iu8 v17, v20, v17, 0 neg_lo:[1,1,0]
	s_delay_alu instid0(VALU_DEP_1) | instskip(SKIP_2) | instid1(VALU_DEP_3)
	v_dot4_i32_iu8 v12, v13, v12, v17 neg_lo:[1,1,0]
	v_perm_b32 v13, v8, v173, 0x6040501
	v_perm_b32 v8, v172, v8, 0x6040503
	v_dot4_i32_iu8 v12, v229, v18, v12 neg_lo:[1,1,0]
	s_delay_alu instid0(VALU_DEP_3) | instskip(NEXT) | instid1(VALU_DEP_1)
	v_dot4_i32_iu8 v10, v10, v13, 0 neg_lo:[1,1,0]
	v_dot4_i32_iu8 v8, v9, v8, v10 neg_lo:[1,1,0]
	v_perm_b32 v9, v160, v2, 0x6050401
	v_perm_b32 v2, v2, v161, 0x7060403
	s_delay_alu instid0(VALU_DEP_3) | instskip(NEXT) | instid1(VALU_DEP_3)
	v_dot4_i32_iu8 v8, v237, v19, v8 neg_lo:[1,1,0]
	v_dot4_i32_iu8 v0, v9, v0, 0 neg_lo:[1,1,0]
	s_delay_alu instid0(VALU_DEP_2) | instskip(NEXT) | instid1(VALU_DEP_2)
	v_dot4_i32_iu8 v8, v11, v150, v8 neg_lo:[1,1,0]
	v_dot4_i32_iu8 v0, v147, v16, v0 neg_lo:[1,1,0]
	s_delay_alu instid0(VALU_DEP_1) | instskip(SKIP_3) | instid1(VALU_DEP_4)
	v_dot4_i32_iu8 v2, v2, v1, v0 neg_lo:[1,1,0]
	v_perm_b32 v0, v4, v34, 0x6050401
	v_perm_b32 v1, v154, v6, 0x6050401
	;; [unrolled: 1-line block ×3, first 2 shown]
	v_dot4_i32_iu8 v2, v3, v145, v2 neg_lo:[1,1,0]
	s_delay_alu instid0(VALU_DEP_3) | instskip(SKIP_2) | instid1(VALU_DEP_2)
	v_dot4_i32_iu8 v0, v1, v0, 0 neg_lo:[1,1,0]
	v_perm_b32 v1, v34, v5, 0x7060403
	s_set_vgpr_msb 1                        ;  msbs: dst=0 src0=1 src1=0 src2=0
	v_dot4_i32_iu8 v0, v6 /*v262*/, v21, v0 neg_lo:[1,1,0]
	s_set_vgpr_msb 0                        ;  msbs: dst=0 src0=0 src1=0 src2=0
	s_delay_alu instid0(VALU_DEP_1) | instskip(SKIP_1) | instid1(VALU_DEP_2)
	v_dot4_i32_iu8 v6, v4, v1, v0 neg_lo:[1,1,0]
	v_or_b32_e32 v0, s11, v213
	v_dot4_i32_iu8 v6, v7, v35, v6 neg_lo:[1,1,0]
	s_delay_alu instid0(VALU_DEP_2)
	v_lshlrev_b32_e32 v1, 2, v0
	ds_load_b128 v[16:19], v1 offset:33280
	ds_load_b128 v[20:23], v1 offset:33296
	;; [unrolled: 1-line block ×4, first 2 shown]
	v_lshrrev_b32_e32 v4, 1, v0
	v_mul_lo_u32 v6, v6, v141
	s_delay_alu instid0(VALU_DEP_1)
	v_mad_u32 v2, v2, v143, v6
	s_wait_dscnt 0x1
	v_perm_b32 v1, v134, v26, 0x6040501
	s_wait_dscnt 0x0
	v_perm_b32 v0, v28, v30, 0x6040501
	v_perm_b32 v13, v29, v28, 0x6040503
	;; [unrolled: 1-line block ×5, first 2 shown]
	s_set_vgpr_msb 4                        ;  msbs: dst=0 src0=0 src1=1 src2=0
	v_dot4_i32_iu8 v0, v0, v3 /*v259*/, 0 neg_lo:[1,1,0]
	s_set_vgpr_msb 0                        ;  msbs: dst=0 src0=0 src1=0 src2=0
	v_perm_b32 v33, v28, v33, 0x6040503
	s_set_vgpr_msb 4                        ;  msbs: dst=0 src0=0 src1=1 src2=0
	s_delay_alu instid0(VALU_DEP_2) | instskip(NEXT) | instid1(VALU_DEP_1)
	v_dot4_i32_iu8 v0, v13, v4 /*v260*/, v0 neg_lo:[1,1,0]
	v_dot4_i32_iu8 v5, v9, v2 /*v258*/, v0 neg_lo:[1,1,0]
	s_set_vgpr_msb 16                       ;  msbs: dst=0 src0=0 src1=0 src2=1
	v_perm_b32 v0, v24, v179, 0x6040501
	v_dot4_i32_iu8 v179, v11, v130, v18 /*v274*/ neg_lo:[1,1,0]
	s_delay_alu instid0(VALU_DEP_2)
	v_dot4_i32_iu8 v0, v1, v0, 0 neg_lo:[1,1,0]
	v_perm_b32 v1, v178, v24, 0x6040503
	s_set_vgpr_msb 0                        ;  msbs: dst=0 src0=0 src1=0 src2=0
	v_dot4_i32_iu8 v178, v31, v135, v5 neg_lo:[1,1,0]
	s_set_vgpr_msb 16                       ;  msbs: dst=0 src0=0 src1=0 src2=1
	v_dot4_i32_iu8 v5, v7, v127, v20 /*v276*/ neg_lo:[1,1,0]
	v_dot4_i32_iu8 v135, v15, v135, v17 /*v273*/ neg_lo:[1,1,0]
	s_set_vgpr_msb 0                        ;  msbs: dst=0 src0=0 src1=0 src2=0
	v_dot4_i32_iu8 v0, v10, v1, v0 neg_lo:[1,1,0]
	v_perm_b32 v10, v26, v25, 0x7060403
	v_perm_b32 v1, v138, v22, 0x6050401
	v_mul_lo_u32 v5, v5, v242
	s_set_vgpr_msb 1                        ;  msbs: dst=0 src0=1 src1=0 src2=0
	s_delay_alu instid0(VALU_DEP_3)
	v_dot4_i32_iu8 v134, v5 /*v261*/, v10, v0 neg_lo:[1,1,0]
	s_set_vgpr_msb 0                        ;  msbs: dst=0 src0=0 src1=0 src2=0
	v_perm_b32 v0, v20, v124, 0x6050401
	v_perm_b32 v124, v21, v138, 0x6040503
	;; [unrolled: 1-line block ×3, first 2 shown]
	v_dot4_i32_iu8 v130, v27, v130, v134 neg_lo:[1,1,0]
	s_delay_alu instid0(VALU_DEP_4) | instskip(SKIP_2) | instid1(VALU_DEP_2)
	v_dot4_i32_iu8 v0, v1, v0, 0 neg_lo:[1,1,0]
	v_perm_b32 v1, v139, v20, 0x6040503
	v_perm_b32 v139, v17, v16, 0x6040503
	v_dot4_i32_iu8 v0, v124, v1, v0 neg_lo:[1,1,0]
	v_perm_b32 v1, v136, v18, 0x6050401
	s_delay_alu instid0(VALU_DEP_2) | instskip(SKIP_1) | instid1(VALU_DEP_1)
	v_dot4_i32_iu8 v124, v138, v228, v0 neg_lo:[1,1,0]
	v_perm_b32 v0, v16, v126, 0x6050401
	v_dot4_i32_iu8 v0, v1, v0, 0 neg_lo:[1,1,0]
	v_perm_b32 v1, v126, v17, 0x7060403
	v_perm_b32 v126, v18, v137, 0x7060403
	s_set_vgpr_msb 1                        ;  msbs: dst=0 src0=1 src1=0 src2=0
	s_delay_alu instid0(VALU_DEP_3) | instskip(SKIP_1) | instid1(VALU_DEP_1)
	v_dot4_i32_iu8 v0, v8 /*v264*/, v139, v0 neg_lo:[1,1,0]
	s_set_vgpr_msb 0                        ;  msbs: dst=0 src0=0 src1=0 src2=0
	v_dot4_i32_iu8 v126, v126, v1, v0 neg_lo:[1,1,0]
	s_set_vgpr_msb 1                        ;  msbs: dst=0 src0=1 src1=0 src2=0
	ds_load_b64 v[0:1], v16 /*v272*/ offset:43584
	s_set_vgpr_msb 0                        ;  msbs: dst=0 src0=0 src1=0 src2=0
	ds_load_b64 v[136:137], v4 offset:43584
	v_dot4_i32_iu8 v4, v23, v125, v124 neg_lo:[1,1,0]
	s_set_vgpr_msb 16                       ;  msbs: dst=0 src0=0 src1=0 src2=1
	v_dot4_i32_iu8 v124, v3, v125, v19 /*v275*/ neg_lo:[1,1,0]
	s_set_vgpr_msb 0                        ;  msbs: dst=0 src0=0 src1=0 src2=0
	v_dot4_i32_iu8 v125, v19, v127, v126 neg_lo:[1,1,0]
	v_mul_lo_u32 v126, v178, v239
	v_mul_lo_u32 v4, v4, v243
	v_mad_u32 v5, v124, v243, v5
	s_delay_alu instid0(VALU_DEP_3) | instskip(NEXT) | instid1(VALU_DEP_3)
	v_mad_u32 v126, v130, v238, v126
	v_mad_u32 v4, v125, v242, v4
	s_delay_alu instid0(VALU_DEP_3)
	v_cvt_f32_i32_e32 v125, v5
	s_wait_dscnt 0x1
	v_mov_b32_e32 v5, v0
	v_mul_lo_u32 v0, v179, v238
	v_perm_b32 v130, v27, v27, 0x3020001
	v_cvt_f32_i32_e32 v126, v126
	v_cvt_f32_i32_e32 v124, v4
	s_wait_dscnt 0x0
	v_mov_b32_e32 v4, v136
	v_mad_u32 v0, v135, v239, v0
	s_delay_alu instid0(VALU_DEP_2) | instskip(NEXT) | instid1(VALU_DEP_2)
	v_pk_fma_f32 v[124:125], v[4:5], v[124:125], 0 op_sel_hi:[1,1,0]
	v_cvt_f32_i32_e32 v127, v0
	v_mov_b32_e32 v0, v137
	s_delay_alu instid0(VALU_DEP_1) | instskip(SKIP_2) | instid1(VALU_DEP_3)
	v_pk_fma_f32 v[124:125], v[0:1], v[126:127], v[124:125]
	v_perm_b32 v126, v140, v18, 0x6050401
	v_perm_b32 v127, v15, v15, 0x3020001
	v_pk_fma_f32 v[42:43], v[116:117], v[124:125], v[42:43]
	v_or_b32_e32 v124, v252, v30
	v_perm_b32 v125, v142, v22, 0x6050401
	s_set_vgpr_msb 16                       ;  msbs: dst=0 src0=0 src1=0 src2=1
	v_dot4_i32_iu8 v127, v127, v250, v12 /*v268*/ neg_lo:[1,1,0]
	s_delay_alu instid0(VALU_DEP_3) | instskip(SKIP_2) | instid1(VALU_DEP_2)
	v_dot4_i32_iu8 v33, v124, v33, 0 neg_lo:[1,1,0]
	v_perm_b32 v124, v148, v26, 0x6040501
	s_set_vgpr_msb 0                        ;  msbs: dst=0 src0=0 src1=0 src2=0
	v_dot4_i32_iu8 v13, v13, v253, v33 neg_lo:[1,1,0]
	v_perm_b32 v33, v24, v146, 0x6040501
	s_delay_alu instid0(VALU_DEP_2) | instskip(NEXT) | instid1(VALU_DEP_2)
	v_dot4_i32_iu8 v13, v254, v9, v13 neg_lo:[1,1,0]
	v_dot4_i32_iu8 v33, v124, v33, 0 neg_lo:[1,1,0]
	v_perm_b32 v124, v25, v24, 0x6040503
	s_delay_alu instid0(VALU_DEP_1) | instskip(SKIP_3) | instid1(VALU_DEP_3)
	v_dot4_i32_iu8 v33, v255, v124, v33 neg_lo:[1,1,0]
	v_perm_b32 v124, v20, v128, 0x6050401
	v_perm_b32 v128, v21, v20, 0x6040503
	s_set_vgpr_msb 1                        ;  msbs: dst=0 src0=1 src1=0 src2=0
	v_dot4_i32_iu8 v33, v0 /*v256*/, v10, v33 neg_lo:[1,1,0]
	s_set_vgpr_msb 0                        ;  msbs: dst=0 src0=0 src1=0 src2=0
	v_dot4_i32_iu8 v124, v125, v124, 0 neg_lo:[1,1,0]
	v_perm_b32 v125, v16, v132, 0x6050401
	s_delay_alu instid0(VALU_DEP_3) | instskip(NEXT) | instid1(VALU_DEP_3)
	v_dot4_i32_iu8 v33, v130, v251, v33 neg_lo:[1,1,0]
	v_dot4_i32_iu8 v124, v240, v128, v124 neg_lo:[1,1,0]
	s_delay_alu instid0(VALU_DEP_3)
	v_dot4_i32_iu8 v125, v126, v125, 0 neg_lo:[1,1,0]
	v_perm_b32 v126, v18, v17, 0x7060403
	s_set_vgpr_msb 16                       ;  msbs: dst=0 src0=0 src1=0 src2=1
	v_dot4_i32_iu8 v130, v7, v133, v15 /*v271*/ neg_lo:[1,1,0]
	s_set_vgpr_msb 0                        ;  msbs: dst=0 src0=0 src1=0 src2=0
	v_dot4_i32_iu8 v124, v241, v138, v124 neg_lo:[1,1,0]
	v_dot4_i32_iu8 v125, v244, v139, v125 neg_lo:[1,1,0]
	s_delay_alu instid0(VALU_DEP_3) | instskip(NEXT) | instid1(VALU_DEP_3)
	v_mul_lo_u32 v130, v130, v249
	v_dot4_i32_iu8 v124, v23, v129, v124 neg_lo:[1,1,0]
	s_delay_alu instid0(VALU_DEP_3)
	v_dot4_i32_iu8 v125, v245, v126, v125 neg_lo:[1,1,0]
	v_perm_b32 v126, v31, v31, 0x3020001
	s_set_vgpr_msb 16                       ;  msbs: dst=0 src0=0 src1=0 src2=1
	v_dot4_i32_iu8 v129, v3, v129, v13 /*v269*/ neg_lo:[1,1,0]
	v_mul_lo_u32 v124, v124, v248
	s_set_vgpr_msb 0                        ;  msbs: dst=0 src0=0 src1=0 src2=0
	v_dot4_i32_iu8 v125, v19, v133, v125 neg_lo:[1,1,0]
	v_dot4_i32_iu8 v13, v126, v250, v13 neg_lo:[1,1,0]
	v_perm_b32 v126, v11, v11, 0x3020001
	s_delay_alu instid0(VALU_DEP_2) | instskip(SKIP_1) | instid1(VALU_DEP_2)
	v_mul_lo_u32 v13, v13, v247
	s_set_vgpr_msb 16                       ;  msbs: dst=0 src0=0 src1=0 src2=1
	v_dot4_i32_iu8 v126, v126, v251, v14 /*v270*/ neg_lo:[1,1,0]
	s_set_vgpr_msb 0                        ;  msbs: dst=0 src0=0 src1=0 src2=0
	v_mad_u32 v124, v125, v249, v124
	v_mad_u32 v125, v129, v248, v130
	s_delay_alu instid0(VALU_DEP_3)
	v_mul_lo_u32 v126, v126, v246
	s_set_vgpr_msb 16                       ;  msbs: dst=0 src0=0 src1=0 src2=1
	v_dot4_i32_iu8 v129, v3, v157, v10 /*v266*/ neg_lo:[1,1,0]
	s_set_vgpr_msb 0                        ;  msbs: dst=0 src0=0 src1=0 src2=0
	v_mad_u32 v13, v33, v246, v13
	v_cvt_f32_i32_e32 v124, v124
	v_cvt_f32_i32_e32 v125, v125
	v_mad_u32 v33, v127, v247, v126
	s_delay_alu instid0(VALU_DEP_2) | instskip(SKIP_2) | instid1(VALU_DEP_4)
	v_pk_fma_f32 v[124:125], v[4:5], v[124:125], 0 op_sel_hi:[1,1,0]
	v_cvt_f32_i32_e32 v126, v13
	v_perm_b32 v13, v28, v175, 0x6040501
	v_cvt_f32_i32_e32 v127, v33
	v_or_b32_e32 v33, v234, v30
	s_delay_alu instid0(VALU_DEP_2) | instskip(NEXT) | instid1(VALU_DEP_2)
	v_pk_fma_f32 v[124:125], v[0:1], v[126:127], v[124:125]
	v_dot4_i32_iu8 v13, v33, v13, 0 neg_lo:[1,1,0]
	v_perm_b32 v33, v174, v28, 0x6040503
	v_perm_b32 v126, v22, v163, 0x7060403
	;; [unrolled: 1-line block ×3, first 2 shown]
	v_pk_fma_f32 v[40:41], v[118:119], v[124:125], v[40:41]
	v_perm_b32 v124, v29, v165, 0x6040503
	v_perm_b32 v125, v25, v166, 0x6040503
	s_delay_alu instid0(VALU_DEP_2) | instskip(SKIP_2) | instid1(VALU_DEP_3)
	v_dot4_i32_iu8 v13, v124, v33, v13 neg_lo:[1,1,0]
	v_perm_b32 v33, v24, v177, 0x6040501
	v_perm_b32 v124, v166, v26, 0x6040501
	v_dot4_i32_iu8 v13, v236, v9, v13 neg_lo:[1,1,0]
	s_delay_alu instid0(VALU_DEP_2) | instskip(SKIP_1) | instid1(VALU_DEP_3)
	v_dot4_i32_iu8 v33, v124, v33, 0 neg_lo:[1,1,0]
	v_perm_b32 v124, v176, v24, 0x6040503
	v_dot4_i32_iu8 v13, v31, v167, v13 neg_lo:[1,1,0]
	s_delay_alu instid0(VALU_DEP_2) | instskip(SKIP_2) | instid1(VALU_DEP_4)
	v_dot4_i32_iu8 v33, v125, v124, v33 neg_lo:[1,1,0]
	v_perm_b32 v124, v20, v156, 0x6050401
	v_perm_b32 v125, v162, v22, 0x6050401
	v_mul_lo_u32 v13, v13, v230
	s_set_vgpr_msb 1                        ;  msbs: dst=0 src0=1 src1=0 src2=0
	v_dot4_i32_iu8 v33, v1 /*v257*/, v10, v33 neg_lo:[1,1,0]
	s_set_vgpr_msb 0                        ;  msbs: dst=0 src0=0 src1=0 src2=0
	v_dot4_i32_iu8 v124, v125, v124, 0 neg_lo:[1,1,0]
	v_perm_b32 v125, v156, v21, 0x7060403
	s_delay_alu instid0(VALU_DEP_3) | instskip(NEXT) | instid1(VALU_DEP_3)
	v_dot4_i32_iu8 v33, v27, v164, v33 neg_lo:[1,1,0]
	v_dot4_i32_iu8 v124, v235, v128, v124 neg_lo:[1,1,0]
	s_delay_alu instid0(VALU_DEP_2) | instskip(NEXT) | instid1(VALU_DEP_2)
	v_mad_u32 v13, v33, v231, v13
	v_dot4_i32_iu8 v124, v126, v125, v124 neg_lo:[1,1,0]
	v_perm_b32 v125, v16, v158, 0x6050401
	v_perm_b32 v126, v168, v18, 0x6050401
	s_delay_alu instid0(VALU_DEP_3) | instskip(NEXT) | instid1(VALU_DEP_2)
	v_dot4_i32_iu8 v124, v23, v157, v124 neg_lo:[1,1,0]
	v_dot4_i32_iu8 v125, v126, v125, 0 neg_lo:[1,1,0]
	v_perm_b32 v126, v158, v17, 0x7060403
	s_delay_alu instid0(VALU_DEP_3) | instskip(SKIP_1) | instid1(VALU_DEP_3)
	v_mul_lo_u32 v124, v124, v233
	s_set_vgpr_msb 1                        ;  msbs: dst=0 src0=1 src1=0 src2=0
	v_dot4_i32_iu8 v125, v7 /*v263*/, v139, v125 neg_lo:[1,1,0]
	s_set_vgpr_msb 0                        ;  msbs: dst=0 src0=0 src1=0 src2=0
	s_delay_alu instid0(VALU_DEP_1)
	v_dot4_i32_iu8 v125, v127, v126, v125 neg_lo:[1,1,0]
	s_set_vgpr_msb 16                       ;  msbs: dst=0 src0=0 src1=0 src2=1
	v_dot4_i32_iu8 v126, v11, v164, v9 /*v265*/ neg_lo:[1,1,0]
	v_dot4_i32_iu8 v127, v7, v159, v11 /*v267*/ neg_lo:[1,1,0]
	s_set_vgpr_msb 0                        ;  msbs: dst=0 src0=0 src1=0 src2=0
	v_dot4_i32_iu8 v11, v15, v153, v12 neg_lo:[1,1,0]
	v_dot4_i32_iu8 v125, v19, v159, v125 neg_lo:[1,1,0]
	v_mul_lo_u32 v126, v126, v231
	v_mul_lo_u32 v127, v127, v232
	s_delay_alu instid0(VALU_DEP_3) | instskip(NEXT) | instid1(VALU_DEP_3)
	v_mad_u32 v124, v125, v232, v124
	v_mad_u32 v14, v14, v230, v126
	s_delay_alu instid0(VALU_DEP_3)
	v_mad_u32 v125, v129, v233, v127
	v_cvt_f32_i32_e32 v126, v13
	v_perm_b32 v13, v28, v171, 0x6040501
	v_cvt_f32_i32_e32 v124, v124
	v_cvt_f32_i32_e32 v127, v14
	v_or_b32_e32 v14, v149, v30
	v_cvt_f32_i32_e32 v125, v125
	s_delay_alu instid0(VALU_DEP_2) | instskip(SKIP_2) | instid1(VALU_DEP_4)
	v_dot4_i32_iu8 v13, v14, v13, 0 neg_lo:[1,1,0]
	v_perm_b32 v14, v170, v28, 0x6040503
	v_perm_b32 v28, v29, v151, 0x6040503
	v_pk_fma_f32 v[124:125], v[4:5], v[124:125], 0 op_sel_hi:[1,1,0]
	s_delay_alu instid0(VALU_DEP_2) | instskip(SKIP_1) | instid1(VALU_DEP_3)
	v_dot4_i32_iu8 v13, v28, v14, v13 neg_lo:[1,1,0]
	v_perm_b32 v14, v152, v26, 0x6040501
	v_pk_fma_f32 v[124:125], v[0:1], v[126:127], v[124:125]
	s_delay_alu instid0(VALU_DEP_3) | instskip(SKIP_1) | instid1(VALU_DEP_3)
	v_dot4_i32_iu8 v9, v229, v9, v13 neg_lo:[1,1,0]
	v_perm_b32 v13, v24, v173, 0x6040501
	v_pk_fma_f32 v[38:39], v[120:121], v[124:125], v[38:39]
	s_delay_alu instid0(VALU_DEP_3) | instskip(NEXT) | instid1(VALU_DEP_3)
	v_dot4_i32_iu8 v9, v31, v153, v9 neg_lo:[1,1,0]
	v_dot4_i32_iu8 v13, v14, v13, 0 neg_lo:[1,1,0]
	v_perm_b32 v14, v172, v24, 0x6040503
	v_perm_b32 v24, v25, v152, 0x6040503
	s_delay_alu instid0(VALU_DEP_1) | instskip(SKIP_1) | instid1(VALU_DEP_2)
	v_dot4_i32_iu8 v13, v24, v14, v13 neg_lo:[1,1,0]
	v_perm_b32 v14, v160, v22, 0x6050401
	v_dot4_i32_iu8 v10, v237, v10, v13 neg_lo:[1,1,0]
	v_perm_b32 v13, v20, v144, 0x6050401
	v_perm_b32 v20, v22, v161, 0x7060403
	s_delay_alu instid0(VALU_DEP_3) | instskip(NEXT) | instid1(VALU_DEP_3)
	v_dot4_i32_iu8 v10, v27, v150, v10 neg_lo:[1,1,0]
	v_dot4_i32_iu8 v13, v14, v13, 0 neg_lo:[1,1,0]
	v_perm_b32 v14, v144, v21, 0x7060403
	s_delay_alu instid0(VALU_DEP_2) | instskip(NEXT) | instid1(VALU_DEP_1)
	v_dot4_i32_iu8 v13, v147, v128, v13 neg_lo:[1,1,0]
	v_dot4_i32_iu8 v13, v20, v14, v13 neg_lo:[1,1,0]
	v_perm_b32 v14, v16, v34, 0x6050401
	v_perm_b32 v16, v154, v18, 0x6050401
	s_delay_alu instid0(VALU_DEP_3) | instskip(NEXT) | instid1(VALU_DEP_2)
	v_dot4_i32_iu8 v12, v23, v145, v13 neg_lo:[1,1,0]
	v_dot4_i32_iu8 v14, v16, v14, 0 neg_lo:[1,1,0]
	v_perm_b32 v16, v34, v17, 0x7060403
	v_perm_b32 v17, v18, v155, 0x7060403
	s_delay_alu instid0(VALU_DEP_4) | instskip(SKIP_3) | instid1(VALU_DEP_1)
	v_mul_lo_u32 v7, v12, v143
	s_set_vgpr_msb 1                        ;  msbs: dst=0 src0=1 src1=0 src2=0
	v_dot4_i32_iu8 v14, v6 /*v262*/, v139, v14 neg_lo:[1,1,0]
	s_set_vgpr_msb 0                        ;  msbs: dst=0 src0=0 src1=0 src2=0
	v_dot4_i32_iu8 v14, v17, v16, v14 neg_lo:[1,1,0]
	s_delay_alu instid0(VALU_DEP_1) | instskip(NEXT) | instid1(VALU_DEP_1)
	v_dot4_i32_iu8 v3, v19, v35, v14 neg_lo:[1,1,0]
	v_mad_u32 v7, v3, v141, v7
	v_cvt_f32_i32_e32 v3, v2
	s_delay_alu instid0(VALU_DEP_2) | instskip(NEXT) | instid1(VALU_DEP_1)
	v_cvt_f32_i32_e32 v2, v7
	v_pk_fma_f32 v[2:3], v[4:5], v[2:3], 0 op_sel_hi:[1,1,0]
	v_mul_lo_u32 v4, v8, v131
	v_mul_lo_u32 v5, v9, v32
	s_delay_alu instid0(VALU_DEP_2) | instskip(NEXT) | instid1(VALU_DEP_2)
	v_mad_u32 v4, v11, v32, v4
	v_mad_u32 v6, v10, v131, v5
	s_delay_alu instid0(VALU_DEP_2) | instskip(NEXT) | instid1(VALU_DEP_2)
	v_cvt_f32_i32_e32 v5, v4
	v_cvt_f32_i32_e32 v4, v6
	s_delay_alu instid0(VALU_DEP_1) | instskip(NEXT) | instid1(VALU_DEP_1)
	v_pk_fma_f32 v[0:1], v[0:1], v[4:5], v[2:3]
	v_pk_fma_f32 v[36:37], v[122:123], v[0:1], v[36:37]
	s_cbranch_vccnz .LBB176_6
; %bb.7:                                ;   in Loop: Header=BB176_5 Depth=1
	v_dual_add_nc_u32 v8, s7, v200 :: v_dual_add_nc_u32 v4, 4, v227
	s_barrier_signal -1
	s_barrier_wait -1
	s_delay_alu instid0(VALU_DEP_1)
	v_dual_add_nc_u32 v6, v8, v201 :: v_dual_add_nc_u32 v14, v8, v198
	v_dual_add_nc_u32 v0, v8, v193 :: v_dual_add_nc_u32 v2, v8, v194
	;; [unrolled: 1-line block ×3, first 2 shown]
	v_mad_nc_u64_u32 v[4:5], v4, 36, s[2:3]
	v_dual_add_nc_u32 v12, v8, v197 :: v_dual_add_nc_u32 v16, v8, v199
	v_mad_nc_i64_i32 v[6:7], v6, 36, v[76:77]
	v_mad_nc_i64_i32 v[0:1], v0, 36, v[76:77]
	;; [unrolled: 1-line block ×8, first 2 shown]
	s_clause 0x8
	global_load_b32 v18, v[4:5], off
	global_load_b32 v19, v[6:7], off offset:4
	global_load_b32 v20, v[0:1], off offset:4
	global_load_b32 v21, v[2:3], off offset:4
	global_load_b32 v22, v[8:9], off offset:4
	global_load_b32 v23, v[10:11], off offset:4
	global_load_b32 v24, v[12:13], off offset:4
	global_load_b32 v25, v[14:15], off offset:4
	global_load_b32 v26, v[16:17], off offset:4
	s_mov_b32 s7, 16
	s_wait_loadcnt 0x8
	s_wait_xcnt 0x6
	v_cvt_f32_f16_e32 v0, v18
	s_wait_loadcnt 0x7
	ds_store_b32 v181, v19
	s_wait_loadcnt 0x6
	ds_store_b32 v105, v20
	;; [unrolled: 2-line block ×8, first 2 shown]
	ds_store_b32 v192, v0
	s_wait_dscnt 0x0
	s_barrier_signal -1
	s_barrier_wait -1
	ds_load_b32 v116, v203
	ds_load_b32 v118, v204 offset:128
	ds_load_b32 v120, v205 offset:256
	;; [unrolled: 1-line block ×3, first 2 shown]
	s_wait_dscnt 0x2
	v_dual_mov_b32 v117, v116 :: v_dual_mov_b32 v119, v118
	s_wait_dscnt 0x0
	v_dual_mov_b32 v121, v120 :: v_dual_mov_b32 v123, v122
.LBB176_8:                              ;   Parent Loop BB176_5 Depth=1
                                        ; =>  This Inner Loop Header: Depth=2
	s_lshl_b32 s10, s7, 1
	s_lshl_b32 s16, s7, 3
	s_and_b32 s10, s10, 16
	s_lshr_b32 s11, s7, 1
	v_or_b32_e32 v0, s10, v87
	s_add_co_i32 s11, s11, 0xa200
	v_add_nc_u32_e32 v152, s16, v222
	v_add3_u32 v150, s11, v225, v217
	v_add3_u32 v162, s11, v226, v214
	v_lshlrev_b32_e32 v1, 2, v0
	ds_load_b128 v[8:11], v1 offset:33280
	ds_load_b128 v[4:7], v1 offset:33296
	;; [unrolled: 1-line block ×4, first 2 shown]
	s_set_vgpr_msb 64                       ;  msbs: dst=1 src0=0 src1=0 src2=0
	v_add3_u32 v23 /*v279*/, s11, v218, v215
	v_add3_u32 v24 /*v280*/, s11, v219, v216
	v_add_nc_u32_e32 v25 /*v281*/, s16, v224
	s_wait_dscnt 0x3
	s_set_vgpr_msb 0                        ;  msbs: dst=0 src0=0 src1=0 src2=0
	v_bfe_i32 v24, v10, 8, 8
	s_wait_dscnt 0x2
	v_bfe_i32 v25, v6, 8, 8
	s_wait_dscnt 0x1
	v_dual_ashrrev_i32 v157, 24, v18 :: v_dual_lshrrev_b32 v30, 1, v0
	v_add_nc_u32_e32 v0, s16, v221
	ds_load_2addr_b32 v[134:135], v0 offset0:6 offset1:7
	ds_load_2addr_b32 v[140:141], v0 offset0:4 offset1:5
	;; [unrolled: 1-line block ×3, first 2 shown]
	ds_load_2addr_b32 v[138:139], v0 offset1:1
	ds_load_2addr_b32 v[22:23], v0 offset0:13 offset1:14
	ds_load_2addr_b32 v[20:21], v0 offset0:11 offset1:12
	;; [unrolled: 1-line block ×4, first 2 shown]
	v_bfe_i32 v28, v18, 8, 8
	v_perm_b32 v179, v16, v16, 0xc0c0001
	v_perm_b32 v227, v16, v16, 0xc0c0302
	v_perm_b32 v228, v17, v17, 0xc0c0001
	v_bfe_i32 v27, v17, 16, 8
	v_perm_b32 v229, v18, v17, 0xc0c0403
	v_perm_b32 v230, v18, v18, 0xc0c0302
	v_perm_b32 v231, v4, v4, 0xc0c0100
	;; [unrolled: 4-line block ×3, first 2 shown]
	ds_load_2addr_b32 v[124:125], v152 offset0:6 offset1:7
	ds_load_2addr_b32 v[130:131], v152 offset0:4 offset1:5
	;; [unrolled: 1-line block ×3, first 2 shown]
	ds_load_2addr_b32 v[128:129], v152 offset1:1
	s_wait_dscnt 0xc
	v_dual_ashrrev_i32 v161, 24, v12 :: v_dual_ashrrev_i32 v178, 24, v13
	s_wait_dscnt 0x7
	v_perm_b32 v167, v12, v23, 0x6040501
	s_wait_dscnt 0x6
	v_perm_b32 v166, v21, v14, 0x6040501
	;; [unrolled: 2-line block ×3, first 2 shown]
	s_wait_dscnt 0x4
	v_bfe_i32 v0, v173, 8, 8
	v_bfe_i32 v1, v172, 16, 8
	;; [unrolled: 1-line block ×3, first 2 shown]
	v_dot4_i32_iu8 v166, v167, v166, 0 neg_lo:[1,1,0]
	v_perm_b32 v167, v13, v21, 0x6040503
	v_mul_i32_i24_e32 v0, v0, v28
	v_perm_b32 v169, v22, v12, 0x6040503
	v_bfe_i32 v29, v14, 8, 8
	v_bfe_i32 v176, v14, 16, 8
	;; [unrolled: 1-line block ×3, first 2 shown]
	v_dot4_i32_iu8 v0, v179, v2, v0 neg_lo:[1,1,0]
	v_perm_b32 v2, v170, v170, 0xc0c0302
	v_dot4_i32_iu8 v166, v169, v167, v166 neg_lo:[1,1,0]
	v_perm_b32 v234, v13, v13, 0xc0c0c03
	v_bfe_i32 v35, v12, 8, 8
	v_perm_b32 v255, v23, v22, 0x7060403
	v_dot4_i32_iu8 v0, v227, v2, v0 neg_lo:[1,1,0]
	v_perm_b32 v2, v172, v172, 0xc0c0001
	v_bfe_i32 v132, v12, 0, 8
	v_bfe_i32 v160, v13, 0, 8
	;; [unrolled: 1-line block ×4, first 2 shown]
	v_dot4_i32_iu8 v0, v228, v2, v0 neg_lo:[1,1,0]
	v_perm_b32 v2, v140, v140, 0xc0c0100
	v_dual_ashrrev_i32 v145, 24, v4 :: v_dual_ashrrev_i32 v148, 24, v6
	s_wait_dscnt 0x2
	v_lshrrev_b16 v153, 8, v131
	v_mad_i32_i24 v0, v1, v27, v0
	v_perm_b32 v1, v173, v172, 0xc0c0403
	v_lshrrev_b16 v31, 8, v5
	v_bfe_i32 v142, v16, 8, 8
	v_bfe_i32 v144, v4, 0, 8
	v_bfe_i32 v147, v6, 16, 8
	v_dot4_i32_iu8 v0, v229, v1, v0 neg_lo:[1,1,0]
	v_perm_b32 v1, v173, v173, 0xc0c0302
	v_bfe_i32 v31, v31, 0, 8
	v_bfe_i32 v146, v6, 0, 8
	;; [unrolled: 1-line block ×3, first 2 shown]
	s_wait_dscnt 0x0
	v_ashrrev_i32_e32 v239, 24, v128
	v_dot4_i32_iu8 v154, v230, v1, v0 neg_lo:[1,1,0]
	v_bfe_i32 v0, v134, 8, 8
	v_bfe_i32 v1, v140, 16, 8
	s_set_vgpr_msb 64                       ;  msbs: dst=1 src0=0 src1=0 src2=0
	v_perm_b32 v1 /*v257*/, v21, v23, 0x6040501
	v_perm_b32 v2 /*v258*/, v22, v21, 0x6040503
	s_set_vgpr_msb 0                        ;  msbs: dst=0 src0=0 src1=0 src2=0
	v_perm_b32 v245, v171, v171, 0x3020001
	v_mul_i32_i24_e32 v0, v0, v25
	v_perm_b32 v244, v20, v20, 0x3020001
	s_set_vgpr_msb 64                       ;  msbs: dst=1 src0=0 src1=0 src2=0
	v_perm_b32 v37 /*v293*/, v19, v19, 0x7060001
	s_set_vgpr_msb 0                        ;  msbs: dst=0 src0=0 src1=0 src2=0
	v_perm_b32 v247, v134, v141, 0x7060403
	s_set_vgpr_msb 64                       ;  msbs: dst=1 src0=0 src1=0 src2=0
	v_perm_b32 v42 /*v298*/, v12, v12, 0xc0c0001
	s_set_vgpr_msb 0                        ;  msbs: dst=0 src0=0 src1=0 src2=0
	v_dot4_i32_iu8 v0, v231, v2, v0 neg_lo:[1,1,0]
	s_set_vgpr_msb 64                       ;  msbs: dst=1 src0=0 src1=0 src2=0
	v_perm_b32 v48 /*v304*/, v170, v173, 0x6040501
	s_set_vgpr_msb 0                        ;  msbs: dst=0 src0=0 src1=0 src2=0
	v_perm_b32 v16, v17, v16, 0x5030200
	s_set_vgpr_msb 64                       ;  msbs: dst=1 src0=0 src1=0 src2=0
	v_perm_b32 v50 /*v306*/, v172, v170, 0x6040503
	s_set_vgpr_msb 0                        ;  msbs: dst=0 src0=0 src1=0 src2=0
	v_bfe_i32 v156, v18, 16, 8
	v_mad_i32_i24 v151, v1, v26, v0
	v_bfe_i32 v0, v136, 8, 8
	v_perm_b32 v1, v139, v139, 0xc0c0001
	s_set_vgpr_msb 64                       ;  msbs: dst=1 src0=0 src1=0 src2=0
	v_perm_b32 v59 /*v315*/, v15, v15, 0x7060001
	v_bfe_i32 v5 /*v261*/, v128, 16, 8
	s_set_vgpr_msb 0                        ;  msbs: dst=0 src0=0 src1=0 src2=0
	v_lshrrev_b16 v163, 8, v129
	v_mul_i32_i24_e32 v0, v0, v24
	v_bfe_i32 v238, v128, 8, 8
	s_set_vgpr_msb 64                       ;  msbs: dst=1 src0=0 src1=0 src2=0
	v_bfe_i32 v19 /*v275*/, v126, 16, 8
	s_set_vgpr_msb 0                        ;  msbs: dst=0 src0=0 src1=0 src2=0
	v_bfe_i32 v237, v126, 8, 8
	s_set_vgpr_msb 64                       ;  msbs: dst=1 src0=0 src1=0 src2=0
	v_bfe_i32 v18 /*v274*/, v126, 0, 8
	s_set_vgpr_msb 0                        ;  msbs: dst=0 src0=0 src1=0 src2=0
	v_dot4_i32_iu8 v0, v138, v8, v0 neg_lo:[1,1,0]
	s_set_vgpr_msb 64                       ;  msbs: dst=1 src0=0 src1=0 src2=0
	v_bfe_i32 v21 /*v277*/, v127, 8, 8
	s_set_vgpr_msb 0                        ;  msbs: dst=0 src0=0 src1=0 src2=0
	s_delay_alu instid0(VALU_DEP_2) | instskip(SKIP_1) | instid1(VALU_DEP_1)
	v_dot4_i32_iu8 v0, v232, v1, v0 neg_lo:[1,1,0]
	v_perm_b32 v1, v139, v139, 0xc0c0302
	v_dot4_i32_iu8 v0, v233, v1, v0 neg_lo:[1,1,0]
	v_perm_b32 v1, v136, v136, 0xc030200
	s_delay_alu instid0(VALU_DEP_1)
	v_dot4_i32_iu8 v155, v1, v246, v0 neg_lo:[1,1,0]
	ds_load_u16 v164, v152 offset:32
	ds_load_b128 v[0:3], v152 offset:34
	ds_load_b96 v[32:34], v152 offset:50
	ds_load_u16 v174, v152 offset:62
	s_wait_dscnt 0x1
	v_dual_ashrrev_i32 v159, 24, v3 :: v_dual_ashrrev_i32 v158, 24, v33
	v_lshrrev_b16 v152, 8, v32
	v_ashrrev_i32_e32 v167, 24, v32
	v_bfe_i32 v169, v32, 16, 8
	s_delay_alu instid0(VALU_DEP_4)
	v_mul_i32_i24_e32 v35, v159, v35
	v_bfe_i32 v159, v3, 16, 8
	v_bfe_i32 v152, v152, 0, 8
	;; [unrolled: 1-line block ×5, first 2 shown]
	v_mul_i32_i24_e32 v132, v159, v132
	v_mul_i32_i24_e32 v152, v152, v161
	v_bfe_i32 v161, v33, 0, 8
	v_bfe_i32 v159, v13, 8, 8
	v_mul_i32_i24_e32 v175, v175, v168
	v_mul_i32_i24_e32 v178, v236, v178
	;; [unrolled: 1-line block ×4, first 2 shown]
	v_ashrrev_i32_e32 v161, 24, v14
	v_perm_b32 v14, v14, v14, 0x706000c
	v_mad_i32_i24 v132, v158, v29, v132
	v_bfe_i32 v158, v5, 0, 8
	v_lshrrev_b16 v165, 8, v0
	s_set_vgpr_msb 64                       ;  msbs: dst=1 src0=0 src1=0 src2=0
	v_bfe_i32 v47 /*v303*/, v0, 16, 8
	v_or_b32_e32 v0 /*v256*/, v14, v234
	s_set_vgpr_msb 0                        ;  msbs: dst=0 src0=0 src1=0 src2=0
	v_bfe_i32 v234, v34, 0, 8
	s_set_vgpr_msb 64                       ;  msbs: dst=1 src0=0 src1=0 src2=0
	v_bfe_i32 v52 /*v308*/, v1, 8, 8
	s_set_vgpr_msb 0                        ;  msbs: dst=0 src0=0 src1=0 src2=0
	v_bfe_i32 v165, v165, 0, 8
	v_bfe_i32 v235, v128, 0, 8
	s_set_vgpr_msb 1                        ;  msbs: dst=0 src0=1 src1=0 src2=0
	v_dot4_i32_iu8 v14, v0 /*v256*/, v255, v166 neg_lo:[1,1,0]
	s_set_vgpr_msb 0                        ;  msbs: dst=0 src0=0 src1=0 src2=0
	v_bfe_i32 v166, v34, 8, 8
	v_mul_i32_i24_e32 v176, v234, v176
	v_perm_b32 v250, v34, v33, 0x5040201
	s_delay_alu instid0(VALU_DEP_3) | instskip(NEXT) | instid1(VALU_DEP_3)
	v_mul_i32_i24_e32 v161, v166, v161
	v_mad_i32_i24 v160, v169, v160, v176
	v_bfe_i32 v169, v164, 0, 8
	v_add_nc_u32_e32 v166, s16, v223
	s_delay_alu instid0(VALU_DEP_4) | instskip(NEXT) | instid1(VALU_DEP_1)
	v_mad_i32_i24 v159, v167, v159, v161
	v_add3_u32 v152, v152, v177, v159
	v_add3_u32 v159, v175, v178, v160
	v_perm_b32 v160, v5, v140, 0x6040503
	v_ashrrev_i32_e32 v175, 24, v1
	v_bfe_i32 v178, v1, 0, 8
	s_delay_alu instid0(VALU_DEP_4) | instskip(SKIP_2) | instid1(VALU_DEP_3)
	v_add3_u32 v35, v159, v152, v35
	v_perm_b32 v159, v141, v4, 0x6040503
	v_bfe_i32 v152, v5, 16, 8
	v_add3_u32 v35, v35, v132, v133
	v_lshrrev_b16 v133, 8, v164
	s_delay_alu instid0(VALU_DEP_4) | instskip(SKIP_2) | instid1(VALU_DEP_4)
	v_dot4_i32_iu8 v151, v160, v159, v151 neg_lo:[1,1,0]
	v_perm_b32 v159, v6, v141, 0x7060403
	v_perm_b32 v160, v134, v5, 0x7060403
	v_bfe_i32 v176, v133, 0, 8
	v_bfe_i32 v133, v130, 8, 8
	s_delay_alu instid0(VALU_DEP_3) | instskip(SKIP_2) | instid1(VALU_DEP_4)
	v_dot4_i32_iu8 v236, v160, v159, v151 neg_lo:[1,1,0]
	v_bfe_i32 v151, v153, 0, 8
	v_ashrrev_i32_e32 v153, 24, v131
	v_mul_i32_i24_e32 v133, v133, v143
	v_ashrrev_i32_e32 v143, 24, v130
	v_mul_i32_i24_e32 v132, v175, v28
	v_bfe_i32 v159, v131, 16, 8
	v_bfe_i32 v160, v131, 0, 8
	s_delay_alu instid0(VALU_DEP_4)
	v_mul_i32_i24_e32 v143, v143, v145
	v_ashrrev_i32_e32 v145, 24, v5
	v_mad_i32_i24 v234, v176, v142, v132
	v_bfe_i32 v142, v130, 0, 8
	v_mul_i32_i24_e32 v152, v159, v152
	v_bfe_i32 v159, v124, 16, 8
	v_mul_i32_i24_e32 v145, v153, v145
	;; [unrolled: 2-line block ×5, first 2 shown]
	v_bfe_i32 v160, v125, 8, 8
	v_mad_i32_i24 v31, v151, v31, v145
	v_mul_i32_i24_e32 v144, v144, v26
	v_ashrrev_i32_e32 v159, 24, v124
	v_mad_i32_i24 v132, v132, v25, v133
	v_mul_i32_i24_e32 v149, v160, v149
	v_add3_u32 v31, v158, v152, v31
	v_mad_i32_i24 v133, v153, v146, v147
	s_delay_alu instid0(VALU_DEP_3) | instskip(NEXT) | instid1(VALU_DEP_3)
	v_mad_i32_i24 v145, v159, v148, v149
	v_add3_u32 v31, v31, v142, v132
	s_delay_alu instid0(VALU_DEP_3) | instskip(SKIP_3) | instid1(VALU_DEP_2)
	v_add3_u32 v132, v144, v143, v133
	s_set_vgpr_msb 4                        ;  msbs: dst=0 src0=0 src1=1 src2=0
	v_dot4_i32_iu8 v148, v244, v37 /*v293*/, v154 neg_lo:[1,1,0]
	s_set_vgpr_msb 64                       ;  msbs: dst=1 src0=0 src1=0 src2=0
	v_add3_u32 v3 /*v259*/, v31, v132, v145
	s_set_vgpr_msb 0                        ;  msbs: dst=0 src0=0 src1=0 src2=0
	v_perm_b32 v31, v128, v126, 0x6050401
	v_perm_b32 v132, v8, v10, 0x6050401
	s_set_vgpr_msb 64                       ;  msbs: dst=1 src0=0 src1=0 src2=0
	s_delay_alu instid0(VALU_DEP_1) | instskip(SKIP_2) | instid1(VALU_DEP_1)
	v_dot4_i32_iu8 v22 /*v278*/, v31, v132, 0 neg_lo:[1,1,0]
	s_set_vgpr_msb 0                        ;  msbs: dst=0 src0=0 src1=0 src2=0
	v_or_b32_e32 v31, s10, v207
	v_dual_lshlrev_b32 v132, 2, v31 :: v_dual_lshrrev_b32 v133, 1, v31
	ds_load_b64 v[30:31], v30 offset:43584
	ds_load_b32 v142, v150
	s_wait_dscnt 0x0
	v_bfe_i32 v242, v142, 0, 8
	v_bfe_i32 v243, v142, 8, 8
	;; [unrolled: 1-line block ×3, first 2 shown]
	v_ashrrev_i32_e32 v241, 24, v142
	ds_load_2addr_b32 v[142:143], v166 offset0:6 offset1:7
	ds_load_2addr_b32 v[146:147], v166 offset0:4 offset1:5
	;; [unrolled: 1-line block ×3, first 2 shown]
	s_set_vgpr_msb 64                       ;  msbs: dst=1 src0=0 src1=0 src2=0
	ds_load_b128 v[6:9] /*v[262:265]*/, v132 offset:33280
	ds_load_b128 v[10:13] /*v[266:269]*/, v132 offset:33296
	s_set_vgpr_msb 0                        ;  msbs: dst=0 src0=0 src1=0 src2=0
	ds_load_b128 v[150:153], v132 offset:33312
	s_set_vgpr_msb 64                       ;  msbs: dst=1 src0=0 src1=0 src2=0
	ds_load_b128 v[14:17] /*v[270:273]*/, v132 offset:33328
	s_set_vgpr_msb 0                        ;  msbs: dst=0 src0=0 src1=0 src2=0
	ds_load_b64 v[132:133], v133 offset:43584
	s_set_vgpr_msb 64                       ;  msbs: dst=1 src0=0 src1=0 src2=0
	v_ashrrev_i32_e32 v20 /*v276*/, 24, v126
	v_mul_lo_u32 v41 /*v297*/, v148, v240
	s_wait_dscnt 0x4
	s_set_vgpr_msb 0x41                     ;  msbs: dst=1 src0=1 src1=0 src2=0
	v_bfe_i32 v30 /*v286*/, v6 /*v262*/, 0, 8
	s_wait_dscnt 0x3
	s_set_vgpr_msb 1                        ;  msbs: dst=0 src0=1 src1=0 src2=0
	v_perm_b32 v20, v10 /*v266*/, v134, 0x6050401
	v_perm_b32 v154, v11 /*v267*/, v140, 0x6040503
	s_wait_dscnt 0x1
	s_set_vgpr_msb 5                        ;  msbs: dst=0 src0=1 src1=1 src2=0
	v_perm_b32 v23, v14 /*v270*/, v16 /*v272*/, 0x6040501
	v_perm_b32 v22, v15 /*v271*/, v14 /*v270*/, 0x6040503
	s_set_vgpr_msb 0x45                     ;  msbs: dst=1 src0=1 src1=1 src2=0
	v_perm_b32 v38 /*v294*/, v17 /*v273*/, v17 /*v273*/, 0x7060001
	s_set_vgpr_msb 4                        ;  msbs: dst=0 src0=0 src1=1 src2=0
	v_bfe_i32 v251, v150, 8, 8
	v_bfe_i32 v252, v150, 0, 8
	v_dot4_i32_iu8 v23, v23, v1 /*v257*/, 0 neg_lo:[1,1,0]
	s_set_vgpr_msb 64                       ;  msbs: dst=1 src0=0 src1=0 src2=0
	v_perm_b32 v49 /*v305*/, v150, v152, 0x6040501
	s_set_vgpr_msb 0                        ;  msbs: dst=0 src0=0 src1=0 src2=0
	v_bfe_i32 v253, v151, 16, 8
	s_set_vgpr_msb 64                       ;  msbs: dst=1 src0=0 src1=0 src2=0
	v_bfe_i32 v4 /*v260*/, v150, 16, 8
	v_perm_b32 v51 /*v307*/, v151, v150, 0x6040503
	s_set_vgpr_msb 4                        ;  msbs: dst=0 src0=0 src1=1 src2=0
	v_dot4_i32_iu8 v21, v22, v2 /*v258*/, v23 neg_lo:[1,1,0]
	s_set_vgpr_msb 5                        ;  msbs: dst=0 src0=1 src1=1 src2=0
	v_perm_b32 v23, v16 /*v272*/, v15 /*v271*/, 0x7060403
	s_set_vgpr_msb 0x45                     ;  msbs: dst=1 src0=1 src1=1 src2=0
	v_dot4_i32_iu8 v48 /*v304*/, v49 /*v305*/, v48 /*v304*/, 0 neg_lo:[1,1,0]
	s_set_vgpr_msb 0                        ;  msbs: dst=0 src0=0 src1=0 src2=0
	v_mul_i32_i24_e32 v178, v253, v178
	v_bfe_i32 v253, v2, 0, 8
	s_set_vgpr_msb 64                       ;  msbs: dst=1 src0=0 src1=0 src2=0
	v_perm_b32 v58 /*v314*/, v153, v153, 0x7060001
	s_set_vgpr_msb 0                        ;  msbs: dst=0 src0=0 src1=0 src2=0
	v_dot4_i32_iu8 v21, v23, v255, v21 neg_lo:[1,1,0]
	s_set_vgpr_msb 64                       ;  msbs: dst=1 src0=0 src1=0 src2=0
	v_ashrrev_i32_e32 v53 /*v309*/, 24, v152
	v_bfe_i32 v54 /*v310*/, v152, 16, 8
	s_set_vgpr_msb 0                        ;  msbs: dst=0 src0=0 src1=0 src2=0
	v_mul_i32_i24_e32 v156, v253, v156
	s_set_vgpr_msb 64                       ;  msbs: dst=1 src0=0 src1=0 src2=0
	v_bfe_i32 v55 /*v311*/, v152, 0, 8
	s_set_vgpr_msb 4                        ;  msbs: dst=0 src0=0 src1=1 src2=0
	v_dot4_i32_iu8 v149, v245, v38 /*v294*/, v21 neg_lo:[1,1,0]
	v_perm_b32 v21, v140, v12 /*v268*/, 0x6050401
	s_set_vgpr_msb 64                       ;  msbs: dst=1 src0=0 src1=0 src2=0
	v_bfe_i32 v27 /*v283*/, v152, 8, 8
	s_set_vgpr_msb 0x41                     ;  msbs: dst=1 src0=1 src1=0 src2=0
	v_bfe_i32 v31 /*v287*/, v6 /*v262*/, 16, 8
	s_set_vgpr_msb 0x44                     ;  msbs: dst=1 src0=0 src1=1 src2=0
	v_lshrrev_b16 v26 /*v282*/, 8, v7 /*v263*/
	s_set_vgpr_msb 0x41                     ;  msbs: dst=1 src0=1 src1=0 src2=0
	v_bfe_i32 v29 /*v285*/, v6 /*v262*/, 8, 8
	s_set_vgpr_msb 0                        ;  msbs: dst=0 src0=0 src1=0 src2=0
	v_dot4_i32_iu8 v20, v21, v20, 0 neg_lo:[1,1,0]
	s_set_vgpr_msb 4                        ;  msbs: dst=0 src0=0 src1=1 src2=0
	v_perm_b32 v21, v141, v10 /*v266*/, 0x6040503
	s_set_vgpr_msb 0x41                     ;  msbs: dst=1 src0=1 src1=0 src2=0
	v_bfe_i32 v34 /*v290*/, v8 /*v264*/, 16, 8
	v_bfe_i32 v28 /*v284*/, v8 /*v264*/, 8, 8
	s_set_vgpr_msb 0x44                     ;  msbs: dst=1 src0=0 src1=1 src2=0
	v_dual_ashrrev_i32 v32 /*v288*/, 24, v6 /*v262*/ :: v_dual_ashrrev_i32 v35 /*v291*/, 24, v8 /*v264*/
	s_set_vgpr_msb 0                        ;  msbs: dst=0 src0=0 src1=0 src2=0
	v_dot4_i32_iu8 v20, v154, v21, v20 neg_lo:[1,1,0]
	s_set_vgpr_msb 5                        ;  msbs: dst=0 src0=1 src1=1 src2=0
	v_perm_b32 v21, v12 /*v268*/, v11 /*v267*/, 0x7060403
	s_set_vgpr_msb 0x41                     ;  msbs: dst=1 src0=1 src1=0 src2=0
	v_bfe_i32 v33 /*v289*/, v8 /*v264*/, 0, 8
	v_bfe_i32 v36 /*v292*/, v9 /*v265*/, 8, 8
	s_set_vgpr_msb 0                        ;  msbs: dst=0 src0=0 src1=0 src2=0
	v_ashrrev_i32_e32 v254, 24, v150
	s_set_vgpr_msb 21                       ;  msbs: dst=0 src0=1 src1=1 src2=1
	v_dot4_i32_iu8 v150, v51 /*v307*/, v50 /*v306*/, v48 /*v304*/ neg_lo:[1,1,0]
	s_set_vgpr_msb 0                        ;  msbs: dst=0 src0=0 src1=0 src2=0
	v_dot4_i32_iu8 v20, v21, v247, v20 neg_lo:[1,1,0]
	v_dot4_i32_iu8 v21, v137, v11, v155 neg_lo:[1,1,0]
	s_set_vgpr_msb 64                       ;  msbs: dst=1 src0=0 src1=0 src2=0
	v_bfe_i32 v50 /*v306*/, v1, 16, 8
	s_set_vgpr_msb 0                        ;  msbs: dst=0 src0=0 src1=0 src2=0
	v_mul_i32_i24_e32 v165, v254, v165
	v_perm_b32 v254, v1, v0, 0x6050402
	s_set_vgpr_msb 4                        ;  msbs: dst=0 src0=0 src1=1 src2=0
	v_dot4_i32_iu8 v20, v135, v13 /*v269*/, v20 neg_lo:[1,1,0]
	s_set_vgpr_msb 64                       ;  msbs: dst=1 src0=0 src1=0 src2=0
	v_mul_lo_u32 v39 /*v295*/, v21, v242
	s_set_vgpr_msb 4                        ;  msbs: dst=0 src0=0 src1=1 src2=0
	v_perm_b32 v21, v138, v8 /*v264*/, 0x6050401
	s_set_vgpr_msb 0                        ;  msbs: dst=0 src0=0 src1=0 src2=0
	v_perm_b32 v1, v173, v173, 0x706000c
	v_mul_lo_u32 v171, v20, v243
	s_set_vgpr_msb 1                        ;  msbs: dst=0 src0=1 src1=0 src2=0
	v_perm_b32 v20, v6 /*v262*/, v136, 0x6050401
	s_set_vgpr_msb 64                       ;  msbs: dst=1 src0=0 src1=0 src2=0
	s_delay_alu instid0(VALU_DEP_1)
	v_dot4_i32_iu8 v40 /*v296*/, v21, v20, 0 neg_lo:[1,1,0]
	s_wait_dscnt 0x0
	s_set_vgpr_msb 0                        ;  msbs: dst=0 src0=0 src1=0 src2=0
	v_mov_b32_e32 v20, v132
	v_mul_lo_u32 v132, v149, v241
	ds_load_2addr_b32 v[148:149], v166 offset1:1
	ds_load_2addr_b32 v[158:159], v166 offset0:13 offset1:14
	ds_load_2addr_b32 v[160:161], v166 offset0:11 offset1:12
	v_dual_mov_b32 v21, v30 :: v_dual_mov_b32 v30, v133
	ds_load_2addr_b32 v[154:155], v166 offset0:8 offset1:15
	s_wait_dscnt 0x2
	v_bfe_i32 v133, v159, 8, 8
	s_wait_dscnt 0x1
	v_perm_b32 v177, v161, v161, 0xc0c0001
	v_bfe_i32 v167, v161, 16, 8
	s_wait_dscnt 0x0
	v_perm_b32 v249, v154, v154, 0xc0c0001
	v_mul_i32_i24_e32 v133, v133, v29
	s_set_vgpr_msb 1                        ;  msbs: dst=0 src0=1 src1=0 src2=0
	s_delay_alu instid0(VALU_DEP_1) | instskip(SKIP_2) | instid1(VALU_DEP_2)
	v_dot4_i32_iu8 v133, v42 /*v298*/, v177, v133 neg_lo:[1,1,0]
	s_set_vgpr_msb 0                        ;  msbs: dst=0 src0=0 src1=0 src2=0
	v_perm_b32 v177, v158, v12, 0x6040503
	v_mad_i32_i24 v133, v168, v167, v133
	v_perm_b32 v167, v13, v161, 0x6040503
	s_delay_alu instid0(VALU_DEP_1) | instskip(SKIP_2) | instid1(VALU_DEP_1)
	v_dot4_i32_iu8 v133, v177, v167, v133 neg_lo:[1,1,0]
	v_perm_b32 v167, v158, v158, 0xc0c0c03
	v_perm_b32 v177, v159, v159, 0x706000c
	v_or_b32_e32 v177, v177, v167
	ds_load_2addr_b32 v[166:167], v166 offset0:9 offset1:10
	s_set_vgpr_msb 0x41                     ;  msbs: dst=1 src0=1 src1=0 src2=0
	v_dot4_i32_iu8 v43 /*v299*/, v0 /*v256*/, v177, v133 neg_lo:[1,1,0]
	s_wait_dscnt 0x0
	s_set_vgpr_msb 0                        ;  msbs: dst=0 src0=0 src1=0 src2=0
	v_bfe_i32 v133, v167, 8, 8
	v_bfe_i32 v248, v166, 16, 8
	s_delay_alu instid0(VALU_DEP_2) | instskip(NEXT) | instid1(VALU_DEP_1)
	v_mul_i32_i24_e32 v133, v133, v28
	v_dot4_i32_iu8 v133, v179, v249, v133 neg_lo:[1,1,0]
	v_perm_b32 v249, v154, v154, 0xc0c0302
	s_delay_alu instid0(VALU_DEP_1) | instskip(SKIP_1) | instid1(VALU_DEP_1)
	v_dot4_i32_iu8 v133, v227, v249, v133 neg_lo:[1,1,0]
	v_perm_b32 v249, v166, v166, 0xc0c0001
	v_dot4_i32_iu8 v133, v228, v249, v133 neg_lo:[1,1,0]
	v_perm_b32 v249, v146, v146, 0xc0c0100
	s_delay_alu instid0(VALU_DEP_2) | instskip(SKIP_1) | instid1(VALU_DEP_1)
	v_mad_i32_i24 v133, v248, v27, v133
	v_perm_b32 v248, v167, v166, 0xc0c0403
	v_dot4_i32_iu8 v133, v229, v248, v133 neg_lo:[1,1,0]
	v_perm_b32 v248, v167, v167, 0xc0c0302
	s_set_vgpr_msb 64                       ;  msbs: dst=1 src0=0 src1=0 src2=0
	s_delay_alu instid0(VALU_DEP_1) | instskip(SKIP_3) | instid1(VALU_DEP_2)
	v_dot4_i32_iu8 v44 /*v300*/, v230, v248, v133 neg_lo:[1,1,0]
	s_set_vgpr_msb 0                        ;  msbs: dst=0 src0=0 src1=0 src2=0
	v_bfe_i32 v133, v142, 8, 8
	v_bfe_i32 v248, v146, 16, 8
	v_mul_i32_i24_e32 v133, v133, v25
	s_delay_alu instid0(VALU_DEP_1) | instskip(SKIP_1) | instid1(VALU_DEP_2)
	v_dot4_i32_iu8 v133, v231, v249, v133 neg_lo:[1,1,0]
	v_perm_b32 v249, v5, v146, 0x6040503
	v_mad_i32_i24 v133, v248, v26, v133
	v_perm_b32 v248, v147, v4, 0x6040503
	s_delay_alu instid0(VALU_DEP_1) | instskip(SKIP_3) | instid1(VALU_DEP_1)
	v_dot4_i32_iu8 v133, v249, v248, v133 neg_lo:[1,1,0]
	v_perm_b32 v248, v6, v147, 0x7060403
	v_perm_b32 v249, v142, v5, 0x7060403
	s_set_vgpr_msb 64                       ;  msbs: dst=1 src0=0 src1=0 src2=0
	v_dot4_i32_iu8 v45 /*v301*/, v249, v248, v133 neg_lo:[1,1,0]
	s_set_vgpr_msb 0                        ;  msbs: dst=0 src0=0 src1=0 src2=0
	v_bfe_i32 v133, v144, 8, 8
	v_perm_b32 v248, v149, v149, 0xc0c0001
	s_set_vgpr_msb 5                        ;  msbs: dst=0 src0=1 src1=1 src2=0
	v_perm_b32 v249, v16 /*v272*/, v16 /*v272*/, 0xc0c0c01
	s_set_vgpr_msb 0                        ;  msbs: dst=0 src0=0 src1=0 src2=0
	v_mul_i32_i24_e32 v133, v133, v24
	s_delay_alu instid0(VALU_DEP_1) | instskip(NEXT) | instid1(VALU_DEP_1)
	v_dot4_i32_iu8 v133, v148, v8, v133 neg_lo:[1,1,0]
	v_dot4_i32_iu8 v133, v232, v248, v133 neg_lo:[1,1,0]
	v_perm_b32 v248, v149, v149, 0xc0c0302
	s_delay_alu instid0(VALU_DEP_1) | instskip(SKIP_2) | instid1(VALU_DEP_1)
	v_dot4_i32_iu8 v133, v233, v248, v133 neg_lo:[1,1,0]
	v_perm_b32 v248, v144, v144, 0xc030200
	s_set_vgpr_msb 64                       ;  msbs: dst=1 src0=0 src1=0 src2=0
	v_dot4_i32_iu8 v46 /*v302*/, v248, v246, v133 neg_lo:[1,1,0]
	s_set_vgpr_msb 0                        ;  msbs: dst=0 src0=0 src1=0 src2=0
	v_perm_b32 v248, v32, v3, 0x402030c
	s_set_vgpr_msb 1                        ;  msbs: dst=0 src0=1 src1=0 src2=0
	v_perm_b32 v133, v14 /*v270*/, v33, 0x6040503
	s_set_vgpr_msb 0                        ;  msbs: dst=0 src0=0 src1=0 src2=0
	s_delay_alu instid0(VALU_DEP_2) | instskip(NEXT) | instid1(VALU_DEP_1)
	v_or_b32_e32 v249, v248, v249
	v_dot4_i32_iu8 v133, v249, v133, 0 neg_lo:[1,1,0]
	v_perm_b32 v249, v33, v32, 0x4020301
	v_mul_i32_i24_e32 v32, v251, v176
	v_perm_b32 v251, v0, v164, 0x7050400
	v_bfe_i32 v164, v151, 8, 8
	s_delay_alu instid0(VALU_DEP_4)
	v_dot4_i32_iu8 v22, v22, v249, v133 neg_lo:[1,1,0]
	v_mul_i32_i24_e32 v133, v252, v169
	v_bfe_i32 v252, v0, 0, 8
	v_ashrrev_i32_e32 v169, 24, v0
	v_dot4_i32_iu8 v16, v251, v16, v234 neg_lo:[1,1,0]
	v_perm_b32 v0, v18, v17, 0x4030200
	v_bfe_i32 v234, v151, 0, 8
	s_set_vgpr_msb 0x41                     ;  msbs: dst=1 src0=1 src1=0 src2=0
	v_mul_i32_i24_e32 v48 /*v304*/, v4 /*v260*/, v252
	s_set_vgpr_msb 0                        ;  msbs: dst=0 src0=0 src1=0 src2=0
	v_bfe_i32 v252, v2, 8, 8
	s_set_vgpr_msb 1                        ;  msbs: dst=0 src0=1 src1=0 src2=0
	v_mul_i32_i24_e32 v17, v54 /*v310*/, v253
	s_set_vgpr_msb 0                        ;  msbs: dst=0 src0=0 src1=0 src2=0
	v_dot4_i32_iu8 v0, v254, v0, v16 neg_lo:[1,1,0]
	s_set_vgpr_msb 5                        ;  msbs: dst=0 src0=1 src1=1 src2=0
	v_mul_i32_i24_e32 v16, v55 /*v311*/, v50 /*v306*/
	s_set_vgpr_msb 0                        ;  msbs: dst=0 src0=0 src1=0 src2=0
	v_dot4_i32_iu8 v22, v250, v23, v22 neg_lo:[1,1,0]
	v_mul_i32_i24_e32 v157, v252, v157
	s_set_vgpr_msb 4                        ;  msbs: dst=0 src0=0 src1=1 src2=0
	v_mad_i32_i24 v17, v234, v47 /*v303*/, v17
	s_set_vgpr_msb 0                        ;  msbs: dst=0 src0=0 src1=0 src2=0
	v_perm_b32 v234, v131, v130, 0x6040503
	v_add3_u32 v18, v0, v156, v157
	v_perm_b32 v0, v172, v172, 0xc0c0c03
	s_set_vgpr_msb 64                       ;  msbs: dst=1 src0=0 src1=0 src2=0
	v_ashrrev_i32_e32 v56 /*v312*/, 24, v151
	s_set_vgpr_msb 0                        ;  msbs: dst=0 src0=0 src1=0 src2=0
	v_ashrrev_i32_e32 v157, 24, v129
	v_bfe_i32 v156, v163, 0, 8
	v_bfe_i32 v163, v129, 16, 8
	s_set_vgpr_msb 64                       ;  msbs: dst=1 src0=0 src1=0 src2=0
	v_or_b32_e32 v4 /*v260*/, v1, v0
	s_set_vgpr_msb 0                        ;  msbs: dst=0 src0=0 src1=0 src2=0
	v_perm_b32 v0, v151, v151, 0xc0c0c03
	v_perm_b32 v1, v152, v152, 0x706000c
	s_set_vgpr_msb 5                        ;  msbs: dst=0 src0=1 src1=1 src2=0
	v_mul_i32_i24_e32 v151, v5 /*v261*/, v31 /*v287*/
	s_set_vgpr_msb 0x45                     ;  msbs: dst=1 src0=1 src1=1 src2=0
	v_perm_b32 v5 /*v261*/, v8 /*v264*/, v7 /*v263*/, 0x7060403
	s_set_vgpr_msb 4                        ;  msbs: dst=0 src0=0 src1=1 src2=0
	v_mul_i32_i24_e32 v152, v239, v32 /*v288*/
	s_set_vgpr_msb 64                       ;  msbs: dst=1 src0=0 src1=0 src2=0
	v_or_b32_e32 v57 /*v313*/, v1, v0
	s_set_vgpr_msb 1                        ;  msbs: dst=0 src0=1 src1=0 src2=0
	v_dot4_i32_iu8 v1, v59 /*v315*/, v245, v14 neg_lo:[1,1,0]
	s_set_vgpr_msb 5                        ;  msbs: dst=0 src0=1 src1=1 src2=0
	v_mul_i32_i24_e32 v14, v56 /*v312*/, v52 /*v308*/
	v_dot4_i32_iu8 v0, v57 /*v313*/, v4 /*v260*/, v150 neg_lo:[1,1,0]
	s_set_vgpr_msb 4                        ;  msbs: dst=0 src0=0 src1=1 src2=0
	v_mul_i32_i24_e32 v150, v235, v30 /*v286*/
	s_set_vgpr_msb 1                        ;  msbs: dst=0 src0=1 src1=0 src2=0
	v_add3_u32 v14, v48 /*v304*/, v14, v17
	s_set_vgpr_msb 4                        ;  msbs: dst=0 src0=0 src1=1 src2=0
	v_perm_b32 v17, v130, v12 /*v268*/, 0x6050401
	s_set_vgpr_msb 0                        ;  msbs: dst=0 src0=0 src1=0 src2=0
	v_perm_b32 v235, v129, v128, 0x6040503
	s_set_vgpr_msb 1                        ;  msbs: dst=0 src0=1 src1=0 src2=0
	v_dot4_i32_iu8 v0, v58 /*v314*/, v244, v0 neg_lo:[1,1,0]
	s_set_vgpr_msb 16                       ;  msbs: dst=0 src0=0 src1=0 src2=1
	v_mad_u32 v1, v1, v241, v41 /*v297*/
	s_set_vgpr_msb 0                        ;  msbs: dst=0 src0=0 src1=0 src2=0
	s_delay_alu instid0(VALU_DEP_2) | instskip(SKIP_3) | instid1(VALU_DEP_1)
	v_mad_u32 v0, v0, v240, v132
	s_set_vgpr_msb 1                        ;  msbs: dst=0 src0=1 src1=0 src2=0
	v_mul_i32_i24_e32 v132, v53 /*v309*/, v252
	s_set_vgpr_msb 0                        ;  msbs: dst=0 src0=0 src1=0 src2=0
	v_mad_i32_i24 v132, v164, v169, v132
	s_delay_alu instid0(VALU_DEP_4)
	v_cvt_f32_i32_e32 v1, v1
	v_bfe_i32 v164, v129, 0, 8
	s_set_vgpr_msb 1                        ;  msbs: dst=0 src0=1 src1=0 src2=0
	v_bfe_i32 v169, v7 /*v263*/, 16, 8
	s_set_vgpr_msb 0                        ;  msbs: dst=0 src0=0 src1=0 src2=0
	v_add3_u32 v16, v165, v16, v132
	s_set_vgpr_msb 1                        ;  msbs: dst=0 src0=1 src1=0 src2=0
	v_perm_b32 v132, v12 /*v268*/, v131, 0x7060403
	s_set_vgpr_msb 4                        ;  msbs: dst=0 src0=0 src1=1 src2=0
	v_cvt_f32_i32_e32 v0, v0
	v_ashrrev_i32_e32 v165, 24, v7 /*v263*/
	s_set_vgpr_msb 0                        ;  msbs: dst=0 src0=0 src1=0 src2=0
	v_add3_u32 v14, v14, v16, v32
	s_set_vgpr_msb 1                        ;  msbs: dst=0 src0=1 src1=0 src2=0
	v_mad_i32_i24 v16, v27 /*v283*/, v175, v133
	s_set_vgpr_msb 5                        ;  msbs: dst=0 src0=1 src1=1 src2=0
	v_perm_b32 v32, v11 /*v267*/, v10 /*v266*/, 0x6040503
	s_set_vgpr_msb 4                        ;  msbs: dst=0 src0=0 src1=1 src2=0
	v_mul_i32_i24_e32 v133, v238, v29 /*v285*/
	s_set_vgpr_msb 0                        ;  msbs: dst=0 src0=0 src1=0 src2=0
	v_add3_u32 v14, v14, v16, v178
	s_set_vgpr_msb 1                        ;  msbs: dst=0 src0=1 src1=0 src2=0
	v_perm_b32 v16, v10 /*v266*/, v124, 0x6050401
	v_bfe_i32 v178, v7 /*v263*/, 0, 8
	s_set_vgpr_msb 0                        ;  msbs: dst=0 src0=0 src1=0 src2=0
	s_delay_alu instid0(VALU_DEP_2) | instskip(SKIP_3) | instid1(VALU_DEP_2)
	v_dot4_i32_iu8 v16, v17, v16, 0 neg_lo:[1,1,0]
	s_set_vgpr_msb 4                        ;  msbs: dst=0 src0=0 src1=1 src2=0
	v_perm_b32 v17, v124, v11 /*v267*/, 0x7060403
	s_set_vgpr_msb 0                        ;  msbs: dst=0 src0=0 src1=0 src2=0
	v_dot4_i32_iu8 v16, v234, v32, v16 neg_lo:[1,1,0]
	s_delay_alu instid0(VALU_DEP_1)
	v_dot4_i32_iu8 v132, v132, v17, v16 neg_lo:[1,1,0]
	v_perm_b32 v16, v9, v8, 0x6040503
	v_perm_b32 v17, v126, v129, 0x7060403
	;; [unrolled: 1-line block ×3, first 2 shown]
	s_set_vgpr_msb 1                        ;  msbs: dst=0 src0=1 src1=0 src2=0
	v_bfe_i32 v10, v26 /*v282*/, 0, 8
	s_set_vgpr_msb 16                       ;  msbs: dst=0 src0=0 src1=0 src2=1
	v_dot4_i32_iu8 v16, v235, v16, v22 /*v278*/ neg_lo:[1,1,0]
	s_set_vgpr_msb 0                        ;  msbs: dst=0 src0=0 src1=0 src2=0
	s_delay_alu instid0(VALU_DEP_1)
	v_dot4_i32_iu8 v9, v17, v9, v16 neg_lo:[1,1,0]
	s_set_vgpr_msb 4                        ;  msbs: dst=0 src0=0 src1=1 src2=0
	v_perm_b32 v16, v139, v6 /*v262*/, 0x6040503
	s_set_vgpr_msb 1                        ;  msbs: dst=0 src0=1 src1=0 src2=0
	v_perm_b32 v17, v7 /*v263*/, v138, 0x6040503
	s_set_vgpr_msb 0                        ;  msbs: dst=0 src0=0 src1=0 src2=0
	v_dot4_i32_iu8 v9, v127, v11, v9 neg_lo:[1,1,0]
	s_set_vgpr_msb 16                       ;  msbs: dst=0 src0=0 src1=0 src2=1
	s_delay_alu instid0(VALU_DEP_2) | instskip(SKIP_2) | instid1(VALU_DEP_1)
	v_dot4_i32_iu8 v16, v17, v16, v40 /*v296*/ neg_lo:[1,1,0]
	v_perm_b32 v17, v136, v139, 0x7060403
	s_set_vgpr_msb 1                        ;  msbs: dst=0 src0=1 src1=0 src2=0
	v_dot4_i32_iu8 v16, v5 /*v261*/, v17, v16 neg_lo:[1,1,0]
	s_set_vgpr_msb 0                        ;  msbs: dst=0 src0=0 src1=0 src2=0
	v_dot4_i32_iu8 v17, v7, v135, v236 neg_lo:[1,1,0]
	s_set_vgpr_msb 1                        ;  msbs: dst=0 src0=1 src1=0 src2=0
	s_delay_alu instid0(VALU_DEP_2) | instskip(SKIP_1) | instid1(VALU_DEP_2)
	v_dot4_i32_iu8 v16, v9 /*v265*/, v137, v16 neg_lo:[1,1,0]
	s_set_vgpr_msb 16                       ;  msbs: dst=0 src0=0 src1=0 src2=1
	v_mad_u32 v17, v17, v243, v39 /*v295*/
	s_set_vgpr_msb 0                        ;  msbs: dst=0 src0=0 src1=0 src2=0
	s_delay_alu instid0(VALU_DEP_2) | instskip(NEXT) | instid1(VALU_DEP_2)
	v_mad_u32 v16, v16, v242, v171
	v_cvt_f32_i32_e32 v17, v17
	s_delay_alu instid0(VALU_DEP_2) | instskip(NEXT) | instid1(VALU_DEP_1)
	v_cvt_f32_i32_e32 v16, v16
	v_pk_fma_f32 v[16:17], v[20:21], v[16:17], 0 op_sel_hi:[1,1,0]
	s_delay_alu instid0(VALU_DEP_1)
	v_pk_fma_f32 v[0:1], v[30:31], v[0:1], v[16:17]
	v_mul_i32_i24_e32 v16, v165, v157
	s_set_vgpr_msb 5                        ;  msbs: dst=0 src0=1 src1=1 src2=0
	v_mul_i32_i24_e32 v17, v34 /*v290*/, v19 /*v275*/
	v_mul_i32_i24_e32 v157, v36 /*v292*/, v21 /*v277*/
	s_set_vgpr_msb 0                        ;  msbs: dst=0 src0=0 src1=0 src2=0
	v_pk_fma_f32 v[70:71], v[116:117], v[0:1], v[70:71]
	v_mul_i32_i24_e32 v0, v178, v164
	v_mul_i32_i24_e32 v1, v169, v163
	v_mad_i32_i24 v10, v10, v156, v16
	s_set_vgpr_msb 5                        ;  msbs: dst=0 src0=1 src1=1 src2=0
	v_mad_i32_i24 v16, v35 /*v291*/, v20 /*v276*/, v157
	s_set_vgpr_msb 0                        ;  msbs: dst=0 src0=0 src1=0 src2=0
	s_delay_alu instid0(VALU_DEP_2)
	v_add3_u32 v0, v0, v1, v10
	s_set_vgpr_msb 1                        ;  msbs: dst=0 src0=1 src1=0 src2=0
	v_mad_i32_i24 v1, v28 /*v284*/, v237, v133
	s_set_vgpr_msb 5                        ;  msbs: dst=0 src0=1 src1=1 src2=0
	v_mad_i32_i24 v10, v33 /*v289*/, v18 /*v274*/, v17
	s_set_vgpr_msb 0                        ;  msbs: dst=0 src0=0 src1=0 src2=0
	v_perm_b32 v17, v3, v153, 0x5040001
	v_add3_u32 v0, v0, v150, v1
	s_delay_alu instid0(VALU_DEP_3) | instskip(SKIP_1) | instid1(VALU_DEP_2)
	v_add3_u32 v1, v151, v152, v10
	v_perm_b32 v10, v3, v19, 0x5040001
	v_add3_u32 v0, v0, v1, v16
	ds_load_b32 v1, v162
	s_set_vgpr_msb 4                        ;  msbs: dst=0 src0=0 src1=1 src2=0
	v_perm_b32 v16, v174, v17 /*v273*/, 0x5040001
	s_wait_dscnt 0x0
	v_bfe_i32 v238, v1, 8, 8
	v_bfe_i32 v239, v1, 0, 8
	s_set_vgpr_msb 0                        ;  msbs: dst=0 src0=0 src1=0 src2=0
	v_ashrrev_i32_e32 v236, 24, v1
	v_bfe_i32 v237, v1, 16, 8
	v_perm_b32 v1, v19, v2, 0x7060203
	s_set_vgpr_msb 5                        ;  msbs: dst=0 src0=1 src1=1 src2=0
	v_perm_b32 v19, v9 /*v265*/, v9 /*v265*/, 0xc030200
	s_set_vgpr_msb 0                        ;  msbs: dst=0 src0=0 src1=0 src2=0
	v_mul_lo_u32 v9, v9, v239
	v_dot4_i32_iu8 v10, v10, v1, v18 neg_lo:[1,1,0]
	s_set_vgpr_msb 1                        ;  msbs: dst=0 src0=1 src1=0 src2=0
	v_perm_b32 v1, v17 /*v273*/, v34, 0x7060203
	s_set_vgpr_msb 0                        ;  msbs: dst=0 src0=0 src1=0 src2=0
	v_perm_b32 v18, v7, v7, 0xc030200
	s_delay_alu instid0(VALU_DEP_2) | instskip(SKIP_1) | instid1(VALU_DEP_1)
	v_dot4_i32_iu8 v16, v16, v1, v22 neg_lo:[1,1,0]
	v_perm_b32 v1, v153, v2, 0x7060203
	v_dot4_i32_iu8 v14, v17, v1, v14 neg_lo:[1,1,0]
	v_perm_b32 v1, v15, v34, 0x7060203
	v_perm_b32 v15, v174, v15, 0x5040001
	;; [unrolled: 1-line block ×3, first 2 shown]
	s_delay_alu instid0(VALU_DEP_2)
	v_dot4_i32_iu8 v15, v15, v1, v35 neg_lo:[1,1,0]
	s_set_vgpr_msb 4                        ;  msbs: dst=0 src0=0 src1=1 src2=0
	v_dot4_i32_iu8 v1, v125, v13 /*v269*/, v132 neg_lo:[1,1,0]
	s_set_vgpr_msb 16                       ;  msbs: dst=0 src0=0 src1=0 src2=1
	v_dot4_i32_iu8 v17, v18, v17, v3 /*v259*/ neg_lo:[1,1,0]
	v_perm_b32 v18, v127, v127, 0xc030200
	s_set_vgpr_msb 64                       ;  msbs: dst=1 src0=0 src1=0 src2=0
	v_perm_b32 v3 /*v259*/, v149, v148, 0x6040503
	s_set_vgpr_msb 0                        ;  msbs: dst=0 src0=0 src1=0 src2=0
	v_mul_lo_u32 v1, v1, v238
	v_dot4_i32_iu8 v0, v19, v18, v0 neg_lo:[1,1,0]
	s_delay_alu instid0(VALU_DEP_1) | instskip(SKIP_3) | instid1(VALU_DEP_4)
	v_mad_u32 v0, v0, v239, v1
	v_mad_u32 v1, v17, v238, v9
	v_mul_lo_u32 v9, v10, v237
	v_mul_lo_u32 v10, v16, v236
	v_cvt_f32_i32_e32 v0, v0
	s_delay_alu instid0(VALU_DEP_4) | instskip(NEXT) | instid1(VALU_DEP_4)
	v_cvt_f32_i32_e32 v1, v1
	v_mad_u32 v9, v15, v236, v9
	s_delay_alu instid0(VALU_DEP_4) | instskip(NEXT) | instid1(VALU_DEP_3)
	v_mad_u32 v10, v14, v237, v10
	v_pk_fma_f32 v[0:1], v[20:21], v[0:1], 0 op_sel_hi:[1,1,0]
	s_delay_alu instid0(VALU_DEP_3) | instskip(NEXT) | instid1(VALU_DEP_3)
	v_cvt_f32_i32_e32 v15, v9
	v_cvt_f32_i32_e32 v14, v10
	s_delay_alu instid0(VALU_DEP_1)
	v_pk_fma_f32 v[14:15], v[30:31], v[14:15], v[0:1]
	s_set_vgpr_msb 1                        ;  msbs: dst=0 src0=1 src1=0 src2=0
	ds_load_2addr_b32 v[132:133], v25 /*v281*/ offset0:6 offset1:7
	ds_load_2addr_b32 v[152:153], v25 /*v281*/ offset0:4 offset1:5
	;; [unrolled: 1-line block ×3, first 2 shown]
	ds_load_2addr_b32 v[150:151], v25 /*v281*/ offset1:1
	ds_load_2addr_b32 v[162:163], v25 /*v281*/ offset0:13 offset1:14
	ds_load_2addr_b32 v[164:165], v25 /*v281*/ offset0:11 offset1:12
	;; [unrolled: 1-line block ×3, first 2 shown]
	s_set_vgpr_msb 0                        ;  msbs: dst=0 src0=0 src1=0 src2=0
	v_pk_fma_f32 v[68:69], v[118:119], v[14:15], v[68:69]
	s_set_vgpr_msb 1                        ;  msbs: dst=0 src0=1 src1=0 src2=0
	v_perm_b32 v14, v12 /*v268*/, v147, 0x7060403
	v_perm_b32 v15, v7 /*v263*/, v148, 0x6040503
	s_wait_dscnt 0x5
	s_set_vgpr_msb 0                        ;  msbs: dst=0 src0=0 src1=0 src2=0
	v_perm_b32 v4, v153, v4, 0x6040503
	v_perm_b32 v6, v6, v153, 0x7060403
	;; [unrolled: 1-line block ×3, first 2 shown]
	s_wait_dscnt 0x2
	v_bfe_i32 v9, v163, 8, 8
	s_wait_dscnt 0x1
	v_perm_b32 v16, v165, v165, 0xc0c0001
	v_bfe_i32 v10, v165, 16, 8
	v_perm_b32 v12, v162, v12, 0x6040503
	v_perm_b32 v164, v164, v164, 0x3020001
	v_mul_i32_i24_e32 v9, v9, v29
	s_wait_dscnt 0x0
	v_perm_b32 v157, v157, v157, 0x3020001
	s_set_vgpr_msb 1                        ;  msbs: dst=0 src0=1 src1=0 src2=0
	s_delay_alu instid0(VALU_DEP_2) | instskip(SKIP_2) | instid1(VALU_DEP_2)
	v_dot4_i32_iu8 v9, v42 /*v298*/, v16, v9 neg_lo:[1,1,0]
	s_set_vgpr_msb 0                        ;  msbs: dst=0 src0=0 src1=0 src2=0
	v_perm_b32 v16, v152, v152, 0xc0c0100
	v_mad_i32_i24 v9, v168, v10, v9
	s_set_vgpr_msb 1                        ;  msbs: dst=0 src0=1 src1=0 src2=0
	ds_load_2addr_b32 v[168:169], v25 /*v281*/ offset0:9 offset1:10
	s_set_vgpr_msb 0                        ;  msbs: dst=0 src0=0 src1=0 src2=0
	v_perm_b32 v10, v13, v165, 0x6040503
	v_perm_b32 v13, v156, v156, 0xc0c0001
	s_delay_alu instid0(VALU_DEP_2) | instskip(SKIP_2) | instid1(VALU_DEP_1)
	v_dot4_i32_iu8 v9, v12, v10, v9 neg_lo:[1,1,0]
	v_perm_b32 v10, v162, v162, 0xc0c0c03
	v_perm_b32 v12, v163, v163, 0x706000c
	v_or_b32_e32 v178, v12, v10
	s_set_vgpr_msb 1                        ;  msbs: dst=0 src0=1 src1=0 src2=0
	s_delay_alu instid0(VALU_DEP_1)
	v_dot4_i32_iu8 v10, v0 /*v256*/, v178, v9 neg_lo:[1,1,0]
	s_set_vgpr_msb 64                       ;  msbs: dst=1 src0=0 src1=0 src2=0
	v_perm_b32 v0 /*v256*/, v151, v150, 0x6040503
	s_wait_dscnt 0x0
	s_set_vgpr_msb 4                        ;  msbs: dst=0 src0=0 src1=1 src2=0
	v_bfe_i32 v9, v169, 8, 8
	v_bfe_i32 v12, v168, 16, 8
	v_dot4_i32_iu8 v10, v157, v59 /*v315*/, v10 neg_lo:[1,1,0]
	s_set_vgpr_msb 0                        ;  msbs: dst=0 src0=0 src1=0 src2=0
	s_delay_alu instid0(VALU_DEP_3) | instskip(NEXT) | instid1(VALU_DEP_1)
	v_mul_i32_i24_e32 v9, v9, v28
	v_dot4_i32_iu8 v9, v179, v13, v9 neg_lo:[1,1,0]
	v_perm_b32 v13, v156, v156, 0xc0c0302
	s_delay_alu instid0(VALU_DEP_1) | instskip(SKIP_1) | instid1(VALU_DEP_1)
	v_dot4_i32_iu8 v9, v227, v13, v9 neg_lo:[1,1,0]
	v_perm_b32 v13, v168, v168, 0xc0c0001
	v_dot4_i32_iu8 v9, v228, v13, v9 neg_lo:[1,1,0]
	v_bfe_i32 v13, v152, 16, 8
	s_delay_alu instid0(VALU_DEP_2) | instskip(SKIP_1) | instid1(VALU_DEP_1)
	v_mad_i32_i24 v9, v12, v27, v9
	v_perm_b32 v12, v169, v168, 0xc0c0403
	v_dot4_i32_iu8 v9, v229, v12, v9 neg_lo:[1,1,0]
	v_perm_b32 v12, v169, v169, 0xc0c0302
	s_delay_alu instid0(VALU_DEP_1) | instskip(SKIP_3) | instid1(VALU_DEP_3)
	v_dot4_i32_iu8 v12, v230, v12, v9 neg_lo:[1,1,0]
	v_bfe_i32 v9, v132, 8, 8
	v_perm_b32 v230, v160, v160, 0x3020001
	s_set_vgpr_msb 4                        ;  msbs: dst=0 src0=0 src1=1 src2=0
	v_dot4_i32_iu8 v12, v164, v37 /*v293*/, v12 neg_lo:[1,1,0]
	s_set_vgpr_msb 0                        ;  msbs: dst=0 src0=0 src1=0 src2=0
	v_mul_i32_i24_e32 v9, v9, v25
	s_delay_alu instid0(VALU_DEP_1) | instskip(SKIP_1) | instid1(VALU_DEP_2)
	v_dot4_i32_iu8 v9, v231, v16, v9 neg_lo:[1,1,0]
	v_perm_b32 v231, v155, v155, 0x3020001
	v_mad_i32_i24 v9, v13, v26, v9
	v_perm_b32 v13, v5, v152, 0x6040503
	v_perm_b32 v5, v132, v5, 0x7060403
	s_set_vgpr_msb 20                       ;  msbs: dst=0 src0=0 src1=1 src2=1
	v_dot4_i32_iu8 v16, v231, v59 /*v315*/, v43 /*v299*/ neg_lo:[1,1,0]
	s_set_vgpr_msb 0                        ;  msbs: dst=0 src0=0 src1=0 src2=0
	v_dot4_i32_iu8 v4, v13, v4, v9 neg_lo:[1,1,0]
	v_perm_b32 v9, v167, v167, 0x706000c
	s_delay_alu instid0(VALU_DEP_2) | instskip(SKIP_2) | instid1(VALU_DEP_3)
	v_dot4_i32_iu8 v6, v5, v6, v4 neg_lo:[1,1,0]
	v_bfe_i32 v4, v0, 8, 8
	v_perm_b32 v5, v151, v151, 0xc0c0001
	v_dot4_i32_iu8 v6, v7, v133, v6 neg_lo:[1,1,0]
	s_delay_alu instid0(VALU_DEP_3) | instskip(NEXT) | instid1(VALU_DEP_1)
	v_mul_i32_i24_e32 v4, v4, v24
	v_dot4_i32_iu8 v4, v150, v8, v4 neg_lo:[1,1,0]
	s_set_vgpr_msb 1                        ;  msbs: dst=0 src0=1 src1=0 src2=0
	v_perm_b32 v8, v15 /*v271*/, v161, 0x6040503
	s_set_vgpr_msb 0                        ;  msbs: dst=0 src0=0 src1=0 src2=0
	s_delay_alu instid0(VALU_DEP_2) | instskip(SKIP_1) | instid1(VALU_DEP_1)
	v_dot4_i32_iu8 v4, v232, v5, v4 neg_lo:[1,1,0]
	v_perm_b32 v5, v151, v151, 0xc0c0302
	v_dot4_i32_iu8 v4, v233, v5, v4 neg_lo:[1,1,0]
	v_perm_b32 v5, v0, v0, 0xc030200
	v_perm_b32 v233, v147, v146, 0x6040503
	s_delay_alu instid0(VALU_DEP_2)
	v_dot4_i32_iu8 v13, v5, v246, v4 neg_lo:[1,1,0]
	s_set_vgpr_msb 1                        ;  msbs: dst=0 src0=1 src1=0 src2=0
	v_perm_b32 v4, v14 /*v270*/, v159, 0x6040501
	s_set_vgpr_msb 4                        ;  msbs: dst=0 src0=0 src1=1 src2=0
	v_perm_b32 v5, v161, v16 /*v272*/, 0x6040501
	s_set_vgpr_msb 0                        ;  msbs: dst=0 src0=0 src1=0 src2=0
	s_delay_alu instid0(VALU_DEP_1) | instskip(SKIP_3) | instid1(VALU_DEP_1)
	v_dot4_i32_iu8 v4, v5, v4, 0 neg_lo:[1,1,0]
	s_set_vgpr_msb 4                        ;  msbs: dst=0 src0=0 src1=1 src2=0
	v_perm_b32 v5, v158, v14 /*v270*/, 0x6040503
	s_set_vgpr_msb 0                        ;  msbs: dst=0 src0=0 src1=0 src2=0
	v_dot4_i32_iu8 v4, v8, v5, v4 neg_lo:[1,1,0]
	v_perm_b32 v5, v154, v167, 0x6040501
	v_perm_b32 v8, v166, v154, 0x6040503
	s_delay_alu instid0(VALU_DEP_3) | instskip(SKIP_1) | instid1(VALU_DEP_3)
	v_dot4_i32_iu8 v4, v177, v23, v4 neg_lo:[1,1,0]
	s_set_vgpr_msb 1                        ;  msbs: dst=0 src0=1 src1=0 src2=0
	v_dot4_i32_iu8 v5, v49 /*v305*/, v5, 0 neg_lo:[1,1,0]
	s_delay_alu instid0(VALU_DEP_1) | instskip(SKIP_2) | instid1(VALU_DEP_1)
	v_dot4_i32_iu8 v5, v51 /*v307*/, v8, v5 neg_lo:[1,1,0]
	s_set_vgpr_msb 0                        ;  msbs: dst=0 src0=0 src1=0 src2=0
	v_perm_b32 v8, v166, v166, 0xc0c0c03
	v_or_b32_e32 v246, v9, v8
	s_set_vgpr_msb 1                        ;  msbs: dst=0 src0=1 src1=0 src2=0
	v_perm_b32 v8, v10 /*v266*/, v142, 0x6050401
	s_set_vgpr_msb 4                        ;  msbs: dst=0 src0=0 src1=1 src2=0
	v_perm_b32 v9, v146, v12 /*v268*/, 0x6050401
	s_set_vgpr_msb 1                        ;  msbs: dst=0 src0=1 src1=0 src2=0
	v_dot4_i32_iu8 v5, v57 /*v313*/, v246, v5 neg_lo:[1,1,0]
	s_set_vgpr_msb 0                        ;  msbs: dst=0 src0=0 src1=0 src2=0
	s_delay_alu instid0(VALU_DEP_2)
	v_dot4_i32_iu8 v8, v9, v8, 0 neg_lo:[1,1,0]
	s_set_vgpr_msb 4                        ;  msbs: dst=0 src0=0 src1=1 src2=0
	v_perm_b32 v9, v142, v11 /*v267*/, 0x7060403
	v_dot4_i32_iu8 v17, v230, v58 /*v314*/, v5 neg_lo:[1,1,0]
	s_set_vgpr_msb 16                       ;  msbs: dst=0 src0=0 src1=0 src2=1
	v_dot4_i32_iu8 v5, v145, v11, v46 /*v302*/ neg_lo:[1,1,0]
	s_set_vgpr_msb 0                        ;  msbs: dst=0 src0=0 src1=0 src2=0
	v_dot4_i32_iu8 v8, v233, v32, v8 neg_lo:[1,1,0]
	s_delay_alu instid0(VALU_DEP_1)
	v_dot4_i32_iu8 v8, v14, v9, v8 neg_lo:[1,1,0]
	s_set_vgpr_msb 1                        ;  msbs: dst=0 src0=1 src1=0 src2=0
	v_perm_b32 v9, v6 /*v262*/, v144, 0x6050401
	s_set_vgpr_msb 4                        ;  msbs: dst=0 src0=0 src1=1 src2=0
	v_perm_b32 v14, v148, v8 /*v264*/, 0x6050401
	s_set_vgpr_msb 0                        ;  msbs: dst=0 src0=0 src1=0 src2=0
	s_delay_alu instid0(VALU_DEP_1) | instskip(SKIP_3) | instid1(VALU_DEP_1)
	v_dot4_i32_iu8 v9, v14, v9, 0 neg_lo:[1,1,0]
	s_set_vgpr_msb 4                        ;  msbs: dst=0 src0=0 src1=1 src2=0
	v_perm_b32 v14, v149, v6 /*v262*/, 0x6040503
	s_set_vgpr_msb 0                        ;  msbs: dst=0 src0=0 src1=0 src2=0
	v_dot4_i32_iu8 v9, v15, v14, v9 neg_lo:[1,1,0]
	v_perm_b32 v14, v144, v149, 0x7060403
	s_set_vgpr_msb 4                        ;  msbs: dst=0 src0=0 src1=1 src2=0
	v_dot4_i32_iu8 v15, v231, v38 /*v294*/, v4 neg_lo:[1,1,0]
	v_dot4_i32_iu8 v4, v143, v13 /*v269*/, v8 neg_lo:[1,1,0]
	s_set_vgpr_msb 16                       ;  msbs: dst=0 src0=0 src1=0 src2=1
	v_dot4_i32_iu8 v8, v7, v143, v45 /*v301*/ neg_lo:[1,1,0]
	s_set_vgpr_msb 1                        ;  msbs: dst=0 src0=1 src1=0 src2=0
	v_dot4_i32_iu8 v9, v5 /*v261*/, v14, v9 neg_lo:[1,1,0]
	ds_load_b32 v14, v23 /*v279*/
	v_dot4_i32_iu8 v9, v9 /*v265*/, v145, v9 neg_lo:[1,1,0]
	s_wait_dscnt 0x0
	s_set_vgpr_msb 0                        ;  msbs: dst=0 src0=0 src1=0 src2=0
	v_bfe_i32 v228, v14, 0, 8
	v_bfe_i32 v229, v14, 8, 8
	v_ashrrev_i32_e32 v179, 24, v14
	v_bfe_i32 v227, v14, 16, 8
	s_set_vgpr_msb 20                       ;  msbs: dst=0 src0=0 src1=1 src2=1
	v_dot4_i32_iu8 v14, v230, v37 /*v293*/, v44 /*v300*/ neg_lo:[1,1,0]
	s_set_vgpr_msb 0                        ;  msbs: dst=0 src0=0 src1=0 src2=0
	v_mul_lo_u32 v5, v5, v228
	v_mul_lo_u32 v4, v4, v229
	s_delay_alu instid0(VALU_DEP_2) | instskip(NEXT) | instid1(VALU_DEP_2)
	v_mad_u32 v5, v8, v229, v5
	v_mad_u32 v4, v9, v228, v4
	v_mul_lo_u32 v8, v14, v227
	v_mul_lo_u32 v9, v15, v179
	s_set_vgpr_msb 1                        ;  msbs: dst=0 src0=1 src1=0 src2=0
	v_perm_b32 v15, v7 /*v263*/, v150, 0x6040503
	s_set_vgpr_msb 0                        ;  msbs: dst=0 src0=0 src1=0 src2=0
	v_cvt_f32_i32_e32 v5, v5
	v_cvt_f32_i32_e32 v4, v4
	v_mad_u32 v8, v16, v179, v8
	v_mad_u32 v14, v17, v227, v9
	s_delay_alu instid0(VALU_DEP_3) | instskip(NEXT) | instid1(VALU_DEP_3)
	v_pk_fma_f32 v[4:5], v[20:21], v[4:5], 0 op_sel_hi:[1,1,0]
	v_cvt_f32_i32_e32 v9, v8
	s_delay_alu instid0(VALU_DEP_3) | instskip(SKIP_3) | instid1(VALU_DEP_2)
	v_cvt_f32_i32_e32 v8, v14
	s_set_vgpr_msb 1                        ;  msbs: dst=0 src0=1 src1=0 src2=0
	v_perm_b32 v14, v12 /*v268*/, v153, 0x7060403
	s_set_vgpr_msb 0                        ;  msbs: dst=0 src0=0 src1=0 src2=0
	v_pk_fma_f32 v[4:5], v[30:31], v[8:9], v[4:5]
	s_set_vgpr_msb 1                        ;  msbs: dst=0 src0=1 src1=0 src2=0
	v_perm_b32 v8, v15 /*v271*/, v165, 0x6040503
	s_set_vgpr_msb 0                        ;  msbs: dst=0 src0=0 src1=0 src2=0
	v_perm_b32 v9, v169, v169, 0x706000c
	v_pk_fma_f32 v[66:67], v[120:121], v[4:5], v[66:67]
	s_set_vgpr_msb 1                        ;  msbs: dst=0 src0=1 src1=0 src2=0
	v_perm_b32 v4, v14 /*v270*/, v163, 0x6040501
	s_set_vgpr_msb 4                        ;  msbs: dst=0 src0=0 src1=1 src2=0
	v_perm_b32 v5, v165, v16 /*v272*/, 0x6040501
	s_set_vgpr_msb 0                        ;  msbs: dst=0 src0=0 src1=0 src2=0
	s_delay_alu instid0(VALU_DEP_1) | instskip(SKIP_3) | instid1(VALU_DEP_1)
	v_dot4_i32_iu8 v4, v5, v4, 0 neg_lo:[1,1,0]
	s_set_vgpr_msb 4                        ;  msbs: dst=0 src0=0 src1=1 src2=0
	v_perm_b32 v5, v162, v14 /*v270*/, 0x6040503
	s_set_vgpr_msb 0                        ;  msbs: dst=0 src0=0 src1=0 src2=0
	v_dot4_i32_iu8 v4, v8, v5, v4 neg_lo:[1,1,0]
	v_perm_b32 v5, v156, v169, 0x6040501
	v_perm_b32 v8, v168, v156, 0x6040503
	s_delay_alu instid0(VALU_DEP_3) | instskip(SKIP_1) | instid1(VALU_DEP_3)
	v_dot4_i32_iu8 v4, v178, v23, v4 neg_lo:[1,1,0]
	s_set_vgpr_msb 1                        ;  msbs: dst=0 src0=1 src1=0 src2=0
	v_dot4_i32_iu8 v5, v49 /*v305*/, v5, 0 neg_lo:[1,1,0]
	s_delay_alu instid0(VALU_DEP_1) | instskip(SKIP_2) | instid1(VALU_DEP_1)
	v_dot4_i32_iu8 v5, v51 /*v307*/, v8, v5 neg_lo:[1,1,0]
	s_set_vgpr_msb 0                        ;  msbs: dst=0 src0=0 src1=0 src2=0
	v_perm_b32 v8, v168, v168, 0xc0c0c03
	v_or_b32_e32 v232, v9, v8
	s_set_vgpr_msb 1                        ;  msbs: dst=0 src0=1 src1=0 src2=0
	v_perm_b32 v8, v10 /*v266*/, v132, 0x6050401
	s_set_vgpr_msb 4                        ;  msbs: dst=0 src0=0 src1=1 src2=0
	v_perm_b32 v9, v152, v12 /*v268*/, 0x6050401
	s_set_vgpr_msb 1                        ;  msbs: dst=0 src0=1 src1=0 src2=0
	v_dot4_i32_iu8 v5, v57 /*v313*/, v232, v5 neg_lo:[1,1,0]
	s_set_vgpr_msb 0                        ;  msbs: dst=0 src0=0 src1=0 src2=0
	s_delay_alu instid0(VALU_DEP_2) | instskip(SKIP_3) | instid1(VALU_DEP_2)
	v_dot4_i32_iu8 v8, v9, v8, 0 neg_lo:[1,1,0]
	s_set_vgpr_msb 4                        ;  msbs: dst=0 src0=0 src1=1 src2=0
	v_perm_b32 v9, v132, v11 /*v267*/, 0x7060403
	s_set_vgpr_msb 0                        ;  msbs: dst=0 src0=0 src1=0 src2=0
	v_dot4_i32_iu8 v8, v171, v32, v8 neg_lo:[1,1,0]
	s_delay_alu instid0(VALU_DEP_1)
	v_dot4_i32_iu8 v8, v14, v9, v8 neg_lo:[1,1,0]
	s_set_vgpr_msb 1                        ;  msbs: dst=0 src0=1 src1=0 src2=0
	v_perm_b32 v9, v6 /*v262*/, v0, 0x6050401
	s_set_vgpr_msb 4                        ;  msbs: dst=0 src0=0 src1=1 src2=0
	v_perm_b32 v14, v150, v8 /*v264*/, 0x6050401
	s_set_vgpr_msb 0                        ;  msbs: dst=0 src0=0 src1=0 src2=0
	s_delay_alu instid0(VALU_DEP_1) | instskip(SKIP_3) | instid1(VALU_DEP_1)
	v_dot4_i32_iu8 v9, v14, v9, 0 neg_lo:[1,1,0]
	s_set_vgpr_msb 4                        ;  msbs: dst=0 src0=0 src1=1 src2=0
	v_perm_b32 v14, v151, v6 /*v262*/, 0x6040503
	s_set_vgpr_msb 0                        ;  msbs: dst=0 src0=0 src1=0 src2=0
	v_dot4_i32_iu8 v9, v15, v14, v9 neg_lo:[1,1,0]
	v_perm_b32 v14, v0, v151, 0x7060403
	s_set_vgpr_msb 4                        ;  msbs: dst=0 src0=0 src1=1 src2=0
	v_dot4_i32_iu8 v15, v164, v58 /*v314*/, v5 neg_lo:[1,1,0]
	s_set_vgpr_msb 0                        ;  msbs: dst=0 src0=0 src1=0 src2=0
	v_dot4_i32_iu8 v5, v1, v11, v13 neg_lo:[1,1,0]
	s_set_vgpr_msb 1                        ;  msbs: dst=0 src0=1 src1=0 src2=0
	v_dot4_i32_iu8 v9, v5 /*v261*/, v14, v9 neg_lo:[1,1,0]
	ds_load_b32 v14, v24 /*v280*/
	s_set_vgpr_msb 64                       ;  msbs: dst=1 src0=0 src1=0 src2=0
	v_perm_b32 v5 /*v261*/, v139, v138, 0x6040503
	s_set_vgpr_msb 1                        ;  msbs: dst=0 src0=1 src1=0 src2=0
	v_dot4_i32_iu8 v7, v9 /*v265*/, v1, v9 neg_lo:[1,1,0]
	s_wait_dscnt 0x0
	s_set_vgpr_msb 0                        ;  msbs: dst=0 src0=0 src1=0 src2=0
	v_bfe_i32 v155, v14, 0, 8
	v_bfe_i32 v160, v14, 8, 8
	v_ashrrev_i32_e32 v32, 24, v14
	v_bfe_i32 v35, v14, 16, 8
	s_set_vgpr_msb 4                        ;  msbs: dst=0 src0=0 src1=1 src2=0
	v_dot4_i32_iu8 v14, v157, v38 /*v294*/, v4 neg_lo:[1,1,0]
	v_dot4_i32_iu8 v4, v133, v13 /*v269*/, v8 neg_lo:[1,1,0]
	s_set_vgpr_msb 0                        ;  msbs: dst=0 src0=0 src1=0 src2=0
	v_mul_lo_u32 v5, v5, v155
	s_delay_alu instid0(VALU_DEP_2) | instskip(NEXT) | instid1(VALU_DEP_2)
	v_mul_lo_u32 v4, v4, v160
	v_mad_u32 v5, v6, v160, v5
	v_mul_lo_u32 v6, v12, v35
	s_delay_alu instid0(VALU_DEP_3) | instskip(SKIP_1) | instid1(VALU_DEP_4)
	v_mad_u32 v4, v7, v155, v4
	v_mul_lo_u32 v7, v14, v32
	v_cvt_f32_i32_e32 v5, v5
	s_delay_alu instid0(VALU_DEP_4) | instskip(NEXT) | instid1(VALU_DEP_4)
	v_mad_u32 v6, v10, v32, v6
	v_cvt_f32_i32_e32 v4, v4
	s_delay_alu instid0(VALU_DEP_4) | instskip(NEXT) | instid1(VALU_DEP_2)
	v_mad_u32 v8, v15, v35, v7
	v_pk_fma_f32 v[4:5], v[20:21], v[4:5], 0 op_sel_hi:[1,1,0]
	s_delay_alu instid0(VALU_DEP_4) | instskip(NEXT) | instid1(VALU_DEP_3)
	v_cvt_f32_i32_e32 v7, v6
	v_cvt_f32_i32_e32 v6, v8
	s_delay_alu instid0(VALU_DEP_1) | instskip(NEXT) | instid1(VALU_DEP_1)
	v_pk_fma_f32 v[4:5], v[30:31], v[6:7], v[4:5]
	v_pk_fma_f32 v[64:65], v[122:123], v[4:5], v[64:65]
	v_or_b32_e32 v4, s10, v208
	s_delay_alu instid0(VALU_DEP_1)
	v_lshlrev_b32_e32 v16, 2, v4
	s_set_vgpr_msb 64                       ;  msbs: dst=1 src0=0 src1=0 src2=0
	v_lshrrev_b32_e32 v6 /*v262*/, 1, v4
	s_set_vgpr_msb 0                        ;  msbs: dst=0 src0=0 src1=0 src2=0
	ds_load_b128 v[8:11], v16 offset:33280
	ds_load_b128 v[4:7], v16 offset:33296
	;; [unrolled: 1-line block ×4, first 2 shown]
	s_wait_dscnt 0x3
	v_perm_b32 v30, v10, v139, 0x7060403
	s_wait_dscnt 0x2
	v_perm_b32 v29, v5, v140, 0x6040503
	s_wait_dscnt 0x1
	v_bfe_i32 v20, v14, 8, 8
	s_wait_dscnt 0x0
	v_perm_b32 v24, v16, v18, 0x6040501
	v_perm_b32 v25, v17, v16, 0x6040503
	v_bfe_i32 v21, v12, 8, 8
	v_perm_b32 v26, v18, v17, 0x7060403
	v_mul_i32_i24_e32 v20, v20, v175
	s_set_vgpr_msb 4                        ;  msbs: dst=0 src0=0 src1=1 src2=0
	v_dot4_i32_iu8 v24, v24, v1 /*v257*/, 0 neg_lo:[1,1,0]
	s_set_vgpr_msb 0                        ;  msbs: dst=0 src0=0 src1=0 src2=0
	v_perm_b32 v27, v170, v14, 0x6040501
	v_bfe_i32 v22, v14, 16, 8
	v_ashrrev_i32_e32 v23, 24, v14
	v_mad_i32_i24 v20, v21, v176, v20
	s_set_vgpr_msb 4                        ;  msbs: dst=0 src0=0 src1=1 src2=0
	v_dot4_i32_iu8 v24, v25, v2 /*v258*/, v24 neg_lo:[1,1,0]
	s_set_vgpr_msb 0                        ;  msbs: dst=0 src0=0 src1=0 src2=0
	v_perm_b32 v21, v13, v12, 0x5030200
	v_perm_b32 v28, v13, v170, 0x6040503
	v_mul_i32_i24_e32 v22, v253, v22
	v_mul_i32_i24_e32 v23, v252, v23
	s_set_vgpr_msb 64                       ;  msbs: dst=1 src0=0 src1=0 src2=0
	v_dot4_i32_iu8 v7 /*v263*/, v26, v255, v24 neg_lo:[1,1,0]
	s_set_vgpr_msb 0                        ;  msbs: dst=0 src0=0 src1=0 src2=0
	v_perm_b32 v24, v12, v173, 0x6040501
	v_dot4_i32_iu8 v20, v251, v21, v20 neg_lo:[1,1,0]
	v_perm_b32 v21, v14, v13, 0x4030200
	s_set_vgpr_msb 64                       ;  msbs: dst=1 src0=0 src1=0 src2=0
	v_perm_b32 v33 /*v289*/, v15, v15, 0x7060001
	s_set_vgpr_msb 0                        ;  msbs: dst=0 src0=0 src1=0 src2=0
	v_dot4_i32_iu8 v24, v27, v24, 0 neg_lo:[1,1,0]
	v_perm_b32 v27, v172, v12, 0x6040503
	v_dot4_i32_iu8 v20, v254, v21, v20 neg_lo:[1,1,0]
	v_perm_b32 v21, v130, v6, 0x6050401
	s_delay_alu instid0(VALU_DEP_3)
	v_dot4_i32_iu8 v24, v28, v27, v24 neg_lo:[1,1,0]
	v_perm_b32 v27, v14, v13, 0x7060403
	v_perm_b32 v28, v140, v6, 0x6050401
	s_set_vgpr_msb 64                       ;  msbs: dst=1 src0=0 src1=0 src2=0
	v_add3_u32 v16 /*v272*/, v20, v22, v23
	s_set_vgpr_msb 0                        ;  msbs: dst=0 src0=0 src1=0 src2=0
	v_perm_b32 v20, v4, v124, 0x6050401
	v_perm_b32 v22, v124, v5, 0x7060403
	s_set_vgpr_msb 0x41                     ;  msbs: dst=1 src0=1 src1=0 src2=0
	v_dot4_i32_iu8 v12 /*v268*/, v4 /*v260*/, v27, v24 neg_lo:[1,1,0]
	s_set_vgpr_msb 0                        ;  msbs: dst=0 src0=0 src1=0 src2=0
	v_perm_b32 v24, v4, v134, 0x6050401
	v_perm_b32 v23, v6, v131, 0x7060403
	v_dot4_i32_iu8 v20, v21, v20, 0 neg_lo:[1,1,0]
	v_perm_b32 v21, v5, v4, 0x6040503
	s_delay_alu instid0(VALU_DEP_4) | instskip(SKIP_1) | instid1(VALU_DEP_3)
	v_dot4_i32_iu8 v24, v28, v24, 0 neg_lo:[1,1,0]
	v_perm_b32 v28, v141, v4, 0x6040503
	v_dot4_i32_iu8 v20, v234, v21, v20 neg_lo:[1,1,0]
	s_delay_alu instid0(VALU_DEP_2) | instskip(SKIP_2) | instid1(VALU_DEP_3)
	v_dot4_i32_iu8 v24, v29, v28, v24 neg_lo:[1,1,0]
	v_perm_b32 v28, v6, v5, 0x7060403
	s_set_vgpr_msb 64                       ;  msbs: dst=1 src0=0 src1=0 src2=0
	v_dot4_i32_iu8 v17 /*v273*/, v23, v22, v20 neg_lo:[1,1,0]
	s_set_vgpr_msb 0                        ;  msbs: dst=0 src0=0 src1=0 src2=0
	v_perm_b32 v20, v8, v126, 0x6050401
	v_perm_b32 v22, v128, v10, 0x6050401
	;; [unrolled: 1-line block ×3, first 2 shown]
	s_set_vgpr_msb 64                       ;  msbs: dst=1 src0=0 src1=0 src2=0
	v_dot4_i32_iu8 v13 /*v269*/, v28, v247, v24 neg_lo:[1,1,0]
	s_set_vgpr_msb 0                        ;  msbs: dst=0 src0=0 src1=0 src2=0
	v_perm_b32 v24, v8, v136, 0x6050401
	v_perm_b32 v28, v138, v10, 0x6050401
	v_dot4_i32_iu8 v20, v22, v20, 0 neg_lo:[1,1,0]
	v_perm_b32 v22, v126, v9, 0x7060403
	v_perm_b32 v29, v136, v9, 0x7060403
	s_delay_alu instid0(VALU_DEP_4) | instskip(SKIP_1) | instid1(VALU_DEP_1)
	v_dot4_i32_iu8 v24, v28, v24, 0 neg_lo:[1,1,0]
	v_perm_b32 v28, v9, v8, 0x6040503
	v_dot4_i32_iu8 v20, v235, v28, v20 neg_lo:[1,1,0]
	s_set_vgpr_msb 1                        ;  msbs: dst=0 src0=1 src1=0 src2=0
	s_delay_alu instid0(VALU_DEP_3) | instskip(SKIP_1) | instid1(VALU_DEP_2)
	v_dot4_i32_iu8 v24, v5 /*v261*/, v28, v24 neg_lo:[1,1,0]
	s_set_vgpr_msb 64                       ;  msbs: dst=1 src0=0 src1=0 src2=0
	v_dot4_i32_iu8 v18 /*v274*/, v23, v22, v20 neg_lo:[1,1,0]
	s_set_vgpr_msb 0                        ;  msbs: dst=0 src0=0 src1=0 src2=0
	v_perm_b32 v20, v16, v159, 0x6040501
	v_perm_b32 v22, v161, v18, 0x6040501
	;; [unrolled: 1-line block ×3, first 2 shown]
	s_set_vgpr_msb 64                       ;  msbs: dst=1 src0=0 src1=0 src2=0
	v_dot4_i32_iu8 v14 /*v270*/, v30, v29, v24 neg_lo:[1,1,0]
	s_set_vgpr_msb 0                        ;  msbs: dst=0 src0=0 src1=0 src2=0
	v_perm_b32 v29, v18, v18, 0xc0c0c01
	v_perm_b32 v18, v165, v18, 0x6040501
	v_dot4_i32_iu8 v20, v22, v20, 0 neg_lo:[1,1,0]
	v_perm_b32 v22, v158, v16, 0x6040503
	v_perm_b32 v24, v16, v33, 0x6040503
	;; [unrolled: 1-line block ×3, first 2 shown]
	s_delay_alu instid0(VALU_DEP_3)
	v_dot4_i32_iu8 v20, v23, v22, v20 neg_lo:[1,1,0]
	v_perm_b32 v22, v154, v14, 0x6040501
	v_perm_b32 v23, v13, v154, 0x6040503
	;; [unrolled: 1-line block ×4, first 2 shown]
	s_set_vgpr_msb 64                       ;  msbs: dst=1 src0=0 src1=0 src2=0
	v_dot4_i32_iu8 v19 /*v275*/, v177, v26, v20 neg_lo:[1,1,0]
	s_set_vgpr_msb 0                        ;  msbs: dst=0 src0=0 src1=0 src2=0
	v_perm_b32 v20, v12, v167, 0x6040501
	s_delay_alu instid0(VALU_DEP_1) | instskip(SKIP_1) | instid1(VALU_DEP_1)
	v_dot4_i32_iu8 v20, v22, v20, 0 neg_lo:[1,1,0]
	v_perm_b32 v22, v166, v12, 0x6040503
	v_dot4_i32_iu8 v20, v23, v22, v20 neg_lo:[1,1,0]
	v_perm_b32 v22, v146, v6, 0x6050401
	v_perm_b32 v23, v6, v147, 0x7060403
	s_set_vgpr_msb 64                       ;  msbs: dst=1 src0=0 src1=0 src2=0
	s_delay_alu instid0(VALU_DEP_3) | instskip(SKIP_3) | instid1(VALU_DEP_2)
	v_dot4_i32_iu8 v20 /*v276*/, v246, v27, v20 neg_lo:[1,1,0]
	s_set_vgpr_msb 0                        ;  msbs: dst=0 src0=0 src1=0 src2=0
	v_perm_b32 v20, v4, v142, 0x6050401
	v_perm_b32 v4, v4, v132, 0x6050401
	v_dot4_i32_iu8 v20, v22, v20, 0 neg_lo:[1,1,0]
	v_perm_b32 v22, v142, v5, 0x7060403
	v_perm_b32 v5, v132, v5, 0x7060403
	s_delay_alu instid0(VALU_DEP_3) | instskip(SKIP_1) | instid1(VALU_DEP_1)
	v_dot4_i32_iu8 v20, v233, v21, v20 neg_lo:[1,1,0]
	s_set_vgpr_msb 64                       ;  msbs: dst=1 src0=0 src1=0 src2=0
	v_dot4_i32_iu8 v21 /*v277*/, v23, v22, v20 neg_lo:[1,1,0]
	s_set_vgpr_msb 0                        ;  msbs: dst=0 src0=0 src1=0 src2=0
	v_perm_b32 v20, v8, v144, 0x6050401
	v_perm_b32 v22, v148, v10, 0x6050401
	v_perm_b32 v23, v10, v149, 0x7060403
	s_delay_alu instid0(VALU_DEP_2) | instskip(SKIP_2) | instid1(VALU_DEP_2)
	v_dot4_i32_iu8 v20, v22, v20, 0 neg_lo:[1,1,0]
	v_perm_b32 v22, v144, v9, 0x7060403
	s_set_vgpr_msb 1                        ;  msbs: dst=0 src0=1 src1=0 src2=0
	v_dot4_i32_iu8 v20, v3 /*v259*/, v28, v20 neg_lo:[1,1,0]
	s_set_vgpr_msb 64                       ;  msbs: dst=1 src0=0 src1=0 src2=0
	s_delay_alu instid0(VALU_DEP_1) | instskip(SKIP_3) | instid1(VALU_DEP_2)
	v_dot4_i32_iu8 v22 /*v278*/, v23, v22, v20 neg_lo:[1,1,0]
	s_set_vgpr_msb 0                        ;  msbs: dst=0 src0=0 src1=0 src2=0
	v_perm_b32 v20, v16, v163, 0x6040501
	v_perm_b32 v16, v162, v16, 0x6040503
	v_dot4_i32_iu8 v18, v18, v20, 0 neg_lo:[1,1,0]
	s_delay_alu instid0(VALU_DEP_1) | instskip(SKIP_1) | instid1(VALU_DEP_1)
	v_dot4_i32_iu8 v16, v17, v16, v18 neg_lo:[1,1,0]
	s_set_vgpr_msb 64                       ;  msbs: dst=1 src0=0 src1=0 src2=0
	v_dot4_i32_iu8 v23 /*v279*/, v178, v26, v16 neg_lo:[1,1,0]
	s_set_vgpr_msb 0                        ;  msbs: dst=0 src0=0 src1=0 src2=0
	v_perm_b32 v16, v12, v169, 0x6040501
	v_perm_b32 v12, v168, v12, 0x6040503
	s_delay_alu instid0(VALU_DEP_2) | instskip(NEXT) | instid1(VALU_DEP_1)
	v_dot4_i32_iu8 v14, v14, v16, 0 neg_lo:[1,1,0]
	v_dot4_i32_iu8 v12, v13, v12, v14 neg_lo:[1,1,0]
	s_delay_alu instid0(VALU_DEP_1) | instskip(SKIP_3) | instid1(VALU_DEP_3)
	v_dot4_i32_iu8 v14, v232, v27, v12 neg_lo:[1,1,0]
	v_perm_b32 v12, v152, v6, 0x6050401
	v_perm_b32 v6, v6, v153, 0x7060403
	s_set_vgpr_msb 4                        ;  msbs: dst=0 src0=0 src1=1 src2=0
	v_dot4_i32_iu8 v14, v164, v33 /*v289*/, v14 neg_lo:[1,1,0]
	s_set_vgpr_msb 0                        ;  msbs: dst=0 src0=0 src1=0 src2=0
	v_dot4_i32_iu8 v4, v12, v4, 0 neg_lo:[1,1,0]
	s_delay_alu instid0(VALU_DEP_1) | instskip(NEXT) | instid1(VALU_DEP_1)
	v_dot4_i32_iu8 v4, v171, v21, v4 neg_lo:[1,1,0]
	v_dot4_i32_iu8 v6, v6, v5, v4 neg_lo:[1,1,0]
	v_perm_b32 v4, v8, v0, 0x6050401
	v_perm_b32 v5, v150, v10, 0x6050401
	v_perm_b32 v8, v10, v151, 0x7060403
	s_delay_alu instid0(VALU_DEP_4) | instskip(NEXT) | instid1(VALU_DEP_3)
	v_dot4_i32_iu8 v6, v7, v133, v6 neg_lo:[1,1,0]
	v_dot4_i32_iu8 v4, v5, v4, 0 neg_lo:[1,1,0]
	v_perm_b32 v5, v0, v9, 0x7060403
	s_set_vgpr_msb 1                        ;  msbs: dst=0 src0=1 src1=0 src2=0
	s_delay_alu instid0(VALU_DEP_2) | instskip(SKIP_1) | instid1(VALU_DEP_1)
	v_dot4_i32_iu8 v4, v0 /*v256*/, v28, v4 neg_lo:[1,1,0]
	s_set_vgpr_msb 0                        ;  msbs: dst=0 src0=0 src1=0 src2=0
	v_dot4_i32_iu8 v10, v8, v5, v4 neg_lo:[1,1,0]
	v_or_b32_e32 v4, s10, v209
	v_or_b32_e32 v29, v248, v29
	s_delay_alu instid0(VALU_DEP_3) | instskip(NEXT) | instid1(VALU_DEP_3)
	v_dot4_i32_iu8 v10, v1, v11, v10 neg_lo:[1,1,0]
	v_lshlrev_b32_e32 v5, 2, v4
	s_delay_alu instid0(VALU_DEP_3) | instskip(SKIP_1) | instid1(VALU_DEP_4)
	v_dot4_i32_iu8 v24, v29, v24, 0 neg_lo:[1,1,0]
	v_lshrrev_b32_e32 v8, 1, v4
	v_mul_lo_u32 v10, v10, v155
	s_delay_alu instid0(VALU_DEP_3) | instskip(SKIP_1) | instid1(VALU_DEP_1)
	v_dot4_i32_iu8 v24, v25, v249, v24 neg_lo:[1,1,0]
	s_set_vgpr_msb 64                       ;  msbs: dst=1 src0=0 src1=0 src2=0
	v_dot4_i32_iu8 v15 /*v271*/, v250, v26, v24 neg_lo:[1,1,0]
	s_set_vgpr_msb 0                        ;  msbs: dst=0 src0=0 src1=0 src2=0
	ds_load_b128 v[20:23], v5 offset:33280
	ds_load_b128 v[24:27], v5 offset:33296
	;; [unrolled: 1-line block ×3, first 2 shown]
	s_set_vgpr_msb 64                       ;  msbs: dst=1 src0=0 src1=0 src2=0
	ds_load_b128 v[8:11] /*v[264:267]*/, v5 offset:33328
	s_set_vgpr_msb 0                        ;  msbs: dst=0 src0=0 src1=0 src2=0
	v_mad_u32 v6, v6, v160, v10
	v_mul_lo_u32 v10, v14, v35
	s_wait_dscnt 0x3
	s_set_vgpr_msb 64                       ;  msbs: dst=1 src0=0 src1=0 src2=0
	v_perm_b32 v31 /*v287*/, v21, v20, 0x6040503
	s_wait_dscnt 0x1
	s_set_vgpr_msb 0                        ;  msbs: dst=0 src0=0 src1=0 src2=0
	v_perm_b32 v5, v170, v30, 0x6040501
	s_wait_dscnt 0x0
	s_set_vgpr_msb 5                        ;  msbs: dst=0 src0=1 src1=1 src2=0
	v_perm_b32 v4, v8 /*v264*/, v10 /*v266*/, 0x6040501
	s_set_vgpr_msb 0x45                     ;  msbs: dst=1 src0=1 src1=1 src2=0
	v_perm_b32 v28 /*v284*/, v9 /*v265*/, v8 /*v264*/, 0x6040503
	v_perm_b32 v29 /*v285*/, v10 /*v266*/, v9 /*v265*/, 0x7060403
	s_set_vgpr_msb 0                        ;  msbs: dst=0 src0=0 src1=0 src2=0
	v_perm_b32 v9, v29, v170, 0x6040503
	s_set_vgpr_msb 64                       ;  msbs: dst=1 src0=0 src1=0 src2=0
	v_perm_b32 v30 /*v286*/, v30, v29, 0x7060403
	s_set_vgpr_msb 4                        ;  msbs: dst=0 src0=0 src1=1 src2=0
	v_dot4_i32_iu8 v4, v4, v1 /*v257*/, 0 neg_lo:[1,1,0]
	s_set_vgpr_msb 0x45                     ;  msbs: dst=1 src0=1 src1=1 src2=0
	v_perm_b32 v32 /*v288*/, v11 /*v267*/, v11 /*v267*/, 0x7060001
	s_set_vgpr_msb 0                        ;  msbs: dst=0 src0=0 src1=0 src2=0
	v_perm_b32 v31, v31, v31, 0x7060001
	s_set_vgpr_msb 64                       ;  msbs: dst=1 src0=0 src1=0 src2=0
	v_bfe_i32 v24 /*v280*/, v30, 8, 8
	v_bfe_i32 v25 /*v281*/, v28, 8, 8
	s_set_vgpr_msb 5                        ;  msbs: dst=0 src0=1 src1=1 src2=0
	v_dot4_i32_iu8 v4, v28 /*v284*/, v2 /*v258*/, v4 neg_lo:[1,1,0]
	s_set_vgpr_msb 64                       ;  msbs: dst=1 src0=0 src1=0 src2=0
	v_bfe_i32 v26 /*v282*/, v30, 16, 8
	v_ashrrev_i32_e32 v27 /*v283*/, 24, v30
	s_set_vgpr_msb 1                        ;  msbs: dst=0 src0=1 src1=0 src2=0
	v_dot4_i32_iu8 v12, v29 /*v285*/, v255, v4 neg_lo:[1,1,0]
	s_set_vgpr_msb 0                        ;  msbs: dst=0 src0=0 src1=0 src2=0
	v_perm_b32 v4, v28, v173, 0x6040501
	s_set_vgpr_msb 4                        ;  msbs: dst=0 src0=0 src1=1 src2=0
	s_delay_alu instid0(VALU_DEP_2) | instskip(SKIP_1) | instid1(VALU_DEP_2)
	v_dot4_i32_iu8 v18, v245, v32 /*v288*/, v12 neg_lo:[1,1,0]
	s_set_vgpr_msb 0                        ;  msbs: dst=0 src0=0 src1=0 src2=0
	v_dot4_i32_iu8 v4, v5, v4, 0 neg_lo:[1,1,0]
	v_perm_b32 v5, v172, v28, 0x6040503
	s_delay_alu instid0(VALU_DEP_1) | instskip(SKIP_3) | instid1(VALU_DEP_3)
	v_dot4_i32_iu8 v4, v9, v5, v4 neg_lo:[1,1,0]
	v_perm_b32 v5, v140, v26, 0x6050401
	v_perm_b32 v9, v25, v140, 0x6040503
	s_set_vgpr_msb 5                        ;  msbs: dst=0 src0=1 src1=1 src2=0
	v_dot4_i32_iu8 v13, v4 /*v260*/, v30 /*v286*/, v4 neg_lo:[1,1,0]
	s_set_vgpr_msb 0                        ;  msbs: dst=0 src0=0 src1=0 src2=0
	v_perm_b32 v4, v24, v134, 0x6050401
	s_delay_alu instid0(VALU_DEP_1) | instskip(SKIP_1) | instid1(VALU_DEP_1)
	v_dot4_i32_iu8 v4, v5, v4, 0 neg_lo:[1,1,0]
	v_perm_b32 v5, v141, v24, 0x6040503
	v_dot4_i32_iu8 v4, v9, v5, v4 neg_lo:[1,1,0]
	v_perm_b32 v5, v26, v25, 0x7060403
	v_perm_b32 v9, v22, v139, 0x7060403
	s_delay_alu instid0(VALU_DEP_2) | instskip(SKIP_2) | instid1(VALU_DEP_3)
	v_dot4_i32_iu8 v16, v5, v247, v4 neg_lo:[1,1,0]
	v_perm_b32 v4, v20, v136, 0x6050401
	v_perm_b32 v5, v138, v22, 0x6050401
	v_dot4_i32_iu8 v12, v135, v27, v16 neg_lo:[1,1,0]
	s_set_vgpr_msb 16                       ;  msbs: dst=0 src0=0 src1=0 src2=1
	v_dot4_i32_iu8 v16, v7, v135, v13 /*v269*/ neg_lo:[1,1,0]
	s_delay_alu instid0(VALU_DEP_3) | instskip(SKIP_3) | instid1(VALU_DEP_3)
	v_dot4_i32_iu8 v4, v5, v4, 0 neg_lo:[1,1,0]
	v_perm_b32 v5, v136, v21, 0x7060403
	v_mul_lo_u32 v12, v12, v243
	s_set_vgpr_msb 5                        ;  msbs: dst=0 src0=1 src1=1 src2=0
	v_dot4_i32_iu8 v4, v5 /*v261*/, v31 /*v287*/, v4 neg_lo:[1,1,0]
	s_set_vgpr_msb 0                        ;  msbs: dst=0 src0=0 src1=0 src2=0
	s_delay_alu instid0(VALU_DEP_1)
	v_dot4_i32_iu8 v17, v9, v5, v4 neg_lo:[1,1,0]
	s_set_vgpr_msb 1                        ;  msbs: dst=0 src0=1 src1=0 src2=0
	ds_load_b64 v[4:5], v6 /*v262*/ offset:43584
	s_set_vgpr_msb 0                        ;  msbs: dst=0 src0=0 src1=0 src2=0
	ds_load_b64 v[8:9], v8 offset:43584
	s_set_vgpr_msb 0x54                     ;  msbs: dst=1 src0=0 src1=1 src2=1
	v_dot4_i32_iu8 v6 /*v262*/, v244, v33 /*v289*/, v12 /*v268*/ neg_lo:[1,1,0]
	s_set_vgpr_msb 64                       ;  msbs: dst=1 src0=0 src1=0 src2=0
	v_perm_b32 v12 /*v268*/, v19, v19, 0x7060001
	s_set_vgpr_msb 0                        ;  msbs: dst=0 src0=0 src1=0 src2=0
	v_dot4_i32_iu8 v17, v23, v137, v17 neg_lo:[1,1,0]
	s_set_vgpr_msb 17                       ;  msbs: dst=0 src0=1 src1=0 src2=1
	s_delay_alu instid0(VALU_DEP_2)
	v_dot4_i32_iu8 v19, v12 /*v268*/, v245, v7 /*v263*/ neg_lo:[1,1,0]
	s_set_vgpr_msb 64                       ;  msbs: dst=1 src0=0 src1=0 src2=0
	v_dot4_i32_iu8 v7 /*v263*/, v31, v244, v13 neg_lo:[1,1,0]
	s_set_vgpr_msb 16                       ;  msbs: dst=0 src0=0 src1=0 src2=1
	v_dot4_i32_iu8 v13, v137, v11, v14 /*v270*/ neg_lo:[1,1,0]
	s_set_vgpr_msb 0                        ;  msbs: dst=0 src0=0 src1=0 src2=0
	v_mad_u32 v12, v17, v242, v12
	s_delay_alu instid0(VALU_DEP_2)
	v_mul_lo_u32 v13, v13, v242
	s_wait_dscnt 0x1
	v_mov_b32_e32 v17, v4
	s_set_vgpr_msb 1                        ;  msbs: dst=0 src0=1 src1=0 src2=0
	v_mul_lo_u32 v4, v6 /*v262*/, v240
	s_set_vgpr_msb 0                        ;  msbs: dst=0 src0=0 src1=0 src2=0
	s_delay_alu instid0(VALU_DEP_4)
	v_cvt_f32_i32_e32 v12, v12
	s_set_vgpr_msb 64                       ;  msbs: dst=1 src0=0 src1=0 src2=0
	v_perm_b32 v6 /*v262*/, v22, v129, 0x7060403
	s_set_vgpr_msb 0                        ;  msbs: dst=0 src0=0 src1=0 src2=0
	v_mad_u32 v13, v16, v243, v13
	s_wait_dscnt 0x0
	v_mov_b32_e32 v16, v8
	v_mul_lo_u32 v8, v18, v241
	v_mad_u32 v4, v19, v241, v4
	s_delay_alu instid0(VALU_DEP_4) | instskip(SKIP_1) | instid1(VALU_DEP_3)
	v_cvt_f32_i32_e32 v13, v13
	s_set_vgpr_msb 1                        ;  msbs: dst=0 src0=1 src1=0 src2=0
	v_mad_u32 v8, v7 /*v263*/, v240, v8
	s_set_vgpr_msb 64                       ;  msbs: dst=1 src0=0 src1=0 src2=0
	v_perm_b32 v7 /*v263*/, v174, v34, 0x5040203
	s_set_vgpr_msb 0                        ;  msbs: dst=0 src0=0 src1=0 src2=0
	v_pk_fma_f32 v[12:13], v[16:17], v[12:13], 0 op_sel_hi:[1,1,0]
	v_cvt_f32_i32_e32 v19, v4
	v_mov_b32_e32 v4, v9
	s_set_vgpr_msb 0x55                     ;  msbs: dst=1 src0=1 src1=1 src2=1
	v_dot4_i32_iu8 v13 /*v269*/, v12 /*v268*/, v7 /*v263*/, v15 /*v271*/ neg_lo:[1,1,0]
	s_set_vgpr_msb 0                        ;  msbs: dst=0 src0=0 src1=0 src2=0
	v_cvt_f32_i32_e32 v18, v8
	s_delay_alu instid0(VALU_DEP_1)
	v_pk_fma_f32 v[8:9], v[4:5], v[18:19], v[12:13]
	v_perm_b32 v18, v29, v28, 0x5030200
	s_set_vgpr_msb 4                        ;  msbs: dst=0 src0=0 src1=1 src2=0
	v_mul_i32_i24_e32 v12, v253, v26 /*v282*/
	v_mul_i32_i24_e32 v13, v252, v27 /*v283*/
	s_set_vgpr_msb 0                        ;  msbs: dst=0 src0=0 src1=0 src2=0
	v_perm_b32 v19, v26, v131, 0x7060403
	v_pk_fma_f32 v[62:63], v[116:117], v[8:9], v[62:63]
	s_set_vgpr_msb 5                        ;  msbs: dst=0 src0=1 src1=1 src2=0
	v_perm_b32 v9, v10 /*v266*/, v10 /*v266*/, 0xc0c0c01
	s_set_vgpr_msb 1                        ;  msbs: dst=0 src0=1 src1=0 src2=0
	v_perm_b32 v8, v8 /*v264*/, v33, 0x6040503
	s_set_vgpr_msb 0                        ;  msbs: dst=0 src0=0 src1=0 src2=0
	s_delay_alu instid0(VALU_DEP_2) | instskip(NEXT) | instid1(VALU_DEP_1)
	v_or_b32_e32 v9, v248, v9
	v_dot4_i32_iu8 v8, v9, v8, 0 neg_lo:[1,1,0]
	s_set_vgpr_msb 1                        ;  msbs: dst=0 src0=1 src1=0 src2=0
	v_mul_i32_i24_e32 v9, v24 /*v280*/, v175
	s_delay_alu instid0(VALU_DEP_2) | instskip(NEXT) | instid1(VALU_DEP_2)
	v_dot4_i32_iu8 v8, v28 /*v284*/, v249, v8 neg_lo:[1,1,0]
	v_mad_i32_i24 v9, v25 /*v281*/, v176, v9
	s_set_vgpr_msb 4                        ;  msbs: dst=0 src0=0 src1=1 src2=0
	s_delay_alu instid0(VALU_DEP_2) | instskip(SKIP_1) | instid1(VALU_DEP_2)
	v_dot4_i32_iu8 v8, v250, v29 /*v285*/, v8 neg_lo:[1,1,0]
	s_set_vgpr_msb 0                        ;  msbs: dst=0 src0=0 src1=0 src2=0
	v_dot4_i32_iu8 v9, v251, v18, v9 neg_lo:[1,1,0]
	v_perm_b32 v18, v30, v29, 0x4030200
	s_delay_alu instid0(VALU_DEP_1) | instskip(SKIP_1) | instid1(VALU_DEP_2)
	v_dot4_i32_iu8 v9, v254, v18, v9 neg_lo:[1,1,0]
	v_perm_b32 v18, v25, v24, 0x6040503
	v_add3_u32 v9, v9, v12, v13
	v_perm_b32 v12, v24, v124, 0x6050401
	v_perm_b32 v13, v130, v26, 0x6050401
	s_delay_alu instid0(VALU_DEP_1) | instskip(SKIP_1) | instid1(VALU_DEP_2)
	v_dot4_i32_iu8 v12, v13, v12, 0 neg_lo:[1,1,0]
	v_perm_b32 v13, v124, v25, 0x7060403
	v_dot4_i32_iu8 v12, v234, v18, v12 neg_lo:[1,1,0]
	s_delay_alu instid0(VALU_DEP_1) | instskip(SKIP_2) | instid1(VALU_DEP_1)
	v_dot4_i32_iu8 v12, v19, v13, v12 neg_lo:[1,1,0]
	v_perm_b32 v13, v20, v126, 0x6050401
	v_perm_b32 v19, v128, v22, 0x6050401
	v_dot4_i32_iu8 v13, v19, v13, 0 neg_lo:[1,1,0]
	v_perm_b32 v19, v126, v21, 0x7060403
	s_set_vgpr_msb 4                        ;  msbs: dst=0 src0=0 src1=1 src2=0
	s_delay_alu instid0(VALU_DEP_2) | instskip(SKIP_1) | instid1(VALU_DEP_1)
	v_dot4_i32_iu8 v13, v235, v31 /*v287*/, v13 neg_lo:[1,1,0]
	s_set_vgpr_msb 1                        ;  msbs: dst=0 src0=1 src1=0 src2=0
	v_dot4_i32_iu8 v13, v6 /*v262*/, v19, v13 neg_lo:[1,1,0]
	s_set_vgpr_msb 0                        ;  msbs: dst=0 src0=0 src1=0 src2=0
	v_perm_b32 v19, v15, v2, 0x7060203
	v_perm_b32 v15, v3, v15, 0x5040001
	s_set_vgpr_msb 0x44                     ;  msbs: dst=1 src0=0 src1=1 src2=0
	v_perm_b32 v6 /*v262*/, v174, v11 /*v267*/, 0x5040001
	s_set_vgpr_msb 0                        ;  msbs: dst=0 src0=0 src1=0 src2=0
	v_dot4_i32_iu8 v13, v23, v127, v13 neg_lo:[1,1,0]
	s_set_vgpr_msb 16                       ;  msbs: dst=0 src0=0 src1=0 src2=1
	v_dot4_i32_iu8 v15, v15, v19, v16 /*v272*/ neg_lo:[1,1,0]
	s_set_vgpr_msb 1                        ;  msbs: dst=0 src0=1 src1=0 src2=0
	v_perm_b32 v19, v11 /*v267*/, v34, 0x7060203
	s_delay_alu instid0(VALU_DEP_1)
	v_dot4_i32_iu8 v19, v6 /*v262*/, v19, v8 neg_lo:[1,1,0]
	s_set_vgpr_msb 64                       ;  msbs: dst=1 src0=0 src1=0 src2=0
	v_perm_b32 v6 /*v262*/, v3, v2, 0x5040203
	s_set_vgpr_msb 0                        ;  msbs: dst=0 src0=0 src1=0 src2=0
	v_dot4_i32_iu8 v8, v125, v27, v12 neg_lo:[1,1,0]
	s_set_vgpr_msb 16                       ;  msbs: dst=0 src0=0 src1=0 src2=1
	v_dot4_i32_iu8 v12, v7, v125, v17 /*v273*/ neg_lo:[1,1,0]
	s_set_vgpr_msb 0x44                     ;  msbs: dst=1 src0=0 src1=1 src2=0
	v_dot4_i32_iu8 v11 /*v267*/, v31, v6 /*v262*/, v9 neg_lo:[1,1,0]
	s_set_vgpr_msb 16                       ;  msbs: dst=0 src0=0 src1=0 src2=1
	v_dot4_i32_iu8 v9, v127, v11, v18 /*v274*/ neg_lo:[1,1,0]
	v_mul_lo_u32 v8, v8, v238
	s_delay_alu instid0(VALU_DEP_2) | instskip(SKIP_1) | instid1(VALU_DEP_2)
	v_mul_lo_u32 v9, v9, v239
	s_set_vgpr_msb 0                        ;  msbs: dst=0 src0=0 src1=0 src2=0
	v_mad_u32 v8, v13, v239, v8
	v_mul_lo_u32 v13, v19, v236
	v_perm_b32 v19, v22, v149, 0x7060403
	s_delay_alu instid0(VALU_DEP_4) | instskip(SKIP_2) | instid1(VALU_DEP_3)
	v_mad_u32 v9, v12, v238, v9
	v_mul_lo_u32 v12, v15, v237
	v_cvt_f32_i32_e32 v8, v8
	v_cvt_f32_i32_e32 v9, v9
	s_set_vgpr_msb 1                        ;  msbs: dst=0 src0=1 src1=0 src2=0
	s_delay_alu instid0(VALU_DEP_3)
	v_mad_u32 v15, v13 /*v269*/, v236, v12
	v_mad_u32 v12, v11 /*v267*/, v237, v13
	s_set_vgpr_msb 0x51                     ;  msbs: dst=1 src0=1 src1=0 src2=1
	v_dot4_i32_iu8 v11 /*v267*/, v12 /*v268*/, v231, v19 /*v275*/ neg_lo:[1,1,0]
	s_set_vgpr_msb 0                        ;  msbs: dst=0 src0=0 src1=0 src2=0
	v_pk_fma_f32 v[8:9], v[16:17], v[8:9], 0 op_sel_hi:[1,1,0]
	s_delay_alu instid0(VALU_DEP_4) | instskip(NEXT) | instid1(VALU_DEP_4)
	v_cvt_f32_i32_e32 v13, v15
	v_cvt_f32_i32_e32 v12, v12
	v_perm_b32 v15, v26, v147, 0x7060403
	s_delay_alu instid0(VALU_DEP_2)
	v_pk_fma_f32 v[8:9], v[4:5], v[12:13], v[8:9]
	s_set_vgpr_msb 1                        ;  msbs: dst=0 src0=1 src1=0 src2=0
	v_perm_b32 v12, v9 /*v265*/, v161, 0x6040503
	s_set_vgpr_msb 0                        ;  msbs: dst=0 src0=0 src1=0 src2=0
	v_perm_b32 v13, v29, v154, 0x6040503
	v_pk_fma_f32 v[60:61], v[118:119], v[8:9], v[60:61]
	s_set_vgpr_msb 1                        ;  msbs: dst=0 src0=1 src1=0 src2=0
	v_perm_b32 v8, v8 /*v264*/, v159, 0x6040501
	s_set_vgpr_msb 4                        ;  msbs: dst=0 src0=0 src1=1 src2=0
	v_perm_b32 v9, v161, v10 /*v266*/, 0x6040501
	s_set_vgpr_msb 0                        ;  msbs: dst=0 src0=0 src1=0 src2=0
	s_delay_alu instid0(VALU_DEP_1) | instskip(SKIP_3) | instid1(VALU_DEP_1)
	v_dot4_i32_iu8 v8, v9, v8, 0 neg_lo:[1,1,0]
	s_set_vgpr_msb 4                        ;  msbs: dst=0 src0=0 src1=1 src2=0
	v_perm_b32 v9, v158, v8 /*v264*/, 0x6040503
	s_set_vgpr_msb 0                        ;  msbs: dst=0 src0=0 src1=0 src2=0
	v_dot4_i32_iu8 v8, v12, v9, v8 neg_lo:[1,1,0]
	v_perm_b32 v9, v28, v167, 0x6040501
	v_perm_b32 v12, v154, v30, 0x6040501
	s_set_vgpr_msb 4                        ;  msbs: dst=0 src0=0 src1=1 src2=0
	s_delay_alu instid0(VALU_DEP_3) | instskip(SKIP_1) | instid1(VALU_DEP_2)
	v_dot4_i32_iu8 v8, v177, v29 /*v285*/, v8 neg_lo:[1,1,0]
	s_set_vgpr_msb 0                        ;  msbs: dst=0 src0=0 src1=0 src2=0
	v_dot4_i32_iu8 v9, v12, v9, 0 neg_lo:[1,1,0]
	v_perm_b32 v12, v166, v28, 0x6040503
	s_delay_alu instid0(VALU_DEP_1) | instskip(SKIP_3) | instid1(VALU_DEP_3)
	v_dot4_i32_iu8 v9, v13, v12, v9 neg_lo:[1,1,0]
	v_perm_b32 v12, v24, v142, 0x6050401
	v_perm_b32 v13, v146, v26, 0x6050401
	s_set_vgpr_msb 4                        ;  msbs: dst=0 src0=0 src1=1 src2=0
	v_dot4_i32_iu8 v9, v246, v30 /*v286*/, v9 neg_lo:[1,1,0]
	s_set_vgpr_msb 0                        ;  msbs: dst=0 src0=0 src1=0 src2=0
	s_delay_alu instid0(VALU_DEP_2)
	v_dot4_i32_iu8 v12, v13, v12, 0 neg_lo:[1,1,0]
	v_perm_b32 v13, v142, v25, 0x7060403
	s_set_vgpr_msb 64                       ;  msbs: dst=1 src0=0 src1=0 src2=0
	v_dot4_i32_iu8 v13 /*v269*/, v31, v230, v9 neg_lo:[1,1,0]
	s_set_vgpr_msb 16                       ;  msbs: dst=0 src0=0 src1=0 src2=1
	v_dot4_i32_iu8 v9, v145, v11, v22 /*v278*/ neg_lo:[1,1,0]
	s_set_vgpr_msb 0                        ;  msbs: dst=0 src0=0 src1=0 src2=0
	v_dot4_i32_iu8 v12, v233, v18, v12 neg_lo:[1,1,0]
	s_delay_alu instid0(VALU_DEP_2) | instskip(NEXT) | instid1(VALU_DEP_2)
	v_mul_lo_u32 v9, v9, v228
	v_dot4_i32_iu8 v12, v15, v13, v12 neg_lo:[1,1,0]
	v_perm_b32 v13, v20, v144, 0x6050401
	v_perm_b32 v15, v148, v22, 0x6050401
	s_delay_alu instid0(VALU_DEP_1) | instskip(SKIP_2) | instid1(VALU_DEP_2)
	v_dot4_i32_iu8 v13, v15, v13, 0 neg_lo:[1,1,0]
	v_perm_b32 v15, v144, v21, 0x7060403
	s_set_vgpr_msb 5                        ;  msbs: dst=0 src0=1 src1=1 src2=0
	v_dot4_i32_iu8 v13, v3 /*v259*/, v31 /*v287*/, v13 neg_lo:[1,1,0]
	s_set_vgpr_msb 0                        ;  msbs: dst=0 src0=0 src1=0 src2=0
	s_delay_alu instid0(VALU_DEP_1)
	v_dot4_i32_iu8 v13, v19, v15, v13 neg_lo:[1,1,0]
	s_set_vgpr_msb 4                        ;  msbs: dst=0 src0=0 src1=1 src2=0
	v_dot4_i32_iu8 v15, v231, v32 /*v288*/, v8 neg_lo:[1,1,0]
	s_set_vgpr_msb 0                        ;  msbs: dst=0 src0=0 src1=0 src2=0
	v_dot4_i32_iu8 v8, v143, v27, v12 neg_lo:[1,1,0]
	s_set_vgpr_msb 20                       ;  msbs: dst=0 src0=0 src1=1 src2=1
	v_dot4_i32_iu8 v19, v230, v33 /*v289*/, v20 /*v276*/ neg_lo:[1,1,0]
	s_set_vgpr_msb 16                       ;  msbs: dst=0 src0=0 src1=0 src2=1
	v_dot4_i32_iu8 v12, v7, v143, v21 /*v277*/ neg_lo:[1,1,0]
	s_set_vgpr_msb 0                        ;  msbs: dst=0 src0=0 src1=0 src2=0
	v_dot4_i32_iu8 v13, v23, v145, v13 neg_lo:[1,1,0]
	v_mul_lo_u32 v8, v8, v229
	s_delay_alu instid0(VALU_DEP_3) | instskip(SKIP_1) | instid1(VALU_DEP_3)
	v_mad_u32 v9, v12, v229, v9
	v_mul_lo_u32 v12, v19, v227
	v_mad_u32 v8, v13, v228, v8
	v_mul_lo_u32 v13, v15, v179
	s_delay_alu instid0(VALU_DEP_4) | instskip(SKIP_1) | instid1(VALU_DEP_4)
	v_cvt_f32_i32_e32 v9, v9
	s_set_vgpr_msb 1                        ;  msbs: dst=0 src0=1 src1=0 src2=0
	v_mad_u32 v12, v11 /*v267*/, v179, v12
	s_set_vgpr_msb 0                        ;  msbs: dst=0 src0=0 src1=0 src2=0
	s_delay_alu instid0(VALU_DEP_4) | instskip(SKIP_1) | instid1(VALU_DEP_4)
	v_cvt_f32_i32_e32 v8, v8
	s_set_vgpr_msb 1                        ;  msbs: dst=0 src0=1 src1=0 src2=0
	v_mad_u32 v15, v13 /*v269*/, v227, v13
	s_set_vgpr_msb 0                        ;  msbs: dst=0 src0=0 src1=0 src2=0
	s_delay_alu instid0(VALU_DEP_3) | instskip(SKIP_1) | instid1(VALU_DEP_3)
	v_cvt_f32_i32_e32 v13, v12
	v_pk_fma_f32 v[8:9], v[16:17], v[8:9], 0 op_sel_hi:[1,1,0]
	v_cvt_f32_i32_e32 v12, v15
	v_perm_b32 v15, v26, v153, 0x7060403
	s_delay_alu instid0(VALU_DEP_2)
	v_pk_fma_f32 v[8:9], v[4:5], v[12:13], v[8:9]
	s_set_vgpr_msb 1                        ;  msbs: dst=0 src0=1 src1=0 src2=0
	v_perm_b32 v12, v9 /*v265*/, v165, 0x6040503
	s_set_vgpr_msb 0                        ;  msbs: dst=0 src0=0 src1=0 src2=0
	v_perm_b32 v13, v29, v156, 0x6040503
	v_pk_fma_f32 v[58:59], v[120:121], v[8:9], v[58:59]
	s_set_vgpr_msb 1                        ;  msbs: dst=0 src0=1 src1=0 src2=0
	v_perm_b32 v8, v8 /*v264*/, v163, 0x6040501
	s_set_vgpr_msb 4                        ;  msbs: dst=0 src0=0 src1=1 src2=0
	v_perm_b32 v9, v165, v10 /*v266*/, 0x6040501
	s_set_vgpr_msb 0                        ;  msbs: dst=0 src0=0 src1=0 src2=0
	s_delay_alu instid0(VALU_DEP_1) | instskip(SKIP_3) | instid1(VALU_DEP_1)
	v_dot4_i32_iu8 v8, v9, v8, 0 neg_lo:[1,1,0]
	s_set_vgpr_msb 4                        ;  msbs: dst=0 src0=0 src1=1 src2=0
	v_perm_b32 v9, v162, v8 /*v264*/, 0x6040503
	s_set_vgpr_msb 0                        ;  msbs: dst=0 src0=0 src1=0 src2=0
	v_dot4_i32_iu8 v8, v12, v9, v8 neg_lo:[1,1,0]
	v_perm_b32 v9, v28, v169, 0x6040501
	v_perm_b32 v12, v156, v30, 0x6040501
	s_set_vgpr_msb 4                        ;  msbs: dst=0 src0=0 src1=1 src2=0
	s_delay_alu instid0(VALU_DEP_3) | instskip(SKIP_1) | instid1(VALU_DEP_2)
	v_dot4_i32_iu8 v8, v178, v29 /*v285*/, v8 neg_lo:[1,1,0]
	s_set_vgpr_msb 0                        ;  msbs: dst=0 src0=0 src1=0 src2=0
	v_dot4_i32_iu8 v9, v12, v9, 0 neg_lo:[1,1,0]
	v_perm_b32 v12, v168, v28, 0x6040503
	s_set_vgpr_msb 4                        ;  msbs: dst=0 src0=0 src1=1 src2=0
	v_dot4_i32_iu8 v8, v157, v32 /*v288*/, v8 neg_lo:[1,1,0]
	s_set_vgpr_msb 0                        ;  msbs: dst=0 src0=0 src1=0 src2=0
	s_delay_alu instid0(VALU_DEP_2)
	v_dot4_i32_iu8 v9, v13, v12, v9 neg_lo:[1,1,0]
	v_perm_b32 v12, v24, v132, 0x6050401
	v_perm_b32 v13, v152, v26, 0x6050401
	v_mul_lo_u32 v8, v8, v32
	s_set_vgpr_msb 4                        ;  msbs: dst=0 src0=0 src1=1 src2=0
	v_dot4_i32_iu8 v9, v232, v30 /*v286*/, v9 neg_lo:[1,1,0]
	s_set_vgpr_msb 0                        ;  msbs: dst=0 src0=0 src1=0 src2=0
	v_dot4_i32_iu8 v12, v13, v12, 0 neg_lo:[1,1,0]
	v_perm_b32 v13, v132, v25, 0x7060403
	s_delay_alu instid0(VALU_DEP_3) | instskip(NEXT) | instid1(VALU_DEP_3)
	v_dot4_i32_iu8 v9, v31, v164, v9 neg_lo:[1,1,0]
	v_dot4_i32_iu8 v12, v171, v18, v12 neg_lo:[1,1,0]
	v_perm_b32 v18, v22, v151, 0x7060403
	s_delay_alu instid0(VALU_DEP_3) | instskip(NEXT) | instid1(VALU_DEP_3)
	v_mad_u32 v8, v9, v35, v8
	v_dot4_i32_iu8 v12, v15, v13, v12 neg_lo:[1,1,0]
	v_perm_b32 v13, v20, v0, 0x6050401
	v_perm_b32 v15, v150, v22, 0x6050401
	s_delay_alu instid0(VALU_DEP_3) | instskip(NEXT) | instid1(VALU_DEP_2)
	v_dot4_i32_iu8 v12, v133, v27, v12 neg_lo:[1,1,0]
	v_dot4_i32_iu8 v13, v15, v13, 0 neg_lo:[1,1,0]
	v_perm_b32 v15, v0, v21, 0x7060403
	v_cvt_f32_i32_e32 v8, v8
	s_delay_alu instid0(VALU_DEP_4) | instskip(SKIP_3) | instid1(VALU_DEP_1)
	v_mul_lo_u32 v11, v12, v160
	s_set_vgpr_msb 5                        ;  msbs: dst=0 src0=1 src1=1 src2=0
	v_dot4_i32_iu8 v13, v0 /*v256*/, v31 /*v287*/, v13 neg_lo:[1,1,0]
	s_set_vgpr_msb 0                        ;  msbs: dst=0 src0=0 src1=0 src2=0
	v_dot4_i32_iu8 v13, v18, v15, v13 neg_lo:[1,1,0]
	s_set_vgpr_msb 17                       ;  msbs: dst=0 src0=1 src1=0 src2=1
	v_dot4_i32_iu8 v15, v12 /*v268*/, v157, v23 /*v279*/ neg_lo:[1,1,0]
	s_set_vgpr_msb 0                        ;  msbs: dst=0 src0=0 src1=0 src2=0
	s_delay_alu instid0(VALU_DEP_2) | instskip(NEXT) | instid1(VALU_DEP_2)
	v_dot4_i32_iu8 v7, v23, v1, v13 neg_lo:[1,1,0]
	v_mad_u32 v9, v15, v32, v10
	s_delay_alu instid0(VALU_DEP_2) | instskip(SKIP_1) | instid1(VALU_DEP_3)
	v_mad_u32 v11, v7, v155, v11
	v_cvt_f32_i32_e32 v7, v6
	v_cvt_f32_i32_e32 v9, v9
	s_delay_alu instid0(VALU_DEP_3) | instskip(NEXT) | instid1(VALU_DEP_1)
	v_cvt_f32_i32_e32 v6, v11
	v_pk_fma_f32 v[6:7], v[16:17], v[6:7], 0 op_sel_hi:[1,1,0]
	s_delay_alu instid0(VALU_DEP_1) | instskip(NEXT) | instid1(VALU_DEP_1)
	v_pk_fma_f32 v[4:5], v[4:5], v[8:9], v[6:7]
	v_pk_fma_f32 v[56:57], v[122:123], v[4:5], v[56:57]
	v_or_b32_e32 v4, s10, v210
	s_delay_alu instid0(VALU_DEP_1)
	v_lshlrev_b32_e32 v16, 2, v4
	s_set_vgpr_msb 64                       ;  msbs: dst=1 src0=0 src1=0 src2=0
	v_lshrrev_b32_e32 v12 /*v268*/, 1, v4
	s_set_vgpr_msb 0                        ;  msbs: dst=0 src0=0 src1=0 src2=0
	ds_load_b128 v[8:11], v16 offset:33280
	ds_load_b128 v[4:7], v16 offset:33296
	;; [unrolled: 1-line block ×4, first 2 shown]
	s_wait_dscnt 0x3
	v_perm_b32 v30, v10, v139, 0x7060403
	s_wait_dscnt 0x2
	v_perm_b32 v29, v5, v140, 0x6040503
	s_wait_dscnt 0x1
	v_bfe_i32 v20, v14, 8, 8
	s_wait_dscnt 0x0
	v_perm_b32 v24, v16, v18, 0x6040501
	v_perm_b32 v25, v17, v16, 0x6040503
	v_bfe_i32 v21, v12, 8, 8
	v_perm_b32 v26, v18, v17, 0x7060403
	v_mul_i32_i24_e32 v20, v20, v175
	s_set_vgpr_msb 4                        ;  msbs: dst=0 src0=0 src1=1 src2=0
	v_dot4_i32_iu8 v24, v24, v1 /*v257*/, 0 neg_lo:[1,1,0]
	s_set_vgpr_msb 0                        ;  msbs: dst=0 src0=0 src1=0 src2=0
	v_perm_b32 v27, v170, v14, 0x6040501
	v_bfe_i32 v22, v14, 16, 8
	v_ashrrev_i32_e32 v23, 24, v14
	v_mad_i32_i24 v20, v21, v176, v20
	s_set_vgpr_msb 4                        ;  msbs: dst=0 src0=0 src1=1 src2=0
	v_dot4_i32_iu8 v24, v25, v2 /*v258*/, v24 neg_lo:[1,1,0]
	s_set_vgpr_msb 0                        ;  msbs: dst=0 src0=0 src1=0 src2=0
	v_perm_b32 v21, v13, v12, 0x5030200
	v_perm_b32 v28, v13, v170, 0x6040503
	v_mul_i32_i24_e32 v22, v253, v22
	v_mul_i32_i24_e32 v23, v252, v23
	s_set_vgpr_msb 64                       ;  msbs: dst=1 src0=0 src1=0 src2=0
	v_dot4_i32_iu8 v13 /*v269*/, v26, v255, v24 neg_lo:[1,1,0]
	s_set_vgpr_msb 0                        ;  msbs: dst=0 src0=0 src1=0 src2=0
	v_perm_b32 v24, v12, v173, 0x6040501
	v_dot4_i32_iu8 v20, v251, v21, v20 neg_lo:[1,1,0]
	v_perm_b32 v21, v14, v13, 0x4030200
	s_set_vgpr_msb 64                       ;  msbs: dst=1 src0=0 src1=0 src2=0
	v_perm_b32 v35 /*v291*/, v19, v19, 0x7060001
	v_perm_b32 v34 /*v290*/, v15, v15, 0x7060001
	s_set_vgpr_msb 0                        ;  msbs: dst=0 src0=0 src1=0 src2=0
	v_dot4_i32_iu8 v24, v27, v24, 0 neg_lo:[1,1,0]
	v_perm_b32 v27, v172, v12, 0x6040503
	v_dot4_i32_iu8 v20, v254, v21, v20 neg_lo:[1,1,0]
	v_perm_b32 v21, v130, v6, 0x6050401
	s_set_vgpr_msb 17                       ;  msbs: dst=0 src0=1 src1=0 src2=1
	v_dot4_i32_iu8 v19, v35 /*v291*/, v245, v13 /*v269*/ neg_lo:[1,1,0]
	s_set_vgpr_msb 0                        ;  msbs: dst=0 src0=0 src1=0 src2=0
	v_dot4_i32_iu8 v24, v28, v27, v24 neg_lo:[1,1,0]
	v_perm_b32 v27, v14, v13, 0x7060403
	v_perm_b32 v28, v140, v6, 0x6050401
	s_set_vgpr_msb 64                       ;  msbs: dst=1 src0=0 src1=0 src2=0
	v_add3_u32 v18 /*v274*/, v20, v22, v23
	s_set_vgpr_msb 0                        ;  msbs: dst=0 src0=0 src1=0 src2=0
	v_perm_b32 v20, v4, v124, 0x6050401
	v_perm_b32 v22, v124, v5, 0x7060403
	s_set_vgpr_msb 0x41                     ;  msbs: dst=1 src0=1 src1=0 src2=0
	v_dot4_i32_iu8 v14 /*v270*/, v4 /*v260*/, v27, v24 neg_lo:[1,1,0]
	s_set_vgpr_msb 0                        ;  msbs: dst=0 src0=0 src1=0 src2=0
	v_perm_b32 v24, v4, v134, 0x6050401
	v_perm_b32 v23, v6, v131, 0x7060403
	v_dot4_i32_iu8 v20, v21, v20, 0 neg_lo:[1,1,0]
	v_perm_b32 v21, v5, v4, 0x6040503
	s_set_vgpr_msb 0x54                     ;  msbs: dst=1 src0=0 src1=1 src2=1
	v_dot4_i32_iu8 v14 /*v270*/, v244, v34 /*v290*/, v14 /*v270*/ neg_lo:[1,1,0]
	s_set_vgpr_msb 0                        ;  msbs: dst=0 src0=0 src1=0 src2=0
	v_dot4_i32_iu8 v24, v28, v24, 0 neg_lo:[1,1,0]
	v_perm_b32 v28, v141, v4, 0x6040503
	v_dot4_i32_iu8 v20, v234, v21, v20 neg_lo:[1,1,0]
	s_delay_alu instid0(VALU_DEP_2) | instskip(SKIP_2) | instid1(VALU_DEP_3)
	v_dot4_i32_iu8 v24, v29, v28, v24 neg_lo:[1,1,0]
	v_perm_b32 v28, v6, v5, 0x7060403
	s_set_vgpr_msb 64                       ;  msbs: dst=1 src0=0 src1=0 src2=0
	v_dot4_i32_iu8 v19 /*v275*/, v23, v22, v20 neg_lo:[1,1,0]
	s_set_vgpr_msb 0                        ;  msbs: dst=0 src0=0 src1=0 src2=0
	v_perm_b32 v20, v8, v126, 0x6050401
	v_perm_b32 v22, v128, v10, 0x6050401
	;; [unrolled: 1-line block ×3, first 2 shown]
	s_set_vgpr_msb 64                       ;  msbs: dst=1 src0=0 src1=0 src2=0
	v_dot4_i32_iu8 v15 /*v271*/, v28, v247, v24 neg_lo:[1,1,0]
	s_set_vgpr_msb 0                        ;  msbs: dst=0 src0=0 src1=0 src2=0
	v_perm_b32 v24, v8, v136, 0x6050401
	v_perm_b32 v28, v138, v10, 0x6050401
	v_dot4_i32_iu8 v20, v22, v20, 0 neg_lo:[1,1,0]
	v_perm_b32 v22, v126, v9, 0x7060403
	v_perm_b32 v29, v136, v9, 0x7060403
	s_delay_alu instid0(VALU_DEP_4) | instskip(SKIP_1) | instid1(VALU_DEP_1)
	v_dot4_i32_iu8 v24, v28, v24, 0 neg_lo:[1,1,0]
	v_perm_b32 v28, v9, v8, 0x6040503
	v_dot4_i32_iu8 v20, v235, v28, v20 neg_lo:[1,1,0]
	s_set_vgpr_msb 1                        ;  msbs: dst=0 src0=1 src1=0 src2=0
	s_delay_alu instid0(VALU_DEP_3) | instskip(SKIP_1) | instid1(VALU_DEP_2)
	v_dot4_i32_iu8 v24, v5 /*v261*/, v28, v24 neg_lo:[1,1,0]
	s_set_vgpr_msb 64                       ;  msbs: dst=1 src0=0 src1=0 src2=0
	v_dot4_i32_iu8 v20 /*v276*/, v23, v22, v20 neg_lo:[1,1,0]
	s_set_vgpr_msb 0                        ;  msbs: dst=0 src0=0 src1=0 src2=0
	v_perm_b32 v20, v16, v159, 0x6040501
	v_perm_b32 v22, v161, v18, 0x6040501
	;; [unrolled: 1-line block ×3, first 2 shown]
	s_set_vgpr_msb 64                       ;  msbs: dst=1 src0=0 src1=0 src2=0
	v_dot4_i32_iu8 v16 /*v272*/, v30, v29, v24 neg_lo:[1,1,0]
	s_set_vgpr_msb 0                        ;  msbs: dst=0 src0=0 src1=0 src2=0
	v_perm_b32 v29, v18, v18, 0xc0c0c01
	v_perm_b32 v18, v165, v18, 0x6040501
	v_dot4_i32_iu8 v20, v22, v20, 0 neg_lo:[1,1,0]
	v_perm_b32 v22, v158, v16, 0x6040503
	v_perm_b32 v24, v16, v33, 0x6040503
	;; [unrolled: 1-line block ×3, first 2 shown]
	v_or_b32_e32 v29, v248, v29
	s_delay_alu instid0(VALU_DEP_4)
	v_dot4_i32_iu8 v20, v23, v22, v20 neg_lo:[1,1,0]
	v_perm_b32 v22, v154, v14, 0x6040501
	v_perm_b32 v23, v13, v154, 0x6040503
	;; [unrolled: 1-line block ×4, first 2 shown]
	s_set_vgpr_msb 64                       ;  msbs: dst=1 src0=0 src1=0 src2=0
	v_dot4_i32_iu8 v21 /*v277*/, v177, v26, v20 neg_lo:[1,1,0]
	s_set_vgpr_msb 0                        ;  msbs: dst=0 src0=0 src1=0 src2=0
	v_perm_b32 v20, v12, v167, 0x6040501
	v_dot4_i32_iu8 v24, v29, v24, 0 neg_lo:[1,1,0]
	s_delay_alu instid0(VALU_DEP_2) | instskip(SKIP_1) | instid1(VALU_DEP_3)
	v_dot4_i32_iu8 v20, v22, v20, 0 neg_lo:[1,1,0]
	v_perm_b32 v22, v166, v12, 0x6040503
	v_dot4_i32_iu8 v24, v25, v249, v24 neg_lo:[1,1,0]
	s_delay_alu instid0(VALU_DEP_2)
	v_dot4_i32_iu8 v20, v23, v22, v20 neg_lo:[1,1,0]
	v_perm_b32 v22, v146, v6, 0x6050401
	v_perm_b32 v23, v6, v147, 0x7060403
	s_set_vgpr_msb 64                       ;  msbs: dst=1 src0=0 src1=0 src2=0
	v_dot4_i32_iu8 v17 /*v273*/, v250, v26, v24 neg_lo:[1,1,0]
	v_dot4_i32_iu8 v22 /*v278*/, v246, v27, v20 neg_lo:[1,1,0]
	s_set_vgpr_msb 0                        ;  msbs: dst=0 src0=0 src1=0 src2=0
	v_perm_b32 v20, v4, v142, 0x6050401
	v_perm_b32 v4, v4, v132, 0x6050401
	s_delay_alu instid0(VALU_DEP_2) | instskip(SKIP_2) | instid1(VALU_DEP_3)
	v_dot4_i32_iu8 v20, v22, v20, 0 neg_lo:[1,1,0]
	v_perm_b32 v22, v142, v5, 0x7060403
	v_perm_b32 v5, v132, v5, 0x7060403
	v_dot4_i32_iu8 v20, v233, v21, v20 neg_lo:[1,1,0]
	s_set_vgpr_msb 64                       ;  msbs: dst=1 src0=0 src1=0 src2=0
	s_delay_alu instid0(VALU_DEP_1) | instskip(SKIP_4) | instid1(VALU_DEP_2)
	v_dot4_i32_iu8 v23 /*v279*/, v23, v22, v20 neg_lo:[1,1,0]
	s_set_vgpr_msb 0                        ;  msbs: dst=0 src0=0 src1=0 src2=0
	v_perm_b32 v20, v8, v144, 0x6050401
	v_perm_b32 v22, v148, v10, 0x6050401
	;; [unrolled: 1-line block ×3, first 2 shown]
	v_dot4_i32_iu8 v20, v22, v20, 0 neg_lo:[1,1,0]
	v_perm_b32 v22, v144, v9, 0x7060403
	s_set_vgpr_msb 1                        ;  msbs: dst=0 src0=1 src1=0 src2=0
	s_delay_alu instid0(VALU_DEP_2) | instskip(SKIP_1) | instid1(VALU_DEP_1)
	v_dot4_i32_iu8 v20, v3 /*v259*/, v28, v20 neg_lo:[1,1,0]
	s_set_vgpr_msb 64                       ;  msbs: dst=1 src0=0 src1=0 src2=0
	v_dot4_i32_iu8 v24 /*v280*/, v23, v22, v20 neg_lo:[1,1,0]
	s_set_vgpr_msb 0                        ;  msbs: dst=0 src0=0 src1=0 src2=0
	v_perm_b32 v20, v16, v163, 0x6040501
	v_perm_b32 v16, v162, v16, 0x6040503
	s_delay_alu instid0(VALU_DEP_2) | instskip(NEXT) | instid1(VALU_DEP_1)
	v_dot4_i32_iu8 v18, v18, v20, 0 neg_lo:[1,1,0]
	v_dot4_i32_iu8 v16, v17, v16, v18 neg_lo:[1,1,0]
	s_set_vgpr_msb 64                       ;  msbs: dst=1 src0=0 src1=0 src2=0
	s_delay_alu instid0(VALU_DEP_1) | instskip(SKIP_3) | instid1(VALU_DEP_2)
	v_dot4_i32_iu8 v25 /*v281*/, v178, v26, v16 neg_lo:[1,1,0]
	s_set_vgpr_msb 0                        ;  msbs: dst=0 src0=0 src1=0 src2=0
	v_perm_b32 v16, v12, v169, 0x6040501
	v_perm_b32 v12, v168, v12, 0x6040503
	v_dot4_i32_iu8 v14, v14, v16, 0 neg_lo:[1,1,0]
	s_delay_alu instid0(VALU_DEP_1) | instskip(NEXT) | instid1(VALU_DEP_1)
	v_dot4_i32_iu8 v12, v13, v12, v14 neg_lo:[1,1,0]
	v_dot4_i32_iu8 v14, v232, v27, v12 neg_lo:[1,1,0]
	v_perm_b32 v12, v152, v6, 0x6050401
	v_perm_b32 v6, v6, v153, 0x7060403
	s_set_vgpr_msb 4                        ;  msbs: dst=0 src0=0 src1=1 src2=0
	s_delay_alu instid0(VALU_DEP_3) | instskip(SKIP_2) | instid1(VALU_DEP_1)
	v_dot4_i32_iu8 v14, v164, v34 /*v290*/, v14 neg_lo:[1,1,0]
	s_set_vgpr_msb 0                        ;  msbs: dst=0 src0=0 src1=0 src2=0
	v_dot4_i32_iu8 v4, v12, v4, 0 neg_lo:[1,1,0]
	v_dot4_i32_iu8 v4, v171, v21, v4 neg_lo:[1,1,0]
	s_delay_alu instid0(VALU_DEP_1) | instskip(SKIP_3) | instid1(VALU_DEP_4)
	v_dot4_i32_iu8 v6, v6, v5, v4 neg_lo:[1,1,0]
	v_perm_b32 v4, v8, v0, 0x6050401
	v_perm_b32 v5, v150, v10, 0x6050401
	;; [unrolled: 1-line block ×3, first 2 shown]
	v_dot4_i32_iu8 v6, v7, v133, v6 neg_lo:[1,1,0]
	s_delay_alu instid0(VALU_DEP_3) | instskip(SKIP_2) | instid1(VALU_DEP_2)
	v_dot4_i32_iu8 v4, v5, v4, 0 neg_lo:[1,1,0]
	v_perm_b32 v5, v0, v9, 0x7060403
	s_set_vgpr_msb 1                        ;  msbs: dst=0 src0=1 src1=0 src2=0
	v_dot4_i32_iu8 v4, v0 /*v256*/, v28, v4 neg_lo:[1,1,0]
	s_set_vgpr_msb 0                        ;  msbs: dst=0 src0=0 src1=0 src2=0
	s_delay_alu instid0(VALU_DEP_1) | instskip(SKIP_1) | instid1(VALU_DEP_2)
	v_dot4_i32_iu8 v10, v8, v5, v4 neg_lo:[1,1,0]
	v_or_b32_e32 v4, s10, v211
	v_dot4_i32_iu8 v10, v1, v11, v10 neg_lo:[1,1,0]
	s_delay_alu instid0(VALU_DEP_2)
	v_dual_lshlrev_b32 v5, 2, v4 :: v_dual_lshrrev_b32 v8, 1, v4
	ds_load_b128 v[20:23], v5 offset:33280
	ds_load_b128 v[24:27], v5 offset:33296
	ds_load_b128 v[28:31], v5 offset:33312
	s_set_vgpr_msb 64                       ;  msbs: dst=1 src0=0 src1=0 src2=0
	ds_load_b128 v[8:11] /*v[264:267]*/, v5 offset:33328
	s_set_vgpr_msb 0                        ;  msbs: dst=0 src0=0 src1=0 src2=0
	v_mul_lo_u32 v10, v10, v155
	s_delay_alu instid0(VALU_DEP_1)
	v_mad_u32 v6, v6, v160, v10
	v_mul_lo_u32 v10, v14, v35
	s_wait_dscnt 0x3
	s_set_vgpr_msb 64                       ;  msbs: dst=1 src0=0 src1=0 src2=0
	v_perm_b32 v33 /*v289*/, v21, v20, 0x6040503
	s_wait_dscnt 0x1
	s_set_vgpr_msb 0                        ;  msbs: dst=0 src0=0 src1=0 src2=0
	v_perm_b32 v5, v170, v30, 0x6040501
	s_wait_dscnt 0x0
	s_set_vgpr_msb 5                        ;  msbs: dst=0 src0=1 src1=1 src2=0
	v_perm_b32 v4, v8 /*v264*/, v10 /*v266*/, 0x6040501
	s_set_vgpr_msb 0x45                     ;  msbs: dst=1 src0=1 src1=1 src2=0
	v_perm_b32 v30 /*v286*/, v9 /*v265*/, v8 /*v264*/, 0x6040503
	v_perm_b32 v31 /*v287*/, v10 /*v266*/, v9 /*v265*/, 0x7060403
	s_set_vgpr_msb 0                        ;  msbs: dst=0 src0=0 src1=0 src2=0
	v_perm_b32 v9, v29, v170, 0x6040503
	s_set_vgpr_msb 64                       ;  msbs: dst=1 src0=0 src1=0 src2=0
	v_perm_b32 v32 /*v288*/, v30, v29, 0x7060403
	s_set_vgpr_msb 4                        ;  msbs: dst=0 src0=0 src1=1 src2=0
	v_dot4_i32_iu8 v4, v4, v1 /*v257*/, 0 neg_lo:[1,1,0]
	s_set_vgpr_msb 0                        ;  msbs: dst=0 src0=0 src1=0 src2=0
	v_perm_b32 v31, v31, v31, 0x7060001
	s_set_vgpr_msb 64                       ;  msbs: dst=1 src0=0 src1=0 src2=0
	v_bfe_i32 v26 /*v282*/, v30, 8, 8
	v_bfe_i32 v27 /*v283*/, v28, 8, 8
	;; [unrolled: 1-line block ×3, first 2 shown]
	s_set_vgpr_msb 5                        ;  msbs: dst=0 src0=1 src1=1 src2=0
	v_dot4_i32_iu8 v4, v30 /*v286*/, v2 /*v258*/, v4 neg_lo:[1,1,0]
	s_set_vgpr_msb 64                       ;  msbs: dst=1 src0=0 src1=0 src2=0
	v_ashrrev_i32_e32 v29 /*v285*/, 24, v30
	s_set_vgpr_msb 1                        ;  msbs: dst=0 src0=1 src1=0 src2=0
	s_delay_alu instid0(VALU_DEP_2) | instskip(SKIP_2) | instid1(VALU_DEP_1)
	v_dot4_i32_iu8 v12, v31 /*v287*/, v255, v4 neg_lo:[1,1,0]
	s_set_vgpr_msb 0                        ;  msbs: dst=0 src0=0 src1=0 src2=0
	v_perm_b32 v4, v28, v173, 0x6040501
	v_dot4_i32_iu8 v4, v5, v4, 0 neg_lo:[1,1,0]
	v_perm_b32 v5, v172, v28, 0x6040503
	s_delay_alu instid0(VALU_DEP_1) | instskip(SKIP_3) | instid1(VALU_DEP_3)
	v_dot4_i32_iu8 v4, v9, v5, v4 neg_lo:[1,1,0]
	v_perm_b32 v5, v140, v26, 0x6050401
	v_perm_b32 v9, v25, v140, 0x6040503
	s_set_vgpr_msb 5                        ;  msbs: dst=0 src0=1 src1=1 src2=0
	v_dot4_i32_iu8 v13, v4 /*v260*/, v32 /*v288*/, v4 neg_lo:[1,1,0]
	s_set_vgpr_msb 0                        ;  msbs: dst=0 src0=0 src1=0 src2=0
	v_perm_b32 v4, v24, v134, 0x6050401
	s_set_vgpr_msb 64                       ;  msbs: dst=1 src0=0 src1=0 src2=0
	s_delay_alu instid0(VALU_DEP_2) | instskip(SKIP_1) | instid1(VALU_DEP_2)
	v_dot4_i32_iu8 v13 /*v269*/, v31, v244, v13 neg_lo:[1,1,0]
	s_set_vgpr_msb 16                       ;  msbs: dst=0 src0=0 src1=0 src2=1
	v_dot4_i32_iu8 v4, v5, v4, 0 neg_lo:[1,1,0]
	v_perm_b32 v5, v141, v24, 0x6040503
	v_dot4_i32_iu8 v13, v137, v11, v16 /*v272*/ neg_lo:[1,1,0]
	s_set_vgpr_msb 0                        ;  msbs: dst=0 src0=0 src1=0 src2=0
	s_delay_alu instid0(VALU_DEP_2) | instskip(SKIP_3) | instid1(VALU_DEP_3)
	v_dot4_i32_iu8 v4, v9, v5, v4 neg_lo:[1,1,0]
	v_perm_b32 v5, v26, v25, 0x7060403
	v_perm_b32 v9, v22, v139, 0x7060403
	v_mul_lo_u32 v13, v13, v242
	v_dot4_i32_iu8 v16, v5, v247, v4 neg_lo:[1,1,0]
	v_perm_b32 v4, v20, v136, 0x6050401
	v_perm_b32 v5, v138, v22, 0x6050401
	s_delay_alu instid0(VALU_DEP_1) | instskip(SKIP_2) | instid1(VALU_DEP_2)
	v_dot4_i32_iu8 v4, v5, v4, 0 neg_lo:[1,1,0]
	v_perm_b32 v5, v136, v21, 0x7060403
	s_set_vgpr_msb 5                        ;  msbs: dst=0 src0=1 src1=1 src2=0
	v_dot4_i32_iu8 v4, v5 /*v261*/, v33 /*v289*/, v4 neg_lo:[1,1,0]
	s_set_vgpr_msb 0                        ;  msbs: dst=0 src0=0 src1=0 src2=0
	s_delay_alu instid0(VALU_DEP_1)
	v_dot4_i32_iu8 v17, v9, v5, v4 neg_lo:[1,1,0]
	s_set_vgpr_msb 1                        ;  msbs: dst=0 src0=1 src1=0 src2=0
	ds_load_b64 v[4:5], v12 /*v268*/ offset:43584
	s_set_vgpr_msb 0                        ;  msbs: dst=0 src0=0 src1=0 src2=0
	ds_load_b64 v[8:9], v8 offset:43584
	s_set_vgpr_msb 0x45                     ;  msbs: dst=1 src0=1 src1=1 src2=0
	v_perm_b32 v12 /*v268*/, v11 /*v267*/, v11 /*v267*/, 0x7060001
	s_set_vgpr_msb 0                        ;  msbs: dst=0 src0=0 src1=0 src2=0
	v_dot4_i32_iu8 v17, v23, v137, v17 neg_lo:[1,1,0]
	s_set_vgpr_msb 4                        ;  msbs: dst=0 src0=0 src1=1 src2=0
	s_delay_alu instid0(VALU_DEP_2) | instskip(SKIP_4) | instid1(VALU_DEP_2)
	v_dot4_i32_iu8 v18, v245, v12 /*v268*/, v12 neg_lo:[1,1,0]
	s_set_vgpr_msb 0                        ;  msbs: dst=0 src0=0 src1=0 src2=0
	v_dot4_i32_iu8 v12, v135, v27, v16 neg_lo:[1,1,0]
	s_set_vgpr_msb 16                       ;  msbs: dst=0 src0=0 src1=0 src2=1
	v_dot4_i32_iu8 v16, v7, v135, v15 /*v271*/ neg_lo:[1,1,0]
	v_mul_lo_u32 v12, v12, v243
	s_set_vgpr_msb 0                        ;  msbs: dst=0 src0=0 src1=0 src2=0
	s_delay_alu instid0(VALU_DEP_2) | instskip(SKIP_3) | instid1(VALU_DEP_4)
	v_mad_u32 v13, v16, v243, v13
	s_wait_dscnt 0x0
	v_mov_b32_e32 v16, v8
	v_mul_lo_u32 v8, v18, v241
	v_mad_u32 v12, v17, v242, v12
	v_mov_b32_e32 v17, v4
	s_set_vgpr_msb 1                        ;  msbs: dst=0 src0=1 src1=0 src2=0
	v_mul_lo_u32 v4, v14 /*v270*/, v240
	s_set_vgpr_msb 0                        ;  msbs: dst=0 src0=0 src1=0 src2=0
	v_cvt_f32_i32_e32 v13, v13
	s_set_vgpr_msb 1                        ;  msbs: dst=0 src0=1 src1=0 src2=0
	v_mad_u32 v8, v13 /*v269*/, v240, v8
	s_set_vgpr_msb 64                       ;  msbs: dst=1 src0=0 src1=0 src2=0
	v_perm_b32 v13 /*v269*/, v22, v129, 0x7060403
	s_set_vgpr_msb 0                        ;  msbs: dst=0 src0=0 src1=0 src2=0
	v_cvt_f32_i32_e32 v12, v12
	v_mad_u32 v4, v19, v241, v4
	s_delay_alu instid0(VALU_DEP_4) | instskip(NEXT) | instid1(VALU_DEP_2)
	v_cvt_f32_i32_e32 v18, v8
	v_cvt_f32_i32_e32 v19, v4
	v_mov_b32_e32 v4, v9
	v_pk_fma_f32 v[12:13], v[16:17], v[12:13], 0 op_sel_hi:[1,1,0]
	s_delay_alu instid0(VALU_DEP_1)
	v_pk_fma_f32 v[8:9], v[4:5], v[18:19], v[12:13]
	v_perm_b32 v18, v29, v28, 0x5030200
	s_set_vgpr_msb 4                        ;  msbs: dst=0 src0=0 src1=1 src2=0
	v_mul_i32_i24_e32 v12, v253, v28 /*v284*/
	v_mul_i32_i24_e32 v13, v252, v29 /*v285*/
	s_set_vgpr_msb 0                        ;  msbs: dst=0 src0=0 src1=0 src2=0
	v_perm_b32 v19, v26, v131, 0x7060403
	v_pk_fma_f32 v[50:51], v[116:117], v[8:9], v[50:51]
	s_set_vgpr_msb 5                        ;  msbs: dst=0 src0=1 src1=1 src2=0
	v_perm_b32 v9, v10 /*v266*/, v10 /*v266*/, 0xc0c0c01
	s_set_vgpr_msb 1                        ;  msbs: dst=0 src0=1 src1=0 src2=0
	v_perm_b32 v8, v8 /*v264*/, v33, 0x6040503
	s_set_vgpr_msb 0                        ;  msbs: dst=0 src0=0 src1=0 src2=0
	s_delay_alu instid0(VALU_DEP_2) | instskip(NEXT) | instid1(VALU_DEP_1)
	v_or_b32_e32 v9, v248, v9
	v_dot4_i32_iu8 v8, v9, v8, 0 neg_lo:[1,1,0]
	s_set_vgpr_msb 1                        ;  msbs: dst=0 src0=1 src1=0 src2=0
	v_mul_i32_i24_e32 v9, v26 /*v282*/, v175
	s_delay_alu instid0(VALU_DEP_2) | instskip(NEXT) | instid1(VALU_DEP_2)
	v_dot4_i32_iu8 v8, v30 /*v286*/, v249, v8 neg_lo:[1,1,0]
	v_mad_i32_i24 v9, v27 /*v283*/, v176, v9
	s_set_vgpr_msb 4                        ;  msbs: dst=0 src0=0 src1=1 src2=0
	s_delay_alu instid0(VALU_DEP_2) | instskip(SKIP_1) | instid1(VALU_DEP_2)
	v_dot4_i32_iu8 v8, v250, v31 /*v287*/, v8 neg_lo:[1,1,0]
	s_set_vgpr_msb 0                        ;  msbs: dst=0 src0=0 src1=0 src2=0
	v_dot4_i32_iu8 v9, v251, v18, v9 neg_lo:[1,1,0]
	v_perm_b32 v18, v30, v29, 0x4030200
	s_delay_alu instid0(VALU_DEP_1) | instskip(SKIP_1) | instid1(VALU_DEP_2)
	v_dot4_i32_iu8 v9, v254, v18, v9 neg_lo:[1,1,0]
	v_perm_b32 v18, v25, v24, 0x6040503
	v_add3_u32 v9, v9, v12, v13
	v_perm_b32 v12, v24, v124, 0x6050401
	v_perm_b32 v13, v130, v26, 0x6050401
	s_delay_alu instid0(VALU_DEP_1) | instskip(SKIP_1) | instid1(VALU_DEP_2)
	v_dot4_i32_iu8 v12, v13, v12, 0 neg_lo:[1,1,0]
	v_perm_b32 v13, v124, v25, 0x7060403
	v_dot4_i32_iu8 v12, v234, v18, v12 neg_lo:[1,1,0]
	s_delay_alu instid0(VALU_DEP_1) | instskip(SKIP_2) | instid1(VALU_DEP_1)
	v_dot4_i32_iu8 v12, v19, v13, v12 neg_lo:[1,1,0]
	v_perm_b32 v13, v20, v126, 0x6050401
	v_perm_b32 v19, v128, v22, 0x6050401
	v_dot4_i32_iu8 v13, v19, v13, 0 neg_lo:[1,1,0]
	v_perm_b32 v19, v126, v21, 0x7060403
	s_set_vgpr_msb 4                        ;  msbs: dst=0 src0=0 src1=1 src2=0
	s_delay_alu instid0(VALU_DEP_2) | instskip(SKIP_1) | instid1(VALU_DEP_1)
	v_dot4_i32_iu8 v13, v235, v33 /*v289*/, v13 neg_lo:[1,1,0]
	s_set_vgpr_msb 1                        ;  msbs: dst=0 src0=1 src1=0 src2=0
	v_dot4_i32_iu8 v13, v13 /*v269*/, v19, v13 neg_lo:[1,1,0]
	s_set_vgpr_msb 0                        ;  msbs: dst=0 src0=0 src1=0 src2=0
	v_perm_b32 v19, v15, v2, 0x7060203
	v_perm_b32 v15, v3, v15, 0x5040001
	s_set_vgpr_msb 0x55                     ;  msbs: dst=1 src0=1 src1=1 src2=1
	v_dot4_i32_iu8 v13 /*v269*/, v35 /*v291*/, v7 /*v263*/, v17 /*v273*/ neg_lo:[1,1,0]
	s_set_vgpr_msb 0                        ;  msbs: dst=0 src0=0 src1=0 src2=0
	v_dot4_i32_iu8 v13, v23, v127, v13 neg_lo:[1,1,0]
	s_set_vgpr_msb 16                       ;  msbs: dst=0 src0=0 src1=0 src2=1
	v_dot4_i32_iu8 v15, v15, v19, v18 /*v274*/ neg_lo:[1,1,0]
	s_set_vgpr_msb 1                        ;  msbs: dst=0 src0=1 src1=0 src2=0
	v_perm_b32 v19, v11 /*v267*/, v34, 0x7060203
	s_set_vgpr_msb 0x44                     ;  msbs: dst=1 src0=0 src1=1 src2=0
	v_perm_b32 v11 /*v267*/, v174, v11 /*v267*/, 0x5040001
	s_set_vgpr_msb 1                        ;  msbs: dst=0 src0=1 src1=0 src2=0
	s_delay_alu instid0(VALU_DEP_1)
	v_dot4_i32_iu8 v19, v11 /*v267*/, v19, v8 neg_lo:[1,1,0]
	s_set_vgpr_msb 0x44                     ;  msbs: dst=1 src0=0 src1=1 src2=0
	v_dot4_i32_iu8 v11 /*v267*/, v31, v6 /*v262*/, v9 neg_lo:[1,1,0]
	s_set_vgpr_msb 0                        ;  msbs: dst=0 src0=0 src1=0 src2=0
	v_dot4_i32_iu8 v8, v125, v27, v12 neg_lo:[1,1,0]
	s_set_vgpr_msb 16                       ;  msbs: dst=0 src0=0 src1=0 src2=1
	v_dot4_i32_iu8 v9, v127, v11, v20 /*v276*/ neg_lo:[1,1,0]
	v_dot4_i32_iu8 v12, v7, v125, v19 /*v275*/ neg_lo:[1,1,0]
	s_delay_alu instid0(VALU_DEP_3) | instskip(NEXT) | instid1(VALU_DEP_3)
	v_mul_lo_u32 v8, v8, v238
	v_mul_lo_u32 v9, v9, v239
	s_set_vgpr_msb 0                        ;  msbs: dst=0 src0=0 src1=0 src2=0
	s_delay_alu instid0(VALU_DEP_2) | instskip(NEXT) | instid1(VALU_DEP_2)
	v_mad_u32 v8, v13, v239, v8
	v_mad_u32 v9, v12, v238, v9
	v_mul_lo_u32 v12, v15, v237
	v_mul_lo_u32 v13, v19, v236
	v_perm_b32 v19, v22, v149, 0x7060403
	v_cvt_f32_i32_e32 v8, v8
	v_cvt_f32_i32_e32 v9, v9
	s_set_vgpr_msb 1                        ;  msbs: dst=0 src0=1 src1=0 src2=0
	v_mad_u32 v15, v13 /*v269*/, v236, v12
	v_mad_u32 v12, v11 /*v267*/, v237, v13
	s_set_vgpr_msb 0x51                     ;  msbs: dst=1 src0=1 src1=0 src2=1
	v_dot4_i32_iu8 v11 /*v267*/, v35 /*v291*/, v231, v21 /*v277*/ neg_lo:[1,1,0]
	s_set_vgpr_msb 0                        ;  msbs: dst=0 src0=0 src1=0 src2=0
	v_pk_fma_f32 v[8:9], v[16:17], v[8:9], 0 op_sel_hi:[1,1,0]
	s_delay_alu instid0(VALU_DEP_4) | instskip(NEXT) | instid1(VALU_DEP_4)
	v_cvt_f32_i32_e32 v13, v15
	v_cvt_f32_i32_e32 v12, v12
	v_perm_b32 v15, v26, v147, 0x7060403
	s_delay_alu instid0(VALU_DEP_2)
	v_pk_fma_f32 v[8:9], v[4:5], v[12:13], v[8:9]
	s_set_vgpr_msb 1                        ;  msbs: dst=0 src0=1 src1=0 src2=0
	v_perm_b32 v12, v9 /*v265*/, v161, 0x6040503
	s_set_vgpr_msb 0                        ;  msbs: dst=0 src0=0 src1=0 src2=0
	v_perm_b32 v13, v29, v154, 0x6040503
	v_pk_fma_f32 v[48:49], v[118:119], v[8:9], v[48:49]
	s_set_vgpr_msb 1                        ;  msbs: dst=0 src0=1 src1=0 src2=0
	v_perm_b32 v8, v8 /*v264*/, v159, 0x6040501
	s_set_vgpr_msb 4                        ;  msbs: dst=0 src0=0 src1=1 src2=0
	v_perm_b32 v9, v161, v10 /*v266*/, 0x6040501
	s_set_vgpr_msb 0                        ;  msbs: dst=0 src0=0 src1=0 src2=0
	s_delay_alu instid0(VALU_DEP_1) | instskip(SKIP_3) | instid1(VALU_DEP_1)
	v_dot4_i32_iu8 v8, v9, v8, 0 neg_lo:[1,1,0]
	s_set_vgpr_msb 4                        ;  msbs: dst=0 src0=0 src1=1 src2=0
	v_perm_b32 v9, v158, v8 /*v264*/, 0x6040503
	s_set_vgpr_msb 0                        ;  msbs: dst=0 src0=0 src1=0 src2=0
	v_dot4_i32_iu8 v8, v12, v9, v8 neg_lo:[1,1,0]
	v_perm_b32 v9, v28, v167, 0x6040501
	v_perm_b32 v12, v154, v30, 0x6040501
	s_set_vgpr_msb 4                        ;  msbs: dst=0 src0=0 src1=1 src2=0
	s_delay_alu instid0(VALU_DEP_3) | instskip(SKIP_1) | instid1(VALU_DEP_2)
	v_dot4_i32_iu8 v8, v177, v31 /*v287*/, v8 neg_lo:[1,1,0]
	s_set_vgpr_msb 0                        ;  msbs: dst=0 src0=0 src1=0 src2=0
	v_dot4_i32_iu8 v9, v12, v9, 0 neg_lo:[1,1,0]
	v_perm_b32 v12, v166, v28, 0x6040503
	s_delay_alu instid0(VALU_DEP_1) | instskip(SKIP_3) | instid1(VALU_DEP_3)
	v_dot4_i32_iu8 v9, v13, v12, v9 neg_lo:[1,1,0]
	v_perm_b32 v12, v24, v142, 0x6050401
	v_perm_b32 v13, v146, v26, 0x6050401
	s_set_vgpr_msb 4                        ;  msbs: dst=0 src0=0 src1=1 src2=0
	v_dot4_i32_iu8 v9, v246, v32 /*v288*/, v9 neg_lo:[1,1,0]
	s_set_vgpr_msb 0                        ;  msbs: dst=0 src0=0 src1=0 src2=0
	s_delay_alu instid0(VALU_DEP_2)
	v_dot4_i32_iu8 v12, v13, v12, 0 neg_lo:[1,1,0]
	v_perm_b32 v13, v142, v25, 0x7060403
	s_set_vgpr_msb 64                       ;  msbs: dst=1 src0=0 src1=0 src2=0
	v_dot4_i32_iu8 v13 /*v269*/, v31, v230, v9 neg_lo:[1,1,0]
	s_set_vgpr_msb 16                       ;  msbs: dst=0 src0=0 src1=0 src2=1
	v_dot4_i32_iu8 v9, v145, v11, v24 /*v280*/ neg_lo:[1,1,0]
	s_set_vgpr_msb 0                        ;  msbs: dst=0 src0=0 src1=0 src2=0
	v_dot4_i32_iu8 v12, v233, v18, v12 neg_lo:[1,1,0]
	s_delay_alu instid0(VALU_DEP_2) | instskip(NEXT) | instid1(VALU_DEP_2)
	v_mul_lo_u32 v9, v9, v228
	v_dot4_i32_iu8 v12, v15, v13, v12 neg_lo:[1,1,0]
	v_perm_b32 v13, v20, v144, 0x6050401
	v_perm_b32 v15, v148, v22, 0x6050401
	s_delay_alu instid0(VALU_DEP_1) | instskip(SKIP_2) | instid1(VALU_DEP_2)
	v_dot4_i32_iu8 v13, v15, v13, 0 neg_lo:[1,1,0]
	v_perm_b32 v15, v144, v21, 0x7060403
	s_set_vgpr_msb 5                        ;  msbs: dst=0 src0=1 src1=1 src2=0
	v_dot4_i32_iu8 v13, v3 /*v259*/, v33 /*v289*/, v13 neg_lo:[1,1,0]
	s_set_vgpr_msb 0                        ;  msbs: dst=0 src0=0 src1=0 src2=0
	s_delay_alu instid0(VALU_DEP_1)
	v_dot4_i32_iu8 v13, v19, v15, v13 neg_lo:[1,1,0]
	s_set_vgpr_msb 4                        ;  msbs: dst=0 src0=0 src1=1 src2=0
	v_dot4_i32_iu8 v15, v231, v12 /*v268*/, v8 neg_lo:[1,1,0]
	s_set_vgpr_msb 0                        ;  msbs: dst=0 src0=0 src1=0 src2=0
	v_dot4_i32_iu8 v8, v143, v27, v12 neg_lo:[1,1,0]
	s_set_vgpr_msb 20                       ;  msbs: dst=0 src0=0 src1=1 src2=1
	v_dot4_i32_iu8 v19, v230, v34 /*v290*/, v22 /*v278*/ neg_lo:[1,1,0]
	s_set_vgpr_msb 16                       ;  msbs: dst=0 src0=0 src1=0 src2=1
	v_dot4_i32_iu8 v12, v7, v143, v23 /*v279*/ neg_lo:[1,1,0]
	s_set_vgpr_msb 0                        ;  msbs: dst=0 src0=0 src1=0 src2=0
	v_dot4_i32_iu8 v13, v23, v145, v13 neg_lo:[1,1,0]
	v_mul_lo_u32 v8, v8, v229
	s_delay_alu instid0(VALU_DEP_3) | instskip(SKIP_1) | instid1(VALU_DEP_3)
	v_mad_u32 v9, v12, v229, v9
	v_mul_lo_u32 v12, v19, v227
	v_mad_u32 v8, v13, v228, v8
	v_mul_lo_u32 v13, v15, v179
	s_delay_alu instid0(VALU_DEP_4) | instskip(SKIP_1) | instid1(VALU_DEP_4)
	v_cvt_f32_i32_e32 v9, v9
	s_set_vgpr_msb 1                        ;  msbs: dst=0 src0=1 src1=0 src2=0
	v_mad_u32 v12, v11 /*v267*/, v179, v12
	s_set_vgpr_msb 0                        ;  msbs: dst=0 src0=0 src1=0 src2=0
	s_delay_alu instid0(VALU_DEP_4) | instskip(SKIP_1) | instid1(VALU_DEP_4)
	v_cvt_f32_i32_e32 v8, v8
	s_set_vgpr_msb 1                        ;  msbs: dst=0 src0=1 src1=0 src2=0
	v_mad_u32 v15, v13 /*v269*/, v227, v13
	s_set_vgpr_msb 0                        ;  msbs: dst=0 src0=0 src1=0 src2=0
	s_delay_alu instid0(VALU_DEP_3) | instskip(SKIP_1) | instid1(VALU_DEP_3)
	v_cvt_f32_i32_e32 v13, v12
	v_pk_fma_f32 v[8:9], v[16:17], v[8:9], 0 op_sel_hi:[1,1,0]
	v_cvt_f32_i32_e32 v12, v15
	v_perm_b32 v15, v26, v153, 0x7060403
	s_delay_alu instid0(VALU_DEP_2)
	v_pk_fma_f32 v[8:9], v[4:5], v[12:13], v[8:9]
	s_set_vgpr_msb 1                        ;  msbs: dst=0 src0=1 src1=0 src2=0
	v_perm_b32 v12, v9 /*v265*/, v165, 0x6040503
	s_set_vgpr_msb 0                        ;  msbs: dst=0 src0=0 src1=0 src2=0
	v_perm_b32 v13, v29, v156, 0x6040503
	v_pk_fma_f32 v[46:47], v[120:121], v[8:9], v[46:47]
	s_set_vgpr_msb 1                        ;  msbs: dst=0 src0=1 src1=0 src2=0
	v_perm_b32 v8, v8 /*v264*/, v163, 0x6040501
	s_set_vgpr_msb 4                        ;  msbs: dst=0 src0=0 src1=1 src2=0
	v_perm_b32 v9, v165, v10 /*v266*/, 0x6040501
	s_set_vgpr_msb 0                        ;  msbs: dst=0 src0=0 src1=0 src2=0
	s_delay_alu instid0(VALU_DEP_1) | instskip(SKIP_3) | instid1(VALU_DEP_1)
	v_dot4_i32_iu8 v8, v9, v8, 0 neg_lo:[1,1,0]
	s_set_vgpr_msb 4                        ;  msbs: dst=0 src0=0 src1=1 src2=0
	v_perm_b32 v9, v162, v8 /*v264*/, 0x6040503
	s_set_vgpr_msb 0                        ;  msbs: dst=0 src0=0 src1=0 src2=0
	v_dot4_i32_iu8 v8, v12, v9, v8 neg_lo:[1,1,0]
	v_perm_b32 v9, v28, v169, 0x6040501
	v_perm_b32 v12, v156, v30, 0x6040501
	s_set_vgpr_msb 4                        ;  msbs: dst=0 src0=0 src1=1 src2=0
	s_delay_alu instid0(VALU_DEP_3) | instskip(SKIP_1) | instid1(VALU_DEP_2)
	v_dot4_i32_iu8 v8, v178, v31 /*v287*/, v8 neg_lo:[1,1,0]
	s_set_vgpr_msb 0                        ;  msbs: dst=0 src0=0 src1=0 src2=0
	v_dot4_i32_iu8 v9, v12, v9, 0 neg_lo:[1,1,0]
	v_perm_b32 v12, v168, v28, 0x6040503
	s_set_vgpr_msb 4                        ;  msbs: dst=0 src0=0 src1=1 src2=0
	v_dot4_i32_iu8 v8, v157, v12 /*v268*/, v8 neg_lo:[1,1,0]
	s_set_vgpr_msb 0                        ;  msbs: dst=0 src0=0 src1=0 src2=0
	s_delay_alu instid0(VALU_DEP_2)
	v_dot4_i32_iu8 v9, v13, v12, v9 neg_lo:[1,1,0]
	v_perm_b32 v12, v24, v132, 0x6050401
	v_perm_b32 v13, v152, v26, 0x6050401
	v_mul_lo_u32 v8, v8, v32
	s_set_vgpr_msb 4                        ;  msbs: dst=0 src0=0 src1=1 src2=0
	v_dot4_i32_iu8 v9, v232, v32 /*v288*/, v9 neg_lo:[1,1,0]
	s_set_vgpr_msb 0                        ;  msbs: dst=0 src0=0 src1=0 src2=0
	v_dot4_i32_iu8 v12, v13, v12, 0 neg_lo:[1,1,0]
	v_perm_b32 v13, v132, v25, 0x7060403
	s_delay_alu instid0(VALU_DEP_3) | instskip(NEXT) | instid1(VALU_DEP_3)
	v_dot4_i32_iu8 v9, v31, v164, v9 neg_lo:[1,1,0]
	v_dot4_i32_iu8 v12, v171, v18, v12 neg_lo:[1,1,0]
	v_perm_b32 v18, v22, v151, 0x7060403
	s_delay_alu instid0(VALU_DEP_3) | instskip(NEXT) | instid1(VALU_DEP_3)
	v_mad_u32 v8, v9, v35, v8
	v_dot4_i32_iu8 v12, v15, v13, v12 neg_lo:[1,1,0]
	v_perm_b32 v13, v20, v0, 0x6050401
	v_perm_b32 v15, v150, v22, 0x6050401
	s_delay_alu instid0(VALU_DEP_3) | instskip(NEXT) | instid1(VALU_DEP_2)
	v_dot4_i32_iu8 v12, v133, v27, v12 neg_lo:[1,1,0]
	v_dot4_i32_iu8 v13, v15, v13, 0 neg_lo:[1,1,0]
	v_perm_b32 v15, v0, v21, 0x7060403
	v_cvt_f32_i32_e32 v8, v8
	s_delay_alu instid0(VALU_DEP_4) | instskip(SKIP_3) | instid1(VALU_DEP_1)
	v_mul_lo_u32 v11, v12, v160
	s_set_vgpr_msb 5                        ;  msbs: dst=0 src0=1 src1=1 src2=0
	v_dot4_i32_iu8 v13, v0 /*v256*/, v33 /*v289*/, v13 neg_lo:[1,1,0]
	s_set_vgpr_msb 0                        ;  msbs: dst=0 src0=0 src1=0 src2=0
	v_dot4_i32_iu8 v13, v18, v15, v13 neg_lo:[1,1,0]
	s_set_vgpr_msb 17                       ;  msbs: dst=0 src0=1 src1=0 src2=1
	v_dot4_i32_iu8 v15, v35 /*v291*/, v157, v25 /*v281*/ neg_lo:[1,1,0]
	s_set_vgpr_msb 0                        ;  msbs: dst=0 src0=0 src1=0 src2=0
	s_delay_alu instid0(VALU_DEP_2) | instskip(NEXT) | instid1(VALU_DEP_2)
	v_dot4_i32_iu8 v7, v23, v1, v13 neg_lo:[1,1,0]
	v_mad_u32 v9, v15, v32, v10
	s_delay_alu instid0(VALU_DEP_2) | instskip(SKIP_1) | instid1(VALU_DEP_3)
	v_mad_u32 v11, v7, v155, v11
	v_cvt_f32_i32_e32 v7, v6
	v_cvt_f32_i32_e32 v9, v9
	s_delay_alu instid0(VALU_DEP_3) | instskip(NEXT) | instid1(VALU_DEP_1)
	v_cvt_f32_i32_e32 v6, v11
	v_pk_fma_f32 v[6:7], v[16:17], v[6:7], 0 op_sel_hi:[1,1,0]
	s_delay_alu instid0(VALU_DEP_1) | instskip(NEXT) | instid1(VALU_DEP_1)
	v_pk_fma_f32 v[4:5], v[4:5], v[8:9], v[6:7]
	v_pk_fma_f32 v[44:45], v[122:123], v[4:5], v[44:45]
	v_or_b32_e32 v4, s10, v212
	s_delay_alu instid0(VALU_DEP_1)
	v_lshlrev_b32_e32 v5, 2, v4
	ds_load_b128 v[10:13], v5 offset:33280
	ds_load_b128 v[6:9], v5 offset:33296
	;; [unrolled: 1-line block ×4, first 2 shown]
	s_set_vgpr_msb 64                       ;  msbs: dst=1 src0=0 src1=0 src2=0
	v_lshrrev_b32_e32 v16 /*v272*/, 1, v4
	s_wait_dscnt 0x3
	s_set_vgpr_msb 0                        ;  msbs: dst=0 src0=0 src1=0 src2=0
	v_perm_b32 v30, v12, v139, 0x7060403
	s_wait_dscnt 0x2
	v_perm_b32 v29, v7, v140, 0x6040503
	s_wait_dscnt 0x1
	v_bfe_i32 v4, v16, 8, 8
	s_wait_dscnt 0x0
	v_perm_b32 v24, v20, v22, 0x6040501
	v_perm_b32 v25, v21, v20, 0x6040503
	v_bfe_i32 v5, v14, 8, 8
	v_perm_b32 v26, v22, v21, 0x7060403
	v_mul_i32_i24_e32 v4, v4, v175
	s_set_vgpr_msb 4                        ;  msbs: dst=0 src0=0 src1=1 src2=0
	v_dot4_i32_iu8 v24, v24, v1 /*v257*/, 0 neg_lo:[1,1,0]
	s_set_vgpr_msb 0                        ;  msbs: dst=0 src0=0 src1=0 src2=0
	v_perm_b32 v27, v170, v16, 0x6040501
	v_bfe_i32 v18, v16, 16, 8
	v_ashrrev_i32_e32 v19, 24, v16
	v_mad_i32_i24 v4, v5, v176, v4
	s_set_vgpr_msb 4                        ;  msbs: dst=0 src0=0 src1=1 src2=0
	v_dot4_i32_iu8 v24, v25, v2 /*v258*/, v24 neg_lo:[1,1,0]
	s_set_vgpr_msb 0                        ;  msbs: dst=0 src0=0 src1=0 src2=0
	v_perm_b32 v5, v15, v14, 0x5030200
	v_perm_b32 v28, v15, v170, 0x6040503
	v_mul_i32_i24_e32 v18, v253, v18
	v_mul_i32_i24_e32 v19, v252, v19
	s_set_vgpr_msb 64                       ;  msbs: dst=1 src0=0 src1=0 src2=0
	v_dot4_i32_iu8 v17 /*v273*/, v26, v255, v24 neg_lo:[1,1,0]
	s_set_vgpr_msb 0                        ;  msbs: dst=0 src0=0 src1=0 src2=0
	v_perm_b32 v24, v14, v173, 0x6040501
	v_dot4_i32_iu8 v4, v251, v5, v4 neg_lo:[1,1,0]
	v_perm_b32 v5, v16, v15, 0x4030200
	v_perm_b32 v23, v23, v23, 0x7060001
	v_perm_b32 v2, v17, v2, 0x7060203
	v_dot4_i32_iu8 v24, v27, v24, 0 neg_lo:[1,1,0]
	v_perm_b32 v27, v172, v14, 0x6040503
	v_dot4_i32_iu8 v4, v254, v5, v4 neg_lo:[1,1,0]
	v_perm_b32 v5, v130, v8, 0x6050401
	v_perm_b32 v3, v3, v17, 0x5040001
	s_delay_alu instid0(VALU_DEP_4)
	v_dot4_i32_iu8 v24, v28, v27, v24 neg_lo:[1,1,0]
	v_perm_b32 v27, v16, v15, 0x7060403
	v_perm_b32 v28, v140, v8, 0x6050401
	s_set_vgpr_msb 64                       ;  msbs: dst=1 src0=0 src1=0 src2=0
	v_add3_u32 v14 /*v270*/, v4, v18, v19
	s_set_vgpr_msb 0                        ;  msbs: dst=0 src0=0 src1=0 src2=0
	v_perm_b32 v4, v6, v124, 0x6050401
	v_perm_b32 v18, v124, v7, 0x7060403
	s_set_vgpr_msb 0x41                     ;  msbs: dst=1 src0=1 src1=0 src2=0
	v_dot4_i32_iu8 v19 /*v275*/, v4 /*v260*/, v27, v24 neg_lo:[1,1,0]
	s_set_vgpr_msb 0                        ;  msbs: dst=0 src0=0 src1=0 src2=0
	v_perm_b32 v24, v6, v134, 0x6050401
	v_perm_b32 v19, v8, v131, 0x7060403
	v_dot4_i32_iu8 v4, v5, v4, 0 neg_lo:[1,1,0]
	v_perm_b32 v5, v7, v6, 0x6040503
	s_delay_alu instid0(VALU_DEP_4) | instskip(SKIP_1) | instid1(VALU_DEP_3)
	v_dot4_i32_iu8 v24, v28, v24, 0 neg_lo:[1,1,0]
	v_perm_b32 v28, v141, v6, 0x6040503
	v_dot4_i32_iu8 v4, v234, v5, v4 neg_lo:[1,1,0]
	s_delay_alu instid0(VALU_DEP_2) | instskip(SKIP_2) | instid1(VALU_DEP_3)
	v_dot4_i32_iu8 v24, v29, v28, v24 neg_lo:[1,1,0]
	v_perm_b32 v28, v8, v7, 0x7060403
	s_set_vgpr_msb 64                       ;  msbs: dst=1 src0=0 src1=0 src2=0
	v_dot4_i32_iu8 v13 /*v269*/, v19, v18, v4 neg_lo:[1,1,0]
	s_set_vgpr_msb 0                        ;  msbs: dst=0 src0=0 src1=0 src2=0
	v_perm_b32 v4, v10, v126, 0x6050401
	v_perm_b32 v18, v128, v12, 0x6050401
	;; [unrolled: 1-line block ×3, first 2 shown]
	s_set_vgpr_msb 64                       ;  msbs: dst=1 src0=0 src1=0 src2=0
	v_dot4_i32_iu8 v18 /*v274*/, v28, v247, v24 neg_lo:[1,1,0]
	s_set_vgpr_msb 0                        ;  msbs: dst=0 src0=0 src1=0 src2=0
	v_perm_b32 v24, v10, v136, 0x6050401
	v_perm_b32 v28, v138, v12, 0x6050401
	v_dot4_i32_iu8 v4, v18, v4, 0 neg_lo:[1,1,0]
	v_perm_b32 v18, v126, v11, 0x7060403
	v_perm_b32 v29, v136, v11, 0x7060403
	s_delay_alu instid0(VALU_DEP_4) | instskip(SKIP_1) | instid1(VALU_DEP_1)
	v_dot4_i32_iu8 v24, v28, v24, 0 neg_lo:[1,1,0]
	v_perm_b32 v28, v11, v10, 0x6040503
	v_dot4_i32_iu8 v4, v235, v28, v4 neg_lo:[1,1,0]
	s_set_vgpr_msb 1                        ;  msbs: dst=0 src0=1 src1=0 src2=0
	s_delay_alu instid0(VALU_DEP_3) | instskip(SKIP_1) | instid1(VALU_DEP_2)
	v_dot4_i32_iu8 v24, v5 /*v261*/, v28, v24 neg_lo:[1,1,0]
	s_set_vgpr_msb 64                       ;  msbs: dst=1 src0=0 src1=0 src2=0
	v_dot4_i32_iu8 v15 /*v271*/, v19, v18, v4 neg_lo:[1,1,0]
	s_set_vgpr_msb 0                        ;  msbs: dst=0 src0=0 src1=0 src2=0
	v_perm_b32 v4, v20, v159, 0x6040501
	v_perm_b32 v18, v161, v22, 0x6040501
	;; [unrolled: 1-line block ×3, first 2 shown]
	s_set_vgpr_msb 64                       ;  msbs: dst=1 src0=0 src1=0 src2=0
	v_dot4_i32_iu8 v20 /*v276*/, v30, v29, v24 neg_lo:[1,1,0]
	s_set_vgpr_msb 0                        ;  msbs: dst=0 src0=0 src1=0 src2=0
	v_perm_b32 v29, v22, v22, 0xc0c0c01
	v_perm_b32 v24, v20, v33, 0x6040503
	v_dot4_i32_iu8 v4, v18, v4, 0 neg_lo:[1,1,0]
	v_perm_b32 v18, v158, v20, 0x6040503
	s_delay_alu instid0(VALU_DEP_1)
	v_dot4_i32_iu8 v4, v19, v18, v4 neg_lo:[1,1,0]
	v_perm_b32 v18, v154, v16, 0x6040501
	v_perm_b32 v19, v15, v154, 0x6040503
	;; [unrolled: 1-line block ×4, first 2 shown]
	s_set_vgpr_msb 64                       ;  msbs: dst=1 src0=0 src1=0 src2=0
	v_dot4_i32_iu8 v8 /*v264*/, v177, v26, v4 neg_lo:[1,1,0]
	s_set_vgpr_msb 0                        ;  msbs: dst=0 src0=0 src1=0 src2=0
	v_perm_b32 v4, v14, v167, 0x6040501
	s_delay_alu instid0(VALU_DEP_1) | instskip(SKIP_1) | instid1(VALU_DEP_1)
	v_dot4_i32_iu8 v4, v18, v4, 0 neg_lo:[1,1,0]
	v_perm_b32 v18, v166, v14, 0x6040503
	v_dot4_i32_iu8 v4, v19, v18, v4 neg_lo:[1,1,0]
	v_perm_b32 v18, v146, v8, 0x6050401
	v_perm_b32 v19, v8, v147, 0x7060403
	s_set_vgpr_msb 64                       ;  msbs: dst=1 src0=0 src1=0 src2=0
	s_delay_alu instid0(VALU_DEP_3) | instskip(SKIP_2) | instid1(VALU_DEP_1)
	v_dot4_i32_iu8 v9 /*v265*/, v246, v27, v4 neg_lo:[1,1,0]
	s_set_vgpr_msb 0                        ;  msbs: dst=0 src0=0 src1=0 src2=0
	v_perm_b32 v4, v6, v142, 0x6050401
	v_dot4_i32_iu8 v4, v18, v4, 0 neg_lo:[1,1,0]
	v_perm_b32 v18, v142, v7, 0x7060403
	s_delay_alu instid0(VALU_DEP_2) | instskip(SKIP_1) | instid1(VALU_DEP_1)
	v_dot4_i32_iu8 v4, v233, v5, v4 neg_lo:[1,1,0]
	s_set_vgpr_msb 64                       ;  msbs: dst=1 src0=0 src1=0 src2=0
	v_dot4_i32_iu8 v10 /*v266*/, v19, v18, v4 neg_lo:[1,1,0]
	s_set_vgpr_msb 0                        ;  msbs: dst=0 src0=0 src1=0 src2=0
	v_perm_b32 v4, v10, v144, 0x6050401
	v_perm_b32 v18, v148, v12, 0x6050401
	;; [unrolled: 1-line block ×3, first 2 shown]
	s_delay_alu instid0(VALU_DEP_2) | instskip(SKIP_2) | instid1(VALU_DEP_2)
	v_dot4_i32_iu8 v4, v18, v4, 0 neg_lo:[1,1,0]
	v_perm_b32 v18, v144, v11, 0x7060403
	s_set_vgpr_msb 1                        ;  msbs: dst=0 src0=1 src1=0 src2=0
	v_dot4_i32_iu8 v4, v3 /*v259*/, v28, v4 neg_lo:[1,1,0]
	s_set_vgpr_msb 64                       ;  msbs: dst=1 src0=0 src1=0 src2=0
	s_delay_alu instid0(VALU_DEP_1) | instskip(SKIP_4) | instid1(VALU_DEP_2)
	v_dot4_i32_iu8 v11 /*v267*/, v19, v18, v4 neg_lo:[1,1,0]
	s_set_vgpr_msb 0                        ;  msbs: dst=0 src0=0 src1=0 src2=0
	v_perm_b32 v4, v20, v163, 0x6040501
	v_perm_b32 v18, v165, v22, 0x6040501
	v_perm_b32 v19, v21, v165, 0x6040503
	v_dot4_i32_iu8 v4, v18, v4, 0 neg_lo:[1,1,0]
	v_perm_b32 v18, v162, v20, 0x6040503
	s_delay_alu instid0(VALU_DEP_1) | instskip(NEXT) | instid1(VALU_DEP_1)
	v_dot4_i32_iu8 v4, v19, v18, v4 neg_lo:[1,1,0]
	v_dot4_i32_iu8 v22, v178, v26, v4 neg_lo:[1,1,0]
	v_perm_b32 v4, v14, v169, 0x6040501
	v_perm_b32 v14, v168, v14, 0x6040503
	s_delay_alu instid0(VALU_DEP_2) | instskip(NEXT) | instid1(VALU_DEP_1)
	v_dot4_i32_iu8 v4, v16, v4, 0 neg_lo:[1,1,0]
	v_dot4_i32_iu8 v4, v15, v14, v4 neg_lo:[1,1,0]
	s_delay_alu instid0(VALU_DEP_1) | instskip(SKIP_2) | instid1(VALU_DEP_1)
	v_dot4_i32_iu8 v16, v232, v27, v4 neg_lo:[1,1,0]
	v_perm_b32 v4, v6, v132, 0x6050401
	v_perm_b32 v6, v152, v8, 0x6050401
	v_dot4_i32_iu8 v4, v6, v4, 0 neg_lo:[1,1,0]
	v_perm_b32 v6, v8, v153, 0x7060403
	s_delay_alu instid0(VALU_DEP_2) | instskip(SKIP_1) | instid1(VALU_DEP_1)
	v_dot4_i32_iu8 v4, v171, v5, v4 neg_lo:[1,1,0]
	v_perm_b32 v5, v132, v7, 0x7060403
	v_dot4_i32_iu8 v8, v6, v5, v4 neg_lo:[1,1,0]
	v_perm_b32 v4, v10, v0, 0x6050401
	v_perm_b32 v5, v150, v12, 0x6050401
	;; [unrolled: 1-line block ×3, first 2 shown]
	s_delay_alu instid0(VALU_DEP_4) | instskip(NEXT) | instid1(VALU_DEP_3)
	v_dot4_i32_iu8 v8, v9, v133, v8 neg_lo:[1,1,0]
	v_dot4_i32_iu8 v4, v5, v4, 0 neg_lo:[1,1,0]
	v_perm_b32 v5, v0, v11, 0x7060403
	s_set_vgpr_msb 1                        ;  msbs: dst=0 src0=1 src1=0 src2=0
	s_delay_alu instid0(VALU_DEP_2) | instskip(SKIP_1) | instid1(VALU_DEP_1)
	v_dot4_i32_iu8 v4, v0 /*v256*/, v28, v4 neg_lo:[1,1,0]
	s_set_vgpr_msb 0                        ;  msbs: dst=0 src0=0 src1=0 src2=0
	v_dot4_i32_iu8 v12, v6, v5, v4 neg_lo:[1,1,0]
	v_or_b32_e32 v4, s10, v213
	v_or_b32_e32 v29, v248, v29
	s_add_co_i32 s10, s7, 8
	s_cmp_lt_u32 s7, 24
	s_mov_b32 s7, s10
	v_lshlrev_b32_e32 v10, 2, v4
	v_dot4_i32_iu8 v24, v29, v24, 0 neg_lo:[1,1,0]
	v_lshrrev_b32_e32 v14, 1, v4
	s_delay_alu instid0(VALU_DEP_2) | instskip(SKIP_1) | instid1(VALU_DEP_1)
	v_dot4_i32_iu8 v24, v25, v249, v24 neg_lo:[1,1,0]
	s_set_vgpr_msb 64                       ;  msbs: dst=1 src0=0 src1=0 src2=0
	v_dot4_i32_iu8 v12 /*v268*/, v250, v26, v24 neg_lo:[1,1,0]
	s_set_vgpr_msb 0                        ;  msbs: dst=0 src0=0 src1=0 src2=0
	ds_load_b128 v[4:7], v10 offset:33280
	ds_load_b128 v[18:21], v10 offset:33296
	;; [unrolled: 1-line block ×4, first 2 shown]
	s_wait_dscnt 0x3
	v_perm_b32 v128, v128, v6, 0x6050401
	s_wait_dscnt 0x2
	v_perm_b32 v130, v130, v20, 0x6050401
	;; [unrolled: 2-line block ×4, first 2 shown]
	s_set_vgpr_msb 64                       ;  msbs: dst=1 src0=0 src1=0 src2=0
	v_perm_b32 v25 /*v281*/, v29, v28, 0x6040503
	s_set_vgpr_msb 0                        ;  msbs: dst=0 src0=0 src1=0 src2=0
	v_perm_b32 v170, v25, v170, 0x6040503
	v_perm_b32 v27, v27, v27, 0x7060001
	s_set_vgpr_msb 64                       ;  msbs: dst=1 src0=0 src1=0 src2=0
	v_bfe_i32 v22 /*v278*/, v26, 8, 8
	s_set_vgpr_msb 4                        ;  msbs: dst=0 src0=0 src1=1 src2=0
	v_dot4_i32_iu8 v10, v10, v1 /*v257*/, 0 neg_lo:[1,1,0]
	s_set_vgpr_msb 64                       ;  msbs: dst=1 src0=0 src1=0 src2=0
	v_perm_b32 v1 /*v257*/, v30, v29, 0x7060403
	s_set_vgpr_msb 0                        ;  msbs: dst=0 src0=0 src1=0 src2=0
	v_perm_b32 v33, v28, v33, 0x6040503
	s_set_vgpr_msb 64                       ;  msbs: dst=1 src0=0 src1=0 src2=0
	v_bfe_i32 v21 /*v277*/, v24, 8, 8
	v_bfe_i32 v23 /*v279*/, v26, 16, 8
	s_set_vgpr_msb 5                        ;  msbs: dst=0 src0=1 src1=1 src2=0
	v_dot4_i32_iu8 v10, v25 /*v281*/, v2 /*v258*/, v10 neg_lo:[1,1,0]
	s_set_vgpr_msb 64                       ;  msbs: dst=1 src0=0 src1=0 src2=0
	v_ashrrev_i32_e32 v24 /*v280*/, 24, v26
	s_set_vgpr_msb 0                        ;  msbs: dst=0 src0=0 src1=0 src2=0
	v_perm_b32 v131, v20, v131, 0x7060403
	v_perm_b32 v129, v6, v129, 0x7060403
	s_set_vgpr_msb 1                        ;  msbs: dst=0 src0=1 src1=0 src2=0
	v_dot4_i32_iu8 v15, v1 /*v257*/, v255, v10 neg_lo:[1,1,0]
	s_set_vgpr_msb 0                        ;  msbs: dst=0 src0=0 src1=0 src2=0
	v_perm_b32 v10, v24, v173, 0x6040501
	s_delay_alu instid0(VALU_DEP_1) | instskip(SKIP_1) | instid1(VALU_DEP_1)
	v_dot4_i32_iu8 v10, v11, v10, 0 neg_lo:[1,1,0]
	v_perm_b32 v11, v172, v24, 0x6040503
	v_dot4_i32_iu8 v10, v170, v11, v10 neg_lo:[1,1,0]
	v_perm_b32 v170, v26, v25, 0x7060403
	v_perm_b32 v11, v140, v20, 0x6050401
	s_set_vgpr_msb 1                        ;  msbs: dst=0 src0=1 src1=0 src2=0
	s_delay_alu instid0(VALU_DEP_2)
	v_dot4_i32_iu8 v172, v4 /*v260*/, v170, v10 neg_lo:[1,1,0]
	s_set_vgpr_msb 0                        ;  msbs: dst=0 src0=0 src1=0 src2=0
	v_perm_b32 v10, v18, v134, 0x6050401
	v_perm_b32 v134, v19, v140, 0x6040503
	;; [unrolled: 1-line block ×3, first 2 shown]
	v_dot4_i32_iu8 v172, v27, v244, v172 neg_lo:[1,1,0]
	s_delay_alu instid0(VALU_DEP_4) | instskip(SKIP_2) | instid1(VALU_DEP_2)
	v_dot4_i32_iu8 v10, v11, v10, 0 neg_lo:[1,1,0]
	v_perm_b32 v11, v141, v18, 0x6040503
	v_perm_b32 v141, v31, v31, 0x7060001
	v_dot4_i32_iu8 v10, v134, v11, v10 neg_lo:[1,1,0]
	v_perm_b32 v11, v20, v19, 0x7060403
	s_delay_alu instid0(VALU_DEP_3)
	v_dot4_i32_iu8 v173, v245, v141, v15 neg_lo:[1,1,0]
	s_set_vgpr_msb 16                       ;  msbs: dst=0 src0=0 src1=0 src2=1
	v_dot4_i32_iu8 v15, v137, v13, v20 /*v276*/ neg_lo:[1,1,0]
	v_dot4_i32_iu8 v245, v23, v245, v17 /*v273*/ neg_lo:[1,1,0]
	s_set_vgpr_msb 0                        ;  msbs: dst=0 src0=0 src1=0 src2=0
	v_dot4_i32_iu8 v134, v11, v247, v10 neg_lo:[1,1,0]
	v_perm_b32 v10, v4, v136, 0x6050401
	v_perm_b32 v11, v138, v6, 0x6050401
	v_mul_lo_u32 v15, v15, v242
	v_perm_b32 v247, v17, v17, 0x7060001
	s_set_vgpr_msb 16                       ;  msbs: dst=0 src0=0 src1=0 src2=1
	v_dot4_i32_iu8 v17, v3, v2, v14 /*v270*/ neg_lo:[1,1,0]
	v_perm_b32 v2, v31, v34, 0x7060203
	v_dot4_i32_iu8 v10, v11, v10, 0 neg_lo:[1,1,0]
	v_perm_b32 v11, v136, v5, 0x7060403
	v_perm_b32 v136, v6, v139, 0x7060403
	v_dot4_i32_iu8 v255, v244, v247, v19 /*v275*/ neg_lo:[1,1,0]
	v_perm_b32 v3, v174, v31, 0x5040001
	s_set_vgpr_msb 1                        ;  msbs: dst=0 src0=1 src1=0 src2=0
	v_dot4_i32_iu8 v10, v5 /*v261*/, v140, v10 neg_lo:[1,1,0]
	s_set_vgpr_msb 0                        ;  msbs: dst=0 src0=0 src1=0 src2=0
	v_mul_lo_u32 v17, v17, v237
	s_set_vgpr_msb 20                       ;  msbs: dst=0 src0=0 src1=1 src2=1
	v_dot4_i32_iu8 v34, v23, v7 /*v263*/, v12 /*v268*/ neg_lo:[1,1,0]
	s_set_vgpr_msb 0                        ;  msbs: dst=0 src0=0 src1=0 src2=0
	v_dot4_i32_iu8 v136, v136, v11, v10 neg_lo:[1,1,0]
	s_set_vgpr_msb 1                        ;  msbs: dst=0 src0=1 src1=0 src2=0
	ds_load_b64 v[10:11], v16 /*v272*/ offset:43584
	s_set_vgpr_msb 0                        ;  msbs: dst=0 src0=0 src1=0 src2=0
	ds_load_b64 v[138:139], v14 offset:43584
	v_dot4_i32_iu8 v14, v135, v21, v134 neg_lo:[1,1,0]
	s_set_vgpr_msb 16                       ;  msbs: dst=0 src0=0 src1=0 src2=1
	v_dot4_i32_iu8 v134, v9, v135, v18 /*v274*/ neg_lo:[1,1,0]
	s_set_vgpr_msb 0                        ;  msbs: dst=0 src0=0 src1=0 src2=0
	v_dot4_i32_iu8 v135, v7, v137, v136 neg_lo:[1,1,0]
	v_mul_lo_u32 v136, v173, v241
	v_mul_lo_u32 v14, v14, v243
	v_mad_u32 v15, v134, v243, v15
	v_mad_u32 v17, v34, v236, v17
	v_perm_b32 v34, v6, v149, 0x7060403
	v_mad_u32 v136, v172, v240, v136
	v_mad_u32 v14, v135, v242, v14
	v_cvt_f32_i32_e32 v135, v15
	s_wait_dscnt 0x1
	v_mov_b32_e32 v15, v10
	v_mul_lo_u32 v10, v255, v240
	v_cvt_f32_i32_e32 v136, v136
	v_cvt_f32_i32_e32 v134, v14
	s_wait_dscnt 0x0
	v_mov_b32_e32 v14, v138
	s_delay_alu instid0(VALU_DEP_4) | instskip(NEXT) | instid1(VALU_DEP_2)
	v_mad_u32 v10, v245, v241, v10
	v_pk_fma_f32 v[134:135], v[14:15], v[134:135], 0 op_sel_hi:[1,1,0]
	s_delay_alu instid0(VALU_DEP_2) | instskip(SKIP_1) | instid1(VALU_DEP_1)
	v_cvt_f32_i32_e32 v137, v10
	v_mov_b32_e32 v10, v139
	v_pk_fma_f32 v[134:135], v[10:11], v[136:137], v[134:135]
	v_perm_b32 v137, v25, v24, 0x5030200
	s_set_vgpr_msb 4                        ;  msbs: dst=0 src0=0 src1=1 src2=0
	v_mul_i32_i24_e32 v136, v252, v24 /*v280*/
	s_set_vgpr_msb 0                        ;  msbs: dst=0 src0=0 src1=0 src2=0
	v_pk_fma_f32 v[42:43], v[116:117], v[134:135], v[42:43]
	v_perm_b32 v134, v30, v30, 0xc0c0c01
	s_set_vgpr_msb 4                        ;  msbs: dst=0 src0=0 src1=1 src2=0
	v_mul_i32_i24_e32 v135, v253, v23 /*v279*/
	s_set_vgpr_msb 0                        ;  msbs: dst=0 src0=0 src1=0 src2=0
	s_delay_alu instid0(VALU_DEP_2) | instskip(NEXT) | instid1(VALU_DEP_1)
	v_or_b32_e32 v134, v248, v134
	v_dot4_i32_iu8 v33, v134, v33, 0 neg_lo:[1,1,0]
	s_set_vgpr_msb 1                        ;  msbs: dst=0 src0=1 src1=0 src2=0
	v_mul_i32_i24_e32 v134, v22 /*v278*/, v175
	s_delay_alu instid0(VALU_DEP_2) | instskip(NEXT) | instid1(VALU_DEP_2)
	v_dot4_i32_iu8 v33, v25 /*v281*/, v249, v33 neg_lo:[1,1,0]
	v_mad_i32_i24 v134, v21 /*v277*/, v176, v134
	s_set_vgpr_msb 4                        ;  msbs: dst=0 src0=0 src1=1 src2=0
	s_delay_alu instid0(VALU_DEP_2) | instskip(SKIP_1) | instid1(VALU_DEP_2)
	v_dot4_i32_iu8 v33, v250, v1 /*v257*/, v33 neg_lo:[1,1,0]
	s_set_vgpr_msb 0                        ;  msbs: dst=0 src0=0 src1=0 src2=0
	v_dot4_i32_iu8 v134, v251, v137, v134 neg_lo:[1,1,0]
	v_perm_b32 v137, v26, v25, 0x4030200
	s_delay_alu instid0(VALU_DEP_3)
	v_dot4_i32_iu8 v31, v3, v2, v33 neg_lo:[1,1,0]
	s_set_vgpr_msb 16                       ;  msbs: dst=0 src0=0 src1=0 src2=1
	v_dot4_i32_iu8 v3, v127, v13, v15 /*v271*/ neg_lo:[1,1,0]
	s_set_vgpr_msb 0                        ;  msbs: dst=0 src0=0 src1=0 src2=0
	v_dot4_i32_iu8 v134, v254, v137, v134 neg_lo:[1,1,0]
	v_mul_lo_u32 v31, v31, v236
	s_delay_alu instid0(VALU_DEP_3) | instskip(NEXT) | instid1(VALU_DEP_3)
	v_mul_lo_u32 v3, v3, v239
	v_add3_u32 v134, v134, v135, v136
	v_perm_b32 v135, v18, v124, 0x6050401
	v_perm_b32 v124, v124, v19, 0x7060403
	s_set_vgpr_msb 4                        ;  msbs: dst=0 src0=0 src1=1 src2=0
	s_delay_alu instid0(VALU_DEP_3) | instskip(SKIP_3) | instid1(VALU_DEP_3)
	v_dot4_i32_iu8 v33, v27, v6 /*v262*/, v134 neg_lo:[1,1,0]
	s_set_vgpr_msb 0                        ;  msbs: dst=0 src0=0 src1=0 src2=0
	v_dot4_i32_iu8 v130, v130, v135, 0 neg_lo:[1,1,0]
	v_perm_b32 v135, v19, v18, 0x6040503
	v_mad_u32 v31, v33, v237, v31
	v_perm_b32 v33, v20, v147, 0x7060403
	s_delay_alu instid0(VALU_DEP_3) | instskip(NEXT) | instid1(VALU_DEP_1)
	v_dot4_i32_iu8 v130, v234, v135, v130 neg_lo:[1,1,0]
	v_dot4_i32_iu8 v124, v131, v124, v130 neg_lo:[1,1,0]
	v_perm_b32 v130, v4, v126, 0x6050401
	v_perm_b32 v126, v126, v5, 0x7060403
	s_delay_alu instid0(VALU_DEP_3) | instskip(NEXT) | instid1(VALU_DEP_3)
	v_dot4_i32_iu8 v2, v125, v21, v124 neg_lo:[1,1,0]
	v_dot4_i32_iu8 v128, v128, v130, 0 neg_lo:[1,1,0]
	s_set_vgpr_msb 16                       ;  msbs: dst=0 src0=0 src1=0 src2=1
	v_dot4_i32_iu8 v124, v9, v125, v13 /*v269*/ neg_lo:[1,1,0]
	s_delay_alu instid0(VALU_DEP_3) | instskip(SKIP_2) | instid1(VALU_DEP_3)
	v_mul_lo_u32 v2, v2, v238
	s_set_vgpr_msb 0                        ;  msbs: dst=0 src0=0 src1=0 src2=0
	v_dot4_i32_iu8 v128, v235, v140, v128 neg_lo:[1,1,0]
	v_mad_u32 v3, v124, v238, v3
	v_cvt_f32_i32_e32 v124, v31
	v_perm_b32 v31, v25, v154, 0x6040503
	s_delay_alu instid0(VALU_DEP_4) | instskip(NEXT) | instid1(VALU_DEP_1)
	v_dot4_i32_iu8 v126, v129, v126, v128 neg_lo:[1,1,0]
	v_dot4_i32_iu8 v125, v7, v127, v126 neg_lo:[1,1,0]
	v_cvt_f32_i32_e32 v3, v3
	s_delay_alu instid0(VALU_DEP_2) | instskip(SKIP_2) | instid1(VALU_DEP_3)
	v_mad_u32 v2, v125, v239, v2
	v_cvt_f32_i32_e32 v125, v17
	v_perm_b32 v17, v29, v161, 0x6040503
	v_cvt_f32_i32_e32 v2, v2
	s_delay_alu instid0(VALU_DEP_1) | instskip(NEXT) | instid1(VALU_DEP_1)
	v_pk_fma_f32 v[2:3], v[14:15], v[2:3], 0 op_sel_hi:[1,1,0]
	v_pk_fma_f32 v[2:3], v[10:11], v[124:125], v[2:3]
	s_set_vgpr_msb 16                       ;  msbs: dst=0 src0=0 src1=0 src2=1
	v_dot4_i32_iu8 v124, v23, v231, v8 /*v264*/ neg_lo:[1,1,0]
	s_set_vgpr_msb 0                        ;  msbs: dst=0 src0=0 src1=0 src2=0
	s_delay_alu instid0(VALU_DEP_2) | instskip(SKIP_2) | instid1(VALU_DEP_1)
	v_pk_fma_f32 v[40:41], v[118:119], v[2:3], v[40:41]
	v_perm_b32 v2, v28, v159, 0x6040501
	v_perm_b32 v3, v161, v30, 0x6040501
	v_dot4_i32_iu8 v2, v3, v2, 0 neg_lo:[1,1,0]
	v_perm_b32 v3, v158, v28, 0x6040503
	s_delay_alu instid0(VALU_DEP_1) | instskip(SKIP_3) | instid1(VALU_DEP_3)
	v_dot4_i32_iu8 v2, v17, v3, v2 neg_lo:[1,1,0]
	v_perm_b32 v3, v24, v167, 0x6040501
	v_perm_b32 v17, v154, v26, 0x6040501
	s_set_vgpr_msb 4                        ;  msbs: dst=0 src0=0 src1=1 src2=0
	v_dot4_i32_iu8 v2, v177, v1 /*v257*/, v2 neg_lo:[1,1,0]
	s_set_vgpr_msb 0                        ;  msbs: dst=0 src0=0 src1=0 src2=0
	s_delay_alu instid0(VALU_DEP_2) | instskip(SKIP_1) | instid1(VALU_DEP_1)
	v_dot4_i32_iu8 v3, v17, v3, 0 neg_lo:[1,1,0]
	v_perm_b32 v17, v166, v24, 0x6040503
	v_dot4_i32_iu8 v3, v31, v17, v3 neg_lo:[1,1,0]
	v_perm_b32 v17, v18, v142, 0x6050401
	v_perm_b32 v31, v146, v20, 0x6050401
	s_delay_alu instid0(VALU_DEP_3) | instskip(NEXT) | instid1(VALU_DEP_2)
	v_dot4_i32_iu8 v3, v246, v170, v3 neg_lo:[1,1,0]
	v_dot4_i32_iu8 v17, v31, v17, 0 neg_lo:[1,1,0]
	v_perm_b32 v31, v142, v19, 0x7060403
	s_delay_alu instid0(VALU_DEP_3) | instskip(SKIP_4) | instid1(VALU_DEP_2)
	v_dot4_i32_iu8 v125, v27, v230, v3 neg_lo:[1,1,0]
	s_set_vgpr_msb 16                       ;  msbs: dst=0 src0=0 src1=0 src2=1
	v_dot4_i32_iu8 v3, v145, v13, v11 /*v267*/ neg_lo:[1,1,0]
	s_set_vgpr_msb 0                        ;  msbs: dst=0 src0=0 src1=0 src2=0
	v_dot4_i32_iu8 v17, v233, v135, v17 neg_lo:[1,1,0]
	v_mul_lo_u32 v3, v3, v228
	s_delay_alu instid0(VALU_DEP_2) | instskip(SKIP_4) | instid1(VALU_DEP_3)
	v_dot4_i32_iu8 v17, v33, v31, v17 neg_lo:[1,1,0]
	v_perm_b32 v31, v4, v144, 0x6050401
	v_perm_b32 v33, v148, v6, 0x6050401
	v_perm_b32 v4, v4, v0, 0x6050401
	v_perm_b32 v0, v0, v5, 0x7060403
	v_dot4_i32_iu8 v31, v33, v31, 0 neg_lo:[1,1,0]
	v_perm_b32 v33, v144, v5, 0x7060403
	v_perm_b32 v5, v6, v151, 0x7060403
	s_set_vgpr_msb 1                        ;  msbs: dst=0 src0=1 src1=0 src2=0
	s_delay_alu instid0(VALU_DEP_3) | instskip(SKIP_1) | instid1(VALU_DEP_1)
	v_dot4_i32_iu8 v31, v3 /*v259*/, v140, v31 neg_lo:[1,1,0]
	s_set_vgpr_msb 0                        ;  msbs: dst=0 src0=0 src1=0 src2=0
	v_dot4_i32_iu8 v31, v34, v33, v31 neg_lo:[1,1,0]
	v_dot4_i32_iu8 v33, v231, v141, v2 neg_lo:[1,1,0]
	;; [unrolled: 1-line block ×3, first 2 shown]
	s_set_vgpr_msb 16                       ;  msbs: dst=0 src0=0 src1=0 src2=1
	v_dot4_i32_iu8 v34, v230, v247, v9 /*v265*/ neg_lo:[1,1,0]
	v_dot4_i32_iu8 v17, v9, v143, v10 /*v266*/ neg_lo:[1,1,0]
	s_set_vgpr_msb 0                        ;  msbs: dst=0 src0=0 src1=0 src2=0
	v_dot4_i32_iu8 v31, v7, v145, v31 neg_lo:[1,1,0]
	v_mul_lo_u32 v2, v2, v229
	s_delay_alu instid0(VALU_DEP_3) | instskip(SKIP_1) | instid1(VALU_DEP_3)
	v_mad_u32 v3, v17, v229, v3
	v_mul_lo_u32 v17, v34, v227
	v_mad_u32 v2, v31, v228, v2
	v_mul_lo_u32 v31, v33, v179
	s_delay_alu instid0(VALU_DEP_4) | instskip(NEXT) | instid1(VALU_DEP_4)
	v_cvt_f32_i32_e32 v3, v3
	v_mad_u32 v17, v124, v179, v17
	s_delay_alu instid0(VALU_DEP_4) | instskip(NEXT) | instid1(VALU_DEP_4)
	v_cvt_f32_i32_e32 v2, v2
	v_mad_u32 v31, v125, v227, v31
	s_delay_alu instid0(VALU_DEP_3) | instskip(SKIP_1) | instid1(VALU_DEP_4)
	v_cvt_f32_i32_e32 v125, v17
	v_perm_b32 v17, v29, v165, 0x6040503
	v_pk_fma_f32 v[2:3], v[14:15], v[2:3], 0 op_sel_hi:[1,1,0]
	s_delay_alu instid0(VALU_DEP_4) | instskip(NEXT) | instid1(VALU_DEP_1)
	v_cvt_f32_i32_e32 v124, v31
	v_pk_fma_f32 v[2:3], v[10:11], v[124:125], v[2:3]
	s_delay_alu instid0(VALU_DEP_1) | instskip(SKIP_2) | instid1(VALU_DEP_1)
	v_pk_fma_f32 v[38:39], v[120:121], v[2:3], v[38:39]
	v_perm_b32 v2, v28, v163, 0x6040501
	v_perm_b32 v3, v165, v30, 0x6040501
	v_dot4_i32_iu8 v2, v3, v2, 0 neg_lo:[1,1,0]
	v_perm_b32 v3, v162, v28, 0x6040503
	s_delay_alu instid0(VALU_DEP_1) | instskip(SKIP_3) | instid1(VALU_DEP_3)
	v_dot4_i32_iu8 v2, v17, v3, v2 neg_lo:[1,1,0]
	v_perm_b32 v3, v24, v169, 0x6040501
	v_perm_b32 v17, v156, v26, 0x6040501
	s_set_vgpr_msb 4                        ;  msbs: dst=0 src0=0 src1=1 src2=0
	v_dot4_i32_iu8 v2, v178, v1 /*v257*/, v2 neg_lo:[1,1,0]
	s_set_vgpr_msb 0                        ;  msbs: dst=0 src0=0 src1=0 src2=0
	s_delay_alu instid0(VALU_DEP_2) | instskip(SKIP_2) | instid1(VALU_DEP_1)
	v_dot4_i32_iu8 v3, v17, v3, 0 neg_lo:[1,1,0]
	v_perm_b32 v17, v168, v24, 0x6040503
	v_perm_b32 v24, v25, v156, 0x6040503
	v_dot4_i32_iu8 v3, v24, v17, v3 neg_lo:[1,1,0]
	v_perm_b32 v17, v18, v132, 0x6050401
	v_perm_b32 v18, v152, v20, 0x6050401
	s_delay_alu instid0(VALU_DEP_3) | instskip(NEXT) | instid1(VALU_DEP_2)
	v_dot4_i32_iu8 v3, v232, v170, v3 neg_lo:[1,1,0]
	v_dot4_i32_iu8 v17, v18, v17, 0 neg_lo:[1,1,0]
	v_perm_b32 v18, v132, v19, 0x7060403
	v_perm_b32 v19, v20, v153, 0x7060403
	s_delay_alu instid0(VALU_DEP_4) | instskip(NEXT) | instid1(VALU_DEP_4)
	v_dot4_i32_iu8 v3, v27, v164, v3 neg_lo:[1,1,0]
	v_dot4_i32_iu8 v17, v171, v135, v17 neg_lo:[1,1,0]
	s_delay_alu instid0(VALU_DEP_1) | instskip(SKIP_2) | instid1(VALU_DEP_2)
	v_dot4_i32_iu8 v17, v19, v18, v17 neg_lo:[1,1,0]
	v_perm_b32 v18, v150, v6, 0x6050401
	v_dot4_i32_iu8 v6, v1, v13, v12 neg_lo:[1,1,0]
	v_dot4_i32_iu8 v4, v18, v4, 0 neg_lo:[1,1,0]
	s_delay_alu instid0(VALU_DEP_2) | instskip(SKIP_1) | instid1(VALU_DEP_2)
	v_mul_lo_u32 v6, v6, v155
	s_set_vgpr_msb 1                        ;  msbs: dst=0 src0=1 src1=0 src2=0
	v_dot4_i32_iu8 v4, v0 /*v256*/, v140, v4 neg_lo:[1,1,0]
	s_set_vgpr_msb 0                        ;  msbs: dst=0 src0=0 src1=0 src2=0
	s_delay_alu instid0(VALU_DEP_1)
	v_dot4_i32_iu8 v0, v5, v0, v4 neg_lo:[1,1,0]
	v_dot4_i32_iu8 v5, v164, v247, v16 neg_lo:[1,1,0]
	;; [unrolled: 1-line block ×6, first 2 shown]
	v_mul_lo_u32 v5, v5, v35
	v_mul_lo_u32 v12, v16, v160
	;; [unrolled: 1-line block ×3, first 2 shown]
	v_mad_u32 v1, v8, v160, v6
	s_delay_alu instid0(VALU_DEP_4) | instskip(NEXT) | instid1(VALU_DEP_4)
	v_mad_u32 v2, v2, v32, v5
	v_mad_u32 v0, v0, v155, v12
	s_delay_alu instid0(VALU_DEP_4) | instskip(NEXT) | instid1(VALU_DEP_4)
	v_mad_u32 v4, v3, v35, v4
	v_cvt_f32_i32_e32 v1, v1
	s_delay_alu instid0(VALU_DEP_4) | instskip(NEXT) | instid1(VALU_DEP_4)
	v_cvt_f32_i32_e32 v3, v2
	v_cvt_f32_i32_e32 v0, v0
	s_delay_alu instid0(VALU_DEP_4) | instskip(NEXT) | instid1(VALU_DEP_2)
	v_cvt_f32_i32_e32 v2, v4
	v_pk_fma_f32 v[0:1], v[14:15], v[0:1], 0 op_sel_hi:[1,1,0]
	s_delay_alu instid0(VALU_DEP_1) | instskip(NEXT) | instid1(VALU_DEP_1)
	v_pk_fma_f32 v[0:1], v[10:11], v[2:3], v[0:1]
	v_pk_fma_f32 v[36:37], v[122:123], v[0:1], v[36:37]
	s_cbranch_scc1 .LBB176_8
; %bb.9:                                ;   in Loop: Header=BB176_5 Depth=1
	s_add_co_i32 s4, s4, 1
	s_delay_alu instid0(SALU_CYCLE_1)
	s_cmp_eq_u32 s4, s15
	s_barrier_signal -1
	s_barrier_wait -1
	s_cbranch_scc0 .LBB176_5
; %bb.10:
	v_dual_mov_b32 v1, v75 :: v_dual_mov_b32 v2, v79
.LBB176_11:
	s_wait_xcnt 0x0
	s_mov_b32 s0, exec_lo
	v_cmpx_gt_u32_e64 s6, v81
	s_cbranch_execz .LBB176_62
; %bb.12:
	v_mul_lo_u32 v5, v81, s12
	v_add_nc_u32_e32 v0, s14, v2
	s_delay_alu instid0(VALU_DEP_1)
	v_cmp_gt_u32_e32 vcc_lo, s12, v0
	s_and_saveexec_b32 s1, vcc_lo
	s_cbranch_execz .LBB176_14
; %bb.13:
	v_bfe_u32 v2, v71, 16, 1
	v_cmp_o_f32_e64 s0, v71, v71
	v_add_nc_u32_e32 v3, v0, v5
	s_delay_alu instid0(VALU_DEP_3) | instskip(NEXT) | instid1(VALU_DEP_1)
	v_add3_u32 v2, v71, v2, 0x7fff
	v_lshrrev_b32_e32 v2, 16, v2
	s_delay_alu instid0(VALU_DEP_1)
	v_cndmask_b32_e64 v2, 0x7fc0, v2, s0
	s_wait_kmcnt 0x0
	global_store_b16 v3, v2, s[8:9] scale_offset
.LBB176_14:
	s_wait_xcnt 0x0
	s_or_b32 exec_lo, exec_lo, s1
	v_add_nc_u32_e32 v2, 32, v0
	s_delay_alu instid0(VALU_DEP_1)
	v_cmp_gt_u32_e64 s0, s12, v2
	s_and_saveexec_b32 s2, s0
	s_cbranch_execz .LBB176_16
; %bb.15:
	v_bfe_u32 v3, v69, 16, 1
	v_cmp_o_f32_e64 s1, v69, v69
	v_add_nc_u32_e32 v4, v2, v5
	s_delay_alu instid0(VALU_DEP_3) | instskip(NEXT) | instid1(VALU_DEP_1)
	v_add3_u32 v3, v69, v3, 0x7fff
	v_lshrrev_b32_e32 v3, 16, v3
	s_delay_alu instid0(VALU_DEP_1)
	v_cndmask_b32_e64 v3, 0x7fc0, v3, s1
	s_wait_kmcnt 0x0
	global_store_b16 v4, v3, s[8:9] scale_offset
.LBB176_16:
	s_wait_xcnt 0x0
	s_or_b32 exec_lo, exec_lo, s2
	v_add_nc_u32_e32 v3, 64, v0
	s_delay_alu instid0(VALU_DEP_1)
	v_cmp_gt_u32_e64 s1, s12, v3
	s_and_saveexec_b32 s3, s1
	;; [unrolled: 19-line block ×3, first 2 shown]
	s_cbranch_execz .LBB176_20
; %bb.19:
	v_bfe_u32 v6, v65, 16, 1
	v_cmp_o_f32_e64 s3, v65, v65
	v_add_nc_u32_e32 v5, v4, v5
	s_delay_alu instid0(VALU_DEP_3) | instskip(NEXT) | instid1(VALU_DEP_1)
	v_add3_u32 v6, v65, v6, 0x7fff
	v_lshrrev_b32_e32 v6, 16, v6
	s_delay_alu instid0(VALU_DEP_1)
	v_cndmask_b32_e64 v6, 0x7fc0, v6, s3
	s_wait_kmcnt 0x0
	global_store_b16 v5, v6, s[8:9] scale_offset
.LBB176_20:
	s_wait_xcnt 0x0
	s_or_b32 exec_lo, exec_lo, s4
	v_add3_u32 v5, v1, s13, 8
	s_delay_alu instid0(VALU_DEP_1)
	v_cmp_gt_u32_e64 s3, s6, v5
	s_and_b32 exec_lo, exec_lo, s3
	s_cbranch_execz .LBB176_62
; %bb.21:
	v_mul_lo_u32 v5, v5, s12
	s_and_saveexec_b32 s4, vcc_lo
	s_cbranch_execnz .LBB176_63
; %bb.22:
	s_or_b32 exec_lo, exec_lo, s4
	s_and_saveexec_b32 s4, s0
	s_cbranch_execnz .LBB176_64
.LBB176_23:
	s_or_b32 exec_lo, exec_lo, s4
	s_and_saveexec_b32 s4, s1
	s_cbranch_execnz .LBB176_65
.LBB176_24:
	s_or_b32 exec_lo, exec_lo, s4
	s_and_saveexec_b32 s4, s2
	s_cbranch_execz .LBB176_26
.LBB176_25:
	v_bfe_u32 v6, v64, 16, 1
	v_cmp_o_f32_e64 s3, v64, v64
	v_add_nc_u32_e32 v5, v5, v4
	s_delay_alu instid0(VALU_DEP_3) | instskip(NEXT) | instid1(VALU_DEP_1)
	v_add3_u32 v6, v64, v6, 0x7fff
	v_lshrrev_b32_e32 v6, 16, v6
	s_delay_alu instid0(VALU_DEP_1)
	v_cndmask_b32_e64 v6, 0x7fc0, v6, s3
	s_wait_kmcnt 0x0
	global_store_b16 v5, v6, s[8:9] scale_offset
.LBB176_26:
	s_wait_xcnt 0x0
	s_or_b32 exec_lo, exec_lo, s4
	v_add3_u32 v5, v1, s13, 16
	s_delay_alu instid0(VALU_DEP_1)
	v_cmp_gt_u32_e64 s3, s6, v5
	s_and_b32 exec_lo, exec_lo, s3
	s_cbranch_execz .LBB176_62
; %bb.27:
	v_mul_lo_u32 v5, v5, s12
	s_and_saveexec_b32 s4, vcc_lo
	s_cbranch_execnz .LBB176_66
; %bb.28:
	s_or_b32 exec_lo, exec_lo, s4
	s_and_saveexec_b32 s4, s0
	s_cbranch_execnz .LBB176_67
.LBB176_29:
	s_or_b32 exec_lo, exec_lo, s4
	s_and_saveexec_b32 s4, s1
	s_cbranch_execnz .LBB176_68
.LBB176_30:
	s_or_b32 exec_lo, exec_lo, s4
	s_and_saveexec_b32 s4, s2
	s_cbranch_execz .LBB176_32
.LBB176_31:
	v_bfe_u32 v6, v57, 16, 1
	v_cmp_o_f32_e64 s3, v57, v57
	v_add_nc_u32_e32 v5, v5, v4
	s_delay_alu instid0(VALU_DEP_3) | instskip(NEXT) | instid1(VALU_DEP_1)
	v_add3_u32 v6, v57, v6, 0x7fff
	v_lshrrev_b32_e32 v6, 16, v6
	s_delay_alu instid0(VALU_DEP_1)
	v_cndmask_b32_e64 v6, 0x7fc0, v6, s3
	s_wait_kmcnt 0x0
	global_store_b16 v5, v6, s[8:9] scale_offset
.LBB176_32:
	s_wait_xcnt 0x0
	s_or_b32 exec_lo, exec_lo, s4
	v_add3_u32 v5, v1, s13, 24
	s_delay_alu instid0(VALU_DEP_1)
	v_cmp_gt_u32_e64 s3, s6, v5
	s_and_b32 exec_lo, exec_lo, s3
	s_cbranch_execz .LBB176_62
; %bb.33:
	v_mul_lo_u32 v5, v5, s12
	s_and_saveexec_b32 s4, vcc_lo
	s_cbranch_execnz .LBB176_69
; %bb.34:
	s_or_b32 exec_lo, exec_lo, s4
	s_and_saveexec_b32 s4, s0
	s_cbranch_execnz .LBB176_70
.LBB176_35:
	s_or_b32 exec_lo, exec_lo, s4
	s_and_saveexec_b32 s4, s1
	s_cbranch_execnz .LBB176_71
.LBB176_36:
	s_or_b32 exec_lo, exec_lo, s4
	s_and_saveexec_b32 s4, s2
	s_cbranch_execz .LBB176_38
.LBB176_37:
	v_bfe_u32 v6, v56, 16, 1
	v_cmp_o_f32_e64 s3, v56, v56
	v_add_nc_u32_e32 v5, v5, v4
	s_delay_alu instid0(VALU_DEP_3) | instskip(NEXT) | instid1(VALU_DEP_1)
	v_add3_u32 v6, v56, v6, 0x7fff
	v_lshrrev_b32_e32 v6, 16, v6
	s_delay_alu instid0(VALU_DEP_1)
	v_cndmask_b32_e64 v6, 0x7fc0, v6, s3
	s_wait_kmcnt 0x0
	global_store_b16 v5, v6, s[8:9] scale_offset
.LBB176_38:
	s_wait_xcnt 0x0
	s_or_b32 exec_lo, exec_lo, s4
	v_add3_u32 v5, v1, s13, 32
	s_delay_alu instid0(VALU_DEP_1)
	v_cmp_gt_u32_e64 s3, s6, v5
	s_and_b32 exec_lo, exec_lo, s3
	s_cbranch_execz .LBB176_62
; %bb.39:
	v_mul_lo_u32 v5, v5, s12
	s_and_saveexec_b32 s4, vcc_lo
	s_cbranch_execnz .LBB176_72
; %bb.40:
	s_or_b32 exec_lo, exec_lo, s4
	s_and_saveexec_b32 s4, s0
	s_cbranch_execnz .LBB176_73
.LBB176_41:
	s_or_b32 exec_lo, exec_lo, s4
	s_and_saveexec_b32 s4, s1
	s_cbranch_execnz .LBB176_74
.LBB176_42:
	s_or_b32 exec_lo, exec_lo, s4
	s_and_saveexec_b32 s4, s2
	s_cbranch_execz .LBB176_44
.LBB176_43:
	v_bfe_u32 v6, v45, 16, 1
	v_cmp_o_f32_e64 s3, v45, v45
	v_add_nc_u32_e32 v5, v5, v4
	s_delay_alu instid0(VALU_DEP_3) | instskip(NEXT) | instid1(VALU_DEP_1)
	v_add3_u32 v6, v45, v6, 0x7fff
	v_lshrrev_b32_e32 v6, 16, v6
	s_delay_alu instid0(VALU_DEP_1)
	v_cndmask_b32_e64 v6, 0x7fc0, v6, s3
	s_wait_kmcnt 0x0
	global_store_b16 v5, v6, s[8:9] scale_offset
.LBB176_44:
	s_wait_xcnt 0x0
	s_or_b32 exec_lo, exec_lo, s4
	v_add3_u32 v5, v1, s13, 40
	s_delay_alu instid0(VALU_DEP_1)
	v_cmp_gt_u32_e64 s3, s6, v5
	s_and_b32 exec_lo, exec_lo, s3
	s_cbranch_execz .LBB176_62
; %bb.45:
	v_mul_lo_u32 v5, v5, s12
	s_and_saveexec_b32 s4, vcc_lo
	s_cbranch_execnz .LBB176_75
; %bb.46:
	s_or_b32 exec_lo, exec_lo, s4
	s_and_saveexec_b32 s4, s0
	s_cbranch_execnz .LBB176_76
.LBB176_47:
	s_or_b32 exec_lo, exec_lo, s4
	s_and_saveexec_b32 s4, s1
	s_cbranch_execnz .LBB176_77
.LBB176_48:
	s_or_b32 exec_lo, exec_lo, s4
	s_and_saveexec_b32 s4, s2
	s_cbranch_execz .LBB176_50
.LBB176_49:
	v_bfe_u32 v6, v44, 16, 1
	v_cmp_o_f32_e64 s3, v44, v44
	v_add_nc_u32_e32 v5, v5, v4
	s_delay_alu instid0(VALU_DEP_3) | instskip(NEXT) | instid1(VALU_DEP_1)
	v_add3_u32 v6, v44, v6, 0x7fff
	v_lshrrev_b32_e32 v6, 16, v6
	s_delay_alu instid0(VALU_DEP_1)
	v_cndmask_b32_e64 v6, 0x7fc0, v6, s3
	s_wait_kmcnt 0x0
	global_store_b16 v5, v6, s[8:9] scale_offset
.LBB176_50:
	s_wait_xcnt 0x0
	s_or_b32 exec_lo, exec_lo, s4
	v_add3_u32 v5, v1, s13, 48
	s_delay_alu instid0(VALU_DEP_1)
	v_cmp_gt_u32_e64 s3, s6, v5
	s_and_b32 exec_lo, exec_lo, s3
	s_cbranch_execz .LBB176_62
; %bb.51:
	v_mul_lo_u32 v5, v5, s12
	s_and_saveexec_b32 s4, vcc_lo
	s_cbranch_execnz .LBB176_78
; %bb.52:
	s_or_b32 exec_lo, exec_lo, s4
	s_and_saveexec_b32 s4, s0
	s_cbranch_execnz .LBB176_79
.LBB176_53:
	s_or_b32 exec_lo, exec_lo, s4
	s_and_saveexec_b32 s4, s1
	s_cbranch_execnz .LBB176_80
.LBB176_54:
	s_or_b32 exec_lo, exec_lo, s4
	s_and_saveexec_b32 s4, s2
	s_cbranch_execz .LBB176_56
.LBB176_55:
	v_bfe_u32 v6, v37, 16, 1
	v_cmp_o_f32_e64 s3, v37, v37
	v_add_nc_u32_e32 v5, v5, v4
	s_delay_alu instid0(VALU_DEP_3) | instskip(NEXT) | instid1(VALU_DEP_1)
	v_add3_u32 v6, v37, v6, 0x7fff
	v_lshrrev_b32_e32 v6, 16, v6
	s_delay_alu instid0(VALU_DEP_1)
	v_cndmask_b32_e64 v6, 0x7fc0, v6, s3
	s_wait_kmcnt 0x0
	global_store_b16 v5, v6, s[8:9] scale_offset
.LBB176_56:
	s_wait_xcnt 0x0
	s_or_b32 exec_lo, exec_lo, s4
	v_add3_u32 v1, v1, s13, 56
	s_delay_alu instid0(VALU_DEP_1)
	v_cmp_gt_u32_e64 s3, s6, v1
	s_and_b32 exec_lo, exec_lo, s3
	s_cbranch_execz .LBB176_62
; %bb.57:
	v_mul_lo_u32 v1, v1, s12
	s_and_saveexec_b32 s3, vcc_lo
	s_cbranch_execnz .LBB176_81
; %bb.58:
	s_or_b32 exec_lo, exec_lo, s3
	s_and_saveexec_b32 s3, s0
	s_cbranch_execnz .LBB176_82
.LBB176_59:
	s_or_b32 exec_lo, exec_lo, s3
	s_and_saveexec_b32 s0, s1
	s_cbranch_execnz .LBB176_83
.LBB176_60:
	s_or_b32 exec_lo, exec_lo, s0
	s_delay_alu instid0(SALU_CYCLE_1)
	s_and_b32 exec_lo, exec_lo, s2
	s_cbranch_execz .LBB176_62
.LBB176_61:
	v_bfe_u32 v0, v36, 16, 1
	v_cmp_o_f32_e32 vcc_lo, v36, v36
	v_add_nc_u32_e32 v1, v1, v4
	s_delay_alu instid0(VALU_DEP_3) | instskip(NEXT) | instid1(VALU_DEP_1)
	v_add3_u32 v0, v36, v0, 0x7fff
	v_lshrrev_b32_e32 v0, 16, v0
	s_delay_alu instid0(VALU_DEP_1)
	v_cndmask_b32_e32 v0, 0x7fc0, v0, vcc_lo
	s_wait_kmcnt 0x0
	global_store_b16 v1, v0, s[8:9] scale_offset
.LBB176_62:
	s_sendmsg sendmsg(MSG_DEALLOC_VGPRS)
	s_endpgm
.LBB176_63:
	v_bfe_u32 v6, v70, 16, 1
	v_cmp_o_f32_e64 s3, v70, v70
	s_delay_alu instid0(VALU_DEP_3) | instskip(NEXT) | instid1(VALU_DEP_3)
	v_add_nc_u32_e32 v7, v5, v0
	v_add3_u32 v6, v70, v6, 0x7fff
	s_delay_alu instid0(VALU_DEP_1) | instskip(NEXT) | instid1(VALU_DEP_1)
	v_lshrrev_b32_e32 v6, 16, v6
	v_cndmask_b32_e64 v6, 0x7fc0, v6, s3
	s_wait_kmcnt 0x0
	global_store_b16 v7, v6, s[8:9] scale_offset
	s_wait_xcnt 0x0
	s_or_b32 exec_lo, exec_lo, s4
	s_and_saveexec_b32 s4, s0
	s_cbranch_execz .LBB176_23
.LBB176_64:
	v_bfe_u32 v6, v68, 16, 1
	v_cmp_o_f32_e64 s3, v68, v68
	s_delay_alu instid0(VALU_DEP_3) | instskip(NEXT) | instid1(VALU_DEP_3)
	v_add_nc_u32_e32 v7, v5, v2
	v_add3_u32 v6, v68, v6, 0x7fff
	s_delay_alu instid0(VALU_DEP_1) | instskip(NEXT) | instid1(VALU_DEP_1)
	v_lshrrev_b32_e32 v6, 16, v6
	v_cndmask_b32_e64 v6, 0x7fc0, v6, s3
	s_wait_kmcnt 0x0
	global_store_b16 v7, v6, s[8:9] scale_offset
	s_wait_xcnt 0x0
	s_or_b32 exec_lo, exec_lo, s4
	s_and_saveexec_b32 s4, s1
	s_cbranch_execz .LBB176_24
.LBB176_65:
	v_bfe_u32 v6, v66, 16, 1
	v_cmp_o_f32_e64 s3, v66, v66
	v_add_nc_u32_e32 v7, v5, v3
	s_delay_alu instid0(VALU_DEP_3) | instskip(NEXT) | instid1(VALU_DEP_1)
	v_add3_u32 v6, v66, v6, 0x7fff
	v_lshrrev_b32_e32 v6, 16, v6
	s_delay_alu instid0(VALU_DEP_1)
	v_cndmask_b32_e64 v6, 0x7fc0, v6, s3
	s_wait_kmcnt 0x0
	global_store_b16 v7, v6, s[8:9] scale_offset
	s_wait_xcnt 0x0
	s_or_b32 exec_lo, exec_lo, s4
	s_and_saveexec_b32 s4, s2
	s_cbranch_execnz .LBB176_25
	s_branch .LBB176_26
.LBB176_66:
	v_bfe_u32 v6, v63, 16, 1
	v_cmp_o_f32_e64 s3, v63, v63
	s_delay_alu instid0(VALU_DEP_3) | instskip(NEXT) | instid1(VALU_DEP_3)
	v_add_nc_u32_e32 v7, v5, v0
	v_add3_u32 v6, v63, v6, 0x7fff
	s_delay_alu instid0(VALU_DEP_1) | instskip(NEXT) | instid1(VALU_DEP_1)
	v_lshrrev_b32_e32 v6, 16, v6
	v_cndmask_b32_e64 v6, 0x7fc0, v6, s3
	s_wait_kmcnt 0x0
	global_store_b16 v7, v6, s[8:9] scale_offset
	s_wait_xcnt 0x0
	s_or_b32 exec_lo, exec_lo, s4
	s_and_saveexec_b32 s4, s0
	s_cbranch_execz .LBB176_29
.LBB176_67:
	v_bfe_u32 v6, v61, 16, 1
	v_cmp_o_f32_e64 s3, v61, v61
	s_delay_alu instid0(VALU_DEP_3) | instskip(NEXT) | instid1(VALU_DEP_3)
	v_add_nc_u32_e32 v7, v5, v2
	v_add3_u32 v6, v61, v6, 0x7fff
	s_delay_alu instid0(VALU_DEP_1) | instskip(NEXT) | instid1(VALU_DEP_1)
	v_lshrrev_b32_e32 v6, 16, v6
	v_cndmask_b32_e64 v6, 0x7fc0, v6, s3
	s_wait_kmcnt 0x0
	global_store_b16 v7, v6, s[8:9] scale_offset
	s_wait_xcnt 0x0
	s_or_b32 exec_lo, exec_lo, s4
	s_and_saveexec_b32 s4, s1
	s_cbranch_execz .LBB176_30
.LBB176_68:
	v_bfe_u32 v6, v59, 16, 1
	v_cmp_o_f32_e64 s3, v59, v59
	v_add_nc_u32_e32 v7, v5, v3
	s_delay_alu instid0(VALU_DEP_3) | instskip(NEXT) | instid1(VALU_DEP_1)
	v_add3_u32 v6, v59, v6, 0x7fff
	v_lshrrev_b32_e32 v6, 16, v6
	s_delay_alu instid0(VALU_DEP_1)
	v_cndmask_b32_e64 v6, 0x7fc0, v6, s3
	s_wait_kmcnt 0x0
	global_store_b16 v7, v6, s[8:9] scale_offset
	s_wait_xcnt 0x0
	s_or_b32 exec_lo, exec_lo, s4
	s_and_saveexec_b32 s4, s2
	s_cbranch_execnz .LBB176_31
	s_branch .LBB176_32
.LBB176_69:
	v_bfe_u32 v6, v62, 16, 1
	v_cmp_o_f32_e64 s3, v62, v62
	s_delay_alu instid0(VALU_DEP_3) | instskip(NEXT) | instid1(VALU_DEP_3)
	v_add_nc_u32_e32 v7, v5, v0
	v_add3_u32 v6, v62, v6, 0x7fff
	s_delay_alu instid0(VALU_DEP_1) | instskip(NEXT) | instid1(VALU_DEP_1)
	v_lshrrev_b32_e32 v6, 16, v6
	v_cndmask_b32_e64 v6, 0x7fc0, v6, s3
	s_wait_kmcnt 0x0
	global_store_b16 v7, v6, s[8:9] scale_offset
	s_wait_xcnt 0x0
	s_or_b32 exec_lo, exec_lo, s4
	s_and_saveexec_b32 s4, s0
	s_cbranch_execz .LBB176_35
.LBB176_70:
	v_bfe_u32 v6, v60, 16, 1
	v_cmp_o_f32_e64 s3, v60, v60
	s_delay_alu instid0(VALU_DEP_3) | instskip(NEXT) | instid1(VALU_DEP_3)
	v_add_nc_u32_e32 v7, v5, v2
	v_add3_u32 v6, v60, v6, 0x7fff
	s_delay_alu instid0(VALU_DEP_1) | instskip(NEXT) | instid1(VALU_DEP_1)
	v_lshrrev_b32_e32 v6, 16, v6
	v_cndmask_b32_e64 v6, 0x7fc0, v6, s3
	s_wait_kmcnt 0x0
	global_store_b16 v7, v6, s[8:9] scale_offset
	s_wait_xcnt 0x0
	s_or_b32 exec_lo, exec_lo, s4
	s_and_saveexec_b32 s4, s1
	s_cbranch_execz .LBB176_36
.LBB176_71:
	v_bfe_u32 v6, v58, 16, 1
	v_cmp_o_f32_e64 s3, v58, v58
	v_add_nc_u32_e32 v7, v5, v3
	s_delay_alu instid0(VALU_DEP_3) | instskip(NEXT) | instid1(VALU_DEP_1)
	v_add3_u32 v6, v58, v6, 0x7fff
	v_lshrrev_b32_e32 v6, 16, v6
	s_delay_alu instid0(VALU_DEP_1)
	v_cndmask_b32_e64 v6, 0x7fc0, v6, s3
	s_wait_kmcnt 0x0
	global_store_b16 v7, v6, s[8:9] scale_offset
	s_wait_xcnt 0x0
	s_or_b32 exec_lo, exec_lo, s4
	s_and_saveexec_b32 s4, s2
	s_cbranch_execnz .LBB176_37
	s_branch .LBB176_38
.LBB176_72:
	v_bfe_u32 v6, v51, 16, 1
	v_cmp_o_f32_e64 s3, v51, v51
	s_delay_alu instid0(VALU_DEP_3) | instskip(NEXT) | instid1(VALU_DEP_3)
	v_add_nc_u32_e32 v7, v5, v0
	v_add3_u32 v6, v51, v6, 0x7fff
	s_delay_alu instid0(VALU_DEP_1) | instskip(NEXT) | instid1(VALU_DEP_1)
	v_lshrrev_b32_e32 v6, 16, v6
	v_cndmask_b32_e64 v6, 0x7fc0, v6, s3
	s_wait_kmcnt 0x0
	global_store_b16 v7, v6, s[8:9] scale_offset
	s_wait_xcnt 0x0
	s_or_b32 exec_lo, exec_lo, s4
	s_and_saveexec_b32 s4, s0
	s_cbranch_execz .LBB176_41
.LBB176_73:
	v_bfe_u32 v6, v49, 16, 1
	v_cmp_o_f32_e64 s3, v49, v49
	s_delay_alu instid0(VALU_DEP_3) | instskip(NEXT) | instid1(VALU_DEP_3)
	v_add_nc_u32_e32 v7, v5, v2
	v_add3_u32 v6, v49, v6, 0x7fff
	s_delay_alu instid0(VALU_DEP_1) | instskip(NEXT) | instid1(VALU_DEP_1)
	v_lshrrev_b32_e32 v6, 16, v6
	v_cndmask_b32_e64 v6, 0x7fc0, v6, s3
	s_wait_kmcnt 0x0
	global_store_b16 v7, v6, s[8:9] scale_offset
	s_wait_xcnt 0x0
	s_or_b32 exec_lo, exec_lo, s4
	s_and_saveexec_b32 s4, s1
	s_cbranch_execz .LBB176_42
.LBB176_74:
	v_bfe_u32 v6, v47, 16, 1
	v_cmp_o_f32_e64 s3, v47, v47
	v_add_nc_u32_e32 v7, v5, v3
	s_delay_alu instid0(VALU_DEP_3) | instskip(NEXT) | instid1(VALU_DEP_1)
	v_add3_u32 v6, v47, v6, 0x7fff
	v_lshrrev_b32_e32 v6, 16, v6
	s_delay_alu instid0(VALU_DEP_1)
	v_cndmask_b32_e64 v6, 0x7fc0, v6, s3
	s_wait_kmcnt 0x0
	global_store_b16 v7, v6, s[8:9] scale_offset
	s_wait_xcnt 0x0
	s_or_b32 exec_lo, exec_lo, s4
	s_and_saveexec_b32 s4, s2
	s_cbranch_execnz .LBB176_43
	s_branch .LBB176_44
.LBB176_75:
	v_bfe_u32 v6, v50, 16, 1
	v_cmp_o_f32_e64 s3, v50, v50
	s_delay_alu instid0(VALU_DEP_3) | instskip(NEXT) | instid1(VALU_DEP_3)
	v_add_nc_u32_e32 v7, v5, v0
	v_add3_u32 v6, v50, v6, 0x7fff
	s_delay_alu instid0(VALU_DEP_1) | instskip(NEXT) | instid1(VALU_DEP_1)
	v_lshrrev_b32_e32 v6, 16, v6
	v_cndmask_b32_e64 v6, 0x7fc0, v6, s3
	s_wait_kmcnt 0x0
	global_store_b16 v7, v6, s[8:9] scale_offset
	s_wait_xcnt 0x0
	s_or_b32 exec_lo, exec_lo, s4
	s_and_saveexec_b32 s4, s0
	s_cbranch_execz .LBB176_47
.LBB176_76:
	v_bfe_u32 v6, v48, 16, 1
	v_cmp_o_f32_e64 s3, v48, v48
	s_delay_alu instid0(VALU_DEP_3) | instskip(NEXT) | instid1(VALU_DEP_3)
	v_add_nc_u32_e32 v7, v5, v2
	v_add3_u32 v6, v48, v6, 0x7fff
	s_delay_alu instid0(VALU_DEP_1) | instskip(NEXT) | instid1(VALU_DEP_1)
	v_lshrrev_b32_e32 v6, 16, v6
	v_cndmask_b32_e64 v6, 0x7fc0, v6, s3
	s_wait_kmcnt 0x0
	global_store_b16 v7, v6, s[8:9] scale_offset
	s_wait_xcnt 0x0
	s_or_b32 exec_lo, exec_lo, s4
	s_and_saveexec_b32 s4, s1
	s_cbranch_execz .LBB176_48
.LBB176_77:
	v_bfe_u32 v6, v46, 16, 1
	v_cmp_o_f32_e64 s3, v46, v46
	v_add_nc_u32_e32 v7, v5, v3
	s_delay_alu instid0(VALU_DEP_3) | instskip(NEXT) | instid1(VALU_DEP_1)
	v_add3_u32 v6, v46, v6, 0x7fff
	v_lshrrev_b32_e32 v6, 16, v6
	s_delay_alu instid0(VALU_DEP_1)
	v_cndmask_b32_e64 v6, 0x7fc0, v6, s3
	s_wait_kmcnt 0x0
	global_store_b16 v7, v6, s[8:9] scale_offset
	s_wait_xcnt 0x0
	s_or_b32 exec_lo, exec_lo, s4
	s_and_saveexec_b32 s4, s2
	s_cbranch_execnz .LBB176_49
	s_branch .LBB176_50
.LBB176_78:
	v_bfe_u32 v6, v43, 16, 1
	v_cmp_o_f32_e64 s3, v43, v43
	s_delay_alu instid0(VALU_DEP_3) | instskip(NEXT) | instid1(VALU_DEP_3)
	v_add_nc_u32_e32 v7, v5, v0
	v_add3_u32 v6, v43, v6, 0x7fff
	s_delay_alu instid0(VALU_DEP_1) | instskip(NEXT) | instid1(VALU_DEP_1)
	v_lshrrev_b32_e32 v6, 16, v6
	v_cndmask_b32_e64 v6, 0x7fc0, v6, s3
	s_wait_kmcnt 0x0
	global_store_b16 v7, v6, s[8:9] scale_offset
	s_wait_xcnt 0x0
	s_or_b32 exec_lo, exec_lo, s4
	s_and_saveexec_b32 s4, s0
	s_cbranch_execz .LBB176_53
.LBB176_79:
	v_bfe_u32 v6, v41, 16, 1
	v_cmp_o_f32_e64 s3, v41, v41
	s_delay_alu instid0(VALU_DEP_3) | instskip(NEXT) | instid1(VALU_DEP_3)
	v_add_nc_u32_e32 v7, v5, v2
	v_add3_u32 v6, v41, v6, 0x7fff
	s_delay_alu instid0(VALU_DEP_1) | instskip(NEXT) | instid1(VALU_DEP_1)
	v_lshrrev_b32_e32 v6, 16, v6
	v_cndmask_b32_e64 v6, 0x7fc0, v6, s3
	s_wait_kmcnt 0x0
	global_store_b16 v7, v6, s[8:9] scale_offset
	s_wait_xcnt 0x0
	s_or_b32 exec_lo, exec_lo, s4
	s_and_saveexec_b32 s4, s1
	s_cbranch_execz .LBB176_54
.LBB176_80:
	v_bfe_u32 v6, v39, 16, 1
	v_cmp_o_f32_e64 s3, v39, v39
	v_add_nc_u32_e32 v7, v5, v3
	s_delay_alu instid0(VALU_DEP_3) | instskip(NEXT) | instid1(VALU_DEP_1)
	v_add3_u32 v6, v39, v6, 0x7fff
	v_lshrrev_b32_e32 v6, 16, v6
	s_delay_alu instid0(VALU_DEP_1)
	v_cndmask_b32_e64 v6, 0x7fc0, v6, s3
	s_wait_kmcnt 0x0
	global_store_b16 v7, v6, s[8:9] scale_offset
	s_wait_xcnt 0x0
	s_or_b32 exec_lo, exec_lo, s4
	s_and_saveexec_b32 s4, s2
	s_cbranch_execnz .LBB176_55
	s_branch .LBB176_56
.LBB176_81:
	v_bfe_u32 v5, v42, 16, 1
	v_cmp_o_f32_e32 vcc_lo, v42, v42
	s_delay_alu instid0(VALU_DEP_3) | instskip(NEXT) | instid1(VALU_DEP_3)
	v_add_nc_u32_e32 v0, v1, v0
	v_add3_u32 v5, v42, v5, 0x7fff
	s_delay_alu instid0(VALU_DEP_1) | instskip(NEXT) | instid1(VALU_DEP_1)
	v_lshrrev_b32_e32 v5, 16, v5
	v_cndmask_b32_e32 v5, 0x7fc0, v5, vcc_lo
	s_wait_kmcnt 0x0
	global_store_b16 v0, v5, s[8:9] scale_offset
	s_wait_xcnt 0x0
	s_or_b32 exec_lo, exec_lo, s3
	s_and_saveexec_b32 s3, s0
	s_cbranch_execz .LBB176_59
.LBB176_82:
	v_bfe_u32 v0, v40, 16, 1
	v_cmp_o_f32_e32 vcc_lo, v40, v40
	s_delay_alu instid0(VALU_DEP_3) | instskip(NEXT) | instid1(VALU_DEP_3)
	v_add_nc_u32_e32 v2, v1, v2
	v_add3_u32 v0, v40, v0, 0x7fff
	s_delay_alu instid0(VALU_DEP_1) | instskip(NEXT) | instid1(VALU_DEP_1)
	v_lshrrev_b32_e32 v0, 16, v0
	v_cndmask_b32_e32 v0, 0x7fc0, v0, vcc_lo
	s_wait_kmcnt 0x0
	global_store_b16 v2, v0, s[8:9] scale_offset
	s_wait_xcnt 0x0
	s_or_b32 exec_lo, exec_lo, s3
	s_and_saveexec_b32 s0, s1
	s_cbranch_execz .LBB176_60
.LBB176_83:
	v_bfe_u32 v0, v38, 16, 1
	v_cmp_o_f32_e32 vcc_lo, v38, v38
	v_add_nc_u32_e32 v2, v1, v3
	s_delay_alu instid0(VALU_DEP_3) | instskip(NEXT) | instid1(VALU_DEP_1)
	v_add3_u32 v0, v38, v0, 0x7fff
	v_lshrrev_b32_e32 v0, 16, v0
	s_delay_alu instid0(VALU_DEP_1) | instskip(SKIP_4) | instid1(SALU_CYCLE_1)
	v_cndmask_b32_e32 v0, 0x7fc0, v0, vcc_lo
	s_wait_kmcnt 0x0
	global_store_b16 v2, v0, s[8:9] scale_offset
	s_wait_xcnt 0x0
	s_or_b32 exec_lo, exec_lo, s0
	s_and_b32 exec_lo, exec_lo, s2
	s_cbranch_execnz .LBB176_61
	s_branch .LBB176_62
	.section	.rodata,"a",@progbits
	.p2align	6, 0x0
	.amdhsa_kernel _ZL12mul_mat_q6_KIN3c108BFloat16ELb1EEvPKvS3_PT_iiiii
		.amdhsa_group_segment_fixed_size 45136
		.amdhsa_private_segment_fixed_size 0
		.amdhsa_kernarg_size 44
		.amdhsa_user_sgpr_count 2
		.amdhsa_user_sgpr_dispatch_ptr 0
		.amdhsa_user_sgpr_queue_ptr 0
		.amdhsa_user_sgpr_kernarg_segment_ptr 1
		.amdhsa_user_sgpr_dispatch_id 0
		.amdhsa_user_sgpr_kernarg_preload_length 0
		.amdhsa_user_sgpr_kernarg_preload_offset 0
		.amdhsa_user_sgpr_private_segment_size 0
		.amdhsa_wavefront_size32 1
		.amdhsa_uses_dynamic_stack 0
		.amdhsa_enable_private_segment 0
		.amdhsa_system_sgpr_workgroup_id_x 1
		.amdhsa_system_sgpr_workgroup_id_y 1
		.amdhsa_system_sgpr_workgroup_id_z 0
		.amdhsa_system_sgpr_workgroup_info 0
		.amdhsa_system_vgpr_workitem_id 1
		.amdhsa_next_free_vgpr 316
		.amdhsa_next_free_sgpr 18
		.amdhsa_named_barrier_count 0
		.amdhsa_reserve_vcc 1
		.amdhsa_float_round_mode_32 0
		.amdhsa_float_round_mode_16_64 0
		.amdhsa_float_denorm_mode_32 3
		.amdhsa_float_denorm_mode_16_64 3
		.amdhsa_fp16_overflow 0
		.amdhsa_memory_ordered 1
		.amdhsa_forward_progress 1
		.amdhsa_inst_pref_size 255
		.amdhsa_round_robin_scheduling 0
		.amdhsa_exception_fp_ieee_invalid_op 0
		.amdhsa_exception_fp_denorm_src 0
		.amdhsa_exception_fp_ieee_div_zero 0
		.amdhsa_exception_fp_ieee_overflow 0
		.amdhsa_exception_fp_ieee_underflow 0
		.amdhsa_exception_fp_ieee_inexact 0
		.amdhsa_exception_int_div_zero 0
	.end_amdhsa_kernel
	.section	.text._ZL12mul_mat_q6_KIN3c108BFloat16ELb1EEvPKvS3_PT_iiiii,"axG",@progbits,_ZL12mul_mat_q6_KIN3c108BFloat16ELb1EEvPKvS3_PT_iiiii,comdat
.Lfunc_end176:
	.size	_ZL12mul_mat_q6_KIN3c108BFloat16ELb1EEvPKvS3_PT_iiiii, .Lfunc_end176-_ZL12mul_mat_q6_KIN3c108BFloat16ELb1EEvPKvS3_PT_iiiii
                                        ; -- End function
	.set _ZL12mul_mat_q6_KIN3c108BFloat16ELb1EEvPKvS3_PT_iiiii.num_vgpr, 316
	.set _ZL12mul_mat_q6_KIN3c108BFloat16ELb1EEvPKvS3_PT_iiiii.num_agpr, 0
	.set _ZL12mul_mat_q6_KIN3c108BFloat16ELb1EEvPKvS3_PT_iiiii.numbered_sgpr, 18
	.set _ZL12mul_mat_q6_KIN3c108BFloat16ELb1EEvPKvS3_PT_iiiii.num_named_barrier, 0
	.set _ZL12mul_mat_q6_KIN3c108BFloat16ELb1EEvPKvS3_PT_iiiii.private_seg_size, 0
	.set _ZL12mul_mat_q6_KIN3c108BFloat16ELb1EEvPKvS3_PT_iiiii.uses_vcc, 1
	.set _ZL12mul_mat_q6_KIN3c108BFloat16ELb1EEvPKvS3_PT_iiiii.uses_flat_scratch, 0
	.set _ZL12mul_mat_q6_KIN3c108BFloat16ELb1EEvPKvS3_PT_iiiii.has_dyn_sized_stack, 0
	.set _ZL12mul_mat_q6_KIN3c108BFloat16ELb1EEvPKvS3_PT_iiiii.has_recursion, 0
	.set _ZL12mul_mat_q6_KIN3c108BFloat16ELb1EEvPKvS3_PT_iiiii.has_indirect_call, 0
	.section	.AMDGPU.csdata,"",@progbits
; Kernel info:
; codeLenInByte = 49904
; TotalNumSgprs: 20
; NumVgprs: 316
; ScratchSize: 0
; MemoryBound: 0
; FloatMode: 240
; IeeeMode: 1
; LDSByteSize: 45136 bytes/workgroup (compile time only)
; SGPRBlocks: 0
; VGPRBlocks: 19
; NumSGPRsForWavesPerEU: 20
; NumVGPRsForWavesPerEU: 316
; NamedBarCnt: 0
; Occupancy: 3
; WaveLimiterHint : 0
; COMPUTE_PGM_RSRC2:SCRATCH_EN: 0
; COMPUTE_PGM_RSRC2:USER_SGPR: 2
; COMPUTE_PGM_RSRC2:TRAP_HANDLER: 0
; COMPUTE_PGM_RSRC2:TGID_X_EN: 1
; COMPUTE_PGM_RSRC2:TGID_Y_EN: 1
; COMPUTE_PGM_RSRC2:TGID_Z_EN: 0
; COMPUTE_PGM_RSRC2:TIDIG_COMP_CNT: 1
	.section	.text._ZL8moe_q4_0IfLb0EEvPKvS1_PT_PKiS5_S5_iiiiiii,"axG",@progbits,_ZL8moe_q4_0IfLb0EEvPKvS1_PT_PKiS5_S5_iiiiiii,comdat
	.globl	_ZL8moe_q4_0IfLb0EEvPKvS1_PT_PKiS5_S5_iiiiiii ; -- Begin function _ZL8moe_q4_0IfLb0EEvPKvS1_PT_PKiS5_S5_iiiiiii
	.p2align	8
	.type	_ZL8moe_q4_0IfLb0EEvPKvS1_PT_PKiS5_S5_iiiiiii,@function
_ZL8moe_q4_0IfLb0EEvPKvS1_PT_PKiS5_S5_iiiiiii: ; @_ZL8moe_q4_0IfLb0EEvPKvS1_PT_PKiS5_S5_iiiiiii
; %bb.0:
	s_load_b128 s[4:7], s[0:1], 0x18
	s_bfe_u32 s2, ttmp6, 0x40010
	s_bfe_u32 s8, ttmp6, 0x40004
	s_add_co_i32 s2, s2, 1
	s_delay_alu instid0(SALU_CYCLE_1)
	s_mul_i32 s3, ttmp7, s2
	s_getreg_b32 s2, hwreg(HW_REG_IB_STS2, 6, 4)
	s_add_co_i32 s8, s8, s3
	s_cmp_eq_u32 s2, 0
	s_cselect_b32 s3, ttmp7, s8
	s_wait_kmcnt 0x0
	s_load_b32 s12, s[6:7], s3 offset:0x0 scale_offset
	s_wait_kmcnt 0x0
	s_cmp_gt_u32 s12, 0xff
	s_cbranch_scc1 .LBB177_31
; %bb.1:
	s_load_b64 s[6:7], s[0:1], 0x28
	s_lshl_b32 s3, s3, 3
	s_wait_kmcnt 0x0
	s_load_b32 s6, s[6:7], 0x0
	s_wait_kmcnt 0x0
	s_cmp_gt_u32 s3, s6
	s_cbranch_scc1 .LBB177_31
; %bb.2:
	v_bfe_u32 v1, v0, 10, 10
	s_and_b32 s13, ttmp6, 15
	v_and_b32_e32 v5, 0x3ff, v0
	s_delay_alu instid0(VALU_DEP_2) | instskip(SKIP_1) | instid1(SALU_CYCLE_1)
	v_add_nc_u32_e32 v2, s3, v1
	s_bfe_u32 s3, ttmp6, 0x4000c
	s_add_co_i32 s3, s3, 1
	s_delay_alu instid0(SALU_CYCLE_1)
	s_mul_i32 s3, ttmp9, s3
	global_load_b32 v3, v2, s[4:5] scale_offset
	s_clause 0x2
	s_load_b64 s[10:11], s[0:1], 0x30
	s_load_b64 s[8:9], s[0:1], 0x10
	s_load_b128 s[4:7], s[0:1], 0x3c
	s_add_co_i32 s13, s13, s3
	s_cmp_eq_u32 s2, 0
	s_cselect_b32 s2, ttmp9, s13
	s_mov_b32 s13, 0
	s_lshl_b32 s18, s2, 7
	s_wait_kmcnt 0x0
	s_cmp_lt_i32 s11, 32
	s_cbranch_scc1 .LBB177_21
; %bb.3:
	s_load_b128 s[0:3], s[0:1], 0x0
	s_ashr_i32 s14, s11, 31
	s_mul_i32 s16, s12, s10
	s_abs_i32 s12, s7
	s_lshr_b32 s10, s14, 27
	s_cvt_f32_u32 s20, s12
	s_add_co_i32 s19, s11, s10
	s_ashr_i32 s17, s16, 31
	s_ashr_i32 s10, s19, 5
	v_rcp_iflag_f32_e32 v10, s20
	v_mul_lo_u32 v2, s10, v1
	v_bfe_u32 v33, v0, 3, 7
	s_sub_co_i32 s20, 0, s12
	v_lshl_add_u32 v49, v1, 7, 0x5280
	v_lshl_add_u32 v51, v1, 4, 0x5680
	s_ashr_i32 s15, s5, 31
	v_lshl_add_u32 v20, v1, 2, v33
	s_lshr_b32 s14, s15, 27
	v_bfe_u32 v4, v0, 2, 8
	s_add_co_i32 s5, s5, s14
	s_wait_kmcnt 0x0
	s_add_nc_u64 s[16:17], s[0:1], s[16:17]
	v_readfirstlane_b32 s0, v10
	s_lshl_b32 s1, s10, 3
	s_delay_alu instid0(SALU_CYCLE_1) | instskip(SKIP_3) | instid1(VALU_DEP_2)
	v_dual_lshlrev_b32 v24, 2, v5 :: v_dual_add_nc_u32 v6, s1, v2
	v_dual_add_nc_u32 v22, 32, v20 :: v_dual_add_nc_u32 v30, 64, v20
	s_mul_f32 s0, s0, 0x4f7ffffe
	s_wait_loadcnt 0x0
	v_dual_sub_nc_u32 v12, 0, v3 :: v_dual_add_nc_u32 v10, s1, v6
	v_and_b32_e32 v21, 0x1ffc, v20
	s_cvt_u32_f32 s0, s0
	s_delay_alu instid0(VALU_DEP_2) | instskip(SKIP_1) | instid1(SALU_CYCLE_1)
	v_dual_lshlrev_b32 v48, 5, v22 :: v_dual_max_i32 v16, v3, v12
	v_and_b32_e32 v12, 7, v0
	s_mul_i32 s20, s20, s0
	v_dual_mov_b32 v9, 0 :: v_dual_bitop2_b32 v8, 12, v24 bitop3:0x40
	s_mul_hi_u32 s20, s0, s20
	s_delay_alu instid0(VALU_DEP_2)
	v_lshlrev_b32_e32 v26, 2, v12
	s_add_co_i32 s0, s0, s20
	v_mul_lo_u32 v14, s10, v20
	v_mul_hi_u32 v18, v16, s0
	v_lshlrev_b32_e32 v44, 5, v20
	v_add3_u32 v42, v21, v26, 0x4200
	v_and_b32_e32 v21, 0x3ffc, v30
	v_add_nc_u32_e32 v20, 0x60, v20
	v_mad_u32_u24 v7, 0x84, v1, v24
	v_and_b32_e32 v29, 0x3ffc, v22
	v_dual_add_nc_u32 v72, v51, v24 :: v_dual_add_nc_u32 v34, 32, v5
	v_add3_u32 v50, v21, v26, 0x4200
	v_and_b32_e32 v21, 0x3ffc, v20
	v_mul_lo_u32 v28, v18, s12
	v_add_nc_u32_e32 v22, 1, v18
	v_add3_u32 v46, v29, v26, 0x4200
	s_ashr_i32 s5, s5, 5
	v_add3_u32 v54, v21, v26, 0x4200
	v_add_nc_u32_e32 v36, 0x60, v5
	s_and_not1_b32 s19, s19, 31
	v_dual_add_nc_u32 v84, v42, v44 :: v_dual_lshlrev_b32 v52, 5, v30
	s_mul_i32 s14, s10, s18
	v_add_nc_u32_e32 v17, 0x1080, v7
	v_sub_nc_u32_e32 v16, v16, v28
	s_ashr_i32 s15, s14, 31
	v_add_nc_u32_e32 v19, 0x14a0, v7
	v_add_nc_u32_e32 v23, 0x18c0, v7
	;; [unrolled: 1-line block ×3, first 2 shown]
	v_subrev_nc_u32_e32 v28, s12, v16
	v_cmp_le_u32_e32 vcc_lo, s12, v16
	v_add_nc_u32_e32 v11, 0x420, v7
	v_add_nc_u32_e32 v13, 0x840, v7
	;; [unrolled: 1-line block ×3, first 2 shown]
	v_dual_cndmask_b32 v18, v18, v22 :: v_dual_add_nc_u32 v35, 0x2520, v7
	v_dual_cndmask_b32 v22, v16, v28, vcc_lo :: v_dual_bitop2_b32 v21, s7, v3 bitop3:0x14
	v_add_nc_u32_e32 v16, s1, v10
	v_add_nc_u32_e32 v37, 0x2940, v7
	s_delay_alu instid0(VALU_DEP_4) | instskip(NEXT) | instid1(VALU_DEP_4)
	v_dual_add_nc_u32 v26, 1, v18 :: v_dual_bitop2_b32 v28, 31, v0 bitop3:0x40
	v_ashrrev_i32_e32 v29, 31, v21
	v_cmp_le_u32_e32 vcc_lo, s12, v22
	v_dual_mov_b32 v21, v9 :: v_dual_lshlrev_b32 v55, 5, v20
	v_add_nc_u32_e32 v15, 0xc60, v7
	v_lshl_or_b32 v53, v28, 2, v49
	v_dual_cndmask_b32 v22, v18, v26, vcc_lo :: v_dual_add_nc_u32 v18, s1, v16
	v_and_b32_e32 v0, 0xfc, v0
	v_lshrrev_b32_e32 v74, 3, v34
	v_cmp_gt_u32_e32 vcc_lo, 4, v5
	s_delay_alu instid0(VALU_DEP_4) | instskip(SKIP_3) | instid1(VALU_DEP_4)
	v_xor_b32_e32 v1, v22, v29
	v_dual_add_nc_u32 v22, s1, v18 :: v_dual_bitop2_b32 v20, 28, v24 bitop3:0x40
	v_add_nc_u32_e32 v39, 0x2d60, v7
	v_add_nc_u32_e32 v41, 0x3180, v7
	v_sub_nc_u32_e32 v1, v1, v29
	s_delay_alu instid0(VALU_DEP_4) | instskip(SKIP_2) | instid1(VALU_DEP_4)
	v_dual_add_nc_u32 v29, 64, v5 :: v_dual_add_nc_u32 v24, s1, v22
	v_add_nc_u64_e32 v[30:31], s[2:3], v[20:21]
	v_add_nc_u32_e32 v43, 0x35a0, v7
	v_cmp_gt_i32_e64 s0, s4, v1
	v_mul_lo_u32 v28, v1, s5
	v_dual_add_nc_u32 v26, s1, v24 :: v_dual_lshlrev_b32 v1, 5, v5
	v_and_b32_e32 v21, 0x1fc, v29
	v_and_b32_e32 v29, 0x1fc, v34
	v_add_nc_u32_e32 v45, 0x39c0, v7
	v_add_nc_u32_e32 v47, 0x3de0, v7
	s_delay_alu instid0(VALU_DEP_4) | instskip(NEXT) | instid1(VALU_DEP_4)
	v_dual_add_nc_u32 v0, v1, v0 :: v_dual_add_nc_u32 v21, v1, v21
	v_add_nc_u32_e32 v56, v1, v29
	v_mul_u32_u24_e32 v73, 0x84, v5
	v_mad_u32_u24 v79, 0x84, v5, 64
	v_ashrrev_i32_e32 v29, 31, v28
	v_add_nc_u32_e32 v76, 0x4a00, v21
	v_add_nc_u32_e32 v81, 0x4a10, v21
	v_mov_b32_e32 v21, v9
	v_and_b32_e32 v20, 0x1fc, v36
	v_add_nc_u32_e32 v32, s1, v26
	v_add_nc_u32_e32 v44, s19, v14
	;; [unrolled: 1-line block ×10, first 2 shown]
	v_dual_add_nc_u32 v36, s1, v34 :: v_dual_add_nc_u32 v87, v54, v55
	v_add_nc_u32_e32 v80, 0x4e10, v20
	v_dual_mov_b32 v20, v9 :: v_dual_add_nc_u32 v83, 0x4210, v0
	s_delay_alu instid0(VALU_DEP_3) | instskip(SKIP_3) | instid1(VALU_DEP_3)
	v_dual_add_nc_u32 v38, s1, v36 :: v_dual_mov_b32 v0, v9
	v_mov_b32_e32 v1, v9
	v_mov_b32_e32 v55, 0x41000000
	s_mul_u64 s[14:15], s[14:15], 18
	v_add_nc_u32_e32 v40, s1, v38
	s_add_nc_u64 s[14:15], s[16:17], s[14:15]
	s_and_b32 s16, vcc_lo, s0
	s_mov_b32 s12, s13
	s_delay_alu instid0(VALU_DEP_1) | instskip(NEXT) | instid1(VALU_DEP_1)
	v_add_nc_u32_e32 v42, s1, v40
	v_dual_add_nc_u32 v46, s1, v42 :: v_dual_add_nc_u32 v86, v50, v52
	s_delay_alu instid0(VALU_DEP_1)
	v_dual_add_nc_u32 v52, s19, v48 :: v_dual_add_nc_u32 v50, s1, v46
	s_branch .LBB177_5
.LBB177_4:                              ;   in Loop: Header=BB177_5 Depth=1
	s_add_co_i32 s12, s12, 8
	s_delay_alu instid0(SALU_CYCLE_1)
	s_cmp_ge_i32 s12, s10
	s_cbranch_scc1 .LBB177_22
.LBB177_5:                              ; =>This Loop Header: Depth=1
                                        ;     Child Loop BB177_11 Depth 2
                                        ;     Child Loop BB177_19 Depth 2
	s_mul_u64 s[20:21], s[12:13], 18
	s_lshl_b32 s17, s12, 5
	s_add_nc_u64 s[20:21], s[14:15], s[20:21]
	s_cmp_lt_i32 s17, s11
	v_mad_nc_u64_u32 v[56:57], v4, 18, s[20:21]
	v_mad_nc_u64_u32 v[58:59], v12, 18, s[20:21]
	s_delay_alu instid0(VALU_DEP_2)
	v_mad_nc_u64_u32 v[60:61], v2, 18, v[56:57]
	v_mad_nc_u64_u32 v[62:63], v6, 18, v[56:57]
	;; [unrolled: 1-line block ×11, first 2 shown]
	v_add_nc_u64_e32 v[60:61], v[60:61], v[8:9]
	v_add_nc_u64_e32 v[62:63], v[62:63], v[8:9]
	;; [unrolled: 1-line block ×6, first 2 shown]
	v_mad_nc_u64_u32 v[98:99], v44, 18, v[58:59]
	v_add_nc_u64_e32 v[88:89], v[88:89], v[8:9]
	v_mad_nc_u64_u32 v[100:101], v48, 18, v[58:59]
	v_add_nc_u64_e32 v[90:91], v[90:91], v[8:9]
	s_clause 0x7
	global_load_b32 v54, v[60:61], off offset:2
	global_load_b32 v102, v[62:63], off offset:2
	;; [unrolled: 1-line block ×8, first 2 shown]
	s_wait_xcnt 0x7
	v_mad_nc_u64_u32 v[60:61], v36, 18, v[56:57]
	v_mad_nc_u64_u32 v[58:59], v52, 18, v[58:59]
	s_wait_xcnt 0x6
	v_mad_nc_u64_u32 v[62:63], v38, 18, v[56:57]
	s_wait_xcnt 0x5
	;; [unrolled: 2-line block ×4, first 2 shown]
	v_mad_nc_u64_u32 v[68:69], v46, 18, v[56:57]
	v_mad_nc_u64_u32 v[56:57], v50, 18, v[56:57]
	s_clause 0x3
	global_load_u16 v88, v[96:97], off
	global_load_u16 v89, v[98:99], off
	;; [unrolled: 1-line block ×4, first 2 shown]
	s_wait_xcnt 0x0
	v_add_nc_u64_e32 v[58:59], v[92:93], v[8:9]
	v_add_nc_u64_e32 v[70:71], v[94:95], v[8:9]
	;; [unrolled: 1-line block ×8, first 2 shown]
	s_clause 0x7
	global_load_b32 v92, v[58:59], off offset:2
	global_load_b32 v93, v[70:71], off offset:2
	;; [unrolled: 1-line block ×8, first 2 shown]
	s_wait_loadcnt 0xb
	s_wait_xcnt 0x0
	v_cvt_f32_f16_e32 v56, v88
	s_wait_loadcnt 0xa
	v_cvt_f32_f16_e32 v57, v89
	s_wait_loadcnt 0x9
	;; [unrolled: 2-line block ×3, first 2 shown]
	v_cvt_f32_f16_e32 v59, v91
	ds_store_b32 v7, v54
	ds_store_b32 v11, v102
	;; [unrolled: 1-line block ×8, first 2 shown]
	s_wait_loadcnt 0x7
	ds_store_b32 v27, v92
	s_wait_loadcnt 0x6
	ds_store_b32 v35, v93
	;; [unrolled: 2-line block ×8, first 2 shown]
	ds_store_b32 v84, v56
	ds_store_b32 v85, v57
	;; [unrolled: 1-line block ×4, first 2 shown]
	s_cbranch_scc0 .LBB177_4
; %bb.6:                                ;   in Loop: Header=BB177_5 Depth=1
	v_add_nc_u32_e32 v54, s12, v33
	s_delay_alu instid0(VALU_DEP_1) | instskip(SKIP_1) | instid1(SALU_CYCLE_1)
	v_cmp_gt_i32_e64 s1, s5, v54
	s_and_b32 s19, s0, s1
	s_and_saveexec_b32 s1, s19
	s_cbranch_execz .LBB177_8
; %bb.7:                                ;   in Loop: Header=BB177_5 Depth=1
	v_add_nc_u32_e32 v54, v28, v54
	s_delay_alu instid0(VALU_DEP_1)
	v_mad_nc_i64_i32 v[56:57], v54, 36, v[30:31]
	global_load_b32 v54, v[56:57], off offset:4
	s_wait_loadcnt 0x0
	ds_store_b32 v53, v54
.LBB177_8:                              ;   in Loop: Header=BB177_5 Depth=1
	s_or_b32 exec_lo, exec_lo, s1
	v_add_nc_u32_e32 v56, s12, v5
	s_delay_alu instid0(VALU_DEP_1) | instskip(SKIP_1) | instid1(SALU_CYCLE_1)
	v_cmp_gt_i32_e64 s1, s5, v56
	s_and_b32 s19, s16, s1
	s_and_saveexec_b32 s1, s19
	s_cbranch_execz .LBB177_10
; %bb.9:                                ;   in Loop: Header=BB177_5 Depth=1
	v_add_nc_u32_e32 v54, v28, v56
	s_delay_alu instid0(VALU_DEP_1)
	v_mad_nc_i64_i32 v[58:59], v54, 36, s[2:3]
	global_load_b32 v54, v[58:59], off
	s_wait_loadcnt 0x0
	ds_store_b32 v72, v54
.LBB177_10:                             ;   in Loop: Header=BB177_5 Depth=1
	s_or_b32 exec_lo, exec_lo, s1
	v_dual_mov_b32 v57, v49 :: v_dual_mov_b32 v88, v51
	v_dual_mov_b32 v89, v78 :: v_dual_mov_b32 v90, v77
	;; [unrolled: 1-line block ×3, first 2 shown]
	v_mov_b32_e32 v93, v73
	s_mov_b32 s1, -4
	s_wait_dscnt 0x0
	s_barrier_signal -1
	s_barrier_wait -1
.LBB177_11:                             ;   Parent Loop BB177_5 Depth=1
                                        ; =>  This Inner Loop Header: Depth=2
	ds_load_2addr_b32 v[60:61], v57 offset0:4 offset1:7
	ds_load_2addr_b32 v[68:69], v93 offset1:1
	ds_load_2addr_b32 v[62:63], v93 offset0:2 offset1:3
	ds_load_2addr_b32 v[64:65], v57 offset1:3
	ds_load_2addr_b32 v[70:71], v57 offset0:1 offset1:2
	ds_load_2addr_b32 v[66:67], v57 offset0:5 offset1:6
	v_add_nc_u32_e32 v54, 0x1080, v93
	v_add_nc_u32_e32 v98, 0x1088, v93
	;; [unrolled: 1-line block ×6, first 2 shown]
	ds_load_b32 v59, v92
	ds_load_b32 v108, v88
	;; [unrolled: 1-line block ×5, first 2 shown]
	ds_load_2addr_b32 v[96:97], v54 offset1:1
	ds_load_2addr_b32 v[98:99], v98 offset1:1
	ds_load_2addr_b32 v[100:101], v100 offset1:1
	ds_load_2addr_b32 v[102:103], v102 offset1:1
	ds_load_2addr_b32 v[104:105], v104 offset1:1
	ds_load_2addr_b32 v[106:107], v106 offset1:1
	v_dual_add_nc_u32 v93, 16, v93 :: v_dual_add_nc_u32 v92, 4, v92
	v_add_nc_u32_e32 v89, 4, v89
	v_add_nc_u32_e32 v57, 32, v57
	s_add_co_i32 s1, s1, 4
	v_add_nc_u32_e32 v90, 4, v90
	s_wait_dscnt 0x10
	v_lshrrev_b16 v54, 8, v60
	s_wait_dscnt 0xf
	v_dual_lshrrev_b32 v110, 28, v69 :: v_dual_bitop2_b32 v116, 15, v68 bitop3:0x40
	s_wait_dscnt 0xd
	v_lshrrev_b16 v113, 8, v64
	v_ashrrev_i32_e32 v114, 24, v64
	v_bfe_i32 v115, v64, 16, 8
	v_bfe_i32 v64, v64, 0, 8
	v_bfe_u32 v117, v68, 8, 4
	s_wait_dscnt 0xc
	v_ashrrev_i32_e32 v123, 24, v70
	v_bfe_i32 v113, v113, 0, 8
	s_wait_dscnt 0x5
	v_and_b32_e32 v162, 15, v96
	v_mul_i32_i24_e32 v116, v64, v116
	v_bfe_u32 v118, v68, 24, 4
	v_bfe_u32 v119, v68, 16, 4
	v_dual_ashrrev_i32 v155, 24, v61 :: v_dual_lshrrev_b32 v160, 28, v63
	v_bfe_i32 v156, v61, 16, 8
	v_bfe_i32 v157, v61, 8, 8
	v_bfe_i32 v158, v61, 0, 8
	v_bfe_u32 v61, v63, 4, 4
	s_wait_dscnt 0x1
	v_dual_lshrrev_b32 v161, 16, v108 :: v_dual_lshrrev_b32 v177, 28, v105
	v_bfe_u32 v163, v96, 8, 4
	v_bfe_u32 v164, v96, 24, 4
	;; [unrolled: 1-line block ×3, first 2 shown]
	s_wait_dscnt 0x0
	v_dual_lshrrev_b32 v189, 28, v106 :: v_dual_bitop2_b32 v167, 15, v100 bitop3:0x40
	v_mad_i32_i24 v116, v113, v117, v116
	v_mul_i32_i24_e32 v117, v64, v162
	v_bfe_u32 v109, v68, 12, 4
	v_dual_ashrrev_i32 v120, 24, v60 :: v_dual_ashrrev_i32 v126, 24, v66
	v_bfe_i32 v121, v60, 16, 8
	v_bfe_i32 v122, v60, 0, 8
	;; [unrolled: 1-line block ×5, first 2 shown]
	v_dual_lshrrev_b32 v129, 28, v68 :: v_dual_bitop2_b32 v131, 15, v69 bitop3:0x40
	v_bfe_u32 v130, v68, 20, 4
	v_bfe_u32 v68, v68, 4, 4
	v_mul_i32_i24_e32 v119, v115, v119
	v_mul_i32_i24_e32 v118, v114, v118
	v_bfe_u32 v166, v104, 4, 4
	v_dual_lshrrev_b32 v172, 28, v104 :: v_dual_bitop2_b32 v168, 15, v104 bitop3:0x40
	v_bfe_u32 v169, v104, 20, 4
	v_bfe_u32 v171, v100, 16, 4
	;; [unrolled: 1-line block ×4, first 2 shown]
	v_bfe_i32 v54, v54, 0, 8
	v_bfe_u32 v176, v105, 24, 4
	v_bfe_u32 v178, v105, 16, 4
	v_and_b32_e32 v180, 15, v105
	v_bfe_u32 v182, v100, 4, 4
	v_bfe_u32 v183, v100, 12, 4
	;; [unrolled: 1-line block ×5, first 2 shown]
	v_lshrrev_b32_e32 v100, 28, v100
	v_mul_i32_i24_e32 v246, v158, v61
	v_cvt_f32_f16_e64 v61, v161
	v_mul_i32_i24_e32 v161, v115, v165
	v_mul_i32_i24_e32 v162, v114, v164
	;; [unrolled: 1-line block ×3, first 2 shown]
	v_mad_i32_i24 v117, v113, v163, v117
	v_bfe_i32 v127, v66, 16, 8
	v_bfe_i32 v128, v66, 8, 8
	;; [unrolled: 1-line block ×3, first 2 shown]
	v_mul_i32_i24_e32 v68, v122, v68
	v_bfe_u32 v179, v105, 20, 4
	v_bfe_u32 v181, v105, 4, 4
	;; [unrolled: 1-line block ×3, first 2 shown]
	v_lshrrev_b32_e32 v96, 28, v96
	v_mul_i32_i24_e32 v164, v166, v122
	v_mul_i32_i24_e32 v166, v169, v121
	;; [unrolled: 1-line block ×12, first 2 shown]
	v_add3_u32 v116, v116, v119, v118
	v_mad_i32_i24 v118, v113, v175, v165
	v_add3_u32 v117, v117, v161, v162
	v_bfe_u32 v132, v69, 8, 4
	v_bfe_i32 v138, v71, 16, 8
	v_dual_ashrrev_i32 v140, 24, v67 :: v_dual_bitop2_b32 v146, 15, v62 bitop3:0x40
	v_mul_i32_i24_e32 v130, v121, v130
	v_mul_i32_i24_e32 v129, v120, v129
	v_bfe_u32 v192, v106, 16, 4
	v_and_b32_e32 v194, 15, v101
	v_and_b32_e32 v205, 15, v97
	v_bfe_u32 v207, v97, 8, 4
	v_mul_i32_i24_e32 v174, v126, v177
	v_mul_i32_i24_e32 v177, v127, v179
	;; [unrolled: 1-line block ×7, first 2 shown]
	v_add3_u32 v118, v118, v167, v171
	v_add3_u32 v68, v116, v109, v68
	;; [unrolled: 1-line block ×3, first 2 shown]
	v_bfe_u32 v133, v69, 24, 4
	v_bfe_u32 v134, v69, 16, 4
	v_dual_ashrrev_i32 v137, 24, v71 :: v_dual_ashrrev_i32 v143, 24, v65
	v_bfe_i32 v139, v71, 8, 8
	v_bfe_i32 v71, v71, 0, 8
	;; [unrolled: 1-line block ×5, first 2 shown]
	v_bfe_u32 v170, v104, 16, 4
	v_bfe_u32 v173, v104, 24, 4
	;; [unrolled: 1-line block ×3, first 2 shown]
	v_and_b32_e32 v190, 15, v106
	v_bfe_u32 v191, v106, 4, 4
	v_bfe_u32 v193, v106, 20, 4
	;; [unrolled: 1-line block ×5, first 2 shown]
	v_mul_i32_i24_e32 v131, v70, v131
	v_mul_i32_i24_e32 v132, v125, v132
	v_and_b32_e32 v208, 0xf0f0f0f, v104
	v_lshrrev_b32_e32 v104, 4, v104
	v_bfe_u32 v211, v97, 24, 4
	v_bfe_u32 v212, v97, 16, 4
	v_and_b32_e32 v216, 0xf0f0f0f, v106
	v_lshrrev_b32_e32 v106, 4, v106
	v_mul_i32_i24_e32 v184, v140, v189
	v_mul_i32_i24_e32 v189, v138, v192
	;; [unrolled: 1-line block ×6, first 2 shown]
	v_add3_u32 v118, v118, v181, v180
	v_add3_u32 v68, v68, v130, v129
	;; [unrolled: 1-line block ×3, first 2 shown]
	v_bfe_u32 v135, v69, 4, 4
	v_bfe_u32 v136, v69, 12, 4
	;; [unrolled: 1-line block ×5, first 2 shown]
	v_lshrrev_b32_e32 v101, 28, v101
	v_mul_i32_i24_e32 v134, v124, v134
	v_mul_i32_i24_e32 v133, v123, v133
	v_bfe_u32 v213, v97, 4, 4
	v_bfe_u32 v214, v97, 12, 4
	v_mul_i32_i24_e32 v183, v137, v188
	v_mul_i32_i24_e32 v185, v71, v190
	;; [unrolled: 1-line block ×9, first 2 shown]
	v_add3_u32 v100, v118, v186, v100
	v_add3_u32 v68, v68, v132, v131
	;; [unrolled: 1-line block ×3, first 2 shown]
	v_bfe_u32 v69, v69, 20, 4
	v_dual_lshrrev_b32 v201, 28, v97 :: v_dual_bitop2_b32 v202, 15, v102 bitop3:0x40
	v_bfe_u32 v97, v97, 20, 4
	v_mul_i32_i24_e32 v135, v66, v135
	v_mul_i32_i24_e32 v136, v128, v136
	;; [unrolled: 1-line block ×4, first 2 shown]
	v_add3_u32 v100, v100, v191, v120
	v_add3_u32 v68, v68, v134, v133
	;; [unrolled: 1-line block ×3, first 2 shown]
	v_bfe_u32 v147, v62, 24, 4
	v_bfe_u32 v148, v62, 16, 4
	;; [unrolled: 1-line block ×4, first 2 shown]
	v_dual_lshrrev_b32 v151, 28, v62 :: v_dual_bitop2_b32 v153, 15, v63 bitop3:0x40
	v_bfe_u32 v152, v62, 20, 4
	v_bfe_u32 v62, v62, 8, 4
	v_dual_lshrrev_b32 v239, 28, v98 :: v_dual_bitop2_b32 v230, 15, v107 bitop3:0x40
	v_dual_lshrrev_b32 v245, 28, v99 :: v_dual_bitop2_b32 v234, 15, v98 bitop3:0x40
	v_bfe_u32 v235, v98, 24, 4
	v_bfe_u32 v236, v98, 16, 4
	v_bfe_u32 v237, v98, 4, 4
	v_bfe_u32 v238, v98, 12, 4
	v_bfe_u32 v240, v98, 20, 4
	v_bfe_u32 v98, v98, 8, 4
	v_mul_i32_i24_e32 v110, v126, v110
	v_mul_i32_i24_e32 v69, v127, v69
	;; [unrolled: 1-line block ×6, first 2 shown]
	v_add3_u32 v100, v100, v193, v194
	v_add3_u32 v68, v68, v135, v136
	;; [unrolled: 1-line block ×3, first 2 shown]
	v_bfe_u32 v203, v102, 8, 4
	v_bfe_u32 v204, v102, 16, 4
	;; [unrolled: 1-line block ×3, first 2 shown]
	v_and_b32_e32 v209, 0xf0f0f0f, v105
	v_dual_lshrrev_b32 v105, 4, v105 :: v_dual_lshrrev_b32 v217, 28, v102
	v_mul_i32_i24_e32 v146, v71, v146
	v_mul_i32_i24_e32 v62, v139, v62
	;; [unrolled: 1-line block ×7, first 2 shown]
	v_lshrrev_b16 v104, 8, v104
	v_add3_u32 v66, v100, v66, v197
	v_add3_u32 v68, v68, v69, v110
	;; [unrolled: 1-line block ×3, first 2 shown]
	v_bfe_i32 v145, v65, 0, 8
	v_bfe_u32 v210, v102, 4, 4
	v_dual_lshrrev_b32 v224, 28, v103 :: v_dual_bitop2_b32 v219, 15, v103 bitop3:0x40
	v_mul_i32_i24_e32 v148, v138, v148
	v_mul_i32_i24_e32 v147, v137, v147
	;; [unrolled: 1-line block ×6, first 2 shown]
	v_lshrrev_b16 v208, 8, v208
	v_lshrrev_b16 v209, 8, v209
	v_mul_i32_i24_e32 v203, v139, v203
	v_lshrrev_b16 v105, 8, v105
	v_dual_add_nc_u32 v91, 4, v91 :: v_dual_bitop2_b32 v104, 15, v104 bitop3:0x40
	v_add3_u32 v66, v66, v126, v101
	v_add3_u32 v62, v68, v62, v146
	;; [unrolled: 1-line block ×3, first 2 shown]
	v_bfe_u32 v215, v102, 12, 4
	v_bfe_u32 v102, v102, 20, 4
	;; [unrolled: 1-line block ×3, first 2 shown]
	v_and_b32_e32 v226, 0xf0f0f0f, v107
	v_dual_lshrrev_b32 v227, 4, v107 :: v_dual_lshrrev_b32 v228, 28, v107
	v_mul_i32_i24_e32 v149, v67, v149
	v_mul_i32_i24_e32 v150, v142, v150
	;; [unrolled: 1-line block ×5, first 2 shown]
	v_lshrrev_b16 v214, 8, v216
	v_lshrrev_b16 v106, 8, v106
	v_mul_i32_i24_e32 v219, v142, v238
	v_mad_i32_i24 v115, v170, v115, v166
	v_mad_i32_i24 v114, v173, v114, v169
	v_and_b32_e32 v119, 0xffff, v208
	v_and_b32_e32 v163, 0xffff, v209
	v_dual_add_nc_u32 v88, 4, v88 :: v_dual_bitop2_b32 v105, 15, v105 bitop3:0x40
	v_and_b32_e32 v104, 0xffff, v104
	v_add3_u32 v66, v66, v203, v127
	v_add3_u32 v62, v62, v148, v147
	;; [unrolled: 1-line block ×3, first 2 shown]
	v_bfe_i32 v144, v65, 8, 8
	v_bfe_u32 v154, v63, 8, 4
	v_bfe_u32 v218, v103, 8, 4
	v_and_b32_e32 v241, 15, v99
	v_bfe_u32 v242, v99, 8, 4
	v_mul_i32_i24_e32 v152, v141, v152
	v_mul_i32_i24_e32 v151, v140, v151
	;; [unrolled: 1-line block ×7, first 2 shown]
	v_lshrrev_b16 v216, 8, v226
	v_mul_i32_i24_e32 v215, v142, v215
	v_lshrrev_b16 v220, 8, v227
	v_mad_i32_i24 v64, v168, v64, v164
	v_and_b32_e32 v164, 0xffff, v214
	v_and_b32_e32 v106, 15, v106
	v_add3_u32 v109, v114, v172, v174
	v_add3_u32 v114, v115, v176, v177
	v_mul_i32_i24_e32 v113, v119, v113
	v_mul_i32_i24_e32 v115, v125, v163
	v_and_b32_e32 v105, 0xffff, v105
	v_mul_i32_i24_e32 v54, v104, v54
	v_add3_u32 v66, v66, v187, v199
	v_add3_u32 v62, v62, v149, v150
	v_add3_u32 v67, v68, v67, v219
	v_bfe_u32 v111, v63, 16, 4
	v_bfe_u32 v112, v63, 24, 4
	v_bfe_i32 v65, v65, 16, 8
	v_bfe_u32 v225, v107, 24, 4
	v_bfe_u32 v232, v99, 16, 4
	v_bfe_u32 v233, v99, 24, 4
	v_mul_i32_i24_e32 v153, v145, v153
	v_mul_i32_i24_e32 v154, v144, v154
	;; [unrolled: 1-line block ×5, first 2 shown]
	v_and_b32_e32 v165, 0xffff, v216
	v_and_b32_e32 v166, 15, v220
	v_mul_i32_i24_e32 v116, v139, v164
	v_and_b32_e32 v106, 0xffff, v106
	v_mul_i32_i24_e32 v96, v128, v105
	v_add3_u32 v54, v113, v54, v115
	v_add3_u32 v66, v66, v200, v215
	;; [unrolled: 1-line block ×4, first 2 shown]
	v_bfe_u32 v159, v63, 12, 4
	v_bfe_u32 v221, v103, 16, 4
	;; [unrolled: 1-line block ×9, first 2 shown]
	v_mul_i32_i24_e32 v111, v65, v111
	v_mul_i32_i24_e32 v112, v143, v112
	;; [unrolled: 1-line block ×6, first 2 shown]
	v_add3_u32 v64, v64, v178, v179
	v_mul_i32_i24_e32 v119, v144, v165
	v_and_b32_e32 v125, 0xffff, v166
	v_add3_u32 v109, v109, v183, v184
	v_mul_i32_i24_e32 v104, v142, v106
	v_add3_u32 v54, v54, v96, v116
	v_add3_u32 v66, v66, v102, v201
	;; [unrolled: 1-line block ×4, first 2 shown]
	v_bfe_u32 v63, v63, 20, 4
	v_bfe_u32 v103, v103, 20, 4
	v_bfe_u32 v99, v99, 20, 4
	v_mul_i32_i24_e32 v159, v157, v159
	v_mul_i32_i24_e32 v145, v145, v230
	;; [unrolled: 1-line block ×10, first 2 shown]
	v_add3_u32 v64, v64, v185, v188
	v_add3_u32 v114, v114, v189, v190
	v_mul_i32_i24_e32 v105, v157, v125
	v_add3_u32 v69, v109, v210, v213
	v_add3_u32 v54, v54, v104, v119
	;; [unrolled: 1-line block ×5, first 2 shown]
	v_mul_i32_i24_e32 v63, v156, v63
	v_mul_i32_i24_e32 v160, v155, v160
	;; [unrolled: 1-line block ×6, first 2 shown]
	v_add3_u32 v65, v114, v65, v212
	v_add3_u32 v64, v64, v145, v107
	;; [unrolled: 1-line block ×6, first 2 shown]
	v_cvt_f32_f16_e32 v60, v108
	v_add3_u32 v54, v64, v65, v54
	v_add3_u32 v64, v66, v211, v221
	;; [unrolled: 1-line block ×4, first 2 shown]
	s_cmp_lt_u32 s1, 12
	v_cvt_f32_i32_e32 v54, v54
	v_add3_u32 v66, v64, v103, v156
	v_cvt_f32_i32_e32 v62, v62
	v_cvt_f32_i32_e32 v63, v63
	s_delay_alu instid0(VALU_DEP_4) | instskip(NEXT) | instid1(VALU_DEP_4)
	v_pk_mul_f32 v[64:65], v[54:55], v[60:61]
	v_cvt_f32_i32_e32 v54, v66
	s_delay_alu instid0(VALU_DEP_3) | instskip(NEXT) | instid1(VALU_DEP_3)
	v_pk_mul_f32 v[60:61], v[60:61], v[62:63] op_sel_hi:[0,1]
	v_sub_f32_e32 v63, v64, v65
	s_delay_alu instid0(VALU_DEP_3) | instskip(NEXT) | instid1(VALU_DEP_3)
	v_fma_mix_f32 v62, v108, v54, -v65 op_sel_hi:[1,0,0]
	v_dual_sub_f32 v61, v61, v65 :: v_dual_sub_f32 v60, v60, v65
	s_delay_alu instid0(VALU_DEP_2) | instskip(NEXT) | instid1(VALU_DEP_2)
	v_pk_fma_f32 v[0:1], v[58:59], v[62:63], v[0:1]
	v_pk_fma_f32 v[20:21], v[94:95], v[60:61], v[20:21]
	s_cbranch_scc1 .LBB177_11
; %bb.12:                               ;   in Loop: Header=BB177_5 Depth=1
	s_bitset1_b32 s17, 7
	s_delay_alu instid0(SALU_CYCLE_1)
	s_cmp_ge_i32 s17, s11
	s_barrier_signal -1
	s_barrier_wait -1
	s_cbranch_scc1 .LBB177_4
; %bb.13:                               ;   in Loop: Header=BB177_5 Depth=1
	v_add_nc_u32_e32 v54, s12, v74
	s_delay_alu instid0(VALU_DEP_1) | instskip(SKIP_1) | instid1(SALU_CYCLE_1)
	v_cmp_gt_i32_e64 s1, s5, v54
	s_and_b32 s17, s0, s1
	s_and_saveexec_b32 s1, s17
	s_cbranch_execz .LBB177_15
; %bb.14:                               ;   in Loop: Header=BB177_5 Depth=1
	v_add_nc_u32_e32 v54, v28, v54
	s_delay_alu instid0(VALU_DEP_1)
	v_mad_nc_i64_i32 v[58:59], v54, 36, v[30:31]
	global_load_b32 v54, v[58:59], off offset:4
	s_wait_loadcnt 0x0
	ds_store_b32 v53, v54
.LBB177_15:                             ;   in Loop: Header=BB177_5 Depth=1
	s_or_b32 exec_lo, exec_lo, s1
	s_and_saveexec_b32 s17, vcc_lo
	s_cbranch_execz .LBB177_18
; %bb.16:                               ;   in Loop: Header=BB177_5 Depth=1
	v_or_b32_e32 v54, 4, v56
	s_delay_alu instid0(VALU_DEP_1) | instskip(SKIP_1) | instid1(SALU_CYCLE_1)
	v_cmp_gt_i32_e64 s1, s5, v54
	s_and_b32 s1, s0, s1
	s_and_b32 exec_lo, exec_lo, s1
	s_cbranch_execz .LBB177_18
; %bb.17:                               ;   in Loop: Header=BB177_5 Depth=1
	v_ashrrev_i32_e32 v57, 31, v56
	s_delay_alu instid0(VALU_DEP_1) | instskip(NEXT) | instid1(VALU_DEP_1)
	v_add_nc_u64_e32 v[56:57], v[28:29], v[56:57]
	v_mad_nc_u64_u32 v[58:59], v56, 36, s[2:3]
	s_delay_alu instid0(VALU_DEP_1)
	v_mad_i32_i24 v59, v57, 36, v59
	global_load_b32 v54, v[58:59], off offset:144
	s_wait_loadcnt 0x0
	ds_store_b32 v72, v54
.LBB177_18:                             ;   in Loop: Header=BB177_5 Depth=1
	s_or_b32 exec_lo, exec_lo, s17
	v_dual_mov_b32 v60, v51 :: v_dual_mov_b32 v61, v49
	v_dual_mov_b32 v62, v83 :: v_dual_mov_b32 v63, v82
	;; [unrolled: 1-line block ×3, first 2 shown]
	v_mov_b32_e32 v66, v79
	s_mov_b32 s1, 12
	s_wait_dscnt 0x0
	s_barrier_signal -1
	s_barrier_wait -1
.LBB177_19:                             ;   Parent Loop BB177_5 Depth=1
                                        ; =>  This Inner Loop Header: Depth=2
	ds_load_2addr_b32 v[68:69], v61 offset1:3
	ds_load_2addr_b32 v[70:71], v61 offset0:4 offset1:7
	ds_load_2addr_b32 v[88:89], v61 offset0:1 offset1:2
	ds_load_b32 v67, v60
	ds_load_2addr_b32 v[90:91], v66 offset1:1
	ds_load_2addr_b32 v[92:93], v66 offset0:2 offset1:3
	v_add_nc_u32_e32 v54, 0x1080, v66
	v_add_nc_u32_e32 v98, 0x1088, v66
	;; [unrolled: 1-line block ×6, first 2 shown]
	ds_load_2addr_b32 v[94:95], v61 offset0:5 offset1:6
	ds_load_b32 v56, v62
	ds_load_b32 v57, v63
	;; [unrolled: 1-line block ×4, first 2 shown]
	ds_load_2addr_b32 v[96:97], v54 offset1:1
	ds_load_2addr_b32 v[98:99], v98 offset1:1
	;; [unrolled: 1-line block ×6, first 2 shown]
	v_dual_add_nc_u32 v66, 16, v66 :: v_dual_add_nc_u32 v65, 4, v65
	v_add_nc_u32_e32 v60, 4, v60
	s_add_co_i32 s1, s1, 4
	v_add_nc_u32_e32 v64, 4, v64
	s_cmp_lt_u32 s1, 28
	s_wait_dscnt 0x10
	v_lshrrev_b16 v112, 8, v68
	v_bfe_i32 v115, v68, 0, 8
	s_wait_dscnt 0xe
	v_ashrrev_i32_e32 v122, 24, v88
	v_lshrrev_b16 v54, 8, v70
	s_wait_dscnt 0xc
	v_and_b32_e32 v116, 15, v90
	v_bfe_u32 v117, v90, 8, 4
	v_bfe_i32 v112, v112, 0, 8
	v_dual_lshrrev_b32 v109, 28, v91 :: v_dual_ashrrev_i32 v113, 24, v68
	s_delay_alu instid0(VALU_DEP_4)
	v_mul_i32_i24_e32 v116, v115, v116
	s_wait_dscnt 0x5
	v_and_b32_e32 v190, 15, v96
	v_bfe_i32 v114, v68, 16, 8
	v_bfe_u32 v118, v90, 24, 4
	v_bfe_u32 v119, v90, 16, 4
	v_dual_ashrrev_i32 v120, 24, v70 :: v_dual_bitop2_b32 v130, 15, v91 bitop3:0x40
	v_bfe_i32 v121, v70, 16, 8
	v_bfe_i32 v70, v70, 0, 8
	s_wait_dscnt 0x3
	v_and_b32_e32 v166, 15, v100
	s_wait_dscnt 0x1
	v_dual_lshrrev_b32 v187, 4, v104 :: v_dual_bitop2_b32 v179, 15, v102 bitop3:0x40
	v_bfe_u32 v185, v104, 24, 4
	v_and_b32_e32 v186, 0xf0f0f0f, v104
	v_dual_lshrrev_b32 v188, 28, v104 :: v_dual_bitop2_b32 v194, 15, v104 bitop3:0x40
	v_bfe_u32 v189, v96, 8, 4
	v_bfe_u32 v191, v96, 24, 4
	;; [unrolled: 1-line block ×6, first 2 shown]
	v_lshrrev_b32_e32 v198, 4, v105
	v_mad_i32_i24 v116, v112, v117, v116
	v_mul_i32_i24_e32 v117, v115, v190
	v_bfe_u32 v108, v90, 12, 4
	v_dual_lshrrev_b32 v128, 28, v90 :: v_dual_ashrrev_i32 v139, 24, v95
	v_bfe_u32 v129, v90, 20, 4
	v_bfe_u32 v90, v90, 4, 4
	;; [unrolled: 1-line block ×9, first 2 shown]
	v_lshrrev_b32_e32 v100, 28, v100
	v_mul_i32_i24_e32 v119, v114, v119
	v_mul_i32_i24_e32 v118, v113, v118
	v_bfe_i32 v54, v54, 0, 8
	v_dual_lshrrev_b32 v202, 28, v96 :: v_dual_bitop2_b32 v204, 15, v97 bitop3:0x40
	v_bfe_u32 v203, v96, 20, 4
	v_bfe_u32 v96, v96, 4, 4
	v_mul_i32_i24_e32 v190, v114, v192
	v_mul_i32_i24_e32 v191, v113, v191
	;; [unrolled: 1-line block ×4, first 2 shown]
	v_mad_i32_i24 v117, v112, v189, v117
	v_bfe_i32 v123, v88, 16, 8
	v_bfe_i32 v124, v88, 8, 8
	;; [unrolled: 1-line block ×3, first 2 shown]
	v_dual_ashrrev_i32 v125, 24, v94 :: v_dual_ashrrev_i32 v136, 24, v89
	v_bfe_i32 v126, v94, 16, 8
	v_bfe_i32 v127, v94, 8, 8
	;; [unrolled: 1-line block ×3, first 2 shown]
	v_bfe_u32 v134, v91, 4, 4
	v_bfe_u32 v177, v101, 4, 4
	;; [unrolled: 1-line block ×3, first 2 shown]
	v_and_b32_e32 v197, 0xf0f0f0f, v105
	v_dual_lshrrev_b32 v199, 28, v105 :: v_dual_bitop2_b32 v201, 15, v105 bitop3:0x40
	v_bfe_u32 v200, v105, 16, 4
	v_bfe_u32 v208, v97, 4, 4
	v_mul_i32_i24_e32 v90, v70, v90
	v_bfe_u32 v210, v105, 20, 4
	v_bfe_u32 v105, v105, 4, 4
	v_mul_i32_i24_e32 v168, v114, v168
	v_mul_i32_i24_e32 v169, v113, v169
	;; [unrolled: 1-line block ×6, first 2 shown]
	v_add3_u32 v116, v116, v119, v118
	v_mad_i32_i24 v118, v112, v167, v166
	v_mad_i32_i24 v104, v194, v115, v104
	v_add3_u32 v115, v117, v190, v191
	v_bfe_u32 v131, v91, 8, 4
	v_and_b32_e32 v173, 15, v101
	v_bfe_u32 v205, v97, 8, 4
	v_mul_i32_i24_e32 v129, v121, v129
	v_mul_i32_i24_e32 v128, v120, v128
	;; [unrolled: 1-line block ×7, first 2 shown]
	v_lshrrev_b16 v195, 8, v197
	v_lshrrev_b16 v197, 8, v198
	v_mul_i32_i24_e32 v198, v88, v201
	v_mul_i32_i24_e32 v177, v94, v177
	;; [unrolled: 1-line block ×6, first 2 shown]
	v_add3_u32 v117, v118, v168, v169
	v_add3_u32 v90, v116, v108, v90
	;; [unrolled: 1-line block ×3, first 2 shown]
	v_bfe_u32 v132, v91, 24, 4
	v_bfe_u32 v133, v91, 16, 4
	;; [unrolled: 1-line block ×7, first 2 shown]
	v_lshrrev_b32_e32 v101, 28, v101
	v_bfe_u32 v206, v97, 24, 4
	v_bfe_u32 v207, v97, 16, 4
	v_mul_i32_i24_e32 v130, v88, v130
	v_mul_i32_i24_e32 v131, v124, v131
	;; [unrolled: 1-line block ×6, first 2 shown]
	v_add3_u32 v94, v104, v198, v94
	v_add3_u32 v104, v117, v171, v170
	;; [unrolled: 1-line block ×4, first 2 shown]
	v_bfe_u32 v135, v91, 12, 4
	v_bfe_u32 v209, v97, 12, 4
	v_mul_i32_i24_e32 v133, v123, v133
	v_mul_i32_i24_e32 v132, v122, v132
	;; [unrolled: 1-line block ×9, first 2 shown]
	v_add3_u32 v100, v104, v165, v100
	v_add3_u32 v90, v90, v131, v130
	v_add3_u32 v70, v70, v121, v88
	v_bfe_u32 v91, v91, 20, 4
	v_dual_lshrrev_b32 v157, 16, v67 :: v_dual_lshrrev_b32 v162, 28, v97
	v_bfe_u32 v97, v97, 20, 4
	v_mul_i32_i24_e32 v135, v127, v135
	v_mul_i32_i24_e32 v202, v127, v209
	v_add3_u32 v100, v100, v174, v173
	v_add3_u32 v90, v90, v133, v132
	;; [unrolled: 1-line block ×3, first 2 shown]
	v_bfe_i32 v137, v89, 16, 8
	v_bfe_i32 v138, v89, 8, 8
	;; [unrolled: 1-line block ×3, first 2 shown]
	v_ashrrev_i32_e32 v142, 24, v69
	v_bfe_i32 v143, v69, 8, 8
	v_bfe_i32 v144, v69, 0, 8
	;; [unrolled: 1-line block ×3, first 2 shown]
	v_and_b32_e32 v69, 15, v92
	v_bfe_u32 v146, v92, 24, 4
	v_bfe_u32 v147, v92, 16, 4
	;; [unrolled: 1-line block ×4, first 2 shown]
	v_dual_lshrrev_b32 v150, 28, v92 :: v_dual_bitop2_b32 v152, 15, v93 bitop3:0x40
	v_bfe_u32 v151, v92, 20, 4
	v_bfe_u32 v92, v92, 8, 4
	v_mul_i32_i24_e32 v109, v125, v109
	v_mul_i32_i24_e32 v91, v126, v91
	s_wait_dscnt 0x0
	v_dual_lshrrev_b32 v221, 4, v107 :: v_dual_bitop2_b32 v216, 15, v106 bitop3:0x40
	v_dual_lshrrev_b32 v232, 28, v98 :: v_dual_bitop2_b32 v224, 15, v103 bitop3:0x40
	;; [unrolled: 1-line block ×3, first 2 shown]
	v_bfe_u32 v228, v98, 24, 4
	v_bfe_u32 v229, v98, 16, 4
	;; [unrolled: 1-line block ×6, first 2 shown]
	v_mul_i32_i24_e32 v162, v125, v162
	v_mul_i32_i24_e32 v178, v127, v178
	;; [unrolled: 1-line block ×3, first 2 shown]
	v_add3_u32 v100, v100, v175, v176
	v_add3_u32 v90, v90, v134, v135
	;; [unrolled: 1-line block ×3, first 2 shown]
	v_bfe_u32 v110, v93, 16, 4
	v_bfe_u32 v111, v93, 24, 4
	;; [unrolled: 1-line block ×3, first 2 shown]
	v_dual_ashrrev_i32 v154, 24, v71 :: v_dual_lshrrev_b32 v160, 28, v93
	v_bfe_i32 v155, v71, 16, 8
	v_bfe_u32 v158, v93, 4, 4
	v_bfe_u32 v159, v93, 12, 4
	;; [unrolled: 1-line block ×9, first 2 shown]
	v_and_b32_e32 v212, 0xf0f0f0f, v106
	v_bfe_u32 v215, v106, 16, 4
	v_bfe_u32 v223, v103, 8, 4
	;; [unrolled: 1-line block ×4, first 2 shown]
	v_dual_lshrrev_b32 v244, 28, v99 :: v_dual_bitop2_b32 v234, 15, v99 bitop3:0x40
	v_bfe_u32 v235, v99, 8, 4
	v_mul_i32_i24_e32 v236, v89, v69
	v_mul_i32_i24_e32 v92, v138, v92
	v_bfe_u32 v239, v103, 12, 4
	v_bfe_u32 v240, v103, 4, 4
	;; [unrolled: 1-line block ×4, first 2 shown]
	v_cvt_f32_f16_e64 v69, v157
	v_bfe_u32 v157, v99, 4, 4
	v_bfe_u32 v243, v99, 12, 4
	;; [unrolled: 1-line block ×3, first 2 shown]
	v_lshrrev_b16 v187, 8, v187
	v_mul_i32_i24_e32 v172, v126, v172
	v_mul_i32_i24_e32 v101, v125, v101
	v_mul_i32_i24_e32 v179, v89, v179
	v_mul_i32_i24_e32 v203, v89, v216
	v_mul_i32_i24_e32 v89, v89, v227
	v_mul_i32_i24_e32 v98, v138, v98
	v_add3_u32 v100, v100, v177, v178
	v_add3_u32 v90, v90, v91, v109
	;; [unrolled: 1-line block ×3, first 2 shown]
	v_bfe_i32 v140, v95, 16, 8
	v_bfe_i32 v141, v95, 8, 8
	;; [unrolled: 1-line block ×3, first 2 shown]
	v_bfe_u32 v183, v102, 4, 4
	v_dual_lshrrev_b32 v213, 4, v106 :: v_dual_lshrrev_b32 v214, 28, v106
	v_bfe_u32 v218, v106, 20, 4
	v_bfe_u32 v106, v106, 4, 4
	;; [unrolled: 1-line block ×3, first 2 shown]
	v_mul_i32_i24_e32 v147, v137, v147
	v_mul_i32_i24_e32 v146, v136, v146
	;; [unrolled: 1-line block ×3, first 2 shown]
	v_lshrrev_b16 v186, 8, v186
	v_mul_i32_i24_e32 v105, v126, v210
	v_lshrrev_b16 v126, 8, v212
	v_mul_i32_i24_e32 v180, v138, v180
	v_mul_i32_i24_e32 v181, v137, v181
	;; [unrolled: 1-line block ×11, first 2 shown]
	v_and_b32_e32 v155, 15, v187
	v_add3_u32 v91, v100, v172, v101
	v_add3_u32 v90, v90, v92, v236
	;; [unrolled: 1-line block ×3, first 2 shown]
	v_bfe_u32 v184, v102, 12, 4
	v_dual_lshrrev_b32 v217, 28, v102 :: v_dual_lshrrev_b32 v222, 28, v107
	v_bfe_u32 v102, v102, 20, 4
	v_and_b32_e32 v220, 0xf0f0f0f, v107
	v_mul_i32_i24_e32 v148, v95, v148
	v_mul_i32_i24_e32 v149, v141, v149
	;; [unrolled: 1-line block ×4, first 2 shown]
	v_lshrrev_b16 v199, 8, v213
	v_mul_i32_i24_e32 v183, v95, v183
	v_mul_i32_i24_e32 v106, v95, v106
	;; [unrolled: 1-line block ×9, first 2 shown]
	v_and_b32_e32 v119, 0xffff, v186
	v_dual_add_nc_u32 v63, 4, v63 :: v_dual_bitop2_b32 v164, 15, v197 bitop3:0x40
	v_and_b32_e32 v166, 0xffff, v195
	v_and_b32_e32 v118, 0xffff, v155
	v_add3_u32 v89, v91, v180, v179
	v_add3_u32 v90, v90, v147, v146
	;; [unrolled: 1-line block ×3, first 2 shown]
	v_mul_i32_i24_e32 v151, v140, v151
	v_mul_i32_i24_e32 v150, v139, v150
	;; [unrolled: 1-line block ×5, first 2 shown]
	v_lshrrev_b16 v209, 8, v220
	v_lshrrev_b16 v210, 8, v221
	v_mul_i32_i24_e32 v140, v140, v233
	v_mul_i32_i24_e32 v139, v139, v232
	v_dual_add_nc_u32 v62, 4, v62 :: v_dual_bitop2_b32 v167, 15, v199 bitop3:0x40
	v_and_b32_e32 v126, 0xffff, v126
	v_mad_i32_i24 v113, v185, v113, v188
	v_mul_i32_i24_e32 v112, v119, v112
	v_mul_i32_i24_e32 v119, v124, v166
	v_and_b32_e32 v108, 0xffff, v164
	v_mul_i32_i24_e32 v54, v118, v54
	v_add3_u32 v89, v89, v181, v182
	v_add3_u32 v90, v90, v148, v149
	;; [unrolled: 1-line block ×3, first 2 shown]
	v_mul_i32_i24_e32 v152, v144, v152
	v_mul_i32_i24_e32 v153, v143, v153
	;; [unrolled: 1-line block ×4, first 2 shown]
	v_dual_add_nc_u32 v61, 32, v61 :: v_dual_bitop2_b32 v186, 15, v210 bitop3:0x40
	v_and_b32_e32 v187, 0xffff, v209
	v_mad_i32_i24 v114, v193, v114, v192
	v_mul_i32_i24_e32 v116, v138, v126
	v_and_b32_e32 v124, 0xffff, v167
	v_add3_u32 v113, v113, v196, v125
	v_mul_i32_i24_e32 v108, v127, v108
	v_add3_u32 v54, v112, v54, v119
	v_add3_u32 v89, v89, v183, v184
	;; [unrolled: 1-line block ×4, first 2 shown]
	v_bfe_i32 v156, v71, 8, 8
	v_bfe_i32 v71, v71, 0, 8
	v_mul_i32_i24_e32 v110, v145, v110
	v_bfe_u32 v237, v107, 16, 4
	v_and_b32_e32 v238, 15, v107
	v_bfe_u32 v107, v107, 4, 4
	v_mul_i32_i24_e32 v163, v145, v163
	v_mul_i32_i24_e32 v211, v144, v224
	;; [unrolled: 1-line block ×4, first 2 shown]
	v_and_b32_e32 v138, 0xffff, v186
	v_add3_u32 v105, v114, v200, v105
	v_mul_i32_i24_e32 v114, v141, v124
	v_add3_u32 v88, v113, v205, v208
	v_add3_u32 v54, v54, v108, v116
	;; [unrolled: 1-line block ×5, first 2 shown]
	v_mul_i32_i24_e32 v158, v71, v158
	v_mul_i32_i24_e32 v159, v156, v159
	;; [unrolled: 1-line block ×10, first 2 shown]
	v_add3_u32 v94, v94, v203, v106
	v_add3_u32 v104, v105, v204, v207
	;; [unrolled: 1-line block ×7, first 2 shown]
	v_mul_i32_i24_e32 v160, v154, v160
	v_mul_i32_i24_e32 v220, v156, v239
	;; [unrolled: 1-line block ×4, first 2 shown]
	v_add3_u32 v91, v104, v145, v223
	v_add3_u32 v92, v94, v144, v107
	;; [unrolled: 1-line block ×6, first 2 shown]
	v_cvt_f32_f16_e32 v68, v67
	v_add3_u32 v54, v92, v91, v54
	v_add3_u32 v71, v88, v219, v220
	;; [unrolled: 1-line block ×4, first 2 shown]
	s_delay_alu instid0(VALU_DEP_4) | instskip(NEXT) | instid1(VALU_DEP_4)
	v_cvt_f32_i32_e32 v54, v54
	v_add3_u32 v90, v71, v103, v221
	s_delay_alu instid0(VALU_DEP_4) | instskip(NEXT) | instid1(VALU_DEP_4)
	v_cvt_f32_i32_e32 v70, v88
	v_cvt_f32_i32_e32 v71, v89
	s_delay_alu instid0(VALU_DEP_4) | instskip(NEXT) | instid1(VALU_DEP_4)
	v_pk_mul_f32 v[88:89], v[54:55], v[68:69]
	v_cvt_f32_i32_e32 v54, v90
	s_delay_alu instid0(VALU_DEP_3) | instskip(NEXT) | instid1(VALU_DEP_3)
	v_pk_mul_f32 v[68:69], v[68:69], v[70:71] op_sel_hi:[0,1]
	v_sub_f32_e32 v71, v88, v89
	s_delay_alu instid0(VALU_DEP_3) | instskip(NEXT) | instid1(VALU_DEP_3)
	v_fma_mix_f32 v70, v67, v54, -v89 op_sel_hi:[1,0,0]
	v_dual_sub_f32 v69, v69, v89 :: v_dual_sub_f32 v68, v68, v89
	s_delay_alu instid0(VALU_DEP_2) | instskip(NEXT) | instid1(VALU_DEP_2)
	v_pk_fma_f32 v[0:1], v[58:59], v[70:71], v[0:1]
	v_pk_fma_f32 v[20:21], v[56:57], v[68:69], v[20:21]
	s_cbranch_scc1 .LBB177_19
; %bb.20:                               ;   in Loop: Header=BB177_5 Depth=1
	s_barrier_signal -1
	s_barrier_wait -1
	s_branch .LBB177_4
.LBB177_21:
	v_mov_b32_e32 v20, 0
	s_delay_alu instid0(VALU_DEP_1)
	v_dual_mov_b32 v21, v20 :: v_dual_mov_b32 v0, v20
	v_mov_b32_e32 v1, v20
.LBB177_22:
	s_mul_i32 s0, s7, s4
	s_wait_loadcnt 0x0
	v_cmp_gt_i32_e32 vcc_lo, s0, v3
	s_and_saveexec_b32 s0, vcc_lo
	s_cbranch_execz .LBB177_31
; %bb.23:
	v_mul_lo_u32 v2, v3, s6
	v_add_nc_u32_e32 v3, s18, v5
	s_mov_b32 s0, exec_lo
	s_delay_alu instid0(VALU_DEP_1)
	v_cmpx_gt_u32_e64 s6, v3
	s_cbranch_execz .LBB177_25
; %bb.24:
	s_delay_alu instid0(VALU_DEP_3)
	v_add_nc_u32_e32 v4, v2, v3
	global_store_b32 v4, v20, s[8:9] scale_offset
.LBB177_25:
	s_wait_xcnt 0x0
	s_or_b32 exec_lo, exec_lo, s0
	v_add_nc_u32_e32 v4, 32, v3
	s_mov_b32 s0, exec_lo
	s_delay_alu instid0(VALU_DEP_1)
	v_cmpx_gt_u32_e64 s6, v4
	s_cbranch_execz .LBB177_27
; %bb.26:
	v_add_nc_u32_e32 v4, v2, v4
	global_store_b32 v4, v21, s[8:9] scale_offset
.LBB177_27:
	s_wait_xcnt 0x0
	s_or_b32 exec_lo, exec_lo, s0
	v_add_nc_u32_e32 v4, 64, v3
	s_mov_b32 s0, exec_lo
	s_delay_alu instid0(VALU_DEP_1)
	v_cmpx_gt_u32_e64 s6, v4
	s_cbranch_execz .LBB177_29
; %bb.28:
	v_add_nc_u32_e32 v4, v2, v4
	global_store_b32 v4, v0, s[8:9] scale_offset
.LBB177_29:
	s_wait_xcnt 0x0
	s_or_b32 exec_lo, exec_lo, s0
	v_add_nc_u32_e32 v0, 0x60, v3
	s_delay_alu instid0(VALU_DEP_1)
	v_cmp_gt_u32_e32 vcc_lo, s6, v0
	s_and_b32 exec_lo, exec_lo, vcc_lo
	s_cbranch_execz .LBB177_31
; %bb.30:
	v_add_nc_u32_e32 v0, v2, v0
	global_store_b32 v0, v1, s[8:9] scale_offset
.LBB177_31:
	s_sendmsg sendmsg(MSG_DEALLOC_VGPRS)
	s_endpgm
	.section	.rodata,"a",@progbits
	.p2align	6, 0x0
	.amdhsa_kernel _ZL8moe_q4_0IfLb0EEvPKvS1_PT_PKiS5_S5_iiiiiii
		.amdhsa_group_segment_fixed_size 22272
		.amdhsa_private_segment_fixed_size 0
		.amdhsa_kernarg_size 76
		.amdhsa_user_sgpr_count 2
		.amdhsa_user_sgpr_dispatch_ptr 0
		.amdhsa_user_sgpr_queue_ptr 0
		.amdhsa_user_sgpr_kernarg_segment_ptr 1
		.amdhsa_user_sgpr_dispatch_id 0
		.amdhsa_user_sgpr_kernarg_preload_length 0
		.amdhsa_user_sgpr_kernarg_preload_offset 0
		.amdhsa_user_sgpr_private_segment_size 0
		.amdhsa_wavefront_size32 1
		.amdhsa_uses_dynamic_stack 0
		.amdhsa_enable_private_segment 0
		.amdhsa_system_sgpr_workgroup_id_x 1
		.amdhsa_system_sgpr_workgroup_id_y 1
		.amdhsa_system_sgpr_workgroup_id_z 0
		.amdhsa_system_sgpr_workgroup_info 0
		.amdhsa_system_vgpr_workitem_id 1
		.amdhsa_next_free_vgpr 247
		.amdhsa_next_free_sgpr 22
		.amdhsa_named_barrier_count 0
		.amdhsa_reserve_vcc 1
		.amdhsa_float_round_mode_32 0
		.amdhsa_float_round_mode_16_64 0
		.amdhsa_float_denorm_mode_32 3
		.amdhsa_float_denorm_mode_16_64 3
		.amdhsa_fp16_overflow 0
		.amdhsa_memory_ordered 1
		.amdhsa_forward_progress 1
		.amdhsa_inst_pref_size 64
		.amdhsa_round_robin_scheduling 0
		.amdhsa_exception_fp_ieee_invalid_op 0
		.amdhsa_exception_fp_denorm_src 0
		.amdhsa_exception_fp_ieee_div_zero 0
		.amdhsa_exception_fp_ieee_overflow 0
		.amdhsa_exception_fp_ieee_underflow 0
		.amdhsa_exception_fp_ieee_inexact 0
		.amdhsa_exception_int_div_zero 0
	.end_amdhsa_kernel
	.section	.text._ZL8moe_q4_0IfLb0EEvPKvS1_PT_PKiS5_S5_iiiiiii,"axG",@progbits,_ZL8moe_q4_0IfLb0EEvPKvS1_PT_PKiS5_S5_iiiiiii,comdat
.Lfunc_end177:
	.size	_ZL8moe_q4_0IfLb0EEvPKvS1_PT_PKiS5_S5_iiiiiii, .Lfunc_end177-_ZL8moe_q4_0IfLb0EEvPKvS1_PT_PKiS5_S5_iiiiiii
                                        ; -- End function
	.set _ZL8moe_q4_0IfLb0EEvPKvS1_PT_PKiS5_S5_iiiiiii.num_vgpr, 247
	.set _ZL8moe_q4_0IfLb0EEvPKvS1_PT_PKiS5_S5_iiiiiii.num_agpr, 0
	.set _ZL8moe_q4_0IfLb0EEvPKvS1_PT_PKiS5_S5_iiiiiii.numbered_sgpr, 22
	.set _ZL8moe_q4_0IfLb0EEvPKvS1_PT_PKiS5_S5_iiiiiii.num_named_barrier, 0
	.set _ZL8moe_q4_0IfLb0EEvPKvS1_PT_PKiS5_S5_iiiiiii.private_seg_size, 0
	.set _ZL8moe_q4_0IfLb0EEvPKvS1_PT_PKiS5_S5_iiiiiii.uses_vcc, 1
	.set _ZL8moe_q4_0IfLb0EEvPKvS1_PT_PKiS5_S5_iiiiiii.uses_flat_scratch, 0
	.set _ZL8moe_q4_0IfLb0EEvPKvS1_PT_PKiS5_S5_iiiiiii.has_dyn_sized_stack, 0
	.set _ZL8moe_q4_0IfLb0EEvPKvS1_PT_PKiS5_S5_iiiiiii.has_recursion, 0
	.set _ZL8moe_q4_0IfLb0EEvPKvS1_PT_PKiS5_S5_iiiiiii.has_indirect_call, 0
	.section	.AMDGPU.csdata,"",@progbits
; Kernel info:
; codeLenInByte = 8100
; TotalNumSgprs: 24
; NumVgprs: 247
; ScratchSize: 0
; MemoryBound: 0
; FloatMode: 240
; IeeeMode: 1
; LDSByteSize: 22272 bytes/workgroup (compile time only)
; SGPRBlocks: 0
; VGPRBlocks: 15
; NumSGPRsForWavesPerEU: 24
; NumVGPRsForWavesPerEU: 247
; NamedBarCnt: 0
; Occupancy: 4
; WaveLimiterHint : 1
; COMPUTE_PGM_RSRC2:SCRATCH_EN: 0
; COMPUTE_PGM_RSRC2:USER_SGPR: 2
; COMPUTE_PGM_RSRC2:TRAP_HANDLER: 0
; COMPUTE_PGM_RSRC2:TGID_X_EN: 1
; COMPUTE_PGM_RSRC2:TGID_Y_EN: 1
; COMPUTE_PGM_RSRC2:TGID_Z_EN: 0
; COMPUTE_PGM_RSRC2:TIDIG_COMP_CNT: 1
	.section	.text._ZL8moe_q4_0IfLb1EEvPKvS1_PT_PKiS5_S5_iiiiiii,"axG",@progbits,_ZL8moe_q4_0IfLb1EEvPKvS1_PT_PKiS5_S5_iiiiiii,comdat
	.globl	_ZL8moe_q4_0IfLb1EEvPKvS1_PT_PKiS5_S5_iiiiiii ; -- Begin function _ZL8moe_q4_0IfLb1EEvPKvS1_PT_PKiS5_S5_iiiiiii
	.p2align	8
	.type	_ZL8moe_q4_0IfLb1EEvPKvS1_PT_PKiS5_S5_iiiiiii,@function
_ZL8moe_q4_0IfLb1EEvPKvS1_PT_PKiS5_S5_iiiiiii: ; @_ZL8moe_q4_0IfLb1EEvPKvS1_PT_PKiS5_S5_iiiiiii
; %bb.0:
	s_load_b128 s[4:7], s[0:1], 0x18
	s_bfe_u32 s2, ttmp6, 0x40010
	s_bfe_u32 s8, ttmp6, 0x40004
	s_add_co_i32 s2, s2, 1
	s_delay_alu instid0(SALU_CYCLE_1)
	s_mul_i32 s3, ttmp7, s2
	s_getreg_b32 s2, hwreg(HW_REG_IB_STS2, 6, 4)
	s_add_co_i32 s8, s8, s3
	s_cmp_eq_u32 s2, 0
	s_cselect_b32 s3, ttmp7, s8
	s_wait_kmcnt 0x0
	s_load_b32 s14, s[6:7], s3 offset:0x0 scale_offset
	s_wait_kmcnt 0x0
	s_cmp_gt_u32 s14, 0xff
	s_cbranch_scc1 .LBB178_31
; %bb.1:
	s_load_b64 s[6:7], s[0:1], 0x28
	s_lshl_b32 s3, s3, 3
	s_wait_kmcnt 0x0
	s_load_b32 s6, s[6:7], 0x0
	s_wait_kmcnt 0x0
	s_cmp_gt_u32 s3, s6
	s_cbranch_scc1 .LBB178_31
; %bb.2:
	v_bfe_u32 v6, v0, 10, 10
	s_and_b32 s11, ttmp6, 15
	v_and_b32_e32 v5, 0x3ff, v0
	s_mov_b32 s15, 0
	s_delay_alu instid0(VALU_DEP_2) | instskip(SKIP_1) | instid1(SALU_CYCLE_1)
	v_add_nc_u32_e32 v1, s3, v6
	s_bfe_u32 s3, ttmp6, 0x4000c
	s_add_co_i32 s3, s3, 1
	s_delay_alu instid0(SALU_CYCLE_1)
	s_mul_i32 s3, ttmp9, s3
	global_load_b32 v1, v1, s[4:5] scale_offset
	s_wait_xcnt 0x0
	s_clause 0x2
	s_load_b128 s[4:7], s[0:1], 0x30
	s_load_b64 s[12:13], s[0:1], 0x10
	s_load_b96 s[8:10], s[0:1], 0x40
	s_add_co_i32 s11, s11, s3
	s_cmp_eq_u32 s2, 0
	s_cselect_b32 s2, ttmp9, s11
	s_delay_alu instid0(SALU_CYCLE_1)
	s_lshl_b32 s11, s2, 7
	s_wait_kmcnt 0x0
	s_cmp_lt_i32 s5, 32
	s_cbranch_scc1 .LBB178_21
; %bb.3:
	s_load_b128 s[0:3], s[0:1], 0x0
	s_mul_i32 s18, s14, s4
	v_bfe_u32 v31, v0, 3, 7
	s_ashr_i32 s19, s18, 31
	s_not_b32 s4, s11
	v_dual_mov_b32 v3, 0 :: v_dual_lshlrev_b32 v7, 2, v5
	s_delay_alu instid0(VALU_DEP_2)
	v_lshl_add_u32 v8, v6, 2, v31
	s_add_co_i32 s20, s6, s4
	s_ashr_i32 s16, s5, 31
	s_ashr_i32 s17, s8, 31
	s_lshr_b32 s14, s16, 27
	v_min_i32_e32 v46, s20, v8
	s_lshr_b32 s16, s17, 27
	v_min_i32_e32 v14, s20, v6
	v_and_b32_e32 v2, 12, v7
	s_add_co_i32 s6, s8, s16
	v_ashrrev_i32_e32 v9, 31, v46
	v_add_min_i32_e64 v48, v8, 32, s20
	v_add_min_i32_e64 v50, v8, 64, s20
	s_wait_kmcnt 0x0
	s_add_nc_u64 s[18:19], s[0:1], s[18:19]
	s_abs_i32 s0, s10
	v_add_min_i32_e64 v52, 0x60, v8, s20
	s_cvt_f32_u32 s1, s0
	s_sub_co_i32 s8, 0, s0
	v_and_b32_e32 v57, 0xfc, v0
	s_ashr_i32 s6, s6, 5
	v_rcp_iflag_f32_e32 v4, s1
	v_add_min_i32_e64 v16, v6, 8, s20
	v_add_min_i32_e64 v18, v6, 16, s20
	;; [unrolled: 1-line block ×6, first 2 shown]
	v_readfirstlane_b32 s1, v4
	s_wait_loadcnt 0x0
	v_sub_nc_u32_e32 v4, 0, v1
	v_add_min_i32_e64 v28, v6, 56, s20
	v_add_min_i32_e64 v30, v6, 64, s20
	;; [unrolled: 1-line block ×3, first 2 shown]
	s_mul_f32 s1, s1, 0x4f7ffffe
	v_dual_lshrrev_b32 v4, 30, v9 :: v_dual_max_i32 v10, v1, v4
	v_add_min_i32_e64 v34, 0x50, v6, s20
	s_delay_alu instid0(SALU_CYCLE_1)
	s_cvt_u32_f32 s1, s1
	v_lshlrev_b32_e32 v51, 5, v46
	v_add_min_i32_e64 v36, 0x58, v6, s20
	v_add_nc_u32_e32 v11, v46, v4
	s_mul_i32 s8, s8, s1
	v_ashrrev_i32_e32 v12, 31, v48
	s_mul_hi_u32 s8, s1, s8
	v_and_b32_e32 v4, 7, v0
	s_add_co_i32 s1, s1, s8
	v_and_b32_e32 v11, -4, v11
	v_mul_hi_u32 v9, v10, s1
	s_delay_alu instid0(VALU_DEP_3)
	v_dual_ashrrev_i32 v8, 31, v50 :: v_dual_lshlrev_b32 v49, 2, v4
	v_add_min_i32_e64 v38, 0x60, v6, s20
	v_add_min_i32_e64 v40, 0x68, v6, s20
	;; [unrolled: 1-line block ×4, first 2 shown]
	v_add3_u32 v11, v11, v49, 0x4200
	s_add_co_i32 s4, s5, s14
	v_mad_u32 v15, 0x84, v14, v7
	s_ashr_i32 s4, s4, 5
	v_mul_lo_u32 v13, v9, s0
	v_lshrrev_b32_e32 v12, 30, v12
	v_mad_u32 v17, 0x84, v16, v7
	v_mad_u32 v19, 0x84, v18, v7
	;; [unrolled: 1-line block ×9, first 2 shown]
	v_dual_sub_nc_u32 v10, v10, v13 :: v_dual_add_nc_u32 v12, v48, v12
	v_add_nc_u32_e32 v13, 1, v9
	v_mad_u32 v37, 0x84, v34, v7
	v_mad_u32 v39, 0x84, v36, v7
	s_delay_alu instid0(VALU_DEP_4)
	v_subrev_nc_u32_e32 v54, s0, v10
	v_cmp_le_u32_e32 vcc_lo, s0, v10
	v_ashrrev_i32_e32 v53, 31, v52
	v_and_b32_e32 v12, -4, v12
	v_mad_u32 v41, 0x84, v38, v7
	v_mad_u32 v43, 0x84, v40, v7
	v_dual_cndmask_b32 v10, v10, v54, vcc_lo :: v_dual_lshrrev_b32 v8, 30, v8
	v_cndmask_b32_e32 v9, v9, v13, vcc_lo
	v_lshrrev_b32_e32 v13, 30, v53
	v_xor_b32_e32 v53, s10, v1
	s_delay_alu instid0(VALU_DEP_4) | instskip(NEXT) | instid1(VALU_DEP_4)
	v_cmp_le_u32_e32 vcc_lo, s0, v10
	v_dual_add_nc_u32 v8, v50, v8 :: v_dual_add_nc_u32 v54, 1, v9
	v_add3_u32 v12, v12, v49, 0x4200
	s_delay_alu instid0(VALU_DEP_4) | instskip(SKIP_1) | instid1(VALU_DEP_4)
	v_ashrrev_i32_e32 v53, 31, v53
	v_mad_u32 v45, 0x84, v42, v7
	v_dual_add_nc_u32 v13, v52, v13 :: v_dual_bitop2_b32 v8, -4, v8 bitop3:0x40
	v_cndmask_b32_e32 v9, v9, v54, vcc_lo
	v_lshlrev_b32_e32 v58, 5, v50
	v_mad_u32 v47, 0x84, v44, v7
	s_delay_alu instid0(VALU_DEP_4) | instskip(SKIP_4) | instid1(VALU_DEP_4)
	v_add3_u32 v8, v8, v49, 0x4200
	v_dual_lshlrev_b32 v13, 5, v48 :: v_dual_bitop2_b32 v10, -4, v13 bitop3:0x40
	v_xor_b32_e32 v9, v9, v53
	v_add_nc_u32_e32 v55, 32, v5
	v_mul_lo_u32 v14, v14, s4
	v_add3_u32 v54, v10, v49, 0x4200
	v_add_nc_u32_e32 v10, 0x60, v5
	v_add_nc_u32_e32 v49, 64, v5
	v_mul_lo_u32 v16, v16, s4
	v_mul_lo_u32 v18, v18, s4
	;; [unrolled: 1-line block ×3, first 2 shown]
	v_and_b32_e32 v10, 0x1fc, v10
	v_sub_nc_u32_e32 v56, v9, v53
	v_lshlrev_b32_e32 v9, 5, v5
	v_and_b32_e32 v49, 0x1fc, v49
	v_and_b32_e32 v53, 0x1fc, v55
	v_mul_lo_u32 v22, v22, s4
	v_mul_lo_u32 v24, v24, s4
	;; [unrolled: 1-line block ×3, first 2 shown]
	v_dual_add_nc_u32 v60, v9, v49 :: v_dual_add_nc_u32 v49, v11, v51
	v_dual_add_nc_u32 v59, v9, v10 :: v_dual_bitop2_b32 v11, 31, v0 bitop3:0x40
	v_dual_add_nc_u32 v61, v9, v53 :: v_dual_add_nc_u32 v53, v8, v58
	v_dual_add_nc_u32 v57, v9, v57 :: v_dual_bitop2_b32 v8, 28, v7 bitop3:0x40
	v_lshlrev_b32_e32 v9, 5, v52
	v_mul_lo_u32 v10, v56, s6
	v_mul_lo_u32 v28, v28, s4
	;; [unrolled: 1-line block ×4, first 2 shown]
	v_dual_add_nc_u32 v72, v54, v9 :: v_dual_lshrrev_b32 v77, 3, v55
	v_mov_b32_e32 v9, v3
	v_mul_lo_u32 v34, v34, s4
	v_mul_lo_u32 v36, v36, s4
	;; [unrolled: 1-line block ×10, first 2 shown]
	v_lshl_add_u32 v73, v6, 7, 0x5280
	v_lshl_add_u32 v74, v6, 4, 0x5680
	s_mul_i32 s16, s4, s11
	v_add_nc_u32_e32 v51, v12, v13
	v_cmp_gt_u32_e32 vcc_lo, 4, v5
	v_cmp_gt_i32_e64 s0, s7, v56
	v_add_nc_u64_e32 v[12:13], s[2:3], v[8:9]
	s_ashr_i32 s17, s16, 31
	v_lshl_or_b32 v75, v11, 2, v73
	v_dual_add_nc_u32 v76, v74, v7 :: v_dual_ashrrev_i32 v11, 31, v10
	v_mov_b32_e32 v6, v3
	v_dual_mov_b32 v7, v3 :: v_dual_add_nc_u32 v78, 0x4e00, v59
	v_dual_mov_b32 v8, v3 :: v_dual_add_nc_u32 v79, 0x4e10, v59
	v_add_nc_u32_e32 v80, 0x4a00, v60
	v_add_nc_u32_e32 v81, 0x4a10, v60
	;; [unrolled: 1-line block ×6, first 2 shown]
	v_bfe_u32 v0, v0, 2, 8
	v_mul_u32_u24_e32 v86, 0x84, v5
	v_mad_u32_u24 v87, 0x84, v5, 64
	v_mov_b32_e32 v55, 0x41000000
	s_mul_u64 s[16:17], s[16:17], 18
	s_and_b32 s8, vcc_lo, s0
	s_add_nc_u64 s[16:17], s[18:19], s[16:17]
	s_mov_b32 s14, s15
	s_branch .LBB178_5
.LBB178_4:                              ;   in Loop: Header=BB178_5 Depth=1
	s_add_co_i32 s14, s14, 8
	s_delay_alu instid0(SALU_CYCLE_1)
	s_cmp_ge_i32 s14, s4
	s_cbranch_scc1 .LBB178_22
.LBB178_5:                              ; =>This Loop Header: Depth=1
                                        ;     Child Loop BB178_11 Depth 2
                                        ;     Child Loop BB178_19 Depth 2
	s_mul_u64 s[18:19], s[14:15], 18
	s_delay_alu instid0(SALU_CYCLE_1) | instskip(NEXT) | instid1(SALU_CYCLE_1)
	s_add_nc_u64 s[18:19], s[16:17], s[18:19]
	v_mad_nc_u64_u32 v[56:57], v0, 18, s[18:19]
	v_mad_nc_u64_u32 v[58:59], v4, 18, s[18:19]
	s_lshl_b32 s18, s14, 5
	s_delay_alu instid0(SALU_CYCLE_1) | instskip(NEXT) | instid1(VALU_DEP_2)
	s_cmp_lt_i32 s18, s5
	v_mad_nc_i64_i32 v[60:61], v14, 18, v[56:57]
	v_mad_nc_i64_i32 v[62:63], v16, 18, v[56:57]
	;; [unrolled: 1-line block ×17, first 2 shown]
	v_add_nc_u64_e32 v[60:61], v[60:61], v[2:3]
	v_mad_nc_i64_i32 v[108:109], v40, 18, v[56:57]
	v_add_nc_u64_e32 v[62:63], v[62:63], v[2:3]
	v_mad_nc_i64_i32 v[110:111], v42, 18, v[56:57]
	;; [unrolled: 2-line block ×3, first 2 shown]
	v_add_nc_u64_e32 v[66:67], v[66:67], v[2:3]
	v_add_nc_u64_e32 v[68:69], v[68:69], v[2:3]
	;; [unrolled: 1-line block ×4, first 2 shown]
	s_clause 0x3
	global_load_u16 v54, v[98:99], off
	global_load_u16 v112, v[100:101], off
	;; [unrolled: 1-line block ×4, first 2 shown]
	s_wait_xcnt 0x0
	v_add_nc_u64_e32 v[58:59], v[92:93], v[2:3]
	v_add_nc_u64_e32 v[90:91], v[90:91], v[2:3]
	s_clause 0x7
	global_load_b32 v98, v[60:61], off offset:2
	global_load_b32 v99, v[62:63], off offset:2
	;; [unrolled: 1-line block ×8, first 2 shown]
	s_wait_xcnt 0x7
	v_add_nc_u64_e32 v[60:61], v[94:95], v[2:3]
	s_wait_xcnt 0x6
	v_add_nc_u64_e32 v[62:63], v[96:97], v[2:3]
	;; [unrolled: 2-line block ×6, first 2 shown]
	v_add_nc_u64_e32 v[56:57], v[56:57], v[2:3]
	s_clause 0x7
	global_load_b32 v88, v[58:59], off offset:2
	global_load_b32 v89, v[60:61], off offset:2
	;; [unrolled: 1-line block ×8, first 2 shown]
	s_wait_loadcnt 0x13
	v_cvt_f32_f16_e32 v54, v54
	s_wait_loadcnt 0x12
	s_wait_xcnt 0x0
	v_cvt_f32_f16_e32 v56, v112
	s_wait_loadcnt 0x11
	v_cvt_f32_f16_e32 v57, v113
	s_wait_loadcnt 0x10
	;; [unrolled: 2-line block ×3, first 2 shown]
	ds_store_b32 v15, v98
	ds_store_b32 v49, v54
	s_wait_loadcnt 0xe
	ds_store_b32 v17, v99
	ds_store_b32 v51, v56
	s_wait_loadcnt 0xd
	;; [unrolled: 3-line block ×3, first 2 shown]
	ds_store_b32 v21, v101
	s_wait_loadcnt 0xb
	ds_store_b32 v23, v102
	s_wait_loadcnt 0xa
	ds_store_b32 v25, v103
	s_wait_loadcnt 0x9
	ds_store_b32 v27, v115
	s_wait_loadcnt 0x8
	ds_store_b32 v29, v116
	s_wait_loadcnt 0x7
	ds_store_b32 v33, v88
	s_wait_loadcnt 0x6
	ds_store_b32 v35, v89
	s_wait_loadcnt 0x5
	ds_store_b32 v37, v90
	s_wait_loadcnt 0x4
	ds_store_b32 v39, v91
	s_wait_loadcnt 0x3
	ds_store_b32 v41, v92
	s_wait_loadcnt 0x2
	ds_store_b32 v43, v93
	s_wait_loadcnt 0x1
	ds_store_b32 v45, v94
	s_wait_loadcnt 0x0
	ds_store_b32 v47, v95
	ds_store_b32 v72, v58
	s_cbranch_scc0 .LBB178_4
; %bb.6:                                ;   in Loop: Header=BB178_5 Depth=1
	v_add_nc_u32_e32 v54, s14, v31
	s_delay_alu instid0(VALU_DEP_1) | instskip(SKIP_1) | instid1(SALU_CYCLE_1)
	v_cmp_gt_i32_e64 s1, s6, v54
	s_and_b32 s19, s0, s1
	s_and_saveexec_b32 s1, s19
	s_cbranch_execz .LBB178_8
; %bb.7:                                ;   in Loop: Header=BB178_5 Depth=1
	v_add_nc_u32_e32 v54, v10, v54
	s_delay_alu instid0(VALU_DEP_1)
	v_mad_nc_i64_i32 v[56:57], v54, 36, v[12:13]
	global_load_b32 v54, v[56:57], off offset:4
	s_wait_loadcnt 0x0
	ds_store_b32 v75, v54
.LBB178_8:                              ;   in Loop: Header=BB178_5 Depth=1
	s_or_b32 exec_lo, exec_lo, s1
	v_add_nc_u32_e32 v56, s14, v5
	s_delay_alu instid0(VALU_DEP_1) | instskip(SKIP_1) | instid1(SALU_CYCLE_1)
	v_cmp_gt_i32_e64 s1, s6, v56
	s_and_b32 s19, s8, s1
	s_and_saveexec_b32 s1, s19
	s_cbranch_execz .LBB178_10
; %bb.9:                                ;   in Loop: Header=BB178_5 Depth=1
	v_add_nc_u32_e32 v54, v10, v56
	s_delay_alu instid0(VALU_DEP_1)
	v_mad_nc_i64_i32 v[58:59], v54, 36, s[2:3]
	global_load_b32 v54, v[58:59], off
	s_wait_loadcnt 0x0
	ds_store_b32 v76, v54
.LBB178_10:                             ;   in Loop: Header=BB178_5 Depth=1
	s_or_b32 exec_lo, exec_lo, s1
	v_dual_mov_b32 v57, v73 :: v_dual_mov_b32 v88, v74
	v_dual_mov_b32 v89, v84 :: v_dual_mov_b32 v90, v82
	;; [unrolled: 1-line block ×3, first 2 shown]
	v_mov_b32_e32 v93, v86
	s_mov_b32 s1, -4
	s_wait_dscnt 0x0
	s_barrier_signal -1
	s_barrier_wait -1
.LBB178_11:                             ;   Parent Loop BB178_5 Depth=1
                                        ; =>  This Inner Loop Header: Depth=2
	ds_load_2addr_b32 v[60:61], v57 offset0:4 offset1:7
	ds_load_2addr_b32 v[68:69], v93 offset1:1
	ds_load_2addr_b32 v[62:63], v93 offset0:2 offset1:3
	ds_load_2addr_b32 v[64:65], v57 offset1:3
	ds_load_2addr_b32 v[70:71], v57 offset0:1 offset1:2
	ds_load_2addr_b32 v[66:67], v57 offset0:5 offset1:6
	v_add_nc_u32_e32 v54, 0x1080, v93
	v_add_nc_u32_e32 v98, 0x1088, v93
	;; [unrolled: 1-line block ×6, first 2 shown]
	ds_load_b32 v59, v92
	ds_load_b32 v108, v88
	;; [unrolled: 1-line block ×5, first 2 shown]
	ds_load_2addr_b32 v[96:97], v54 offset1:1
	ds_load_2addr_b32 v[98:99], v98 offset1:1
	;; [unrolled: 1-line block ×6, first 2 shown]
	v_dual_add_nc_u32 v93, 16, v93 :: v_dual_add_nc_u32 v92, 4, v92
	v_add_nc_u32_e32 v89, 4, v89
	v_add_nc_u32_e32 v57, 32, v57
	s_add_co_i32 s1, s1, 4
	v_add_nc_u32_e32 v90, 4, v90
	s_wait_dscnt 0x10
	v_lshrrev_b16 v54, 8, v60
	s_wait_dscnt 0xf
	v_dual_lshrrev_b32 v110, 28, v69 :: v_dual_bitop2_b32 v116, 15, v68 bitop3:0x40
	s_wait_dscnt 0xd
	v_lshrrev_b16 v113, 8, v64
	v_ashrrev_i32_e32 v114, 24, v64
	v_bfe_i32 v115, v64, 16, 8
	v_bfe_i32 v64, v64, 0, 8
	v_bfe_u32 v117, v68, 8, 4
	s_wait_dscnt 0xc
	v_ashrrev_i32_e32 v123, 24, v70
	v_bfe_i32 v113, v113, 0, 8
	s_wait_dscnt 0x5
	v_and_b32_e32 v162, 15, v96
	v_mul_i32_i24_e32 v116, v64, v116
	v_bfe_u32 v118, v68, 24, 4
	v_bfe_u32 v119, v68, 16, 4
	v_dual_ashrrev_i32 v155, 24, v61 :: v_dual_lshrrev_b32 v160, 28, v63
	v_bfe_i32 v156, v61, 16, 8
	v_bfe_i32 v157, v61, 8, 8
	;; [unrolled: 1-line block ×3, first 2 shown]
	v_bfe_u32 v61, v63, 4, 4
	s_wait_dscnt 0x1
	v_dual_lshrrev_b32 v161, 16, v108 :: v_dual_lshrrev_b32 v177, 28, v105
	v_bfe_u32 v163, v96, 8, 4
	v_bfe_u32 v164, v96, 24, 4
	;; [unrolled: 1-line block ×3, first 2 shown]
	s_wait_dscnt 0x0
	v_dual_lshrrev_b32 v189, 28, v106 :: v_dual_bitop2_b32 v167, 15, v100 bitop3:0x40
	v_mad_i32_i24 v116, v113, v117, v116
	v_mul_i32_i24_e32 v117, v64, v162
	v_bfe_u32 v109, v68, 12, 4
	v_dual_ashrrev_i32 v120, 24, v60 :: v_dual_ashrrev_i32 v126, 24, v66
	v_bfe_i32 v121, v60, 16, 8
	v_bfe_i32 v122, v60, 0, 8
	;; [unrolled: 1-line block ×5, first 2 shown]
	v_dual_lshrrev_b32 v129, 28, v68 :: v_dual_bitop2_b32 v131, 15, v69 bitop3:0x40
	v_bfe_u32 v130, v68, 20, 4
	v_bfe_u32 v68, v68, 4, 4
	v_mul_i32_i24_e32 v119, v115, v119
	v_mul_i32_i24_e32 v118, v114, v118
	v_bfe_u32 v166, v104, 4, 4
	v_dual_lshrrev_b32 v172, 28, v104 :: v_dual_bitop2_b32 v168, 15, v104 bitop3:0x40
	v_bfe_u32 v169, v104, 20, 4
	v_bfe_u32 v171, v100, 16, 4
	;; [unrolled: 1-line block ×4, first 2 shown]
	v_bfe_i32 v54, v54, 0, 8
	v_bfe_u32 v176, v105, 24, 4
	v_bfe_u32 v178, v105, 16, 4
	v_and_b32_e32 v180, 15, v105
	v_bfe_u32 v182, v100, 4, 4
	v_bfe_u32 v183, v100, 12, 4
	;; [unrolled: 1-line block ×5, first 2 shown]
	v_lshrrev_b32_e32 v100, 28, v100
	v_mul_i32_i24_e32 v246, v158, v61
	v_cvt_f32_f16_e64 v61, v161
	v_mul_i32_i24_e32 v161, v115, v165
	v_mul_i32_i24_e32 v162, v114, v164
	v_mul_i32_i24_e32 v165, v64, v167
	v_mad_i32_i24 v117, v113, v163, v117
	v_bfe_i32 v127, v66, 16, 8
	v_bfe_i32 v128, v66, 8, 8
	;; [unrolled: 1-line block ×3, first 2 shown]
	v_mul_i32_i24_e32 v68, v122, v68
	v_bfe_u32 v179, v105, 20, 4
	v_bfe_u32 v181, v105, 4, 4
	;; [unrolled: 1-line block ×3, first 2 shown]
	v_lshrrev_b32_e32 v96, 28, v96
	v_mul_i32_i24_e32 v164, v166, v122
	v_mul_i32_i24_e32 v166, v169, v121
	;; [unrolled: 1-line block ×12, first 2 shown]
	v_add3_u32 v116, v116, v119, v118
	v_mad_i32_i24 v118, v113, v175, v165
	v_add3_u32 v117, v117, v161, v162
	v_bfe_u32 v132, v69, 8, 4
	v_bfe_i32 v138, v71, 16, 8
	v_dual_ashrrev_i32 v140, 24, v67 :: v_dual_bitop2_b32 v146, 15, v62 bitop3:0x40
	v_mul_i32_i24_e32 v130, v121, v130
	v_mul_i32_i24_e32 v129, v120, v129
	v_bfe_u32 v192, v106, 16, 4
	v_and_b32_e32 v194, 15, v101
	v_and_b32_e32 v205, 15, v97
	v_bfe_u32 v207, v97, 8, 4
	v_mul_i32_i24_e32 v174, v126, v177
	v_mul_i32_i24_e32 v177, v127, v179
	;; [unrolled: 1-line block ×7, first 2 shown]
	v_add3_u32 v118, v118, v167, v171
	v_add3_u32 v68, v116, v109, v68
	;; [unrolled: 1-line block ×3, first 2 shown]
	v_bfe_u32 v133, v69, 24, 4
	v_bfe_u32 v134, v69, 16, 4
	v_dual_ashrrev_i32 v137, 24, v71 :: v_dual_ashrrev_i32 v143, 24, v65
	v_bfe_i32 v139, v71, 8, 8
	v_bfe_i32 v71, v71, 0, 8
	;; [unrolled: 1-line block ×5, first 2 shown]
	v_bfe_u32 v170, v104, 16, 4
	v_bfe_u32 v173, v104, 24, 4
	;; [unrolled: 1-line block ×3, first 2 shown]
	v_and_b32_e32 v190, 15, v106
	v_bfe_u32 v191, v106, 4, 4
	v_bfe_u32 v193, v106, 20, 4
	;; [unrolled: 1-line block ×5, first 2 shown]
	v_mul_i32_i24_e32 v131, v70, v131
	v_mul_i32_i24_e32 v132, v125, v132
	v_and_b32_e32 v208, 0xf0f0f0f, v104
	v_lshrrev_b32_e32 v104, 4, v104
	v_bfe_u32 v211, v97, 24, 4
	v_bfe_u32 v212, v97, 16, 4
	v_and_b32_e32 v216, 0xf0f0f0f, v106
	v_lshrrev_b32_e32 v106, 4, v106
	v_mul_i32_i24_e32 v184, v140, v189
	v_mul_i32_i24_e32 v189, v138, v192
	;; [unrolled: 1-line block ×6, first 2 shown]
	v_add3_u32 v118, v118, v181, v180
	v_add3_u32 v68, v68, v130, v129
	v_add3_u32 v96, v117, v121, v96
	v_bfe_u32 v135, v69, 4, 4
	v_bfe_u32 v136, v69, 12, 4
	;; [unrolled: 1-line block ×5, first 2 shown]
	v_lshrrev_b32_e32 v101, 28, v101
	v_mul_i32_i24_e32 v134, v124, v134
	v_mul_i32_i24_e32 v133, v123, v133
	v_bfe_u32 v213, v97, 4, 4
	v_bfe_u32 v214, v97, 12, 4
	v_mul_i32_i24_e32 v183, v137, v188
	v_mul_i32_i24_e32 v185, v71, v190
	;; [unrolled: 1-line block ×9, first 2 shown]
	v_add3_u32 v100, v118, v186, v100
	v_add3_u32 v68, v68, v132, v131
	;; [unrolled: 1-line block ×3, first 2 shown]
	v_bfe_u32 v69, v69, 20, 4
	v_dual_lshrrev_b32 v201, 28, v97 :: v_dual_bitop2_b32 v202, 15, v102 bitop3:0x40
	v_bfe_u32 v97, v97, 20, 4
	v_mul_i32_i24_e32 v135, v66, v135
	v_mul_i32_i24_e32 v136, v128, v136
	;; [unrolled: 1-line block ×4, first 2 shown]
	v_add3_u32 v100, v100, v191, v120
	v_add3_u32 v68, v68, v134, v133
	v_add3_u32 v70, v70, v124, v123
	v_bfe_u32 v147, v62, 24, 4
	v_bfe_u32 v148, v62, 16, 4
	;; [unrolled: 1-line block ×4, first 2 shown]
	v_dual_lshrrev_b32 v151, 28, v62 :: v_dual_bitop2_b32 v153, 15, v63 bitop3:0x40
	v_bfe_u32 v152, v62, 20, 4
	v_bfe_u32 v62, v62, 8, 4
	v_dual_lshrrev_b32 v239, 28, v98 :: v_dual_bitop2_b32 v230, 15, v107 bitop3:0x40
	v_dual_lshrrev_b32 v245, 28, v99 :: v_dual_bitop2_b32 v234, 15, v98 bitop3:0x40
	v_bfe_u32 v235, v98, 24, 4
	v_bfe_u32 v236, v98, 16, 4
	;; [unrolled: 1-line block ×6, first 2 shown]
	v_mul_i32_i24_e32 v110, v126, v110
	v_mul_i32_i24_e32 v69, v127, v69
	;; [unrolled: 1-line block ×6, first 2 shown]
	v_add3_u32 v100, v100, v193, v194
	v_add3_u32 v68, v68, v135, v136
	;; [unrolled: 1-line block ×3, first 2 shown]
	v_bfe_u32 v203, v102, 8, 4
	v_bfe_u32 v204, v102, 16, 4
	;; [unrolled: 1-line block ×3, first 2 shown]
	v_and_b32_e32 v209, 0xf0f0f0f, v105
	v_dual_lshrrev_b32 v105, 4, v105 :: v_dual_lshrrev_b32 v217, 28, v102
	v_mul_i32_i24_e32 v146, v71, v146
	v_mul_i32_i24_e32 v62, v139, v62
	;; [unrolled: 1-line block ×7, first 2 shown]
	v_lshrrev_b16 v104, 8, v104
	v_add3_u32 v66, v100, v66, v197
	v_add3_u32 v68, v68, v69, v110
	;; [unrolled: 1-line block ×3, first 2 shown]
	v_bfe_i32 v145, v65, 0, 8
	v_bfe_u32 v210, v102, 4, 4
	v_dual_lshrrev_b32 v224, 28, v103 :: v_dual_bitop2_b32 v219, 15, v103 bitop3:0x40
	v_mul_i32_i24_e32 v148, v138, v148
	v_mul_i32_i24_e32 v147, v137, v147
	;; [unrolled: 1-line block ×6, first 2 shown]
	v_lshrrev_b16 v208, 8, v208
	v_lshrrev_b16 v209, 8, v209
	v_mul_i32_i24_e32 v203, v139, v203
	v_lshrrev_b16 v105, 8, v105
	v_dual_add_nc_u32 v91, 4, v91 :: v_dual_bitop2_b32 v104, 15, v104 bitop3:0x40
	v_add3_u32 v66, v66, v126, v101
	v_add3_u32 v62, v68, v62, v146
	;; [unrolled: 1-line block ×3, first 2 shown]
	v_bfe_u32 v215, v102, 12, 4
	v_bfe_u32 v102, v102, 20, 4
	;; [unrolled: 1-line block ×3, first 2 shown]
	v_and_b32_e32 v226, 0xf0f0f0f, v107
	v_dual_lshrrev_b32 v227, 4, v107 :: v_dual_lshrrev_b32 v228, 28, v107
	v_mul_i32_i24_e32 v149, v67, v149
	v_mul_i32_i24_e32 v150, v142, v150
	;; [unrolled: 1-line block ×5, first 2 shown]
	v_lshrrev_b16 v214, 8, v216
	v_lshrrev_b16 v106, 8, v106
	v_mul_i32_i24_e32 v219, v142, v238
	v_mad_i32_i24 v115, v170, v115, v166
	v_mad_i32_i24 v114, v173, v114, v169
	v_and_b32_e32 v119, 0xffff, v208
	v_and_b32_e32 v163, 0xffff, v209
	v_dual_add_nc_u32 v88, 4, v88 :: v_dual_bitop2_b32 v105, 15, v105 bitop3:0x40
	v_and_b32_e32 v104, 0xffff, v104
	v_add3_u32 v66, v66, v203, v127
	v_add3_u32 v62, v62, v148, v147
	;; [unrolled: 1-line block ×3, first 2 shown]
	v_bfe_i32 v144, v65, 8, 8
	v_bfe_u32 v154, v63, 8, 4
	v_bfe_u32 v218, v103, 8, 4
	v_and_b32_e32 v241, 15, v99
	v_bfe_u32 v242, v99, 8, 4
	v_mul_i32_i24_e32 v152, v141, v152
	v_mul_i32_i24_e32 v151, v140, v151
	;; [unrolled: 1-line block ×7, first 2 shown]
	v_lshrrev_b16 v216, 8, v226
	v_mul_i32_i24_e32 v215, v142, v215
	v_lshrrev_b16 v220, 8, v227
	v_mad_i32_i24 v64, v168, v64, v164
	v_and_b32_e32 v164, 0xffff, v214
	v_and_b32_e32 v106, 15, v106
	v_add3_u32 v109, v114, v172, v174
	v_add3_u32 v114, v115, v176, v177
	v_mul_i32_i24_e32 v113, v119, v113
	v_mul_i32_i24_e32 v115, v125, v163
	v_and_b32_e32 v105, 0xffff, v105
	v_mul_i32_i24_e32 v54, v104, v54
	v_add3_u32 v66, v66, v187, v199
	v_add3_u32 v62, v62, v149, v150
	;; [unrolled: 1-line block ×3, first 2 shown]
	v_bfe_u32 v111, v63, 16, 4
	v_bfe_u32 v112, v63, 24, 4
	v_bfe_i32 v65, v65, 16, 8
	v_bfe_u32 v225, v107, 24, 4
	v_bfe_u32 v232, v99, 16, 4
	;; [unrolled: 1-line block ×3, first 2 shown]
	v_mul_i32_i24_e32 v153, v145, v153
	v_mul_i32_i24_e32 v154, v144, v154
	;; [unrolled: 1-line block ×5, first 2 shown]
	v_and_b32_e32 v165, 0xffff, v216
	v_and_b32_e32 v166, 15, v220
	v_mul_i32_i24_e32 v116, v139, v164
	v_and_b32_e32 v106, 0xffff, v106
	v_mul_i32_i24_e32 v96, v128, v105
	v_add3_u32 v54, v113, v54, v115
	v_add3_u32 v66, v66, v200, v215
	;; [unrolled: 1-line block ×4, first 2 shown]
	v_bfe_u32 v159, v63, 12, 4
	v_bfe_u32 v221, v103, 16, 4
	;; [unrolled: 1-line block ×9, first 2 shown]
	v_mul_i32_i24_e32 v111, v65, v111
	v_mul_i32_i24_e32 v112, v143, v112
	;; [unrolled: 1-line block ×6, first 2 shown]
	v_add3_u32 v64, v64, v178, v179
	v_mul_i32_i24_e32 v119, v144, v165
	v_and_b32_e32 v125, 0xffff, v166
	v_add3_u32 v109, v109, v183, v184
	v_mul_i32_i24_e32 v104, v142, v106
	v_add3_u32 v54, v54, v96, v116
	v_add3_u32 v66, v66, v102, v201
	;; [unrolled: 1-line block ×4, first 2 shown]
	v_bfe_u32 v63, v63, 20, 4
	v_bfe_u32 v103, v103, 20, 4
	;; [unrolled: 1-line block ×3, first 2 shown]
	v_mul_i32_i24_e32 v159, v157, v159
	v_mul_i32_i24_e32 v145, v145, v230
	v_mul_i32_i24_e32 v206, v65, v221
	v_mul_i32_i24_e32 v65, v65, v229
	v_mul_i32_i24_e32 v211, v158, v223
	v_mul_i32_i24_e32 v107, v158, v107
	v_mul_i32_i24_e32 v158, v158, v243
	v_mul_i32_i24_e32 v212, v156, v231
	v_mul_i32_i24_e32 v221, v157, v222
	v_mul_i32_i24_e32 v222, v157, v244
	v_add3_u32 v64, v64, v185, v188
	v_add3_u32 v114, v114, v189, v190
	v_mul_i32_i24_e32 v105, v157, v125
	v_add3_u32 v69, v109, v210, v213
	v_add3_u32 v54, v54, v104, v119
	;; [unrolled: 1-line block ×5, first 2 shown]
	v_mul_i32_i24_e32 v63, v156, v63
	v_mul_i32_i24_e32 v160, v155, v160
	;; [unrolled: 1-line block ×6, first 2 shown]
	v_add3_u32 v65, v114, v65, v212
	v_add3_u32 v64, v64, v145, v107
	;; [unrolled: 1-line block ×6, first 2 shown]
	v_cvt_f32_f16_e32 v60, v108
	v_add3_u32 v54, v64, v65, v54
	v_add3_u32 v64, v66, v211, v221
	;; [unrolled: 1-line block ×4, first 2 shown]
	s_cmp_lt_u32 s1, 12
	v_cvt_f32_i32_e32 v54, v54
	v_add3_u32 v66, v64, v103, v156
	v_cvt_f32_i32_e32 v62, v62
	v_cvt_f32_i32_e32 v63, v63
	s_delay_alu instid0(VALU_DEP_4) | instskip(NEXT) | instid1(VALU_DEP_4)
	v_pk_mul_f32 v[64:65], v[54:55], v[60:61]
	v_cvt_f32_i32_e32 v54, v66
	s_delay_alu instid0(VALU_DEP_3) | instskip(NEXT) | instid1(VALU_DEP_3)
	v_pk_mul_f32 v[60:61], v[60:61], v[62:63] op_sel_hi:[0,1]
	v_sub_f32_e32 v63, v64, v65
	s_delay_alu instid0(VALU_DEP_3) | instskip(NEXT) | instid1(VALU_DEP_3)
	v_fma_mix_f32 v62, v108, v54, -v65 op_sel_hi:[1,0,0]
	v_dual_sub_f32 v61, v61, v65 :: v_dual_sub_f32 v60, v60, v65
	s_delay_alu instid0(VALU_DEP_2) | instskip(NEXT) | instid1(VALU_DEP_2)
	v_pk_fma_f32 v[8:9], v[58:59], v[62:63], v[8:9]
	v_pk_fma_f32 v[6:7], v[94:95], v[60:61], v[6:7]
	s_cbranch_scc1 .LBB178_11
; %bb.12:                               ;   in Loop: Header=BB178_5 Depth=1
	s_bitset1_b32 s18, 7
	s_delay_alu instid0(SALU_CYCLE_1)
	s_cmp_ge_i32 s18, s5
	s_barrier_signal -1
	s_barrier_wait -1
	s_cbranch_scc1 .LBB178_4
; %bb.13:                               ;   in Loop: Header=BB178_5 Depth=1
	v_add_nc_u32_e32 v54, s14, v77
	s_delay_alu instid0(VALU_DEP_1) | instskip(SKIP_1) | instid1(SALU_CYCLE_1)
	v_cmp_gt_i32_e64 s1, s6, v54
	s_and_b32 s18, s0, s1
	s_and_saveexec_b32 s1, s18
	s_cbranch_execz .LBB178_15
; %bb.14:                               ;   in Loop: Header=BB178_5 Depth=1
	v_add_nc_u32_e32 v54, v10, v54
	s_delay_alu instid0(VALU_DEP_1)
	v_mad_nc_i64_i32 v[58:59], v54, 36, v[12:13]
	global_load_b32 v54, v[58:59], off offset:4
	s_wait_loadcnt 0x0
	ds_store_b32 v75, v54
.LBB178_15:                             ;   in Loop: Header=BB178_5 Depth=1
	s_or_b32 exec_lo, exec_lo, s1
	s_and_saveexec_b32 s18, vcc_lo
	s_cbranch_execz .LBB178_18
; %bb.16:                               ;   in Loop: Header=BB178_5 Depth=1
	v_or_b32_e32 v54, 4, v56
	s_delay_alu instid0(VALU_DEP_1) | instskip(SKIP_1) | instid1(SALU_CYCLE_1)
	v_cmp_gt_i32_e64 s1, s6, v54
	s_and_b32 s1, s0, s1
	s_and_b32 exec_lo, exec_lo, s1
	s_cbranch_execz .LBB178_18
; %bb.17:                               ;   in Loop: Header=BB178_5 Depth=1
	v_ashrrev_i32_e32 v57, 31, v56
	s_delay_alu instid0(VALU_DEP_1) | instskip(NEXT) | instid1(VALU_DEP_1)
	v_add_nc_u64_e32 v[56:57], v[10:11], v[56:57]
	v_mad_nc_u64_u32 v[58:59], v56, 36, s[2:3]
	s_delay_alu instid0(VALU_DEP_1)
	v_mad_i32_i24 v59, v57, 36, v59
	global_load_b32 v54, v[58:59], off offset:144
	s_wait_loadcnt 0x0
	ds_store_b32 v76, v54
.LBB178_18:                             ;   in Loop: Header=BB178_5 Depth=1
	s_or_b32 exec_lo, exec_lo, s18
	v_dual_mov_b32 v60, v74 :: v_dual_mov_b32 v61, v73
	v_dual_mov_b32 v62, v85 :: v_dual_mov_b32 v63, v83
	v_dual_mov_b32 v64, v81 :: v_dual_mov_b32 v65, v79
	v_mov_b32_e32 v66, v87
	s_mov_b32 s1, 12
	s_wait_dscnt 0x0
	s_barrier_signal -1
	s_barrier_wait -1
.LBB178_19:                             ;   Parent Loop BB178_5 Depth=1
                                        ; =>  This Inner Loop Header: Depth=2
	ds_load_2addr_b32 v[68:69], v61 offset1:3
	ds_load_2addr_b32 v[70:71], v61 offset0:4 offset1:7
	ds_load_2addr_b32 v[88:89], v61 offset0:1 offset1:2
	ds_load_b32 v67, v60
	ds_load_2addr_b32 v[90:91], v66 offset1:1
	ds_load_2addr_b32 v[92:93], v66 offset0:2 offset1:3
	v_add_nc_u32_e32 v54, 0x1080, v66
	v_add_nc_u32_e32 v98, 0x1088, v66
	;; [unrolled: 1-line block ×6, first 2 shown]
	ds_load_2addr_b32 v[94:95], v61 offset0:5 offset1:6
	ds_load_b32 v56, v62
	ds_load_b32 v57, v63
	;; [unrolled: 1-line block ×4, first 2 shown]
	ds_load_2addr_b32 v[96:97], v54 offset1:1
	ds_load_2addr_b32 v[98:99], v98 offset1:1
	ds_load_2addr_b32 v[100:101], v100 offset1:1
	ds_load_2addr_b32 v[102:103], v102 offset1:1
	ds_load_2addr_b32 v[104:105], v104 offset1:1
	ds_load_2addr_b32 v[106:107], v106 offset1:1
	v_dual_add_nc_u32 v66, 16, v66 :: v_dual_add_nc_u32 v65, 4, v65
	v_add_nc_u32_e32 v60, 4, v60
	s_add_co_i32 s1, s1, 4
	v_add_nc_u32_e32 v64, 4, v64
	s_cmp_lt_u32 s1, 28
	s_wait_dscnt 0x10
	v_lshrrev_b16 v112, 8, v68
	v_bfe_i32 v115, v68, 0, 8
	s_wait_dscnt 0xe
	v_ashrrev_i32_e32 v122, 24, v88
	v_lshrrev_b16 v54, 8, v70
	s_wait_dscnt 0xc
	v_and_b32_e32 v116, 15, v90
	v_bfe_u32 v117, v90, 8, 4
	v_bfe_i32 v112, v112, 0, 8
	v_dual_lshrrev_b32 v109, 28, v91 :: v_dual_ashrrev_i32 v113, 24, v68
	s_delay_alu instid0(VALU_DEP_4)
	v_mul_i32_i24_e32 v116, v115, v116
	s_wait_dscnt 0x5
	v_and_b32_e32 v190, 15, v96
	v_bfe_i32 v114, v68, 16, 8
	v_bfe_u32 v118, v90, 24, 4
	v_bfe_u32 v119, v90, 16, 4
	v_dual_ashrrev_i32 v120, 24, v70 :: v_dual_bitop2_b32 v130, 15, v91 bitop3:0x40
	v_bfe_i32 v121, v70, 16, 8
	v_bfe_i32 v70, v70, 0, 8
	s_wait_dscnt 0x3
	v_and_b32_e32 v166, 15, v100
	s_wait_dscnt 0x1
	v_dual_lshrrev_b32 v187, 4, v104 :: v_dual_bitop2_b32 v179, 15, v102 bitop3:0x40
	v_bfe_u32 v185, v104, 24, 4
	v_and_b32_e32 v186, 0xf0f0f0f, v104
	v_dual_lshrrev_b32 v188, 28, v104 :: v_dual_bitop2_b32 v194, 15, v104 bitop3:0x40
	v_bfe_u32 v189, v96, 8, 4
	v_bfe_u32 v191, v96, 24, 4
	;; [unrolled: 1-line block ×6, first 2 shown]
	v_lshrrev_b32_e32 v198, 4, v105
	v_mad_i32_i24 v116, v112, v117, v116
	v_mul_i32_i24_e32 v117, v115, v190
	v_bfe_u32 v108, v90, 12, 4
	v_dual_lshrrev_b32 v128, 28, v90 :: v_dual_ashrrev_i32 v139, 24, v95
	v_bfe_u32 v129, v90, 20, 4
	v_bfe_u32 v90, v90, 4, 4
	;; [unrolled: 1-line block ×9, first 2 shown]
	v_lshrrev_b32_e32 v100, 28, v100
	v_mul_i32_i24_e32 v119, v114, v119
	v_mul_i32_i24_e32 v118, v113, v118
	v_bfe_i32 v54, v54, 0, 8
	v_dual_lshrrev_b32 v202, 28, v96 :: v_dual_bitop2_b32 v204, 15, v97 bitop3:0x40
	v_bfe_u32 v203, v96, 20, 4
	v_bfe_u32 v96, v96, 4, 4
	v_mul_i32_i24_e32 v190, v114, v192
	v_mul_i32_i24_e32 v191, v113, v191
	;; [unrolled: 1-line block ×4, first 2 shown]
	v_mad_i32_i24 v117, v112, v189, v117
	v_bfe_i32 v123, v88, 16, 8
	v_bfe_i32 v124, v88, 8, 8
	;; [unrolled: 1-line block ×3, first 2 shown]
	v_dual_ashrrev_i32 v125, 24, v94 :: v_dual_ashrrev_i32 v136, 24, v89
	v_bfe_i32 v126, v94, 16, 8
	v_bfe_i32 v127, v94, 8, 8
	;; [unrolled: 1-line block ×3, first 2 shown]
	v_bfe_u32 v134, v91, 4, 4
	v_bfe_u32 v177, v101, 4, 4
	;; [unrolled: 1-line block ×3, first 2 shown]
	v_and_b32_e32 v197, 0xf0f0f0f, v105
	v_dual_lshrrev_b32 v199, 28, v105 :: v_dual_bitop2_b32 v201, 15, v105 bitop3:0x40
	v_bfe_u32 v200, v105, 16, 4
	v_bfe_u32 v208, v97, 4, 4
	v_mul_i32_i24_e32 v90, v70, v90
	v_bfe_u32 v210, v105, 20, 4
	v_bfe_u32 v105, v105, 4, 4
	v_mul_i32_i24_e32 v168, v114, v168
	v_mul_i32_i24_e32 v169, v113, v169
	v_mul_i32_i24_e32 v108, v54, v108
	v_mul_i32_i24_e32 v161, v54, v161
	v_mul_i32_i24_e32 v170, v70, v170
	v_mul_i32_i24_e32 v70, v70, v96
	v_add3_u32 v116, v116, v119, v118
	v_mad_i32_i24 v118, v112, v167, v166
	v_mad_i32_i24 v104, v194, v115, v104
	v_add3_u32 v115, v117, v190, v191
	v_bfe_u32 v131, v91, 8, 4
	v_and_b32_e32 v173, 15, v101
	v_bfe_u32 v205, v97, 8, 4
	v_mul_i32_i24_e32 v129, v121, v129
	v_mul_i32_i24_e32 v128, v120, v128
	;; [unrolled: 1-line block ×7, first 2 shown]
	v_lshrrev_b16 v195, 8, v197
	v_lshrrev_b16 v197, 8, v198
	v_mul_i32_i24_e32 v198, v88, v201
	v_mul_i32_i24_e32 v177, v94, v177
	;; [unrolled: 1-line block ×6, first 2 shown]
	v_add3_u32 v117, v118, v168, v169
	v_add3_u32 v90, v116, v108, v90
	;; [unrolled: 1-line block ×3, first 2 shown]
	v_bfe_u32 v132, v91, 24, 4
	v_bfe_u32 v133, v91, 16, 4
	;; [unrolled: 1-line block ×7, first 2 shown]
	v_lshrrev_b32_e32 v101, 28, v101
	v_bfe_u32 v206, v97, 24, 4
	v_bfe_u32 v207, v97, 16, 4
	v_mul_i32_i24_e32 v130, v88, v130
	v_mul_i32_i24_e32 v131, v124, v131
	;; [unrolled: 1-line block ×6, first 2 shown]
	v_add3_u32 v94, v104, v198, v94
	v_add3_u32 v104, v117, v171, v170
	;; [unrolled: 1-line block ×4, first 2 shown]
	v_bfe_u32 v135, v91, 12, 4
	v_bfe_u32 v209, v97, 12, 4
	v_mul_i32_i24_e32 v133, v123, v133
	v_mul_i32_i24_e32 v132, v122, v132
	;; [unrolled: 1-line block ×9, first 2 shown]
	v_add3_u32 v100, v104, v165, v100
	v_add3_u32 v90, v90, v131, v130
	;; [unrolled: 1-line block ×3, first 2 shown]
	v_bfe_u32 v91, v91, 20, 4
	v_dual_lshrrev_b32 v157, 16, v67 :: v_dual_lshrrev_b32 v162, 28, v97
	v_bfe_u32 v97, v97, 20, 4
	v_mul_i32_i24_e32 v135, v127, v135
	v_mul_i32_i24_e32 v202, v127, v209
	v_add3_u32 v100, v100, v174, v173
	v_add3_u32 v90, v90, v133, v132
	;; [unrolled: 1-line block ×3, first 2 shown]
	v_bfe_i32 v137, v89, 16, 8
	v_bfe_i32 v138, v89, 8, 8
	;; [unrolled: 1-line block ×3, first 2 shown]
	v_ashrrev_i32_e32 v142, 24, v69
	v_bfe_i32 v143, v69, 8, 8
	v_bfe_i32 v144, v69, 0, 8
	;; [unrolled: 1-line block ×3, first 2 shown]
	v_and_b32_e32 v69, 15, v92
	v_bfe_u32 v146, v92, 24, 4
	v_bfe_u32 v147, v92, 16, 4
	;; [unrolled: 1-line block ×4, first 2 shown]
	v_dual_lshrrev_b32 v150, 28, v92 :: v_dual_bitop2_b32 v152, 15, v93 bitop3:0x40
	v_bfe_u32 v151, v92, 20, 4
	v_bfe_u32 v92, v92, 8, 4
	v_mul_i32_i24_e32 v109, v125, v109
	v_mul_i32_i24_e32 v91, v126, v91
	s_wait_dscnt 0x0
	v_dual_lshrrev_b32 v221, 4, v107 :: v_dual_bitop2_b32 v216, 15, v106 bitop3:0x40
	v_dual_lshrrev_b32 v232, 28, v98 :: v_dual_bitop2_b32 v224, 15, v103 bitop3:0x40
	;; [unrolled: 1-line block ×3, first 2 shown]
	v_bfe_u32 v228, v98, 24, 4
	v_bfe_u32 v229, v98, 16, 4
	;; [unrolled: 1-line block ×6, first 2 shown]
	v_mul_i32_i24_e32 v162, v125, v162
	v_mul_i32_i24_e32 v178, v127, v178
	;; [unrolled: 1-line block ×3, first 2 shown]
	v_add3_u32 v100, v100, v175, v176
	v_add3_u32 v90, v90, v134, v135
	;; [unrolled: 1-line block ×3, first 2 shown]
	v_bfe_u32 v110, v93, 16, 4
	v_bfe_u32 v111, v93, 24, 4
	;; [unrolled: 1-line block ×3, first 2 shown]
	v_dual_ashrrev_i32 v154, 24, v71 :: v_dual_lshrrev_b32 v160, 28, v93
	v_bfe_i32 v155, v71, 16, 8
	v_bfe_u32 v158, v93, 4, 4
	v_bfe_u32 v159, v93, 12, 4
	;; [unrolled: 1-line block ×9, first 2 shown]
	v_and_b32_e32 v212, 0xf0f0f0f, v106
	v_bfe_u32 v215, v106, 16, 4
	v_bfe_u32 v223, v103, 8, 4
	;; [unrolled: 1-line block ×4, first 2 shown]
	v_dual_lshrrev_b32 v244, 28, v99 :: v_dual_bitop2_b32 v234, 15, v99 bitop3:0x40
	v_bfe_u32 v235, v99, 8, 4
	v_mul_i32_i24_e32 v236, v89, v69
	v_mul_i32_i24_e32 v92, v138, v92
	v_bfe_u32 v239, v103, 12, 4
	v_bfe_u32 v240, v103, 4, 4
	;; [unrolled: 1-line block ×4, first 2 shown]
	v_cvt_f32_f16_e64 v69, v157
	v_bfe_u32 v157, v99, 4, 4
	v_bfe_u32 v243, v99, 12, 4
	;; [unrolled: 1-line block ×3, first 2 shown]
	v_lshrrev_b16 v187, 8, v187
	v_mul_i32_i24_e32 v172, v126, v172
	v_mul_i32_i24_e32 v101, v125, v101
	;; [unrolled: 1-line block ×6, first 2 shown]
	v_add3_u32 v100, v100, v177, v178
	v_add3_u32 v90, v90, v91, v109
	v_add3_u32 v70, v70, v97, v162
	v_bfe_i32 v140, v95, 16, 8
	v_bfe_i32 v141, v95, 8, 8
	;; [unrolled: 1-line block ×3, first 2 shown]
	v_bfe_u32 v183, v102, 4, 4
	v_dual_lshrrev_b32 v213, 4, v106 :: v_dual_lshrrev_b32 v214, 28, v106
	v_bfe_u32 v218, v106, 20, 4
	v_bfe_u32 v106, v106, 4, 4
	v_bfe_u32 v219, v107, 24, 4
	v_mul_i32_i24_e32 v147, v137, v147
	v_mul_i32_i24_e32 v146, v136, v146
	v_mul_i32_i24_e32 v93, v155, v93
	v_lshrrev_b16 v186, 8, v186
	v_mul_i32_i24_e32 v105, v126, v210
	v_lshrrev_b16 v126, 8, v212
	v_mul_i32_i24_e32 v180, v138, v180
	v_mul_i32_i24_e32 v181, v137, v181
	;; [unrolled: 1-line block ×11, first 2 shown]
	v_and_b32_e32 v155, 15, v187
	v_add3_u32 v91, v100, v172, v101
	v_add3_u32 v90, v90, v92, v236
	v_add3_u32 v70, v70, v98, v89
	v_bfe_u32 v184, v102, 12, 4
	v_dual_lshrrev_b32 v217, 28, v102 :: v_dual_lshrrev_b32 v222, 28, v107
	v_bfe_u32 v102, v102, 20, 4
	v_and_b32_e32 v220, 0xf0f0f0f, v107
	v_mul_i32_i24_e32 v148, v95, v148
	v_mul_i32_i24_e32 v149, v141, v149
	;; [unrolled: 1-line block ×4, first 2 shown]
	v_lshrrev_b16 v199, 8, v213
	v_mul_i32_i24_e32 v183, v95, v183
	v_mul_i32_i24_e32 v106, v95, v106
	;; [unrolled: 1-line block ×9, first 2 shown]
	v_and_b32_e32 v119, 0xffff, v186
	v_dual_add_nc_u32 v63, 4, v63 :: v_dual_bitop2_b32 v164, 15, v197 bitop3:0x40
	v_and_b32_e32 v166, 0xffff, v195
	v_and_b32_e32 v118, 0xffff, v155
	v_add3_u32 v89, v91, v180, v179
	v_add3_u32 v90, v90, v147, v146
	;; [unrolled: 1-line block ×3, first 2 shown]
	v_mul_i32_i24_e32 v151, v140, v151
	v_mul_i32_i24_e32 v150, v139, v150
	;; [unrolled: 1-line block ×5, first 2 shown]
	v_lshrrev_b16 v209, 8, v220
	v_lshrrev_b16 v210, 8, v221
	v_mul_i32_i24_e32 v140, v140, v233
	v_mul_i32_i24_e32 v139, v139, v232
	v_dual_add_nc_u32 v62, 4, v62 :: v_dual_bitop2_b32 v167, 15, v199 bitop3:0x40
	v_and_b32_e32 v126, 0xffff, v126
	v_mad_i32_i24 v113, v185, v113, v188
	v_mul_i32_i24_e32 v112, v119, v112
	v_mul_i32_i24_e32 v119, v124, v166
	v_and_b32_e32 v108, 0xffff, v164
	v_mul_i32_i24_e32 v54, v118, v54
	v_add3_u32 v89, v89, v181, v182
	v_add3_u32 v90, v90, v148, v149
	;; [unrolled: 1-line block ×3, first 2 shown]
	v_mul_i32_i24_e32 v152, v144, v152
	v_mul_i32_i24_e32 v153, v143, v153
	;; [unrolled: 1-line block ×4, first 2 shown]
	v_dual_add_nc_u32 v61, 32, v61 :: v_dual_bitop2_b32 v186, 15, v210 bitop3:0x40
	v_and_b32_e32 v187, 0xffff, v209
	v_mad_i32_i24 v114, v193, v114, v192
	v_mul_i32_i24_e32 v116, v138, v126
	v_and_b32_e32 v124, 0xffff, v167
	v_add3_u32 v113, v113, v196, v125
	v_mul_i32_i24_e32 v108, v127, v108
	v_add3_u32 v54, v112, v54, v119
	v_add3_u32 v89, v89, v183, v184
	;; [unrolled: 1-line block ×4, first 2 shown]
	v_bfe_i32 v156, v71, 8, 8
	v_bfe_i32 v71, v71, 0, 8
	v_mul_i32_i24_e32 v110, v145, v110
	v_bfe_u32 v237, v107, 16, 4
	v_and_b32_e32 v238, 15, v107
	v_bfe_u32 v107, v107, 4, 4
	v_mul_i32_i24_e32 v163, v145, v163
	v_mul_i32_i24_e32 v211, v144, v224
	;; [unrolled: 1-line block ×4, first 2 shown]
	v_and_b32_e32 v138, 0xffff, v186
	v_add3_u32 v105, v114, v200, v105
	v_mul_i32_i24_e32 v114, v141, v124
	v_add3_u32 v88, v113, v205, v208
	v_add3_u32 v54, v54, v108, v116
	;; [unrolled: 1-line block ×5, first 2 shown]
	v_mul_i32_i24_e32 v158, v71, v158
	v_mul_i32_i24_e32 v159, v156, v159
	;; [unrolled: 1-line block ×10, first 2 shown]
	v_add3_u32 v94, v94, v203, v106
	v_add3_u32 v104, v105, v204, v207
	;; [unrolled: 1-line block ×7, first 2 shown]
	v_mul_i32_i24_e32 v160, v154, v160
	v_mul_i32_i24_e32 v220, v156, v239
	;; [unrolled: 1-line block ×4, first 2 shown]
	v_add3_u32 v91, v104, v145, v223
	v_add3_u32 v92, v94, v144, v107
	v_add3_u32 v54, v54, v96, v88
	v_add3_u32 v88, v89, v213, v214
	v_add3_u32 v89, v90, v158, v159
	v_add3_u32 v70, v70, v71, v157
	v_cvt_f32_f16_e32 v68, v67
	v_add3_u32 v54, v92, v91, v54
	v_add3_u32 v71, v88, v219, v220
	;; [unrolled: 1-line block ×4, first 2 shown]
	s_delay_alu instid0(VALU_DEP_4) | instskip(NEXT) | instid1(VALU_DEP_4)
	v_cvt_f32_i32_e32 v54, v54
	v_add3_u32 v90, v71, v103, v221
	s_delay_alu instid0(VALU_DEP_4) | instskip(NEXT) | instid1(VALU_DEP_4)
	v_cvt_f32_i32_e32 v70, v88
	v_cvt_f32_i32_e32 v71, v89
	s_delay_alu instid0(VALU_DEP_4) | instskip(NEXT) | instid1(VALU_DEP_4)
	v_pk_mul_f32 v[88:89], v[54:55], v[68:69]
	v_cvt_f32_i32_e32 v54, v90
	s_delay_alu instid0(VALU_DEP_3) | instskip(NEXT) | instid1(VALU_DEP_3)
	v_pk_mul_f32 v[68:69], v[68:69], v[70:71] op_sel_hi:[0,1]
	v_sub_f32_e32 v71, v88, v89
	s_delay_alu instid0(VALU_DEP_3) | instskip(NEXT) | instid1(VALU_DEP_3)
	v_fma_mix_f32 v70, v67, v54, -v89 op_sel_hi:[1,0,0]
	v_dual_sub_f32 v69, v69, v89 :: v_dual_sub_f32 v68, v68, v89
	s_delay_alu instid0(VALU_DEP_2) | instskip(NEXT) | instid1(VALU_DEP_2)
	v_pk_fma_f32 v[8:9], v[58:59], v[70:71], v[8:9]
	v_pk_fma_f32 v[6:7], v[56:57], v[68:69], v[6:7]
	s_cbranch_scc1 .LBB178_19
; %bb.20:                               ;   in Loop: Header=BB178_5 Depth=1
	s_barrier_signal -1
	s_barrier_wait -1
	s_branch .LBB178_4
.LBB178_21:
	v_mov_b32_e32 v6, 0
	s_delay_alu instid0(VALU_DEP_1)
	v_dual_mov_b32 v7, v6 :: v_dual_mov_b32 v8, v6
	v_mov_b32_e32 v9, v6
.LBB178_22:
	s_mul_i32 s0, s10, s7
	s_wait_loadcnt 0x0
	v_cmp_gt_i32_e32 vcc_lo, s0, v1
	s_and_saveexec_b32 s0, vcc_lo
	s_cbranch_execz .LBB178_31
; %bb.23:
	v_mul_lo_u32 v0, v1, s9
	v_add_nc_u32_e32 v1, s11, v5
	s_mov_b32 s0, exec_lo
	s_delay_alu instid0(VALU_DEP_1)
	v_cmpx_gt_u32_e64 s9, v1
	s_cbranch_execz .LBB178_25
; %bb.24:
	s_delay_alu instid0(VALU_DEP_3)
	v_add_nc_u32_e32 v2, v0, v1
	global_store_b32 v2, v6, s[12:13] scale_offset
.LBB178_25:
	s_wait_xcnt 0x0
	s_or_b32 exec_lo, exec_lo, s0
	v_add_nc_u32_e32 v2, 32, v1
	s_mov_b32 s0, exec_lo
	s_delay_alu instid0(VALU_DEP_1)
	v_cmpx_gt_u32_e64 s9, v2
	s_cbranch_execz .LBB178_27
; %bb.26:
	v_add_nc_u32_e32 v2, v0, v2
	global_store_b32 v2, v7, s[12:13] scale_offset
.LBB178_27:
	s_wait_xcnt 0x0
	s_or_b32 exec_lo, exec_lo, s0
	v_add_nc_u32_e32 v2, 64, v1
	s_mov_b32 s0, exec_lo
	s_delay_alu instid0(VALU_DEP_1)
	v_cmpx_gt_u32_e64 s9, v2
	s_cbranch_execz .LBB178_29
; %bb.28:
	v_add_nc_u32_e32 v2, v0, v2
	global_store_b32 v2, v8, s[12:13] scale_offset
.LBB178_29:
	s_wait_xcnt 0x0
	s_or_b32 exec_lo, exec_lo, s0
	v_add_nc_u32_e32 v1, 0x60, v1
	s_delay_alu instid0(VALU_DEP_1)
	v_cmp_gt_u32_e32 vcc_lo, s9, v1
	s_and_b32 exec_lo, exec_lo, vcc_lo
	s_cbranch_execz .LBB178_31
; %bb.30:
	v_add_nc_u32_e32 v0, v0, v1
	global_store_b32 v0, v9, s[12:13] scale_offset
.LBB178_31:
	s_sendmsg sendmsg(MSG_DEALLOC_VGPRS)
	s_endpgm
	.section	.rodata,"a",@progbits
	.p2align	6, 0x0
	.amdhsa_kernel _ZL8moe_q4_0IfLb1EEvPKvS1_PT_PKiS5_S5_iiiiiii
		.amdhsa_group_segment_fixed_size 22272
		.amdhsa_private_segment_fixed_size 0
		.amdhsa_kernarg_size 76
		.amdhsa_user_sgpr_count 2
		.amdhsa_user_sgpr_dispatch_ptr 0
		.amdhsa_user_sgpr_queue_ptr 0
		.amdhsa_user_sgpr_kernarg_segment_ptr 1
		.amdhsa_user_sgpr_dispatch_id 0
		.amdhsa_user_sgpr_kernarg_preload_length 0
		.amdhsa_user_sgpr_kernarg_preload_offset 0
		.amdhsa_user_sgpr_private_segment_size 0
		.amdhsa_wavefront_size32 1
		.amdhsa_uses_dynamic_stack 0
		.amdhsa_enable_private_segment 0
		.amdhsa_system_sgpr_workgroup_id_x 1
		.amdhsa_system_sgpr_workgroup_id_y 1
		.amdhsa_system_sgpr_workgroup_id_z 0
		.amdhsa_system_sgpr_workgroup_info 0
		.amdhsa_system_vgpr_workitem_id 1
		.amdhsa_next_free_vgpr 247
		.amdhsa_next_free_sgpr 21
		.amdhsa_named_barrier_count 0
		.amdhsa_reserve_vcc 1
		.amdhsa_float_round_mode_32 0
		.amdhsa_float_round_mode_16_64 0
		.amdhsa_float_denorm_mode_32 3
		.amdhsa_float_denorm_mode_16_64 3
		.amdhsa_fp16_overflow 0
		.amdhsa_memory_ordered 1
		.amdhsa_forward_progress 1
		.amdhsa_inst_pref_size 66
		.amdhsa_round_robin_scheduling 0
		.amdhsa_exception_fp_ieee_invalid_op 0
		.amdhsa_exception_fp_denorm_src 0
		.amdhsa_exception_fp_ieee_div_zero 0
		.amdhsa_exception_fp_ieee_overflow 0
		.amdhsa_exception_fp_ieee_underflow 0
		.amdhsa_exception_fp_ieee_inexact 0
		.amdhsa_exception_int_div_zero 0
	.end_amdhsa_kernel
	.section	.text._ZL8moe_q4_0IfLb1EEvPKvS1_PT_PKiS5_S5_iiiiiii,"axG",@progbits,_ZL8moe_q4_0IfLb1EEvPKvS1_PT_PKiS5_S5_iiiiiii,comdat
.Lfunc_end178:
	.size	_ZL8moe_q4_0IfLb1EEvPKvS1_PT_PKiS5_S5_iiiiiii, .Lfunc_end178-_ZL8moe_q4_0IfLb1EEvPKvS1_PT_PKiS5_S5_iiiiiii
                                        ; -- End function
	.set _ZL8moe_q4_0IfLb1EEvPKvS1_PT_PKiS5_S5_iiiiiii.num_vgpr, 247
	.set _ZL8moe_q4_0IfLb1EEvPKvS1_PT_PKiS5_S5_iiiiiii.num_agpr, 0
	.set _ZL8moe_q4_0IfLb1EEvPKvS1_PT_PKiS5_S5_iiiiiii.numbered_sgpr, 21
	.set _ZL8moe_q4_0IfLb1EEvPKvS1_PT_PKiS5_S5_iiiiiii.num_named_barrier, 0
	.set _ZL8moe_q4_0IfLb1EEvPKvS1_PT_PKiS5_S5_iiiiiii.private_seg_size, 0
	.set _ZL8moe_q4_0IfLb1EEvPKvS1_PT_PKiS5_S5_iiiiiii.uses_vcc, 1
	.set _ZL8moe_q4_0IfLb1EEvPKvS1_PT_PKiS5_S5_iiiiiii.uses_flat_scratch, 0
	.set _ZL8moe_q4_0IfLb1EEvPKvS1_PT_PKiS5_S5_iiiiiii.has_dyn_sized_stack, 0
	.set _ZL8moe_q4_0IfLb1EEvPKvS1_PT_PKiS5_S5_iiiiiii.has_recursion, 0
	.set _ZL8moe_q4_0IfLb1EEvPKvS1_PT_PKiS5_S5_iiiiiii.has_indirect_call, 0
	.section	.AMDGPU.csdata,"",@progbits
; Kernel info:
; codeLenInByte = 8444
; TotalNumSgprs: 23
; NumVgprs: 247
; ScratchSize: 0
; MemoryBound: 0
; FloatMode: 240
; IeeeMode: 1
; LDSByteSize: 22272 bytes/workgroup (compile time only)
; SGPRBlocks: 0
; VGPRBlocks: 15
; NumSGPRsForWavesPerEU: 23
; NumVGPRsForWavesPerEU: 247
; NamedBarCnt: 0
; Occupancy: 4
; WaveLimiterHint : 1
; COMPUTE_PGM_RSRC2:SCRATCH_EN: 0
; COMPUTE_PGM_RSRC2:USER_SGPR: 2
; COMPUTE_PGM_RSRC2:TRAP_HANDLER: 0
; COMPUTE_PGM_RSRC2:TGID_X_EN: 1
; COMPUTE_PGM_RSRC2:TGID_Y_EN: 1
; COMPUTE_PGM_RSRC2:TGID_Z_EN: 0
; COMPUTE_PGM_RSRC2:TIDIG_COMP_CNT: 1
	.section	.text._ZL8moe_q4_1IfLb0EEvPKvS1_PT_PKiS5_S5_iiiiiii,"axG",@progbits,_ZL8moe_q4_1IfLb0EEvPKvS1_PT_PKiS5_S5_iiiiiii,comdat
	.globl	_ZL8moe_q4_1IfLb0EEvPKvS1_PT_PKiS5_S5_iiiiiii ; -- Begin function _ZL8moe_q4_1IfLb0EEvPKvS1_PT_PKiS5_S5_iiiiiii
	.p2align	8
	.type	_ZL8moe_q4_1IfLb0EEvPKvS1_PT_PKiS5_S5_iiiiiii,@function
_ZL8moe_q4_1IfLb0EEvPKvS1_PT_PKiS5_S5_iiiiiii: ; @_ZL8moe_q4_1IfLb0EEvPKvS1_PT_PKiS5_S5_iiiiiii
; %bb.0:
	s_load_b128 s[4:7], s[0:1], 0x18
	s_bfe_u32 s2, ttmp6, 0x40010
	s_bfe_u32 s8, ttmp6, 0x40004
	s_add_co_i32 s2, s2, 1
	s_delay_alu instid0(SALU_CYCLE_1)
	s_mul_i32 s3, ttmp7, s2
	s_getreg_b32 s2, hwreg(HW_REG_IB_STS2, 6, 4)
	s_add_co_i32 s8, s8, s3
	s_cmp_eq_u32 s2, 0
	s_cselect_b32 s3, ttmp7, s8
	s_wait_kmcnt 0x0
	s_load_b32 s12, s[6:7], s3 offset:0x0 scale_offset
	s_wait_kmcnt 0x0
	s_cmp_gt_u32 s12, 0xff
	s_cbranch_scc1 .LBB179_31
; %bb.1:
	s_load_b64 s[6:7], s[0:1], 0x28
	s_lshl_b32 s3, s3, 3
	s_wait_kmcnt 0x0
	s_load_b32 s6, s[6:7], 0x0
	s_wait_kmcnt 0x0
	s_cmp_gt_u32 s3, s6
	s_cbranch_scc1 .LBB179_31
; %bb.2:
	v_bfe_u32 v1, v0, 10, 10
	s_and_b32 s13, ttmp6, 15
	v_and_b32_e32 v5, 0x3ff, v0
	s_delay_alu instid0(VALU_DEP_2) | instskip(SKIP_1) | instid1(SALU_CYCLE_1)
	v_add_nc_u32_e32 v2, s3, v1
	s_bfe_u32 s3, ttmp6, 0x4000c
	s_add_co_i32 s3, s3, 1
	s_delay_alu instid0(SALU_CYCLE_1)
	s_mul_i32 s3, ttmp9, s3
	global_load_b32 v3, v2, s[4:5] scale_offset
	s_clause 0x2
	s_load_b64 s[10:11], s[0:1], 0x30
	s_load_b64 s[8:9], s[0:1], 0x10
	s_load_b128 s[4:7], s[0:1], 0x3c
	s_add_co_i32 s13, s13, s3
	s_cmp_eq_u32 s2, 0
	s_cselect_b32 s2, ttmp9, s13
	s_mov_b32 s13, 0
	s_lshl_b32 s18, s2, 7
	s_wait_kmcnt 0x0
	s_cmp_lt_i32 s11, 32
	s_cbranch_scc1 .LBB179_21
; %bb.3:
	s_load_b128 s[0:3], s[0:1], 0x0
	s_ashr_i32 s14, s11, 31
	s_mul_i32 s16, s12, s10
	s_abs_i32 s12, s7
	s_lshr_b32 s10, s14, 27
	s_cvt_f32_u32 s20, s12
	s_add_co_i32 s19, s11, s10
	s_ashr_i32 s17, s16, 31
	s_ashr_i32 s10, s19, 5
	v_rcp_iflag_f32_e32 v10, s20
	v_mul_lo_u32 v2, s10, v1
	v_bfe_u32 v33, v0, 3, 7
	s_sub_co_i32 s20, 0, s12
	v_lshl_add_u32 v49, v1, 7, 0x5280
	v_lshl_add_u32 v51, v1, 4, 0x5680
	s_ashr_i32 s15, s5, 31
	v_lshl_add_u32 v20, v1, 2, v33
	s_lshr_b32 s14, s15, 27
	v_bfe_u32 v4, v0, 2, 8
	s_add_co_i32 s5, s5, s14
	s_wait_kmcnt 0x0
	s_add_nc_u64 s[16:17], s[0:1], s[16:17]
	v_readfirstlane_b32 s0, v10
	s_lshl_b32 s1, s10, 3
	s_delay_alu instid0(SALU_CYCLE_1) | instskip(SKIP_3) | instid1(VALU_DEP_2)
	v_dual_lshlrev_b32 v24, 2, v5 :: v_dual_add_nc_u32 v6, s1, v2
	v_dual_add_nc_u32 v22, 32, v20 :: v_dual_add_nc_u32 v30, 64, v20
	s_mul_f32 s0, s0, 0x4f7ffffe
	s_wait_loadcnt 0x0
	v_dual_sub_nc_u32 v12, 0, v3 :: v_dual_add_nc_u32 v10, s1, v6
	v_and_b32_e32 v21, 0x1ffc, v20
	s_cvt_u32_f32 s0, s0
	s_delay_alu instid0(VALU_DEP_2) | instskip(SKIP_1) | instid1(SALU_CYCLE_1)
	v_dual_lshlrev_b32 v48, 5, v22 :: v_dual_max_i32 v16, v3, v12
	v_and_b32_e32 v12, 7, v0
	s_mul_i32 s20, s20, s0
	v_dual_mov_b32 v9, 0 :: v_dual_bitop2_b32 v8, 12, v24 bitop3:0x40
	s_mul_hi_u32 s20, s0, s20
	s_delay_alu instid0(VALU_DEP_2)
	v_lshlrev_b32_e32 v26, 2, v12
	s_add_co_i32 s0, s0, s20
	v_mul_lo_u32 v14, s10, v20
	v_mul_hi_u32 v18, v16, s0
	v_lshlrev_b32_e32 v44, 5, v20
	v_add3_u32 v42, v21, v26, 0x4200
	v_and_b32_e32 v21, 0x3ffc, v30
	v_add_nc_u32_e32 v20, 0x60, v20
	v_mad_u32_u24 v7, 0x84, v1, v24
	v_and_b32_e32 v29, 0x3ffc, v22
	v_dual_add_nc_u32 v68, v51, v24 :: v_dual_add_nc_u32 v34, 32, v5
	v_add3_u32 v50, v21, v26, 0x4200
	v_and_b32_e32 v21, 0x3ffc, v20
	v_mul_lo_u32 v28, v18, s12
	v_add_nc_u32_e32 v22, 1, v18
	v_add3_u32 v46, v29, v26, 0x4200
	s_ashr_i32 s5, s5, 5
	v_add3_u32 v54, v21, v26, 0x4200
	v_add_nc_u32_e32 v36, 0x60, v5
	s_and_not1_b32 s19, s19, 31
	v_dual_add_nc_u32 v80, v42, v44 :: v_dual_lshlrev_b32 v52, 5, v30
	s_mul_i32 s14, s10, s18
	v_add_nc_u32_e32 v17, 0x1080, v7
	v_sub_nc_u32_e32 v16, v16, v28
	s_ashr_i32 s15, s14, 31
	v_add_nc_u32_e32 v19, 0x14a0, v7
	v_add_nc_u32_e32 v23, 0x18c0, v7
	;; [unrolled: 1-line block ×3, first 2 shown]
	v_subrev_nc_u32_e32 v28, s12, v16
	v_cmp_le_u32_e32 vcc_lo, s12, v16
	v_add_nc_u32_e32 v11, 0x420, v7
	v_add_nc_u32_e32 v13, 0x840, v7
	;; [unrolled: 1-line block ×3, first 2 shown]
	v_dual_cndmask_b32 v18, v18, v22 :: v_dual_add_nc_u32 v35, 0x2520, v7
	v_dual_cndmask_b32 v22, v16, v28, vcc_lo :: v_dual_bitop2_b32 v21, s7, v3 bitop3:0x14
	v_add_nc_u32_e32 v16, s1, v10
	v_add_nc_u32_e32 v37, 0x2940, v7
	s_delay_alu instid0(VALU_DEP_4) | instskip(NEXT) | instid1(VALU_DEP_4)
	v_dual_add_nc_u32 v26, 1, v18 :: v_dual_bitop2_b32 v28, 31, v0 bitop3:0x40
	v_ashrrev_i32_e32 v29, 31, v21
	v_cmp_le_u32_e32 vcc_lo, s12, v22
	v_dual_mov_b32 v21, v9 :: v_dual_lshlrev_b32 v55, 5, v20
	v_add_nc_u32_e32 v15, 0xc60, v7
	v_lshl_or_b32 v53, v28, 2, v49
	v_dual_cndmask_b32 v22, v18, v26, vcc_lo :: v_dual_add_nc_u32 v18, s1, v16
	v_and_b32_e32 v0, 0xfc, v0
	v_lshrrev_b32_e32 v70, 3, v34
	v_cmp_gt_u32_e32 vcc_lo, 4, v5
	s_delay_alu instid0(VALU_DEP_4) | instskip(SKIP_3) | instid1(VALU_DEP_4)
	v_xor_b32_e32 v1, v22, v29
	v_dual_add_nc_u32 v22, s1, v18 :: v_dual_bitop2_b32 v20, 28, v24 bitop3:0x40
	v_add_nc_u32_e32 v39, 0x2d60, v7
	v_add_nc_u32_e32 v41, 0x3180, v7
	v_sub_nc_u32_e32 v1, v1, v29
	s_delay_alu instid0(VALU_DEP_4) | instskip(SKIP_2) | instid1(VALU_DEP_4)
	v_dual_add_nc_u32 v29, 64, v5 :: v_dual_add_nc_u32 v24, s1, v22
	v_add_nc_u64_e32 v[30:31], s[2:3], v[20:21]
	v_add_nc_u32_e32 v43, 0x35a0, v7
	v_cmp_gt_i32_e64 s0, s4, v1
	v_mul_lo_u32 v28, v1, s5
	v_dual_add_nc_u32 v26, s1, v24 :: v_dual_lshlrev_b32 v1, 5, v5
	v_and_b32_e32 v21, 0x1fc, v29
	v_and_b32_e32 v29, 0x1fc, v34
	v_add_nc_u32_e32 v45, 0x39c0, v7
	v_add_nc_u32_e32 v47, 0x3de0, v7
	s_delay_alu instid0(VALU_DEP_4) | instskip(NEXT) | instid1(VALU_DEP_4)
	v_dual_add_nc_u32 v0, v1, v0 :: v_dual_add_nc_u32 v21, v1, v21
	v_add_nc_u32_e32 v56, v1, v29
	v_mul_u32_u24_e32 v69, 0x84, v5
	v_mad_u32_u24 v75, 0x84, v5, 64
	v_ashrrev_i32_e32 v29, 31, v28
	v_add_nc_u32_e32 v72, 0x4a00, v21
	v_add_nc_u32_e32 v77, 0x4a10, v21
	v_mov_b32_e32 v21, v9
	v_and_b32_e32 v20, 0x1fc, v36
	v_add_nc_u32_e32 v32, s1, v26
	v_add_nc_u32_e32 v44, s19, v14
	;; [unrolled: 1-line block ×10, first 2 shown]
	v_dual_add_nc_u32 v36, s1, v34 :: v_dual_add_nc_u32 v83, v54, v55
	v_add_nc_u32_e32 v76, 0x4e10, v20
	v_dual_mov_b32 v20, v9 :: v_dual_add_nc_u32 v79, 0x4210, v0
	s_delay_alu instid0(VALU_DEP_3) | instskip(SKIP_3) | instid1(VALU_DEP_2)
	v_dual_add_nc_u32 v38, s1, v36 :: v_dual_mov_b32 v0, v9
	v_mov_b32_e32 v1, v9
	s_mul_u64 s[14:15], s[14:15], 20
	s_mov_b32 s12, s13
	v_add_nc_u32_e32 v40, s1, v38
	s_add_nc_u64 s[14:15], s[16:17], s[14:15]
	s_and_b32 s16, vcc_lo, s0
	s_delay_alu instid0(VALU_DEP_1) | instskip(NEXT) | instid1(VALU_DEP_1)
	v_add_nc_u32_e32 v42, s1, v40
	v_dual_add_nc_u32 v46, s1, v42 :: v_dual_add_nc_u32 v82, v50, v52
	s_delay_alu instid0(VALU_DEP_1)
	v_dual_add_nc_u32 v52, s19, v48 :: v_dual_add_nc_u32 v50, s1, v46
	s_branch .LBB179_5
.LBB179_4:                              ;   in Loop: Header=BB179_5 Depth=1
	s_add_co_i32 s12, s12, 8
	s_delay_alu instid0(SALU_CYCLE_1)
	s_cmp_ge_i32 s12, s10
	s_cbranch_scc1 .LBB179_22
.LBB179_5:                              ; =>This Loop Header: Depth=1
                                        ;     Child Loop BB179_11 Depth 2
                                        ;     Child Loop BB179_19 Depth 2
	s_mul_u64 s[20:21], s[12:13], 20
	s_lshl_b32 s17, s12, 5
	s_add_nc_u64 s[20:21], s[14:15], s[20:21]
	s_cmp_lt_i32 s17, s11
	s_wait_xcnt 0x4
	v_mad_nc_u64_u32 v[54:55], v4, 20, s[20:21]
	s_wait_xcnt 0x0
	v_mad_nc_u64_u32 v[56:57], v12, 20, s[20:21]
	s_delay_alu instid0(VALU_DEP_2)
	v_mad_nc_u64_u32 v[58:59], v2, 20, v[54:55]
	v_mad_nc_u64_u32 v[60:61], v6, 20, v[54:55]
	;; [unrolled: 1-line block ×13, first 2 shown]
	v_add_nc_u64_e32 v[58:59], v[58:59], v[8:9]
	v_mad_nc_u64_u32 v[100:101], v42, 20, v[54:55]
	v_add_nc_u64_e32 v[60:61], v[60:61], v[8:9]
	v_mad_nc_u64_u32 v[102:103], v46, 20, v[54:55]
	;; [unrolled: 2-line block ×3, first 2 shown]
	v_add_nc_u64_e32 v[64:65], v[64:65], v[8:9]
	v_add_nc_u64_e32 v[66:67], v[66:67], v[8:9]
	;; [unrolled: 1-line block ×5, first 2 shown]
	s_clause 0x7
	global_load_b32 v104, v[58:59], off offset:4
	global_load_b32 v105, v[60:61], off offset:4
	;; [unrolled: 1-line block ×8, first 2 shown]
	s_wait_xcnt 0x7
	v_add_nc_u64_e32 v[58:59], v[90:91], v[8:9]
	s_wait_xcnt 0x6
	v_add_nc_u64_e32 v[60:61], v[92:93], v[8:9]
	;; [unrolled: 2-line block ×5, first 2 shown]
	s_wait_xcnt 0x0
	v_mad_nc_u64_u32 v[88:89], v14, 20, v[56:57]
	v_add_nc_u64_e32 v[84:85], v[100:101], v[8:9]
	v_mad_nc_u64_u32 v[90:91], v44, 20, v[56:57]
	v_add_nc_u64_e32 v[86:87], v[102:103], v[8:9]
	;; [unrolled: 2-line block ×3, first 2 shown]
	v_mad_nc_u64_u32 v[56:57], v52, 20, v[56:57]
	s_clause 0xb
	global_load_b32 v94, v[58:59], off offset:4
	global_load_b32 v95, v[60:61], off offset:4
	;; [unrolled: 1-line block ×8, first 2 shown]
	global_load_b32 v102, v[88:89], off
	global_load_b32 v103, v[90:91], off
	;; [unrolled: 1-line block ×4, first 2 shown]
	s_wait_loadcnt 0x13
	ds_store_b32 v7, v104
	s_wait_loadcnt 0x12
	ds_store_b32 v11, v105
	;; [unrolled: 2-line block ×20, first 2 shown]
	s_cbranch_scc0 .LBB179_4
; %bb.6:                                ;   in Loop: Header=BB179_5 Depth=1
	s_wait_xcnt 0x4
	v_add_nc_u32_e32 v54, s12, v33
	s_delay_alu instid0(VALU_DEP_1)
	v_cmp_gt_i32_e64 s1, s5, v54
	s_and_b32 s19, s0, s1
	s_wait_xcnt 0x0
	s_and_saveexec_b32 s1, s19
	s_cbranch_execz .LBB179_8
; %bb.7:                                ;   in Loop: Header=BB179_5 Depth=1
	v_add_nc_u32_e32 v54, v28, v54
	s_delay_alu instid0(VALU_DEP_1)
	v_mad_nc_i64_i32 v[54:55], v54, 36, v[30:31]
	global_load_b32 v54, v[54:55], off offset:4
	s_wait_loadcnt 0x0
	ds_store_b32 v53, v54
.LBB179_8:                              ;   in Loop: Header=BB179_5 Depth=1
	s_or_b32 exec_lo, exec_lo, s1
	v_add_nc_u32_e32 v54, s12, v5
	s_delay_alu instid0(VALU_DEP_1) | instskip(SKIP_1) | instid1(SALU_CYCLE_1)
	v_cmp_gt_i32_e64 s1, s5, v54
	s_and_b32 s19, s16, s1
	s_and_saveexec_b32 s1, s19
	s_cbranch_execz .LBB179_10
; %bb.9:                                ;   in Loop: Header=BB179_5 Depth=1
	v_add_nc_u32_e32 v55, v28, v54
	s_delay_alu instid0(VALU_DEP_1)
	v_mad_nc_i64_i32 v[56:57], v55, 36, s[2:3]
	global_load_b32 v55, v[56:57], off
	s_wait_loadcnt 0x0
	ds_store_b32 v68, v55
.LBB179_10:                             ;   in Loop: Header=BB179_5 Depth=1
	s_or_b32 exec_lo, exec_lo, s1
	v_dual_mov_b32 v55, v49 :: v_dual_mov_b32 v84, v51
	v_dual_mov_b32 v85, v74 :: v_dual_mov_b32 v86, v73
	;; [unrolled: 1-line block ×3, first 2 shown]
	v_mov_b32_e32 v89, v69
	s_mov_b32 s1, -4
	s_wait_dscnt 0x0
	s_barrier_signal -1
	s_barrier_wait -1
.LBB179_11:                             ;   Parent Loop BB179_5 Depth=1
                                        ; =>  This Inner Loop Header: Depth=2
	v_add_nc_u32_e32 v90, 0x1080, v89
	v_add_nc_u32_e32 v92, 0x1088, v89
	ds_load_2addr_b32 v[56:57], v55 offset0:4 offset1:7
	ds_load_2addr_b32 v[64:65], v89 offset1:1
	ds_load_2addr_b32 v[60:61], v55 offset1:3
	ds_load_2addr_b32 v[58:59], v89 offset0:2 offset1:3
	ds_load_2addr_b32 v[66:67], v55 offset0:1 offset1:2
	;; [unrolled: 1-line block ×3, first 2 shown]
	v_add_nc_u32_e32 v94, 0x2100, v89
	v_add_nc_u32_e32 v96, 0x2108, v89
	;; [unrolled: 1-line block ×4, first 2 shown]
	ds_load_b32 v102, v88
	ds_load_b32 v103, v84
	;; [unrolled: 1-line block ×5, first 2 shown]
	ds_load_2addr_b32 v[90:91], v90 offset1:1
	ds_load_2addr_b32 v[92:93], v92 offset1:1
	;; [unrolled: 1-line block ×6, first 2 shown]
	v_add_nc_u32_e32 v89, 16, v89
	v_dual_add_nc_u32 v85, 4, v85 :: v_dual_add_nc_u32 v84, 4, v84
	v_add_nc_u32_e32 v55, 32, v55
	s_add_co_i32 s1, s1, 4
	v_add_nc_u32_e32 v88, 4, v88
	s_cmp_lt_u32 s1, 12
	v_add_nc_u32_e32 v87, 4, v87
	s_wait_dscnt 0x10
	v_lshrrev_b16 v107, 8, v56
	s_wait_dscnt 0xf
	v_lshrrev_b32_e32 v111, 28, v65
	s_wait_dscnt 0xe
	v_lshrrev_b16 v113, 8, v60
	v_ashrrev_i32_e32 v114, 24, v60
	v_bfe_i32 v115, v60, 16, 8
	v_bfe_i32 v116, v60, 0, 8
	v_dual_lshrrev_b32 v60, 8, v64 :: v_dual_bitop2_b32 v117, 15, v64 bitop3:0x40
	s_wait_dscnt 0xc
	v_dual_ashrrev_i32 v121, 24, v66 :: v_dual_ashrrev_i32 v118, 24, v56
	s_wait_dscnt 0xb
	v_ashrrev_i32_e32 v124, 24, v62
	v_bfe_i32 v119, v56, 16, 8
	v_bfe_i32 v120, v56, 0, 8
	v_bfe_u32 v56, v64, 4, 4
	v_bfe_i32 v113, v113, 0, 8
	s_wait_dscnt 0x1
	v_bfe_u32 v175, v98, 4, 4
	v_bfe_u32 v179, v94, 4, 4
	v_bfe_i32 v107, v107, 0, 8
	v_bfe_u32 v181, v90, 4, 4
	v_bfe_u32 v182, v90, 12, 4
	;; [unrolled: 1-line block ×3, first 2 shown]
	v_and_b32_e32 v60, 15, v60
	v_dual_lshrrev_b32 v171, 28, v99 :: v_dual_bitop2_b32 v161, 15, v94 bitop3:0x40
	v_and_b32_e32 v166, 15, v90
	v_and_b32_e32 v185, 15, v95
	v_bfe_u32 v186, v95, 8, 4
	v_bfe_u32 v187, v95, 20, 4
	v_mul_i32_i24_e32 v189, v120, v56
	v_bfe_u32 v191, v95, 16, 4
	v_bfe_u32 v192, v95, 24, 4
	v_bfe_u32 v193, v95, 4, 4
	v_bfe_u32 v194, v95, 12, 4
	v_lshrrev_b32_e32 v95, 28, v95
	v_mul_i32_i24_e32 v175, v175, v120
	v_mul_i32_i24_e32 v179, v120, v179
	;; [unrolled: 1-line block ×5, first 2 shown]
	v_perm_b32 v117, v60, v117, 0x5040100
	v_perm_b32 v183, v113, v116, 0x5040100
	v_dual_ashrrev_i32 v137, 24, v63 :: v_dual_bitop2_b32 v144, 15, v58 bitop3:0x40
	v_bfe_i32 v138, v63, 16, 8
	v_dual_lshrrev_b32 v150, 28, v58 :: v_dual_bitop2_b32 v143, 15, v59 bitop3:0x40
	v_bfe_u32 v145, v58, 8, 4
	v_bfe_u32 v146, v58, 24, 4
	;; [unrolled: 1-line block ×6, first 2 shown]
	v_pk_mul_f16 v104, v103, v104
	v_pk_mul_f16 v105, v103, v105
	;; [unrolled: 1-line block ×4, first 2 shown]
	v_bfe_u32 v103, v90, 16, 4
	v_bfe_u32 v160, v90, 24, 4
	;; [unrolled: 1-line block ×5, first 2 shown]
	v_lshrrev_b32_e32 v90, 28, v90
	v_mul_i32_i24_e32 v161, v116, v161
	v_mul_i32_i24_e32 v166, v116, v166
	v_pk_mul_lo_u16 v117, v117, v183
	v_bfe_u32 v108, v64, 16, 4
	v_bfe_u32 v109, v64, 24, 4
	;; [unrolled: 1-line block ×7, first 2 shown]
	v_and_b32_e32 v177, 15, v99
	v_bfe_u32 v178, v99, 4, 4
	v_and_b32_e32 v200, 15, v96
	v_and_b32_e32 v202, 0xf0f0f0f, v99
	v_lshrrev_b32_e32 v99, 4, v99
	v_mul_i32_i24_e32 v244, v138, v58
	v_cvt_f32_f16_e32 v58, v106
	v_lshrrev_b32_e32 v106, 16, v106
	v_mad_i32_i24 v161, v113, v162, v161
	v_mad_i32_i24 v162, v113, v168, v166
	v_bfe_i32 v166, v117, 0, 16
	v_dual_ashrrev_i32 v117, 16, v117 :: v_dual_lshrrev_b32 v127, 28, v64
	v_and_b32_e32 v129, 15, v65
	v_bfe_u32 v128, v64, 20, 4
	v_bfe_u32 v64, v64, 12, 4
	;; [unrolled: 1-line block ×3, first 2 shown]
	v_mul_i32_i24_e32 v108, v115, v108
	v_mul_i32_i24_e32 v109, v114, v109
	;; [unrolled: 1-line block ×6, first 2 shown]
	v_lshrrev_b16 v99, 8, v99
	v_add_nc_u32_e32 v117, v117, v166
	v_bfe_u32 v172, v98, 20, 4
	v_lshrrev_b32_e32 v94, 28, v94
	v_mul_i32_i24_e32 v180, v107, v180
	v_mul_i32_i24_e32 v64, v107, v64
	v_and_b32_e32 v99, 15, v99
	v_add3_u32 v161, v161, v163, v164
	v_add3_u32 v103, v162, v103, v160
	;; [unrolled: 1-line block ×3, first 2 shown]
	v_bfe_i32 v122, v66, 16, 8
	v_bfe_i32 v123, v66, 8, 8
	;; [unrolled: 1-line block ×3, first 2 shown]
	v_bfe_u32 v130, v65, 8, 4
	v_dual_lshrrev_b32 v167, 28, v98 :: v_dual_bitop2_b32 v176, 15, v98 bitop3:0x40
	v_dual_lshrrev_b32 v196, 28, v91 :: v_dual_bitop2_b32 v188, 15, v91 bitop3:0x40
	v_bfe_u32 v190, v91, 8, 4
	v_mul_i32_i24_e32 v128, v119, v128
	v_mul_i32_i24_e32 v127, v118, v127
	;; [unrolled: 1-line block ×6, first 2 shown]
	v_add3_u32 v117, v161, v180, v179
	v_add3_u32 v103, v103, v181, v120
	;; [unrolled: 1-line block ×3, first 2 shown]
	v_bfe_u32 v131, v65, 24, 4
	v_bfe_u32 v132, v65, 16, 4
	;; [unrolled: 1-line block ×6, first 2 shown]
	v_and_b32_e32 v201, 0xf0f0f0f, v98
	v_lshrrev_b32_e32 v98, 4, v98
	v_mul_i32_i24_e32 v129, v66, v129
	v_mul_i32_i24_e32 v130, v123, v130
	;; [unrolled: 1-line block ×8, first 2 shown]
	v_add3_u32 v94, v117, v182, v94
	v_add3_u32 v90, v103, v119, v90
	;; [unrolled: 1-line block ×3, first 2 shown]
	v_bfe_u32 v110, v65, 20, 4
	v_bfe_i32 v125, v62, 8, 8
	v_bfe_i32 v126, v62, 0, 8
	v_bfe_u32 v133, v65, 4, 4
	v_bfe_u32 v65, v65, 12, 4
	;; [unrolled: 1-line block ×5, first 2 shown]
	v_mul_i32_i24_e32 v132, v122, v132
	v_mul_i32_i24_e32 v131, v121, v131
	;; [unrolled: 1-line block ×8, first 2 shown]
	v_add3_u32 v94, v94, v184, v118
	v_add3_u32 v66, v90, v185, v66
	;; [unrolled: 1-line block ×3, first 2 shown]
	v_bfe_i32 v62, v62, 16, 8
	v_mul_i32_i24_e32 v133, v126, v133
	v_mul_i32_i24_e32 v65, v125, v65
	;; [unrolled: 1-line block ×7, first 2 shown]
	v_add3_u32 v94, v94, v186, v188
	v_add3_u32 v66, v66, v122, v121
	;; [unrolled: 1-line block ×3, first 2 shown]
	v_dual_ashrrev_i32 v134, 24, v67 :: v_dual_ashrrev_i32 v140, 24, v61
	v_bfe_i32 v135, v67, 16, 8
	v_bfe_i32 v136, v67, 8, 8
	;; [unrolled: 1-line block ×3, first 2 shown]
	v_bfe_u32 v204, v96, 8, 4
	v_mul_i32_i24_e32 v110, v62, v110
	v_dual_lshrrev_b32 v224, 28, v97 :: v_dual_bitop2_b32 v215, 15, v92 bitop3:0x40
	v_bfe_u32 v216, v92, 8, 4
	v_mul_i32_i24_e32 v111, v124, v111
	v_mul_i32_i24_e32 v171, v124, v171
	v_mul_i32_i24_e32 v174, v62, v174
	v_mul_i32_i24_e32 v187, v62, v187
	v_mul_i32_i24_e32 v95, v124, v95
	v_mul_i32_i24_e32 v62, v62, v195
	v_mul_i32_i24_e32 v124, v124, v196
	v_add3_u32 v94, v94, v126, v191
	v_add3_u32 v66, v66, v190, v91
	;; [unrolled: 1-line block ×3, first 2 shown]
	v_bfe_u32 v205, v96, 16, 4
	v_bfe_u32 v206, v96, 24, 4
	;; [unrolled: 1-line block ×4, first 2 shown]
	s_wait_dscnt 0x0
	v_bfe_u32 v230, v100, 24, 4
	v_bfe_u32 v234, v100, 16, 4
	v_mul_i32_i24_e32 v144, v67, v144
	v_mul_i32_i24_e32 v145, v136, v145
	;; [unrolled: 1-line block ×6, first 2 shown]
	v_lshrrev_b16 v98, 8, v98
	v_add3_u32 v94, v94, v187, v95
	v_add3_u32 v62, v66, v62, v124
	;; [unrolled: 1-line block ×3, first 2 shown]
	v_bfe_i32 v139, v63, 8, 8
	v_bfe_i32 v63, v63, 0, 8
	v_bfe_u32 v207, v96, 12, 4
	v_bfe_u32 v208, v96, 4, 4
	;; [unrolled: 1-line block ×4, first 2 shown]
	v_dual_lshrrev_b32 v228, 28, v93 :: v_dual_lshrrev_b32 v232, 4, v100
	v_and_b32_e32 v231, 0xf0f0f0f, v100
	v_dual_lshrrev_b32 v233, 28, v100 :: v_dual_bitop2_b32 v235, 15, v100 bitop3:0x40
	v_bfe_u32 v236, v100, 20, 4
	v_bfe_u32 v100, v100, 4, 4
	v_mul_i32_i24_e32 v147, v135, v147
	v_mul_i32_i24_e32 v146, v134, v146
	;; [unrolled: 1-line block ×8, first 2 shown]
	v_lshrrev_b16 v201, 8, v201
	v_lshrrev_b16 v202, 8, v202
	v_and_b32_e32 v98, 15, v98
	v_add3_u32 v94, v94, v193, v192
	v_add3_u32 v62, v62, v195, v194
	;; [unrolled: 1-line block ×3, first 2 shown]
	v_dual_lshrrev_b32 v209, 28, v96 :: v_dual_bitop2_b32 v210, 15, v93 bitop3:0x40
	v_bfe_u32 v96, v96, 20, 4
	v_dual_lshrrev_b32 v221, 28, v92 :: v_dual_bitop2_b32 v212, 15, v97 bitop3:0x40
	v_bfe_u32 v92, v92, 20, 4
	v_and_b32_e32 v238, 0xf0f0f0f, v101
	v_dual_lshrrev_b32 v239, 4, v101 :: v_dual_lshrrev_b32 v240, 28, v101
	v_mul_i32_i24_e32 v148, v63, v148
	v_mul_i32_i24_e32 v149, v139, v149
	;; [unrolled: 1-line block ×5, first 2 shown]
	v_lshrrev_b16 v215, 8, v231
	v_lshrrev_b16 v218, 8, v232
	v_mul_i32_i24_e32 v207, v139, v207
	v_mul_i32_i24_e32 v220, v139, v220
	v_mad_i32_i24 v114, v165, v114, v167
	v_and_b32_e32 v165, 0xffff, v201
	v_and_b32_e32 v167, 0xffff, v202
	;; [unrolled: 1-line block ×3, first 2 shown]
	v_add3_u32 v94, v94, v196, v199
	v_add3_u32 v62, v62, v135, v134
	;; [unrolled: 1-line block ×3, first 2 shown]
	v_bfe_i32 v141, v61, 16, 8
	v_bfe_i32 v142, v61, 8, 8
	;; [unrolled: 1-line block ×3, first 2 shown]
	v_bfe_u32 v151, v59, 8, 4
	v_bfe_u32 v211, v97, 8, 4
	;; [unrolled: 1-line block ×3, first 2 shown]
	v_mul_i32_i24_e32 v150, v137, v150
	v_mul_i32_i24_e32 v96, v138, v96
	v_mul_i32_i24_e32 v204, v138, v236
	v_mul_i32_i24_e32 v92, v138, v92
	v_mul_i32_i24_e32 v138, v137, v209
	v_mul_i32_i24_e32 v205, v137, v233
	v_mul_i32_i24_e32 v137, v137, v221
	v_lshrrev_b16 v216, 8, v238
	v_lshrrev_b16 v219, 8, v239
	v_and_b32_e32 v168, 0xffff, v215
	v_and_b32_e32 v166, 15, v218
	v_mul_i32_i24_e32 v103, v165, v113
	v_mul_i32_i24_e32 v113, v123, v167
	v_and_b32_e32 v99, 0xffff, v99
	v_mul_i32_i24_e32 v66, v98, v107
	v_add3_u32 v94, v94, v203, v207
	v_add3_u32 v62, v62, v63, v220
	;; [unrolled: 1-line block ×3, first 2 shown]
	v_bfe_u32 v112, v59, 24, 4
	v_dual_ashrrev_i32 v152, 24, v57 :: v_dual_lshrrev_b32 v158, 28, v59
	v_bfe_i32 v153, v57, 16, 8
	v_bfe_i32 v154, v57, 8, 8
	;; [unrolled: 1-line block ×3, first 2 shown]
	v_bfe_u32 v156, v59, 4, 4
	v_bfe_u32 v157, v59, 12, 4
	;; [unrolled: 1-line block ×13, first 2 shown]
	v_and_b32_e32 v242, 15, v101
	v_mul_i32_i24_e32 v143, v61, v143
	v_cvt_f32_f16_e32 v57, v105
	v_cvt_f32_f16_e32 v56, v104
	v_dual_lshrrev_b32 v105, 16, v105 :: v_dual_lshrrev_b32 v104, 16, v104
	v_mul_i32_i24_e32 v151, v142, v151
	v_mul_i32_i24_e32 v206, v61, v210
	;; [unrolled: 1-line block ×5, first 2 shown]
	v_mad_i32_i24 v115, v169, v115, v172
	v_mad_i32_i24 v116, v176, v116, v175
	v_and_b32_e32 v169, 0xffff, v216
	v_dual_add_nc_u32 v86, 4, v86 :: v_dual_bitop2_b32 v109, 15, v219 bitop3:0x40
	v_add3_u32 v114, v114, v170, v171
	v_mul_i32_i24_e32 v90, v136, v168
	v_and_b32_e32 v65, 0xffff, v166
	v_mul_i32_i24_e32 v95, v125, v99
	v_add3_u32 v66, v103, v66, v113
	v_add3_u32 v94, v94, v96, v138
	;; [unrolled: 1-line block ×4, first 2 shown]
	v_bfe_u32 v222, v97, 12, 4
	v_bfe_u32 v223, v97, 4, 4
	;; [unrolled: 1-line block ×5, first 2 shown]
	v_mul_i32_i24_e32 v245, v141, v59
	v_mul_i32_i24_e32 v112, v140, v112
	;; [unrolled: 1-line block ×3, first 2 shown]
	v_cvt_f32_f16_e32 v59, v102
	v_lshrrev_b32_e32 v102, 16, v102
	v_mul_i32_i24_e32 v67, v67, v235
	v_mul_i32_i24_e32 v209, v61, v242
	v_cvt_f32_f16_e32 v61, v105
	v_cvt_f32_f16_e32 v60, v104
	v_mul_i32_i24_e32 v104, v141, v214
	v_mul_i32_i24_e32 v105, v141, v241
	;; [unrolled: 1-line block ×9, first 2 shown]
	v_add3_u32 v108, v115, v173, v174
	v_add3_u32 v115, v116, v177, v178
	v_mul_i32_i24_e32 v116, v142, v169
	v_and_b32_e32 v91, 0xffff, v109
	v_mul_i32_i24_e32 v65, v139, v65
	v_add3_u32 v98, v114, v200, v205
	v_add3_u32 v66, v66, v95, v90
	;; [unrolled: 1-line block ×5, first 2 shown]
	v_mul_i32_i24_e32 v156, v155, v156
	v_mul_i32_i24_e32 v159, v153, v159
	;; [unrolled: 1-line block ×12, first 2 shown]
	v_add3_u32 v67, v115, v67, v100
	v_add3_u32 v64, v108, v198, v204
	;; [unrolled: 1-line block ×13, first 2 shown]
	v_cvt_f32_f16_e32 v63, v102
	v_add3_u32 v64, v67, v64, v65
	v_add3_u32 v66, v66, v97, v213
	;; [unrolled: 1-line block ×4, first 2 shown]
	v_cvt_f32_f16_e32 v62, v106
	v_cvt_f32_i32_e32 v65, v64
	v_cvt_f32_i32_e32 v64, v66
	;; [unrolled: 1-line block ×4, first 2 shown]
	s_delay_alu instid0(VALU_DEP_3) | instskip(NEXT) | instid1(VALU_DEP_2)
	v_pk_fma_f32 v[58:59], v[58:59], v[64:65], v[62:63]
	v_pk_fma_f32 v[56:57], v[56:57], v[66:67], v[60:61]
	s_delay_alu instid0(VALU_DEP_2) | instskip(NEXT) | instid1(VALU_DEP_2)
	v_pk_add_f32 v[0:1], v[0:1], v[58:59]
	v_pk_add_f32 v[20:21], v[20:21], v[56:57]
	s_cbranch_scc1 .LBB179_11
; %bb.12:                               ;   in Loop: Header=BB179_5 Depth=1
	s_bitset1_b32 s17, 7
	s_delay_alu instid0(SALU_CYCLE_1)
	s_cmp_ge_i32 s17, s11
	s_barrier_signal -1
	s_barrier_wait -1
	s_cbranch_scc1 .LBB179_4
; %bb.13:                               ;   in Loop: Header=BB179_5 Depth=1
	v_add_nc_u32_e32 v55, s12, v70
	s_delay_alu instid0(VALU_DEP_1) | instskip(SKIP_1) | instid1(SALU_CYCLE_1)
	v_cmp_gt_i32_e64 s1, s5, v55
	s_and_b32 s17, s0, s1
	s_and_saveexec_b32 s1, s17
	s_cbranch_execz .LBB179_15
; %bb.14:                               ;   in Loop: Header=BB179_5 Depth=1
	v_add_nc_u32_e32 v55, v28, v55
	s_delay_alu instid0(VALU_DEP_1)
	v_mad_nc_i64_i32 v[56:57], v55, 36, v[30:31]
	global_load_b32 v55, v[56:57], off offset:4
	s_wait_loadcnt 0x0
	ds_store_b32 v53, v55
.LBB179_15:                             ;   in Loop: Header=BB179_5 Depth=1
	s_or_b32 exec_lo, exec_lo, s1
	s_and_saveexec_b32 s17, vcc_lo
	s_cbranch_execz .LBB179_18
; %bb.16:                               ;   in Loop: Header=BB179_5 Depth=1
	v_or_b32_e32 v55, 4, v54
	s_delay_alu instid0(VALU_DEP_1) | instskip(SKIP_1) | instid1(SALU_CYCLE_1)
	v_cmp_gt_i32_e64 s1, s5, v55
	s_and_b32 s1, s0, s1
	s_and_b32 exec_lo, exec_lo, s1
	s_cbranch_execz .LBB179_18
; %bb.17:                               ;   in Loop: Header=BB179_5 Depth=1
	v_ashrrev_i32_e32 v55, 31, v54
	s_delay_alu instid0(VALU_DEP_1) | instskip(NEXT) | instid1(VALU_DEP_1)
	v_add_nc_u64_e32 v[54:55], v[28:29], v[54:55]
	v_mad_nc_u64_u32 v[56:57], v54, 36, s[2:3]
	s_delay_alu instid0(VALU_DEP_1)
	v_mad_i32_i24 v57, v55, 36, v57
	global_load_b32 v54, v[56:57], off offset:144
	s_wait_loadcnt 0x0
	ds_store_b32 v68, v54
.LBB179_18:                             ;   in Loop: Header=BB179_5 Depth=1
	s_or_b32 exec_lo, exec_lo, s17
	v_dual_mov_b32 v54, v51 :: v_dual_mov_b32 v55, v49
	v_dual_mov_b32 v56, v79 :: v_dual_mov_b32 v57, v78
	;; [unrolled: 1-line block ×3, first 2 shown]
	v_mov_b32_e32 v60, v75
	s_mov_b32 s1, 12
	s_wait_dscnt 0x0
	s_barrier_signal -1
	s_barrier_wait -1
.LBB179_19:                             ;   Parent Loop BB179_5 Depth=1
                                        ; =>  This Inner Loop Header: Depth=2
	ds_load_2addr_b32 v[62:63], v55 offset1:3
	ds_load_2addr_b32 v[64:65], v55 offset0:4 offset1:7
	ds_load_2addr_b32 v[66:67], v55 offset0:1 offset1:2
	ds_load_b32 v61, v54
	ds_load_b32 v102, v56
	ds_load_2addr_b32 v[84:85], v60 offset1:1
	ds_load_2addr_b32 v[86:87], v60 offset0:2 offset1:3
	v_add_nc_u32_e32 v90, 0x1080, v60
	v_add_nc_u32_e32 v92, 0x1088, v60
	;; [unrolled: 1-line block ×6, first 2 shown]
	ds_load_b32 v103, v57
	ds_load_b32 v104, v58
	ds_load_2addr_b32 v[88:89], v55 offset0:5 offset1:6
	ds_load_b32 v105, v59
	ds_load_2addr_b32 v[90:91], v90 offset1:1
	ds_load_2addr_b32 v[92:93], v92 offset1:1
	;; [unrolled: 1-line block ×6, first 2 shown]
	v_dual_add_nc_u32 v60, 16, v60 :: v_dual_add_nc_u32 v58, 4, v58
	v_dual_add_nc_u32 v57, 4, v57 :: v_dual_add_nc_u32 v56, 4, v56
	v_add_nc_u32_e32 v55, 32, v55
	s_wait_dscnt 0x10
	v_lshrrev_b16 v112, 8, v62
	v_ashrrev_i32_e32 v113, 24, v62
	v_bfe_i32 v114, v62, 16, 8
	v_bfe_i32 v115, v62, 0, 8
	s_wait_dscnt 0xb
	v_dual_ashrrev_i32 v139, 24, v63 :: v_dual_lshrrev_b32 v62, 8, v84
	v_dual_ashrrev_i32 v120, 24, v66 :: v_dual_bitop2_b32 v116, 15, v84 bitop3:0x40
	v_bfe_i32 v112, v112, 0, 8
	v_bfe_i32 v140, v63, 16, 8
	s_delay_alu instid0(VALU_DEP_4)
	v_and_b32_e32 v184, 15, v62
	s_wait_dscnt 0x9
	v_pk_mul_f16 v103, v61, v103
	v_bfe_i32 v141, v63, 8, 8
	v_bfe_i32 v142, v63, 0, 8
	v_dual_lshrrev_b32 v149, 28, v86 :: v_dual_bitop2_b32 v63, 15, v87 bitop3:0x40
	s_wait_dscnt 0x1
	v_dual_lshrrev_b32 v182, 4, v98 :: v_dual_lshrrev_b32 v183, 28, v98
	v_dual_lshrrev_b32 v193, 28, v99 :: v_dual_bitop2_b32 v186, 15, v90 bitop3:0x40
	v_lshrrev_b32_e32 v192, 4, v99
	v_perm_b32 v116, v184, v116, 0x5040100
	v_perm_b32 v184, v112, v115, 0x5040100
	v_lshrrev_b16 v106, 8, v64
	v_lshrrev_b32_e32 v110, 28, v85
	v_pk_mul_f16 v104, v61, v104
	v_dual_ashrrev_i32 v117, 24, v64 :: v_dual_bitop2_b32 v128, 15, v85 bitop3:0x40
	v_bfe_i32 v118, v64, 16, 8
	v_bfe_i32 v119, v64, 0, 8
	;; [unrolled: 1-line block ×5, first 2 shown]
	v_dual_ashrrev_i32 v123, 24, v88 :: v_dual_ashrrev_i32 v133, 24, v67
	v_bfe_i32 v125, v88, 0, 8
	v_bfe_u32 v64, v84, 4, 4
	v_dual_lshrrev_b32 v126, 28, v84 :: v_dual_ashrrev_i32 v136, 24, v89
	v_bfe_u32 v127, v84, 20, 4
	v_bfe_u32 v132, v85, 4, 4
	v_bfe_i32 v134, v67, 16, 8
	v_bfe_i32 v135, v67, 8, 8
	;; [unrolled: 1-line block ×6, first 2 shown]
	v_dual_ashrrev_i32 v151, 24, v65 :: v_dual_bitop2_b32 v143, 15, v86 bitop3:0x40
	v_lshrrev_b32_e32 v156, 28, v87
	v_bfe_i32 v152, v65, 16, 8
	v_bfe_i32 v153, v65, 8, 8
	;; [unrolled: 1-line block ×3, first 2 shown]
	v_bfe_u32 v65, v87, 4, 4
	v_dual_lshrrev_b32 v160, 28, v91 :: v_dual_bitop2_b32 v163, 15, v94 bitop3:0x40
	v_bfe_u32 v162, v94, 20, 4
	v_bfe_u32 v164, v94, 8, 4
	;; [unrolled: 1-line block ×6, first 2 shown]
	v_dual_lshrrev_b32 v94, 28, v94 :: v_dual_bitop2_b32 v170, 15, v95 bitop3:0x40
	v_bfe_u32 v169, v95, 20, 4
	v_bfe_u32 v171, v95, 8, 4
	v_bfe_u32 v172, v95, 16, 4
	v_bfe_u32 v173, v95, 24, 4
	v_bfe_u32 v174, v95, 4, 4
	v_bfe_u32 v175, v95, 12, 4
	v_dual_lshrrev_b32 v95, 28, v95 :: v_dual_bitop2_b32 v176, 15, v96 bitop3:0x40
	v_bfe_u32 v180, v98, 24, 4
	v_and_b32_e32 v181, 0xf0f0f0f, v98
	v_bfe_u32 v185, v90, 8, 4
	v_bfe_u32 v187, v98, 16, 4
	s_wait_dscnt 0x0
	v_dual_lshrrev_b32 v208, 4, v100 :: v_dual_bitop2_b32 v188, 15, v98 bitop3:0x40
	v_bfe_u32 v189, v98, 20, 4
	v_bfe_u32 v98, v98, 4, 4
	;; [unrolled: 1-line block ×3, first 2 shown]
	v_and_b32_e32 v191, 0xf0f0f0f, v99
	v_bfe_u32 v194, v99, 16, 4
	v_dual_lshrrev_b32 v197, 28, v90 :: v_dual_bitop2_b32 v195, 15, v99 bitop3:0x40
	v_bfe_u32 v196, v90, 4, 4
	v_bfe_u32 v198, v90, 20, 4
	v_dual_lshrrev_b32 v209, 28, v100 :: v_dual_bitop2_b32 v199, 15, v91 bitop3:0x40
	v_bfe_u32 v200, v91, 8, 4
	v_bfe_u32 v203, v91, 4, 4
	;; [unrolled: 1-line block ×4, first 2 shown]
	v_dual_lshrrev_b32 v218, 4, v101 :: v_dual_bitop2_b32 v211, 15, v100 bitop3:0x40
	v_bfe_u32 v213, v96, 4, 4
	v_dual_lshrrev_b32 v214, 28, v96 :: v_dual_lshrrev_b32 v219, 28, v101
	v_bfe_u32 v216, v101, 24, 4
	v_and_b32_e32 v217, 0xf0f0f0f, v101
	v_mul_i32_i24_e32 v221, v142, v63
	v_bfe_u32 v222, v97, 8, 4
	v_dual_lshrrev_b32 v241, 28, v93 :: v_dual_bitop2_b32 v226, 15, v92 bitop3:0x40
	v_bfe_u32 v234, v101, 16, 4
	v_and_b32_e32 v235, 15, v101
	v_bfe_u32 v237, v97, 4, 4
	v_bfe_u32 v239, v93, 4, 4
	v_cvt_f32_f16_e32 v63, v103
	v_lshrrev_b32_e32 v103, 16, v103
	v_bfe_u32 v244, v101, 20, 4
	v_bfe_u32 v101, v101, 4, 4
	v_lshrrev_b16 v182, 8, v182
	v_mul_i32_i24_e32 v186, v115, v186
	v_pk_mul_lo_u16 v116, v116, v184
	v_bfe_u32 v107, v84, 16, 4
	v_bfe_u32 v108, v84, 24, 4
	v_pk_mul_f16 v102, v61, v102
	v_pk_mul_f16 v61, v61, v105
	v_bfe_u32 v105, v90, 16, 4
	v_bfe_u32 v158, v90, 24, 4
	v_mul_i32_i24_e32 v204, v119, v64
	v_mul_i32_i24_e32 v127, v118, v127
	;; [unrolled: 1-line block ×7, first 2 shown]
	v_cvt_f32_f16_e32 v64, v104
	v_lshrrev_b32_e32 v104, 16, v104
	v_lshrrev_b16 v181, 8, v181
	v_mul_i32_i24_e32 v163, v115, v163
	v_mul_i32_i24_e32 v167, v119, v167
	v_mul_i32_i24_e32 v162, v118, v162
	v_mul_i32_i24_e32 v94, v117, v94
	v_mul_i32_i24_e32 v98, v98, v119
	v_mul_i32_i24_e32 v189, v189, v118
	v_mul_i32_i24_e32 v183, v183, v117
	v_lshrrev_b16 v192, 8, v192
	v_mul_i32_i24_e32 v174, v125, v174
	v_mul_i32_i24_e32 v95, v123, v95
	;; [unrolled: 1-line block ×10, first 2 shown]
	v_lshrrev_b16 v199, 8, v208
	v_mul_i32_i24_e32 v176, v67, v176
	v_mul_i32_i24_e32 v200, v67, v211
	;; [unrolled: 1-line block ×7, first 2 shown]
	v_cvt_f32_f16_e32 v67, v103
	v_mul_i32_i24_e32 v103, v154, v239
	v_mul_i32_i24_e32 v101, v154, v101
	v_and_b32_e32 v154, 15, v182
	v_mad_i32_i24 v182, v112, v185, v186
	v_bfe_i32 v185, v116, 0, 16
	v_dual_ashrrev_i32 v116, 16, v116 :: v_dual_bitop2_b32 v186, 15, v199 bitop3:0x40
	v_bfe_u32 v84, v84, 12, 4
	v_mul_i32_i24_e32 v107, v114, v107
	v_mul_i32_i24_e32 v108, v113, v108
	v_bfe_i32 v106, v106, 0, 8
	v_bfe_u32 v90, v90, 12, 4
	v_mul_i32_i24_e32 v105, v114, v105
	v_mul_i32_i24_e32 v158, v113, v158
	;; [unrolled: 1-line block ×4, first 2 shown]
	v_mad_i32_i24 v163, v112, v164, v163
	v_and_b32_e32 v164, 0xffff, v181
	v_dual_add_nc_u32 v116, v116, v185 :: v_dual_bitop2_b32 v181, 15, v192 bitop3:0x40
	v_mul_i32_i24_e32 v168, v106, v168
	v_mul_i32_i24_e32 v84, v106, v84
	;; [unrolled: 1-line block ×3, first 2 shown]
	v_mad_i32_i24 v98, v188, v115, v98
	v_add3_u32 v115, v163, v165, v166
	v_add3_u32 v105, v182, v105, v158
	;; [unrolled: 1-line block ×3, first 2 shown]
	v_bfe_u32 v129, v85, 8, 4
	v_mad_i32_i24 v108, v180, v113, v183
	v_add3_u32 v113, v115, v168, v167
	v_add3_u32 v90, v105, v90, v119
	;; [unrolled: 1-line block ×3, first 2 shown]
	v_bfe_u32 v130, v85, 24, 4
	v_bfe_u32 v131, v85, 16, 4
	;; [unrolled: 1-line block ×4, first 2 shown]
	v_mul_i32_i24_e32 v128, v66, v128
	v_mul_i32_i24_e32 v129, v122, v129
	v_mul_i32_i24_e32 v170, v66, v170
	v_mul_i32_i24_e32 v171, v122, v171
	v_add3_u32 v94, v113, v162, v94
	v_add3_u32 v90, v90, v118, v117
	;; [unrolled: 1-line block ×3, first 2 shown]
	v_bfe_u32 v109, v85, 20, 4
	v_bfe_i32 v124, v88, 8, 8
	v_bfe_u32 v85, v85, 12, 4
	v_bfe_u32 v159, v91, 20, 4
	;; [unrolled: 1-line block ×3, first 2 shown]
	v_mul_i32_i24_e32 v131, v121, v131
	v_mul_i32_i24_e32 v130, v120, v130
	;; [unrolled: 1-line block ×8, first 2 shown]
	v_add3_u32 v94, v94, v171, v170
	v_add3_u32 v90, v90, v197, v196
	;; [unrolled: 1-line block ×3, first 2 shown]
	v_bfe_i32 v88, v88, 16, 8
	v_mul_i32_i24_e32 v85, v124, v85
	v_mul_i32_i24_e32 v175, v124, v175
	;; [unrolled: 1-line block ×3, first 2 shown]
	v_add3_u32 v94, v94, v172, v173
	v_add3_u32 v90, v90, v121, v120
	;; [unrolled: 1-line block ×3, first 2 shown]
	v_bfe_u32 v144, v86, 8, 4
	v_bfe_u32 v177, v96, 8, 4
	v_mul_i32_i24_e32 v109, v88, v109
	v_bfe_u32 v227, v92, 8, 4
	v_mul_i32_i24_e32 v159, v88, v159
	v_mul_i32_i24_e32 v169, v88, v169
	v_add3_u32 v94, v94, v174, v175
	v_add3_u32 v90, v90, v198, v91
	;; [unrolled: 1-line block ×3, first 2 shown]
	v_bfe_u32 v145, v86, 24, 4
	v_bfe_u32 v146, v86, 16, 4
	;; [unrolled: 1-line block ×8, first 2 shown]
	v_mul_i32_i24_e32 v144, v135, v144
	v_mul_i32_i24_e32 v177, v135, v177
	;; [unrolled: 1-line block ×3, first 2 shown]
	v_lshrrev_b16 v209, 8, v217
	v_mul_i32_i24_e32 v217, v135, v227
	v_add3_u32 v91, v94, v169, v95
	v_add3_u32 v90, v90, v159, v123
	v_add3_u32 v84, v84, v109, v110
	v_bfe_u32 v147, v86, 4, 4
	v_bfe_u32 v148, v86, 12, 4
	v_and_b32_e32 v207, 0xf0f0f0f, v100
	v_bfe_u32 v212, v96, 12, 4
	v_bfe_u32 v215, v100, 20, 4
	;; [unrolled: 1-line block ×5, first 2 shown]
	v_mul_i32_i24_e32 v146, v134, v146
	v_mul_i32_i24_e32 v145, v133, v145
	v_lshrrev_b16 v191, 8, v191
	v_mul_i32_i24_e32 v178, v134, v178
	v_mul_i32_i24_e32 v179, v133, v179
	;; [unrolled: 1-line block ×6, first 2 shown]
	v_add3_u32 v91, v91, v177, v176
	v_add3_u32 v90, v90, v217, v160
	;; [unrolled: 1-line block ×3, first 2 shown]
	v_bfe_u32 v86, v86, 20, 4
	v_bfe_u32 v96, v96, 20, 4
	v_dual_lshrrev_b32 v232, 28, v92 :: v_dual_bitop2_b32 v220, 15, v93 bitop3:0x40
	v_bfe_u32 v92, v92, 20, 4
	v_mul_i32_i24_e32 v147, v89, v147
	v_mul_i32_i24_e32 v148, v138, v148
	;; [unrolled: 1-line block ×3, first 2 shown]
	v_lshrrev_b16 v193, 8, v207
	v_mul_i32_i24_e32 v205, v138, v212
	v_mul_i32_i24_e32 v100, v89, v100
	v_lshrrev_b16 v210, 8, v218
	v_mul_i32_i24_e32 v89, v89, v230
	v_mul_i32_i24_e32 v218, v138, v231
	v_and_b32_e32 v184, 0xffff, v191
	v_and_b32_e32 v105, 0xffff, v154
	v_add3_u32 v91, v91, v178, v179
	v_add3_u32 v90, v90, v134, v133
	;; [unrolled: 1-line block ×3, first 2 shown]
	v_bfe_u32 v150, v87, 8, 4
	v_dual_lshrrev_b32 v238, 28, v97 :: v_dual_bitop2_b32 v223, 15, v97 bitop3:0x40
	v_bfe_u32 v233, v93, 8, 4
	v_mul_i32_i24_e32 v86, v137, v86
	v_mul_i32_i24_e32 v149, v136, v149
	;; [unrolled: 1-line block ×6, first 2 shown]
	v_and_b32_e32 v191, 0xffff, v193
	v_mad_i32_i24 v114, v187, v114, v189
	v_mul_i32_i24_e32 v112, v164, v112
	v_mul_i32_i24_e32 v107, v122, v184
	v_and_b32_e32 v113, 0xffff, v181
	v_mul_i32_i24_e32 v94, v105, v106
	v_add3_u32 v91, v91, v203, v205
	v_add3_u32 v89, v90, v89, v218
	;; [unrolled: 1-line block ×3, first 2 shown]
	v_bfe_u32 v111, v87, 24, 4
	v_bfe_u32 v155, v87, 12, 4
	;; [unrolled: 1-line block ×7, first 2 shown]
	v_mul_i32_i24_e32 v150, v141, v150
	v_bfe_u32 v236, v97, 12, 4
	v_bfe_u32 v97, v97, 20, 4
	;; [unrolled: 1-line block ×4, first 2 shown]
	v_cvt_f32_f16_e32 v62, v102
	v_lshrrev_b32_e32 v102, 16, v102
	v_bfe_u32 v93, v93, 16, 4
	v_mul_i32_i24_e32 v195, v66, v195
	v_mul_i32_i24_e32 v207, v137, v215
	v_mul_i32_i24_e32 v211, v142, v220
	v_mul_i32_i24_e32 v212, v142, v223
	v_mul_i32_i24_e32 v137, v141, v233
	v_dual_add_nc_u32 v59, 4, v59 :: v_dual_bitop2_b32 v192, 15, v210 bitop3:0x40
	v_and_b32_e32 v193, 0xffff, v209
	v_mul_i32_i24_e32 v115, v135, v191
	v_and_b32_e32 v116, 0xffff, v186
	v_add3_u32 v108, v108, v190, v125
	v_add3_u32 v85, v114, v194, v88
	v_mul_i32_i24_e32 v95, v124, v113
	v_add3_u32 v90, v112, v94, v107
	v_add3_u32 v91, v91, v96, v206
	v_add3_u32 v89, v89, v92, v136
	v_add3_u32 v84, v84, v86, v149
	v_mul_i32_i24_e32 v87, v140, v87
	v_mul_i32_i24_e32 v111, v139, v111
	;; [unrolled: 1-line block ×4, first 2 shown]
	v_cvt_f32_f16_e32 v65, v61
	v_lshrrev_b32_e32 v61, 16, v61
	v_mul_i32_i24_e32 v214, v140, v225
	v_mul_i32_i24_e32 v215, v139, v224
	;; [unrolled: 1-line block ×6, first 2 shown]
	v_cvt_f32_f16_e32 v66, v102
	v_mul_i32_i24_e32 v93, v140, v93
	v_mul_i32_i24_e32 v102, v139, v161
	;; [unrolled: 1-line block ×7, first 2 shown]
	v_and_b32_e32 v118, 0xffff, v192
	v_add3_u32 v88, v98, v195, v99
	v_mul_i32_i24_e32 v98, v138, v116
	v_add3_u32 v105, v108, v202, v208
	v_add3_u32 v85, v85, v201, v207
	;; [unrolled: 1-line block ×6, first 2 shown]
	v_mul_i32_i24_e32 v155, v153, v155
	v_mul_i32_i24_e32 v142, v142, v235
	;; [unrolled: 1-line block ×5, first 2 shown]
	v_add3_u32 v88, v88, v200, v100
	v_add3_u32 v86, v105, v216, v151
	;; [unrolled: 1-line block ×12, first 2 shown]
	v_cvt_f32_f16_e32 v85, v61
	v_add3_u32 v61, v87, v92, v86
	v_add3_u32 v86, v88, v97, v224
	;; [unrolled: 1-line block ×4, first 2 shown]
	v_cvt_f32_f16_e32 v84, v104
	v_cvt_f32_i32_e32 v87, v61
	v_cvt_f32_i32_e32 v86, v86
	;; [unrolled: 1-line block ×4, first 2 shown]
	v_add_nc_u32_e32 v54, 4, v54
	s_add_co_i32 s1, s1, 4
	v_pk_fma_f32 v[64:65], v[64:65], v[86:87], v[84:85]
	s_cmp_lt_u32 s1, 28
	v_pk_fma_f32 v[62:63], v[62:63], v[88:89], v[66:67]
	s_delay_alu instid0(VALU_DEP_2) | instskip(NEXT) | instid1(VALU_DEP_2)
	v_pk_add_f32 v[0:1], v[0:1], v[64:65]
	v_pk_add_f32 v[20:21], v[20:21], v[62:63]
	s_cbranch_scc1 .LBB179_19
; %bb.20:                               ;   in Loop: Header=BB179_5 Depth=1
	s_barrier_signal -1
	s_barrier_wait -1
	s_branch .LBB179_4
.LBB179_21:
	v_mov_b32_e32 v20, 0
	s_delay_alu instid0(VALU_DEP_1)
	v_dual_mov_b32 v21, v20 :: v_dual_mov_b32 v0, v20
	v_mov_b32_e32 v1, v20
.LBB179_22:
	s_mul_i32 s0, s7, s4
	s_wait_loadcnt 0x0
	v_cmp_gt_i32_e32 vcc_lo, s0, v3
	s_wait_xcnt 0x0
	s_and_saveexec_b32 s0, vcc_lo
	s_cbranch_execz .LBB179_31
; %bb.23:
	v_mul_lo_u32 v2, v3, s6
	v_add_nc_u32_e32 v3, s18, v5
	s_mov_b32 s0, exec_lo
	s_delay_alu instid0(VALU_DEP_1)
	v_cmpx_gt_u32_e64 s6, v3
	s_cbranch_execz .LBB179_25
; %bb.24:
	s_delay_alu instid0(VALU_DEP_3)
	v_add_nc_u32_e32 v4, v2, v3
	global_store_b32 v4, v20, s[8:9] scale_offset
.LBB179_25:
	s_wait_xcnt 0x0
	s_or_b32 exec_lo, exec_lo, s0
	v_add_nc_u32_e32 v4, 32, v3
	s_mov_b32 s0, exec_lo
	s_delay_alu instid0(VALU_DEP_1)
	v_cmpx_gt_u32_e64 s6, v4
	s_cbranch_execz .LBB179_27
; %bb.26:
	v_add_nc_u32_e32 v4, v2, v4
	global_store_b32 v4, v21, s[8:9] scale_offset
.LBB179_27:
	s_wait_xcnt 0x0
	s_or_b32 exec_lo, exec_lo, s0
	v_add_nc_u32_e32 v4, 64, v3
	s_mov_b32 s0, exec_lo
	s_delay_alu instid0(VALU_DEP_1)
	v_cmpx_gt_u32_e64 s6, v4
	s_cbranch_execz .LBB179_29
; %bb.28:
	v_add_nc_u32_e32 v4, v2, v4
	global_store_b32 v4, v0, s[8:9] scale_offset
.LBB179_29:
	s_wait_xcnt 0x0
	s_or_b32 exec_lo, exec_lo, s0
	v_add_nc_u32_e32 v0, 0x60, v3
	s_delay_alu instid0(VALU_DEP_1)
	v_cmp_gt_u32_e32 vcc_lo, s6, v0
	s_and_b32 exec_lo, exec_lo, vcc_lo
	s_cbranch_execz .LBB179_31
; %bb.30:
	v_add_nc_u32_e32 v0, v2, v0
	global_store_b32 v0, v1, s[8:9] scale_offset
.LBB179_31:
	s_sendmsg sendmsg(MSG_DEALLOC_VGPRS)
	s_endpgm
	.section	.rodata,"a",@progbits
	.p2align	6, 0x0
	.amdhsa_kernel _ZL8moe_q4_1IfLb0EEvPKvS1_PT_PKiS5_S5_iiiiiii
		.amdhsa_group_segment_fixed_size 22272
		.amdhsa_private_segment_fixed_size 0
		.amdhsa_kernarg_size 76
		.amdhsa_user_sgpr_count 2
		.amdhsa_user_sgpr_dispatch_ptr 0
		.amdhsa_user_sgpr_queue_ptr 0
		.amdhsa_user_sgpr_kernarg_segment_ptr 1
		.amdhsa_user_sgpr_dispatch_id 0
		.amdhsa_user_sgpr_kernarg_preload_length 0
		.amdhsa_user_sgpr_kernarg_preload_offset 0
		.amdhsa_user_sgpr_private_segment_size 0
		.amdhsa_wavefront_size32 1
		.amdhsa_uses_dynamic_stack 0
		.amdhsa_enable_private_segment 0
		.amdhsa_system_sgpr_workgroup_id_x 1
		.amdhsa_system_sgpr_workgroup_id_y 1
		.amdhsa_system_sgpr_workgroup_id_z 0
		.amdhsa_system_sgpr_workgroup_info 0
		.amdhsa_system_vgpr_workitem_id 1
		.amdhsa_next_free_vgpr 246
		.amdhsa_next_free_sgpr 22
		.amdhsa_named_barrier_count 0
		.amdhsa_reserve_vcc 1
		.amdhsa_float_round_mode_32 0
		.amdhsa_float_round_mode_16_64 0
		.amdhsa_float_denorm_mode_32 3
		.amdhsa_float_denorm_mode_16_64 3
		.amdhsa_fp16_overflow 0
		.amdhsa_memory_ordered 1
		.amdhsa_forward_progress 1
		.amdhsa_inst_pref_size 65
		.amdhsa_round_robin_scheduling 0
		.amdhsa_exception_fp_ieee_invalid_op 0
		.amdhsa_exception_fp_denorm_src 0
		.amdhsa_exception_fp_ieee_div_zero 0
		.amdhsa_exception_fp_ieee_overflow 0
		.amdhsa_exception_fp_ieee_underflow 0
		.amdhsa_exception_fp_ieee_inexact 0
		.amdhsa_exception_int_div_zero 0
	.end_amdhsa_kernel
	.section	.text._ZL8moe_q4_1IfLb0EEvPKvS1_PT_PKiS5_S5_iiiiiii,"axG",@progbits,_ZL8moe_q4_1IfLb0EEvPKvS1_PT_PKiS5_S5_iiiiiii,comdat
.Lfunc_end179:
	.size	_ZL8moe_q4_1IfLb0EEvPKvS1_PT_PKiS5_S5_iiiiiii, .Lfunc_end179-_ZL8moe_q4_1IfLb0EEvPKvS1_PT_PKiS5_S5_iiiiiii
                                        ; -- End function
	.set _ZL8moe_q4_1IfLb0EEvPKvS1_PT_PKiS5_S5_iiiiiii.num_vgpr, 246
	.set _ZL8moe_q4_1IfLb0EEvPKvS1_PT_PKiS5_S5_iiiiiii.num_agpr, 0
	.set _ZL8moe_q4_1IfLb0EEvPKvS1_PT_PKiS5_S5_iiiiiii.numbered_sgpr, 22
	.set _ZL8moe_q4_1IfLb0EEvPKvS1_PT_PKiS5_S5_iiiiiii.num_named_barrier, 0
	.set _ZL8moe_q4_1IfLb0EEvPKvS1_PT_PKiS5_S5_iiiiiii.private_seg_size, 0
	.set _ZL8moe_q4_1IfLb0EEvPKvS1_PT_PKiS5_S5_iiiiiii.uses_vcc, 1
	.set _ZL8moe_q4_1IfLb0EEvPKvS1_PT_PKiS5_S5_iiiiiii.uses_flat_scratch, 0
	.set _ZL8moe_q4_1IfLb0EEvPKvS1_PT_PKiS5_S5_iiiiiii.has_dyn_sized_stack, 0
	.set _ZL8moe_q4_1IfLb0EEvPKvS1_PT_PKiS5_S5_iiiiiii.has_recursion, 0
	.set _ZL8moe_q4_1IfLb0EEvPKvS1_PT_PKiS5_S5_iiiiiii.has_indirect_call, 0
	.section	.AMDGPU.csdata,"",@progbits
; Kernel info:
; codeLenInByte = 8260
; TotalNumSgprs: 24
; NumVgprs: 246
; ScratchSize: 0
; MemoryBound: 0
; FloatMode: 240
; IeeeMode: 1
; LDSByteSize: 22272 bytes/workgroup (compile time only)
; SGPRBlocks: 0
; VGPRBlocks: 15
; NumSGPRsForWavesPerEU: 24
; NumVGPRsForWavesPerEU: 246
; NamedBarCnt: 0
; Occupancy: 4
; WaveLimiterHint : 1
; COMPUTE_PGM_RSRC2:SCRATCH_EN: 0
; COMPUTE_PGM_RSRC2:USER_SGPR: 2
; COMPUTE_PGM_RSRC2:TRAP_HANDLER: 0
; COMPUTE_PGM_RSRC2:TGID_X_EN: 1
; COMPUTE_PGM_RSRC2:TGID_Y_EN: 1
; COMPUTE_PGM_RSRC2:TGID_Z_EN: 0
; COMPUTE_PGM_RSRC2:TIDIG_COMP_CNT: 1
	.section	.text._ZL8moe_q4_1IfLb1EEvPKvS1_PT_PKiS5_S5_iiiiiii,"axG",@progbits,_ZL8moe_q4_1IfLb1EEvPKvS1_PT_PKiS5_S5_iiiiiii,comdat
	.globl	_ZL8moe_q4_1IfLb1EEvPKvS1_PT_PKiS5_S5_iiiiiii ; -- Begin function _ZL8moe_q4_1IfLb1EEvPKvS1_PT_PKiS5_S5_iiiiiii
	.p2align	8
	.type	_ZL8moe_q4_1IfLb1EEvPKvS1_PT_PKiS5_S5_iiiiiii,@function
_ZL8moe_q4_1IfLb1EEvPKvS1_PT_PKiS5_S5_iiiiiii: ; @_ZL8moe_q4_1IfLb1EEvPKvS1_PT_PKiS5_S5_iiiiiii
; %bb.0:
	s_load_b128 s[4:7], s[0:1], 0x18
	s_bfe_u32 s2, ttmp6, 0x40010
	s_bfe_u32 s8, ttmp6, 0x40004
	s_add_co_i32 s2, s2, 1
	s_delay_alu instid0(SALU_CYCLE_1)
	s_mul_i32 s3, ttmp7, s2
	s_getreg_b32 s2, hwreg(HW_REG_IB_STS2, 6, 4)
	s_add_co_i32 s8, s8, s3
	s_cmp_eq_u32 s2, 0
	s_cselect_b32 s3, ttmp7, s8
	s_wait_kmcnt 0x0
	s_load_b32 s14, s[6:7], s3 offset:0x0 scale_offset
	s_wait_kmcnt 0x0
	s_cmp_gt_u32 s14, 0xff
	s_cbranch_scc1 .LBB180_31
; %bb.1:
	s_load_b64 s[6:7], s[0:1], 0x28
	s_lshl_b32 s3, s3, 3
	s_wait_kmcnt 0x0
	s_load_b32 s6, s[6:7], 0x0
	s_wait_kmcnt 0x0
	s_cmp_gt_u32 s3, s6
	s_cbranch_scc1 .LBB180_31
; %bb.2:
	v_bfe_u32 v6, v0, 10, 10
	s_and_b32 s11, ttmp6, 15
	v_and_b32_e32 v5, 0x3ff, v0
	s_mov_b32 s15, 0
	s_delay_alu instid0(VALU_DEP_2) | instskip(SKIP_1) | instid1(SALU_CYCLE_1)
	v_add_nc_u32_e32 v1, s3, v6
	s_bfe_u32 s3, ttmp6, 0x4000c
	s_add_co_i32 s3, s3, 1
	s_delay_alu instid0(SALU_CYCLE_1)
	s_mul_i32 s3, ttmp9, s3
	global_load_b32 v1, v1, s[4:5] scale_offset
	s_wait_xcnt 0x0
	s_clause 0x2
	s_load_b128 s[4:7], s[0:1], 0x30
	s_load_b64 s[12:13], s[0:1], 0x10
	s_load_b96 s[8:10], s[0:1], 0x40
	s_add_co_i32 s11, s11, s3
	s_cmp_eq_u32 s2, 0
	s_cselect_b32 s2, ttmp9, s11
	s_delay_alu instid0(SALU_CYCLE_1)
	s_lshl_b32 s11, s2, 7
	s_wait_kmcnt 0x0
	s_cmp_lt_i32 s5, 32
	s_cbranch_scc1 .LBB180_21
; %bb.3:
	s_load_b128 s[0:3], s[0:1], 0x0
	s_mul_i32 s18, s14, s4
	v_bfe_u32 v31, v0, 3, 7
	s_ashr_i32 s19, s18, 31
	s_not_b32 s4, s11
	v_dual_mov_b32 v3, 0 :: v_dual_lshlrev_b32 v7, 2, v5
	s_delay_alu instid0(VALU_DEP_2)
	v_lshl_add_u32 v8, v6, 2, v31
	s_add_co_i32 s20, s6, s4
	s_ashr_i32 s16, s5, 31
	s_ashr_i32 s17, s8, 31
	s_lshr_b32 s14, s16, 27
	v_min_i32_e32 v46, s20, v8
	s_lshr_b32 s16, s17, 27
	v_min_i32_e32 v14, s20, v6
	v_and_b32_e32 v2, 12, v7
	s_add_co_i32 s6, s8, s16
	v_ashrrev_i32_e32 v9, 31, v46
	v_add_min_i32_e64 v48, v8, 32, s20
	v_add_min_i32_e64 v50, v8, 64, s20
	s_wait_kmcnt 0x0
	s_add_nc_u64 s[18:19], s[0:1], s[18:19]
	s_abs_i32 s0, s10
	v_add_min_i32_e64 v52, 0x60, v8, s20
	s_cvt_f32_u32 s1, s0
	s_sub_co_i32 s8, 0, s0
	v_and_b32_e32 v57, 0xfc, v0
	s_ashr_i32 s6, s6, 5
	v_rcp_iflag_f32_e32 v4, s1
	v_add_min_i32_e64 v16, v6, 8, s20
	v_add_min_i32_e64 v18, v6, 16, s20
	;; [unrolled: 1-line block ×6, first 2 shown]
	v_readfirstlane_b32 s1, v4
	s_wait_loadcnt 0x0
	v_sub_nc_u32_e32 v4, 0, v1
	v_add_min_i32_e64 v28, v6, 56, s20
	v_add_min_i32_e64 v30, v6, 64, s20
	;; [unrolled: 1-line block ×3, first 2 shown]
	s_mul_f32 s1, s1, 0x4f7ffffe
	v_dual_lshrrev_b32 v4, 30, v9 :: v_dual_max_i32 v10, v1, v4
	v_add_min_i32_e64 v34, 0x50, v6, s20
	s_delay_alu instid0(SALU_CYCLE_1)
	s_cvt_u32_f32 s1, s1
	v_lshlrev_b32_e32 v51, 5, v46
	v_add_min_i32_e64 v36, 0x58, v6, s20
	v_add_nc_u32_e32 v11, v46, v4
	s_mul_i32 s8, s8, s1
	v_ashrrev_i32_e32 v12, 31, v48
	s_mul_hi_u32 s8, s1, s8
	v_and_b32_e32 v4, 7, v0
	s_add_co_i32 s1, s1, s8
	v_and_b32_e32 v11, -4, v11
	v_mul_hi_u32 v9, v10, s1
	s_delay_alu instid0(VALU_DEP_3)
	v_dual_ashrrev_i32 v8, 31, v50 :: v_dual_lshlrev_b32 v49, 2, v4
	v_add_min_i32_e64 v38, 0x60, v6, s20
	v_add_min_i32_e64 v40, 0x68, v6, s20
	;; [unrolled: 1-line block ×4, first 2 shown]
	v_add3_u32 v11, v11, v49, 0x4200
	s_add_co_i32 s4, s5, s14
	v_mad_u32 v15, 0x84, v14, v7
	s_ashr_i32 s4, s4, 5
	v_mul_lo_u32 v13, v9, s0
	v_lshrrev_b32_e32 v12, 30, v12
	v_mad_u32 v17, 0x84, v16, v7
	v_mad_u32 v19, 0x84, v18, v7
	;; [unrolled: 1-line block ×9, first 2 shown]
	v_dual_sub_nc_u32 v10, v10, v13 :: v_dual_add_nc_u32 v12, v48, v12
	v_add_nc_u32_e32 v13, 1, v9
	v_mad_u32 v37, 0x84, v34, v7
	v_mad_u32 v39, 0x84, v36, v7
	s_delay_alu instid0(VALU_DEP_4)
	v_subrev_nc_u32_e32 v54, s0, v10
	v_cmp_le_u32_e32 vcc_lo, s0, v10
	v_ashrrev_i32_e32 v53, 31, v52
	v_and_b32_e32 v12, -4, v12
	v_mad_u32 v41, 0x84, v38, v7
	v_mad_u32 v43, 0x84, v40, v7
	v_dual_cndmask_b32 v10, v10, v54, vcc_lo :: v_dual_lshrrev_b32 v8, 30, v8
	v_cndmask_b32_e32 v9, v9, v13, vcc_lo
	v_lshrrev_b32_e32 v13, 30, v53
	v_xor_b32_e32 v53, s10, v1
	s_delay_alu instid0(VALU_DEP_4) | instskip(NEXT) | instid1(VALU_DEP_4)
	v_cmp_le_u32_e32 vcc_lo, s0, v10
	v_dual_add_nc_u32 v8, v50, v8 :: v_dual_add_nc_u32 v54, 1, v9
	v_add3_u32 v12, v12, v49, 0x4200
	s_delay_alu instid0(VALU_DEP_4) | instskip(SKIP_1) | instid1(VALU_DEP_4)
	v_ashrrev_i32_e32 v53, 31, v53
	v_mad_u32 v45, 0x84, v42, v7
	v_dual_add_nc_u32 v13, v52, v13 :: v_dual_bitop2_b32 v8, -4, v8 bitop3:0x40
	v_cndmask_b32_e32 v9, v9, v54, vcc_lo
	v_lshlrev_b32_e32 v58, 5, v50
	v_mad_u32 v47, 0x84, v44, v7
	s_delay_alu instid0(VALU_DEP_4) | instskip(SKIP_4) | instid1(VALU_DEP_4)
	v_add3_u32 v8, v8, v49, 0x4200
	v_dual_lshlrev_b32 v13, 5, v48 :: v_dual_bitop2_b32 v10, -4, v13 bitop3:0x40
	v_xor_b32_e32 v9, v9, v53
	v_add_nc_u32_e32 v55, 32, v5
	v_mul_lo_u32 v14, v14, s4
	v_add3_u32 v54, v10, v49, 0x4200
	v_add_nc_u32_e32 v10, 0x60, v5
	v_add_nc_u32_e32 v49, 64, v5
	v_mul_lo_u32 v16, v16, s4
	v_mul_lo_u32 v18, v18, s4
	v_mul_lo_u32 v20, v20, s4
	v_and_b32_e32 v10, 0x1fc, v10
	v_sub_nc_u32_e32 v56, v9, v53
	v_lshlrev_b32_e32 v9, 5, v5
	v_and_b32_e32 v49, 0x1fc, v49
	v_and_b32_e32 v53, 0x1fc, v55
	v_mul_lo_u32 v22, v22, s4
	v_mul_lo_u32 v24, v24, s4
	;; [unrolled: 1-line block ×3, first 2 shown]
	v_dual_add_nc_u32 v60, v9, v49 :: v_dual_add_nc_u32 v49, v11, v51
	v_dual_add_nc_u32 v59, v9, v10 :: v_dual_bitop2_b32 v11, 31, v0 bitop3:0x40
	v_dual_add_nc_u32 v61, v9, v53 :: v_dual_add_nc_u32 v53, v8, v58
	v_dual_add_nc_u32 v57, v9, v57 :: v_dual_bitop2_b32 v8, 28, v7 bitop3:0x40
	v_lshlrev_b32_e32 v9, 5, v52
	v_mul_lo_u32 v10, v56, s6
	v_mul_lo_u32 v28, v28, s4
	;; [unrolled: 1-line block ×4, first 2 shown]
	v_dual_add_nc_u32 v68, v54, v9 :: v_dual_lshrrev_b32 v73, 3, v55
	v_mov_b32_e32 v9, v3
	v_mul_lo_u32 v34, v34, s4
	v_mul_lo_u32 v36, v36, s4
	;; [unrolled: 1-line block ×10, first 2 shown]
	v_lshl_add_u32 v69, v6, 7, 0x5280
	v_lshl_add_u32 v70, v6, 4, 0x5680
	s_mul_i32 s16, s4, s11
	v_add_nc_u32_e32 v51, v12, v13
	v_cmp_gt_u32_e32 vcc_lo, 4, v5
	v_cmp_gt_i32_e64 s0, s7, v56
	v_add_nc_u64_e32 v[12:13], s[2:3], v[8:9]
	s_ashr_i32 s17, s16, 31
	v_lshl_or_b32 v71, v11, 2, v69
	v_dual_add_nc_u32 v72, v70, v7 :: v_dual_ashrrev_i32 v11, 31, v10
	v_mov_b32_e32 v6, v3
	v_dual_mov_b32 v7, v3 :: v_dual_add_nc_u32 v74, 0x4e00, v59
	v_dual_mov_b32 v8, v3 :: v_dual_add_nc_u32 v75, 0x4e10, v59
	v_add_nc_u32_e32 v76, 0x4a00, v60
	v_add_nc_u32_e32 v77, 0x4a10, v60
	;; [unrolled: 1-line block ×6, first 2 shown]
	v_bfe_u32 v0, v0, 2, 8
	v_mul_u32_u24_e32 v82, 0x84, v5
	v_mad_u32_u24 v83, 0x84, v5, 64
	s_mul_u64 s[16:17], s[16:17], 20
	s_and_b32 s8, vcc_lo, s0
	s_add_nc_u64 s[16:17], s[18:19], s[16:17]
	s_mov_b32 s14, s15
	s_branch .LBB180_5
.LBB180_4:                              ;   in Loop: Header=BB180_5 Depth=1
	s_add_co_i32 s14, s14, 8
	s_delay_alu instid0(SALU_CYCLE_1)
	s_cmp_ge_i32 s14, s4
	s_cbranch_scc1 .LBB180_22
.LBB180_5:                              ; =>This Loop Header: Depth=1
                                        ;     Child Loop BB180_11 Depth 2
                                        ;     Child Loop BB180_19 Depth 2
	s_mul_u64 s[18:19], s[14:15], 20
	s_delay_alu instid0(SALU_CYCLE_1)
	s_add_nc_u64 s[18:19], s[16:17], s[18:19]
	s_wait_xcnt 0x4
	v_mad_nc_u64_u32 v[54:55], v0, 20, s[18:19]
	s_wait_xcnt 0x0
	v_mad_nc_u64_u32 v[56:57], v4, 20, s[18:19]
	s_lshl_b32 s18, s14, 5
	s_delay_alu instid0(SALU_CYCLE_1) | instskip(NEXT) | instid1(VALU_DEP_2)
	s_cmp_lt_i32 s18, s5
	v_mad_nc_i64_i32 v[58:59], v14, 20, v[54:55]
	v_mad_nc_i64_i32 v[60:61], v16, 20, v[54:55]
	v_mad_nc_i64_i32 v[62:63], v18, 20, v[54:55]
	v_mad_nc_i64_i32 v[64:65], v20, 20, v[54:55]
	v_mad_nc_i64_i32 v[66:67], v22, 20, v[54:55]
	v_mad_nc_i64_i32 v[84:85], v24, 20, v[54:55]
	v_mad_nc_i64_i32 v[86:87], v26, 20, v[54:55]
	v_mad_nc_i64_i32 v[88:89], v28, 20, v[54:55]
	v_mad_nc_i64_i32 v[90:91], v30, 20, v[54:55]
	v_mad_nc_i64_i32 v[92:93], v32, 20, v[54:55]
	v_mad_nc_i64_i32 v[94:95], v34, 20, v[54:55]
	v_mad_nc_i64_i32 v[96:97], v36, 20, v[54:55]
	v_mad_nc_i64_i32 v[98:99], v38, 20, v[54:55]
	v_add_nc_u64_e32 v[58:59], v[58:59], v[2:3]
	v_mad_nc_i64_i32 v[100:101], v40, 20, v[54:55]
	v_add_nc_u64_e32 v[60:61], v[60:61], v[2:3]
	v_mad_nc_i64_i32 v[102:103], v42, 20, v[54:55]
	;; [unrolled: 2-line block ×3, first 2 shown]
	v_add_nc_u64_e32 v[64:65], v[64:65], v[2:3]
	v_add_nc_u64_e32 v[66:67], v[66:67], v[2:3]
	;; [unrolled: 1-line block ×5, first 2 shown]
	s_clause 0x7
	global_load_b32 v104, v[58:59], off offset:4
	global_load_b32 v105, v[60:61], off offset:4
	;; [unrolled: 1-line block ×8, first 2 shown]
	s_wait_xcnt 0x7
	v_add_nc_u64_e32 v[58:59], v[90:91], v[2:3]
	s_wait_xcnt 0x6
	v_add_nc_u64_e32 v[60:61], v[92:93], v[2:3]
	;; [unrolled: 2-line block ×5, first 2 shown]
	s_wait_xcnt 0x0
	v_mad_nc_i64_i32 v[88:89], v46, 20, v[56:57]
	v_add_nc_u64_e32 v[84:85], v[100:101], v[2:3]
	v_mad_nc_i64_i32 v[90:91], v48, 20, v[56:57]
	v_add_nc_u64_e32 v[86:87], v[102:103], v[2:3]
	;; [unrolled: 2-line block ×3, first 2 shown]
	v_mad_nc_i64_i32 v[56:57], v52, 20, v[56:57]
	s_clause 0xb
	global_load_b32 v94, v[58:59], off offset:4
	global_load_b32 v95, v[60:61], off offset:4
	;; [unrolled: 1-line block ×8, first 2 shown]
	global_load_b32 v102, v[88:89], off
	global_load_b32 v103, v[90:91], off
	;; [unrolled: 1-line block ×4, first 2 shown]
	s_wait_loadcnt 0x13
	ds_store_b32 v15, v104
	s_wait_loadcnt 0x12
	ds_store_b32 v17, v105
	;; [unrolled: 2-line block ×20, first 2 shown]
	s_cbranch_scc0 .LBB180_4
; %bb.6:                                ;   in Loop: Header=BB180_5 Depth=1
	s_wait_xcnt 0x4
	v_add_nc_u32_e32 v54, s14, v31
	s_delay_alu instid0(VALU_DEP_1)
	v_cmp_gt_i32_e64 s1, s6, v54
	s_and_b32 s19, s0, s1
	s_wait_xcnt 0x0
	s_and_saveexec_b32 s1, s19
	s_cbranch_execz .LBB180_8
; %bb.7:                                ;   in Loop: Header=BB180_5 Depth=1
	v_add_nc_u32_e32 v54, v10, v54
	s_delay_alu instid0(VALU_DEP_1)
	v_mad_nc_i64_i32 v[54:55], v54, 36, v[12:13]
	global_load_b32 v54, v[54:55], off offset:4
	s_wait_loadcnt 0x0
	ds_store_b32 v71, v54
.LBB180_8:                              ;   in Loop: Header=BB180_5 Depth=1
	s_or_b32 exec_lo, exec_lo, s1
	v_add_nc_u32_e32 v54, s14, v5
	s_delay_alu instid0(VALU_DEP_1) | instskip(SKIP_1) | instid1(SALU_CYCLE_1)
	v_cmp_gt_i32_e64 s1, s6, v54
	s_and_b32 s19, s8, s1
	s_and_saveexec_b32 s1, s19
	s_cbranch_execz .LBB180_10
; %bb.9:                                ;   in Loop: Header=BB180_5 Depth=1
	v_add_nc_u32_e32 v55, v10, v54
	s_delay_alu instid0(VALU_DEP_1)
	v_mad_nc_i64_i32 v[56:57], v55, 36, s[2:3]
	global_load_b32 v55, v[56:57], off
	s_wait_loadcnt 0x0
	ds_store_b32 v72, v55
.LBB180_10:                             ;   in Loop: Header=BB180_5 Depth=1
	s_or_b32 exec_lo, exec_lo, s1
	v_dual_mov_b32 v55, v69 :: v_dual_mov_b32 v84, v70
	v_dual_mov_b32 v85, v80 :: v_dual_mov_b32 v86, v78
	;; [unrolled: 1-line block ×3, first 2 shown]
	v_mov_b32_e32 v89, v82
	s_mov_b32 s1, -4
	s_wait_dscnt 0x0
	s_barrier_signal -1
	s_barrier_wait -1
.LBB180_11:                             ;   Parent Loop BB180_5 Depth=1
                                        ; =>  This Inner Loop Header: Depth=2
	v_add_nc_u32_e32 v90, 0x1080, v89
	v_add_nc_u32_e32 v92, 0x1088, v89
	ds_load_2addr_b32 v[56:57], v55 offset0:4 offset1:7
	ds_load_2addr_b32 v[64:65], v89 offset1:1
	ds_load_2addr_b32 v[60:61], v55 offset1:3
	ds_load_2addr_b32 v[58:59], v89 offset0:2 offset1:3
	ds_load_2addr_b32 v[66:67], v55 offset0:1 offset1:2
	;; [unrolled: 1-line block ×3, first 2 shown]
	v_add_nc_u32_e32 v94, 0x2100, v89
	v_add_nc_u32_e32 v96, 0x2108, v89
	;; [unrolled: 1-line block ×4, first 2 shown]
	ds_load_b32 v102, v88
	ds_load_b32 v103, v84
	;; [unrolled: 1-line block ×5, first 2 shown]
	ds_load_2addr_b32 v[90:91], v90 offset1:1
	ds_load_2addr_b32 v[92:93], v92 offset1:1
	;; [unrolled: 1-line block ×6, first 2 shown]
	v_add_nc_u32_e32 v89, 16, v89
	v_dual_add_nc_u32 v85, 4, v85 :: v_dual_add_nc_u32 v84, 4, v84
	v_add_nc_u32_e32 v55, 32, v55
	s_add_co_i32 s1, s1, 4
	v_add_nc_u32_e32 v88, 4, v88
	s_cmp_lt_u32 s1, 12
	v_add_nc_u32_e32 v87, 4, v87
	s_wait_dscnt 0x10
	v_lshrrev_b16 v107, 8, v56
	s_wait_dscnt 0xf
	v_lshrrev_b32_e32 v111, 28, v65
	s_wait_dscnt 0xe
	v_lshrrev_b16 v113, 8, v60
	v_ashrrev_i32_e32 v114, 24, v60
	v_bfe_i32 v115, v60, 16, 8
	v_bfe_i32 v116, v60, 0, 8
	v_dual_lshrrev_b32 v60, 8, v64 :: v_dual_bitop2_b32 v117, 15, v64 bitop3:0x40
	s_wait_dscnt 0xc
	v_dual_ashrrev_i32 v121, 24, v66 :: v_dual_ashrrev_i32 v118, 24, v56
	s_wait_dscnt 0xb
	v_ashrrev_i32_e32 v124, 24, v62
	v_bfe_i32 v119, v56, 16, 8
	v_bfe_i32 v120, v56, 0, 8
	v_bfe_u32 v56, v64, 4, 4
	v_bfe_i32 v113, v113, 0, 8
	s_wait_dscnt 0x1
	v_bfe_u32 v175, v98, 4, 4
	v_bfe_u32 v179, v94, 4, 4
	v_bfe_i32 v107, v107, 0, 8
	v_bfe_u32 v181, v90, 4, 4
	v_bfe_u32 v182, v90, 12, 4
	;; [unrolled: 1-line block ×3, first 2 shown]
	v_and_b32_e32 v60, 15, v60
	v_dual_lshrrev_b32 v171, 28, v99 :: v_dual_bitop2_b32 v161, 15, v94 bitop3:0x40
	v_and_b32_e32 v166, 15, v90
	v_and_b32_e32 v185, 15, v95
	v_bfe_u32 v186, v95, 8, 4
	v_bfe_u32 v187, v95, 20, 4
	v_mul_i32_i24_e32 v189, v120, v56
	v_bfe_u32 v191, v95, 16, 4
	v_bfe_u32 v192, v95, 24, 4
	;; [unrolled: 1-line block ×4, first 2 shown]
	v_lshrrev_b32_e32 v95, 28, v95
	v_mul_i32_i24_e32 v175, v175, v120
	v_mul_i32_i24_e32 v179, v120, v179
	v_mul_i32_i24_e32 v120, v120, v181
	v_mul_i32_i24_e32 v181, v107, v182
	v_mul_i32_i24_e32 v182, v119, v183
	v_perm_b32 v117, v60, v117, 0x5040100
	v_perm_b32 v183, v113, v116, 0x5040100
	v_dual_ashrrev_i32 v137, 24, v63 :: v_dual_bitop2_b32 v144, 15, v58 bitop3:0x40
	v_bfe_i32 v138, v63, 16, 8
	v_dual_lshrrev_b32 v150, 28, v58 :: v_dual_bitop2_b32 v143, 15, v59 bitop3:0x40
	v_bfe_u32 v145, v58, 8, 4
	v_bfe_u32 v146, v58, 24, 4
	;; [unrolled: 1-line block ×6, first 2 shown]
	v_pk_mul_f16 v104, v103, v104
	v_pk_mul_f16 v105, v103, v105
	;; [unrolled: 1-line block ×4, first 2 shown]
	v_bfe_u32 v103, v90, 16, 4
	v_bfe_u32 v160, v90, 24, 4
	;; [unrolled: 1-line block ×5, first 2 shown]
	v_lshrrev_b32_e32 v90, 28, v90
	v_mul_i32_i24_e32 v161, v116, v161
	v_mul_i32_i24_e32 v166, v116, v166
	v_pk_mul_lo_u16 v117, v117, v183
	v_bfe_u32 v108, v64, 16, 4
	v_bfe_u32 v109, v64, 24, 4
	;; [unrolled: 1-line block ×7, first 2 shown]
	v_and_b32_e32 v177, 15, v99
	v_bfe_u32 v178, v99, 4, 4
	v_and_b32_e32 v200, 15, v96
	v_and_b32_e32 v202, 0xf0f0f0f, v99
	v_lshrrev_b32_e32 v99, 4, v99
	v_mul_i32_i24_e32 v244, v138, v58
	v_cvt_f32_f16_e32 v58, v106
	v_lshrrev_b32_e32 v106, 16, v106
	v_mad_i32_i24 v161, v113, v162, v161
	v_mad_i32_i24 v162, v113, v168, v166
	v_bfe_i32 v166, v117, 0, 16
	v_dual_ashrrev_i32 v117, 16, v117 :: v_dual_lshrrev_b32 v127, 28, v64
	v_and_b32_e32 v129, 15, v65
	v_bfe_u32 v128, v64, 20, 4
	v_bfe_u32 v64, v64, 12, 4
	;; [unrolled: 1-line block ×3, first 2 shown]
	v_mul_i32_i24_e32 v108, v115, v108
	v_mul_i32_i24_e32 v109, v114, v109
	v_mul_i32_i24_e32 v163, v115, v163
	v_mul_i32_i24_e32 v164, v114, v164
	v_mul_i32_i24_e32 v103, v115, v103
	v_mul_i32_i24_e32 v160, v114, v160
	v_lshrrev_b16 v99, 8, v99
	v_add_nc_u32_e32 v117, v117, v166
	v_bfe_u32 v172, v98, 20, 4
	v_lshrrev_b32_e32 v94, 28, v94
	v_mul_i32_i24_e32 v180, v107, v180
	v_mul_i32_i24_e32 v64, v107, v64
	v_and_b32_e32 v99, 15, v99
	v_add3_u32 v161, v161, v163, v164
	v_add3_u32 v103, v162, v103, v160
	;; [unrolled: 1-line block ×3, first 2 shown]
	v_bfe_i32 v122, v66, 16, 8
	v_bfe_i32 v123, v66, 8, 8
	;; [unrolled: 1-line block ×3, first 2 shown]
	v_bfe_u32 v130, v65, 8, 4
	v_dual_lshrrev_b32 v167, 28, v98 :: v_dual_bitop2_b32 v176, 15, v98 bitop3:0x40
	v_dual_lshrrev_b32 v196, 28, v91 :: v_dual_bitop2_b32 v188, 15, v91 bitop3:0x40
	v_bfe_u32 v190, v91, 8, 4
	v_mul_i32_i24_e32 v128, v119, v128
	v_mul_i32_i24_e32 v127, v118, v127
	;; [unrolled: 1-line block ×6, first 2 shown]
	v_add3_u32 v117, v161, v180, v179
	v_add3_u32 v103, v103, v181, v120
	;; [unrolled: 1-line block ×3, first 2 shown]
	v_bfe_u32 v131, v65, 24, 4
	v_bfe_u32 v132, v65, 16, 4
	;; [unrolled: 1-line block ×6, first 2 shown]
	v_and_b32_e32 v201, 0xf0f0f0f, v98
	v_lshrrev_b32_e32 v98, 4, v98
	v_mul_i32_i24_e32 v129, v66, v129
	v_mul_i32_i24_e32 v130, v123, v130
	;; [unrolled: 1-line block ×8, first 2 shown]
	v_add3_u32 v94, v117, v182, v94
	v_add3_u32 v90, v103, v119, v90
	;; [unrolled: 1-line block ×3, first 2 shown]
	v_bfe_u32 v110, v65, 20, 4
	v_bfe_i32 v125, v62, 8, 8
	v_bfe_i32 v126, v62, 0, 8
	v_bfe_u32 v133, v65, 4, 4
	v_bfe_u32 v65, v65, 12, 4
	;; [unrolled: 1-line block ×5, first 2 shown]
	v_mul_i32_i24_e32 v132, v122, v132
	v_mul_i32_i24_e32 v131, v121, v131
	;; [unrolled: 1-line block ×8, first 2 shown]
	v_add3_u32 v94, v94, v184, v118
	v_add3_u32 v66, v90, v185, v66
	;; [unrolled: 1-line block ×3, first 2 shown]
	v_bfe_i32 v62, v62, 16, 8
	v_mul_i32_i24_e32 v133, v126, v133
	v_mul_i32_i24_e32 v65, v125, v65
	;; [unrolled: 1-line block ×7, first 2 shown]
	v_add3_u32 v94, v94, v186, v188
	v_add3_u32 v66, v66, v122, v121
	;; [unrolled: 1-line block ×3, first 2 shown]
	v_dual_ashrrev_i32 v134, 24, v67 :: v_dual_ashrrev_i32 v140, 24, v61
	v_bfe_i32 v135, v67, 16, 8
	v_bfe_i32 v136, v67, 8, 8
	;; [unrolled: 1-line block ×3, first 2 shown]
	v_bfe_u32 v204, v96, 8, 4
	v_mul_i32_i24_e32 v110, v62, v110
	v_dual_lshrrev_b32 v224, 28, v97 :: v_dual_bitop2_b32 v215, 15, v92 bitop3:0x40
	v_bfe_u32 v216, v92, 8, 4
	v_mul_i32_i24_e32 v111, v124, v111
	v_mul_i32_i24_e32 v171, v124, v171
	;; [unrolled: 1-line block ×7, first 2 shown]
	v_add3_u32 v94, v94, v126, v191
	v_add3_u32 v66, v66, v190, v91
	;; [unrolled: 1-line block ×3, first 2 shown]
	v_bfe_u32 v205, v96, 16, 4
	v_bfe_u32 v206, v96, 24, 4
	;; [unrolled: 1-line block ×4, first 2 shown]
	s_wait_dscnt 0x0
	v_bfe_u32 v230, v100, 24, 4
	v_bfe_u32 v234, v100, 16, 4
	v_mul_i32_i24_e32 v144, v67, v144
	v_mul_i32_i24_e32 v145, v136, v145
	;; [unrolled: 1-line block ×6, first 2 shown]
	v_lshrrev_b16 v98, 8, v98
	v_add3_u32 v94, v94, v187, v95
	v_add3_u32 v62, v66, v62, v124
	;; [unrolled: 1-line block ×3, first 2 shown]
	v_bfe_i32 v139, v63, 8, 8
	v_bfe_i32 v63, v63, 0, 8
	v_bfe_u32 v207, v96, 12, 4
	v_bfe_u32 v208, v96, 4, 4
	;; [unrolled: 1-line block ×4, first 2 shown]
	v_dual_lshrrev_b32 v228, 28, v93 :: v_dual_lshrrev_b32 v232, 4, v100
	v_and_b32_e32 v231, 0xf0f0f0f, v100
	v_dual_lshrrev_b32 v233, 28, v100 :: v_dual_bitop2_b32 v235, 15, v100 bitop3:0x40
	v_bfe_u32 v236, v100, 20, 4
	v_bfe_u32 v100, v100, 4, 4
	v_mul_i32_i24_e32 v147, v135, v147
	v_mul_i32_i24_e32 v146, v134, v146
	;; [unrolled: 1-line block ×8, first 2 shown]
	v_lshrrev_b16 v201, 8, v201
	v_lshrrev_b16 v202, 8, v202
	v_and_b32_e32 v98, 15, v98
	v_add3_u32 v94, v94, v193, v192
	v_add3_u32 v62, v62, v195, v194
	;; [unrolled: 1-line block ×3, first 2 shown]
	v_dual_lshrrev_b32 v209, 28, v96 :: v_dual_bitop2_b32 v210, 15, v93 bitop3:0x40
	v_bfe_u32 v96, v96, 20, 4
	v_dual_lshrrev_b32 v221, 28, v92 :: v_dual_bitop2_b32 v212, 15, v97 bitop3:0x40
	v_bfe_u32 v92, v92, 20, 4
	v_and_b32_e32 v238, 0xf0f0f0f, v101
	v_dual_lshrrev_b32 v239, 4, v101 :: v_dual_lshrrev_b32 v240, 28, v101
	v_mul_i32_i24_e32 v148, v63, v148
	v_mul_i32_i24_e32 v149, v139, v149
	;; [unrolled: 1-line block ×5, first 2 shown]
	v_lshrrev_b16 v215, 8, v231
	v_lshrrev_b16 v218, 8, v232
	v_mul_i32_i24_e32 v207, v139, v207
	v_mul_i32_i24_e32 v220, v139, v220
	v_mad_i32_i24 v114, v165, v114, v167
	v_and_b32_e32 v165, 0xffff, v201
	v_and_b32_e32 v167, 0xffff, v202
	;; [unrolled: 1-line block ×3, first 2 shown]
	v_add3_u32 v94, v94, v196, v199
	v_add3_u32 v62, v62, v135, v134
	;; [unrolled: 1-line block ×3, first 2 shown]
	v_bfe_i32 v141, v61, 16, 8
	v_bfe_i32 v142, v61, 8, 8
	;; [unrolled: 1-line block ×3, first 2 shown]
	v_bfe_u32 v151, v59, 8, 4
	v_bfe_u32 v211, v97, 8, 4
	;; [unrolled: 1-line block ×3, first 2 shown]
	v_mul_i32_i24_e32 v150, v137, v150
	v_mul_i32_i24_e32 v96, v138, v96
	v_mul_i32_i24_e32 v204, v138, v236
	v_mul_i32_i24_e32 v92, v138, v92
	v_mul_i32_i24_e32 v138, v137, v209
	v_mul_i32_i24_e32 v205, v137, v233
	v_mul_i32_i24_e32 v137, v137, v221
	v_lshrrev_b16 v216, 8, v238
	v_lshrrev_b16 v219, 8, v239
	v_and_b32_e32 v168, 0xffff, v215
	v_and_b32_e32 v166, 15, v218
	v_mul_i32_i24_e32 v103, v165, v113
	v_mul_i32_i24_e32 v113, v123, v167
	v_and_b32_e32 v99, 0xffff, v99
	v_mul_i32_i24_e32 v66, v98, v107
	v_add3_u32 v94, v94, v203, v207
	v_add3_u32 v62, v62, v63, v220
	;; [unrolled: 1-line block ×3, first 2 shown]
	v_bfe_u32 v112, v59, 24, 4
	v_dual_ashrrev_i32 v152, 24, v57 :: v_dual_lshrrev_b32 v158, 28, v59
	v_bfe_i32 v153, v57, 16, 8
	v_bfe_i32 v154, v57, 8, 8
	;; [unrolled: 1-line block ×3, first 2 shown]
	v_bfe_u32 v156, v59, 4, 4
	v_bfe_u32 v157, v59, 12, 4
	;; [unrolled: 1-line block ×13, first 2 shown]
	v_and_b32_e32 v242, 15, v101
	v_mul_i32_i24_e32 v143, v61, v143
	v_cvt_f32_f16_e32 v57, v105
	v_cvt_f32_f16_e32 v56, v104
	v_dual_lshrrev_b32 v105, 16, v105 :: v_dual_lshrrev_b32 v104, 16, v104
	v_mul_i32_i24_e32 v151, v142, v151
	v_mul_i32_i24_e32 v206, v61, v210
	;; [unrolled: 1-line block ×5, first 2 shown]
	v_mad_i32_i24 v115, v169, v115, v172
	v_mad_i32_i24 v116, v176, v116, v175
	v_and_b32_e32 v169, 0xffff, v216
	v_dual_add_nc_u32 v86, 4, v86 :: v_dual_bitop2_b32 v109, 15, v219 bitop3:0x40
	v_add3_u32 v114, v114, v170, v171
	v_mul_i32_i24_e32 v90, v136, v168
	v_and_b32_e32 v65, 0xffff, v166
	v_mul_i32_i24_e32 v95, v125, v99
	v_add3_u32 v66, v103, v66, v113
	v_add3_u32 v94, v94, v96, v138
	v_add3_u32 v62, v62, v92, v137
	v_add3_u32 v63, v63, v244, v150
	v_bfe_u32 v222, v97, 12, 4
	v_bfe_u32 v223, v97, 4, 4
	;; [unrolled: 1-line block ×5, first 2 shown]
	v_mul_i32_i24_e32 v245, v141, v59
	v_mul_i32_i24_e32 v112, v140, v112
	;; [unrolled: 1-line block ×3, first 2 shown]
	v_cvt_f32_f16_e32 v59, v102
	v_lshrrev_b32_e32 v102, 16, v102
	v_mul_i32_i24_e32 v67, v67, v235
	v_mul_i32_i24_e32 v209, v61, v242
	v_cvt_f32_f16_e32 v61, v105
	v_cvt_f32_f16_e32 v60, v104
	v_mul_i32_i24_e32 v104, v141, v214
	v_mul_i32_i24_e32 v105, v141, v241
	;; [unrolled: 1-line block ×9, first 2 shown]
	v_add3_u32 v108, v115, v173, v174
	v_add3_u32 v115, v116, v177, v178
	v_mul_i32_i24_e32 v116, v142, v169
	v_and_b32_e32 v91, 0xffff, v109
	v_mul_i32_i24_e32 v65, v139, v65
	v_add3_u32 v98, v114, v200, v205
	v_add3_u32 v66, v66, v95, v90
	;; [unrolled: 1-line block ×5, first 2 shown]
	v_mul_i32_i24_e32 v156, v155, v156
	v_mul_i32_i24_e32 v159, v153, v159
	;; [unrolled: 1-line block ×12, first 2 shown]
	v_add3_u32 v67, v115, v67, v100
	v_add3_u32 v64, v108, v198, v204
	;; [unrolled: 1-line block ×13, first 2 shown]
	v_cvt_f32_f16_e32 v63, v102
	v_add3_u32 v64, v67, v64, v65
	v_add3_u32 v66, v66, v97, v213
	;; [unrolled: 1-line block ×4, first 2 shown]
	v_cvt_f32_f16_e32 v62, v106
	v_cvt_f32_i32_e32 v65, v64
	v_cvt_f32_i32_e32 v64, v66
	;; [unrolled: 1-line block ×4, first 2 shown]
	s_delay_alu instid0(VALU_DEP_3) | instskip(NEXT) | instid1(VALU_DEP_2)
	v_pk_fma_f32 v[58:59], v[58:59], v[64:65], v[62:63]
	v_pk_fma_f32 v[56:57], v[56:57], v[66:67], v[60:61]
	s_delay_alu instid0(VALU_DEP_2) | instskip(NEXT) | instid1(VALU_DEP_2)
	v_pk_add_f32 v[8:9], v[8:9], v[58:59]
	v_pk_add_f32 v[6:7], v[6:7], v[56:57]
	s_cbranch_scc1 .LBB180_11
; %bb.12:                               ;   in Loop: Header=BB180_5 Depth=1
	s_bitset1_b32 s18, 7
	s_delay_alu instid0(SALU_CYCLE_1)
	s_cmp_ge_i32 s18, s5
	s_barrier_signal -1
	s_barrier_wait -1
	s_cbranch_scc1 .LBB180_4
; %bb.13:                               ;   in Loop: Header=BB180_5 Depth=1
	v_add_nc_u32_e32 v55, s14, v73
	s_delay_alu instid0(VALU_DEP_1) | instskip(SKIP_1) | instid1(SALU_CYCLE_1)
	v_cmp_gt_i32_e64 s1, s6, v55
	s_and_b32 s18, s0, s1
	s_and_saveexec_b32 s1, s18
	s_cbranch_execz .LBB180_15
; %bb.14:                               ;   in Loop: Header=BB180_5 Depth=1
	v_add_nc_u32_e32 v55, v10, v55
	s_delay_alu instid0(VALU_DEP_1)
	v_mad_nc_i64_i32 v[56:57], v55, 36, v[12:13]
	global_load_b32 v55, v[56:57], off offset:4
	s_wait_loadcnt 0x0
	ds_store_b32 v71, v55
.LBB180_15:                             ;   in Loop: Header=BB180_5 Depth=1
	s_or_b32 exec_lo, exec_lo, s1
	s_and_saveexec_b32 s18, vcc_lo
	s_cbranch_execz .LBB180_18
; %bb.16:                               ;   in Loop: Header=BB180_5 Depth=1
	v_or_b32_e32 v55, 4, v54
	s_delay_alu instid0(VALU_DEP_1) | instskip(SKIP_1) | instid1(SALU_CYCLE_1)
	v_cmp_gt_i32_e64 s1, s6, v55
	s_and_b32 s1, s0, s1
	s_and_b32 exec_lo, exec_lo, s1
	s_cbranch_execz .LBB180_18
; %bb.17:                               ;   in Loop: Header=BB180_5 Depth=1
	v_ashrrev_i32_e32 v55, 31, v54
	s_delay_alu instid0(VALU_DEP_1) | instskip(NEXT) | instid1(VALU_DEP_1)
	v_add_nc_u64_e32 v[54:55], v[10:11], v[54:55]
	v_mad_nc_u64_u32 v[56:57], v54, 36, s[2:3]
	s_delay_alu instid0(VALU_DEP_1)
	v_mad_i32_i24 v57, v55, 36, v57
	global_load_b32 v54, v[56:57], off offset:144
	s_wait_loadcnt 0x0
	ds_store_b32 v72, v54
.LBB180_18:                             ;   in Loop: Header=BB180_5 Depth=1
	s_or_b32 exec_lo, exec_lo, s18
	v_dual_mov_b32 v54, v70 :: v_dual_mov_b32 v55, v69
	v_dual_mov_b32 v56, v81 :: v_dual_mov_b32 v57, v79
	;; [unrolled: 1-line block ×3, first 2 shown]
	v_mov_b32_e32 v60, v83
	s_mov_b32 s1, 12
	s_wait_dscnt 0x0
	s_barrier_signal -1
	s_barrier_wait -1
.LBB180_19:                             ;   Parent Loop BB180_5 Depth=1
                                        ; =>  This Inner Loop Header: Depth=2
	ds_load_2addr_b32 v[62:63], v55 offset1:3
	ds_load_2addr_b32 v[64:65], v55 offset0:4 offset1:7
	ds_load_2addr_b32 v[66:67], v55 offset0:1 offset1:2
	ds_load_b32 v61, v54
	ds_load_b32 v102, v56
	ds_load_2addr_b32 v[84:85], v60 offset1:1
	ds_load_2addr_b32 v[86:87], v60 offset0:2 offset1:3
	v_add_nc_u32_e32 v90, 0x1080, v60
	v_add_nc_u32_e32 v92, 0x1088, v60
	;; [unrolled: 1-line block ×6, first 2 shown]
	ds_load_b32 v103, v57
	ds_load_b32 v104, v58
	ds_load_2addr_b32 v[88:89], v55 offset0:5 offset1:6
	ds_load_b32 v105, v59
	ds_load_2addr_b32 v[90:91], v90 offset1:1
	ds_load_2addr_b32 v[92:93], v92 offset1:1
	;; [unrolled: 1-line block ×6, first 2 shown]
	v_dual_add_nc_u32 v60, 16, v60 :: v_dual_add_nc_u32 v58, 4, v58
	v_dual_add_nc_u32 v57, 4, v57 :: v_dual_add_nc_u32 v56, 4, v56
	v_add_nc_u32_e32 v55, 32, v55
	s_wait_dscnt 0x10
	v_lshrrev_b16 v112, 8, v62
	v_ashrrev_i32_e32 v113, 24, v62
	v_bfe_i32 v114, v62, 16, 8
	v_bfe_i32 v115, v62, 0, 8
	s_wait_dscnt 0xb
	v_dual_ashrrev_i32 v139, 24, v63 :: v_dual_lshrrev_b32 v62, 8, v84
	v_dual_ashrrev_i32 v120, 24, v66 :: v_dual_bitop2_b32 v116, 15, v84 bitop3:0x40
	v_bfe_i32 v112, v112, 0, 8
	v_bfe_i32 v140, v63, 16, 8
	s_delay_alu instid0(VALU_DEP_4)
	v_and_b32_e32 v184, 15, v62
	s_wait_dscnt 0x9
	v_pk_mul_f16 v103, v61, v103
	v_bfe_i32 v141, v63, 8, 8
	v_bfe_i32 v142, v63, 0, 8
	v_dual_lshrrev_b32 v149, 28, v86 :: v_dual_bitop2_b32 v63, 15, v87 bitop3:0x40
	s_wait_dscnt 0x1
	v_dual_lshrrev_b32 v182, 4, v98 :: v_dual_lshrrev_b32 v183, 28, v98
	v_dual_lshrrev_b32 v193, 28, v99 :: v_dual_bitop2_b32 v186, 15, v90 bitop3:0x40
	v_lshrrev_b32_e32 v192, 4, v99
	v_perm_b32 v116, v184, v116, 0x5040100
	v_perm_b32 v184, v112, v115, 0x5040100
	v_lshrrev_b16 v106, 8, v64
	v_lshrrev_b32_e32 v110, 28, v85
	v_pk_mul_f16 v104, v61, v104
	v_dual_ashrrev_i32 v117, 24, v64 :: v_dual_bitop2_b32 v128, 15, v85 bitop3:0x40
	v_bfe_i32 v118, v64, 16, 8
	v_bfe_i32 v119, v64, 0, 8
	;; [unrolled: 1-line block ×5, first 2 shown]
	v_dual_ashrrev_i32 v123, 24, v88 :: v_dual_ashrrev_i32 v133, 24, v67
	v_bfe_i32 v125, v88, 0, 8
	v_bfe_u32 v64, v84, 4, 4
	v_dual_lshrrev_b32 v126, 28, v84 :: v_dual_ashrrev_i32 v136, 24, v89
	v_bfe_u32 v127, v84, 20, 4
	v_bfe_u32 v132, v85, 4, 4
	v_bfe_i32 v134, v67, 16, 8
	v_bfe_i32 v135, v67, 8, 8
	;; [unrolled: 1-line block ×6, first 2 shown]
	v_dual_ashrrev_i32 v151, 24, v65 :: v_dual_bitop2_b32 v143, 15, v86 bitop3:0x40
	v_lshrrev_b32_e32 v156, 28, v87
	v_bfe_i32 v152, v65, 16, 8
	v_bfe_i32 v153, v65, 8, 8
	;; [unrolled: 1-line block ×3, first 2 shown]
	v_bfe_u32 v65, v87, 4, 4
	v_dual_lshrrev_b32 v160, 28, v91 :: v_dual_bitop2_b32 v163, 15, v94 bitop3:0x40
	v_bfe_u32 v162, v94, 20, 4
	v_bfe_u32 v164, v94, 8, 4
	;; [unrolled: 1-line block ×6, first 2 shown]
	v_dual_lshrrev_b32 v94, 28, v94 :: v_dual_bitop2_b32 v170, 15, v95 bitop3:0x40
	v_bfe_u32 v169, v95, 20, 4
	v_bfe_u32 v171, v95, 8, 4
	;; [unrolled: 1-line block ×6, first 2 shown]
	v_dual_lshrrev_b32 v95, 28, v95 :: v_dual_bitop2_b32 v176, 15, v96 bitop3:0x40
	v_bfe_u32 v180, v98, 24, 4
	v_and_b32_e32 v181, 0xf0f0f0f, v98
	v_bfe_u32 v185, v90, 8, 4
	v_bfe_u32 v187, v98, 16, 4
	s_wait_dscnt 0x0
	v_dual_lshrrev_b32 v208, 4, v100 :: v_dual_bitop2_b32 v188, 15, v98 bitop3:0x40
	v_bfe_u32 v189, v98, 20, 4
	v_bfe_u32 v98, v98, 4, 4
	;; [unrolled: 1-line block ×3, first 2 shown]
	v_and_b32_e32 v191, 0xf0f0f0f, v99
	v_bfe_u32 v194, v99, 16, 4
	v_dual_lshrrev_b32 v197, 28, v90 :: v_dual_bitop2_b32 v195, 15, v99 bitop3:0x40
	v_bfe_u32 v196, v90, 4, 4
	v_bfe_u32 v198, v90, 20, 4
	v_dual_lshrrev_b32 v209, 28, v100 :: v_dual_bitop2_b32 v199, 15, v91 bitop3:0x40
	v_bfe_u32 v200, v91, 8, 4
	v_bfe_u32 v203, v91, 4, 4
	;; [unrolled: 1-line block ×4, first 2 shown]
	v_dual_lshrrev_b32 v218, 4, v101 :: v_dual_bitop2_b32 v211, 15, v100 bitop3:0x40
	v_bfe_u32 v213, v96, 4, 4
	v_dual_lshrrev_b32 v214, 28, v96 :: v_dual_lshrrev_b32 v219, 28, v101
	v_bfe_u32 v216, v101, 24, 4
	v_and_b32_e32 v217, 0xf0f0f0f, v101
	v_mul_i32_i24_e32 v221, v142, v63
	v_bfe_u32 v222, v97, 8, 4
	v_dual_lshrrev_b32 v241, 28, v93 :: v_dual_bitop2_b32 v226, 15, v92 bitop3:0x40
	v_bfe_u32 v234, v101, 16, 4
	v_and_b32_e32 v235, 15, v101
	v_bfe_u32 v237, v97, 4, 4
	v_bfe_u32 v239, v93, 4, 4
	v_cvt_f32_f16_e32 v63, v103
	v_lshrrev_b32_e32 v103, 16, v103
	v_bfe_u32 v244, v101, 20, 4
	v_bfe_u32 v101, v101, 4, 4
	v_lshrrev_b16 v182, 8, v182
	v_mul_i32_i24_e32 v186, v115, v186
	v_pk_mul_lo_u16 v116, v116, v184
	v_bfe_u32 v107, v84, 16, 4
	v_bfe_u32 v108, v84, 24, 4
	v_pk_mul_f16 v102, v61, v102
	v_pk_mul_f16 v61, v61, v105
	v_bfe_u32 v105, v90, 16, 4
	v_bfe_u32 v158, v90, 24, 4
	v_mul_i32_i24_e32 v204, v119, v64
	v_mul_i32_i24_e32 v127, v118, v127
	;; [unrolled: 1-line block ×7, first 2 shown]
	v_cvt_f32_f16_e32 v64, v104
	v_lshrrev_b32_e32 v104, 16, v104
	v_lshrrev_b16 v181, 8, v181
	v_mul_i32_i24_e32 v163, v115, v163
	v_mul_i32_i24_e32 v167, v119, v167
	;; [unrolled: 1-line block ×7, first 2 shown]
	v_lshrrev_b16 v192, 8, v192
	v_mul_i32_i24_e32 v174, v125, v174
	v_mul_i32_i24_e32 v95, v123, v95
	;; [unrolled: 1-line block ×10, first 2 shown]
	v_lshrrev_b16 v199, 8, v208
	v_mul_i32_i24_e32 v176, v67, v176
	v_mul_i32_i24_e32 v200, v67, v211
	;; [unrolled: 1-line block ×7, first 2 shown]
	v_cvt_f32_f16_e32 v67, v103
	v_mul_i32_i24_e32 v103, v154, v239
	v_mul_i32_i24_e32 v101, v154, v101
	v_and_b32_e32 v154, 15, v182
	v_mad_i32_i24 v182, v112, v185, v186
	v_bfe_i32 v185, v116, 0, 16
	v_dual_ashrrev_i32 v116, 16, v116 :: v_dual_bitop2_b32 v186, 15, v199 bitop3:0x40
	v_bfe_u32 v84, v84, 12, 4
	v_mul_i32_i24_e32 v107, v114, v107
	v_mul_i32_i24_e32 v108, v113, v108
	v_bfe_i32 v106, v106, 0, 8
	v_bfe_u32 v90, v90, 12, 4
	v_mul_i32_i24_e32 v105, v114, v105
	v_mul_i32_i24_e32 v158, v113, v158
	;; [unrolled: 1-line block ×4, first 2 shown]
	v_mad_i32_i24 v163, v112, v164, v163
	v_and_b32_e32 v164, 0xffff, v181
	v_dual_add_nc_u32 v116, v116, v185 :: v_dual_bitop2_b32 v181, 15, v192 bitop3:0x40
	v_mul_i32_i24_e32 v168, v106, v168
	v_mul_i32_i24_e32 v84, v106, v84
	;; [unrolled: 1-line block ×3, first 2 shown]
	v_mad_i32_i24 v98, v188, v115, v98
	v_add3_u32 v115, v163, v165, v166
	v_add3_u32 v105, v182, v105, v158
	;; [unrolled: 1-line block ×3, first 2 shown]
	v_bfe_u32 v129, v85, 8, 4
	v_mad_i32_i24 v108, v180, v113, v183
	v_add3_u32 v113, v115, v168, v167
	v_add3_u32 v90, v105, v90, v119
	;; [unrolled: 1-line block ×3, first 2 shown]
	v_bfe_u32 v130, v85, 24, 4
	v_bfe_u32 v131, v85, 16, 4
	;; [unrolled: 1-line block ×4, first 2 shown]
	v_mul_i32_i24_e32 v128, v66, v128
	v_mul_i32_i24_e32 v129, v122, v129
	;; [unrolled: 1-line block ×4, first 2 shown]
	v_add3_u32 v94, v113, v162, v94
	v_add3_u32 v90, v90, v118, v117
	;; [unrolled: 1-line block ×3, first 2 shown]
	v_bfe_u32 v109, v85, 20, 4
	v_bfe_i32 v124, v88, 8, 8
	v_bfe_u32 v85, v85, 12, 4
	v_bfe_u32 v159, v91, 20, 4
	;; [unrolled: 1-line block ×3, first 2 shown]
	v_mul_i32_i24_e32 v131, v121, v131
	v_mul_i32_i24_e32 v130, v120, v130
	;; [unrolled: 1-line block ×8, first 2 shown]
	v_add3_u32 v94, v94, v171, v170
	v_add3_u32 v90, v90, v197, v196
	;; [unrolled: 1-line block ×3, first 2 shown]
	v_bfe_i32 v88, v88, 16, 8
	v_mul_i32_i24_e32 v85, v124, v85
	v_mul_i32_i24_e32 v175, v124, v175
	;; [unrolled: 1-line block ×3, first 2 shown]
	v_add3_u32 v94, v94, v172, v173
	v_add3_u32 v90, v90, v121, v120
	;; [unrolled: 1-line block ×3, first 2 shown]
	v_bfe_u32 v144, v86, 8, 4
	v_bfe_u32 v177, v96, 8, 4
	v_mul_i32_i24_e32 v109, v88, v109
	v_bfe_u32 v227, v92, 8, 4
	v_mul_i32_i24_e32 v159, v88, v159
	v_mul_i32_i24_e32 v169, v88, v169
	v_add3_u32 v94, v94, v174, v175
	v_add3_u32 v90, v90, v198, v91
	;; [unrolled: 1-line block ×3, first 2 shown]
	v_bfe_u32 v145, v86, 24, 4
	v_bfe_u32 v146, v86, 16, 4
	;; [unrolled: 1-line block ×8, first 2 shown]
	v_mul_i32_i24_e32 v144, v135, v144
	v_mul_i32_i24_e32 v177, v135, v177
	;; [unrolled: 1-line block ×3, first 2 shown]
	v_lshrrev_b16 v209, 8, v217
	v_mul_i32_i24_e32 v217, v135, v227
	v_add3_u32 v91, v94, v169, v95
	v_add3_u32 v90, v90, v159, v123
	;; [unrolled: 1-line block ×3, first 2 shown]
	v_bfe_u32 v147, v86, 4, 4
	v_bfe_u32 v148, v86, 12, 4
	v_and_b32_e32 v207, 0xf0f0f0f, v100
	v_bfe_u32 v212, v96, 12, 4
	v_bfe_u32 v215, v100, 20, 4
	;; [unrolled: 1-line block ×5, first 2 shown]
	v_mul_i32_i24_e32 v146, v134, v146
	v_mul_i32_i24_e32 v145, v133, v145
	v_lshrrev_b16 v191, 8, v191
	v_mul_i32_i24_e32 v178, v134, v178
	v_mul_i32_i24_e32 v179, v133, v179
	;; [unrolled: 1-line block ×6, first 2 shown]
	v_add3_u32 v91, v91, v177, v176
	v_add3_u32 v90, v90, v217, v160
	;; [unrolled: 1-line block ×3, first 2 shown]
	v_bfe_u32 v86, v86, 20, 4
	v_bfe_u32 v96, v96, 20, 4
	v_dual_lshrrev_b32 v232, 28, v92 :: v_dual_bitop2_b32 v220, 15, v93 bitop3:0x40
	v_bfe_u32 v92, v92, 20, 4
	v_mul_i32_i24_e32 v147, v89, v147
	v_mul_i32_i24_e32 v148, v138, v148
	;; [unrolled: 1-line block ×3, first 2 shown]
	v_lshrrev_b16 v193, 8, v207
	v_mul_i32_i24_e32 v205, v138, v212
	v_mul_i32_i24_e32 v100, v89, v100
	v_lshrrev_b16 v210, 8, v218
	v_mul_i32_i24_e32 v89, v89, v230
	v_mul_i32_i24_e32 v218, v138, v231
	v_and_b32_e32 v184, 0xffff, v191
	v_and_b32_e32 v105, 0xffff, v154
	v_add3_u32 v91, v91, v178, v179
	v_add3_u32 v90, v90, v134, v133
	;; [unrolled: 1-line block ×3, first 2 shown]
	v_bfe_u32 v150, v87, 8, 4
	v_dual_lshrrev_b32 v238, 28, v97 :: v_dual_bitop2_b32 v223, 15, v97 bitop3:0x40
	v_bfe_u32 v233, v93, 8, 4
	v_mul_i32_i24_e32 v86, v137, v86
	v_mul_i32_i24_e32 v149, v136, v149
	;; [unrolled: 1-line block ×6, first 2 shown]
	v_and_b32_e32 v191, 0xffff, v193
	v_mad_i32_i24 v114, v187, v114, v189
	v_mul_i32_i24_e32 v112, v164, v112
	v_mul_i32_i24_e32 v107, v122, v184
	v_and_b32_e32 v113, 0xffff, v181
	v_mul_i32_i24_e32 v94, v105, v106
	v_add3_u32 v91, v91, v203, v205
	v_add3_u32 v89, v90, v89, v218
	;; [unrolled: 1-line block ×3, first 2 shown]
	v_bfe_u32 v111, v87, 24, 4
	v_bfe_u32 v155, v87, 12, 4
	;; [unrolled: 1-line block ×7, first 2 shown]
	v_mul_i32_i24_e32 v150, v141, v150
	v_bfe_u32 v236, v97, 12, 4
	v_bfe_u32 v97, v97, 20, 4
	;; [unrolled: 1-line block ×4, first 2 shown]
	v_cvt_f32_f16_e32 v62, v102
	v_lshrrev_b32_e32 v102, 16, v102
	v_bfe_u32 v93, v93, 16, 4
	v_mul_i32_i24_e32 v195, v66, v195
	v_mul_i32_i24_e32 v207, v137, v215
	;; [unrolled: 1-line block ×5, first 2 shown]
	v_dual_add_nc_u32 v59, 4, v59 :: v_dual_bitop2_b32 v192, 15, v210 bitop3:0x40
	v_and_b32_e32 v193, 0xffff, v209
	v_mul_i32_i24_e32 v115, v135, v191
	v_and_b32_e32 v116, 0xffff, v186
	v_add3_u32 v108, v108, v190, v125
	v_add3_u32 v85, v114, v194, v88
	v_mul_i32_i24_e32 v95, v124, v113
	v_add3_u32 v90, v112, v94, v107
	v_add3_u32 v91, v91, v96, v206
	;; [unrolled: 1-line block ×4, first 2 shown]
	v_mul_i32_i24_e32 v87, v140, v87
	v_mul_i32_i24_e32 v111, v139, v111
	;; [unrolled: 1-line block ×4, first 2 shown]
	v_cvt_f32_f16_e32 v65, v61
	v_lshrrev_b32_e32 v61, 16, v61
	v_mul_i32_i24_e32 v214, v140, v225
	v_mul_i32_i24_e32 v215, v139, v224
	;; [unrolled: 1-line block ×6, first 2 shown]
	v_cvt_f32_f16_e32 v66, v102
	v_mul_i32_i24_e32 v93, v140, v93
	v_mul_i32_i24_e32 v102, v139, v161
	;; [unrolled: 1-line block ×7, first 2 shown]
	v_and_b32_e32 v118, 0xffff, v192
	v_add3_u32 v88, v98, v195, v99
	v_mul_i32_i24_e32 v98, v138, v116
	v_add3_u32 v105, v108, v202, v208
	v_add3_u32 v85, v85, v201, v207
	;; [unrolled: 1-line block ×6, first 2 shown]
	v_mul_i32_i24_e32 v155, v153, v155
	v_mul_i32_i24_e32 v142, v142, v235
	;; [unrolled: 1-line block ×5, first 2 shown]
	v_add3_u32 v88, v88, v200, v100
	v_add3_u32 v86, v105, v216, v151
	;; [unrolled: 1-line block ×12, first 2 shown]
	v_cvt_f32_f16_e32 v85, v61
	v_add3_u32 v61, v87, v92, v86
	v_add3_u32 v86, v88, v97, v224
	;; [unrolled: 1-line block ×4, first 2 shown]
	v_cvt_f32_f16_e32 v84, v104
	v_cvt_f32_i32_e32 v87, v61
	v_cvt_f32_i32_e32 v86, v86
	;; [unrolled: 1-line block ×4, first 2 shown]
	v_add_nc_u32_e32 v54, 4, v54
	s_add_co_i32 s1, s1, 4
	v_pk_fma_f32 v[64:65], v[64:65], v[86:87], v[84:85]
	s_cmp_lt_u32 s1, 28
	v_pk_fma_f32 v[62:63], v[62:63], v[88:89], v[66:67]
	s_delay_alu instid0(VALU_DEP_2) | instskip(NEXT) | instid1(VALU_DEP_2)
	v_pk_add_f32 v[8:9], v[8:9], v[64:65]
	v_pk_add_f32 v[6:7], v[6:7], v[62:63]
	s_cbranch_scc1 .LBB180_19
; %bb.20:                               ;   in Loop: Header=BB180_5 Depth=1
	s_barrier_signal -1
	s_barrier_wait -1
	s_branch .LBB180_4
.LBB180_21:
	v_mov_b32_e32 v6, 0
	s_delay_alu instid0(VALU_DEP_1)
	v_dual_mov_b32 v7, v6 :: v_dual_mov_b32 v8, v6
	v_mov_b32_e32 v9, v6
.LBB180_22:
	s_mul_i32 s0, s10, s7
	s_wait_loadcnt 0x0
	v_cmp_gt_i32_e32 vcc_lo, s0, v1
	s_wait_xcnt 0x0
	s_and_saveexec_b32 s0, vcc_lo
	s_cbranch_execz .LBB180_31
; %bb.23:
	v_mul_lo_u32 v0, v1, s9
	v_add_nc_u32_e32 v1, s11, v5
	s_mov_b32 s0, exec_lo
	s_delay_alu instid0(VALU_DEP_1)
	v_cmpx_gt_u32_e64 s9, v1
	s_cbranch_execz .LBB180_25
; %bb.24:
	s_delay_alu instid0(VALU_DEP_3)
	v_add_nc_u32_e32 v2, v0, v1
	global_store_b32 v2, v6, s[12:13] scale_offset
.LBB180_25:
	s_wait_xcnt 0x0
	s_or_b32 exec_lo, exec_lo, s0
	v_add_nc_u32_e32 v2, 32, v1
	s_mov_b32 s0, exec_lo
	s_delay_alu instid0(VALU_DEP_1)
	v_cmpx_gt_u32_e64 s9, v2
	s_cbranch_execz .LBB180_27
; %bb.26:
	v_add_nc_u32_e32 v2, v0, v2
	global_store_b32 v2, v7, s[12:13] scale_offset
.LBB180_27:
	s_wait_xcnt 0x0
	s_or_b32 exec_lo, exec_lo, s0
	v_add_nc_u32_e32 v2, 64, v1
	s_mov_b32 s0, exec_lo
	s_delay_alu instid0(VALU_DEP_1)
	v_cmpx_gt_u32_e64 s9, v2
	s_cbranch_execz .LBB180_29
; %bb.28:
	v_add_nc_u32_e32 v2, v0, v2
	global_store_b32 v2, v8, s[12:13] scale_offset
.LBB180_29:
	s_wait_xcnt 0x0
	s_or_b32 exec_lo, exec_lo, s0
	v_add_nc_u32_e32 v1, 0x60, v1
	s_delay_alu instid0(VALU_DEP_1)
	v_cmp_gt_u32_e32 vcc_lo, s9, v1
	s_and_b32 exec_lo, exec_lo, vcc_lo
	s_cbranch_execz .LBB180_31
; %bb.30:
	v_add_nc_u32_e32 v0, v0, v1
	global_store_b32 v0, v9, s[12:13] scale_offset
.LBB180_31:
	s_sendmsg sendmsg(MSG_DEALLOC_VGPRS)
	s_endpgm
	.section	.rodata,"a",@progbits
	.p2align	6, 0x0
	.amdhsa_kernel _ZL8moe_q4_1IfLb1EEvPKvS1_PT_PKiS5_S5_iiiiiii
		.amdhsa_group_segment_fixed_size 22272
		.amdhsa_private_segment_fixed_size 0
		.amdhsa_kernarg_size 76
		.amdhsa_user_sgpr_count 2
		.amdhsa_user_sgpr_dispatch_ptr 0
		.amdhsa_user_sgpr_queue_ptr 0
		.amdhsa_user_sgpr_kernarg_segment_ptr 1
		.amdhsa_user_sgpr_dispatch_id 0
		.amdhsa_user_sgpr_kernarg_preload_length 0
		.amdhsa_user_sgpr_kernarg_preload_offset 0
		.amdhsa_user_sgpr_private_segment_size 0
		.amdhsa_wavefront_size32 1
		.amdhsa_uses_dynamic_stack 0
		.amdhsa_enable_private_segment 0
		.amdhsa_system_sgpr_workgroup_id_x 1
		.amdhsa_system_sgpr_workgroup_id_y 1
		.amdhsa_system_sgpr_workgroup_id_z 0
		.amdhsa_system_sgpr_workgroup_info 0
		.amdhsa_system_vgpr_workitem_id 1
		.amdhsa_next_free_vgpr 246
		.amdhsa_next_free_sgpr 21
		.amdhsa_named_barrier_count 0
		.amdhsa_reserve_vcc 1
		.amdhsa_float_round_mode_32 0
		.amdhsa_float_round_mode_16_64 0
		.amdhsa_float_denorm_mode_32 3
		.amdhsa_float_denorm_mode_16_64 3
		.amdhsa_fp16_overflow 0
		.amdhsa_memory_ordered 1
		.amdhsa_forward_progress 1
		.amdhsa_inst_pref_size 67
		.amdhsa_round_robin_scheduling 0
		.amdhsa_exception_fp_ieee_invalid_op 0
		.amdhsa_exception_fp_denorm_src 0
		.amdhsa_exception_fp_ieee_div_zero 0
		.amdhsa_exception_fp_ieee_overflow 0
		.amdhsa_exception_fp_ieee_underflow 0
		.amdhsa_exception_fp_ieee_inexact 0
		.amdhsa_exception_int_div_zero 0
	.end_amdhsa_kernel
	.section	.text._ZL8moe_q4_1IfLb1EEvPKvS1_PT_PKiS5_S5_iiiiiii,"axG",@progbits,_ZL8moe_q4_1IfLb1EEvPKvS1_PT_PKiS5_S5_iiiiiii,comdat
.Lfunc_end180:
	.size	_ZL8moe_q4_1IfLb1EEvPKvS1_PT_PKiS5_S5_iiiiiii, .Lfunc_end180-_ZL8moe_q4_1IfLb1EEvPKvS1_PT_PKiS5_S5_iiiiiii
                                        ; -- End function
	.set _ZL8moe_q4_1IfLb1EEvPKvS1_PT_PKiS5_S5_iiiiiii.num_vgpr, 246
	.set _ZL8moe_q4_1IfLb1EEvPKvS1_PT_PKiS5_S5_iiiiiii.num_agpr, 0
	.set _ZL8moe_q4_1IfLb1EEvPKvS1_PT_PKiS5_S5_iiiiiii.numbered_sgpr, 21
	.set _ZL8moe_q4_1IfLb1EEvPKvS1_PT_PKiS5_S5_iiiiiii.num_named_barrier, 0
	.set _ZL8moe_q4_1IfLb1EEvPKvS1_PT_PKiS5_S5_iiiiiii.private_seg_size, 0
	.set _ZL8moe_q4_1IfLb1EEvPKvS1_PT_PKiS5_S5_iiiiiii.uses_vcc, 1
	.set _ZL8moe_q4_1IfLb1EEvPKvS1_PT_PKiS5_S5_iiiiiii.uses_flat_scratch, 0
	.set _ZL8moe_q4_1IfLb1EEvPKvS1_PT_PKiS5_S5_iiiiiii.has_dyn_sized_stack, 0
	.set _ZL8moe_q4_1IfLb1EEvPKvS1_PT_PKiS5_S5_iiiiiii.has_recursion, 0
	.set _ZL8moe_q4_1IfLb1EEvPKvS1_PT_PKiS5_S5_iiiiiii.has_indirect_call, 0
	.section	.AMDGPU.csdata,"",@progbits
; Kernel info:
; codeLenInByte = 8568
; TotalNumSgprs: 23
; NumVgprs: 246
; ScratchSize: 0
; MemoryBound: 0
; FloatMode: 240
; IeeeMode: 1
; LDSByteSize: 22272 bytes/workgroup (compile time only)
; SGPRBlocks: 0
; VGPRBlocks: 15
; NumSGPRsForWavesPerEU: 23
; NumVGPRsForWavesPerEU: 246
; NamedBarCnt: 0
; Occupancy: 4
; WaveLimiterHint : 1
; COMPUTE_PGM_RSRC2:SCRATCH_EN: 0
; COMPUTE_PGM_RSRC2:USER_SGPR: 2
; COMPUTE_PGM_RSRC2:TRAP_HANDLER: 0
; COMPUTE_PGM_RSRC2:TGID_X_EN: 1
; COMPUTE_PGM_RSRC2:TGID_Y_EN: 1
; COMPUTE_PGM_RSRC2:TGID_Z_EN: 0
; COMPUTE_PGM_RSRC2:TIDIG_COMP_CNT: 1
	.section	.text._ZL8moe_q5_0IfLb0EEvPKvS1_PT_PKiS5_S5_iiiiiii,"axG",@progbits,_ZL8moe_q5_0IfLb0EEvPKvS1_PT_PKiS5_S5_iiiiiii,comdat
	.globl	_ZL8moe_q5_0IfLb0EEvPKvS1_PT_PKiS5_S5_iiiiiii ; -- Begin function _ZL8moe_q5_0IfLb0EEvPKvS1_PT_PKiS5_S5_iiiiiii
	.p2align	8
	.type	_ZL8moe_q5_0IfLb0EEvPKvS1_PT_PKiS5_S5_iiiiiii,@function
_ZL8moe_q5_0IfLb0EEvPKvS1_PT_PKiS5_S5_iiiiiii: ; @_ZL8moe_q5_0IfLb0EEvPKvS1_PT_PKiS5_S5_iiiiiii
; %bb.0:
	s_load_b128 s[4:7], s[0:1], 0x18
	s_bfe_u32 s2, ttmp6, 0x40010
	s_bfe_u32 s8, ttmp6, 0x40004
	s_add_co_i32 s2, s2, 1
	s_delay_alu instid0(SALU_CYCLE_1)
	s_mul_i32 s3, ttmp7, s2
	s_getreg_b32 s2, hwreg(HW_REG_IB_STS2, 6, 4)
	s_add_co_i32 s8, s8, s3
	s_cmp_eq_u32 s2, 0
	s_cselect_b32 s3, ttmp7, s8
	s_wait_kmcnt 0x0
	s_load_b32 s12, s[6:7], s3 offset:0x0 scale_offset
	s_wait_kmcnt 0x0
	s_cmp_gt_u32 s12, 0xff
	s_cbranch_scc1 .LBB181_30
; %bb.1:
	s_load_b64 s[6:7], s[0:1], 0x28
	s_lshl_b32 s3, s3, 3
	s_wait_kmcnt 0x0
	s_load_b32 s6, s[6:7], 0x0
	s_wait_kmcnt 0x0
	s_cmp_gt_u32 s3, s6
	s_cbranch_scc1 .LBB181_30
; %bb.2:
	v_bfe_u32 v20, v0, 10, 10
	s_and_b32 s13, ttmp6, 15
	v_and_b32_e32 v3, 0x3ff, v0
	s_delay_alu instid0(VALU_DEP_2) | instskip(SKIP_1) | instid1(SALU_CYCLE_1)
	v_dual_mov_b32 v17, 0 :: v_dual_add_nc_u32 v1, s3, v20
	s_bfe_u32 s3, ttmp6, 0x4000c
	s_add_co_i32 s3, s3, 1
	s_delay_alu instid0(VALU_DEP_1)
	v_dual_mov_b32 v16, v17 :: v_dual_mov_b32 v49, v17
	global_load_b32 v1, v1, s[4:5] scale_offset
	s_clause 0x2
	s_load_b64 s[10:11], s[0:1], 0x30
	s_load_b64 s[8:9], s[0:1], 0x10
	s_load_b128 s[4:7], s[0:1], 0x3c
	s_mul_i32 s3, ttmp9, s3
	v_mov_b32_e32 v57, v17
	s_add_co_i32 s13, s13, s3
	s_cmp_eq_u32 s2, 0
	s_cselect_b32 s2, ttmp9, s13
	s_mov_b32 s13, 0
	s_lshl_b32 s18, s2, 7
	s_wait_kmcnt 0x0
	s_cmp_lt_i32 s11, 32
	s_cbranch_scc1 .LBB181_21
; %bb.3:
	s_load_b128 s[0:3], s[0:1], 0x0
	s_mul_i32 s16, s12, s10
	s_abs_i32 s12, s7
	s_ashr_i32 s17, s16, 31
	s_cvt_f32_u32 s20, s12
	v_dual_lshlrev_b32 v24, 2, v3 :: v_dual_lshlrev_b32 v4, 3, v3
	s_wait_loadcnt 0x0
	v_sub_nc_u32_e32 v12, 0, v1
	v_rcp_iflag_f32_e32 v7, s20
	v_bfe_u32 v25, v0, 3, 7
	v_and_b32_e32 v8, 12, v24
	s_ashr_i32 s14, s11, 31
	v_max_i32_e32 v16, v1, v12
	s_lshr_b32 s10, s14, 27
	v_lshl_add_u32 v18, v20, 2, v25
	v_and_b32_e32 v12, 7, v0
	s_add_co_i32 s19, s11, s10
	v_mad_u32_u24 v5, 0x104, v20, v4
	s_ashr_i32 s10, s19, 5
	v_add_nc_u32_e32 v31, 64, v18
	s_wait_kmcnt 0x0
	s_add_nc_u64 s[16:17], s[0:1], s[16:17]
	v_readfirstlane_b32 s0, v7
	s_sub_co_i32 s1, 0, s12
	v_lshlrev_b32_e32 v28, 2, v12
	v_mul_lo_u32 v2, s10, v20
	s_lshl_b32 s20, s10, 3
	s_mul_f32 s0, s0, 0x4f7ffffe
	v_mov_b32_e32 v9, 0
	v_and_b32_e32 v22, 0x1ffc, v18
	v_add_nc_u32_e32 v26, 32, v18
	s_cvt_u32_f32 s0, s0
	v_mul_lo_u32 v14, s10, v18
	v_lshl_add_u32 v45, v20, 7, 0x9280
	v_add3_u32 v40, v22, v28, 0x8200
	s_mul_i32 s1, s1, s0
	v_add_nc_u32_e32 v4, s20, v2
	s_mul_hi_u32 s1, s0, s1
	v_and_b32_e32 v30, 0x3ffc, v26
	s_add_co_i32 s0, s0, s1
	v_and_b32_e32 v22, 0x3ffc, v31
	v_mul_hi_u32 v17, v16, s0
	v_dual_add_nc_u32 v10, s20, v4 :: v_dual_lshlrev_b32 v46, 5, v26
	v_add3_u32 v44, v30, v28, 0x8200
	s_delay_alu instid0(VALU_DEP_4)
	v_add3_u32 v48, v22, v28, 0x8200
	v_lshl_add_u32 v47, v20, 4, 0x9680
	v_dual_mov_b32 v57, v9 :: v_dual_add_nc_u32 v32, 0x60, v3
	v_bfe_u32 v6, v0, 2, 8
	v_and_b32_e32 v36, 0xfc, v0
	s_ashr_i32 s15, s5, 31
	v_mul_lo_u32 v29, v17, s12
	v_lshlrev_b32_e32 v42, 5, v18
	v_add_nc_u32_e32 v18, 0x60, v18
	v_add_nc_u32_e32 v26, 1, v17
	s_lshr_b32 s14, s15, 27
	s_and_not1_b32 s19, s19, 31
	s_add_co_i32 s5, s5, s14
	v_and_b32_e32 v22, 0x3ffc, v18
	s_ashr_i32 s5, s5, 5
	s_mul_i32 s14, s10, s18
	s_movk_i32 s1, 0x80
	v_sub_nc_u32_e32 v16, v16, v29
	v_add3_u32 v50, v22, v28, 0x8200
	v_xor_b32_e32 v22, s7, v1
	s_ashr_i32 s15, s14, 31
	v_add_nc_u32_e32 v11, 0x1860, v5
	v_subrev_nc_u32_e32 v29, s12, v16
	v_cmp_le_u32_e32 vcc_lo, s12, v16
	v_add_nc_u32_e32 v13, 0x2080, v5
	v_add_nc_u32_e32 v15, 0x28a0, v5
	v_dual_lshlrev_b32 v49, 5, v31 :: v_dual_bitop2_b32 v28, 31, v0 bitop3:0x40
	v_dual_cndmask_b32 v16, v16, v29 :: v_dual_cndmask_b32 v17, v17, v26
	v_add_nc_u32_e32 v19, 0x30c0, v5
	v_ashrrev_i32_e32 v29, 31, v22
	s_delay_alu instid0(VALU_DEP_4) | instskip(NEXT) | instid1(VALU_DEP_4)
	v_lshl_or_b32 v51, v28, 2, v45
	v_cmp_le_u32_e32 vcc_lo, s12, v16
	v_add_nc_u32_e32 v26, 1, v17
	v_add_nc_u32_e32 v7, 0x1040, v5
	v_and_b32_e32 v16, 28, v24
	v_add_nc_u32_e32 v21, 0x38e0, v5
	s_delay_alu instid0(VALU_DEP_4) | instskip(SKIP_3) | instid1(VALU_DEP_4)
	v_dual_cndmask_b32 v22, v17, v26 :: v_dual_add_nc_u32 v23, 0x4100, v5
	v_dual_mov_b32 v17, v9 :: v_dual_lshlrev_b32 v52, 5, v18
	v_add_nc_u32_e32 v18, s20, v10
	v_cmp_gt_u32_e32 vcc_lo, 4, v3
	v_dual_add_nc_u32 v56, v47, v24 :: v_dual_bitop2_b32 v26, v22, v29 bitop3:0x14
	s_delay_alu instid0(VALU_DEP_3) | instskip(SKIP_1) | instid1(VALU_DEP_3)
	v_dual_add_nc_u32 v34, 32, v3 :: v_dual_add_nc_u32 v20, s20, v18
	v_add_nc_u64_e32 v[30:31], s[2:3], v[16:17]
	v_sub_nc_u32_e32 v28, v26, v29
	v_and_b32_e32 v17, 0x1fc, v32
	v_add_nc_u32_e32 v27, 0x4920, v5
	v_dual_add_nc_u32 v22, s20, v20 :: v_dual_add_nc_u32 v29, 64, v3
	s_delay_alu instid0(VALU_DEP_4) | instskip(SKIP_2) | instid1(VALU_DEP_4)
	v_cmp_gt_i32_e64 s0, s4, v28
	v_mul_lo_u32 v28, v28, s5
	v_add_nc_u32_e32 v33, 0x5140, v5
	v_add_nc_u32_e32 v24, s20, v22
	v_lshrrev_b32_e32 v59, 3, v34
	v_and_b32_e32 v29, 0x1fc, v29
	v_and_b32_e32 v34, 0x1fc, v34
	v_add_nc_u32_e32 v35, 0x5960, v5
	v_dual_add_nc_u32 v26, s20, v24 :: v_dual_lshlrev_b32 v16, 5, v3
	v_add_nc_u32_e32 v69, v40, v42
	v_add_nc_u32_e32 v37, 0x6180, v5
	;; [unrolled: 1-line block ×3, first 2 shown]
	s_delay_alu instid0(VALU_DEP_4) | instskip(SKIP_1) | instid1(VALU_DEP_2)
	v_dual_add_nc_u32 v32, s20, v26 :: v_dual_add_nc_u32 v17, v16, v17
	v_dual_add_nc_u32 v38, v16, v29 :: v_dual_add_nc_u32 v53, v16, v34
	;; [unrolled: 1-line block ×3, first 2 shown]
	v_ashrrev_i32_e32 v29, 31, v28
	s_delay_alu instid0(VALU_DEP_3)
	v_add_nc_u32_e32 v61, 0x8a00, v38
	v_add_nc_u32_e32 v65, 0x8a10, v38
	;; [unrolled: 1-line block ×6, first 2 shown]
	v_mul_u32_u24_e32 v58, 0x104, v3
	v_add_nc_u32_e32 v42, s19, v14
	v_dual_add_nc_u32 v36, s20, v34 :: v_dual_add_nc_u32 v72, v50, v52
	v_add_nc_u32_e32 v60, 0x8e00, v17
	v_add_nc_u32_e32 v62, 0x8600, v53
	s_delay_alu instid0(VALU_DEP_3)
	v_dual_add_nc_u32 v71, v48, v49 :: v_dual_add_nc_u32 v38, s20, v36
	v_add_nc_u32_e32 v46, s19, v42
	v_add_nc_u32_e32 v63, 0x8200, v16
	;; [unrolled: 1-line block ×6, first 2 shown]
	v_mad_u32_u24 v68, 0x104, v3, s1
	v_dual_mov_b32 v49, v9 :: v_dual_mov_b32 v16, v9
	s_delay_alu instid0(VALU_DEP_4) | instskip(SKIP_3) | instid1(VALU_DEP_2)
	v_dual_add_nc_u32 v44, s20, v40 :: v_dual_add_nc_u32 v50, s19, v46
	v_mov_b32_e32 v17, v9
	s_mul_u64 s[14:15], s[14:15], 22
	s_and_b32 s19, vcc_lo, s0
	v_add_nc_u32_e32 v48, s20, v44
	s_add_nc_u64 s[14:15], s[16:17], s[14:15]
	s_mov_b32 s12, s13
	s_branch .LBB181_5
.LBB181_4:                              ;   in Loop: Header=BB181_5 Depth=1
	s_add_co_i32 s12, s12, 8
	s_delay_alu instid0(SALU_CYCLE_1)
	s_cmp_ge_i32 s12, s10
	s_cbranch_scc1 .LBB181_21
.LBB181_5:                              ; =>This Loop Header: Depth=1
                                        ;     Child Loop BB181_11 Depth 2
                                        ;     Child Loop BB181_19 Depth 2
	s_mul_u64 s[16:17], s[12:13], 22
	s_delay_alu instid0(SALU_CYCLE_1) | instskip(NEXT) | instid1(SALU_CYCLE_1)
	s_add_nc_u64 s[16:17], s[14:15], s[16:17]
	v_mad_nc_u64_u32 v[52:53], v6, 22, s[16:17]
	s_delay_alu instid0(VALU_DEP_1)
	v_mad_nc_u64_u32 v[54:55], v2, 22, v[52:53]
	v_mad_nc_u64_u32 v[78:79], v18, 22, v[52:53]
	;; [unrolled: 1-line block ×11, first 2 shown]
	s_clause 0x7
	global_load_b32 v93, v[54:55], off offset:2
	global_load_b32 v94, v[74:75], off offset:2
	;; [unrolled: 1-line block ×8, first 2 shown]
	s_wait_xcnt 0x4
	v_add_nc_u64_e32 v[78:79], v[78:79], v[8:9]
	v_add_nc_u64_e32 v[76:77], v[76:77], v[8:9]
	;; [unrolled: 1-line block ×4, first 2 shown]
	v_mad_nc_u64_u32 v[104:105], v32, 22, v[52:53]
	s_clause 0x3
	global_load_b32 v88, v[78:79], off offset:6
	global_load_b32 v89, v[76:77], off offset:6
	;; [unrolled: 1-line block ×4, first 2 shown]
	s_wait_xcnt 0x0
	v_add_nc_u64_e32 v[54:55], v[86:87], v[8:9]
	v_add_nc_u64_e32 v[74:75], v[84:85], v[8:9]
	;; [unrolled: 1-line block ×4, first 2 shown]
	s_clause 0x3
	global_load_b32 v92, v[54:55], off offset:6
	global_load_b32 v99, v[74:75], off offset:6
	;; [unrolled: 1-line block ×4, first 2 shown]
	s_wait_xcnt 0x3
	v_mad_nc_u64_u32 v[54:55], v12, 22, s[16:17]
	v_mad_nc_u64_u32 v[112:113], v38, 22, v[52:53]
	;; [unrolled: 1-line block ×5, first 2 shown]
	v_add_nc_u64_e32 v[126:127], v[110:111], v[8:9]
	v_add_nc_u64_e32 v[124:125], v[108:109], v[8:9]
	v_add_nc_u64_e32 v[122:123], v[106:107], v[8:9]
	v_add_nc_u64_e32 v[120:121], v[104:105], v[8:9]
	s_lshl_b32 s16, s12, 5
	s_wait_xcnt 0x2
	v_mad_nc_u64_u32 v[74:75], v14, 22, v[54:55]
	v_add_nc_u64_e32 v[128:129], v[112:113], v[8:9]
	v_add_nc_u64_e32 v[130:131], v[114:115], v[8:9]
	;; [unrolled: 1-line block ×4, first 2 shown]
	s_cmp_lt_i32 s16, s11
	s_clause 0x10
	global_load_u16 v83, v[74:75], off
	global_load_b32 v80, v[110:111], off offset:2
	global_load_b32 v82, v[108:109], off offset:2
	;; [unrolled: 1-line block ×15, first 2 shown]
	; meta instruction
	; meta instruction
	;; [unrolled: 1-line block ×15, first 2 shown]
	global_load_b32 v78, v[128:129], off offset:6
	s_wait_loadcnt 0x1f
	v_dual_ashrrev_i32 v93, v8, v93 :: v_dual_ashrrev_i32 v94, v8, v94
	s_wait_loadcnt 0x1d
	v_dual_ashrrev_i32 v95, v8, v95 :: v_dual_ashrrev_i32 v96, v8, v96
	s_wait_loadcnt 0x1b
	v_dual_ashrrev_i32 v97, v8, v97 :: v_dual_ashrrev_i32 v98, v8, v98
	s_wait_loadcnt 0x19
	v_dual_ashrrev_i32 v100, v8, v100 :: v_dual_ashrrev_i32 v101, v8, v101
	s_wait_xcnt 0xc
	v_dual_lshlrev_b32 v104, 4, v93 :: v_dual_lshlrev_b32 v105, 11, v93
	v_dual_lshlrev_b32 v106, 18, v93 :: v_dual_lshlrev_b32 v107, 25, v93
	s_wait_xcnt 0x4
	v_dual_lshlrev_b32 v111, 4, v94 :: v_dual_lshlrev_b32 v112, 11, v94
	s_delay_alu instid0(VALU_DEP_3)
	v_dual_lshlrev_b32 v155, 18, v101 :: v_dual_bitop2_b32 v104, 16, v104 bitop3:0x40
	s_wait_loadcnt 0x15
	v_and_b32_e32 v156, 0xf0f0f0f, v91
	v_and_b32_e32 v105, 0x1000, v105
	;; [unrolled: 1-line block ×4, first 2 shown]
	v_dual_lshlrev_b32 v113, 18, v94 :: v_dual_lshlrev_b32 v114, 25, v94
	v_dual_lshlrev_b32 v118, 4, v95 :: v_dual_lshlrev_b32 v119, 11, v95
	;; [unrolled: 1-line block ×4, first 2 shown]
	v_dual_lshlrev_b32 v157, 25, v101 :: v_dual_lshrrev_b32 v158, 12, v101
	v_or3_b32 v104, v104, v156, v105
	v_lshrrev_b32_e32 v105, 5, v101
	v_or3_b32 v106, v156, v106, v107
	v_dual_lshlrev_b32 v107, 2, v101 :: v_dual_lshlrev_b32 v101, 9, v101
	v_and_b32_e32 v111, 16, v111
	v_and_b32_e32 v156, 0xf0f0f0f, v90
	;; [unrolled: 1-line block ×3, first 2 shown]
	v_dual_lshrrev_b32 v108, 12, v93 :: v_dual_lshrrev_b32 v109, 5, v93
	v_dual_lshlrev_b32 v110, 2, v93 :: v_dual_lshlrev_b32 v93, 9, v93
	v_dual_lshrrev_b32 v115, 12, v94 :: v_dual_lshrrev_b32 v116, 5, v94
	v_dual_lshlrev_b32 v117, 2, v94 :: v_dual_lshlrev_b32 v94, 9, v94
	v_dual_lshlrev_b32 v125, 4, v96 :: v_dual_lshlrev_b32 v126, 11, v96
	s_wait_xcnt 0x0
	v_dual_lshlrev_b32 v127, 18, v96 :: v_dual_lshlrev_b32 v128, 25, v96
	v_dual_lshrrev_b32 v91, 4, v91 :: v_dual_lshrrev_b32 v90, 4, v90
	v_and_b32_e32 v113, 0x100000, v113
	v_and_b32_e32 v114, 0x10000000, v114
	v_or3_b32 v111, v111, v156, v112
	v_and_b32_e32 v112, 0xf0f0f0f, v89
	v_and_b32_e32 v118, 16, v118
	;; [unrolled: 1-line block ×5, first 2 shown]
	v_dual_lshrrev_b32 v122, 12, v95 :: v_dual_lshrrev_b32 v123, 5, v95
	v_dual_lshlrev_b32 v124, 2, v95 :: v_dual_lshlrev_b32 v95, 9, v95
	v_dual_lshrrev_b32 v129, 12, v96 :: v_dual_lshrrev_b32 v130, 5, v96
	v_dual_lshlrev_b32 v131, 2, v96 :: v_dual_lshlrev_b32 v96, 9, v96
	v_dual_lshlrev_b32 v132, 4, v97 :: v_dual_lshlrev_b32 v133, 11, v97
	;; [unrolled: 1-line block ×3, first 2 shown]
	v_dual_lshrrev_b32 v136, 12, v97 :: v_dual_lshrrev_b32 v137, 5, v97
	v_dual_lshlrev_b32 v138, 2, v97 :: v_dual_lshlrev_b32 v97, 9, v97
	v_dual_lshlrev_b32 v139, 4, v98 :: v_dual_lshlrev_b32 v140, 11, v98
	;; [unrolled: 1-line block ×3, first 2 shown]
	v_lshrrev_b32_e32 v89, 4, v89
	v_or3_b32 v113, v156, v113, v114
	v_and_b32_e32 v114, 0xf0f0f0f, v88
	v_lshrrev_b32_e32 v88, 4, v88
	s_wait_loadcnt 0x11
	v_and_b32_e32 v156, 0xf0f0f0f, v103
	v_lshrrev_b32_e32 v103, 4, v103
	v_or3_b32 v118, v118, v112, v119
	v_or3_b32 v112, v112, v120, v121
	v_and_b32_e32 v121, 0xf0f0f0f, v92
	v_dual_lshrrev_b32 v92, 4, v92 :: v_dual_bitop2_b32 v115, 16, v115 bitop3:0x40
	v_and_b32_e32 v108, 16, v108
	v_and_b32_e32 v109, 0x1000, v109
	;; [unrolled: 1-line block ×13, first 2 shown]
	v_dual_lshrrev_b32 v143, 12, v98 :: v_dual_lshrrev_b32 v144, 5, v98
	v_dual_lshlrev_b32 v145, 2, v98 :: v_dual_lshlrev_b32 v98, 9, v98
	v_dual_lshlrev_b32 v146, 4, v100 :: v_dual_lshlrev_b32 v147, 11, v100
	;; [unrolled: 1-line block ×3, first 2 shown]
	v_dual_lshrrev_b32 v150, 12, v100 :: v_dual_lshrrev_b32 v151, 5, v100
	v_dual_lshlrev_b32 v152, 2, v100 :: v_dual_lshlrev_b32 v100, 9, v100
	v_and_b32_e32 v119, 0xf0f0f0f, v102
	v_lshrrev_b32_e32 v102, 4, v102
	v_and_b32_e32 v120, 0xf0f0f0f, v99
	v_dual_lshrrev_b32 v99, 4, v99 :: v_dual_bitop2_b32 v122, 16, v122 bitop3:0x40
	v_and_b32_e32 v123, 0x1000, v123
	v_and_b32_e32 v124, 0x100000, v124
	;; [unrolled: 1-line block ×16, first 2 shown]
	v_or3_b32 v108, v108, v91, v109
	v_or3_b32 v91, v91, v110, v93
	;; [unrolled: 1-line block ×4, first 2 shown]
	v_dual_lshrrev_b32 v110, 16, v112 :: v_dual_bitop2_b32 v139, 16, v139 bitop3:0x40
	v_or3_b32 v125, v125, v114, v126
	v_or3_b32 v114, v114, v127, v128
	v_and_b32_e32 v129, 16, v129
	v_and_b32_e32 v137, 0x1000, v137
	;; [unrolled: 1-line block ×14, first 2 shown]
	v_or3_b32 v127, v156, v134, v135
	v_or3_b32 v94, v122, v89, v123
	;; [unrolled: 1-line block ×3, first 2 shown]
	v_and_b32_e32 v143, 16, v143
	v_or3_b32 v95, v129, v88, v130
	v_or3_b32 v88, v88, v131, v96
	v_and_b32_e32 v150, 16, v150
	v_or3_b32 v97, v103, v138, v97
	v_and_b32_e32 v158, 16, v158
	v_lshrrev_b32_e32 v90, 16, v90
	v_or3_b32 v128, v139, v119, v140
	v_or3_b32 v119, v119, v141, v142
	v_and_b32_e32 v136, 16, v136
	v_dual_lshrrev_b32 v122, 16, v127 :: v_dual_bitop2_b32 v132, 16, v132 bitop3:0x40
	v_and_b32_e32 v133, 0x1000, v133
	v_dual_lshrrev_b32 v91, 16, v91 :: v_dual_bitop2_b32 v146, 16, v146 bitop3:0x40
	v_and_b32_e32 v147, 0x1000, v147
	v_and_b32_e32 v154, 0x1000, v154
	v_or3_b32 v98, v102, v145, v98
	v_dual_lshrrev_b32 v119, 16, v119 :: v_dual_bitop2_b32 v153, 16, v153 bitop3:0x40
	v_or3_b32 v96, v136, v103, v137
	v_and_b32_e32 v127, 0x1f00, v93
	v_lshlrev_b16 v93, 8, v93
	v_lshlrev_b16 v129, 8, v108
	v_lshrrev_b32_e32 v89, 16, v89
	v_or3_b32 v103, v143, v102, v144
	v_lshrrev_b32_e32 v88, 16, v88
	v_or3_b32 v102, v150, v99, v151
	v_or3_b32 v99, v99, v152, v100
	v_lshrrev_b32_e32 v97, 16, v97
	v_or3_b32 v100, v158, v92, v105
	v_or3_b32 v92, v92, v107, v101
	v_and_b32_e32 v101, 0x1f00, v104
	v_lshlrev_b16 v104, 8, v104
	v_dual_lshrrev_b32 v105, 16, v106 :: v_dual_lshrrev_b32 v106, 16, v113
	v_lshlrev_b16 v107, 8, v111
	v_or3_b32 v126, v132, v156, v133
	v_or3_b32 v132, v146, v120, v147
	v_or3_b32 v133, v153, v121, v154
	v_add_nc_u16 v101, 0xf000, v101
	v_add_nc_u16 v104, 0xf000, v104
	v_and_b32_e32 v134, 0x1f00, v105
	v_lshlrev_b16 v105, 8, v105
	v_and_b32_e32 v135, 0x1f00, v106
	v_lshlrev_b16 v106, 8, v106
	v_add_nc_u16 v107, 0xf000, v107
	v_add_nc_u16 v127, 0xf000, v127
	;; [unrolled: 1-line block ×4, first 2 shown]
	v_lshlrev_b16 v109, 8, v118
	v_lshlrev_b16 v112, 8, v125
	v_lshrrev_b32_e32 v113, 16, v114
	v_and_b32_e32 v114, 0x1f00, v132
	v_lshlrev_b16 v115, 8, v132
	v_and_b32_e32 v116, 0x1f00, v133
	v_lshlrev_b16 v117, 8, v133
	v_lshlrev_b16 v123, 8, v126
	v_and_b32_e32 v130, 0x1f00, v94
	v_lshlrev_b16 v94, 8, v94
	v_and_b32_e32 v141, 0x1f00, v90
	v_lshlrev_b16 v90, 8, v90
	v_perm_b32 v101, v104, v101, 0xc0c0105
	v_add_nc_u16 v104, 0xf000, v134
	v_add_nc_u16 v105, 0xf000, v105
	;; [unrolled: 1-line block ×4, first 2 shown]
	v_lshrrev_b16 v107, 8, v107
	v_perm_b32 v93, v93, v127, 0xc0c0105
	v_lshrrev_b16 v127, 8, v129
	v_add_nc_u16 v109, 0xf000, v109
	v_and_b32_e32 v136, 0x1f00, v110
	v_lshlrev_b16 v110, 8, v110
	v_add_nc_u16 v112, 0xf000, v112
	v_add_nc_u16 v114, 0xf000, v114
	;; [unrolled: 1-line block ×5, first 2 shown]
	v_and_b32_e32 v138, 0x1f00, v122
	v_lshlrev_b16 v122, 8, v122
	v_add_nc_u16 v123, 0xf000, v123
	v_and_b32_e32 v140, 0x1f00, v91
	v_lshlrev_b16 v91, 8, v91
	v_add_nc_u16 v130, 0xf000, v130
	v_add_nc_u16 v94, 0xf000, v94
	v_and_b32_e32 v142, 0x1f00, v89
	v_lshlrev_b16 v89, 8, v89
	v_add_nc_u16 v129, 0xf000, v141
	v_add_nc_u16 v90, 0xf000, v90
	v_perm_b32 v104, v105, v104, 0xc0c0105
	v_perm_b32 v105, v106, v134, 0xc0c0105
	v_bitop3_b16 v106, v111, v107, 0x1f00 bitop3:0xec
	v_bitop3_b16 v108, v108, v127, 0x1f00 bitop3:0xec
	v_lshrrev_b16 v109, 8, v109
	v_and_b32_e32 v131, 0x1f00, v95
	v_lshlrev_b16 v95, 8, v95
	v_add_nc_u16 v135, 0xf000, v136
	v_add_nc_u16 v110, 0xf000, v110
	v_lshrrev_b16 v112, 8, v112
	v_perm_b32 v114, v115, v114, 0xc0c0105
	v_perm_b32 v115, v117, v116, 0xc0c0105
	v_add_nc_u16 v117, 0xf000, v122
	v_lshrrev_b16 v122, 8, v123
	v_add_nc_u16 v123, 0xf000, v140
	v_add_nc_u16 v91, 0xf000, v91
	v_perm_b32 v94, v94, v130, 0xc0c0105
	v_add_nc_u16 v130, 0xf000, v142
	v_add_nc_u16 v89, 0xf000, v89
	v_perm_b32 v90, v90, v129, 0xc0c0105
	v_lshl_or_b32 v101, v104, 16, v101
	v_add_nc_u16 v104, 0xf000, v106
	v_add_nc_u16 v106, 0xf000, v108
	v_bitop3_b16 v107, v118, v109, 0x1f00 bitop3:0xec
	v_and_b32_e32 v137, 0x1f00, v113
	v_lshlrev_b16 v113, 8, v113
	v_add_nc_u16 v131, 0xf000, v131
	v_add_nc_u16 v95, 0xf000, v95
	v_and_b32_e32 v143, 0x1f00, v88
	v_lshlrev_b16 v88, 8, v88
	v_perm_b32 v109, v110, v135, 0xc0c0105
	v_bitop3_b16 v110, v125, v112, 0x1f00 bitop3:0xec
	v_perm_b32 v91, v91, v123, 0xc0c0105
	v_perm_b32 v89, v89, v130, 0xc0c0105
	v_lshl_or_b32 v90, v90, 16, v93
	v_and_b32_e32 v93, 0xffff, v106
	v_add_nc_u16 v107, 0xf000, v107
	v_add_nc_u16 v136, 0xf000, v137
	;; [unrolled: 1-line block ×3, first 2 shown]
	v_perm_b32 v95, v95, v131, 0xc0c0105
	v_add_nc_u16 v131, 0xf000, v143
	v_add_nc_u16 v88, 0xf000, v88
	;; [unrolled: 1-line block ×3, first 2 shown]
	v_and_b32_e32 v132, 0x1f00, v96
	v_lshlrev_b16 v96, 8, v96
	v_lshl_or_b32 v89, v89, 16, v94
	v_and_b32_e32 v94, 0xffff, v104
	v_lshl_or_b32 v91, v91, 16, v93
	v_and_b32_e32 v104, 0xffff, v107
	v_perm_b32 v111, v113, v136, 0xc0c0105
	v_perm_b32 v88, v88, v131, 0xc0c0105
	v_and_b32_e32 v106, 0xffff, v108
	v_and_b32_e32 v148, 0x100000, v148
	;; [unrolled: 1-line block ×3, first 2 shown]
	v_lshlrev_b16 v124, 8, v128
	v_and_b32_e32 v139, 0x1f00, v119
	v_lshlrev_b16 v119, 8, v119
	v_add_nc_u16 v132, 0xf000, v132
	v_add_nc_u16 v96, 0xf000, v96
	v_and_b32_e32 v144, 0x1f00, v97
	v_lshlrev_b16 v97, 8, v97
	v_lshl_or_b32 v93, v105, 16, v94
	ds_store_2addr_b32 v5, v101, v91 offset1:1
	v_add_nc_u32_e32 v91, 0x820, v5
	v_lshl_or_b32 v94, v109, 16, v104
	v_lshl_or_b32 v88, v88, 16, v95
	;; [unrolled: 1-line block ×3, first 2 shown]
	v_or3_b32 v120, v120, v148, v149
	v_perm_b32 v96, v96, v132, 0xc0c0105
	v_add_nc_u16 v132, 0xf000, v144
	v_add_nc_u16 v97, 0xf000, v97
	ds_store_2addr_b32 v91, v93, v90 offset1:1
	ds_store_2addr_b32 v7, v94, v89 offset1:1
	;; [unrolled: 1-line block ×3, first 2 shown]
	v_add_nc_u16 v88, 0xf000, v139
	v_lshrrev_b32_e32 v89, 16, v98
	v_add_nc_u16 v90, 0xf000, v119
	v_add_nc_u16 v93, 0xf000, v124
	v_and_b32_e32 v133, 0x1f00, v103
	v_lshlrev_b16 v103, 8, v103
	v_perm_b32 v94, v97, v132, 0xc0c0105
	v_and_b32_e32 v95, 0x1f00, v89
	v_perm_b32 v88, v90, v88, 0xc0c0105
	v_lshlrev_b16 v89, 8, v89
	v_lshrrev_b16 v90, 8, v93
	v_dual_lshrrev_b32 v93, 16, v120 :: v_dual_lshrrev_b32 v97, 16, v99
	v_lshlrev_b16 v98, 8, v102
	v_and_b32_e32 v155, 0x100000, v155
	v_and_b32_e32 v157, 0x10000000, v157
	v_add_nc_u16 v133, 0xf000, v133
	v_add_nc_u16 v103, 0xf000, v103
	;; [unrolled: 1-line block ×4, first 2 shown]
	v_and_b32_e32 v99, 0x1f00, v93
	v_lshlrev_b16 v93, 8, v93
	v_and_b32_e32 v101, 0x1f00, v97
	v_lshlrev_b16 v97, 8, v97
	v_add_nc_u16 v98, 0xf000, v98
	v_or3_b32 v121, v121, v155, v157
	v_perm_b32 v103, v103, v133, 0xc0c0105
	v_bitop3_b16 v91, v126, v122, 0x1f00 bitop3:0xec
	v_add_nc_u16 v99, 0xf000, v99
	v_add_nc_u16 v93, 0xf000, v93
	;; [unrolled: 1-line block ×4, first 2 shown]
	v_lshrrev_b16 v98, 8, v98
	v_bitop3_b16 v90, v128, v90, 0x1f00 bitop3:0xec
	v_perm_b32 v89, v89, v95, 0xc0c0105
	v_perm_b32 v93, v93, v99, 0xc0c0105
	;; [unrolled: 1-line block ×3, first 2 shown]
	v_bitop3_b16 v97, v102, v98, 0x1f00 bitop3:0xec
	v_add_nc_u16 v91, 0xf000, v91
	v_lshl_or_b32 v94, v94, 16, v96
	v_dual_lshrrev_b32 v96, 16, v121 :: v_dual_lshrrev_b32 v92, 16, v92
	v_lshl_or_b32 v98, v89, 16, v103
	v_add_nc_u16 v89, 0xf000, v90
	v_and_b32_e32 v90, 0xffff, v91
	v_lshl_or_b32 v91, v93, 16, v114
	v_and_b32_e32 v93, 0x1f00, v96
	v_lshlrev_b16 v96, 8, v96
	v_and_b32_e32 v89, 0xffff, v89
	v_lshlrev_b16 v99, 8, v100
	s_wait_loadcnt 0xc
	v_ashrrev_i32_e32 v87, v8, v87
	v_add_nc_u16 v93, 0xf000, v93
	v_add_nc_u16 v96, 0xf000, v96
	v_lshl_or_b32 v101, v88, 16, v89
	v_add_nc_u16 v88, 0xf000, v97
	v_add_nc_u16 v89, 0xf000, v99
	v_lshlrev_b32_e32 v97, 4, v87
	v_perm_b32 v93, v96, v93, 0xc0c0105
	v_and_b32_e32 v96, 0x1f00, v92
	v_lshlrev_b16 v92, 8, v92
	v_lshrrev_b16 v89, 8, v89
	v_dual_lshlrev_b32 v99, 11, v87 :: v_dual_bitop2_b32 v97, 16, v97 bitop3:0x40
	v_and_b32_e32 v88, 0xffff, v88
	v_add_nc_u16 v96, 0xf000, v96
	s_delay_alu instid0(VALU_DEP_4)
	v_bitop3_b16 v89, v100, v89, 0x1f00 bitop3:0xec
	v_add_nc_u16 v92, 0xf000, v92
	v_and_b32_e32 v99, 0x1000, v99
	s_wait_loadcnt 0x8
	v_and_b32_e32 v100, 0xf0f0f0f, v86
	v_lshl_or_b32 v95, v95, 16, v88
	v_lshrrev_b32_e32 v86, 4, v86
	v_perm_b32 v88, v92, v96, 0xc0c0105
	v_lshrrev_b32_e32 v96, 12, v87
	v_or3_b32 v92, v97, v100, v99
	v_dual_lshrrev_b32 v97, 5, v87 :: v_dual_lshlrev_b32 v99, 18, v87
	s_delay_alu instid0(VALU_DEP_3) | instskip(SKIP_1) | instid1(VALU_DEP_3)
	v_dual_lshlrev_b32 v102, 25, v87 :: v_dual_bitop2_b32 v96, 16, v96 bitop3:0x40
	v_and_b32_e32 v86, 0xf0f0f0f, v86
	v_and_b32_e32 v97, 0x1000, v97
	v_dual_lshlrev_b32 v103, 2, v87 :: v_dual_lshlrev_b32 v87, 9, v87
	v_and_b32_e32 v99, 0x100000, v99
	v_and_b32_e32 v102, 0x10000000, v102
	s_delay_alu instid0(VALU_DEP_4) | instskip(NEXT) | instid1(VALU_DEP_4)
	v_or3_b32 v96, v96, v86, v97
	v_and_b32_e32 v97, 0x100000, v103
	v_and_b32_e32 v87, 0x10000000, v87
	v_add_nc_u16 v89, 0xf000, v89
	v_or3_b32 v99, v100, v99, v102
	v_lshlrev_b16 v100, 8, v96
	v_and_b32_e32 v102, 0x1f00, v92
	v_or3_b32 v86, v86, v97, v87
	v_lshlrev_b16 v87, 8, v92
	v_lshrrev_b32_e32 v92, 16, v99
	v_add_nc_u16 v97, 0xf000, v100
	v_add_nc_u16 v99, 0xf000, v102
	v_lshrrev_b32_e32 v86, 16, v86
	v_and_b32_e32 v89, 0xffff, v89
	v_add_nc_u16 v116, 0xf000, v138
	v_lshrrev_b16 v97, 8, v97
	v_add_nc_u16 v87, 0xf000, v87
	v_and_b32_e32 v102, 0x1f00, v86
	v_lshlrev_b16 v86, 8, v86
	v_and_b32_e32 v100, 0x1f00, v92
	v_bitop3_b16 v96, v96, v97, 0x1f00 bitop3:0xec
	v_lshlrev_b16 v92, 8, v92
	v_add_nc_u16 v97, 0xf000, v102
	v_add_nc_u16 v86, 0xf000, v86
	v_lshl_or_b32 v102, v88, 16, v89
	v_add_nc_u16 v88, 0xf000, v96
	v_perm_b32 v104, v117, v116, 0xc0c0105
	v_perm_b32 v96, v87, v99, 0xc0c0105
	;; [unrolled: 1-line block ×3, first 2 shown]
	v_mad_nc_u64_u32 v[86:87], v42, 22, v[54:55]
	v_add_nc_u16 v100, 0xf000, v100
	v_add_nc_u16 v92, 0xf000, v92
	v_and_b32_e32 v99, 0xffff, v88
	v_mad_nc_u64_u32 v[88:89], v46, 22, v[54:55]
	v_mad_nc_u64_u32 v[54:55], v50, 22, v[54:55]
	v_lshl_or_b32 v90, v104, 16, v90
	v_perm_b32 v92, v92, v100, 0xc0c0105
	v_lshl_or_b32 v93, v93, 16, v115
	ds_store_2addr_b32 v13, v90, v94 offset1:1
	ds_store_2addr_b32 v15, v101, v98 offset1:1
	;; [unrolled: 1-line block ×4, first 2 shown]
	v_lshl_or_b32 v90, v92, 16, v96
	v_lshl_or_b32 v91, v97, 16, v99
	s_clause 0x2
	global_load_u16 v95, v[86:87], off
	global_load_u16 v96, v[88:89], off
	;; [unrolled: 1-line block ×3, first 2 shown]
	v_ashrrev_i32_e32 v85, v8, v85
	v_and_b32_e32 v94, 0xf0f0f0f, v84
	v_ashrrev_i32_e32 v82, v8, v82
	ds_store_2addr_b32 v23, v90, v91 offset1:1
	v_dual_ashrrev_i32 v80, v8, v80 :: v_dual_lshlrev_b32 v100, 4, v85
	s_wait_loadcnt 0x7
	v_dual_ashrrev_i32 v77, v8, v77 :: v_dual_ashrrev_i32 v76, v8, v76
	v_dual_ashrrev_i32 v74, v8, v74 :: v_dual_ashrrev_i32 v53, v8, v53
	s_delay_alu instid0(VALU_DEP_3) | instskip(SKIP_4) | instid1(VALU_DEP_3)
	v_and_b32_e32 v92, 16, v100
	s_wait_xcnt 0x0
	v_dual_lshrrev_b32 v54, 4, v84 :: v_dual_lshrrev_b32 v55, 12, v85
	v_dual_lshrrev_b32 v84, 5, v85 :: v_dual_lshlrev_b32 v87, 18, v85
	v_lshlrev_b32_e32 v103, 11, v85
	v_and_b32_e32 v54, 0xf0f0f0f, v54
	s_delay_alu instid0(VALU_DEP_4) | instskip(NEXT) | instid1(VALU_DEP_4)
	v_dual_lshlrev_b32 v88, 25, v85 :: v_dual_bitop2_b32 v55, 16, v55 bitop3:0x40
	v_and_b32_e32 v84, 0x1000, v84
	s_delay_alu instid0(VALU_DEP_4) | instskip(SKIP_2) | instid1(VALU_DEP_4)
	v_and_b32_e32 v93, 0x1000, v103
	v_dual_lshlrev_b32 v89, 2, v85 :: v_dual_lshlrev_b32 v85, 9, v85
	v_and_b32_e32 v87, 0x100000, v87
	v_or3_b32 v55, v55, v54, v84
	s_delay_alu instid0(VALU_DEP_4)
	v_or3_b32 v86, v92, v94, v93
	v_and_b32_e32 v84, 0x10000000, v88
	v_and_b32_e32 v88, 0x100000, v89
	;; [unrolled: 1-line block ×3, first 2 shown]
	v_lshlrev_b16 v89, 8, v55
	v_cvt_f32_f16_e32 v83, v83
	v_or3_b32 v84, v94, v87, v84
	v_and_b32_e32 v87, 0x1f00, v86
	v_or3_b32 v54, v54, v88, v85
	v_lshlrev_b16 v85, 8, v86
	v_add_nc_u16 v86, 0xf000, v89
	v_lshrrev_b32_e32 v84, 16, v84
	v_add_nc_u16 v87, 0xf000, v87
	v_lshrrev_b32_e32 v54, 16, v54
	v_add_nc_u16 v85, 0xf000, v85
	v_lshrrev_b16 v86, 8, v86
	v_and_b32_e32 v88, 0x1f00, v84
	v_lshlrev_b16 v84, 8, v84
	v_and_b32_e32 v89, 0x1f00, v54
	v_lshlrev_b16 v54, 8, v54
	v_bitop3_b16 v55, v55, v86, 0x1f00 bitop3:0xec
	v_add_nc_u16 v86, 0xf000, v88
	v_add_nc_u16 v84, 0xf000, v84
	;; [unrolled: 1-line block ×5, first 2 shown]
	v_perm_b32 v85, v85, v87, 0xc0c0105
	v_perm_b32 v84, v84, v86, 0xc0c0105
	v_lshlrev_b32_e32 v86, 4, v82
	v_perm_b32 v54, v54, v88, 0xc0c0105
	v_and_b32_e32 v55, 0xffff, v55
	v_lshlrev_b32_e32 v89, 4, v80
	v_lshl_or_b32 v84, v84, 16, v85
	v_lshlrev_b32_e32 v90, 11, v80
	s_delay_alu instid0(VALU_DEP_4)
	v_lshl_or_b32 v54, v54, 16, v55
	v_and_b32_e32 v55, 16, v86
	v_and_b32_e32 v86, 0xf0f0f0f, v81
	v_dual_lshrrev_b32 v81, 4, v81 :: v_dual_lshlrev_b32 v87, 11, v82
	v_lshlrev_b32_e32 v88, 25, v82
	ds_store_2addr_b32 v27, v84, v54 offset1:1
	v_and_b32_e32 v81, 0xf0f0f0f, v81
	v_and_b32_e32 v85, 0x1000, v87
	v_lshlrev_b32_e32 v87, 18, v82
	v_and_b32_e32 v84, 0x10000000, v88
	v_lshlrev_b32_e32 v88, 2, v82
	s_delay_alu instid0(VALU_DEP_4) | instskip(NEXT) | instid1(VALU_DEP_4)
	v_or3_b32 v54, v55, v86, v85
	v_and_b32_e32 v55, 0x100000, v87
	v_dual_lshrrev_b32 v85, 12, v82 :: v_dual_lshrrev_b32 v87, 5, v82
	v_lshlrev_b32_e32 v82, 9, v82
	v_and_b32_e32 v88, 0x100000, v88
	s_delay_alu instid0(VALU_DEP_4) | instskip(NEXT) | instid1(VALU_DEP_4)
	v_or3_b32 v55, v86, v55, v84
	v_and_b32_e32 v85, 16, v85
	v_and_b32_e32 v87, 0x1000, v87
	;; [unrolled: 1-line block ×4, first 2 shown]
	v_lshrrev_b32_e32 v79, 4, v79
	s_delay_alu instid0(VALU_DEP_4) | instskip(NEXT) | instid1(VALU_DEP_4)
	v_or3_b32 v84, v85, v81, v87
	v_or3_b32 v81, v81, v88, v82
	v_and_b32_e32 v82, 16, v89
	v_and_b32_e32 v85, 0x1000, v90
	v_dual_lshlrev_b32 v87, 18, v80 :: v_dual_lshlrev_b32 v88, 25, v80
	v_dual_lshrrev_b32 v89, 12, v80 :: v_dual_lshrrev_b32 v90, 5, v80
	v_and_b32_e32 v79, 0xf0f0f0f, v79
	s_delay_alu instid0(VALU_DEP_3) | instskip(NEXT) | instid1(VALU_DEP_4)
	v_and_b32_e32 v87, 0x100000, v87
	v_and_b32_e32 v88, 0x10000000, v88
	s_delay_alu instid0(VALU_DEP_4) | instskip(SKIP_4) | instid1(VALU_DEP_4)
	v_and_b32_e32 v89, 16, v89
	v_and_b32_e32 v90, 0x1000, v90
	v_dual_lshrrev_b32 v55, 16, v55 :: v_dual_lshrrev_b32 v81, 16, v81
	v_or3_b32 v82, v82, v86, v85
	v_or3_b32 v85, v86, v87, v88
	;; [unrolled: 1-line block ×3, first 2 shown]
	v_and_b32_e32 v88, 0x1f00, v54
	v_lshlrev_b16 v54, 8, v54
	v_and_b32_e32 v89, 0x1f00, v55
	v_lshlrev_b16 v55, 8, v55
	v_lshlrev_b16 v90, 8, v84
	v_dual_lshlrev_b32 v86, 2, v80 :: v_dual_lshlrev_b32 v80, 9, v80
	v_add_nc_u16 v88, 0xf000, v88
	v_add_nc_u16 v54, 0xf000, v54
	v_add_nc_u16 v89, 0xf000, v89
	v_add_nc_u16 v55, 0xf000, v55
	v_and_b32_e32 v91, 0x1f00, v81
	v_lshlrev_b16 v81, 8, v81
	v_add_nc_u16 v90, 0xf000, v90
	v_and_b32_e32 v86, 0x100000, v86
	v_and_b32_e32 v80, 0x10000000, v80
	v_perm_b32 v54, v54, v88, 0xc0c0105
	v_perm_b32 v55, v55, v89, 0xc0c0105
	v_add_nc_u16 v88, 0xf000, v91
	v_add_nc_u16 v81, 0xf000, v81
	v_lshrrev_b16 v89, 8, v90
	v_or3_b32 v79, v79, v86, v80
	v_lshl_or_b32 v54, v55, 16, v54
	v_lshrrev_b32_e32 v55, 16, v85
	v_perm_b32 v80, v81, v88, 0xc0c0105
	v_bitop3_b16 v81, v84, v89, 0x1f00 bitop3:0xec
	v_and_b32_e32 v84, 0x1f00, v82
	v_lshlrev_b16 v82, 8, v82
	v_lshlrev_b16 v86, 8, v87
	v_lshrrev_b32_e32 v79, 16, v79
	v_and_b32_e32 v85, 0x1f00, v55
	v_lshlrev_b16 v55, 8, v55
	v_add_nc_u16 v84, 0xf000, v84
	v_add_nc_u16 v82, 0xf000, v82
	;; [unrolled: 1-line block ×6, first 2 shown]
	v_perm_b32 v82, v82, v84, 0xc0c0105
	v_lshrrev_b16 v84, 8, v86
	s_delay_alu instid0(VALU_DEP_4) | instskip(NEXT) | instid1(VALU_DEP_4)
	v_perm_b32 v55, v55, v85, 0xc0c0105
	v_and_b32_e32 v81, 0xffff, v81
	v_and_b32_e32 v85, 0x1f00, v79
	v_lshlrev_b16 v79, 8, v79
	v_bitop3_b16 v84, v87, v84, 0x1f00 bitop3:0xec
	s_wait_loadcnt 0x3
	v_and_b32_e32 v87, 0xf0f0f0f, v78
	v_lshl_or_b32 v80, v80, 16, v81
	v_add_nc_u16 v81, 0xf000, v85
	v_add_nc_u16 v79, 0xf000, v79
	v_add_nc_u16 v84, 0xf000, v84
	v_dual_lshrrev_b32 v78, 4, v78 :: v_dual_lshlrev_b32 v85, 4, v77
	v_lshlrev_b32_e32 v86, 11, v77
	v_lshl_or_b32 v55, v55, 16, v82
	v_perm_b32 v79, v79, v81, 0xc0c0105
	v_and_b32_e32 v81, 0xffff, v84
	v_and_b32_e32 v82, 16, v85
	;; [unrolled: 1-line block ×3, first 2 shown]
	v_dual_lshlrev_b32 v85, 18, v77 :: v_dual_lshlrev_b32 v86, 25, v77
	v_dual_lshrrev_b32 v88, 12, v77 :: v_dual_lshrrev_b32 v89, 5, v77
	v_and_b32_e32 v78, 0xf0f0f0f, v78
	s_delay_alu instid0(VALU_DEP_3) | instskip(NEXT) | instid1(VALU_DEP_4)
	v_and_b32_e32 v85, 0x100000, v85
	v_and_b32_e32 v86, 0x10000000, v86
	s_delay_alu instid0(VALU_DEP_4)
	v_dual_lshlrev_b32 v90, 2, v77 :: v_dual_bitop2_b32 v88, 16, v88 bitop3:0x40
	v_lshlrev_b32_e32 v77, 9, v77
	v_and_b32_e32 v89, 0x1000, v89
	v_or3_b32 v82, v82, v87, v84
	v_or3_b32 v84, v87, v85, v86
	v_and_b32_e32 v85, 0x100000, v90
	v_and_b32_e32 v77, 0x10000000, v77
	v_or3_b32 v86, v88, v78, v89
	v_lshl_or_b32 v79, v79, 16, v81
	v_lshrrev_b32_e32 v84, 16, v84
	v_and_b32_e32 v81, 0x1f00, v82
	v_or3_b32 v77, v78, v85, v77
	v_lshlrev_b16 v78, 8, v86
	v_lshlrev_b16 v82, 8, v82
	v_and_b32_e32 v85, 0x1f00, v84
	v_lshlrev_b16 v84, 8, v84
	v_add_nc_u16 v81, 0xf000, v81
	v_add_nc_u16 v78, 0xf000, v78
	;; [unrolled: 1-line block ×3, first 2 shown]
	v_lshrrev_b32_e32 v77, 16, v77
	v_add_nc_u16 v85, 0xf000, v85
	v_add_nc_u16 v84, 0xf000, v84
	v_lshrrev_b16 v78, 8, v78
	v_perm_b32 v81, v82, v81, 0xc0c0105
	ds_store_2addr_b32 v33, v54, v80 offset1:1
	v_dual_lshlrev_b32 v87, 18, v74 :: v_dual_lshlrev_b32 v88, 25, v74
	v_bitop3_b16 v78, v86, v78, 0x1f00 bitop3:0xec
	v_perm_b32 v84, v84, v85, 0xc0c0105
	v_and_b32_e32 v85, 0xf0f0f0f, v75
	v_dual_lshrrev_b32 v75, 4, v75 :: v_dual_lshlrev_b32 v89, 4, v53
	v_lshlrev_b32_e32 v90, 11, v53
	v_add_nc_u16 v54, 0xf000, v78
	v_lshlrev_b32_e32 v78, 4, v76
	v_and_b32_e32 v82, 0x1f00, v77
	v_lshlrev_b16 v77, 8, v77
	v_lshl_or_b32 v80, v84, 16, v81
	s_delay_alu instid0(VALU_DEP_4) | instskip(NEXT) | instid1(VALU_DEP_4)
	v_dual_lshlrev_b32 v81, 11, v76 :: v_dual_bitop2_b32 v78, 16, v78 bitop3:0x40
	v_add_nc_u16 v82, 0xf000, v82
	s_delay_alu instid0(VALU_DEP_4) | instskip(SKIP_3) | instid1(VALU_DEP_4)
	v_add_nc_u16 v77, 0xf000, v77
	v_and_b32_e32 v54, 0xffff, v54
	v_lshlrev_b32_e32 v84, 25, v76
	v_and_b32_e32 v81, 0x1000, v81
	v_perm_b32 v77, v77, v82, 0xc0c0105
	v_lshlrev_b32_e32 v82, 18, v76
	s_delay_alu instid0(VALU_DEP_3) | instskip(SKIP_1) | instid1(VALU_DEP_4)
	v_or3_b32 v78, v78, v85, v81
	v_lshrrev_b32_e32 v81, 12, v76
	v_lshl_or_b32 v54, v77, 16, v54
	s_delay_alu instid0(VALU_DEP_4) | instskip(SKIP_4) | instid1(VALU_DEP_4)
	v_and_b32_e32 v77, 0x100000, v82
	v_and_b32_e32 v82, 0x10000000, v84
	v_lshrrev_b32_e32 v84, 5, v76
	v_and_b32_e32 v75, 0xf0f0f0f, v75
	v_and_b32_e32 v81, 16, v81
	v_or3_b32 v77, v85, v77, v82
	s_delay_alu instid0(VALU_DEP_4) | instskip(SKIP_2) | instid1(VALU_DEP_3)
	v_and_b32_e32 v82, 0x1000, v84
	v_dual_lshlrev_b32 v84, 2, v76 :: v_dual_lshlrev_b32 v76, 9, v76
	v_dual_lshlrev_b32 v85, 4, v74 :: v_dual_lshlrev_b32 v86, 11, v74
	v_or3_b32 v81, v81, v75, v82
	s_delay_alu instid0(VALU_DEP_3) | instskip(NEXT) | instid1(VALU_DEP_4)
	v_and_b32_e32 v82, 0x100000, v84
	v_and_b32_e32 v76, 0x10000000, v76
	s_delay_alu instid0(VALU_DEP_4)
	v_and_b32_e32 v84, 16, v85
	v_and_b32_e32 v85, 0x1000, v86
	v_and_b32_e32 v86, 0xf0f0f0f, v73
	v_lshrrev_b32_e32 v73, 4, v73
	v_or3_b32 v75, v75, v82, v76
	v_and_b32_e32 v82, 0x100000, v87
	v_lshrrev_b32_e32 v87, 5, v74
	v_or3_b32 v76, v84, v86, v85
	v_and_b32_e32 v84, 0x10000000, v88
	v_dual_lshrrev_b32 v85, 12, v74 :: v_dual_lshlrev_b32 v88, 2, v74
	v_lshlrev_b32_e32 v74, 9, v74
	v_and_b32_e32 v73, 0xf0f0f0f, v73
	v_and_b32_e32 v87, 0x1000, v87
	s_delay_alu instid0(VALU_DEP_4)
	v_and_b32_e32 v85, 16, v85
	v_and_b32_e32 v88, 0x100000, v88
	;; [unrolled: 1-line block ×3, first 2 shown]
	v_or3_b32 v82, v86, v82, v84
	v_and_b32_e32 v86, 0xf0f0f0f, v52
	v_lshrrev_b32_e32 v52, 4, v52
	v_or3_b32 v84, v85, v73, v87
	v_or3_b32 v73, v73, v88, v74
	v_dual_lshlrev_b32 v87, 18, v53 :: v_dual_lshlrev_b32 v88, 25, v53
	v_dual_lshrrev_b32 v75, 16, v75 :: v_dual_bitop2_b32 v74, 16, v89 bitop3:0x40
	v_and_b32_e32 v85, 0x1000, v90
	v_dual_lshrrev_b32 v89, 12, v53 :: v_dual_lshrrev_b32 v90, 5, v53
	s_delay_alu instid0(VALU_DEP_4) | instskip(SKIP_2) | instid1(VALU_DEP_4)
	v_and_b32_e32 v87, 0x100000, v87
	v_and_b32_e32 v88, 0x10000000, v88
	;; [unrolled: 1-line block ×5, first 2 shown]
	v_or3_b32 v74, v74, v86, v85
	v_or3_b32 v86, v86, v87, v88
	v_lshrrev_b32_e32 v77, 16, v77
	v_and_b32_e32 v88, 0x1f00, v78
	v_or3_b32 v87, v89, v52, v90
	v_lshlrev_b16 v78, 8, v78
	v_lshrrev_b32_e32 v86, 16, v86
	v_and_b32_e32 v89, 0x1f00, v77
	v_lshlrev_b16 v77, 8, v77
	v_dual_lshlrev_b32 v85, 2, v53 :: v_dual_lshlrev_b32 v53, 9, v53
	v_add_nc_u16 v88, 0xf000, v88
	v_add_nc_u16 v78, 0xf000, v78
	v_add_nc_u16 v89, 0xf000, v89
	v_add_nc_u16 v77, 0xf000, v77
	v_lshlrev_b16 v90, 8, v81
	v_and_b32_e32 v85, 0x100000, v85
	v_and_b32_e32 v53, 0x10000000, v53
	v_perm_b32 v78, v78, v88, 0xc0c0105
	v_perm_b32 v77, v77, v89, 0xc0c0105
	v_add_nc_u16 v88, 0xf000, v90
	v_and_b32_e32 v91, 0x1f00, v75
	v_or3_b32 v52, v52, v85, v53
	v_lshrrev_b32_e32 v73, 16, v73
	v_lshl_or_b32 v53, v77, 16, v78
	v_lshrrev_b32_e32 v78, 16, v82
	v_and_b32_e32 v82, 0x1f00, v76
	v_lshlrev_b16 v76, 8, v76
	v_lshrrev_b16 v77, 8, v88
	v_lshlrev_b16 v88, 8, v84
	v_lshrrev_b32_e32 v52, 16, v52
	v_add_nc_u16 v82, 0xf000, v82
	v_add_nc_u16 v76, 0xf000, v76
	v_bitop3_b16 v77, v81, v77, 0x1f00 bitop3:0xec
	v_and_b32_e32 v81, 0x1f00, v78
	v_lshlrev_b16 v78, 8, v78
	v_and_b32_e32 v85, 0x1f00, v73
	v_lshlrev_b16 v73, 8, v73
	v_perm_b32 v76, v76, v82, 0xc0c0105
	v_lshlrev_b16 v82, 8, v87
	v_add_nc_u16 v81, 0xf000, v81
	v_add_nc_u16 v78, 0xf000, v78
	;; [unrolled: 1-line block ×6, first 2 shown]
	v_perm_b32 v78, v78, v81, 0xc0c0105
	v_lshrrev_b16 v81, 8, v88
	v_lshlrev_b16 v75, 8, v75
	v_perm_b32 v73, v73, v85, 0xc0c0105
	v_and_b32_e32 v85, 0x1f00, v74
	v_lshrrev_b16 v82, 8, v82
	v_bitop3_b16 v81, v84, v81, 0x1f00 bitop3:0xec
	v_lshlrev_b16 v74, 8, v74
	v_and_b32_e32 v88, 0x1f00, v52
	v_add_nc_u16 v84, 0xf000, v85
	v_and_b32_e32 v85, 0x1f00, v86
	v_lshlrev_b16 v86, 8, v86
	v_lshlrev_b16 v52, 8, v52
	v_bitop3_b16 v82, v87, v82, 0x1f00 bitop3:0xec
	v_add_nc_u16 v89, 0xf000, v91
	v_add_nc_u16 v75, 0xf000, v75
	;; [unrolled: 1-line block ×10, first 2 shown]
	v_perm_b32 v75, v75, v89, 0xc0c0105
	v_and_b32_e32 v77, 0xffff, v77
	v_and_b32_e32 v81, 0xffff, v81
	v_perm_b32 v74, v74, v84, 0xc0c0105
	v_perm_b32 v84, v86, v85, 0xc0c0105
	;; [unrolled: 1-line block ×3, first 2 shown]
	v_and_b32_e32 v82, 0xffff, v82
	v_lshl_or_b32 v75, v75, 16, v77
	v_lshl_or_b32 v76, v78, 16, v76
	;; [unrolled: 1-line block ×5, first 2 shown]
	ds_store_2addr_b32 v35, v55, v79 offset1:1
	ds_store_2addr_b32 v37, v80, v54 offset1:1
	;; [unrolled: 1-line block ×5, first 2 shown]
	s_wait_loadcnt 0x2
	v_cvt_f32_f16_e32 v52, v95
	s_wait_loadcnt 0x1
	v_cvt_f32_f16_e32 v53, v96
	;; [unrolled: 2-line block ×3, first 2 shown]
	ds_store_b32 v69, v83
	ds_store_b32 v70, v52
	;; [unrolled: 1-line block ×4, first 2 shown]
	s_cbranch_scc0 .LBB181_4
; %bb.6:                                ;   in Loop: Header=BB181_5 Depth=1
	v_add_nc_u32_e32 v52, s12, v25
	s_delay_alu instid0(VALU_DEP_1) | instskip(SKIP_1) | instid1(SALU_CYCLE_1)
	v_cmp_gt_i32_e64 s1, s5, v52
	s_and_b32 s17, s0, s1
	s_and_saveexec_b32 s1, s17
	s_cbranch_execz .LBB181_8
; %bb.7:                                ;   in Loop: Header=BB181_5 Depth=1
	v_add_nc_u32_e32 v52, v28, v52
	s_delay_alu instid0(VALU_DEP_1)
	v_mad_nc_i64_i32 v[52:53], v52, 36, v[30:31]
	global_load_b32 v52, v[52:53], off offset:4
	s_wait_loadcnt 0x0
	ds_store_b32 v51, v52
.LBB181_8:                              ;   in Loop: Header=BB181_5 Depth=1
	s_or_b32 exec_lo, exec_lo, s1
	v_add_nc_u32_e32 v52, s12, v3
	s_delay_alu instid0(VALU_DEP_1) | instskip(SKIP_1) | instid1(SALU_CYCLE_1)
	v_cmp_gt_i32_e64 s1, s5, v52
	s_and_b32 s17, s19, s1
	s_and_saveexec_b32 s1, s17
	s_cbranch_execz .LBB181_10
; %bb.9:                                ;   in Loop: Header=BB181_5 Depth=1
	v_add_nc_u32_e32 v53, v28, v52
	s_delay_alu instid0(VALU_DEP_1)
	v_mad_nc_i64_i32 v[54:55], v53, 36, s[2:3]
	global_load_b32 v53, v[54:55], off
	s_wait_loadcnt 0x0
	v_cvt_f32_f16_e32 v53, v53
	ds_store_b32 v56, v53
.LBB181_10:                             ;   in Loop: Header=BB181_5 Depth=1
	s_or_b32 exec_lo, exec_lo, s1
	v_dual_mov_b32 v53, v45 :: v_dual_mov_b32 v54, v58
	v_dual_mov_b32 v55, v47 :: v_dual_mov_b32 v73, v63
	;; [unrolled: 1-line block ×3, first 2 shown]
	v_mov_b32_e32 v76, v60
	s_mov_b32 s1, -4
	s_wait_dscnt 0x0
	s_barrier_signal -1
	s_barrier_wait -1
.LBB181_11:                             ;   Parent Loop BB181_5 Depth=1
                                        ; =>  This Inner Loop Header: Depth=2
	ds_load_2addr_b32 v[78:79], v53 offset0:3 offset1:4
	ds_load_2addr_b32 v[80:81], v53 offset0:5 offset1:6
	ds_load_2addr_b32 v[82:83], v54 offset1:1
	ds_load_2addr_b32 v[84:85], v53 offset0:1 offset1:2
	ds_load_2addr_b32 v[86:87], v53 offset1:7
	ds_load_b32 v122, v73
	ds_load_b32 v123, v74
	;; [unrolled: 1-line block ×5, first 2 shown]
	ds_load_2addr_b32 v[92:93], v54 offset0:2 offset1:3
	ds_load_2addr_b32 v[94:95], v54 offset0:4 offset1:5
	;; [unrolled: 1-line block ×3, first 2 shown]
	v_add_nc_u32_e32 v77, 0x2080, v54
	v_add_nc_u32_e32 v91, 0x2088, v54
	;; [unrolled: 1-line block ×11, first 2 shown]
	v_dual_add_nc_u32 v55, 4, v55 :: v_dual_add_nc_u32 v76, 4, v76
	v_add_nc_u32_e32 v75, 4, v75
	s_wait_dscnt 0xc
	v_dual_lshlrev_b32 v129, 24, v79 :: v_dual_lshlrev_b32 v130, 16, v79
	s_wait_dscnt 0x3
	v_dual_mul_f32 v122, v90, v122 :: v_dual_lshlrev_b32 v131, 24, v84
	v_add_nc_u32_e32 v102, 0x2090, v54
	ds_load_2addr_b32 v[98:99], v77 offset1:1
	ds_load_2addr_b32 v[100:101], v91 offset1:1
	;; [unrolled: 1-line block ×12, first 2 shown]
	v_dual_lshlrev_b32 v77, 8, v79 :: v_dual_lshlrev_b32 v124, 8, v80
	v_dual_lshlrev_b32 v132, 16, v84 :: v_dual_lshlrev_b32 v135, 24, v85
	;; [unrolled: 1-line block ×8, first 2 shown]
	v_lshlrev_b32_e32 v141, 24, v87
	v_perm_b32 v143, v80, v84, 0x7030c0c
	v_perm_b32 v146, v130, v129, 0xc0c0703
	;; [unrolled: 1-line block ×5, first 2 shown]
	s_wait_dscnt 0x3
	v_perm_b32 v130, v114, v130, 0xc0c0503
	v_perm_b32 v132, v134, v132, 0x7030c0c
	s_wait_dscnt 0x2
	v_perm_b32 v134, v117, v116, 0x5010c0c
	v_perm_b32 v154, v86, v115, 0xc0c0501
	;; [unrolled: 1-line block ×5, first 2 shown]
	v_dot4_i32_iu8 v82, v86, v82, 0 neg_lo:[1,1,0]
	v_perm_b32 v144, v81, v85, 0xc0c0703
	v_perm_b32 v145, v87, v78, 0x7030c0c
	v_lshlrev_b32_e32 v142, 16, v87
	v_dot4_i32_iu8 v98, v86, v98, 0 neg_lo:[1,1,0]
	v_dot4_i32_iu8 v106, v86, v106, 0 neg_lo:[1,1,0]
	v_perm_b32 v84, v84, v91, 0x7030c0c
	v_perm_b32 v80, v80, v124, 0x7030c0c
	;; [unrolled: 1-line block ×18, first 2 shown]
	s_wait_dscnt 0x1
	v_perm_b32 v137, v119, v118, 0xc0c0703
	s_wait_dscnt 0x0
	v_perm_b32 v139, v121, v120, 0x7030c0c
	v_or_b32_e32 v130, v132, v130
	v_or_b32_e32 v132, v134, v154
	;; [unrolled: 1-line block ×4, first 2 shown]
	v_perm_b32 v150, v136, v135, 0xc0c0703
	v_or_b32_e32 v135, v145, v144
	v_or_b32_e32 v86, v114, v86
	;; [unrolled: 1-line block ×4, first 2 shown]
	v_dot4_i32_iu8 v79, v79, v134, 0 neg_lo:[1,1,0]
	v_perm_b32 v85, v85, v125, 0x7030c0c
	v_perm_b32 v81, v81, v126, 0x7030c0c
	;; [unrolled: 1-line block ×9, first 2 shown]
	v_dot4_i32_iu8 v79, v135, v117, v79 neg_lo:[1,1,0]
	v_or_b32_e32 v136, v147, v146
	v_dual_add_nc_u32 v54, 32, v54 :: v_dual_bitop2_b32 v84, v84, v148 bitop3:0x54
	v_or_b32_e32 v80, v80, v149
	v_perm_b32 v121, v142, v140, 0x7030c0c
	s_delay_alu instid0(VALU_DEP_4) | instskip(SKIP_3) | instid1(VALU_DEP_4)
	v_dot4_i32_iu8 v82, v136, v83, v82 neg_lo:[1,1,0]
	v_dot4_i32_iu8 v83, v136, v99, v98 neg_lo:[1,1,0]
	;; [unrolled: 1-line block ×3, first 2 shown]
	v_dual_add_nc_u32 v53, 32, v53 :: v_dual_bitop2_b32 v85, v85, v150 bitop3:0x54
	v_dot4_i32_iu8 v82, v84, v92, v82 neg_lo:[1,1,0]
	s_delay_alu instid0(VALU_DEP_4) | instskip(NEXT) | instid1(VALU_DEP_4)
	v_dot4_i32_iu8 v83, v84, v100, v83 neg_lo:[1,1,0]
	v_dot4_i32_iu8 v84, v84, v108, v98 neg_lo:[1,1,0]
	v_or_b32_e32 v81, v81, v151
	v_or_b32_e32 v129, v131, v129
	v_dot4_i32_iu8 v82, v80, v93, v82 neg_lo:[1,1,0]
	v_dot4_i32_iu8 v83, v80, v101, v83 neg_lo:[1,1,0]
	;; [unrolled: 1-line block ×3, first 2 shown]
	v_or_b32_e32 v131, v133, v157
	v_or_b32_e32 v77, v91, v77
	;; [unrolled: 1-line block ×4, first 2 shown]
	v_dot4_i32_iu8 v106, v130, v132, 0 neg_lo:[1,1,0]
	v_dot4_i32_iu8 v82, v85, v94, v82 neg_lo:[1,1,0]
	;; [unrolled: 1-line block ×4, first 2 shown]
	v_perm_b32 v153, v142, v141, 0xc0c0703
	v_or_b32_e32 v78, v78, v152
	v_or_b32_e32 v91, v116, v115
	;; [unrolled: 1-line block ×4, first 2 shown]
	v_dot4_i32_iu8 v77, v77, v86, 0 neg_lo:[1,1,0]
	v_dot4_i32_iu8 v84, v129, v131, 0 neg_lo:[1,1,0]
	;; [unrolled: 1-line block ×6, first 2 shown]
	v_or_b32_e32 v87, v87, v153
	v_dot4_i32_iu8 v77, v114, v91, v77 neg_lo:[1,1,0]
	v_dot4_i32_iu8 v81, v116, v115, v84 neg_lo:[1,1,0]
	v_add_nc_u32_e32 v79, v85, v79
	v_dot4_i32_iu8 v82, v78, v96, v82 neg_lo:[1,1,0]
	v_dot4_i32_iu8 v83, v78, v104, v83 neg_lo:[1,1,0]
	;; [unrolled: 1-line block ×3, first 2 shown]
	v_mul_f32_e32 v84, v90, v123
	v_add3_u32 v77, v81, v77, v79
	v_dot4_i32_iu8 v80, v87, v97, v82 neg_lo:[1,1,0]
	v_dot4_i32_iu8 v82, v87, v105, v83 neg_lo:[1,1,0]
	v_dot4_i32_iu8 v83, v87, v113, v78 neg_lo:[1,1,0]
	v_pk_mul_f32 v[78:79], v[90:91], v[88:89] op_sel_hi:[0,1]
	v_cvt_f32_i32_e32 v81, v77
	v_cvt_f32_i32_e32 v77, v80
	;; [unrolled: 1-line block ×4, first 2 shown]
	v_dual_add_nc_u32 v74, 4, v74 :: v_dual_add_nc_u32 v73, 4, v73
	s_delay_alu instid0(VALU_DEP_4) | instskip(NEXT) | instid1(VALU_DEP_4)
	v_fmac_f32_e32 v57, v122, v77
	v_fmac_f32_e32 v49, v84, v82
	s_delay_alu instid0(VALU_DEP_4) | instskip(SKIP_1) | instid1(SALU_CYCLE_1)
	v_pk_fma_f32 v[16:17], v[78:79], v[80:81], v[16:17]
	s_add_co_i32 s1, s1, 4
	s_cmp_lt_u32 s1, 12
	s_cbranch_scc1 .LBB181_11
; %bb.12:                               ;   in Loop: Header=BB181_5 Depth=1
	s_bitset1_b32 s16, 7
	s_delay_alu instid0(SALU_CYCLE_1)
	s_cmp_ge_i32 s16, s11
	s_barrier_signal -1
	s_barrier_wait -1
	s_cbranch_scc1 .LBB181_4
; %bb.13:                               ;   in Loop: Header=BB181_5 Depth=1
	v_add_nc_u32_e32 v53, s12, v59
	s_delay_alu instid0(VALU_DEP_1) | instskip(SKIP_1) | instid1(SALU_CYCLE_1)
	v_cmp_gt_i32_e64 s1, s5, v53
	s_and_b32 s16, s0, s1
	s_and_saveexec_b32 s1, s16
	s_cbranch_execz .LBB181_15
; %bb.14:                               ;   in Loop: Header=BB181_5 Depth=1
	v_add_nc_u32_e32 v53, v28, v53
	s_delay_alu instid0(VALU_DEP_1)
	v_mad_nc_i64_i32 v[54:55], v53, 36, v[30:31]
	global_load_b32 v53, v[54:55], off offset:4
	s_wait_loadcnt 0x0
	ds_store_b32 v51, v53
.LBB181_15:                             ;   in Loop: Header=BB181_5 Depth=1
	s_or_b32 exec_lo, exec_lo, s1
	s_and_saveexec_b32 s16, vcc_lo
	s_cbranch_execz .LBB181_18
; %bb.16:                               ;   in Loop: Header=BB181_5 Depth=1
	v_or_b32_e32 v53, 4, v52
	s_delay_alu instid0(VALU_DEP_1) | instskip(SKIP_1) | instid1(SALU_CYCLE_1)
	v_cmp_gt_i32_e64 s1, s5, v53
	s_and_b32 s1, s0, s1
	s_and_b32 exec_lo, exec_lo, s1
	s_cbranch_execz .LBB181_18
; %bb.17:                               ;   in Loop: Header=BB181_5 Depth=1
	v_ashrrev_i32_e32 v53, 31, v52
	s_delay_alu instid0(VALU_DEP_1) | instskip(NEXT) | instid1(VALU_DEP_1)
	v_add_nc_u64_e32 v[52:53], v[28:29], v[52:53]
	v_mad_nc_u64_u32 v[54:55], v52, 36, s[2:3]
	s_delay_alu instid0(VALU_DEP_1)
	v_mad_i32_i24 v55, v53, 36, v55
	global_load_b32 v52, v[54:55], off offset:144
	s_wait_loadcnt 0x0
	v_cvt_f32_f16_e32 v52, v52
	ds_store_b32 v56, v52
.LBB181_18:                             ;   in Loop: Header=BB181_5 Depth=1
	s_or_b32 exec_lo, exec_lo, s16
	v_dual_mov_b32 v52, v47 :: v_dual_mov_b32 v53, v45
	v_dual_mov_b32 v54, v68 :: v_dual_mov_b32 v55, v67
	;; [unrolled: 1-line block ×3, first 2 shown]
	v_mov_b32_e32 v75, v64
	s_mov_b32 s1, 12
	s_wait_dscnt 0x0
	s_barrier_signal -1
	s_barrier_wait -1
.LBB181_19:                             ;   Parent Loop BB181_5 Depth=1
                                        ; =>  This Inner Loop Header: Depth=2
	ds_load_2addr_b32 v[76:77], v53 offset1:7
	ds_load_2addr_b32 v[78:79], v53 offset0:3 offset1:4
	ds_load_2addr_b32 v[80:81], v53 offset0:5 offset1:6
	;; [unrolled: 1-line block ×3, first 2 shown]
	ds_load_b32 v84, v52
	ds_load_b32 v120, v55
	;; [unrolled: 1-line block ×5, first 2 shown]
	v_add_nc_u32_e32 v85, 0x2080, v54
	v_add_nc_u32_e32 v100, 0x2090, v54
	;; [unrolled: 1-line block ×11, first 2 shown]
	ds_load_2addr_b32 v[88:89], v54 offset1:1
	ds_load_2addr_b32 v[90:91], v54 offset0:2 offset1:3
	ds_load_2addr_b32 v[92:93], v54 offset0:4 offset1:5
	;; [unrolled: 1-line block ×3, first 2 shown]
	v_dual_add_nc_u32 v75, 4, v75 :: v_dual_add_nc_u32 v74, 4, v74
	s_wait_dscnt 0xc
	v_dual_lshlrev_b32 v140, 24, v77 :: v_dual_lshlrev_b32 v141, 16, v77
	s_wait_dscnt 0xb
	v_dual_lshlrev_b32 v128, 24, v79 :: v_dual_lshlrev_b32 v129, 16, v79
	s_wait_dscnt 0x7
	v_mul_f32_e32 v120, v84, v120
	v_add_nc_u32_e32 v98, 0x2088, v54
	v_add_nc_u32_e32 v54, 32, v54
	v_dual_lshlrev_b32 v130, 24, v82 :: v_dual_lshlrev_b32 v131, 16, v82
	ds_load_2addr_b32 v[96:97], v85 offset1:1
	ds_load_2addr_b32 v[98:99], v98 offset1:1
	;; [unrolled: 1-line block ×12, first 2 shown]
	v_dual_lshlrev_b32 v85, 8, v79 :: v_dual_lshlrev_b32 v132, 24, v80
	v_dual_lshlrev_b32 v133, 16, v80 :: v_dual_lshlrev_b32 v122, 8, v82
	;; [unrolled: 1-line block ×7, first 2 shown]
	v_lshlrev_b32_e32 v139, 16, v78
	v_perm_b32 v142, v80, v82, 0x7030c0c
	v_perm_b32 v145, v129, v128, 0xc0c0703
	;; [unrolled: 1-line block ×5, first 2 shown]
	s_wait_dscnt 0x3
	v_perm_b32 v129, v112, v129, 0xc0c0503
	v_perm_b32 v131, v133, v131, 0x7030c0c
	s_wait_dscnt 0x2
	v_perm_b32 v133, v115, v114, 0x5010c0c
	v_perm_b32 v153, v76, v113, 0xc0c0501
	;; [unrolled: 1-line block ×5, first 2 shown]
	v_dot4_i32_iu8 v88, v76, v88, 0 neg_lo:[1,1,0]
	v_perm_b32 v143, v81, v83, 0xc0c0703
	v_perm_b32 v144, v77, v78, 0x7030c0c
	v_dot4_i32_iu8 v96, v76, v96, 0 neg_lo:[1,1,0]
	v_dot4_i32_iu8 v104, v76, v104, 0 neg_lo:[1,1,0]
	v_perm_b32 v82, v82, v122, 0x7030c0c
	v_perm_b32 v80, v80, v123, 0x7030c0c
	;; [unrolled: 1-line block ×14, first 2 shown]
	s_wait_dscnt 0x1
	v_perm_b32 v113, v117, v116, 0xc0c0602
	s_wait_dscnt 0x0
	v_perm_b32 v115, v119, v118, 0x6020c0c
	v_perm_b32 v122, v125, v124, 0xc0c0703
	;; [unrolled: 1-line block ×7, first 2 shown]
	v_or_b32_e32 v129, v131, v129
	v_or_b32_e32 v131, v133, v153
	;; [unrolled: 1-line block ×4, first 2 shown]
	v_perm_b32 v149, v135, v134, 0xc0c0703
	v_dual_add_nc_u32 v53, 32, v53 :: v_dual_bitop2_b32 v134, v144, v143 bitop3:0x54
	v_or_b32_e32 v85, v112, v85
	v_or_b32_e32 v112, v115, v113
	;; [unrolled: 1-line block ×4, first 2 shown]
	v_dot4_i32_iu8 v79, v79, v133, 0 neg_lo:[1,1,0]
	v_perm_b32 v83, v83, v124, 0x7030c0c
	v_perm_b32 v81, v81, v125, 0x7030c0c
	;; [unrolled: 1-line block ×7, first 2 shown]
	v_dot4_i32_iu8 v79, v134, v122, v79 neg_lo:[1,1,0]
	v_or_b32_e32 v135, v146, v145
	v_or_b32_e32 v82, v82, v147
	;; [unrolled: 1-line block ×4, first 2 shown]
	v_perm_b32 v119, v141, v139, 0x7030c0c
	v_dot4_i32_iu8 v88, v135, v89, v88 neg_lo:[1,1,0]
	v_dot4_i32_iu8 v89, v135, v97, v96 neg_lo:[1,1,0]
	;; [unrolled: 1-line block ×3, first 2 shown]
	v_dual_add_nc_u32 v52, 4, v52 :: v_dual_bitop2_b32 v83, v83, v149 bitop3:0x54
	s_delay_alu instid0(VALU_DEP_4) | instskip(NEXT) | instid1(VALU_DEP_4)
	v_dot4_i32_iu8 v88, v82, v90, v88 neg_lo:[1,1,0]
	v_dot4_i32_iu8 v89, v82, v98, v89 neg_lo:[1,1,0]
	s_delay_alu instid0(VALU_DEP_4)
	v_dot4_i32_iu8 v82, v82, v106, v96 neg_lo:[1,1,0]
	v_dot4_i32_iu8 v76, v85, v76, 0 neg_lo:[1,1,0]
	v_or_b32_e32 v81, v81, v150
	v_dot4_i32_iu8 v85, v80, v91, v88 neg_lo:[1,1,0]
	v_dot4_i32_iu8 v88, v80, v99, v89 neg_lo:[1,1,0]
	;; [unrolled: 1-line block ×3, first 2 shown]
	v_or_b32_e32 v128, v130, v128
	v_or_b32_e32 v130, v132, v156
	;; [unrolled: 1-line block ×4, first 2 shown]
	v_dot4_i32_iu8 v104, v129, v131, 0 neg_lo:[1,1,0]
	v_dot4_i32_iu8 v85, v83, v92, v85 neg_lo:[1,1,0]
	;; [unrolled: 1-line block ×4, first 2 shown]
	v_perm_b32 v152, v141, v140, 0xc0c0703
	v_or_b32_e32 v78, v78, v151
	v_or_b32_e32 v114, v125, v124
	;; [unrolled: 1-line block ×3, first 2 shown]
	v_dot4_i32_iu8 v82, v128, v130, 0 neg_lo:[1,1,0]
	v_dot4_i32_iu8 v83, v97, v116, v104 neg_lo:[1,1,0]
	;; [unrolled: 1-line block ×5, first 2 shown]
	v_or_b32_e32 v77, v77, v152
	v_dot4_i32_iu8 v76, v113, v112, v76 neg_lo:[1,1,0]
	v_dot4_i32_iu8 v81, v115, v114, v82 neg_lo:[1,1,0]
	v_add_nc_u32_e32 v79, v83, v79
	v_dot4_i32_iu8 v82, v78, v94, v85 neg_lo:[1,1,0]
	v_dot4_i32_iu8 v83, v78, v102, v88 neg_lo:[1,1,0]
	;; [unrolled: 1-line block ×3, first 2 shown]
	v_mul_f32_e32 v80, v84, v121
	v_add3_u32 v79, v81, v76, v79
	v_dot4_i32_iu8 v81, v77, v95, v82 neg_lo:[1,1,0]
	v_dot4_i32_iu8 v82, v77, v103, v83 neg_lo:[1,1,0]
	;; [unrolled: 1-line block ×3, first 2 shown]
	v_pk_mul_f32 v[76:77], v[84:85], v[86:87] op_sel_hi:[0,1]
	v_cvt_f32_i32_e32 v79, v79
	v_cvt_f32_i32_e32 v81, v81
	;; [unrolled: 1-line block ×4, first 2 shown]
	v_dual_add_nc_u32 v73, 4, v73 :: v_dual_add_nc_u32 v55, 4, v55
	s_delay_alu instid0(VALU_DEP_4) | instskip(NEXT) | instid1(VALU_DEP_4)
	v_fmac_f32_e32 v57, v120, v81
	v_fmac_f32_e32 v49, v80, v82
	s_delay_alu instid0(VALU_DEP_4) | instskip(SKIP_1) | instid1(SALU_CYCLE_1)
	v_pk_fma_f32 v[16:17], v[76:77], v[78:79], v[16:17]
	s_add_co_i32 s1, s1, 4
	s_cmp_lt_u32 s1, 28
	s_cbranch_scc1 .LBB181_19
; %bb.20:                               ;   in Loop: Header=BB181_5 Depth=1
	s_barrier_signal -1
	s_barrier_wait -1
	s_branch .LBB181_4
.LBB181_21:
	s_mul_i32 s0, s7, s4
	s_wait_loadcnt 0x0
	v_cmp_gt_i32_e32 vcc_lo, s0, v1
	s_and_saveexec_b32 s0, vcc_lo
	s_cbranch_execz .LBB181_30
; %bb.22:
	v_mul_lo_u32 v0, v1, s6
	v_add_nc_u32_e32 v1, s18, v3
	s_mov_b32 s0, exec_lo
	s_delay_alu instid0(VALU_DEP_1)
	v_cmpx_gt_u32_e64 s6, v1
	s_cbranch_execz .LBB181_24
; %bb.23:
	s_delay_alu instid0(VALU_DEP_3)
	v_add_nc_u32_e32 v2, v0, v1
	global_store_b32 v2, v57, s[8:9] scale_offset
.LBB181_24:
	s_wait_xcnt 0x0
	s_or_b32 exec_lo, exec_lo, s0
	v_add_nc_u32_e32 v2, 32, v1
	s_mov_b32 s0, exec_lo
	s_delay_alu instid0(VALU_DEP_1)
	v_cmpx_gt_u32_e64 s6, v2
	s_cbranch_execz .LBB181_26
; %bb.25:
	v_add_nc_u32_e32 v2, v0, v2
	global_store_b32 v2, v49, s[8:9] scale_offset
.LBB181_26:
	s_wait_xcnt 0x0
	s_or_b32 exec_lo, exec_lo, s0
	v_add_nc_u32_e32 v2, 64, v1
	s_mov_b32 s0, exec_lo
	s_delay_alu instid0(VALU_DEP_1)
	v_cmpx_gt_u32_e64 s6, v2
	s_cbranch_execz .LBB181_28
; %bb.27:
	v_add_nc_u32_e32 v2, v0, v2
	global_store_b32 v2, v16, s[8:9] scale_offset
.LBB181_28:
	s_wait_xcnt 0x0
	s_or_b32 exec_lo, exec_lo, s0
	v_add_nc_u32_e32 v1, 0x60, v1
	s_delay_alu instid0(VALU_DEP_1)
	v_cmp_gt_u32_e32 vcc_lo, s6, v1
	s_and_b32 exec_lo, exec_lo, vcc_lo
	s_cbranch_execz .LBB181_30
; %bb.29:
	v_add_nc_u32_e32 v0, v0, v1
	global_store_b32 v0, v17, s[8:9] scale_offset
.LBB181_30:
	s_sendmsg sendmsg(MSG_DEALLOC_VGPRS)
	s_endpgm
	.section	.rodata,"a",@progbits
	.p2align	6, 0x0
	.amdhsa_kernel _ZL8moe_q5_0IfLb0EEvPKvS1_PT_PKiS5_S5_iiiiiii
		.amdhsa_group_segment_fixed_size 38656
		.amdhsa_private_segment_fixed_size 0
		.amdhsa_kernarg_size 76
		.amdhsa_user_sgpr_count 2
		.amdhsa_user_sgpr_dispatch_ptr 0
		.amdhsa_user_sgpr_queue_ptr 0
		.amdhsa_user_sgpr_kernarg_segment_ptr 1
		.amdhsa_user_sgpr_dispatch_id 0
		.amdhsa_user_sgpr_kernarg_preload_length 0
		.amdhsa_user_sgpr_kernarg_preload_offset 0
		.amdhsa_user_sgpr_private_segment_size 0
		.amdhsa_wavefront_size32 1
		.amdhsa_uses_dynamic_stack 0
		.amdhsa_enable_private_segment 0
		.amdhsa_system_sgpr_workgroup_id_x 1
		.amdhsa_system_sgpr_workgroup_id_y 1
		.amdhsa_system_sgpr_workgroup_id_z 0
		.amdhsa_system_sgpr_workgroup_info 0
		.amdhsa_system_vgpr_workitem_id 1
		.amdhsa_next_free_vgpr 159
		.amdhsa_next_free_sgpr 21
		.amdhsa_named_barrier_count 0
		.amdhsa_reserve_vcc 1
		.amdhsa_float_round_mode_32 0
		.amdhsa_float_round_mode_16_64 0
		.amdhsa_float_denorm_mode_32 3
		.amdhsa_float_denorm_mode_16_64 3
		.amdhsa_fp16_overflow 0
		.amdhsa_memory_ordered 1
		.amdhsa_forward_progress 1
		.amdhsa_inst_pref_size 97
		.amdhsa_round_robin_scheduling 0
		.amdhsa_exception_fp_ieee_invalid_op 0
		.amdhsa_exception_fp_denorm_src 0
		.amdhsa_exception_fp_ieee_div_zero 0
		.amdhsa_exception_fp_ieee_overflow 0
		.amdhsa_exception_fp_ieee_underflow 0
		.amdhsa_exception_fp_ieee_inexact 0
		.amdhsa_exception_int_div_zero 0
	.end_amdhsa_kernel
	.section	.text._ZL8moe_q5_0IfLb0EEvPKvS1_PT_PKiS5_S5_iiiiiii,"axG",@progbits,_ZL8moe_q5_0IfLb0EEvPKvS1_PT_PKiS5_S5_iiiiiii,comdat
.Lfunc_end181:
	.size	_ZL8moe_q5_0IfLb0EEvPKvS1_PT_PKiS5_S5_iiiiiii, .Lfunc_end181-_ZL8moe_q5_0IfLb0EEvPKvS1_PT_PKiS5_S5_iiiiiii
                                        ; -- End function
	.set _ZL8moe_q5_0IfLb0EEvPKvS1_PT_PKiS5_S5_iiiiiii.num_vgpr, 159
	.set _ZL8moe_q5_0IfLb0EEvPKvS1_PT_PKiS5_S5_iiiiiii.num_agpr, 0
	.set _ZL8moe_q5_0IfLb0EEvPKvS1_PT_PKiS5_S5_iiiiiii.numbered_sgpr, 21
	.set _ZL8moe_q5_0IfLb0EEvPKvS1_PT_PKiS5_S5_iiiiiii.num_named_barrier, 0
	.set _ZL8moe_q5_0IfLb0EEvPKvS1_PT_PKiS5_S5_iiiiiii.private_seg_size, 0
	.set _ZL8moe_q5_0IfLb0EEvPKvS1_PT_PKiS5_S5_iiiiiii.uses_vcc, 1
	.set _ZL8moe_q5_0IfLb0EEvPKvS1_PT_PKiS5_S5_iiiiiii.uses_flat_scratch, 0
	.set _ZL8moe_q5_0IfLb0EEvPKvS1_PT_PKiS5_S5_iiiiiii.has_dyn_sized_stack, 0
	.set _ZL8moe_q5_0IfLb0EEvPKvS1_PT_PKiS5_S5_iiiiiii.has_recursion, 0
	.set _ZL8moe_q5_0IfLb0EEvPKvS1_PT_PKiS5_S5_iiiiiii.has_indirect_call, 0
	.section	.AMDGPU.csdata,"",@progbits
; Kernel info:
; codeLenInByte = 12384
; TotalNumSgprs: 23
; NumVgprs: 159
; ScratchSize: 0
; MemoryBound: 0
; FloatMode: 240
; IeeeMode: 1
; LDSByteSize: 38656 bytes/workgroup (compile time only)
; SGPRBlocks: 0
; VGPRBlocks: 9
; NumSGPRsForWavesPerEU: 23
; NumVGPRsForWavesPerEU: 159
; NamedBarCnt: 0
; Occupancy: 6
; WaveLimiterHint : 1
; COMPUTE_PGM_RSRC2:SCRATCH_EN: 0
; COMPUTE_PGM_RSRC2:USER_SGPR: 2
; COMPUTE_PGM_RSRC2:TRAP_HANDLER: 0
; COMPUTE_PGM_RSRC2:TGID_X_EN: 1
; COMPUTE_PGM_RSRC2:TGID_Y_EN: 1
; COMPUTE_PGM_RSRC2:TGID_Z_EN: 0
; COMPUTE_PGM_RSRC2:TIDIG_COMP_CNT: 1
	.section	.text._ZL8moe_q5_0IfLb1EEvPKvS1_PT_PKiS5_S5_iiiiiii,"axG",@progbits,_ZL8moe_q5_0IfLb1EEvPKvS1_PT_PKiS5_S5_iiiiiii,comdat
	.globl	_ZL8moe_q5_0IfLb1EEvPKvS1_PT_PKiS5_S5_iiiiiii ; -- Begin function _ZL8moe_q5_0IfLb1EEvPKvS1_PT_PKiS5_S5_iiiiiii
	.p2align	8
	.type	_ZL8moe_q5_0IfLb1EEvPKvS1_PT_PKiS5_S5_iiiiiii,@function
_ZL8moe_q5_0IfLb1EEvPKvS1_PT_PKiS5_S5_iiiiiii: ; @_ZL8moe_q5_0IfLb1EEvPKvS1_PT_PKiS5_S5_iiiiiii
; %bb.0:
	s_load_b128 s[4:7], s[0:1], 0x18
	s_bfe_u32 s2, ttmp6, 0x40010
	s_bfe_u32 s8, ttmp6, 0x40004
	s_add_co_i32 s2, s2, 1
	s_delay_alu instid0(SALU_CYCLE_1)
	s_mul_i32 s3, ttmp7, s2
	s_getreg_b32 s2, hwreg(HW_REG_IB_STS2, 6, 4)
	s_add_co_i32 s8, s8, s3
	s_cmp_eq_u32 s2, 0
	s_cselect_b32 s3, ttmp7, s8
	s_wait_kmcnt 0x0
	s_load_b32 s14, s[6:7], s3 offset:0x0 scale_offset
	s_wait_kmcnt 0x0
	s_cmp_gt_u32 s14, 0xff
	s_cbranch_scc1 .LBB182_30
; %bb.1:
	s_load_b64 s[6:7], s[0:1], 0x28
	s_lshl_b32 s3, s3, 3
	s_wait_kmcnt 0x0
	s_load_b32 s6, s[6:7], 0x0
	s_wait_kmcnt 0x0
	s_cmp_gt_u32 s3, s6
	s_cbranch_scc1 .LBB182_30
; %bb.2:
	v_bfe_u32 v9, v0, 10, 10
	s_and_b32 s11, ttmp6, 15
	v_and_b32_e32 v5, 0x3ff, v0
	s_mov_b32 s15, 0
	s_delay_alu instid0(VALU_DEP_2) | instskip(SKIP_1) | instid1(SALU_CYCLE_1)
	v_dual_mov_b32 v7, 0 :: v_dual_add_nc_u32 v1, s3, v9
	s_bfe_u32 s3, ttmp6, 0x4000c
	s_add_co_i32 s3, s3, 1
	s_delay_alu instid0(VALU_DEP_1)
	v_dual_mov_b32 v6, v7 :: v_dual_mov_b32 v72, v7
	global_load_b32 v1, v1, s[4:5] scale_offset
	s_wait_xcnt 0x0
	s_clause 0x2
	s_load_b128 s[4:7], s[0:1], 0x30
	s_load_b64 s[12:13], s[0:1], 0x10
	s_load_b96 s[8:10], s[0:1], 0x40
	s_mul_i32 s3, ttmp9, s3
	v_mov_b32_e32 v75, v7
	s_add_co_i32 s11, s11, s3
	s_cmp_eq_u32 s2, 0
	s_cselect_b32 s2, ttmp9, s11
	s_delay_alu instid0(SALU_CYCLE_1)
	s_lshl_b32 s11, s2, 7
	s_wait_kmcnt 0x0
	s_cmp_lt_i32 s5, 32
	s_cbranch_scc1 .LBB182_21
; %bb.3:
	s_load_b128 s[0:3], s[0:1], 0x0
	s_mul_i32 s18, s14, s4
	v_bfe_u32 v29, v0, 3, 7
	s_ashr_i32 s19, s18, 31
	s_not_b32 s4, s11
	s_ashr_i32 s16, s5, 31
	s_add_co_i32 s20, s6, s4
	v_lshl_add_u32 v7, v9, 2, v29
	s_ashr_i32 s17, s8, 31
	s_lshr_b32 s14, s16, 27
	s_lshr_b32 s16, s17, 27
	v_dual_mov_b32 v3, 0 :: v_dual_lshlrev_b32 v10, 2, v5
	v_min_i32_e32 v44, s20, v7
	s_add_co_i32 s6, s8, s16
	v_add_min_i32_e64 v46, v7, 32, s20
	s_delay_alu instid0(VALU_DEP_3)
	v_dual_lshlrev_b32 v6, 3, v5 :: v_dual_bitop2_b32 v2, 12, v10 bitop3:0x40
	v_add_min_i32_e64 v14, v9, 8, s20
	v_add_min_i32_e64 v16, v9, 16, s20
	s_wait_kmcnt 0x0
	s_add_nc_u64 s[18:19], s[0:1], s[18:19]
	s_abs_i32 s0, s10
	v_add_min_i32_e64 v18, v9, 24, s20
	s_cvt_f32_u32 s1, s0
	s_sub_co_i32 s8, 0, s0
	v_add_min_i32_e64 v20, v9, 32, s20
	v_add_min_i32_e64 v22, v9, 40, s20
	v_rcp_iflag_f32_e32 v4, s1
	v_add_min_i32_e64 v24, v9, 48, s20
	v_add_min_i32_e64 v26, v9, 56, s20
	;; [unrolled: 1-line block ×6, first 2 shown]
	v_readfirstlane_b32 s1, v4
	s_wait_loadcnt 0x0
	v_sub_nc_u32_e32 v4, 0, v1
	v_dual_ashrrev_i32 v8, 31, v44 :: v_dual_min_i32 v12, s20, v9
	v_ashrrev_i32_e32 v43, 31, v46
	s_mul_f32 s1, s1, 0x4f7ffffe
	s_delay_alu instid0(VALU_DEP_3)
	v_max_i32_e32 v11, v1, v4
	v_add_min_i32_e64 v36, 0x60, v9, s20
	v_lshrrev_b32_e32 v4, 30, v8
	s_cvt_u32_f32 s1, s1
	v_add_min_i32_e64 v38, 0x68, v9, s20
	v_add_min_i32_e64 v42, 0x70, v9, s20
	v_add_min_i32_e64 v48, 0x78, v9, s20
	s_mul_i32 s8, s8, s1
	v_add_nc_u32_e32 v40, v44, v4
	s_mul_hi_u32 s8, s1, s8
	v_dual_lshrrev_b32 v50, 30, v43 :: v_dual_bitop2_b32 v4, 7, v0 bitop3:0x40
	s_add_co_i32 s1, s1, s8
	v_add_min_i32_e64 v52, v7, 64, s20
	v_mul_hi_u32 v8, v11, s1
	s_delay_alu instid0(VALU_DEP_3)
	v_lshlrev_b32_e32 v49, 2, v4
	v_add_min_i32_e64 v53, 0x60, v7, s20
	v_mad_u32 v13, 0x104, v12, v6
	v_mad_u32 v15, 0x104, v14, v6
	;; [unrolled: 1-line block ×8, first 2 shown]
	v_mul_lo_u32 v47, v8, s0
	v_and_b32_e32 v40, -4, v40
	v_mad_u32 v31, 0x104, v28, v6
	v_mad_u32 v33, 0x104, v30, v6
	;; [unrolled: 1-line block ×8, first 2 shown]
	v_dual_ashrrev_i32 v51, 31, v53 :: v_dual_sub_nc_u32 v11, v11, v47
	v_add3_u32 v6, v40, v49, 0x8200
	v_dual_add_nc_u32 v40, v46, v50 :: v_dual_lshlrev_b32 v50, 5, v44
	v_add_nc_u32_e32 v47, 1, v8
	s_delay_alu instid0(VALU_DEP_4)
	v_subrev_nc_u32_e32 v54, s0, v11
	v_cmp_le_u32_e32 vcc_lo, s0, v11
	v_ashrrev_i32_e32 v7, 31, v52
	v_and_b32_e32 v57, 0xfc, v0
	s_ashr_i32 s6, s6, 5
	v_dual_lshlrev_b32 v60, 5, v53 :: v_dual_cndmask_b32 v8, v8, v47, vcc_lo
	s_delay_alu instid0(VALU_DEP_3) | instskip(SKIP_1) | instid1(VALU_DEP_3)
	v_dual_lshrrev_b32 v7, 30, v7 :: v_dual_bitop2_b32 v40, -4, v40 bitop3:0x40
	v_dual_lshrrev_b32 v47, 30, v51 :: v_dual_bitop2_b32 v51, s10, v1 bitop3:0x14
	v_dual_cndmask_b32 v11, v11, v54 :: v_dual_add_nc_u32 v54, 1, v8
	s_delay_alu instid0(VALU_DEP_3) | instskip(NEXT) | instid1(VALU_DEP_4)
	v_add_nc_u32_e32 v7, v52, v7
	v_add3_u32 v40, v40, v49, 0x8200
	s_delay_alu instid0(VALU_DEP_4) | instskip(NEXT) | instid1(VALU_DEP_4)
	v_ashrrev_i32_e32 v51, 31, v51
	v_cmp_le_u32_e32 vcc_lo, s0, v11
	v_add_nc_u32_e32 v47, v53, v47
	v_dual_add_nc_u32 v55, 32, v5 :: v_dual_bitop2_b32 v7, -4, v7 bitop3:0x40
	v_dual_lshlrev_b32 v58, 5, v52 :: v_dual_cndmask_b32 v8, v8, v54, vcc_lo
	s_delay_alu instid0(VALU_DEP_3) | instskip(NEXT) | instid1(VALU_DEP_3)
	v_dual_lshlrev_b32 v54, 5, v46 :: v_dual_bitop2_b32 v11, -4, v47 bitop3:0x40
	v_add3_u32 v7, v7, v49, 0x8200
	v_add_nc_u32_e32 v47, 0x60, v5
	v_lshl_add_u32 v61, v9, 7, 0x9280
	s_delay_alu instid0(VALU_DEP_4) | instskip(SKIP_1) | instid1(VALU_DEP_4)
	v_add3_u32 v11, v11, v49, 0x8200
	v_dual_add_nc_u32 v49, 64, v5 :: v_dual_bitop2_b32 v8, v8, v51 bitop3:0x14
	v_and_b32_e32 v47, 0x1fc, v47
	s_add_co_i32 s14, s5, s14
	v_lshl_add_u32 v62, v9, 4, 0x9680
	s_delay_alu instid0(VALU_DEP_3)
	v_and_b32_e32 v49, 0x1fc, v49
	v_dual_sub_nc_u32 v56, v8, v51 :: v_dual_lshlrev_b32 v8, 5, v5
	v_and_b32_e32 v51, 0x1fc, v55
	s_ashr_i32 s4, s14, 5
	v_cmp_gt_u32_e32 vcc_lo, 4, v5
	v_mul_lo_u32 v12, v12, s4
	v_dual_add_nc_u32 v59, v8, v47 :: v_dual_add_nc_u32 v69, v8, v49
	v_dual_add_nc_u32 v71, v8, v51 :: v_dual_add_nc_u32 v57, v8, v57
	v_dual_add_nc_u32 v47, v6, v50 :: v_dual_bitop2_b32 v50, 31, v0 bitop3:0x40
	v_add_nc_u32_e32 v49, v40, v54
	v_mul_lo_u32 v8, v56, s6
	v_dual_add_nc_u32 v51, v7, v58 :: v_dual_lshrrev_b32 v65, 3, v55
	v_dual_add_nc_u32 v60, v11, v60 :: v_dual_bitop2_b32 v6, 28, v10 bitop3:0x40
	v_dual_mov_b32 v7, v3 :: v_dual_add_nc_u32 v64, v62, v10
	v_lshl_or_b32 v63, v50, 2, v61
	v_mul_lo_u32 v14, v14, s4
	v_mul_lo_u32 v16, v16, s4
	v_mul_lo_u32 v18, v18, s4
	v_mul_lo_u32 v20, v20, s4
	v_mul_lo_u32 v22, v22, s4
	v_mul_lo_u32 v24, v24, s4
	v_mul_lo_u32 v26, v26, s4
	v_mul_lo_u32 v28, v28, s4
	v_mul_lo_u32 v30, v30, s4
	v_mul_lo_u32 v32, v32, s4
	v_mul_lo_u32 v34, v34, s4
	v_mul_lo_u32 v36, v36, s4
	v_mul_lo_u32 v38, v38, s4
	v_mul_lo_u32 v40, v42, s4
	v_mul_lo_u32 v42, v48, s4
	v_mul_lo_u32 v44, v44, s4
	v_mul_lo_u32 v46, v46, s4
	v_mul_lo_u32 v48, v52, s4
	v_mul_lo_u32 v50, v53, s4
	s_mul_i32 s16, s4, s11
	v_cmp_gt_i32_e64 s0, s7, v56
	v_add_nc_u64_e32 v[10:11], s[2:3], v[6:7]
	s_movk_i32 s1, 0x80
	s_ashr_i32 s17, s16, 31
	v_dual_ashrrev_i32 v9, 31, v8 :: v_dual_mov_b32 v75, v3
	v_add_nc_u32_e32 v66, 0x8e00, v59
	v_dual_mov_b32 v72, v3 :: v_dual_add_nc_u32 v67, 0x8e10, v59
	v_add_nc_u32_e32 v68, 0x8a00, v69
	v_add_nc_u32_e32 v69, 0x8a10, v69
	;; [unrolled: 1-line block ×6, first 2 shown]
	v_mov_b32_e32 v6, v3
	v_bfe_u32 v0, v0, 2, 8
	v_mad_u32_u24 v76, 0x104, v5, s1
	s_mul_u64 s[16:17], s[16:17], 22
	s_and_b32 s8, vcc_lo, s0
	s_add_nc_u64 s[16:17], s[18:19], s[16:17]
	s_mov_b32 s14, s15
	s_branch .LBB182_5
.LBB182_4:                              ;   in Loop: Header=BB182_5 Depth=1
	s_add_co_i32 s14, s14, 8
	s_delay_alu instid0(SALU_CYCLE_1)
	s_cmp_ge_i32 s14, s4
	s_cbranch_scc1 .LBB182_21
.LBB182_5:                              ; =>This Loop Header: Depth=1
                                        ;     Child Loop BB182_11 Depth 2
                                        ;     Child Loop BB182_19 Depth 2
	s_mul_u64 s[18:19], s[14:15], 22
	s_delay_alu instid0(SALU_CYCLE_1) | instskip(NEXT) | instid1(SALU_CYCLE_1)
	s_add_nc_u64 s[18:19], s[16:17], s[18:19]
	v_mad_nc_u64_u32 v[52:53], v0, 22, s[18:19]
	s_delay_alu instid0(VALU_DEP_1) | instskip(SKIP_1) | instid1(VALU_DEP_2)
	v_mad_nc_i64_i32 v[54:55], v18, 22, v[52:53]
	v_mad_nc_i64_i32 v[56:57], v16, 22, v[52:53]
	v_add_nc_u64_e32 v[58:59], v[54:55], v[2:3]
	s_delay_alu instid0(VALU_DEP_2)
	v_add_nc_u64_e32 v[80:81], v[56:57], v[2:3]
	s_clause 0x1
	global_load_b32 v77, v[58:59], off offset:6
	global_load_b32 v78, v[80:81], off offset:6
	s_wait_xcnt 0x1
	v_mad_nc_i64_i32 v[58:59], v14, 22, v[52:53]
	s_clause 0x1
	global_load_b32 v56, v[56:57], off offset:2
	global_load_b32 v54, v[54:55], off offset:2
	s_wait_xcnt 0x2
	v_add_nc_u64_e32 v[80:81], v[58:59], v[2:3]
	s_clause 0x1
	global_load_b32 v58, v[58:59], off offset:2
	global_load_b32 v79, v[80:81], off offset:6
	s_wait_xcnt 0x0
	v_mad_nc_i64_i32 v[80:81], v12, 22, v[52:53]
	global_load_b32 v82, v[80:81], off offset:2
	s_wait_xcnt 0x0
	v_add_nc_u64_e32 v[80:81], v[80:81], v[2:3]
	global_load_b32 v80, v[80:81], off offset:6
	s_wait_loadcnt 0x4
	v_dual_ashrrev_i32 v89, v2, v56 :: v_dual_ashrrev_i32 v92, v2, v54
	s_delay_alu instid0(VALU_DEP_1) | instskip(SKIP_1) | instid1(VALU_DEP_1)
	v_dual_lshlrev_b32 v56, 4, v89 :: v_dual_lshlrev_b32 v54, 4, v92
	s_wait_loadcnt 0x3
	v_dual_ashrrev_i32 v86, v2, v58 :: v_dual_bitop2_b32 v56, 16, v56 bitop3:0x40
	s_delay_alu instid0(VALU_DEP_2) | instskip(NEXT) | instid1(VALU_DEP_2)
	v_dual_lshlrev_b32 v57, 11, v89 :: v_dual_bitop2_b32 v54, 16, v54 bitop3:0x40
	v_dual_lshlrev_b32 v55, 11, v92 :: v_dual_lshlrev_b32 v58, 4, v86
	s_delay_alu instid0(VALU_DEP_2) | instskip(NEXT) | instid1(VALU_DEP_2)
	v_and_b32_e32 v57, 0x1000, v57
	v_and_b32_e32 v55, 0x1000, v55
	s_delay_alu instid0(VALU_DEP_3) | instskip(SKIP_1) | instid1(VALU_DEP_1)
	v_and_b32_e32 v58, 16, v58
	v_lshlrev_b32_e32 v59, 11, v86
	v_and_b32_e32 v59, 0x1000, v59
	s_wait_loadcnt 0x1
	s_wait_xcnt 0x0
	v_ashrrev_i32_e32 v81, v2, v82
	s_delay_alu instid0(VALU_DEP_1) | instskip(SKIP_2) | instid1(VALU_DEP_2)
	v_lshlrev_b32_e32 v82, 4, v81
	s_wait_loadcnt 0x0
	v_and_b32_e32 v84, 0xf0f0f0f, v80
	v_dual_lshlrev_b32 v83, 11, v81 :: v_dual_bitop2_b32 v82, 16, v82 bitop3:0x40
	v_lshrrev_b32_e32 v80, 4, v80
	s_delay_alu instid0(VALU_DEP_2) | instskip(NEXT) | instid1(VALU_DEP_1)
	v_and_b32_e32 v83, 0x1000, v83
	v_or3_b32 v85, v82, v84, v83
	v_dual_lshlrev_b32 v82, 18, v81 :: v_dual_lshlrev_b32 v83, 25, v81
	s_delay_alu instid0(VALU_DEP_1) | instskip(NEXT) | instid1(VALU_DEP_2)
	v_and_b32_e32 v82, 0x100000, v82
	v_and_b32_e32 v83, 0x10000000, v83
	s_delay_alu instid0(VALU_DEP_1) | instskip(SKIP_2) | instid1(VALU_DEP_2)
	v_or3_b32 v84, v84, v82, v83
	v_and_b32_e32 v82, 0xf0f0f0f, v79
	v_lshrrev_b32_e32 v79, 4, v79
	v_or3_b32 v87, v58, v82, v59
	v_dual_lshlrev_b32 v58, 18, v86 :: v_dual_lshlrev_b32 v59, 25, v86
	s_delay_alu instid0(VALU_DEP_1) | instskip(NEXT) | instid1(VALU_DEP_2)
	v_and_b32_e32 v58, 0x100000, v58
	v_and_b32_e32 v59, 0x10000000, v59
	s_delay_alu instid0(VALU_DEP_1) | instskip(SKIP_2) | instid1(VALU_DEP_2)
	v_or3_b32 v88, v82, v58, v59
	v_and_b32_e32 v58, 0xf0f0f0f, v78
	v_lshrrev_b32_e32 v78, 4, v78
	;; [unrolled: 9-line block ×3, first 2 shown]
	v_or3_b32 v93, v54, v56, v55
	v_dual_lshlrev_b32 v54, 18, v92 :: v_dual_lshlrev_b32 v55, 25, v92
	s_delay_alu instid0(VALU_DEP_1) | instskip(NEXT) | instid1(VALU_DEP_2)
	v_and_b32_e32 v54, 0x100000, v54
	v_and_b32_e32 v55, 0x10000000, v55
	s_delay_alu instid0(VALU_DEP_1) | instskip(SKIP_1) | instid1(VALU_DEP_1)
	v_or3_b32 v94, v56, v54, v55
	v_mad_nc_i64_i32 v[54:55], v26, 22, v[52:53]
	v_add_nc_u64_e32 v[56:57], v[54:55], v[2:3]
	s_clause 0x1
	global_load_b32 v54, v[54:55], off offset:2
	global_load_b32 v95, v[56:57], off offset:6
	s_wait_xcnt 0x0
	v_mad_nc_i64_i32 v[56:57], v24, 22, v[52:53]
	s_delay_alu instid0(VALU_DEP_1)
	v_add_nc_u64_e32 v[58:59], v[56:57], v[2:3]
	s_clause 0x1
	global_load_b32 v56, v[56:57], off offset:2
	global_load_b32 v96, v[58:59], off offset:6
	s_wait_xcnt 0x0
	v_mad_nc_i64_i32 v[58:59], v22, 22, v[52:53]
	s_delay_alu instid0(VALU_DEP_1)
	v_add_nc_u64_e32 v[82:83], v[58:59], v[2:3]
	s_clause 0x1
	global_load_b32 v58, v[58:59], off offset:2
	global_load_b32 v97, v[82:83], off offset:6
	s_wait_xcnt 0x0
	v_mad_nc_i64_i32 v[82:83], v20, 22, v[52:53]
	global_load_b32 v98, v[82:83], off offset:2
	s_wait_xcnt 0x0
	v_add_nc_u64_e32 v[82:83], v[82:83], v[2:3]
	global_load_b32 v99, v[82:83], off offset:6
	s_wait_loadcnt 0x7
	v_ashrrev_i32_e32 v108, v2, v54
	s_delay_alu instid0(VALU_DEP_1) | instskip(NEXT) | instid1(VALU_DEP_1)
	v_lshlrev_b32_e32 v54, 4, v108
	v_dual_lshlrev_b32 v55, 11, v108 :: v_dual_bitop2_b32 v54, 16, v54 bitop3:0x40
	s_delay_alu instid0(VALU_DEP_1) | instskip(SKIP_2) | instid1(VALU_DEP_1)
	v_and_b32_e32 v55, 0x1000, v55
	s_wait_loadcnt 0x5
	v_ashrrev_i32_e32 v105, v2, v56
	v_dual_lshlrev_b32 v56, 4, v105 :: v_dual_lshlrev_b32 v57, 11, v105
	s_delay_alu instid0(VALU_DEP_1) | instskip(NEXT) | instid1(VALU_DEP_2)
	v_and_b32_e32 v56, 16, v56
	v_and_b32_e32 v57, 0x1000, v57
	s_wait_loadcnt 0x3
	v_ashrrev_i32_e32 v102, v2, v58
	s_delay_alu instid0(VALU_DEP_1) | instskip(NEXT) | instid1(VALU_DEP_1)
	v_lshlrev_b32_e32 v58, 4, v102
	v_and_b32_e32 v58, 16, v58
	v_lshlrev_b32_e32 v59, 11, v102
	s_delay_alu instid0(VALU_DEP_1) | instskip(SKIP_3) | instid1(VALU_DEP_1)
	v_and_b32_e32 v59, 0x1000, v59
	s_wait_loadcnt 0x1
	v_ashrrev_i32_e32 v98, v2, v98
	s_wait_xcnt 0x0
	v_dual_lshlrev_b32 v82, 4, v98 :: v_dual_lshlrev_b32 v83, 11, v98
	s_wait_loadcnt 0x0
	v_and_b32_e32 v100, 0xf0f0f0f, v99
	s_delay_alu instid0(VALU_DEP_2) | instskip(NEXT) | instid1(VALU_DEP_3)
	v_and_b32_e32 v82, 16, v82
	v_and_b32_e32 v83, 0x1000, v83
	s_delay_alu instid0(VALU_DEP_1) | instskip(SKIP_1) | instid1(VALU_DEP_1)
	v_or3_b32 v101, v82, v100, v83
	v_dual_lshlrev_b32 v82, 18, v98 :: v_dual_lshlrev_b32 v83, 25, v98
	v_and_b32_e32 v82, 0x100000, v82
	s_delay_alu instid0(VALU_DEP_2) | instskip(NEXT) | instid1(VALU_DEP_1)
	v_and_b32_e32 v83, 0x10000000, v83
	v_or3_b32 v100, v100, v82, v83
	v_and_b32_e32 v82, 0xf0f0f0f, v97
	s_delay_alu instid0(VALU_DEP_1) | instskip(SKIP_1) | instid1(VALU_DEP_1)
	v_or3_b32 v103, v58, v82, v59
	v_dual_lshlrev_b32 v58, 18, v102 :: v_dual_lshlrev_b32 v59, 25, v102
	v_and_b32_e32 v58, 0x100000, v58
	s_delay_alu instid0(VALU_DEP_2) | instskip(NEXT) | instid1(VALU_DEP_1)
	v_and_b32_e32 v59, 0x10000000, v59
	v_or3_b32 v104, v82, v58, v59
	;; [unrolled: 8-line block ×4, first 2 shown]
	v_mad_nc_i64_i32 v[54:55], v34, 22, v[52:53]
	s_delay_alu instid0(VALU_DEP_1)
	v_add_nc_u64_e32 v[56:57], v[54:55], v[2:3]
	s_clause 0x1
	global_load_b32 v54, v[54:55], off offset:2
	global_load_b32 v111, v[56:57], off offset:6
	s_wait_xcnt 0x0
	v_mad_nc_i64_i32 v[56:57], v32, 22, v[52:53]
	s_delay_alu instid0(VALU_DEP_1)
	v_add_nc_u64_e32 v[58:59], v[56:57], v[2:3]
	s_clause 0x1
	global_load_b32 v56, v[56:57], off offset:2
	global_load_b32 v112, v[58:59], off offset:6
	s_wait_xcnt 0x0
	;; [unrolled: 7-line block ×3, first 2 shown]
	v_mad_nc_i64_i32 v[82:83], v28, 22, v[52:53]
	global_load_b32 v114, v[82:83], off offset:2
	s_wait_xcnt 0x0
	v_add_nc_u64_e32 v[82:83], v[82:83], v[2:3]
	global_load_b32 v82, v[82:83], off offset:6
	s_wait_loadcnt 0x7
	v_ashrrev_i32_e32 v54, v2, v54
	s_delay_alu instid0(VALU_DEP_1) | instskip(SKIP_1) | instid1(VALU_DEP_1)
	v_lshlrev_b32_e32 v55, 4, v54
	s_wait_loadcnt 0x5
	v_dual_ashrrev_i32 v56, v2, v56 :: v_dual_bitop2_b32 v55, 16, v55 bitop3:0x40
	s_delay_alu instid0(VALU_DEP_1) | instskip(SKIP_1) | instid1(VALU_DEP_1)
	v_lshlrev_b32_e32 v57, 4, v56
	s_wait_loadcnt 0x3
	v_dual_ashrrev_i32 v58, v2, v58 :: v_dual_bitop2_b32 v57, 16, v57 bitop3:0x40
	s_delay_alu instid0(VALU_DEP_1) | instskip(SKIP_2) | instid1(VALU_DEP_1)
	v_lshlrev_b32_e32 v59, 4, v58
	s_wait_loadcnt 0x1
	s_wait_xcnt 0x0
	v_dual_ashrrev_i32 v83, v2, v114 :: v_dual_bitop2_b32 v59, 16, v59 bitop3:0x40
	s_delay_alu instid0(VALU_DEP_1) | instskip(SKIP_2) | instid1(VALU_DEP_2)
	v_lshlrev_b32_e32 v114, 4, v83
	s_wait_loadcnt 0x0
	v_and_b32_e32 v116, 0xf0f0f0f, v82
	v_dual_lshlrev_b32 v115, 11, v83 :: v_dual_bitop2_b32 v114, 16, v114 bitop3:0x40
	v_lshlrev_b32_e32 v117, 25, v83
	s_delay_alu instid0(VALU_DEP_2) | instskip(NEXT) | instid1(VALU_DEP_2)
	v_and_b32_e32 v115, 0x1000, v115
	v_and_b32_e32 v117, 0x10000000, v117
	s_delay_alu instid0(VALU_DEP_2) | instskip(SKIP_1) | instid1(VALU_DEP_1)
	v_or3_b32 v114, v114, v116, v115
	v_lshlrev_b32_e32 v115, 18, v83
	v_and_b32_e32 v115, 0x100000, v115
	s_delay_alu instid0(VALU_DEP_1) | instskip(SKIP_2) | instid1(VALU_DEP_2)
	v_or3_b32 v115, v116, v115, v117
	v_dual_lshrrev_b32 v116, 12, v81 :: v_dual_lshrrev_b32 v117, 5, v81
	v_and_b32_e32 v80, 0xf0f0f0f, v80
	v_and_b32_e32 v116, 16, v116
	s_delay_alu instid0(VALU_DEP_3) | instskip(NEXT) | instid1(VALU_DEP_1)
	v_and_b32_e32 v117, 0x1000, v117
	v_or3_b32 v116, v116, v80, v117
	v_dual_lshlrev_b32 v117, 2, v81 :: v_dual_lshlrev_b32 v81, 9, v81
	s_delay_alu instid0(VALU_DEP_1) | instskip(NEXT) | instid1(VALU_DEP_2)
	v_and_b32_e32 v117, 0x100000, v117
	v_and_b32_e32 v81, 0x10000000, v81
	s_delay_alu instid0(VALU_DEP_1) | instskip(SKIP_2) | instid1(VALU_DEP_2)
	v_or3_b32 v117, v80, v117, v81
	v_dual_lshrrev_b32 v80, 12, v86 :: v_dual_lshrrev_b32 v81, 5, v86
	v_and_b32_e32 v79, 0xf0f0f0f, v79
	v_and_b32_e32 v80, 16, v80
	s_delay_alu instid0(VALU_DEP_3) | instskip(NEXT) | instid1(VALU_DEP_1)
	v_and_b32_e32 v81, 0x1000, v81
	v_or3_b32 v118, v80, v79, v81
	v_dual_lshlrev_b32 v80, 2, v86 :: v_dual_lshlrev_b32 v81, 9, v86
	s_delay_alu instid0(VALU_DEP_1) | instskip(NEXT) | instid1(VALU_DEP_2)
	v_and_b32_e32 v80, 0x100000, v80
	;; [unrolled: 12-line block ×3, first 2 shown]
	v_and_b32_e32 v80, 0x10000000, v80
	s_delay_alu instid0(VALU_DEP_1) | instskip(SKIP_3) | instid1(VALU_DEP_3)
	v_or3_b32 v89, v78, v79, v80
	v_dual_lshrrev_b32 v78, 12, v92 :: v_dual_lshrrev_b32 v79, 5, v92
	v_and_b32_e32 v77, 0xf0f0f0f, v77
	v_lshrrev_b32_e32 v80, 5, v98
	v_and_b32_e32 v78, 16, v78
	s_delay_alu instid0(VALU_DEP_4) | instskip(NEXT) | instid1(VALU_DEP_3)
	v_and_b32_e32 v79, 0x1000, v79
	v_and_b32_e32 v80, 0x1000, v80
	s_delay_alu instid0(VALU_DEP_2) | instskip(SKIP_1) | instid1(VALU_DEP_1)
	v_or3_b32 v120, v78, v77, v79
	v_dual_lshlrev_b32 v78, 2, v92 :: v_dual_lshlrev_b32 v79, 9, v92
	v_and_b32_e32 v78, 0x100000, v78
	s_delay_alu instid0(VALU_DEP_2) | instskip(NEXT) | instid1(VALU_DEP_1)
	v_and_b32_e32 v79, 0x10000000, v79
	v_or3_b32 v77, v77, v78, v79
	v_dual_lshrrev_b32 v78, 4, v99 :: v_dual_lshrrev_b32 v79, 12, v98
	s_delay_alu instid0(VALU_DEP_2) | instskip(NEXT) | instid1(VALU_DEP_2)
	v_lshrrev_b32_e32 v77, 16, v77
	v_and_b32_e32 v78, 0xf0f0f0f, v78
	s_delay_alu instid0(VALU_DEP_3) | instskip(NEXT) | instid1(VALU_DEP_1)
	v_and_b32_e32 v79, 16, v79
	v_or3_b32 v92, v79, v78, v80
	v_dual_lshlrev_b32 v79, 2, v98 :: v_dual_lshlrev_b32 v80, 9, v98
	s_delay_alu instid0(VALU_DEP_1) | instskip(NEXT) | instid1(VALU_DEP_2)
	v_and_b32_e32 v79, 0x100000, v79
	v_and_b32_e32 v80, 0x10000000, v80
	s_delay_alu instid0(VALU_DEP_1) | instskip(SKIP_2) | instid1(VALU_DEP_2)
	v_or3_b32 v98, v78, v79, v80
	v_dual_lshrrev_b32 v78, 4, v97 :: v_dual_lshrrev_b32 v79, 12, v102
	v_lshrrev_b32_e32 v80, 5, v102
	v_and_b32_e32 v78, 0xf0f0f0f, v78
	s_delay_alu instid0(VALU_DEP_3) | instskip(NEXT) | instid1(VALU_DEP_3)
	v_and_b32_e32 v79, 16, v79
	v_and_b32_e32 v80, 0x1000, v80
	s_delay_alu instid0(VALU_DEP_1) | instskip(SKIP_1) | instid1(VALU_DEP_1)
	v_or3_b32 v97, v79, v78, v80
	v_dual_lshlrev_b32 v79, 2, v102 :: v_dual_lshlrev_b32 v80, 9, v102
	v_and_b32_e32 v79, 0x100000, v79
	s_delay_alu instid0(VALU_DEP_2) | instskip(NEXT) | instid1(VALU_DEP_1)
	v_and_b32_e32 v80, 0x10000000, v80
	v_or3_b32 v99, v78, v79, v80
	v_dual_lshrrev_b32 v78, 4, v96 :: v_dual_lshrrev_b32 v79, 12, v105
	v_lshrrev_b32_e32 v80, 5, v105
	s_delay_alu instid0(VALU_DEP_2) | instskip(NEXT) | instid1(VALU_DEP_3)
	v_and_b32_e32 v78, 0xf0f0f0f, v78
	v_and_b32_e32 v79, 16, v79
	s_delay_alu instid0(VALU_DEP_3) | instskip(NEXT) | instid1(VALU_DEP_1)
	v_and_b32_e32 v80, 0x1000, v80
	v_or3_b32 v96, v79, v78, v80
	v_dual_lshlrev_b32 v79, 2, v105 :: v_dual_lshlrev_b32 v80, 9, v105
	s_delay_alu instid0(VALU_DEP_1) | instskip(NEXT) | instid1(VALU_DEP_2)
	v_and_b32_e32 v79, 0x100000, v79
	v_and_b32_e32 v80, 0x10000000, v80
	s_delay_alu instid0(VALU_DEP_1) | instskip(SKIP_2) | instid1(VALU_DEP_2)
	v_or3_b32 v102, v78, v79, v80
	v_dual_lshrrev_b32 v78, 4, v95 :: v_dual_lshrrev_b32 v79, 12, v108
	v_lshrrev_b32_e32 v80, 5, v108
	v_and_b32_e32 v78, 0xf0f0f0f, v78
	s_delay_alu instid0(VALU_DEP_3) | instskip(NEXT) | instid1(VALU_DEP_3)
	v_and_b32_e32 v79, 16, v79
	v_and_b32_e32 v80, 0x1000, v80
	s_delay_alu instid0(VALU_DEP_1) | instskip(SKIP_1) | instid1(VALU_DEP_1)
	v_or3_b32 v95, v79, v78, v80
	v_dual_lshlrev_b32 v79, 2, v108 :: v_dual_lshlrev_b32 v80, 9, v108
	v_and_b32_e32 v79, 0x100000, v79
	s_delay_alu instid0(VALU_DEP_2) | instskip(NEXT) | instid1(VALU_DEP_1)
	v_and_b32_e32 v80, 0x10000000, v80
	v_or3_b32 v105, v78, v79, v80
	v_mad_nc_u64_u32 v[78:79], v4, 22, s[18:19]
	s_lshl_b32 s18, s14, 5
	s_delay_alu instid0(SALU_CYCLE_1) | instskip(NEXT) | instid1(VALU_DEP_1)
	s_cmp_lt_i32 s18, s5
	v_mad_nc_i64_i32 v[80:81], v44, 22, v[78:79]
	global_load_u16 v108, v[80:81], off
	s_wait_xcnt 0x0
	v_mad_nc_i64_i32 v[80:81], v46, 22, v[78:79]
	global_load_u16 v121, v[80:81], off
	s_wait_xcnt 0x0
	v_mad_nc_i64_i32 v[80:81], v48, 22, v[78:79]
	v_mad_nc_i64_i32 v[78:79], v50, 22, v[78:79]
	s_clause 0x1
	global_load_u16 v80, v[80:81], off
	global_load_u16 v78, v[78:79], off
	s_wait_xcnt 0x0
	v_and_b32_e32 v79, 0x1f00, v85
	v_lshlrev_b16 v81, 8, v85
	v_lshrrev_b32_e32 v85, 16, v117
	s_delay_alu instid0(VALU_DEP_3) | instskip(NEXT) | instid1(VALU_DEP_3)
	v_add_nc_u16 v79, 0xf000, v79
	v_add_nc_u16 v81, 0xf000, v81
	s_delay_alu instid0(VALU_DEP_1) | instskip(SKIP_1) | instid1(VALU_DEP_1)
	v_perm_b32 v79, v81, v79, 0xc0c0105
	v_lshrrev_b32_e32 v81, 16, v84
	v_and_b32_e32 v84, 0x1f00, v81
	v_lshlrev_b16 v81, 8, v81
	s_delay_alu instid0(VALU_DEP_2) | instskip(NEXT) | instid1(VALU_DEP_2)
	v_add_nc_u16 v84, 0xf000, v84
	v_add_nc_u16 v81, 0xf000, v81
	s_delay_alu instid0(VALU_DEP_1) | instskip(SKIP_1) | instid1(VALU_DEP_2)
	v_perm_b32 v81, v81, v84, 0xc0c0105
	v_lshlrev_b16 v84, 8, v116
	v_lshl_or_b32 v79, v81, 16, v79
	s_delay_alu instid0(VALU_DEP_2) | instskip(NEXT) | instid1(VALU_DEP_1)
	v_add_nc_u16 v84, 0xf000, v84
	v_lshrrev_b16 v84, 8, v84
	s_delay_alu instid0(VALU_DEP_1) | instskip(SKIP_2) | instid1(VALU_DEP_3)
	v_bitop3_b16 v84, v116, v84, 0x1f00 bitop3:0xec
	v_and_b32_e32 v116, 0x1f00, v85
	v_lshlrev_b16 v85, 8, v85
	v_add_nc_u16 v81, 0xf000, v84
	s_delay_alu instid0(VALU_DEP_3) | instskip(NEXT) | instid1(VALU_DEP_3)
	v_add_nc_u16 v116, 0xf000, v116
	v_add_nc_u16 v85, 0xf000, v85
	s_delay_alu instid0(VALU_DEP_3) | instskip(NEXT) | instid1(VALU_DEP_2)
	v_and_b32_e32 v81, 0xffff, v81
	v_perm_b32 v85, v85, v116, 0xc0c0105
	s_delay_alu instid0(VALU_DEP_1) | instskip(SKIP_1) | instid1(VALU_DEP_1)
	v_lshl_or_b32 v81, v85, 16, v81
	v_lshrrev_b32_e32 v85, 16, v86
	v_and_b32_e32 v86, 0x1f00, v85
	v_lshlrev_b16 v85, 8, v85
	s_delay_alu instid0(VALU_DEP_2) | instskip(NEXT) | instid1(VALU_DEP_2)
	v_add_nc_u16 v86, 0xf000, v86
	v_add_nc_u16 v85, 0xf000, v85
	s_delay_alu instid0(VALU_DEP_1)
	v_perm_b32 v85, v85, v86, 0xc0c0105
	v_lshrrev_b32_e32 v86, 16, v88
	s_wait_loadcnt 0x3
	v_cvt_f32_f16_e32 v84, v108
	ds_store_2addr_b32 v13, v79, v81 offset1:1
	v_and_b32_e32 v79, 0x1f00, v118
	v_lshlrev_b16 v81, 8, v118
	ds_store_b32 v47, v84
	v_add_nc_u16 v79, 0xf000, v79
	v_add_nc_u16 v81, 0xf000, v81
	s_wait_loadcnt 0x2
	v_cvt_f32_f16_e32 v84, v121
	s_delay_alu instid0(VALU_DEP_2)
	v_perm_b32 v79, v81, v79, 0xc0c0105
	v_lshlrev_b16 v81, 8, v87
	ds_store_b32 v49, v84
	v_lshl_or_b32 v79, v85, 16, v79
	v_add_nc_u16 v81, 0xf000, v81
	v_lshrrev_b32_e32 v85, 16, v89
	v_and_b32_e32 v84, 0x1f00, v77
	v_lshlrev_b16 v77, 8, v77
	s_delay_alu instid0(VALU_DEP_4)
	v_lshrrev_b16 v81, 8, v81
	s_wait_loadcnt 0x1
	v_cvt_f32_f16_e32 v80, v80
	v_add_nc_u16 v84, 0xf000, v84
	v_add_nc_u16 v77, 0xf000, v77
	v_bitop3_b16 v81, v87, v81, 0x1f00 bitop3:0xec
	v_and_b32_e32 v87, 0x1f00, v86
	v_lshlrev_b16 v86, 8, v86
	s_delay_alu instid0(VALU_DEP_4)
	v_perm_b32 v77, v77, v84, 0xc0c0105
	v_lshrrev_b32_e32 v84, 16, v94
	v_add_nc_u16 v81, 0xf000, v81
	v_add_nc_u16 v87, 0xf000, v87
	;; [unrolled: 1-line block ×3, first 2 shown]
	ds_store_b32 v51, v80
	s_wait_loadcnt 0x0
	v_cvt_f32_f16_e32 v80, v78
	v_and_b32_e32 v81, 0xffff, v81
	v_lshlrev_b16 v78, 8, v92
	v_perm_b32 v86, v86, v87, 0xc0c0105
	s_delay_alu instid0(VALU_DEP_2) | instskip(NEXT) | instid1(VALU_DEP_2)
	v_add_nc_u16 v78, 0xf000, v78
	v_lshl_or_b32 v81, v86, 16, v81
	v_and_b32_e32 v86, 0x1f00, v85
	v_lshlrev_b16 v85, 8, v85
	ds_store_2addr_b32 v15, v81, v79 offset1:1
	v_and_b32_e32 v79, 0x1f00, v119
	v_lshlrev_b16 v81, 8, v119
	v_add_nc_u16 v86, 0xf000, v86
	v_add_nc_u16 v85, 0xf000, v85
	s_delay_alu instid0(VALU_DEP_4) | instskip(NEXT) | instid1(VALU_DEP_4)
	v_add_nc_u16 v79, 0xf000, v79
	v_add_nc_u16 v81, 0xf000, v81
	s_delay_alu instid0(VALU_DEP_3) | instskip(SKIP_1) | instid1(VALU_DEP_3)
	v_perm_b32 v85, v85, v86, 0xc0c0105
	v_lshrrev_b32_e32 v86, 16, v91
	v_perm_b32 v79, v81, v79, 0xc0c0105
	v_lshlrev_b16 v81, 8, v90
	s_delay_alu instid0(VALU_DEP_3) | instskip(SKIP_1) | instid1(VALU_DEP_4)
	v_and_b32_e32 v87, 0x1f00, v86
	v_lshlrev_b16 v86, 8, v86
	v_lshl_or_b32 v79, v85, 16, v79
	s_delay_alu instid0(VALU_DEP_4)
	v_add_nc_u16 v81, 0xf000, v81
	v_and_b32_e32 v85, 0x1f00, v84
	v_add_nc_u16 v87, 0xf000, v87
	v_add_nc_u16 v86, 0xf000, v86
	v_lshlrev_b16 v84, 8, v84
	v_lshrrev_b16 v81, 8, v81
	v_add_nc_u16 v85, 0xf000, v85
	s_delay_alu instid0(VALU_DEP_4) | instskip(NEXT) | instid1(VALU_DEP_4)
	v_perm_b32 v86, v86, v87, 0xc0c0105
	v_add_nc_u16 v84, 0xf000, v84
	s_delay_alu instid0(VALU_DEP_4) | instskip(NEXT) | instid1(VALU_DEP_2)
	v_bitop3_b16 v81, v90, v81, 0x1f00 bitop3:0xec
	v_perm_b32 v84, v84, v85, 0xc0c0105
	s_delay_alu instid0(VALU_DEP_2) | instskip(NEXT) | instid1(VALU_DEP_1)
	v_add_nc_u16 v81, 0xf000, v81
	v_and_b32_e32 v81, 0xffff, v81
	s_delay_alu instid0(VALU_DEP_1) | instskip(SKIP_3) | instid1(VALU_DEP_2)
	v_lshl_or_b32 v81, v86, 16, v81
	ds_store_2addr_b32 v17, v81, v79 offset1:1
	v_and_b32_e32 v79, 0x1f00, v120
	v_lshlrev_b16 v81, 8, v120
	v_add_nc_u16 v79, 0xf000, v79
	s_delay_alu instid0(VALU_DEP_2) | instskip(NEXT) | instid1(VALU_DEP_1)
	v_add_nc_u16 v81, 0xf000, v81
	v_perm_b32 v79, v81, v79, 0xc0c0105
	v_lshlrev_b16 v81, 8, v93
	s_delay_alu instid0(VALU_DEP_2) | instskip(NEXT) | instid1(VALU_DEP_2)
	v_lshl_or_b32 v77, v77, 16, v79
	v_add_nc_u16 v81, 0xf000, v81
	s_delay_alu instid0(VALU_DEP_1) | instskip(NEXT) | instid1(VALU_DEP_1)
	v_lshrrev_b16 v81, 8, v81
	v_bitop3_b16 v81, v93, v81, 0x1f00 bitop3:0xec
	s_delay_alu instid0(VALU_DEP_1) | instskip(NEXT) | instid1(VALU_DEP_1)
	v_add_nc_u16 v79, 0xf000, v81
	v_and_b32_e32 v79, 0xffff, v79
	s_delay_alu instid0(VALU_DEP_1) | instskip(SKIP_3) | instid1(VALU_DEP_2)
	v_lshl_or_b32 v79, v84, 16, v79
	ds_store_2addr_b32 v19, v79, v77 offset1:1
	v_and_b32_e32 v77, 0x1f00, v92
	v_lshrrev_b32_e32 v79, 16, v98
	v_add_nc_u16 v77, 0xf000, v77
	s_delay_alu instid0(VALU_DEP_2) | instskip(SKIP_1) | instid1(VALU_DEP_3)
	v_and_b32_e32 v81, 0x1f00, v79
	v_lshlrev_b16 v79, 8, v79
	v_perm_b32 v77, v78, v77, 0xc0c0105
	v_lshlrev_b16 v78, 8, v101
	s_delay_alu instid0(VALU_DEP_4) | instskip(NEXT) | instid1(VALU_DEP_4)
	v_add_nc_u16 v81, 0xf000, v81
	v_add_nc_u16 v79, 0xf000, v79
	s_delay_alu instid0(VALU_DEP_3) | instskip(NEXT) | instid1(VALU_DEP_2)
	v_add_nc_u16 v78, 0xf000, v78
	v_perm_b32 v79, v79, v81, 0xc0c0105
	v_lshrrev_b32_e32 v81, 16, v100
	s_delay_alu instid0(VALU_DEP_3) | instskip(NEXT) | instid1(VALU_DEP_3)
	v_lshrrev_b16 v78, 8, v78
	v_lshl_or_b32 v77, v79, 16, v77
	s_delay_alu instid0(VALU_DEP_3) | instskip(SKIP_1) | instid1(VALU_DEP_4)
	v_and_b32_e32 v84, 0x1f00, v81
	v_lshlrev_b16 v81, 8, v81
	v_bitop3_b16 v78, v101, v78, 0x1f00 bitop3:0xec
	v_lshrrev_b32_e32 v79, 5, v83
	s_delay_alu instid0(VALU_DEP_4) | instskip(NEXT) | instid1(VALU_DEP_4)
	v_add_nc_u16 v84, 0xf000, v84
	v_add_nc_u16 v81, 0xf000, v81
	s_delay_alu instid0(VALU_DEP_4) | instskip(NEXT) | instid1(VALU_DEP_4)
	v_add_nc_u16 v78, 0xf000, v78
	v_and_b32_e32 v79, 0x1000, v79
	s_delay_alu instid0(VALU_DEP_3) | instskip(NEXT) | instid1(VALU_DEP_3)
	v_perm_b32 v81, v81, v84, 0xc0c0105
	v_and_b32_e32 v78, 0xffff, v78
	s_delay_alu instid0(VALU_DEP_1) | instskip(SKIP_4) | instid1(VALU_DEP_2)
	v_lshl_or_b32 v78, v81, 16, v78
	v_lshlrev_b32_e32 v81, 9, v83
	ds_store_2addr_b32 v21, v78, v77 offset1:1
	v_dual_lshrrev_b32 v77, 4, v82 :: v_dual_lshrrev_b32 v78, 12, v83
	v_and_b32_e32 v81, 0x10000000, v81
	v_and_b32_e32 v77, 0xf0f0f0f, v77
	s_delay_alu instid0(VALU_DEP_3) | instskip(NEXT) | instid1(VALU_DEP_1)
	v_and_b32_e32 v78, 16, v78
	v_or3_b32 v78, v78, v77, v79
	v_lshlrev_b32_e32 v79, 2, v83
	v_lshrrev_b32_e32 v83, 16, v99
	s_delay_alu instid0(VALU_DEP_2) | instskip(NEXT) | instid1(VALU_DEP_2)
	v_and_b32_e32 v79, 0x100000, v79
	v_and_b32_e32 v84, 0x1f00, v83
	v_lshlrev_b16 v83, 8, v83
	s_delay_alu instid0(VALU_DEP_3)
	v_or3_b32 v77, v77, v79, v81
	v_and_b32_e32 v79, 0x1f00, v103
	v_lshlrev_b16 v81, 8, v103
	v_add_nc_u16 v84, 0xf000, v84
	v_add_nc_u16 v83, 0xf000, v83
	v_lshrrev_b32_e32 v77, 16, v77
	v_add_nc_u16 v79, 0xf000, v79
	v_add_nc_u16 v81, 0xf000, v81
	s_delay_alu instid0(VALU_DEP_4) | instskip(NEXT) | instid1(VALU_DEP_2)
	v_perm_b32 v83, v83, v84, 0xc0c0105
	v_perm_b32 v79, v81, v79, 0xc0c0105
	v_lshrrev_b32_e32 v81, 16, v104
	s_delay_alu instid0(VALU_DEP_1) | instskip(SKIP_1) | instid1(VALU_DEP_2)
	v_and_b32_e32 v82, 0x1f00, v81
	v_lshlrev_b16 v81, 8, v81
	v_add_nc_u16 v82, 0xf000, v82
	s_delay_alu instid0(VALU_DEP_2) | instskip(NEXT) | instid1(VALU_DEP_1)
	v_add_nc_u16 v81, 0xf000, v81
	v_perm_b32 v81, v81, v82, 0xc0c0105
	v_lshlrev_b16 v82, 8, v97
	s_delay_alu instid0(VALU_DEP_2) | instskip(NEXT) | instid1(VALU_DEP_2)
	v_lshl_or_b32 v79, v81, 16, v79
	v_add_nc_u16 v82, 0xf000, v82
	s_delay_alu instid0(VALU_DEP_1) | instskip(NEXT) | instid1(VALU_DEP_1)
	v_lshrrev_b16 v82, 8, v82
	v_bitop3_b16 v82, v97, v82, 0x1f00 bitop3:0xec
	s_delay_alu instid0(VALU_DEP_1) | instskip(NEXT) | instid1(VALU_DEP_1)
	v_add_nc_u16 v81, 0xf000, v82
	v_and_b32_e32 v81, 0xffff, v81
	s_delay_alu instid0(VALU_DEP_1) | instskip(SKIP_3) | instid1(VALU_DEP_2)
	v_lshl_or_b32 v81, v83, 16, v81
	ds_store_2addr_b32 v23, v79, v81 offset1:1
	v_and_b32_e32 v79, 0x1f00, v106
	v_lshlrev_b16 v81, 8, v106
	v_add_nc_u16 v79, 0xf000, v79
	s_delay_alu instid0(VALU_DEP_2) | instskip(NEXT) | instid1(VALU_DEP_1)
	v_add_nc_u16 v81, 0xf000, v81
	v_perm_b32 v79, v81, v79, 0xc0c0105
	v_lshrrev_b32_e32 v81, 16, v107
	s_delay_alu instid0(VALU_DEP_1) | instskip(SKIP_1) | instid1(VALU_DEP_2)
	v_and_b32_e32 v82, 0x1f00, v81
	v_lshlrev_b16 v81, 8, v81
	v_add_nc_u16 v82, 0xf000, v82
	s_delay_alu instid0(VALU_DEP_2) | instskip(NEXT) | instid1(VALU_DEP_1)
	v_add_nc_u16 v81, 0xf000, v81
	v_perm_b32 v81, v81, v82, 0xc0c0105
	v_lshrrev_b32_e32 v82, 16, v102
	s_delay_alu instid0(VALU_DEP_2) | instskip(SKIP_1) | instid1(VALU_DEP_3)
	v_lshl_or_b32 v79, v81, 16, v79
	v_lshlrev_b16 v81, 8, v96
	v_and_b32_e32 v83, 0x1f00, v82
	v_lshlrev_b16 v82, 8, v82
	s_delay_alu instid0(VALU_DEP_3) | instskip(NEXT) | instid1(VALU_DEP_3)
	v_add_nc_u16 v81, 0xf000, v81
	v_add_nc_u16 v83, 0xf000, v83
	s_delay_alu instid0(VALU_DEP_3) | instskip(NEXT) | instid1(VALU_DEP_3)
	v_add_nc_u16 v82, 0xf000, v82
	v_lshrrev_b16 v81, 8, v81
	s_delay_alu instid0(VALU_DEP_2) | instskip(NEXT) | instid1(VALU_DEP_2)
	v_perm_b32 v82, v82, v83, 0xc0c0105
	v_bitop3_b16 v81, v96, v81, 0x1f00 bitop3:0xec
	s_delay_alu instid0(VALU_DEP_1) | instskip(NEXT) | instid1(VALU_DEP_1)
	v_add_nc_u16 v81, 0xf000, v81
	v_and_b32_e32 v81, 0xffff, v81
	s_delay_alu instid0(VALU_DEP_1) | instskip(SKIP_3) | instid1(VALU_DEP_2)
	v_lshl_or_b32 v81, v82, 16, v81
	ds_store_2addr_b32 v25, v79, v81 offset1:1
	v_and_b32_e32 v79, 0x1f00, v109
	v_lshlrev_b16 v81, 8, v109
	v_add_nc_u16 v79, 0xf000, v79
	s_delay_alu instid0(VALU_DEP_2) | instskip(NEXT) | instid1(VALU_DEP_1)
	v_add_nc_u16 v81, 0xf000, v81
	v_perm_b32 v79, v81, v79, 0xc0c0105
	v_lshrrev_b32_e32 v81, 16, v110
	s_delay_alu instid0(VALU_DEP_1) | instskip(SKIP_1) | instid1(VALU_DEP_2)
	v_and_b32_e32 v82, 0x1f00, v81
	v_lshlrev_b16 v81, 8, v81
	v_add_nc_u16 v82, 0xf000, v82
	s_delay_alu instid0(VALU_DEP_2) | instskip(NEXT) | instid1(VALU_DEP_1)
	v_add_nc_u16 v81, 0xf000, v81
	v_perm_b32 v81, v81, v82, 0xc0c0105
	v_lshlrev_b16 v82, 8, v95
	s_delay_alu instid0(VALU_DEP_2) | instskip(NEXT) | instid1(VALU_DEP_2)
	v_lshl_or_b32 v79, v81, 16, v79
	v_add_nc_u16 v82, 0xf000, v82
	v_lshrrev_b32_e32 v81, 16, v105
	s_delay_alu instid0(VALU_DEP_2) | instskip(NEXT) | instid1(VALU_DEP_2)
	v_lshrrev_b16 v82, 8, v82
	v_and_b32_e32 v83, 0x1f00, v81
	v_lshlrev_b16 v81, 8, v81
	s_delay_alu instid0(VALU_DEP_3) | instskip(NEXT) | instid1(VALU_DEP_3)
	v_bitop3_b16 v82, v95, v82, 0x1f00 bitop3:0xec
	v_add_nc_u16 v83, 0xf000, v83
	s_delay_alu instid0(VALU_DEP_3) | instskip(NEXT) | instid1(VALU_DEP_3)
	v_add_nc_u16 v81, 0xf000, v81
	v_add_nc_u16 v82, 0xf000, v82
	s_delay_alu instid0(VALU_DEP_2) | instskip(NEXT) | instid1(VALU_DEP_2)
	v_perm_b32 v81, v81, v83, 0xc0c0105
	v_and_b32_e32 v82, 0xffff, v82
	s_delay_alu instid0(VALU_DEP_1) | instskip(SKIP_3) | instid1(VALU_DEP_2)
	v_lshl_or_b32 v81, v81, 16, v82
	ds_store_2addr_b32 v27, v79, v81 offset1:1
	v_lshlrev_b16 v79, 8, v78
	v_lshlrev_b16 v81, 8, v114
	v_add_nc_u16 v79, 0xf000, v79
	s_delay_alu instid0(VALU_DEP_2) | instskip(NEXT) | instid1(VALU_DEP_2)
	v_add_nc_u16 v81, 0xf000, v81
	v_lshrrev_b16 v79, 8, v79
	s_delay_alu instid0(VALU_DEP_1) | instskip(SKIP_1) | instid1(VALU_DEP_2)
	v_bitop3_b16 v78, v78, v79, 0x1f00 bitop3:0xec
	v_and_b32_e32 v79, 0x1f00, v114
	v_add_nc_u16 v78, 0xf000, v78
	s_delay_alu instid0(VALU_DEP_2) | instskip(NEXT) | instid1(VALU_DEP_2)
	v_add_nc_u16 v79, 0xf000, v79
	v_and_b32_e32 v78, 0xffff, v78
	s_delay_alu instid0(VALU_DEP_2) | instskip(SKIP_1) | instid1(VALU_DEP_1)
	v_perm_b32 v79, v81, v79, 0xc0c0105
	v_lshrrev_b32_e32 v81, 16, v115
	v_and_b32_e32 v82, 0x1f00, v81
	v_lshlrev_b16 v81, 8, v81
	s_delay_alu instid0(VALU_DEP_2) | instskip(NEXT) | instid1(VALU_DEP_2)
	v_add_nc_u16 v82, 0xf000, v82
	v_add_nc_u16 v81, 0xf000, v81
	s_delay_alu instid0(VALU_DEP_1) | instskip(SKIP_2) | instid1(VALU_DEP_3)
	v_perm_b32 v81, v81, v82, 0xc0c0105
	v_and_b32_e32 v82, 0x1f00, v77
	v_lshlrev_b16 v77, 8, v77
	v_lshl_or_b32 v79, v81, 16, v79
	s_delay_alu instid0(VALU_DEP_3) | instskip(NEXT) | instid1(VALU_DEP_3)
	v_add_nc_u16 v82, 0xf000, v82
	v_add_nc_u16 v77, 0xf000, v77
	s_delay_alu instid0(VALU_DEP_1) | instskip(NEXT) | instid1(VALU_DEP_1)
	v_perm_b32 v77, v77, v82, 0xc0c0105
	v_lshl_or_b32 v77, v77, 16, v78
	v_and_b32_e32 v78, 0xf0f0f0f, v113
	ds_store_2addr_b32 v31, v79, v77 offset1:1
	v_dual_lshlrev_b32 v77, 11, v58 :: v_dual_lshlrev_b32 v79, 25, v58
	s_delay_alu instid0(VALU_DEP_1) | instskip(NEXT) | instid1(VALU_DEP_2)
	v_and_b32_e32 v77, 0x1000, v77
	v_and_b32_e32 v79, 0x10000000, v79
	s_delay_alu instid0(VALU_DEP_2) | instskip(SKIP_1) | instid1(VALU_DEP_1)
	v_or3_b32 v77, v59, v78, v77
	v_lshlrev_b32_e32 v59, 18, v58
	v_and_b32_e32 v59, 0x100000, v59
	s_delay_alu instid0(VALU_DEP_1) | instskip(SKIP_2) | instid1(VALU_DEP_2)
	v_or3_b32 v81, v78, v59, v79
	v_dual_lshrrev_b32 v59, 4, v113 :: v_dual_lshrrev_b32 v78, 12, v58
	v_lshrrev_b32_e32 v79, 5, v58
	v_and_b32_e32 v59, 0xf0f0f0f, v59
	s_delay_alu instid0(VALU_DEP_3) | instskip(NEXT) | instid1(VALU_DEP_3)
	v_and_b32_e32 v78, 16, v78
	v_and_b32_e32 v79, 0x1000, v79
	s_delay_alu instid0(VALU_DEP_1) | instskip(SKIP_1) | instid1(VALU_DEP_1)
	v_or3_b32 v82, v78, v59, v79
	v_dual_lshlrev_b32 v78, 2, v58 :: v_dual_lshlrev_b32 v58, 9, v58
	v_and_b32_e32 v78, 0x100000, v78
	s_delay_alu instid0(VALU_DEP_2) | instskip(NEXT) | instid1(VALU_DEP_1)
	v_and_b32_e32 v58, 0x10000000, v58
	v_or3_b32 v83, v59, v78, v58
	v_lshlrev_b32_e32 v58, 11, v56
	v_and_b32_e32 v59, 0xf0f0f0f, v112
	s_delay_alu instid0(VALU_DEP_2) | instskip(NEXT) | instid1(VALU_DEP_1)
	v_and_b32_e32 v58, 0x1000, v58
	v_or3_b32 v84, v57, v59, v58
	v_dual_lshlrev_b32 v57, 18, v56 :: v_dual_lshlrev_b32 v58, 25, v56
	s_delay_alu instid0(VALU_DEP_1) | instskip(NEXT) | instid1(VALU_DEP_2)
	v_and_b32_e32 v57, 0x100000, v57
	v_and_b32_e32 v58, 0x10000000, v58
	s_delay_alu instid0(VALU_DEP_1) | instskip(SKIP_1) | instid1(VALU_DEP_1)
	v_or3_b32 v85, v59, v57, v58
	v_dual_lshrrev_b32 v58, 12, v56 :: v_dual_lshrrev_b32 v59, 5, v56
	v_dual_lshrrev_b32 v57, 4, v112 :: v_dual_bitop2_b32 v58, 16, v58 bitop3:0x40
	s_delay_alu instid0(VALU_DEP_2) | instskip(NEXT) | instid1(VALU_DEP_2)
	v_and_b32_e32 v59, 0x1000, v59
	v_and_b32_e32 v57, 0xf0f0f0f, v57
	s_delay_alu instid0(VALU_DEP_1) | instskip(SKIP_1) | instid1(VALU_DEP_1)
	v_or3_b32 v86, v58, v57, v59
	v_dual_lshlrev_b32 v58, 2, v56 :: v_dual_lshlrev_b32 v56, 9, v56
	v_and_b32_e32 v58, 0x100000, v58
	s_delay_alu instid0(VALU_DEP_2) | instskip(NEXT) | instid1(VALU_DEP_1)
	v_and_b32_e32 v56, 0x10000000, v56
	v_or3_b32 v87, v57, v58, v56
	v_lshlrev_b32_e32 v56, 11, v54
	v_and_b32_e32 v57, 0xf0f0f0f, v111
	s_delay_alu instid0(VALU_DEP_2) | instskip(NEXT) | instid1(VALU_DEP_1)
	v_and_b32_e32 v56, 0x1000, v56
	v_or3_b32 v88, v55, v57, v56
	v_dual_lshlrev_b32 v55, 18, v54 :: v_dual_lshlrev_b32 v56, 25, v54
	s_delay_alu instid0(VALU_DEP_1) | instskip(NEXT) | instid1(VALU_DEP_2)
	v_and_b32_e32 v55, 0x100000, v55
	v_and_b32_e32 v56, 0x10000000, v56
	s_delay_alu instid0(VALU_DEP_1) | instskip(SKIP_2) | instid1(VALU_DEP_2)
	v_or3_b32 v89, v57, v55, v56
	v_dual_lshrrev_b32 v55, 4, v111 :: v_dual_lshrrev_b32 v56, 12, v54
	v_lshrrev_b32_e32 v57, 5, v54
	v_and_b32_e32 v55, 0xf0f0f0f, v55
	s_delay_alu instid0(VALU_DEP_3) | instskip(NEXT) | instid1(VALU_DEP_3)
	v_and_b32_e32 v56, 16, v56
	v_and_b32_e32 v57, 0x1000, v57
	s_delay_alu instid0(VALU_DEP_1) | instskip(SKIP_1) | instid1(VALU_DEP_1)
	v_or3_b32 v90, v56, v55, v57
	v_dual_lshlrev_b32 v56, 2, v54 :: v_dual_lshlrev_b32 v54, 9, v54
	v_and_b32_e32 v56, 0x100000, v56
	s_delay_alu instid0(VALU_DEP_2) | instskip(NEXT) | instid1(VALU_DEP_1)
	v_and_b32_e32 v54, 0x10000000, v54
	v_or3_b32 v91, v55, v56, v54
	v_mad_nc_i64_i32 v[54:55], v42, 22, v[52:53]
	s_delay_alu instid0(VALU_DEP_1)
	v_add_nc_u64_e32 v[56:57], v[54:55], v[2:3]
	s_clause 0x1
	global_load_b32 v54, v[54:55], off offset:2
	global_load_b32 v92, v[56:57], off offset:6
	s_wait_xcnt 0x0
	v_mad_nc_i64_i32 v[56:57], v40, 22, v[52:53]
	s_delay_alu instid0(VALU_DEP_1)
	v_add_nc_u64_e32 v[58:59], v[56:57], v[2:3]
	s_clause 0x1
	global_load_b32 v56, v[56:57], off offset:2
	global_load_b32 v93, v[58:59], off offset:6
	s_wait_xcnt 0x0
	v_mad_nc_i64_i32 v[58:59], v38, 22, v[52:53]
	v_mad_nc_i64_i32 v[52:53], v36, 22, v[52:53]
	s_delay_alu instid0(VALU_DEP_2)
	v_add_nc_u64_e32 v[78:79], v[58:59], v[2:3]
	s_clause 0x1
	global_load_b32 v78, v[78:79], off offset:6
	global_load_b32 v79, v[52:53], off offset:2
	s_wait_xcnt 0x0
	v_add_nc_u64_e32 v[52:53], v[52:53], v[2:3]
	global_load_b32 v52, v[52:53], off offset:6
	s_wait_loadcnt 0x6
	v_ashrrev_i32_e32 v54, v2, v54
	s_delay_alu instid0(VALU_DEP_1) | instskip(SKIP_1) | instid1(VALU_DEP_1)
	v_lshlrev_b32_e32 v55, 4, v54
	s_wait_loadcnt 0x4
	v_dual_ashrrev_i32 v56, v2, v56 :: v_dual_bitop2_b32 v55, 16, v55 bitop3:0x40
	s_delay_alu instid0(VALU_DEP_1) | instskip(SKIP_2) | instid1(VALU_DEP_1)
	v_lshlrev_b32_e32 v57, 4, v56
	s_wait_loadcnt 0x1
	s_wait_xcnt 0x0
	v_dual_ashrrev_i32 v53, v2, v79 :: v_dual_bitop2_b32 v57, 16, v57 bitop3:0x40
	s_delay_alu instid0(VALU_DEP_1) | instskip(SKIP_2) | instid1(VALU_DEP_2)
	v_lshlrev_b32_e32 v79, 4, v53
	s_wait_loadcnt 0x0
	v_and_b32_e32 v95, 0xf0f0f0f, v52
	v_dual_lshlrev_b32 v94, 11, v53 :: v_dual_bitop2_b32 v79, 16, v79 bitop3:0x40
	v_dual_lshlrev_b32 v96, 25, v53 :: v_dual_lshrrev_b32 v52, 4, v52
	s_delay_alu instid0(VALU_DEP_2) | instskip(NEXT) | instid1(VALU_DEP_2)
	v_and_b32_e32 v94, 0x1000, v94
	v_and_b32_e32 v96, 0x10000000, v96
	s_delay_alu instid0(VALU_DEP_2) | instskip(SKIP_1) | instid1(VALU_DEP_1)
	v_or3_b32 v79, v79, v95, v94
	v_lshlrev_b32_e32 v94, 18, v53
	v_and_b32_e32 v94, 0x100000, v94
	s_delay_alu instid0(VALU_DEP_1) | instskip(SKIP_2) | instid1(VALU_DEP_2)
	v_or3_b32 v94, v95, v94, v96
	v_dual_lshrrev_b32 v95, 12, v53 :: v_dual_lshrrev_b32 v96, 5, v53
	v_and_b32_e32 v52, 0xf0f0f0f, v52
	v_and_b32_e32 v95, 16, v95
	s_delay_alu instid0(VALU_DEP_3) | instskip(NEXT) | instid1(VALU_DEP_1)
	v_and_b32_e32 v96, 0x1000, v96
	v_or3_b32 v95, v95, v52, v96
	v_dual_lshlrev_b32 v96, 2, v53 :: v_dual_lshlrev_b32 v53, 9, v53
	s_delay_alu instid0(VALU_DEP_1) | instskip(NEXT) | instid1(VALU_DEP_2)
	v_and_b32_e32 v96, 0x100000, v96
	v_and_b32_e32 v53, 0x10000000, v53
	s_delay_alu instid0(VALU_DEP_1) | instskip(SKIP_2) | instid1(VALU_DEP_3)
	v_or3_b32 v52, v52, v96, v53
	v_and_b32_e32 v53, 0x1f00, v77
	v_lshlrev_b16 v77, 8, v77
	v_lshrrev_b32_e32 v52, 16, v52
	s_delay_alu instid0(VALU_DEP_3) | instskip(NEXT) | instid1(VALU_DEP_3)
	v_add_nc_u16 v53, 0xf000, v53
	v_add_nc_u16 v77, 0xf000, v77
	s_delay_alu instid0(VALU_DEP_1) | instskip(SKIP_1) | instid1(VALU_DEP_1)
	v_perm_b32 v53, v77, v53, 0xc0c0105
	v_lshrrev_b32_e32 v77, 16, v81
	v_and_b32_e32 v81, 0x1f00, v77
	v_lshlrev_b16 v77, 8, v77
	s_delay_alu instid0(VALU_DEP_2) | instskip(NEXT) | instid1(VALU_DEP_2)
	v_add_nc_u16 v81, 0xf000, v81
	v_add_nc_u16 v77, 0xf000, v77
	s_delay_alu instid0(VALU_DEP_1) | instskip(SKIP_1) | instid1(VALU_DEP_2)
	v_perm_b32 v77, v77, v81, 0xc0c0105
	v_dual_lshrrev_b32 v81, 16, v83 :: v_dual_lshrrev_b32 v83, 5, v54
	v_lshl_or_b32 v53, v77, 16, v53
	v_lshlrev_b16 v77, 8, v82
	s_delay_alu instid0(VALU_DEP_3) | instskip(NEXT) | instid1(VALU_DEP_2)
	v_and_b32_e32 v83, 0x1000, v83
	v_add_nc_u16 v77, 0xf000, v77
	s_delay_alu instid0(VALU_DEP_1) | instskip(NEXT) | instid1(VALU_DEP_1)
	v_lshrrev_b16 v77, 8, v77
	v_bitop3_b16 v77, v82, v77, 0x1f00 bitop3:0xec
	v_and_b32_e32 v82, 0x1f00, v81
	v_lshlrev_b16 v81, 8, v81
	s_delay_alu instid0(VALU_DEP_3) | instskip(NEXT) | instid1(VALU_DEP_3)
	v_add_nc_u16 v77, 0xf000, v77
	v_add_nc_u16 v82, 0xf000, v82
	s_delay_alu instid0(VALU_DEP_3) | instskip(NEXT) | instid1(VALU_DEP_3)
	v_add_nc_u16 v81, 0xf000, v81
	v_and_b32_e32 v77, 0xffff, v77
	s_delay_alu instid0(VALU_DEP_2) | instskip(NEXT) | instid1(VALU_DEP_1)
	v_perm_b32 v81, v81, v82, 0xc0c0105
	v_lshl_or_b32 v77, v81, 16, v77
	ds_store_2addr_b32 v33, v53, v77 offset1:1
	v_and_b32_e32 v53, 0x1f00, v84
	v_lshlrev_b16 v77, 8, v84
	s_delay_alu instid0(VALU_DEP_2) | instskip(NEXT) | instid1(VALU_DEP_2)
	v_add_nc_u16 v53, 0xf000, v53
	v_add_nc_u16 v77, 0xf000, v77
	s_delay_alu instid0(VALU_DEP_1) | instskip(SKIP_1) | instid1(VALU_DEP_1)
	v_perm_b32 v53, v77, v53, 0xc0c0105
	v_lshrrev_b32_e32 v77, 16, v85
	v_and_b32_e32 v81, 0x1f00, v77
	v_lshlrev_b16 v77, 8, v77
	s_delay_alu instid0(VALU_DEP_2) | instskip(NEXT) | instid1(VALU_DEP_2)
	v_add_nc_u16 v81, 0xf000, v81
	v_add_nc_u16 v77, 0xf000, v77
	s_delay_alu instid0(VALU_DEP_1) | instskip(SKIP_1) | instid1(VALU_DEP_2)
	v_perm_b32 v77, v77, v81, 0xc0c0105
	v_lshrrev_b32_e32 v81, 16, v87
	v_lshl_or_b32 v53, v77, 16, v53
	v_lshlrev_b16 v77, 8, v86
	s_delay_alu instid0(VALU_DEP_3) | instskip(SKIP_1) | instid1(VALU_DEP_3)
	v_and_b32_e32 v82, 0x1f00, v81
	v_lshlrev_b16 v81, 8, v81
	v_add_nc_u16 v77, 0xf000, v77
	s_delay_alu instid0(VALU_DEP_3) | instskip(NEXT) | instid1(VALU_DEP_3)
	v_add_nc_u16 v82, 0xf000, v82
	v_add_nc_u16 v81, 0xf000, v81
	s_delay_alu instid0(VALU_DEP_3) | instskip(NEXT) | instid1(VALU_DEP_2)
	v_lshrrev_b16 v77, 8, v77
	v_perm_b32 v81, v81, v82, 0xc0c0105
	s_delay_alu instid0(VALU_DEP_2) | instskip(NEXT) | instid1(VALU_DEP_1)
	v_bitop3_b16 v77, v86, v77, 0x1f00 bitop3:0xec
	v_add_nc_u16 v77, 0xf000, v77
	s_delay_alu instid0(VALU_DEP_1) | instskip(NEXT) | instid1(VALU_DEP_1)
	v_and_b32_e32 v77, 0xffff, v77
	v_lshl_or_b32 v77, v81, 16, v77
	ds_store_2addr_b32 v35, v53, v77 offset1:1
	v_and_b32_e32 v53, 0x1f00, v88
	v_lshlrev_b16 v77, 8, v88
	s_delay_alu instid0(VALU_DEP_2) | instskip(NEXT) | instid1(VALU_DEP_2)
	v_add_nc_u16 v53, 0xf000, v53
	v_add_nc_u16 v77, 0xf000, v77
	s_delay_alu instid0(VALU_DEP_1) | instskip(SKIP_1) | instid1(VALU_DEP_1)
	v_perm_b32 v53, v77, v53, 0xc0c0105
	v_lshrrev_b32_e32 v77, 16, v89
	v_and_b32_e32 v81, 0x1f00, v77
	v_lshlrev_b16 v77, 8, v77
	s_delay_alu instid0(VALU_DEP_2) | instskip(NEXT) | instid1(VALU_DEP_2)
	v_add_nc_u16 v81, 0xf000, v81
	v_add_nc_u16 v77, 0xf000, v77
	s_delay_alu instid0(VALU_DEP_1) | instskip(SKIP_1) | instid1(VALU_DEP_2)
	v_perm_b32 v77, v77, v81, 0xc0c0105
	v_lshlrev_b16 v81, 8, v90
	v_lshl_or_b32 v53, v77, 16, v53
	s_delay_alu instid0(VALU_DEP_2) | instskip(SKIP_1) | instid1(VALU_DEP_2)
	v_add_nc_u16 v81, 0xf000, v81
	v_lshrrev_b32_e32 v77, 16, v91
	v_lshrrev_b16 v81, 8, v81
	s_delay_alu instid0(VALU_DEP_2) | instskip(SKIP_1) | instid1(VALU_DEP_3)
	v_and_b32_e32 v82, 0x1f00, v77
	v_lshlrev_b16 v77, 8, v77
	v_bitop3_b16 v81, v90, v81, 0x1f00 bitop3:0xec
	s_delay_alu instid0(VALU_DEP_3) | instskip(NEXT) | instid1(VALU_DEP_3)
	v_add_nc_u16 v82, 0xf000, v82
	v_add_nc_u16 v77, 0xf000, v77
	s_delay_alu instid0(VALU_DEP_3) | instskip(NEXT) | instid1(VALU_DEP_2)
	v_add_nc_u16 v81, 0xf000, v81
	v_perm_b32 v77, v77, v82, 0xc0c0105
	v_lshlrev_b32_e32 v82, 25, v54
	s_delay_alu instid0(VALU_DEP_3) | instskip(NEXT) | instid1(VALU_DEP_2)
	v_and_b32_e32 v81, 0xffff, v81
	v_and_b32_e32 v82, 0x10000000, v82
	s_delay_alu instid0(VALU_DEP_2) | instskip(SKIP_4) | instid1(VALU_DEP_3)
	v_lshl_or_b32 v77, v77, 16, v81
	ds_store_2addr_b32 v37, v53, v77 offset1:1
	v_and_b32_e32 v77, 0x1f00, v79
	v_lshlrev_b16 v79, 8, v79
	v_lshlrev_b16 v53, 8, v95
	v_add_nc_u16 v77, 0xf000, v77
	s_delay_alu instid0(VALU_DEP_3) | instskip(NEXT) | instid1(VALU_DEP_3)
	v_add_nc_u16 v79, 0xf000, v79
	v_add_nc_u16 v53, 0xf000, v53
	s_delay_alu instid0(VALU_DEP_2) | instskip(SKIP_1) | instid1(VALU_DEP_3)
	v_perm_b32 v77, v79, v77, 0xc0c0105
	v_lshrrev_b32_e32 v79, 16, v94
	v_lshrrev_b16 v53, 8, v53
	s_delay_alu instid0(VALU_DEP_2) | instskip(SKIP_1) | instid1(VALU_DEP_3)
	v_and_b32_e32 v81, 0x1f00, v79
	v_lshlrev_b16 v79, 8, v79
	v_bitop3_b16 v53, v95, v53, 0x1f00 bitop3:0xec
	s_delay_alu instid0(VALU_DEP_3) | instskip(NEXT) | instid1(VALU_DEP_3)
	v_add_nc_u16 v81, 0xf000, v81
	v_add_nc_u16 v79, 0xf000, v79
	s_delay_alu instid0(VALU_DEP_3) | instskip(NEXT) | instid1(VALU_DEP_2)
	v_add_nc_u16 v53, 0xf000, v53
	v_perm_b32 v79, v79, v81, 0xc0c0105
	v_and_b32_e32 v81, 0x1f00, v52
	v_lshlrev_b16 v52, 8, v52
	s_delay_alu instid0(VALU_DEP_4) | instskip(NEXT) | instid1(VALU_DEP_4)
	v_and_b32_e32 v53, 0xffff, v53
	v_lshl_or_b32 v77, v79, 16, v77
	s_delay_alu instid0(VALU_DEP_4) | instskip(NEXT) | instid1(VALU_DEP_4)
	v_add_nc_u16 v81, 0xf000, v81
	v_add_nc_u16 v52, 0xf000, v52
	v_lshlrev_b32_e32 v79, 25, v56
	s_delay_alu instid0(VALU_DEP_2) | instskip(NEXT) | instid1(VALU_DEP_2)
	v_perm_b32 v52, v52, v81, 0xc0c0105
	v_and_b32_e32 v79, 0x10000000, v79
	v_lshrrev_b32_e32 v81, 5, v56
	s_delay_alu instid0(VALU_DEP_3) | instskip(NEXT) | instid1(VALU_DEP_2)
	v_lshl_or_b32 v52, v52, 16, v53
	v_and_b32_e32 v81, 0x1000, v81
	ds_store_2addr_b32 v39, v77, v52 offset1:1
	global_load_b32 v52, v[58:59], off offset:2
	s_wait_xcnt 0x0
	v_and_b32_e32 v59, 0xf0f0f0f, v78
	s_wait_loadcnt 0x0
	v_ashrrev_i32_e32 v52, v2, v52
	s_delay_alu instid0(VALU_DEP_1) | instskip(NEXT) | instid1(VALU_DEP_1)
	v_lshlrev_b32_e32 v53, 4, v52
	v_dual_lshlrev_b32 v58, 11, v52 :: v_dual_bitop2_b32 v53, 16, v53 bitop3:0x40
	v_lshlrev_b32_e32 v77, 25, v52
	s_delay_alu instid0(VALU_DEP_2) | instskip(NEXT) | instid1(VALU_DEP_2)
	v_and_b32_e32 v58, 0x1000, v58
	v_and_b32_e32 v77, 0x10000000, v77
	s_delay_alu instid0(VALU_DEP_2) | instskip(SKIP_1) | instid1(VALU_DEP_1)
	v_or3_b32 v53, v53, v59, v58
	v_lshlrev_b32_e32 v58, 18, v52
	v_and_b32_e32 v58, 0x100000, v58
	s_delay_alu instid0(VALU_DEP_1) | instskip(SKIP_2) | instid1(VALU_DEP_2)
	v_or3_b32 v58, v59, v58, v77
	v_dual_lshrrev_b32 v59, 4, v78 :: v_dual_lshrrev_b32 v77, 12, v52
	v_lshrrev_b32_e32 v78, 5, v52
	v_and_b32_e32 v59, 0xf0f0f0f, v59
	s_delay_alu instid0(VALU_DEP_3) | instskip(NEXT) | instid1(VALU_DEP_3)
	v_and_b32_e32 v77, 16, v77
	v_and_b32_e32 v78, 0x1000, v78
	s_delay_alu instid0(VALU_DEP_1) | instskip(SKIP_1) | instid1(VALU_DEP_1)
	v_or3_b32 v77, v77, v59, v78
	v_dual_lshlrev_b32 v78, 2, v52 :: v_dual_lshlrev_b32 v52, 9, v52
	v_and_b32_e32 v78, 0x100000, v78
	s_delay_alu instid0(VALU_DEP_2) | instskip(NEXT) | instid1(VALU_DEP_1)
	v_and_b32_e32 v52, 0x10000000, v52
	v_or3_b32 v52, v59, v78, v52
	v_lshlrev_b32_e32 v59, 11, v56
	v_and_b32_e32 v78, 0xf0f0f0f, v93
	s_delay_alu instid0(VALU_DEP_3) | instskip(NEXT) | instid1(VALU_DEP_3)
	v_lshrrev_b32_e32 v52, 16, v52
	v_and_b32_e32 v59, 0x1000, v59
	s_delay_alu instid0(VALU_DEP_1) | instskip(SKIP_1) | instid1(VALU_DEP_1)
	v_or3_b32 v57, v57, v78, v59
	v_lshlrev_b32_e32 v59, 18, v56
	v_and_b32_e32 v59, 0x100000, v59
	s_delay_alu instid0(VALU_DEP_1) | instskip(SKIP_1) | instid1(VALU_DEP_2)
	v_or3_b32 v59, v78, v59, v79
	v_dual_lshrrev_b32 v78, 4, v93 :: v_dual_lshrrev_b32 v79, 12, v56
	v_lshrrev_b32_e32 v59, 16, v59
	s_delay_alu instid0(VALU_DEP_2) | instskip(NEXT) | instid1(VALU_DEP_3)
	v_and_b32_e32 v78, 0xf0f0f0f, v78
	v_and_b32_e32 v79, 16, v79
	s_delay_alu instid0(VALU_DEP_1) | instskip(SKIP_1) | instid1(VALU_DEP_1)
	v_or3_b32 v79, v79, v78, v81
	v_dual_lshlrev_b32 v81, 2, v56 :: v_dual_lshlrev_b32 v56, 9, v56
	v_and_b32_e32 v81, 0x100000, v81
	s_delay_alu instid0(VALU_DEP_2) | instskip(NEXT) | instid1(VALU_DEP_1)
	v_and_b32_e32 v56, 0x10000000, v56
	v_or3_b32 v56, v78, v81, v56
	v_lshlrev_b32_e32 v78, 11, v54
	v_and_b32_e32 v81, 0xf0f0f0f, v92
	s_delay_alu instid0(VALU_DEP_3) | instskip(NEXT) | instid1(VALU_DEP_3)
	v_dual_lshrrev_b32 v58, 16, v58 :: v_dual_lshrrev_b32 v56, 16, v56
	v_and_b32_e32 v78, 0x1000, v78
	s_delay_alu instid0(VALU_DEP_1) | instskip(SKIP_1) | instid1(VALU_DEP_1)
	v_or3_b32 v55, v55, v81, v78
	v_lshlrev_b32_e32 v78, 18, v54
	v_and_b32_e32 v78, 0x100000, v78
	s_delay_alu instid0(VALU_DEP_1) | instskip(SKIP_1) | instid1(VALU_DEP_2)
	v_or3_b32 v78, v81, v78, v82
	v_dual_lshrrev_b32 v81, 4, v92 :: v_dual_lshrrev_b32 v82, 12, v54
	v_lshrrev_b32_e32 v78, 16, v78
	s_delay_alu instid0(VALU_DEP_2) | instskip(NEXT) | instid1(VALU_DEP_3)
	v_and_b32_e32 v81, 0xf0f0f0f, v81
	v_and_b32_e32 v82, 16, v82
	s_delay_alu instid0(VALU_DEP_1) | instskip(SKIP_1) | instid1(VALU_DEP_1)
	v_or3_b32 v82, v82, v81, v83
	v_dual_lshlrev_b32 v83, 2, v54 :: v_dual_lshlrev_b32 v54, 9, v54
	v_and_b32_e32 v83, 0x100000, v83
	s_delay_alu instid0(VALU_DEP_2) | instskip(NEXT) | instid1(VALU_DEP_1)
	v_and_b32_e32 v54, 0x10000000, v54
	v_or3_b32 v54, v81, v83, v54
	v_and_b32_e32 v81, 0x1f00, v53
	v_lshlrev_b16 v53, 8, v53
	s_delay_alu instid0(VALU_DEP_3) | instskip(NEXT) | instid1(VALU_DEP_3)
	v_lshrrev_b32_e32 v54, 16, v54
	v_add_nc_u16 v81, 0xf000, v81
	s_delay_alu instid0(VALU_DEP_3) | instskip(NEXT) | instid1(VALU_DEP_1)
	v_add_nc_u16 v53, 0xf000, v53
	v_perm_b32 v53, v53, v81, 0xc0c0105
	v_and_b32_e32 v81, 0x1f00, v58
	v_lshlrev_b16 v58, 8, v58
	s_delay_alu instid0(VALU_DEP_2) | instskip(NEXT) | instid1(VALU_DEP_2)
	v_add_nc_u16 v81, 0xf000, v81
	v_add_nc_u16 v58, 0xf000, v58
	s_delay_alu instid0(VALU_DEP_1) | instskip(SKIP_2) | instid1(VALU_DEP_3)
	v_perm_b32 v58, v58, v81, 0xc0c0105
	v_and_b32_e32 v81, 0x1f00, v55
	v_lshlrev_b16 v55, 8, v55
	v_lshl_or_b32 v53, v58, 16, v53
	v_and_b32_e32 v58, 0x1f00, v52
	v_lshlrev_b16 v52, 8, v52
	v_add_nc_u16 v81, 0xf000, v81
	v_add_nc_u16 v55, 0xf000, v55
	s_delay_alu instid0(VALU_DEP_4) | instskip(NEXT) | instid1(VALU_DEP_4)
	v_add_nc_u16 v58, 0xf000, v58
	v_add_nc_u16 v52, 0xf000, v52
	s_delay_alu instid0(VALU_DEP_3) | instskip(SKIP_2) | instid1(VALU_DEP_4)
	v_perm_b32 v55, v55, v81, 0xc0c0105
	v_and_b32_e32 v81, 0x1f00, v78
	v_lshlrev_b16 v78, 8, v78
	v_perm_b32 v52, v52, v58, 0xc0c0105
	v_lshlrev_b16 v58, 8, v77
	s_delay_alu instid0(VALU_DEP_4) | instskip(NEXT) | instid1(VALU_DEP_4)
	v_add_nc_u16 v81, 0xf000, v81
	v_add_nc_u16 v78, 0xf000, v78
	s_delay_alu instid0(VALU_DEP_3) | instskip(NEXT) | instid1(VALU_DEP_2)
	v_add_nc_u16 v58, 0xf000, v58
	v_perm_b32 v78, v78, v81, 0xc0c0105
	v_and_b32_e32 v81, 0x1f00, v54
	s_delay_alu instid0(VALU_DEP_3) | instskip(SKIP_1) | instid1(VALU_DEP_4)
	v_lshrrev_b16 v58, 8, v58
	v_lshlrev_b16 v54, 8, v54
	v_lshl_or_b32 v55, v78, 16, v55
	s_delay_alu instid0(VALU_DEP_4) | instskip(NEXT) | instid1(VALU_DEP_4)
	v_add_nc_u16 v81, 0xf000, v81
	v_bitop3_b16 v58, v77, v58, 0x1f00 bitop3:0xec
	v_and_b32_e32 v77, 0x1f00, v57
	v_lshlrev_b16 v57, 8, v57
	v_add_nc_u16 v54, 0xf000, v54
	s_delay_alu instid0(VALU_DEP_4) | instskip(NEXT) | instid1(VALU_DEP_4)
	v_add_nc_u16 v58, 0xf000, v58
	v_add_nc_u16 v77, 0xf000, v77
	s_delay_alu instid0(VALU_DEP_4) | instskip(NEXT) | instid1(VALU_DEP_4)
	v_add_nc_u16 v57, 0xf000, v57
	v_perm_b32 v54, v54, v81, 0xc0c0105
	s_delay_alu instid0(VALU_DEP_4) | instskip(NEXT) | instid1(VALU_DEP_3)
	v_and_b32_e32 v58, 0xffff, v58
	v_perm_b32 v57, v57, v77, 0xc0c0105
	v_and_b32_e32 v77, 0x1f00, v59
	v_lshlrev_b16 v59, 8, v59
	s_delay_alu instid0(VALU_DEP_4) | instskip(NEXT) | instid1(VALU_DEP_3)
	v_lshl_or_b32 v52, v52, 16, v58
	v_add_nc_u16 v77, 0xf000, v77
	s_delay_alu instid0(VALU_DEP_3) | instskip(SKIP_4) | instid1(VALU_DEP_3)
	v_add_nc_u16 v59, 0xf000, v59
	ds_store_2addr_b32 v41, v53, v52 offset1:1
	v_perm_b32 v59, v59, v77, 0xc0c0105
	v_and_b32_e32 v77, 0x1f00, v56
	v_lshlrev_b16 v56, 8, v56
	v_lshl_or_b32 v57, v59, 16, v57
	s_delay_alu instid0(VALU_DEP_3) | instskip(NEXT) | instid1(VALU_DEP_3)
	v_add_nc_u16 v77, 0xf000, v77
	v_add_nc_u16 v56, 0xf000, v56
	s_delay_alu instid0(VALU_DEP_1) | instskip(SKIP_1) | instid1(VALU_DEP_1)
	v_perm_b32 v56, v56, v77, 0xc0c0105
	v_lshlrev_b16 v77, 8, v79
	v_add_nc_u16 v77, 0xf000, v77
	s_delay_alu instid0(VALU_DEP_1) | instskip(NEXT) | instid1(VALU_DEP_1)
	v_lshrrev_b16 v77, 8, v77
	v_bitop3_b16 v77, v79, v77, 0x1f00 bitop3:0xec
	v_lshlrev_b16 v79, 8, v82
	s_delay_alu instid0(VALU_DEP_2) | instskip(NEXT) | instid1(VALU_DEP_2)
	v_add_nc_u16 v58, 0xf000, v77
	v_add_nc_u16 v79, 0xf000, v79
	s_delay_alu instid0(VALU_DEP_2) | instskip(NEXT) | instid1(VALU_DEP_2)
	v_and_b32_e32 v58, 0xffff, v58
	v_lshrrev_b16 v79, 8, v79
	s_delay_alu instid0(VALU_DEP_2) | instskip(NEXT) | instid1(VALU_DEP_2)
	v_lshl_or_b32 v56, v56, 16, v58
	v_bitop3_b16 v79, v82, v79, 0x1f00 bitop3:0xec
	ds_store_2addr_b32 v43, v57, v56 offset1:1
	v_add_nc_u16 v59, 0xf000, v79
	s_delay_alu instid0(VALU_DEP_1) | instskip(NEXT) | instid1(VALU_DEP_1)
	v_and_b32_e32 v59, 0xffff, v59
	v_lshl_or_b32 v54, v54, 16, v59
	ds_store_2addr_b32 v45, v55, v54 offset1:1
	ds_store_b32 v60, v80
	s_cbranch_scc0 .LBB182_4
; %bb.6:                                ;   in Loop: Header=BB182_5 Depth=1
	v_add_nc_u32_e32 v52, s14, v29
	s_delay_alu instid0(VALU_DEP_1) | instskip(SKIP_1) | instid1(SALU_CYCLE_1)
	v_cmp_gt_i32_e64 s1, s6, v52
	s_and_b32 s19, s0, s1
	s_and_saveexec_b32 s1, s19
	s_cbranch_execz .LBB182_8
; %bb.7:                                ;   in Loop: Header=BB182_5 Depth=1
	v_add_nc_u32_e32 v52, v8, v52
	s_delay_alu instid0(VALU_DEP_1)
	v_mad_nc_i64_i32 v[52:53], v52, 36, v[10:11]
	global_load_b32 v52, v[52:53], off offset:4
	s_wait_loadcnt 0x0
	ds_store_b32 v63, v52
.LBB182_8:                              ;   in Loop: Header=BB182_5 Depth=1
	s_or_b32 exec_lo, exec_lo, s1
	v_add_nc_u32_e32 v52, s14, v5
	s_delay_alu instid0(VALU_DEP_1) | instskip(SKIP_1) | instid1(SALU_CYCLE_1)
	v_cmp_gt_i32_e64 s1, s6, v52
	s_and_b32 s19, s8, s1
	s_and_saveexec_b32 s1, s19
	s_cbranch_execz .LBB182_10
; %bb.9:                                ;   in Loop: Header=BB182_5 Depth=1
	v_add_nc_u32_e32 v53, v8, v52
	s_delay_alu instid0(VALU_DEP_1)
	v_mad_nc_i64_i32 v[54:55], v53, 36, s[2:3]
	global_load_b32 v53, v[54:55], off
	s_wait_loadcnt 0x0
	v_cvt_f32_f16_e32 v53, v53
	ds_store_b32 v64, v53
.LBB182_10:                             ;   in Loop: Header=BB182_5 Depth=1
	s_or_b32 exec_lo, exec_lo, s1
	v_dual_mov_b32 v53, v61 :: v_dual_mov_b32 v55, v62
	v_mul_u32_u24_e32 v54, 0x104, v5
	v_dual_mov_b32 v56, v73 :: v_dual_mov_b32 v57, v70
	v_dual_mov_b32 v58, v68 :: v_dual_mov_b32 v59, v66
	s_mov_b32 s1, -4
	s_wait_dscnt 0x0
	s_barrier_signal -1
	s_barrier_wait -1
.LBB182_11:                             ;   Parent Loop BB182_5 Depth=1
                                        ; =>  This Inner Loop Header: Depth=2
	ds_load_2addr_b32 v[78:79], v53 offset0:3 offset1:4
	ds_load_2addr_b32 v[80:81], v53 offset0:5 offset1:6
	ds_load_2addr_b32 v[82:83], v54 offset1:1
	ds_load_2addr_b32 v[84:85], v53 offset0:1 offset1:2
	ds_load_2addr_b32 v[86:87], v53 offset1:7
	ds_load_b32 v122, v56
	ds_load_b32 v123, v57
	ds_load_b32 v88, v58
	ds_load_b32 v89, v59
	ds_load_b32 v90, v55
	ds_load_2addr_b32 v[92:93], v54 offset0:2 offset1:3
	ds_load_2addr_b32 v[94:95], v54 offset0:4 offset1:5
	;; [unrolled: 1-line block ×3, first 2 shown]
	v_add_nc_u32_e32 v77, 0x2080, v54
	v_add_nc_u32_e32 v91, 0x2088, v54
	;; [unrolled: 1-line block ×12, first 2 shown]
	v_dual_add_nc_u32 v59, 4, v59 :: v_dual_add_nc_u32 v58, 4, v58
	s_wait_dscnt 0xc
	v_dual_lshlrev_b32 v129, 24, v79 :: v_dual_lshlrev_b32 v130, 16, v79
	s_wait_dscnt 0x3
	v_dual_mul_f32 v122, v90, v122 :: v_dual_lshlrev_b32 v131, 24, v84
	v_add_nc_u32_e32 v102, 0x2090, v54
	ds_load_2addr_b32 v[98:99], v77 offset1:1
	ds_load_2addr_b32 v[100:101], v91 offset1:1
	;; [unrolled: 1-line block ×12, first 2 shown]
	v_dual_lshlrev_b32 v77, 8, v79 :: v_dual_lshlrev_b32 v124, 8, v80
	v_dual_lshlrev_b32 v132, 16, v84 :: v_dual_lshlrev_b32 v135, 24, v85
	v_dual_lshlrev_b32 v133, 24, v80 :: v_dual_lshlrev_b32 v134, 16, v80
	v_dual_lshlrev_b32 v91, 8, v84 :: v_dual_lshlrev_b32 v125, 8, v85
	v_dual_lshlrev_b32 v127, 8, v78 :: v_dual_lshlrev_b32 v126, 8, v81
	v_dual_lshlrev_b32 v128, 8, v87 :: v_dual_lshlrev_b32 v136, 16, v85
	v_dual_lshlrev_b32 v139, 24, v78 :: v_dual_lshlrev_b32 v137, 24, v81
	v_dual_lshlrev_b32 v138, 16, v81 :: v_dual_lshlrev_b32 v140, 16, v78
	v_lshlrev_b32_e32 v141, 24, v87
	v_perm_b32 v143, v80, v84, 0x7030c0c
	v_perm_b32 v146, v130, v129, 0xc0c0703
	;; [unrolled: 1-line block ×5, first 2 shown]
	s_wait_dscnt 0x3
	v_perm_b32 v130, v114, v130, 0xc0c0503
	v_perm_b32 v132, v134, v132, 0x7030c0c
	s_wait_dscnt 0x2
	v_perm_b32 v134, v117, v116, 0x5010c0c
	v_perm_b32 v154, v86, v115, 0xc0c0501
	v_perm_b32 v155, v117, v116, 0x7030c0c
	v_perm_b32 v156, v86, v115, 0xc0c0703
	v_perm_b32 v79, v114, v79, 0xc0c0703
	v_dot4_i32_iu8 v82, v86, v82, 0 neg_lo:[1,1,0]
	v_perm_b32 v144, v81, v85, 0xc0c0703
	v_perm_b32 v145, v87, v78, 0x7030c0c
	v_lshlrev_b32_e32 v142, 16, v87
	v_dot4_i32_iu8 v98, v86, v98, 0 neg_lo:[1,1,0]
	v_dot4_i32_iu8 v106, v86, v106, 0 neg_lo:[1,1,0]
	v_perm_b32 v84, v84, v91, 0x7030c0c
	v_perm_b32 v80, v80, v124, 0x7030c0c
	;; [unrolled: 1-line block ×18, first 2 shown]
	s_wait_dscnt 0x1
	v_perm_b32 v137, v119, v118, 0xc0c0703
	s_wait_dscnt 0x0
	v_perm_b32 v139, v121, v120, 0x7030c0c
	v_or_b32_e32 v130, v132, v130
	v_or_b32_e32 v132, v134, v154
	;; [unrolled: 1-line block ×4, first 2 shown]
	v_perm_b32 v150, v136, v135, 0xc0c0703
	v_or_b32_e32 v135, v145, v144
	v_or_b32_e32 v86, v114, v86
	;; [unrolled: 1-line block ×4, first 2 shown]
	v_dot4_i32_iu8 v79, v79, v134, 0 neg_lo:[1,1,0]
	v_perm_b32 v85, v85, v125, 0x7030c0c
	v_perm_b32 v81, v81, v126, 0x7030c0c
	;; [unrolled: 1-line block ×9, first 2 shown]
	v_dot4_i32_iu8 v79, v135, v117, v79 neg_lo:[1,1,0]
	v_or_b32_e32 v136, v147, v146
	v_dual_add_nc_u32 v54, 32, v54 :: v_dual_bitop2_b32 v84, v84, v148 bitop3:0x54
	v_or_b32_e32 v80, v80, v149
	v_perm_b32 v121, v142, v140, 0x7030c0c
	s_delay_alu instid0(VALU_DEP_4) | instskip(SKIP_3) | instid1(VALU_DEP_4)
	v_dot4_i32_iu8 v82, v136, v83, v82 neg_lo:[1,1,0]
	v_dot4_i32_iu8 v83, v136, v99, v98 neg_lo:[1,1,0]
	v_dot4_i32_iu8 v98, v136, v107, v106 neg_lo:[1,1,0]
	v_dual_add_nc_u32 v53, 32, v53 :: v_dual_bitop2_b32 v85, v85, v150 bitop3:0x54
	v_dot4_i32_iu8 v82, v84, v92, v82 neg_lo:[1,1,0]
	s_delay_alu instid0(VALU_DEP_4) | instskip(NEXT) | instid1(VALU_DEP_4)
	v_dot4_i32_iu8 v83, v84, v100, v83 neg_lo:[1,1,0]
	v_dot4_i32_iu8 v84, v84, v108, v98 neg_lo:[1,1,0]
	v_or_b32_e32 v81, v81, v151
	v_or_b32_e32 v129, v131, v129
	v_dot4_i32_iu8 v82, v80, v93, v82 neg_lo:[1,1,0]
	v_dot4_i32_iu8 v83, v80, v101, v83 neg_lo:[1,1,0]
	;; [unrolled: 1-line block ×3, first 2 shown]
	v_or_b32_e32 v131, v133, v157
	v_or_b32_e32 v77, v91, v77
	v_or_b32_e32 v118, v119, v118
	v_or_b32_e32 v99, v121, v120
	v_dot4_i32_iu8 v106, v130, v132, 0 neg_lo:[1,1,0]
	v_dot4_i32_iu8 v82, v85, v94, v82 neg_lo:[1,1,0]
	;; [unrolled: 1-line block ×4, first 2 shown]
	v_perm_b32 v153, v142, v141, 0xc0c0703
	v_or_b32_e32 v78, v78, v152
	v_or_b32_e32 v91, v116, v115
	;; [unrolled: 1-line block ×4, first 2 shown]
	v_dot4_i32_iu8 v77, v77, v86, 0 neg_lo:[1,1,0]
	v_dot4_i32_iu8 v84, v129, v131, 0 neg_lo:[1,1,0]
	;; [unrolled: 1-line block ×6, first 2 shown]
	v_or_b32_e32 v87, v87, v153
	v_dot4_i32_iu8 v77, v114, v91, v77 neg_lo:[1,1,0]
	v_dot4_i32_iu8 v81, v116, v115, v84 neg_lo:[1,1,0]
	v_add_nc_u32_e32 v79, v85, v79
	v_dot4_i32_iu8 v82, v78, v96, v82 neg_lo:[1,1,0]
	v_dot4_i32_iu8 v83, v78, v104, v83 neg_lo:[1,1,0]
	v_dot4_i32_iu8 v78, v78, v112, v80 neg_lo:[1,1,0]
	v_mul_f32_e32 v84, v90, v123
	v_add3_u32 v77, v81, v77, v79
	v_dot4_i32_iu8 v80, v87, v97, v82 neg_lo:[1,1,0]
	v_dot4_i32_iu8 v82, v87, v105, v83 neg_lo:[1,1,0]
	;; [unrolled: 1-line block ×3, first 2 shown]
	v_pk_mul_f32 v[78:79], v[90:91], v[88:89] op_sel_hi:[0,1]
	v_cvt_f32_i32_e32 v81, v77
	v_cvt_f32_i32_e32 v77, v80
	;; [unrolled: 1-line block ×4, first 2 shown]
	v_dual_add_nc_u32 v57, 4, v57 :: v_dual_add_nc_u32 v56, 4, v56
	s_delay_alu instid0(VALU_DEP_3) | instskip(NEXT) | instid1(VALU_DEP_3)
	v_dual_fmac_f32 v75, v122, v77 :: v_dual_fmac_f32 v72, v84, v82
	v_pk_fma_f32 v[6:7], v[78:79], v[80:81], v[6:7]
	s_add_co_i32 s1, s1, 4
	s_delay_alu instid0(SALU_CYCLE_1)
	s_cmp_lt_u32 s1, 12
	s_cbranch_scc1 .LBB182_11
; %bb.12:                               ;   in Loop: Header=BB182_5 Depth=1
	s_bitset1_b32 s18, 7
	s_delay_alu instid0(SALU_CYCLE_1)
	s_cmp_ge_i32 s18, s5
	s_barrier_signal -1
	s_barrier_wait -1
	s_cbranch_scc1 .LBB182_4
; %bb.13:                               ;   in Loop: Header=BB182_5 Depth=1
	v_add_nc_u32_e32 v53, s14, v65
	s_delay_alu instid0(VALU_DEP_1) | instskip(SKIP_1) | instid1(SALU_CYCLE_1)
	v_cmp_gt_i32_e64 s1, s6, v53
	s_and_b32 s18, s0, s1
	s_and_saveexec_b32 s1, s18
	s_cbranch_execz .LBB182_15
; %bb.14:                               ;   in Loop: Header=BB182_5 Depth=1
	v_add_nc_u32_e32 v53, v8, v53
	s_delay_alu instid0(VALU_DEP_1)
	v_mad_nc_i64_i32 v[54:55], v53, 36, v[10:11]
	global_load_b32 v53, v[54:55], off offset:4
	s_wait_loadcnt 0x0
	ds_store_b32 v63, v53
.LBB182_15:                             ;   in Loop: Header=BB182_5 Depth=1
	s_or_b32 exec_lo, exec_lo, s1
	s_and_saveexec_b32 s18, vcc_lo
	s_cbranch_execz .LBB182_18
; %bb.16:                               ;   in Loop: Header=BB182_5 Depth=1
	v_or_b32_e32 v53, 4, v52
	s_delay_alu instid0(VALU_DEP_1) | instskip(SKIP_1) | instid1(SALU_CYCLE_1)
	v_cmp_gt_i32_e64 s1, s6, v53
	s_and_b32 s1, s0, s1
	s_and_b32 exec_lo, exec_lo, s1
	s_cbranch_execz .LBB182_18
; %bb.17:                               ;   in Loop: Header=BB182_5 Depth=1
	v_ashrrev_i32_e32 v53, 31, v52
	s_delay_alu instid0(VALU_DEP_1) | instskip(NEXT) | instid1(VALU_DEP_1)
	v_add_nc_u64_e32 v[52:53], v[8:9], v[52:53]
	v_mad_nc_u64_u32 v[54:55], v52, 36, s[2:3]
	s_delay_alu instid0(VALU_DEP_1)
	v_mad_i32_i24 v55, v53, 36, v55
	global_load_b32 v52, v[54:55], off offset:144
	s_wait_loadcnt 0x0
	v_cvt_f32_f16_e32 v52, v52
	ds_store_b32 v64, v52
.LBB182_18:                             ;   in Loop: Header=BB182_5 Depth=1
	s_or_b32 exec_lo, exec_lo, s18
	v_dual_mov_b32 v52, v62 :: v_dual_mov_b32 v53, v61
	v_dual_mov_b32 v54, v76 :: v_dual_mov_b32 v55, v74
	;; [unrolled: 1-line block ×3, first 2 shown]
	v_mov_b32_e32 v58, v67
	s_mov_b32 s1, 12
	s_wait_dscnt 0x0
	s_barrier_signal -1
	s_barrier_wait -1
.LBB182_19:                             ;   Parent Loop BB182_5 Depth=1
                                        ; =>  This Inner Loop Header: Depth=2
	ds_load_2addr_b32 v[78:79], v53 offset1:7
	ds_load_2addr_b32 v[80:81], v53 offset0:3 offset1:4
	ds_load_2addr_b32 v[82:83], v53 offset0:5 offset1:6
	;; [unrolled: 1-line block ×3, first 2 shown]
	ds_load_b32 v86, v52
	ds_load_b32 v122, v55
	;; [unrolled: 1-line block ×5, first 2 shown]
	v_add_nc_u32_e32 v59, 0x2080, v54
	v_add_nc_u32_e32 v77, 0x2088, v54
	;; [unrolled: 1-line block ×11, first 2 shown]
	ds_load_2addr_b32 v[90:91], v54 offset1:1
	ds_load_2addr_b32 v[92:93], v54 offset0:2 offset1:3
	ds_load_2addr_b32 v[94:95], v54 offset0:4 offset1:5
	;; [unrolled: 1-line block ×3, first 2 shown]
	v_dual_add_nc_u32 v58, 4, v58 :: v_dual_add_nc_u32 v57, 4, v57
	v_dual_add_nc_u32 v56, 4, v56 :: v_dual_add_nc_u32 v55, 4, v55
	s_wait_dscnt 0x9
	v_dual_lshlrev_b32 v129, 16, v81 :: v_dual_lshlrev_b32 v130, 24, v84
	s_wait_dscnt 0x7
	v_dual_mul_f32 v122, v86, v122 :: v_dual_lshlrev_b32 v128, 24, v81
	v_add_nc_u32_e32 v104, 0x2098, v54
	ds_load_2addr_b32 v[98:99], v59 offset1:1
	ds_load_2addr_b32 v[100:101], v77 offset1:1
	ds_load_2addr_b32 v[102:103], v87 offset1:1
	ds_load_2addr_b32 v[104:105], v104 offset1:1
	ds_load_2addr_b32 v[106:107], v106 offset1:1
	ds_load_2addr_b32 v[108:109], v108 offset1:1
	ds_load_2addr_b32 v[110:111], v110 offset1:1
	ds_load_2addr_b32 v[112:113], v112 offset1:1
	ds_load_2addr_b32 v[114:115], v114 offset1:1
	ds_load_2addr_b32 v[116:117], v116 offset1:1
	ds_load_2addr_b32 v[118:119], v118 offset1:1
	ds_load_2addr_b32 v[120:121], v120 offset1:1
	v_dual_add_nc_u32 v54, 32, v54 :: v_dual_lshlrev_b32 v59, 8, v81
	v_dual_lshlrev_b32 v77, 8, v84 :: v_dual_lshlrev_b32 v87, 8, v82
	v_dual_lshlrev_b32 v124, 8, v85 :: v_dual_lshlrev_b32 v125, 8, v83
	;; [unrolled: 1-line block ×8, first 2 shown]
	v_perm_b32 v145, v129, v128, 0xc0c0703
	v_perm_b32 v146, v81, v59, 0x7030c0c
	s_wait_dscnt 0xf
	v_dot4_i32_iu8 v90, v78, v90, 0 neg_lo:[1,1,0]
	v_lshlrev_b32_e32 v141, 16, v79
	v_perm_b32 v142, v82, v84, 0x7030c0c
	v_perm_b32 v143, v83, v85, 0xc0c0703
	;; [unrolled: 1-line block ×3, first 2 shown]
	s_wait_dscnt 0xb
	v_dot4_i32_iu8 v98, v78, v98, 0 neg_lo:[1,1,0]
	s_wait_dscnt 0x7
	v_dot4_i32_iu8 v106, v78, v106, 0 neg_lo:[1,1,0]
	v_perm_b32 v147, v131, v130, 0xc0c0703
	v_perm_b32 v84, v84, v77, 0x7030c0c
	v_perm_b32 v148, v133, v132, 0xc0c0703
	v_perm_b32 v82, v82, v87, 0x7030c0c
	v_perm_b32 v149, v135, v134, 0xc0c0703
	v_perm_b32 v85, v85, v124, 0x7030c0c
	v_perm_b32 v150, v137, v136, 0xc0c0703
	v_perm_b32 v83, v83, v125, 0x7030c0c
	v_perm_b32 v151, v139, v138, 0xc0c0703
	v_perm_b32 v80, v80, v126, 0x7030c0c
	v_perm_b32 v79, v79, v127, 0x7030c0c
	s_wait_dscnt 0x3
	v_perm_b32 v129, v114, v129, 0xc0c0503
	v_perm_b32 v131, v133, v131, 0x7030c0c
	s_wait_dscnt 0x2
	v_perm_b32 v133, v117, v116, 0x5010c0c
	v_perm_b32 v153, v78, v115, 0xc0c0501
	;; [unrolled: 1-line block ×13, first 2 shown]
	s_wait_dscnt 0x1
	v_perm_b32 v114, v119, v118, 0xc0c0602
	s_wait_dscnt 0x0
	v_perm_b32 v115, v121, v120, 0x6020c0c
	v_perm_b32 v116, v125, v124, 0xc0c0703
	;; [unrolled: 1-line block ×12, first 2 shown]
	v_or_b32_e32 v135, v146, v145
	v_dual_add_nc_u32 v53, 32, v53 :: v_dual_bitop2_b32 v84, v84, v147 bitop3:0x54
	v_perm_b32 v121, v141, v139, 0x7030c0c
	v_or_b32_e32 v82, v82, v148
	s_delay_alu instid0(VALU_DEP_4)
	v_dot4_i32_iu8 v90, v135, v91, v90 neg_lo:[1,1,0]
	v_dot4_i32_iu8 v91, v135, v99, v98 neg_lo:[1,1,0]
	;; [unrolled: 1-line block ×3, first 2 shown]
	v_or_b32_e32 v129, v131, v129
	v_or_b32_e32 v131, v133, v153
	;; [unrolled: 1-line block ×4, first 2 shown]
	v_dot4_i32_iu8 v90, v84, v92, v90 neg_lo:[1,1,0]
	v_dot4_i32_iu8 v91, v84, v100, v91 neg_lo:[1,1,0]
	;; [unrolled: 1-line block ×3, first 2 shown]
	v_dual_add_nc_u32 v52, 4, v52 :: v_dual_bitop2_b32 v85, v85, v149 bitop3:0x54
	v_or_b32_e32 v133, v154, v155
	v_or_b32_e32 v81, v142, v81
	;; [unrolled: 1-line block ×6, first 2 shown]
	v_dot4_i32_iu8 v106, v129, v131, 0 neg_lo:[1,1,0]
	v_dot4_i32_iu8 v59, v59, v77, 0 neg_lo:[1,1,0]
	;; [unrolled: 1-line block ×5, first 2 shown]
	v_or_b32_e32 v83, v83, v150
	v_or_b32_e32 v128, v130, v128
	;; [unrolled: 1-line block ×4, first 2 shown]
	v_dot4_i32_iu8 v81, v81, v133, 0 neg_lo:[1,1,0]
	v_dot4_i32_iu8 v59, v87, v78, v59 neg_lo:[1,1,0]
	;; [unrolled: 1-line block ×6, first 2 shown]
	v_or_b32_e32 v134, v144, v143
	v_perm_b32 v152, v141, v140, 0xc0c0703
	v_or_b32_e32 v80, v80, v151
	v_or_b32_e32 v114, v125, v124
	v_or_b32_e32 v115, v127, v126
	v_dot4_i32_iu8 v84, v128, v130, 0 neg_lo:[1,1,0]
	v_dot4_i32_iu8 v81, v134, v116, v81 neg_lo:[1,1,0]
	;; [unrolled: 1-line block ×5, first 2 shown]
	v_or_b32_e32 v79, v79, v152
	v_dot4_i32_iu8 v83, v115, v114, v84 neg_lo:[1,1,0]
	v_add_nc_u32_e32 v81, v85, v81
	v_dot4_i32_iu8 v77, v80, v96, v77 neg_lo:[1,1,0]
	v_dot4_i32_iu8 v78, v80, v104, v78 neg_lo:[1,1,0]
	;; [unrolled: 1-line block ×3, first 2 shown]
	v_mul_f32_e32 v82, v86, v123
	v_add3_u32 v59, v83, v59, v81
	v_dot4_i32_iu8 v77, v79, v97, v77 neg_lo:[1,1,0]
	v_dot4_i32_iu8 v83, v79, v105, v78 neg_lo:[1,1,0]
	;; [unrolled: 1-line block ×3, first 2 shown]
	v_pk_mul_f32 v[78:79], v[86:87], v[88:89] op_sel_hi:[0,1]
	v_cvt_f32_i32_e32 v81, v59
	v_cvt_f32_i32_e32 v59, v77
	;; [unrolled: 1-line block ×4, first 2 shown]
	s_add_co_i32 s1, s1, 4
	s_delay_alu instid0(VALU_DEP_3) | instskip(NEXT) | instid1(VALU_DEP_3)
	v_fmac_f32_e32 v75, v122, v59
	v_fmac_f32_e32 v72, v82, v77
	s_delay_alu instid0(VALU_DEP_3)
	v_pk_fma_f32 v[6:7], v[78:79], v[80:81], v[6:7]
	s_cmp_lt_u32 s1, 28
	s_cbranch_scc1 .LBB182_19
; %bb.20:                               ;   in Loop: Header=BB182_5 Depth=1
	s_barrier_signal -1
	s_barrier_wait -1
	s_branch .LBB182_4
.LBB182_21:
	s_mul_i32 s0, s10, s7
	s_wait_loadcnt 0x0
	v_cmp_gt_i32_e32 vcc_lo, s0, v1
	s_and_saveexec_b32 s0, vcc_lo
	s_cbranch_execz .LBB182_30
; %bb.22:
	v_mul_lo_u32 v0, v1, s9
	v_add_nc_u32_e32 v1, s11, v5
	s_mov_b32 s0, exec_lo
	s_delay_alu instid0(VALU_DEP_1)
	v_cmpx_gt_u32_e64 s9, v1
	s_cbranch_execz .LBB182_24
; %bb.23:
	s_delay_alu instid0(VALU_DEP_3)
	v_add_nc_u32_e32 v2, v0, v1
	global_store_b32 v2, v75, s[12:13] scale_offset
.LBB182_24:
	s_wait_xcnt 0x0
	s_or_b32 exec_lo, exec_lo, s0
	v_add_nc_u32_e32 v2, 32, v1
	s_mov_b32 s0, exec_lo
	s_delay_alu instid0(VALU_DEP_1)
	v_cmpx_gt_u32_e64 s9, v2
	s_cbranch_execz .LBB182_26
; %bb.25:
	v_add_nc_u32_e32 v2, v0, v2
	global_store_b32 v2, v72, s[12:13] scale_offset
.LBB182_26:
	s_wait_xcnt 0x0
	s_or_b32 exec_lo, exec_lo, s0
	v_add_nc_u32_e32 v2, 64, v1
	s_mov_b32 s0, exec_lo
	s_delay_alu instid0(VALU_DEP_1)
	v_cmpx_gt_u32_e64 s9, v2
	s_cbranch_execz .LBB182_28
; %bb.27:
	v_add_nc_u32_e32 v2, v0, v2
	global_store_b32 v2, v6, s[12:13] scale_offset
.LBB182_28:
	s_wait_xcnt 0x0
	s_or_b32 exec_lo, exec_lo, s0
	v_add_nc_u32_e32 v1, 0x60, v1
	s_delay_alu instid0(VALU_DEP_1)
	v_cmp_gt_u32_e32 vcc_lo, s9, v1
	s_and_b32 exec_lo, exec_lo, vcc_lo
	s_cbranch_execz .LBB182_30
; %bb.29:
	v_add_nc_u32_e32 v0, v0, v1
	global_store_b32 v0, v7, s[12:13] scale_offset
.LBB182_30:
	s_sendmsg sendmsg(MSG_DEALLOC_VGPRS)
	s_endpgm
	.section	.rodata,"a",@progbits
	.p2align	6, 0x0
	.amdhsa_kernel _ZL8moe_q5_0IfLb1EEvPKvS1_PT_PKiS5_S5_iiiiiii
		.amdhsa_group_segment_fixed_size 38656
		.amdhsa_private_segment_fixed_size 0
		.amdhsa_kernarg_size 76
		.amdhsa_user_sgpr_count 2
		.amdhsa_user_sgpr_dispatch_ptr 0
		.amdhsa_user_sgpr_queue_ptr 0
		.amdhsa_user_sgpr_kernarg_segment_ptr 1
		.amdhsa_user_sgpr_dispatch_id 0
		.amdhsa_user_sgpr_kernarg_preload_length 0
		.amdhsa_user_sgpr_kernarg_preload_offset 0
		.amdhsa_user_sgpr_private_segment_size 0
		.amdhsa_wavefront_size32 1
		.amdhsa_uses_dynamic_stack 0
		.amdhsa_enable_private_segment 0
		.amdhsa_system_sgpr_workgroup_id_x 1
		.amdhsa_system_sgpr_workgroup_id_y 1
		.amdhsa_system_sgpr_workgroup_id_z 0
		.amdhsa_system_sgpr_workgroup_info 0
		.amdhsa_system_vgpr_workitem_id 1
		.amdhsa_next_free_vgpr 158
		.amdhsa_next_free_sgpr 21
		.amdhsa_named_barrier_count 0
		.amdhsa_reserve_vcc 1
		.amdhsa_float_round_mode_32 0
		.amdhsa_float_round_mode_16_64 0
		.amdhsa_float_denorm_mode_32 3
		.amdhsa_float_denorm_mode_16_64 3
		.amdhsa_fp16_overflow 0
		.amdhsa_memory_ordered 1
		.amdhsa_forward_progress 1
		.amdhsa_inst_pref_size 108
		.amdhsa_round_robin_scheduling 0
		.amdhsa_exception_fp_ieee_invalid_op 0
		.amdhsa_exception_fp_denorm_src 0
		.amdhsa_exception_fp_ieee_div_zero 0
		.amdhsa_exception_fp_ieee_overflow 0
		.amdhsa_exception_fp_ieee_underflow 0
		.amdhsa_exception_fp_ieee_inexact 0
		.amdhsa_exception_int_div_zero 0
	.end_amdhsa_kernel
	.section	.text._ZL8moe_q5_0IfLb1EEvPKvS1_PT_PKiS5_S5_iiiiiii,"axG",@progbits,_ZL8moe_q5_0IfLb1EEvPKvS1_PT_PKiS5_S5_iiiiiii,comdat
.Lfunc_end182:
	.size	_ZL8moe_q5_0IfLb1EEvPKvS1_PT_PKiS5_S5_iiiiiii, .Lfunc_end182-_ZL8moe_q5_0IfLb1EEvPKvS1_PT_PKiS5_S5_iiiiiii
                                        ; -- End function
	.set _ZL8moe_q5_0IfLb1EEvPKvS1_PT_PKiS5_S5_iiiiiii.num_vgpr, 158
	.set _ZL8moe_q5_0IfLb1EEvPKvS1_PT_PKiS5_S5_iiiiiii.num_agpr, 0
	.set _ZL8moe_q5_0IfLb1EEvPKvS1_PT_PKiS5_S5_iiiiiii.numbered_sgpr, 21
	.set _ZL8moe_q5_0IfLb1EEvPKvS1_PT_PKiS5_S5_iiiiiii.num_named_barrier, 0
	.set _ZL8moe_q5_0IfLb1EEvPKvS1_PT_PKiS5_S5_iiiiiii.private_seg_size, 0
	.set _ZL8moe_q5_0IfLb1EEvPKvS1_PT_PKiS5_S5_iiiiiii.uses_vcc, 1
	.set _ZL8moe_q5_0IfLb1EEvPKvS1_PT_PKiS5_S5_iiiiiii.uses_flat_scratch, 0
	.set _ZL8moe_q5_0IfLb1EEvPKvS1_PT_PKiS5_S5_iiiiiii.has_dyn_sized_stack, 0
	.set _ZL8moe_q5_0IfLb1EEvPKvS1_PT_PKiS5_S5_iiiiiii.has_recursion, 0
	.set _ZL8moe_q5_0IfLb1EEvPKvS1_PT_PKiS5_S5_iiiiiii.has_indirect_call, 0
	.section	.AMDGPU.csdata,"",@progbits
; Kernel info:
; codeLenInByte = 13724
; TotalNumSgprs: 23
; NumVgprs: 158
; ScratchSize: 0
; MemoryBound: 0
; FloatMode: 240
; IeeeMode: 1
; LDSByteSize: 38656 bytes/workgroup (compile time only)
; SGPRBlocks: 0
; VGPRBlocks: 9
; NumSGPRsForWavesPerEU: 23
; NumVGPRsForWavesPerEU: 158
; NamedBarCnt: 0
; Occupancy: 6
; WaveLimiterHint : 1
; COMPUTE_PGM_RSRC2:SCRATCH_EN: 0
; COMPUTE_PGM_RSRC2:USER_SGPR: 2
; COMPUTE_PGM_RSRC2:TRAP_HANDLER: 0
; COMPUTE_PGM_RSRC2:TGID_X_EN: 1
; COMPUTE_PGM_RSRC2:TGID_Y_EN: 1
; COMPUTE_PGM_RSRC2:TGID_Z_EN: 0
; COMPUTE_PGM_RSRC2:TIDIG_COMP_CNT: 1
	.section	.text._ZL8moe_q5_1IfLb0EEvPKvS1_PT_PKiS5_S5_iiiiiii,"axG",@progbits,_ZL8moe_q5_1IfLb0EEvPKvS1_PT_PKiS5_S5_iiiiiii,comdat
	.globl	_ZL8moe_q5_1IfLb0EEvPKvS1_PT_PKiS5_S5_iiiiiii ; -- Begin function _ZL8moe_q5_1IfLb0EEvPKvS1_PT_PKiS5_S5_iiiiiii
	.p2align	8
	.type	_ZL8moe_q5_1IfLb0EEvPKvS1_PT_PKiS5_S5_iiiiiii,@function
_ZL8moe_q5_1IfLb0EEvPKvS1_PT_PKiS5_S5_iiiiiii: ; @_ZL8moe_q5_1IfLb0EEvPKvS1_PT_PKiS5_S5_iiiiiii
; %bb.0:
	s_load_b128 s[4:7], s[0:1], 0x18
	s_bfe_u32 s2, ttmp6, 0x40010
	s_bfe_u32 s8, ttmp6, 0x40004
	s_add_co_i32 s2, s2, 1
	s_delay_alu instid0(SALU_CYCLE_1)
	s_mul_i32 s3, ttmp7, s2
	s_getreg_b32 s2, hwreg(HW_REG_IB_STS2, 6, 4)
	s_add_co_i32 s8, s8, s3
	s_cmp_eq_u32 s2, 0
	s_cselect_b32 s3, ttmp7, s8
	s_wait_kmcnt 0x0
	s_load_b32 s12, s[6:7], s3 offset:0x0 scale_offset
	s_wait_kmcnt 0x0
	s_cmp_gt_u32 s12, 0xff
	s_cbranch_scc1 .LBB183_30
; %bb.1:
	s_load_b64 s[6:7], s[0:1], 0x28
	s_lshl_b32 s3, s3, 3
	s_wait_kmcnt 0x0
	s_load_b32 s6, s[6:7], 0x0
	s_wait_kmcnt 0x0
	s_cmp_gt_u32 s3, s6
	s_cbranch_scc1 .LBB183_30
; %bb.2:
	v_bfe_u32 v20, v0, 10, 10
	s_and_b32 s13, ttmp6, 15
	v_and_b32_e32 v3, 0x3ff, v0
	s_delay_alu instid0(VALU_DEP_2) | instskip(SKIP_1) | instid1(SALU_CYCLE_1)
	v_dual_mov_b32 v17, 0 :: v_dual_add_nc_u32 v1, s3, v20
	s_bfe_u32 s3, ttmp6, 0x4000c
	s_add_co_i32 s3, s3, 1
	s_delay_alu instid0(VALU_DEP_1)
	v_dual_mov_b32 v16, v17 :: v_dual_mov_b32 v49, v17
	global_load_b32 v1, v1, s[4:5] scale_offset
	s_clause 0x2
	s_load_b64 s[10:11], s[0:1], 0x30
	s_load_b64 s[8:9], s[0:1], 0x10
	s_load_b128 s[4:7], s[0:1], 0x3c
	s_mul_i32 s3, ttmp9, s3
	v_mov_b32_e32 v55, v17
	s_add_co_i32 s13, s13, s3
	s_cmp_eq_u32 s2, 0
	s_cselect_b32 s2, ttmp9, s13
	s_mov_b32 s13, 0
	s_lshl_b32 s18, s2, 7
	s_wait_kmcnt 0x0
	s_cmp_lt_i32 s11, 32
	s_cbranch_scc1 .LBB183_21
; %bb.3:
	s_load_b128 s[0:3], s[0:1], 0x0
	s_mul_i32 s16, s12, s10
	s_abs_i32 s12, s7
	s_ashr_i32 s17, s16, 31
	s_cvt_f32_u32 s20, s12
	v_dual_lshlrev_b32 v24, 2, v3 :: v_dual_lshlrev_b32 v4, 3, v3
	s_wait_loadcnt 0x0
	v_sub_nc_u32_e32 v12, 0, v1
	v_rcp_iflag_f32_e32 v7, s20
	v_bfe_u32 v25, v0, 3, 7
	v_and_b32_e32 v8, 12, v24
	s_ashr_i32 s14, s11, 31
	v_max_i32_e32 v16, v1, v12
	s_lshr_b32 s10, s14, 27
	v_lshl_add_u32 v18, v20, 2, v25
	v_and_b32_e32 v12, 7, v0
	s_add_co_i32 s19, s11, s10
	v_mad_u32_u24 v5, 0x104, v20, v4
	s_ashr_i32 s10, s19, 5
	v_add_nc_u32_e32 v31, 64, v18
	s_wait_kmcnt 0x0
	s_add_nc_u64 s[16:17], s[0:1], s[16:17]
	v_readfirstlane_b32 s0, v7
	s_sub_co_i32 s1, 0, s12
	v_lshlrev_b32_e32 v28, 2, v12
	v_mul_lo_u32 v2, s10, v20
	s_lshl_b32 s20, s10, 3
	s_mul_f32 s0, s0, 0x4f7ffffe
	v_mov_b32_e32 v9, 0
	v_and_b32_e32 v22, 0x1ffc, v18
	v_add_nc_u32_e32 v26, 32, v18
	s_cvt_u32_f32 s0, s0
	v_mul_lo_u32 v14, s10, v18
	v_lshl_add_u32 v45, v20, 7, 0x9280
	v_add3_u32 v40, v22, v28, 0x8200
	s_mul_i32 s1, s1, s0
	v_add_nc_u32_e32 v4, s20, v2
	s_mul_hi_u32 s1, s0, s1
	v_and_b32_e32 v30, 0x3ffc, v26
	s_add_co_i32 s0, s0, s1
	v_and_b32_e32 v22, 0x3ffc, v31
	v_mul_hi_u32 v17, v16, s0
	v_dual_add_nc_u32 v10, s20, v4 :: v_dual_lshlrev_b32 v46, 5, v26
	v_add3_u32 v44, v30, v28, 0x8200
	s_delay_alu instid0(VALU_DEP_4)
	v_add3_u32 v48, v22, v28, 0x8200
	v_lshl_add_u32 v47, v20, 4, 0x9680
	v_dual_mov_b32 v55, v9 :: v_dual_add_nc_u32 v32, 0x60, v3
	v_bfe_u32 v6, v0, 2, 8
	v_and_b32_e32 v36, 0xfc, v0
	s_ashr_i32 s15, s5, 31
	v_mul_lo_u32 v29, v17, s12
	v_lshlrev_b32_e32 v42, 5, v18
	v_add_nc_u32_e32 v18, 0x60, v18
	v_add_nc_u32_e32 v26, 1, v17
	s_lshr_b32 s14, s15, 27
	s_and_not1_b32 s19, s19, 31
	s_add_co_i32 s5, s5, s14
	v_and_b32_e32 v22, 0x3ffc, v18
	s_ashr_i32 s5, s5, 5
	s_mul_i32 s14, s10, s18
	s_movk_i32 s1, 0x80
	v_sub_nc_u32_e32 v16, v16, v29
	v_add3_u32 v50, v22, v28, 0x8200
	v_xor_b32_e32 v22, s7, v1
	s_ashr_i32 s15, s14, 31
	v_add_nc_u32_e32 v11, 0x1860, v5
	v_subrev_nc_u32_e32 v29, s12, v16
	v_cmp_le_u32_e32 vcc_lo, s12, v16
	v_add_nc_u32_e32 v13, 0x2080, v5
	v_add_nc_u32_e32 v15, 0x28a0, v5
	v_dual_lshlrev_b32 v49, 5, v31 :: v_dual_bitop2_b32 v28, 31, v0 bitop3:0x40
	v_dual_cndmask_b32 v16, v16, v29 :: v_dual_cndmask_b32 v17, v17, v26
	v_add_nc_u32_e32 v19, 0x30c0, v5
	v_ashrrev_i32_e32 v29, 31, v22
	s_delay_alu instid0(VALU_DEP_4) | instskip(NEXT) | instid1(VALU_DEP_4)
	v_lshl_or_b32 v51, v28, 2, v45
	v_cmp_le_u32_e32 vcc_lo, s12, v16
	v_add_nc_u32_e32 v26, 1, v17
	v_add_nc_u32_e32 v7, 0x1040, v5
	v_and_b32_e32 v16, 28, v24
	v_add_nc_u32_e32 v21, 0x38e0, v5
	s_delay_alu instid0(VALU_DEP_4) | instskip(SKIP_3) | instid1(VALU_DEP_4)
	v_dual_cndmask_b32 v22, v17, v26 :: v_dual_add_nc_u32 v23, 0x4100, v5
	v_dual_mov_b32 v17, v9 :: v_dual_lshlrev_b32 v52, 5, v18
	v_add_nc_u32_e32 v18, s20, v10
	v_cmp_gt_u32_e32 vcc_lo, 4, v3
	v_dual_add_nc_u32 v54, v47, v24 :: v_dual_bitop2_b32 v26, v22, v29 bitop3:0x14
	s_delay_alu instid0(VALU_DEP_3) | instskip(SKIP_1) | instid1(VALU_DEP_3)
	v_dual_add_nc_u32 v34, 32, v3 :: v_dual_add_nc_u32 v20, s20, v18
	v_add_nc_u64_e32 v[30:31], s[2:3], v[16:17]
	v_sub_nc_u32_e32 v28, v26, v29
	v_and_b32_e32 v17, 0x1fc, v32
	v_add_nc_u32_e32 v27, 0x4920, v5
	v_dual_add_nc_u32 v22, s20, v20 :: v_dual_add_nc_u32 v29, 64, v3
	s_delay_alu instid0(VALU_DEP_4) | instskip(SKIP_2) | instid1(VALU_DEP_4)
	v_cmp_gt_i32_e64 s0, s4, v28
	v_mul_lo_u32 v28, v28, s5
	v_add_nc_u32_e32 v33, 0x5140, v5
	v_add_nc_u32_e32 v24, s20, v22
	v_lshrrev_b32_e32 v57, 3, v34
	v_and_b32_e32 v29, 0x1fc, v29
	v_and_b32_e32 v34, 0x1fc, v34
	v_add_nc_u32_e32 v35, 0x5960, v5
	v_dual_add_nc_u32 v26, s20, v24 :: v_dual_lshlrev_b32 v16, 5, v3
	v_add_nc_u32_e32 v67, v40, v42
	v_add_nc_u32_e32 v37, 0x6180, v5
	v_add_nc_u32_e32 v39, 0x69a0, v5
	s_delay_alu instid0(VALU_DEP_4) | instskip(SKIP_1) | instid1(VALU_DEP_2)
	v_dual_add_nc_u32 v32, s20, v26 :: v_dual_add_nc_u32 v17, v16, v17
	v_dual_add_nc_u32 v38, v16, v29 :: v_dual_add_nc_u32 v53, v16, v34
	;; [unrolled: 1-line block ×3, first 2 shown]
	v_ashrrev_i32_e32 v29, 31, v28
	s_delay_alu instid0(VALU_DEP_3)
	v_add_nc_u32_e32 v59, 0x8a00, v38
	v_add_nc_u32_e32 v63, 0x8a10, v38
	;; [unrolled: 1-line block ×6, first 2 shown]
	v_mul_u32_u24_e32 v56, 0x104, v3
	v_add_nc_u32_e32 v42, s19, v14
	v_dual_add_nc_u32 v36, s20, v34 :: v_dual_add_nc_u32 v70, v50, v52
	v_add_nc_u32_e32 v58, 0x8e00, v17
	v_add_nc_u32_e32 v60, 0x8600, v53
	s_delay_alu instid0(VALU_DEP_3)
	v_dual_add_nc_u32 v69, v48, v49 :: v_dual_add_nc_u32 v38, s20, v36
	v_add_nc_u32_e32 v46, s19, v42
	v_add_nc_u32_e32 v61, 0x8200, v16
	;; [unrolled: 1-line block ×6, first 2 shown]
	v_mad_u32_u24 v66, 0x104, v3, s1
	v_dual_mov_b32 v49, v9 :: v_dual_mov_b32 v16, v9
	s_delay_alu instid0(VALU_DEP_4) | instskip(SKIP_3) | instid1(VALU_DEP_2)
	v_dual_add_nc_u32 v44, s20, v40 :: v_dual_add_nc_u32 v50, s19, v46
	v_mov_b32_e32 v17, v9
	s_mul_u64 s[14:15], s[14:15], 24
	s_and_b32 s19, vcc_lo, s0
	v_add_nc_u32_e32 v48, s20, v44
	s_add_nc_u64 s[14:15], s[16:17], s[14:15]
	s_mov_b32 s12, s13
	s_branch .LBB183_5
.LBB183_4:                              ;   in Loop: Header=BB183_5 Depth=1
	s_add_co_i32 s12, s12, 8
	s_delay_alu instid0(SALU_CYCLE_1)
	s_cmp_ge_i32 s12, s10
	s_cbranch_scc1 .LBB183_21
.LBB183_5:                              ; =>This Loop Header: Depth=1
                                        ;     Child Loop BB183_11 Depth 2
                                        ;     Child Loop BB183_19 Depth 2
	s_mul_u64 s[16:17], s[12:13], 24
	s_delay_alu instid0(SALU_CYCLE_1) | instskip(NEXT) | instid1(SALU_CYCLE_1)
	s_add_nc_u64 s[16:17], s[14:15], s[16:17]
	v_mad_nc_u64_u32 v[52:53], v6, 24, s[16:17]
	s_delay_alu instid0(VALU_DEP_1)
	v_mad_nc_u64_u32 v[72:73], v2, 24, v[52:53]
	v_mad_nc_u64_u32 v[78:79], v18, 24, v[52:53]
	;; [unrolled: 1-line block ×11, first 2 shown]
	s_clause 0xa
	global_load_b32 v104, v[72:73], off offset:4
	global_load_b32 v105, v[74:75], off offset:4
	;; [unrolled: 1-line block ×11, first 2 shown]
	s_wait_xcnt 0x7
	v_add_nc_u64_e32 v[78:79], v[78:79], v[8:9]
	v_add_nc_u64_e32 v[76:77], v[76:77], v[8:9]
	;; [unrolled: 1-line block ×4, first 2 shown]
	v_mad_nc_u64_u32 v[94:95], v36, 24, v[52:53]
	s_clause 0x3
	global_load_b32 v115, v[78:79], off offset:8
	global_load_b32 v116, v[76:77], off offset:8
	;; [unrolled: 1-line block ×4, first 2 shown]
	s_wait_xcnt 0x0
	v_add_nc_u64_e32 v[72:73], v[86:87], v[8:9]
	v_add_nc_u64_e32 v[74:75], v[84:85], v[8:9]
	;; [unrolled: 1-line block ×4, first 2 shown]
	s_clause 0x3
	global_load_b32 v119, v[72:73], off offset:8
	global_load_b32 v120, v[74:75], off offset:8
	;; [unrolled: 1-line block ×4, first 2 shown]
	s_wait_xcnt 0x3
	v_add_nc_u64_e32 v[72:73], v[94:95], v[8:9]
	s_wait_xcnt 0x2
	v_add_nc_u64_e32 v[74:75], v[92:93], v[8:9]
	;; [unrolled: 2-line block ×4, first 2 shown]
	s_clause 0x3
	global_load_b32 v71, v[72:73], off offset:8
	global_load_b32 v123, v[74:75], off offset:8
	;; [unrolled: 1-line block ×4, first 2 shown]
	s_wait_xcnt 0x3
	v_mad_nc_u64_u32 v[72:73], v12, 24, s[16:17]
	v_mad_nc_u64_u32 v[80:81], v38, 24, v[52:53]
	v_mad_nc_u64_u32 v[82:83], v40, 24, v[52:53]
	v_mad_nc_u64_u32 v[84:85], v44, 24, v[52:53]
	v_mad_nc_u64_u32 v[86:87], v48, 24, v[52:53]
	global_load_b32 v126, v[94:95], off offset:4
	s_lshl_b32 s16, s12, 5
	s_delay_alu instid0(SALU_CYCLE_1)
	s_cmp_lt_i32 s16, s11
	v_mad_nc_u64_u32 v[88:89], v14, 24, v[72:73]
	v_mad_nc_u64_u32 v[90:91], v42, 24, v[72:73]
	v_mad_nc_u64_u32 v[92:93], v46, 24, v[72:73]
	v_mad_nc_u64_u32 v[96:97], v50, 24, v[72:73]
	s_wait_xcnt 0x0
	v_add_nc_u64_e32 v[94:95], v[80:81], v[8:9]
	v_add_nc_u64_e32 v[98:99], v[82:83], v[8:9]
	;; [unrolled: 1-line block ×4, first 2 shown]
	s_clause 0xb
	global_load_b32 v73, v[88:89], off
	global_load_b32 v72, v[90:91], off
	;; [unrolled: 1-line block ×4, first 2 shown]
	global_load_b32 v75, v[86:87], off offset:4
	global_load_b32 v77, v[84:85], off offset:4
	global_load_b32 v79, v[82:83], off offset:4
	global_load_b32 v127, v[80:81], off offset:4
	global_load_b32 v74, v[102:103], off offset:8
	global_load_b32 v76, v[100:101], off offset:8
	global_load_b32 v78, v[98:99], off offset:8
	global_load_b32 v128, v[94:95], off offset:8
	s_wait_loadcnt 0x22
	s_wait_xcnt 0x4
	v_dual_ashrrev_i32 v80, v8, v104 :: v_dual_ashrrev_i32 v81, v8, v105
	s_wait_loadcnt 0x20
	v_dual_ashrrev_i32 v82, v8, v106 :: v_dual_ashrrev_i32 v83, v8, v107
	s_wait_loadcnt 0x1e
	v_dual_ashrrev_i32 v84, v8, v108 :: v_dual_ashrrev_i32 v85, v8, v109
	s_wait_xcnt 0x0
	s_delay_alu instid0(VALU_DEP_2) | instskip(SKIP_1) | instid1(VALU_DEP_3)
	v_dual_lshlrev_b32 v94, 4, v81 :: v_dual_lshrrev_b32 v95, 12, v82
	v_dual_lshlrev_b32 v96, 4, v82 :: v_dual_lshrrev_b32 v97, 12, v83
	;; [unrolled: 1-line block ×3, first 2 shown]
	s_delay_alu instid0(VALU_DEP_3)
	v_and_b32_e32 v94, 16, v94
	s_wait_loadcnt 0x1c
	v_dual_ashrrev_i32 v86, v8, v110 :: v_dual_ashrrev_i32 v87, v8, v111
	s_wait_loadcnt 0x1a
	v_dual_ashrrev_i32 v88, v8, v112 :: v_dual_ashrrev_i32 v89, v8, v113
	s_wait_loadcnt 0x16
	v_and_b32_e32 v157, 0xf0f0f0f, v117
	v_dual_lshlrev_b32 v92, 4, v80 :: v_dual_lshrrev_b32 v93, 12, v81
	v_dual_lshlrev_b32 v136, 4, v85 :: v_dual_lshrrev_b32 v137, 12, v86
	v_and_b32_e32 v158, 0xf0f0f0f, v116
	v_and_b32_e32 v96, 16, v96
	v_dual_lshrrev_b32 v116, 4, v116 :: v_dual_bitop2_b32 v134, 16, v134 bitop3:0x40
	v_lshrrev_b32_e32 v117, 4, v117
	v_or_b32_e32 v94, v94, v157
	s_wait_loadcnt 0x11
	v_and_b32_e32 v157, 0xf0f0f0f, v122
	v_dual_ashrrev_i32 v90, v8, v114 :: v_dual_lshrrev_b32 v91, 12, v80
	v_dual_lshlrev_b32 v98, 4, v83 :: v_dual_lshrrev_b32 v99, 5, v80
	v_dual_lshlrev_b32 v100, 11, v80 :: v_dual_lshrrev_b32 v101, 5, v81
	;; [unrolled: 1-line block ×4, first 2 shown]
	v_dual_lshlrev_b32 v106, 11, v83 :: v_dual_lshlrev_b32 v107, 2, v80
	v_dual_lshlrev_b32 v108, 18, v80 :: v_dual_lshlrev_b32 v109, 2, v81
	;; [unrolled: 1-line block ×8, first 2 shown]
	v_dual_lshlrev_b32 v83, 25, v83 :: v_dual_lshrrev_b32 v133, 12, v84
	v_dual_lshlrev_b32 v154, 4, v88 :: v_dual_lshlrev_b32 v156, 4, v89
	v_and_b32_e32 v155, 0xf0f0f0f, v118
	v_and_b32_e32 v92, 16, v92
	;; [unrolled: 1-line block ×3, first 2 shown]
	v_dual_lshrrev_b32 v122, 4, v122 :: v_dual_bitop2_b32 v134, v134, v157 bitop3:0x54
	v_lshrrev_b32_e32 v118, 4, v118
	v_or_b32_e32 v96, v96, v158
	v_and_b32_e32 v158, 0xf0f0f0f, v121
	v_or_b32_e32 v92, v92, v155
	v_and_b32_e32 v155, 0xf0f0f0f, v115
	v_and_b32_e32 v154, 16, v154
	;; [unrolled: 1-line block ×4, first 2 shown]
	v_dual_lshrrev_b32 v115, 4, v115 :: v_dual_bitop2_b32 v136, v136, v158 bitop3:0x54
	v_lshrrev_b32_e32 v121, 4, v121
	s_wait_loadcnt 0xd
	v_and_b32_e32 v158, 0xf0f0f0f, v125
	v_and_b32_e32 v133, 16, v133
	;; [unrolled: 1-line block ×6, first 2 shown]
	v_dual_lshrrev_b32 v125, 4, v125 :: v_dual_bitop2_b32 v91, v91, v118 bitop3:0x54
	s_delay_alu instid0(VALU_DEP_4)
	v_dual_lshlrev_b32 v118, 18, v87 :: v_dual_bitop2_b32 v94, v94, v102 bitop3:0x54
	v_lshrrev_b32_e32 v102, 5, v90
	v_dual_lshlrev_b32 v133, 9, v87 :: v_dual_bitop2_b32 v122, v133, v122 bitop3:0x54
	v_or_b32_e32 v154, v154, v158
	v_dual_lshlrev_b32 v158, 4, v90 :: v_dual_lshlrev_b32 v140, 4, v87
	v_dual_lshrrev_b32 v141, 5, v84 :: v_dual_bitop2_b32 v121, v135, v121 bitop3:0x54
	s_delay_alu instid0(VALU_DEP_2)
	v_dual_lshrrev_b32 v135, 12, v88 :: v_dual_bitop2_b32 v158, 16, v158 bitop3:0x40
	v_dual_lshlrev_b32 v138, 4, v86 :: v_dual_lshrrev_b32 v139, 12, v87
	v_and_b32_e32 v157, 0xf0f0f0f, v119
	v_and_b32_e32 v140, 16, v140
	;; [unrolled: 1-line block ×6, first 2 shown]
	v_dual_lshlrev_b32 v142, 11, v84 :: v_dual_lshrrev_b32 v143, 5, v85
	v_dual_lshlrev_b32 v144, 11, v85 :: v_dual_lshrrev_b32 v145, 5, v86
	v_dual_lshlrev_b32 v150, 18, v84 :: v_dual_lshlrev_b32 v151, 2, v85
	v_dual_lshlrev_b32 v152, 18, v85 :: v_dual_lshlrev_b32 v153, 2, v86
	v_and_b32_e32 v138, 16, v138
	v_and_b32_e32 v156, 16, v156
	v_dual_lshrrev_b32 v135, 5, v88 :: v_dual_bitop2_b32 v125, v135, v125 bitop3:0x54
	v_dual_lshlrev_b32 v116, 9, v85 :: v_dual_bitop2_b32 v95, v95, v116 bitop3:0x54
	v_lshlrev_b32_e32 v85, 25, v85
	v_or_b32_e32 v140, v140, v157
	v_and_b32_e32 v157, 0xf0f0f0f, v124
	v_and_b32_e32 v98, 16, v98
	;; [unrolled: 1-line block ×4, first 2 shown]
	s_delay_alu instid0(VALU_DEP_4) | instskip(SKIP_3) | instid1(VALU_DEP_3)
	v_dual_lshrrev_b32 v119, 4, v119 :: v_dual_bitop2_b32 v156, v156, v157 bitop3:0x54
	v_and_b32_e32 v157, 0xf0f0f0f, v123
	v_dual_lshlrev_b32 v146, 11, v86 :: v_dual_lshrrev_b32 v147, 5, v87
	v_dual_lshrrev_b32 v124, 4, v124 :: v_dual_bitop2_b32 v93, 16, v93 bitop3:0x40
	v_dual_lshlrev_b32 v158, 2, v87 :: v_dual_bitop2_b32 v157, v158, v157 bitop3:0x54
	v_or_b32_e32 v98, v98, v155
	v_and_b32_e32 v155, 0xf0f0f0f, v120
	v_dual_lshrrev_b32 v120, 4, v120 :: v_dual_bitop2_b32 v134, v134, v142 bitop3:0x54
	v_lshlrev_b32_e32 v142, 18, v88
	v_and_b32_e32 v117, 0xf0f0f0f, v117
	v_and_b32_e32 v139, 16, v139
	s_delay_alu instid0(VALU_DEP_4)
	v_and_b32_e32 v120, 0xf0f0f0f, v120
	v_and_b32_e32 v119, 0xf0f0f0f, v119
	;; [unrolled: 1-line block ×4, first 2 shown]
	v_or_b32_e32 v138, v138, v155
	v_dual_lshrrev_b32 v137, 12, v89 :: v_dual_bitop2_b32 v120, v137, v120 bitop3:0x54
	v_dual_lshlrev_b32 v155, 18, v86 :: v_dual_bitop2_b32 v97, 16, v97 bitop3:0x40
	v_and_b32_e32 v115, 0xf0f0f0f, v115
	v_and_b32_e32 v124, 0xf0f0f0f, v124
	s_delay_alu instid0(VALU_DEP_4)
	v_and_b32_e32 v137, 16, v137
	v_and_b32_e32 v100, 0x1000, v100
	;; [unrolled: 1-line block ×4, first 2 shown]
	v_dual_lshrrev_b32 v123, 4, v123 :: v_dual_bitop2_b32 v93, v93, v117 bitop3:0x54
	v_lshlrev_b32_e32 v117, 9, v84
	v_dual_lshlrev_b32 v104, 11, v90 :: v_dual_bitop2_b32 v96, v96, v104 bitop3:0x54
	v_dual_lshlrev_b32 v144, 2, v89 :: v_dual_bitop2_b32 v136, v136, v144 bitop3:0x54
	v_dual_lshrrev_b32 v139, 12, v90 :: v_dual_bitop2_b32 v119, v139, v119 bitop3:0x54
	v_dual_lshlrev_b32 v148, 11, v87 :: v_dual_lshlrev_b32 v149, 2, v84
	v_or_b32_e32 v124, v137, v124
	v_dual_lshlrev_b32 v137, 11, v88 :: v_dual_bitop2_b32 v97, v97, v115 bitop3:0x54
	v_dual_lshlrev_b32 v115, 9, v86 :: v_dual_bitop2_b32 v92, v92, v100 bitop3:0x54
	;; [unrolled: 1-line block ×3, first 2 shown]
	v_or_b32_e32 v91, v91, v99
	v_and_b32_e32 v101, 0x1000, v101
	v_and_b32_e32 v105, 0x1000, v105
	v_and_b32_e32 v107, 0x100000, v107
	v_and_b32_e32 v108, 0x100000, v108
	v_and_b32_e32 v112, 0x100000, v112
	v_and_b32_e32 v155, 0x100000, v155
	v_and_b32_e32 v139, 16, v139
	v_and_b32_e32 v123, 0xf0f0f0f, v123
	v_and_b32_e32 v104, 0x1000, v104
	v_and_b32_e32 v103, 0x1000, v103
	v_and_b32_e32 v106, 0x1000, v106
	v_and_b32_e32 v141, 0x1000, v141
	v_and_b32_e32 v148, 0x1000, v148
	v_and_b32_e32 v143, 0x1000, v143
	v_and_b32_e32 v100, 0x1000, v100
	v_and_b32_e32 v109, 0x100000, v109
	v_and_b32_e32 v110, 0x100000, v110
	v_and_b32_e32 v113, 0x100000, v113
	v_and_b32_e32 v129, 0x10000000, v129
	v_and_b32_e32 v80, 0x10000000, v80
	v_and_b32_e32 v145, 0x1000, v145
	v_and_b32_e32 v147, 0x1000, v147
	v_or_b32_e32 v93, v93, v101
	v_or_b32_e32 v97, v97, v105
	v_or_b32_e32 v92, v92, v108
	v_or_b32_e32 v96, v96, v112
	s_wait_loadcnt 0x6
	v_dual_ashrrev_i32 v77, v8, v77 :: v_dual_bitop2_b32 v112, v138, v155 bitop3:0x54
	v_or_b32_e32 v91, v91, v107
	v_dual_lshlrev_b32 v157, 9, v89 :: v_dual_bitop2_b32 v104, v157, v104 bitop3:0x54
	v_dual_lshrrev_b32 v139, 5, v89 :: v_dual_bitop2_b32 v123, v139, v123 bitop3:0x54
	v_and_b32_e32 v111, 0x100000, v111
	v_dual_lshlrev_b32 v84, 25, v84 :: v_dual_bitop2_b32 v95, v95, v103 bitop3:0x54
	v_or_b32_e32 v98, v98, v106
	v_and_b32_e32 v114, 0x100000, v114
	v_lshlrev_b32_e32 v106, 2, v88
	v_and_b32_e32 v149, 0x100000, v149
	v_and_b32_e32 v150, 0x100000, v150
	v_dual_lshlrev_b32 v86, 25, v86 :: v_dual_bitop2_b32 v101, v122, v141 bitop3:0x54
	v_dual_lshlrev_b32 v148, 2, v90 :: v_dual_bitop2_b32 v140, v140, v148 bitop3:0x54
	v_and_b32_e32 v151, 0x100000, v151
	v_and_b32_e32 v152, 0x100000, v152
	v_or_b32_e32 v103, v121, v143
	v_lshlrev_b32_e32 v87, 25, v87
	v_and_b32_e32 v137, 0x1000, v137
	v_dual_lshlrev_b32 v146, 18, v89 :: v_dual_bitop2_b32 v100, v156, v100 bitop3:0x54
	v_lshlrev_b32_e32 v156, 9, v88
	v_and_b32_e32 v130, 0x10000000, v130
	v_and_b32_e32 v81, 0x10000000, v81
	;; [unrolled: 1-line block ×6, first 2 shown]
	v_or_b32_e32 v105, v120, v145
	v_or_b32_e32 v119, v119, v147
	;; [unrolled: 1-line block ×4, first 2 shown]
	v_dual_ashrrev_i32 v75, v8, v75 :: v_dual_bitop2_b32 v97, v97, v113 bitop3:0x54
	v_or_b32_e32 v80, v92, v80
	v_or_b32_e32 v91, v91, v129
	v_and_b32_e32 v131, 0x10000000, v131
	v_and_b32_e32 v82, 0x10000000, v82
	v_or_b32_e32 v95, v95, v111
	v_and_b32_e32 v132, 0x10000000, v132
	v_and_b32_e32 v83, 0x10000000, v83
	;; [unrolled: 3-line block ×3, first 2 shown]
	v_or_b32_e32 v108, v134, v150
	v_or_b32_e32 v101, v101, v149
	v_and_b32_e32 v116, 0x10000000, v116
	v_and_b32_e32 v85, 0x10000000, v85
	v_or_b32_e32 v110, v136, v152
	v_or_b32_e32 v103, v103, v151
	v_dual_lshlrev_b32 v88, 25, v88 :: v_dual_bitop2_b32 v137, v154, v137 bitop3:0x54
	v_lshlrev_b32_e32 v99, 9, v90
	v_and_b32_e32 v115, 0x10000000, v115
	v_and_b32_e32 v86, 0x10000000, v86
	;; [unrolled: 1-line block ×6, first 2 shown]
	v_or_b32_e32 v120, v125, v135
	v_or_b32_e32 v114, v140, v118
	;; [unrolled: 1-line block ×6, first 2 shown]
	ds_store_2addr_b32 v5, v80, v91 offset1:1
	v_add_nc_u32_e32 v80, 0x820, v5
	v_or_b32_e32 v82, v96, v82
	v_or_b32_e32 v93, v95, v131
	;; [unrolled: 1-line block ×8, first 2 shown]
	v_and_b32_e32 v139, 0x1000, v139
	v_and_b32_e32 v156, 0x10000000, v156
	;; [unrolled: 1-line block ×3, first 2 shown]
	v_or_b32_e32 v106, v120, v106
	v_or_b32_e32 v86, v112, v86
	;; [unrolled: 1-line block ×5, first 2 shown]
	ds_store_2addr_b32 v80, v81, v92 offset1:1
	ds_store_2addr_b32 v7, v82, v93 offset1:1
	;; [unrolled: 1-line block ×7, first 2 shown]
	v_ashrrev_i32_e32 v84, v8, v126
	v_dual_lshlrev_b32 v89, 25, v89 :: v_dual_bitop2_b32 v118, v137, v142 bitop3:0x54
	v_and_b32_e32 v144, 0x100000, v144
	v_and_b32_e32 v146, 0x100000, v146
	v_or_b32_e32 v121, v124, v139
	s_delay_alu instid0(VALU_DEP_4)
	v_or_b32_e32 v88, v118, v88
	v_dual_lshrrev_b32 v85, 4, v71 :: v_dual_bitop2_b32 v101, v106, v156 bitop3:0x54
	v_dual_lshrrev_b32 v86, 12, v84 :: v_dual_lshlrev_b32 v154, 18, v90
	v_and_b32_e32 v102, 0x1000, v102
	v_and_b32_e32 v157, 0x10000000, v157
	v_or_b32_e32 v100, v100, v146
	v_or_b32_e32 v109, v121, v144
	v_and_b32_e32 v81, 0x10000000, v89
	ds_store_2addr_b32 v23, v88, v101 offset1:1
	v_lshlrev_b32_e32 v87, 4, v84
	v_and_b32_e32 v85, 0xf0f0f0f, v85
	v_dual_lshrrev_b32 v88, 5, v84 :: v_dual_bitop2_b32 v86, 16, v86 bitop3:0x40
	v_and_b32_e32 v148, 0x100000, v148
	v_and_b32_e32 v154, 0x100000, v154
	v_lshlrev_b32_e32 v80, 25, v90
	s_wait_loadcnt 0x5
	v_dual_ashrrev_i32 v79, v8, v79 :: v_dual_bitop2_b32 v102, v123, v102 bitop3:0x54
	v_or_b32_e32 v83, v109, v157
	v_or_b32_e32 v81, v100, v81
	v_and_b32_e32 v71, 0xf0f0f0f, v71
	v_dual_lshlrev_b32 v89, 11, v84 :: v_dual_bitop2_b32 v87, 16, v87 bitop3:0x40
	v_or_b32_e32 v85, v86, v85
	v_and_b32_e32 v86, 0x1000, v88
	v_lshlrev_b32_e32 v88, 2, v84
	v_or_b32_e32 v102, v102, v148
	v_and_b32_e32 v82, 0x10000000, v99
	v_and_b32_e32 v80, 0x10000000, v80
	v_or_b32_e32 v71, v87, v71
	v_and_b32_e32 v87, 0x1000, v89
	ds_store_2addr_b32 v27, v81, v83 offset1:1
	v_or_b32_e32 v81, v85, v86
	v_and_b32_e32 v83, 0x100000, v88
	s_wait_loadcnt 0x4
	v_dual_lshlrev_b32 v85, 18, v84 :: v_dual_ashrrev_i32 v86, v8, v127
	v_or_b32_e32 v104, v104, v154
	v_dual_lshlrev_b32 v87, 9, v84 :: v_dual_bitop2_b32 v71, v71, v87 bitop3:0x54
	v_or_b32_e32 v81, v81, v83
	s_delay_alu instid0(VALU_DEP_4) | instskip(NEXT) | instid1(VALU_DEP_4)
	v_and_b32_e32 v83, 0x100000, v85
	v_or_b32_e32 v80, v104, v80
	s_wait_loadcnt 0x0
	v_dual_lshrrev_b32 v85, 4, v128 :: v_dual_lshrrev_b32 v88, 12, v86
	v_dual_lshrrev_b32 v89, 5, v75 :: v_dual_bitop2_b32 v82, v102, v82 bitop3:0x54
	v_and_b32_e32 v87, 0x10000000, v87
	v_dual_lshlrev_b32 v83, 4, v86 :: v_dual_bitop2_b32 v71, v71, v83 bitop3:0x54
	v_lshlrev_b32_e32 v84, 25, v84
	ds_store_2addr_b32 v33, v80, v82 offset1:1
	v_and_b32_e32 v80, 0xf0f0f0f, v85
	v_dual_lshrrev_b32 v85, 5, v86 :: v_dual_bitop2_b32 v82, 16, v88 bitop3:0x40
	v_or_b32_e32 v81, v81, v87
	v_dual_lshlrev_b32 v87, 11, v86 :: v_dual_bitop2_b32 v83, 16, v83 bitop3:0x40
	s_delay_alu instid0(VALU_DEP_3) | instskip(SKIP_4) | instid1(VALU_DEP_4)
	v_or_b32_e32 v80, v82, v80
	v_and_b32_e32 v82, 0xf0f0f0f, v128
	v_and_b32_e32 v85, 0x1000, v85
	v_lshlrev_b32_e32 v88, 2, v86
	v_and_b32_e32 v84, 0x10000000, v84
	v_dual_lshlrev_b32 v90, 11, v75 :: v_dual_bitop2_b32 v82, v83, v82 bitop3:0x54
	s_delay_alu instid0(VALU_DEP_4) | instskip(SKIP_4) | instid1(VALU_DEP_4)
	v_or_b32_e32 v80, v80, v85
	v_and_b32_e32 v83, 0x1000, v87
	v_lshlrev_b32_e32 v85, 18, v86
	v_and_b32_e32 v87, 0x100000, v88
	v_dual_lshrrev_b32 v84, 4, v78 :: v_dual_bitop2_b32 v71, v71, v84 bitop3:0x54
	v_or_b32_e32 v82, v82, v83
	s_delay_alu instid0(VALU_DEP_4) | instskip(NEXT) | instid1(VALU_DEP_4)
	v_and_b32_e32 v83, 0x100000, v85
	v_or_b32_e32 v80, v80, v87
	v_dual_lshrrev_b32 v85, 12, v79 :: v_dual_lshlrev_b32 v87, 9, v86
	v_and_b32_e32 v84, 0xf0f0f0f, v84
	s_delay_alu instid0(VALU_DEP_4) | instskip(NEXT) | instid1(VALU_DEP_3)
	v_dual_lshlrev_b32 v83, 25, v86 :: v_dual_bitop2_b32 v82, v82, v83 bitop3:0x54
	v_and_b32_e32 v85, 16, v85
	s_delay_alu instid0(VALU_DEP_4) | instskip(SKIP_2) | instid1(VALU_DEP_4)
	v_and_b32_e32 v86, 0x10000000, v87
	v_dual_lshlrev_b32 v87, 4, v79 :: v_dual_lshrrev_b32 v88, 5, v79
	v_and_b32_e32 v78, 0xf0f0f0f, v78
	v_or_b32_e32 v84, v85, v84
	v_and_b32_e32 v83, 0x10000000, v83
	s_delay_alu instid0(VALU_DEP_4) | instskip(SKIP_3) | instid1(VALU_DEP_4)
	v_and_b32_e32 v85, 16, v87
	v_lshlrev_b32_e32 v87, 11, v79
	v_and_b32_e32 v88, 0x1000, v88
	v_dual_lshlrev_b32 v86, 2, v79 :: v_dual_bitop2_b32 v80, v80, v86 bitop3:0x54
	v_or_b32_e32 v78, v85, v78
	s_delay_alu instid0(VALU_DEP_4) | instskip(NEXT) | instid1(VALU_DEP_4)
	v_and_b32_e32 v85, 0x1000, v87
	v_dual_lshlrev_b32 v87, 18, v79 :: v_dual_bitop2_b32 v84, v84, v88 bitop3:0x54
	s_delay_alu instid0(VALU_DEP_4) | instskip(SKIP_1) | instid1(VALU_DEP_4)
	v_and_b32_e32 v86, 0x100000, v86
	v_or_b32_e32 v82, v82, v83
	v_or_b32_e32 v78, v78, v85
	s_delay_alu instid0(VALU_DEP_4) | instskip(NEXT) | instid1(VALU_DEP_4)
	v_and_b32_e32 v83, 0x100000, v87
	v_dual_lshlrev_b32 v85, 9, v79 :: v_dual_bitop2_b32 v84, v84, v86 bitop3:0x54
	v_dual_lshrrev_b32 v86, 4, v76 :: v_dual_lshrrev_b32 v87, 12, v77
	s_delay_alu instid0(VALU_DEP_3) | instskip(NEXT) | instid1(VALU_DEP_3)
	v_dual_lshlrev_b32 v83, 4, v77 :: v_dual_bitop2_b32 v78, v78, v83 bitop3:0x54
	v_and_b32_e32 v85, 0x10000000, v85
	s_delay_alu instid0(VALU_DEP_3) | instskip(NEXT) | instid1(VALU_DEP_4)
	v_and_b32_e32 v86, 0xf0f0f0f, v86
	v_and_b32_e32 v87, 16, v87
	;; [unrolled: 1-line block ×3, first 2 shown]
	v_dual_lshrrev_b32 v88, 5, v77 :: v_dual_bitop2_b32 v83, 16, v83 bitop3:0x40
	v_or_b32_e32 v84, v84, v85
	s_delay_alu instid0(VALU_DEP_4) | instskip(NEXT) | instid1(VALU_DEP_3)
	v_dual_lshlrev_b32 v85, 11, v77 :: v_dual_bitop2_b32 v86, v87, v86 bitop3:0x54
	v_or_b32_e32 v76, v83, v76
	s_delay_alu instid0(VALU_DEP_4) | instskip(SKIP_1) | instid1(VALU_DEP_4)
	v_and_b32_e32 v83, 0x1000, v88
	v_lshlrev_b32_e32 v87, 2, v77
	v_and_b32_e32 v85, 0x1000, v85
	v_dual_lshlrev_b32 v88, 18, v77 :: v_dual_lshlrev_b32 v79, 25, v79
	s_delay_alu instid0(VALU_DEP_4) | instskip(NEXT) | instid1(VALU_DEP_4)
	v_or_b32_e32 v83, v86, v83
	v_and_b32_e32 v86, 0x100000, v87
	s_delay_alu instid0(VALU_DEP_4) | instskip(NEXT) | instid1(VALU_DEP_4)
	v_or_b32_e32 v76, v76, v85
	v_and_b32_e32 v85, 0x100000, v88
	v_dual_lshrrev_b32 v87, 12, v75 :: v_dual_lshlrev_b32 v88, 9, v77
	s_delay_alu instid0(VALU_DEP_4) | instskip(NEXT) | instid1(VALU_DEP_3)
	v_or_b32_e32 v83, v83, v86
	v_dual_lshrrev_b32 v86, 4, v74 :: v_dual_bitop2_b32 v76, v76, v85 bitop3:0x54
	v_lshlrev_b32_e32 v85, 4, v75
	s_delay_alu instid0(VALU_DEP_4) | instskip(SKIP_1) | instid1(VALU_DEP_4)
	v_and_b32_e32 v87, 16, v87
	v_and_b32_e32 v74, 0xf0f0f0f, v74
	v_and_b32_e32 v86, 0xf0f0f0f, v86
	v_lshlrev_b32_e32 v77, 25, v77
	v_and_b32_e32 v85, 16, v85
	v_and_b32_e32 v79, 0x10000000, v79
	;; [unrolled: 1-line block ×3, first 2 shown]
	v_or_b32_e32 v86, v87, v86
	v_and_b32_e32 v87, 0x1000, v90
	v_or_b32_e32 v74, v85, v74
	v_and_b32_e32 v85, 0x1000, v89
	v_dual_lshlrev_b32 v89, 2, v75 :: v_dual_lshlrev_b32 v90, 18, v75
	v_and_b32_e32 v77, 0x10000000, v77
	s_delay_alu instid0(VALU_DEP_4) | instskip(NEXT) | instid1(VALU_DEP_4)
	v_or_b32_e32 v74, v74, v87
	v_or_b32_e32 v85, v86, v85
	s_delay_alu instid0(VALU_DEP_4) | instskip(SKIP_3) | instid1(VALU_DEP_4)
	v_and_b32_e32 v86, 0x100000, v89
	v_and_b32_e32 v87, 0x100000, v90
	v_dual_lshlrev_b32 v89, 9, v75 :: v_dual_lshlrev_b32 v75, 25, v75
	v_or_b32_e32 v78, v78, v79
	v_or_b32_e32 v85, v85, v86
	s_delay_alu instid0(VALU_DEP_4) | instskip(NEXT) | instid1(VALU_DEP_4)
	v_or_b32_e32 v74, v74, v87
	v_and_b32_e32 v86, 0x10000000, v89
	v_and_b32_e32 v75, 0x10000000, v75
	v_or_b32_e32 v79, v83, v88
	v_or_b32_e32 v76, v76, v77
	s_delay_alu instid0(VALU_DEP_4) | instskip(NEXT) | instid1(VALU_DEP_4)
	v_or_b32_e32 v77, v85, v86
	v_or_b32_e32 v74, v74, v75
	ds_store_2addr_b32 v35, v71, v81 offset1:1
	ds_store_2addr_b32 v37, v82, v80 offset1:1
	;; [unrolled: 1-line block ×5, first 2 shown]
	ds_store_b32 v67, v73
	ds_store_b32 v68, v72
	;; [unrolled: 1-line block ×4, first 2 shown]
	s_cbranch_scc0 .LBB183_4
; %bb.6:                                ;   in Loop: Header=BB183_5 Depth=1
	v_add_nc_u32_e32 v52, s12, v25
	s_delay_alu instid0(VALU_DEP_1) | instskip(SKIP_1) | instid1(SALU_CYCLE_1)
	v_cmp_gt_i32_e64 s1, s5, v52
	s_and_b32 s17, s0, s1
	s_and_saveexec_b32 s1, s17
	s_cbranch_execz .LBB183_8
; %bb.7:                                ;   in Loop: Header=BB183_5 Depth=1
	v_add_nc_u32_e32 v52, v28, v52
	s_delay_alu instid0(VALU_DEP_1)
	v_mad_nc_i64_i32 v[52:53], v52, 36, v[30:31]
	global_load_b32 v52, v[52:53], off offset:4
	s_wait_loadcnt 0x0
	ds_store_b32 v51, v52
.LBB183_8:                              ;   in Loop: Header=BB183_5 Depth=1
	s_or_b32 exec_lo, exec_lo, s1
	v_add_nc_u32_e32 v52, s12, v3
	s_delay_alu instid0(VALU_DEP_1) | instskip(SKIP_1) | instid1(SALU_CYCLE_1)
	v_cmp_gt_i32_e64 s1, s5, v52
	s_and_b32 s17, s19, s1
	s_and_saveexec_b32 s1, s17
	s_cbranch_execz .LBB183_10
; %bb.9:                                ;   in Loop: Header=BB183_5 Depth=1
	v_add_nc_u32_e32 v53, v28, v52
	s_delay_alu instid0(VALU_DEP_1)
	v_mad_nc_i64_i32 v[72:73], v53, 36, s[2:3]
	global_load_b32 v53, v[72:73], off
	s_wait_loadcnt 0x0
	ds_store_b32 v54, v53
.LBB183_10:                             ;   in Loop: Header=BB183_5 Depth=1
	s_or_b32 exec_lo, exec_lo, s1
	v_dual_mov_b32 v53, v45 :: v_dual_mov_b32 v71, v56
	v_dual_mov_b32 v72, v47 :: v_dual_mov_b32 v73, v61
	;; [unrolled: 1-line block ×3, first 2 shown]
	v_mov_b32_e32 v76, v58
	s_mov_b32 s1, -4
	s_wait_dscnt 0x0
	s_barrier_signal -1
	s_barrier_wait -1
.LBB183_11:                             ;   Parent Loop BB183_5 Depth=1
                                        ; =>  This Inner Loop Header: Depth=2
	ds_load_2addr_b32 v[78:79], v53 offset0:3 offset1:4
	ds_load_2addr_b32 v[80:81], v53 offset0:5 offset1:6
	ds_load_2addr_b32 v[82:83], v71 offset1:1
	ds_load_2addr_b32 v[84:85], v53 offset0:1 offset1:2
	ds_load_2addr_b32 v[86:87], v53 offset1:7
	v_add_nc_u32_e32 v77, 0x2080, v71
	v_add_nc_u32_e32 v96, 0x2088, v71
	;; [unrolled: 1-line block ×4, first 2 shown]
	ds_load_b32 v118, v73
	ds_load_b32 v119, v74
	;; [unrolled: 1-line block ×4, first 2 shown]
	v_add_nc_u32_e32 v102, 0x4100, v71
	v_add_nc_u32_e32 v104, 0x4108, v71
	;; [unrolled: 1-line block ×8, first 2 shown]
	ds_load_b32 v122, v72
	ds_load_2addr_b32 v[88:89], v71 offset0:2 offset1:3
	ds_load_2addr_b32 v[90:91], v71 offset0:4 offset1:5
	;; [unrolled: 1-line block ×3, first 2 shown]
	ds_load_2addr_b32 v[94:95], v77 offset1:1
	ds_load_2addr_b32 v[96:97], v96 offset1:1
	;; [unrolled: 1-line block ×12, first 2 shown]
	s_wait_dscnt 0x18
	v_dual_add_nc_u32 v74, 4, v74 :: v_dual_lshlrev_b32 v77, 8, v79
	v_dual_lshlrev_b32 v127, 8, v78 :: v_dual_lshlrev_b32 v129, 24, v79
	v_lshlrev_b32_e32 v130, 16, v79
	s_wait_dscnt 0x14
	v_dual_lshlrev_b32 v128, 8, v87 :: v_dual_lshlrev_b32 v131, 24, v84
	v_lshlrev_b32_e32 v132, 16, v84
	v_dual_lshlrev_b32 v133, 24, v80 :: v_dual_lshlrev_b32 v134, 16, v80
	v_dual_lshlrev_b32 v141, 24, v87 :: v_dual_lshlrev_b32 v142, 16, v87
	;; [unrolled: 1-line block ×4, first 2 shown]
	s_wait_dscnt 0xf
	v_pk_mul_f16 v118, v122, v118
	v_pk_mul_f16 v119, v122, v119
	v_pk_mul_f16 v120, v122, v120
	v_dot4_i32_iu8 v82, v86, v82, 0 neg_lo:[1,1,0]
	v_dual_lshlrev_b32 v135, 24, v85 :: v_dual_lshlrev_b32 v136, 16, v85
	v_dual_lshlrev_b32 v137, 24, v81 :: v_dual_lshlrev_b32 v138, 16, v81
	;; [unrolled: 1-line block ×3, first 2 shown]
	v_perm_b32 v144, v81, v85, 0xc0c0703
	v_perm_b32 v145, v87, v78, 0x7030c0c
	v_pk_mul_f16 v121, v122, v121
	s_wait_dscnt 0xb
	v_dot4_i32_iu8 v94, v86, v94, 0 neg_lo:[1,1,0]
	s_wait_dscnt 0x7
	v_dot4_i32_iu8 v102, v86, v102, 0 neg_lo:[1,1,0]
	v_perm_b32 v122, v130, v129, 0xc0c0703
	v_perm_b32 v146, v79, v77, 0x7030c0c
	;; [unrolled: 1-line block ×6, first 2 shown]
	s_wait_dscnt 0x3
	v_perm_b32 v134, v86, v111, 0xc0c0501
	v_perm_b32 v153, v86, v111, 0xc0c0703
	;; [unrolled: 1-line block ×9, first 2 shown]
	s_wait_dscnt 0x2
	v_perm_b32 v110, v113, v112, 0x5010c0c
	v_perm_b32 v143, v80, v84, 0x7030c0c
	;; [unrolled: 1-line block ×15, first 2 shown]
	s_wait_dscnt 0x1
	v_perm_b32 v113, v115, v114, 0xc0c0602
	s_wait_dscnt 0x0
	v_perm_b32 v124, v117, v116, 0x6020c0c
	v_perm_b32 v125, v126, v125, 0xc0c0703
	;; [unrolled: 1-line block ×7, first 2 shown]
	v_or_b32_e32 v139, v145, v144
	v_perm_b32 v141, v115, v114, 0xc0c0703
	v_perm_b32 v144, v117, v116, 0x7030c0c
	;; [unrolled: 1-line block ×6, first 2 shown]
	v_cvt_f32_f16_e32 v78, v120
	v_dual_lshrrev_b32 v120, 16, v120 :: v_dual_bitop2_b32 v122, v146, v122 bitop3:0x54
	v_or_b32_e32 v87, v87, v111
	v_or_b32_e32 v111, v132, v130
	;; [unrolled: 1-line block ×6, first 2 shown]
	v_dot4_i32_iu8 v82, v122, v83, v82 neg_lo:[1,1,0]
	v_dot4_i32_iu8 v83, v122, v95, v94 neg_lo:[1,1,0]
	;; [unrolled: 1-line block ×3, first 2 shown]
	v_or_b32_e32 v95, v117, v116
	v_dot4_i32_iu8 v102, v111, v110, 0 neg_lo:[1,1,0]
	v_dot4_i32_iu8 v77, v77, v86, 0 neg_lo:[1,1,0]
	v_dual_add_nc_u32 v73, 4, v73 :: v_dual_bitop2_b32 v80, v80, v148 bitop3:0x54
	v_dual_add_nc_u32 v72, 4, v72 :: v_dual_bitop2_b32 v85, v85, v149 bitop3:0x54
	s_delay_alu instid0(VALU_DEP_4) | instskip(SKIP_4) | instid1(VALU_DEP_4)
	v_dot4_i32_iu8 v86, v95, v114, v102 neg_lo:[1,1,0]
	v_or_b32_e32 v84, v84, v147
	v_or_b32_e32 v130, v156, v153
	;; [unrolled: 1-line block ×3, first 2 shown]
	v_dual_add_nc_u32 v71, 32, v71 :: v_dual_bitop2_b32 v81, v81, v150 bitop3:0x54
	v_dot4_i32_iu8 v82, v84, v88, v82 neg_lo:[1,1,0]
	v_dot4_i32_iu8 v83, v84, v96, v83 neg_lo:[1,1,0]
	;; [unrolled: 1-line block ×3, first 2 shown]
	v_or_b32_e32 v129, v131, v129
	v_or_b32_e32 v131, v133, v155
	v_dot4_i32_iu8 v82, v80, v89, v82 neg_lo:[1,1,0]
	v_dot4_i32_iu8 v83, v80, v97, v83 neg_lo:[1,1,0]
	;; [unrolled: 1-line block ×3, first 2 shown]
	v_or_b32_e32 v112, v124, v113
	v_or_b32_e32 v113, v126, v125
	;; [unrolled: 1-line block ×3, first 2 shown]
	v_dot4_i32_iu8 v88, v132, v130, 0 neg_lo:[1,1,0]
	v_dot4_i32_iu8 v82, v85, v90, v82 neg_lo:[1,1,0]
	;; [unrolled: 1-line block ×4, first 2 shown]
	v_cvt_f32_f16_e32 v79, v121
	v_dual_lshrrev_b32 v121, 16, v121 :: v_dual_bitop2_b32 v136, v152, v151 bitop3:0x54
	v_dual_add_nc_u32 v53, 32, v53 :: v_dual_bitop2_b32 v123, v128, v127 bitop3:0x54
	v_or_b32_e32 v124, v137, v135
	v_dot4_i32_iu8 v84, v129, v131, 0 neg_lo:[1,1,0]
	v_dot4_i32_iu8 v85, v139, v125, v88 neg_lo:[1,1,0]
	;; [unrolled: 1-line block ×7, first 2 shown]
	v_add_nc_u32_e32 v85, v86, v85
	v_dot4_i32_iu8 v82, v136, v92, v82 neg_lo:[1,1,0]
	v_dot4_i32_iu8 v83, v136, v100, v83 neg_lo:[1,1,0]
	;; [unrolled: 1-line block ×3, first 2 shown]
	v_cvt_f32_f16_e32 v81, v121
	v_add3_u32 v77, v84, v77, v85
	v_dot4_i32_iu8 v82, v87, v93, v82 neg_lo:[1,1,0]
	v_dot4_i32_iu8 v84, v87, v101, v83 neg_lo:[1,1,0]
	;; [unrolled: 1-line block ×3, first 2 shown]
	v_cvt_f32_f16_e32 v80, v120
	v_cvt_f32_i32_e32 v83, v77
	v_cvt_f32_i32_e32 v77, v82
	;; [unrolled: 1-line block ×4, first 2 shown]
	v_dual_add_nc_u32 v76, 4, v76 :: v_dual_add_nc_u32 v75, 4, v75
	s_delay_alu instid0(VALU_DEP_4) | instskip(NEXT) | instid1(VALU_DEP_4)
	v_fma_mix_f32 v77, v118, v77, v118 op_sel:[0,0,1] op_sel_hi:[1,0,1]
	v_fma_mix_f32 v84, v119, v84, v119 op_sel:[0,0,1] op_sel_hi:[1,0,1]
	s_delay_alu instid0(VALU_DEP_4) | instskip(SKIP_1) | instid1(VALU_DEP_2)
	v_pk_fma_f32 v[78:79], v[78:79], v[82:83], v[80:81]
	s_add_co_i32 s1, s1, 4
	v_dual_add_f32 v55, v55, v77 :: v_dual_add_f32 v49, v49, v84
	s_delay_alu instid0(VALU_DEP_2)
	v_pk_add_f32 v[16:17], v[16:17], v[78:79]
	s_cmp_lt_u32 s1, 12
	s_cbranch_scc1 .LBB183_11
; %bb.12:                               ;   in Loop: Header=BB183_5 Depth=1
	s_bitset1_b32 s16, 7
	s_delay_alu instid0(SALU_CYCLE_1)
	s_cmp_ge_i32 s16, s11
	s_barrier_signal -1
	s_barrier_wait -1
	s_cbranch_scc1 .LBB183_4
; %bb.13:                               ;   in Loop: Header=BB183_5 Depth=1
	v_add_nc_u32_e32 v53, s12, v57
	s_delay_alu instid0(VALU_DEP_1) | instskip(SKIP_1) | instid1(SALU_CYCLE_1)
	v_cmp_gt_i32_e64 s1, s5, v53
	s_and_b32 s16, s0, s1
	s_and_saveexec_b32 s1, s16
	s_cbranch_execz .LBB183_15
; %bb.14:                               ;   in Loop: Header=BB183_5 Depth=1
	v_add_nc_u32_e32 v53, v28, v53
	s_delay_alu instid0(VALU_DEP_1)
	v_mad_nc_i64_i32 v[72:73], v53, 36, v[30:31]
	global_load_b32 v53, v[72:73], off offset:4
	s_wait_loadcnt 0x0
	ds_store_b32 v51, v53
.LBB183_15:                             ;   in Loop: Header=BB183_5 Depth=1
	s_or_b32 exec_lo, exec_lo, s1
	s_and_saveexec_b32 s16, vcc_lo
	s_cbranch_execz .LBB183_18
; %bb.16:                               ;   in Loop: Header=BB183_5 Depth=1
	v_or_b32_e32 v53, 4, v52
	s_delay_alu instid0(VALU_DEP_1) | instskip(SKIP_1) | instid1(SALU_CYCLE_1)
	v_cmp_gt_i32_e64 s1, s5, v53
	s_and_b32 s1, s0, s1
	s_and_b32 exec_lo, exec_lo, s1
	s_cbranch_execz .LBB183_18
; %bb.17:                               ;   in Loop: Header=BB183_5 Depth=1
	v_ashrrev_i32_e32 v53, 31, v52
	s_delay_alu instid0(VALU_DEP_1) | instskip(NEXT) | instid1(VALU_DEP_1)
	v_add_nc_u64_e32 v[52:53], v[28:29], v[52:53]
	v_mad_nc_u64_u32 v[72:73], v52, 36, s[2:3]
	s_delay_alu instid0(VALU_DEP_1)
	v_mad_i32_i24 v73, v53, 36, v73
	global_load_b32 v52, v[72:73], off offset:144
	s_wait_loadcnt 0x0
	ds_store_b32 v54, v52
.LBB183_18:                             ;   in Loop: Header=BB183_5 Depth=1
	s_or_b32 exec_lo, exec_lo, s16
	v_dual_mov_b32 v52, v47 :: v_dual_mov_b32 v53, v45
	v_dual_mov_b32 v71, v66 :: v_dual_mov_b32 v72, v65
	;; [unrolled: 1-line block ×3, first 2 shown]
	v_mov_b32_e32 v75, v62
	s_mov_b32 s1, 12
	s_wait_dscnt 0x0
	s_barrier_signal -1
	s_barrier_wait -1
.LBB183_19:                             ;   Parent Loop BB183_5 Depth=1
                                        ; =>  This Inner Loop Header: Depth=2
	ds_load_2addr_b32 v[76:77], v53 offset1:7
	ds_load_2addr_b32 v[78:79], v53 offset0:3 offset1:4
	ds_load_2addr_b32 v[80:81], v53 offset0:5 offset1:6
	;; [unrolled: 1-line block ×3, first 2 shown]
	ds_load_b32 v116, v52
	ds_load_b32 v117, v72
	;; [unrolled: 1-line block ×5, first 2 shown]
	v_add_nc_u32_e32 v92, 0x2080, v71
	v_add_nc_u32_e32 v94, 0x2088, v71
	v_add_nc_u32_e32 v96, 0x2090, v71
	v_add_nc_u32_e32 v98, 0x2098, v71
	v_add_nc_u32_e32 v100, 0x4100, v71
	v_add_nc_u32_e32 v102, 0x4108, v71
	v_add_nc_u32_e32 v104, 0x4110, v71
	v_add_nc_u32_e32 v106, 0x4118, v71
	v_add_nc_u32_e32 v108, 0x6180, v71
	v_add_nc_u32_e32 v110, 0x6188, v71
	v_add_nc_u32_e32 v112, 0x6190, v71
	v_add_nc_u32_e32 v114, 0x6198, v71
	ds_load_2addr_b32 v[84:85], v71 offset1:1
	ds_load_2addr_b32 v[86:87], v71 offset0:2 offset1:3
	ds_load_2addr_b32 v[88:89], v71 offset0:4 offset1:5
	;; [unrolled: 1-line block ×3, first 2 shown]
	ds_load_2addr_b32 v[92:93], v92 offset1:1
	ds_load_2addr_b32 v[94:95], v94 offset1:1
	;; [unrolled: 1-line block ×12, first 2 shown]
	s_wait_dscnt 0x17
	v_dual_add_nc_u32 v73, 4, v73 :: v_dual_lshlrev_b32 v121, 8, v79
	v_dual_lshlrev_b32 v128, 24, v79 :: v_dual_lshlrev_b32 v129, 16, v79
	s_wait_dscnt 0x15
	v_dual_lshlrev_b32 v122, 8, v82 :: v_dual_lshlrev_b32 v123, 8, v80
	s_wait_dscnt 0x13
	v_pk_mul_f16 v117, v116, v117
	s_wait_dscnt 0x12
	v_pk_mul_f16 v118, v116, v118
	;; [unrolled: 2-line block ×3, first 2 shown]
	v_dual_lshlrev_b32 v130, 24, v82 :: v_dual_lshlrev_b32 v131, 16, v82
	s_wait_dscnt 0x10
	v_pk_mul_f16 v116, v116, v120
	v_perm_b32 v120, v129, v128, 0xc0c0703
	v_perm_b32 v145, v79, v121, 0x7030c0c
	v_dual_lshlrev_b32 v132, 24, v80 :: v_dual_lshlrev_b32 v133, 16, v80
	s_wait_dscnt 0xf
	v_dot4_i32_iu8 v84, v76, v84, 0 neg_lo:[1,1,0]
	v_perm_b32 v142, v80, v82, 0x7030c0c
	s_wait_dscnt 0xb
	v_dot4_i32_iu8 v92, v76, v92, 0 neg_lo:[1,1,0]
	s_wait_dscnt 0x7
	v_dot4_i32_iu8 v100, v76, v100, 0 neg_lo:[1,1,0]
	v_perm_b32 v146, v131, v130, 0xc0c0703
	v_perm_b32 v82, v82, v122, 0x7030c0c
	s_wait_dscnt 0x3
	v_perm_b32 v153, v76, v109, 0xc0c0501
	v_perm_b32 v155, v76, v109, 0xc0c0703
	;; [unrolled: 1-line block ×4, first 2 shown]
	v_cvt_f32_f16_e32 v76, v119
	v_dual_lshrrev_b32 v119, 16, v119 :: v_dual_bitop2_b32 v120, v145, v120 bitop3:0x54
	v_dual_lshlrev_b32 v124, 8, v83 :: v_dual_lshlrev_b32 v125, 8, v81
	v_dual_lshlrev_b32 v126, 8, v78 :: v_dual_lshlrev_b32 v127, 8, v77
	;; [unrolled: 1-line block ×6, first 2 shown]
	v_perm_b32 v147, v133, v132, 0xc0c0703
	v_perm_b32 v80, v80, v123, 0x7030c0c
	;; [unrolled: 1-line block ×4, first 2 shown]
	s_wait_dscnt 0x2
	v_perm_b32 v133, v111, v110, 0x5010c0c
	v_perm_b32 v154, v111, v110, 0x7030c0c
	;; [unrolled: 1-line block ×3, first 2 shown]
	v_dual_add_nc_u32 v72, 4, v72 :: v_dual_bitop2_b32 v82, v82, v146 bitop3:0x54
	v_dot4_i32_iu8 v84, v120, v85, v84 neg_lo:[1,1,0]
	v_dot4_i32_iu8 v85, v120, v93, v92 neg_lo:[1,1,0]
	v_dot4_i32_iu8 v92, v120, v101, v100 neg_lo:[1,1,0]
	v_perm_b32 v143, v81, v83, 0xc0c0703
	v_perm_b32 v144, v77, v78, 0x7030c0c
	;; [unrolled: 1-line block ×15, first 2 shown]
	s_wait_dscnt 0x1
	v_perm_b32 v111, v113, v112, 0xc0c0602
	s_wait_dscnt 0x0
	v_perm_b32 v122, v115, v114, 0x6020c0c
	v_perm_b32 v123, v125, v124, 0xc0c0703
	;; [unrolled: 1-line block ×13, first 2 shown]
	v_dual_add_nc_u32 v53, 32, v53 :: v_dual_bitop2_b32 v80, v80, v147 bitop3:0x54
	v_or_b32_e32 v129, v131, v129
	v_or_b32_e32 v131, v133, v153
	;; [unrolled: 1-line block ×4, first 2 shown]
	v_dot4_i32_iu8 v84, v82, v86, v84 neg_lo:[1,1,0]
	v_dot4_i32_iu8 v85, v82, v94, v85 neg_lo:[1,1,0]
	;; [unrolled: 1-line block ×3, first 2 shown]
	v_perm_b32 v149, v137, v136, 0xc0c0703
	v_or_b32_e32 v136, v144, v143
	v_dual_add_nc_u32 v71, 32, v71 :: v_dual_bitop2_b32 v83, v83, v148 bitop3:0x54
	v_or_b32_e32 v109, v110, v109
	v_or_b32_e32 v110, v122, v111
	;; [unrolled: 1-line block ×6, first 2 shown]
	v_dot4_i32_iu8 v100, v129, v131, 0 neg_lo:[1,1,0]
	v_dot4_i32_iu8 v79, v79, v133, 0 neg_lo:[1,1,0]
	;; [unrolled: 1-line block ×5, first 2 shown]
	v_cvt_f32_f16_e32 v77, v116
	v_lshrrev_b32_e32 v116, 16, v116
	v_or_b32_e32 v128, v130, v128
	v_or_b32_e32 v130, v132, v156
	;; [unrolled: 1-line block ×3, first 2 shown]
	v_dot4_i32_iu8 v84, v83, v88, v84 neg_lo:[1,1,0]
	v_dot4_i32_iu8 v85, v83, v96, v85 neg_lo:[1,1,0]
	;; [unrolled: 1-line block ×5, first 2 shown]
	v_or_b32_e32 v81, v81, v149
	v_dual_add_nc_u32 v52, 4, v52 :: v_dual_bitop2_b32 v78, v78, v150 bitop3:0x54
	v_or_b32_e32 v121, v126, v125
	v_or_b32_e32 v122, v134, v127
	v_dot4_i32_iu8 v86, v108, v109, 0 neg_lo:[1,1,0]
	v_dot4_i32_iu8 v82, v128, v130, 0 neg_lo:[1,1,0]
	;; [unrolled: 1-line block ×5, first 2 shown]
	v_or_b32_e32 v135, v152, v151
	v_dot4_i32_iu8 v86, v111, v110, v86 neg_lo:[1,1,0]
	v_dot4_i32_iu8 v81, v122, v121, v82 neg_lo:[1,1,0]
	v_add_nc_u32_e32 v82, v83, v79
	v_dot4_i32_iu8 v83, v78, v90, v84 neg_lo:[1,1,0]
	v_dot4_i32_iu8 v84, v78, v98, v85 neg_lo:[1,1,0]
	;; [unrolled: 1-line block ×3, first 2 shown]
	v_cvt_f32_f16_e32 v79, v116
	v_add3_u32 v80, v81, v86, v82
	v_dot4_i32_iu8 v82, v135, v91, v83 neg_lo:[1,1,0]
	v_dot4_i32_iu8 v83, v135, v99, v84 neg_lo:[1,1,0]
	;; [unrolled: 1-line block ×3, first 2 shown]
	v_cvt_f32_f16_e32 v78, v119
	v_cvt_f32_i32_e32 v81, v80
	v_cvt_f32_i32_e32 v82, v82
	v_cvt_f32_i32_e32 v83, v83
	v_cvt_f32_i32_e32 v80, v84
	v_dual_add_nc_u32 v75, 4, v75 :: v_dual_add_nc_u32 v74, 4, v74
	s_delay_alu instid0(VALU_DEP_4) | instskip(NEXT) | instid1(VALU_DEP_4)
	v_fma_mix_f32 v82, v117, v82, v117 op_sel:[0,0,1] op_sel_hi:[1,0,1]
	v_fma_mix_f32 v83, v118, v83, v118 op_sel:[0,0,1] op_sel_hi:[1,0,1]
	s_delay_alu instid0(VALU_DEP_4) | instskip(SKIP_1) | instid1(VALU_DEP_2)
	v_pk_fma_f32 v[76:77], v[76:77], v[80:81], v[78:79]
	s_add_co_i32 s1, s1, 4
	v_dual_add_f32 v55, v55, v82 :: v_dual_add_f32 v49, v49, v83
	s_delay_alu instid0(VALU_DEP_2)
	v_pk_add_f32 v[16:17], v[16:17], v[76:77]
	s_cmp_lt_u32 s1, 28
	s_cbranch_scc1 .LBB183_19
; %bb.20:                               ;   in Loop: Header=BB183_5 Depth=1
	s_barrier_signal -1
	s_barrier_wait -1
	s_branch .LBB183_4
.LBB183_21:
	s_mul_i32 s0, s7, s4
	s_wait_loadcnt 0x0
	v_cmp_gt_i32_e32 vcc_lo, s0, v1
	s_and_saveexec_b32 s0, vcc_lo
	s_cbranch_execz .LBB183_30
; %bb.22:
	v_mul_lo_u32 v0, v1, s6
	v_add_nc_u32_e32 v1, s18, v3
	s_mov_b32 s0, exec_lo
	s_delay_alu instid0(VALU_DEP_1)
	v_cmpx_gt_u32_e64 s6, v1
	s_cbranch_execz .LBB183_24
; %bb.23:
	s_delay_alu instid0(VALU_DEP_3)
	v_add_nc_u32_e32 v2, v0, v1
	global_store_b32 v2, v55, s[8:9] scale_offset
.LBB183_24:
	s_wait_xcnt 0x0
	s_or_b32 exec_lo, exec_lo, s0
	v_add_nc_u32_e32 v2, 32, v1
	s_mov_b32 s0, exec_lo
	s_delay_alu instid0(VALU_DEP_1)
	v_cmpx_gt_u32_e64 s6, v2
	s_cbranch_execz .LBB183_26
; %bb.25:
	v_add_nc_u32_e32 v2, v0, v2
	global_store_b32 v2, v49, s[8:9] scale_offset
.LBB183_26:
	s_wait_xcnt 0x0
	s_or_b32 exec_lo, exec_lo, s0
	v_add_nc_u32_e32 v2, 64, v1
	s_mov_b32 s0, exec_lo
	s_delay_alu instid0(VALU_DEP_1)
	v_cmpx_gt_u32_e64 s6, v2
	s_cbranch_execz .LBB183_28
; %bb.27:
	v_add_nc_u32_e32 v2, v0, v2
	global_store_b32 v2, v16, s[8:9] scale_offset
.LBB183_28:
	s_wait_xcnt 0x0
	s_or_b32 exec_lo, exec_lo, s0
	v_add_nc_u32_e32 v1, 0x60, v1
	s_delay_alu instid0(VALU_DEP_1)
	v_cmp_gt_u32_e32 vcc_lo, s6, v1
	s_and_b32 exec_lo, exec_lo, vcc_lo
	s_cbranch_execz .LBB183_30
; %bb.29:
	v_add_nc_u32_e32 v0, v0, v1
	global_store_b32 v0, v17, s[8:9] scale_offset
.LBB183_30:
	s_sendmsg sendmsg(MSG_DEALLOC_VGPRS)
	s_endpgm
	.section	.rodata,"a",@progbits
	.p2align	6, 0x0
	.amdhsa_kernel _ZL8moe_q5_1IfLb0EEvPKvS1_PT_PKiS5_S5_iiiiiii
		.amdhsa_group_segment_fixed_size 38656
		.amdhsa_private_segment_fixed_size 0
		.amdhsa_kernarg_size 76
		.amdhsa_user_sgpr_count 2
		.amdhsa_user_sgpr_dispatch_ptr 0
		.amdhsa_user_sgpr_queue_ptr 0
		.amdhsa_user_sgpr_kernarg_segment_ptr 1
		.amdhsa_user_sgpr_dispatch_id 0
		.amdhsa_user_sgpr_kernarg_preload_length 0
		.amdhsa_user_sgpr_kernarg_preload_offset 0
		.amdhsa_user_sgpr_private_segment_size 0
		.amdhsa_wavefront_size32 1
		.amdhsa_uses_dynamic_stack 0
		.amdhsa_enable_private_segment 0
		.amdhsa_system_sgpr_workgroup_id_x 1
		.amdhsa_system_sgpr_workgroup_id_y 1
		.amdhsa_system_sgpr_workgroup_id_z 0
		.amdhsa_system_sgpr_workgroup_info 0
		.amdhsa_system_vgpr_workitem_id 1
		.amdhsa_next_free_vgpr 159
		.amdhsa_next_free_sgpr 21
		.amdhsa_named_barrier_count 0
		.amdhsa_reserve_vcc 1
		.amdhsa_float_round_mode_32 0
		.amdhsa_float_round_mode_16_64 0
		.amdhsa_float_denorm_mode_32 3
		.amdhsa_float_denorm_mode_16_64 3
		.amdhsa_fp16_overflow 0
		.amdhsa_memory_ordered 1
		.amdhsa_forward_progress 1
		.amdhsa_inst_pref_size 69
		.amdhsa_round_robin_scheduling 0
		.amdhsa_exception_fp_ieee_invalid_op 0
		.amdhsa_exception_fp_denorm_src 0
		.amdhsa_exception_fp_ieee_div_zero 0
		.amdhsa_exception_fp_ieee_overflow 0
		.amdhsa_exception_fp_ieee_underflow 0
		.amdhsa_exception_fp_ieee_inexact 0
		.amdhsa_exception_int_div_zero 0
	.end_amdhsa_kernel
	.section	.text._ZL8moe_q5_1IfLb0EEvPKvS1_PT_PKiS5_S5_iiiiiii,"axG",@progbits,_ZL8moe_q5_1IfLb0EEvPKvS1_PT_PKiS5_S5_iiiiiii,comdat
.Lfunc_end183:
	.size	_ZL8moe_q5_1IfLb0EEvPKvS1_PT_PKiS5_S5_iiiiiii, .Lfunc_end183-_ZL8moe_q5_1IfLb0EEvPKvS1_PT_PKiS5_S5_iiiiiii
                                        ; -- End function
	.set _ZL8moe_q5_1IfLb0EEvPKvS1_PT_PKiS5_S5_iiiiiii.num_vgpr, 159
	.set _ZL8moe_q5_1IfLb0EEvPKvS1_PT_PKiS5_S5_iiiiiii.num_agpr, 0
	.set _ZL8moe_q5_1IfLb0EEvPKvS1_PT_PKiS5_S5_iiiiiii.numbered_sgpr, 21
	.set _ZL8moe_q5_1IfLb0EEvPKvS1_PT_PKiS5_S5_iiiiiii.num_named_barrier, 0
	.set _ZL8moe_q5_1IfLb0EEvPKvS1_PT_PKiS5_S5_iiiiiii.private_seg_size, 0
	.set _ZL8moe_q5_1IfLb0EEvPKvS1_PT_PKiS5_S5_iiiiiii.uses_vcc, 1
	.set _ZL8moe_q5_1IfLb0EEvPKvS1_PT_PKiS5_S5_iiiiiii.uses_flat_scratch, 0
	.set _ZL8moe_q5_1IfLb0EEvPKvS1_PT_PKiS5_S5_iiiiiii.has_dyn_sized_stack, 0
	.set _ZL8moe_q5_1IfLb0EEvPKvS1_PT_PKiS5_S5_iiiiiii.has_recursion, 0
	.set _ZL8moe_q5_1IfLb0EEvPKvS1_PT_PKiS5_S5_iiiiiii.has_indirect_call, 0
	.section	.AMDGPU.csdata,"",@progbits
; Kernel info:
; codeLenInByte = 8812
; TotalNumSgprs: 23
; NumVgprs: 159
; ScratchSize: 0
; MemoryBound: 0
; FloatMode: 240
; IeeeMode: 1
; LDSByteSize: 38656 bytes/workgroup (compile time only)
; SGPRBlocks: 0
; VGPRBlocks: 9
; NumSGPRsForWavesPerEU: 23
; NumVGPRsForWavesPerEU: 159
; NamedBarCnt: 0
; Occupancy: 6
; WaveLimiterHint : 1
; COMPUTE_PGM_RSRC2:SCRATCH_EN: 0
; COMPUTE_PGM_RSRC2:USER_SGPR: 2
; COMPUTE_PGM_RSRC2:TRAP_HANDLER: 0
; COMPUTE_PGM_RSRC2:TGID_X_EN: 1
; COMPUTE_PGM_RSRC2:TGID_Y_EN: 1
; COMPUTE_PGM_RSRC2:TGID_Z_EN: 0
; COMPUTE_PGM_RSRC2:TIDIG_COMP_CNT: 1
	.section	.text._ZL8moe_q5_1IfLb1EEvPKvS1_PT_PKiS5_S5_iiiiiii,"axG",@progbits,_ZL8moe_q5_1IfLb1EEvPKvS1_PT_PKiS5_S5_iiiiiii,comdat
	.globl	_ZL8moe_q5_1IfLb1EEvPKvS1_PT_PKiS5_S5_iiiiiii ; -- Begin function _ZL8moe_q5_1IfLb1EEvPKvS1_PT_PKiS5_S5_iiiiiii
	.p2align	8
	.type	_ZL8moe_q5_1IfLb1EEvPKvS1_PT_PKiS5_S5_iiiiiii,@function
_ZL8moe_q5_1IfLb1EEvPKvS1_PT_PKiS5_S5_iiiiiii: ; @_ZL8moe_q5_1IfLb1EEvPKvS1_PT_PKiS5_S5_iiiiiii
; %bb.0:
	s_load_b128 s[4:7], s[0:1], 0x18
	s_bfe_u32 s2, ttmp6, 0x40010
	s_bfe_u32 s8, ttmp6, 0x40004
	s_add_co_i32 s2, s2, 1
	s_delay_alu instid0(SALU_CYCLE_1)
	s_mul_i32 s3, ttmp7, s2
	s_getreg_b32 s2, hwreg(HW_REG_IB_STS2, 6, 4)
	s_add_co_i32 s8, s8, s3
	s_cmp_eq_u32 s2, 0
	s_cselect_b32 s3, ttmp7, s8
	s_wait_kmcnt 0x0
	s_load_b32 s14, s[6:7], s3 offset:0x0 scale_offset
	s_wait_kmcnt 0x0
	s_cmp_gt_u32 s14, 0xff
	s_cbranch_scc1 .LBB184_30
; %bb.1:
	s_load_b64 s[6:7], s[0:1], 0x28
	s_lshl_b32 s3, s3, 3
	s_wait_kmcnt 0x0
	s_load_b32 s6, s[6:7], 0x0
	s_wait_kmcnt 0x0
	s_cmp_gt_u32 s3, s6
	s_cbranch_scc1 .LBB184_30
; %bb.2:
	v_bfe_u32 v9, v0, 10, 10
	s_and_b32 s11, ttmp6, 15
	v_and_b32_e32 v5, 0x3ff, v0
	s_mov_b32 s15, 0
	s_delay_alu instid0(VALU_DEP_2) | instskip(SKIP_1) | instid1(SALU_CYCLE_1)
	v_dual_mov_b32 v7, 0 :: v_dual_add_nc_u32 v1, s3, v9
	s_bfe_u32 s3, ttmp6, 0x4000c
	s_add_co_i32 s3, s3, 1
	s_delay_alu instid0(VALU_DEP_1)
	v_dual_mov_b32 v6, v7 :: v_dual_mov_b32 v70, v7
	global_load_b32 v1, v1, s[4:5] scale_offset
	s_wait_xcnt 0x0
	s_clause 0x2
	s_load_b128 s[4:7], s[0:1], 0x30
	s_load_b64 s[12:13], s[0:1], 0x10
	s_load_b96 s[8:10], s[0:1], 0x40
	s_mul_i32 s3, ttmp9, s3
	v_mov_b32_e32 v73, v7
	s_add_co_i32 s11, s11, s3
	s_cmp_eq_u32 s2, 0
	s_cselect_b32 s2, ttmp9, s11
	s_delay_alu instid0(SALU_CYCLE_1)
	s_lshl_b32 s11, s2, 7
	s_wait_kmcnt 0x0
	s_cmp_lt_i32 s5, 32
	s_cbranch_scc1 .LBB184_21
; %bb.3:
	s_load_b128 s[0:3], s[0:1], 0x0
	s_mul_i32 s18, s14, s4
	v_bfe_u32 v29, v0, 3, 7
	s_ashr_i32 s19, s18, 31
	s_not_b32 s4, s11
	s_ashr_i32 s16, s5, 31
	s_add_co_i32 s20, s6, s4
	v_lshl_add_u32 v7, v9, 2, v29
	s_ashr_i32 s17, s8, 31
	s_lshr_b32 s14, s16, 27
	s_lshr_b32 s16, s17, 27
	v_dual_mov_b32 v3, 0 :: v_dual_lshlrev_b32 v10, 2, v5
	v_min_i32_e32 v44, s20, v7
	s_add_co_i32 s6, s8, s16
	v_add_min_i32_e64 v46, v7, 32, s20
	s_delay_alu instid0(VALU_DEP_3)
	v_dual_lshlrev_b32 v6, 3, v5 :: v_dual_bitop2_b32 v2, 12, v10 bitop3:0x40
	v_add_min_i32_e64 v14, v9, 8, s20
	v_add_min_i32_e64 v16, v9, 16, s20
	s_wait_kmcnt 0x0
	s_add_nc_u64 s[18:19], s[0:1], s[18:19]
	s_abs_i32 s0, s10
	v_add_min_i32_e64 v18, v9, 24, s20
	s_cvt_f32_u32 s1, s0
	s_sub_co_i32 s8, 0, s0
	v_add_min_i32_e64 v20, v9, 32, s20
	v_add_min_i32_e64 v22, v9, 40, s20
	v_rcp_iflag_f32_e32 v4, s1
	v_add_min_i32_e64 v24, v9, 48, s20
	v_add_min_i32_e64 v26, v9, 56, s20
	;; [unrolled: 1-line block ×6, first 2 shown]
	v_readfirstlane_b32 s1, v4
	s_wait_loadcnt 0x0
	v_sub_nc_u32_e32 v4, 0, v1
	v_dual_ashrrev_i32 v8, 31, v44 :: v_dual_min_i32 v12, s20, v9
	v_ashrrev_i32_e32 v43, 31, v46
	s_mul_f32 s1, s1, 0x4f7ffffe
	s_delay_alu instid0(VALU_DEP_3)
	v_max_i32_e32 v11, v1, v4
	v_add_min_i32_e64 v36, 0x60, v9, s20
	v_lshrrev_b32_e32 v4, 30, v8
	s_cvt_u32_f32 s1, s1
	v_add_min_i32_e64 v38, 0x68, v9, s20
	v_add_min_i32_e64 v42, 0x70, v9, s20
	;; [unrolled: 1-line block ×3, first 2 shown]
	s_mul_i32 s8, s8, s1
	v_add_nc_u32_e32 v40, v44, v4
	s_mul_hi_u32 s8, s1, s8
	v_dual_lshrrev_b32 v50, 30, v43 :: v_dual_bitop2_b32 v4, 7, v0 bitop3:0x40
	s_add_co_i32 s1, s1, s8
	v_add_min_i32_e64 v52, v7, 64, s20
	v_mul_hi_u32 v8, v11, s1
	s_delay_alu instid0(VALU_DEP_3)
	v_lshlrev_b32_e32 v49, 2, v4
	v_add_min_i32_e64 v53, 0x60, v7, s20
	v_mad_u32 v13, 0x104, v12, v6
	v_mad_u32 v15, 0x104, v14, v6
	;; [unrolled: 1-line block ×8, first 2 shown]
	v_mul_lo_u32 v47, v8, s0
	v_and_b32_e32 v40, -4, v40
	v_mad_u32 v31, 0x104, v28, v6
	v_mad_u32 v33, 0x104, v30, v6
	;; [unrolled: 1-line block ×8, first 2 shown]
	v_dual_ashrrev_i32 v51, 31, v53 :: v_dual_sub_nc_u32 v11, v11, v47
	v_add3_u32 v6, v40, v49, 0x8200
	v_dual_add_nc_u32 v40, v46, v50 :: v_dual_lshlrev_b32 v50, 5, v44
	v_add_nc_u32_e32 v47, 1, v8
	s_delay_alu instid0(VALU_DEP_4)
	v_subrev_nc_u32_e32 v54, s0, v11
	v_cmp_le_u32_e32 vcc_lo, s0, v11
	v_ashrrev_i32_e32 v7, 31, v52
	v_and_b32_e32 v57, 0xfc, v0
	v_lshlrev_b32_e32 v59, 5, v53
	s_ashr_i32 s6, s6, 5
	v_dual_cndmask_b32 v8, v8, v47, vcc_lo :: v_dual_bitop2_b32 v40, -4, v40 bitop3:0x40
	v_lshrrev_b32_e32 v7, 30, v7
	v_dual_lshrrev_b32 v47, 30, v51 :: v_dual_bitop2_b32 v51, s10, v1 bitop3:0x14
	s_delay_alu instid0(VALU_DEP_3) | instskip(NEXT) | instid1(VALU_DEP_3)
	v_dual_cndmask_b32 v11, v11, v54 :: v_dual_add_nc_u32 v54, 1, v8
	v_add_nc_u32_e32 v7, v52, v7
	v_add3_u32 v40, v40, v49, 0x8200
	s_delay_alu instid0(VALU_DEP_4) | instskip(NEXT) | instid1(VALU_DEP_4)
	v_ashrrev_i32_e32 v51, 31, v51
	v_cmp_le_u32_e32 vcc_lo, s0, v11
	v_add_nc_u32_e32 v47, v53, v47
	v_dual_add_nc_u32 v55, 32, v5 :: v_dual_bitop2_b32 v7, -4, v7 bitop3:0x40
	v_dual_lshlrev_b32 v58, 5, v52 :: v_dual_cndmask_b32 v8, v8, v54, vcc_lo
	s_delay_alu instid0(VALU_DEP_3) | instskip(NEXT) | instid1(VALU_DEP_3)
	v_dual_lshlrev_b32 v54, 5, v46 :: v_dual_bitop2_b32 v11, -4, v47 bitop3:0x40
	v_add3_u32 v7, v7, v49, 0x8200
	v_add_nc_u32_e32 v47, 0x60, v5
	s_add_co_i32 s14, s5, s14
	s_delay_alu instid0(VALU_DEP_3) | instskip(SKIP_1) | instid1(VALU_DEP_3)
	v_add3_u32 v11, v11, v49, 0x8200
	v_dual_add_nc_u32 v49, 64, v5 :: v_dual_bitop2_b32 v8, v8, v51 bitop3:0x14
	v_and_b32_e32 v47, 0x1fc, v47
	s_ashr_i32 s4, s14, 5
	v_lshl_add_u32 v60, v9, 4, 0x9680
	s_delay_alu instid0(VALU_DEP_3)
	v_and_b32_e32 v49, 0x1fc, v49
	v_dual_sub_nc_u32 v56, v8, v51 :: v_dual_lshlrev_b32 v8, 5, v5
	v_and_b32_e32 v51, 0x1fc, v55
	v_mul_lo_u32 v12, v12, s4
	v_mul_lo_u32 v14, v14, s4
	;; [unrolled: 1-line block ×3, first 2 shown]
	v_dual_add_nc_u32 v65, v8, v47 :: v_dual_add_nc_u32 v67, v8, v49
	v_dual_add_nc_u32 v69, v8, v51 :: v_dual_add_nc_u32 v57, v8, v57
	v_dual_add_nc_u32 v47, v6, v50 :: v_dual_bitop2_b32 v50, 31, v0 bitop3:0x40
	v_add_nc_u32_e32 v49, v40, v54
	v_dual_add_nc_u32 v51, v7, v58 :: v_dual_lshrrev_b32 v63, 3, v55
	v_dual_add_nc_u32 v58, v11, v59 :: v_dual_bitop2_b32 v6, 28, v10 bitop3:0x40
	v_mul_lo_u32 v8, v56, s6
	v_lshl_add_u32 v59, v9, 7, 0x9280
	v_dual_mov_b32 v7, v3 :: v_dual_add_nc_u32 v62, v60, v10
	v_mul_lo_u32 v18, v18, s4
	v_mul_lo_u32 v20, v20, s4
	s_delay_alu instid0(VALU_DEP_4)
	v_lshl_or_b32 v61, v50, 2, v59
	v_mul_lo_u32 v22, v22, s4
	v_mul_lo_u32 v24, v24, s4
	;; [unrolled: 1-line block ×15, first 2 shown]
	s_mul_i32 s16, s4, s11
	v_cmp_gt_u32_e32 vcc_lo, 4, v5
	v_cmp_gt_i32_e64 s0, s7, v56
	v_add_nc_u64_e32 v[10:11], s[2:3], v[6:7]
	s_movk_i32 s1, 0x80
	s_ashr_i32 s17, s16, 31
	v_dual_ashrrev_i32 v9, 31, v8 :: v_dual_mov_b32 v73, v3
	v_add_nc_u32_e32 v64, 0x8e00, v65
	v_dual_mov_b32 v70, v3 :: v_dual_add_nc_u32 v65, 0x8e10, v65
	v_add_nc_u32_e32 v66, 0x8a00, v67
	v_add_nc_u32_e32 v67, 0x8a10, v67
	;; [unrolled: 1-line block ×6, first 2 shown]
	v_mov_b32_e32 v6, v3
	v_bfe_u32 v0, v0, 2, 8
	v_mad_u32_u24 v74, 0x104, v5, s1
	s_mul_u64 s[16:17], s[16:17], 24
	s_and_b32 s8, vcc_lo, s0
	s_add_nc_u64 s[16:17], s[18:19], s[16:17]
	s_mov_b32 s14, s15
	s_branch .LBB184_5
.LBB184_4:                              ;   in Loop: Header=BB184_5 Depth=1
	s_add_co_i32 s14, s14, 8
	s_delay_alu instid0(SALU_CYCLE_1)
	s_cmp_ge_i32 s14, s4
	s_cbranch_scc1 .LBB184_21
.LBB184_5:                              ; =>This Loop Header: Depth=1
                                        ;     Child Loop BB184_11 Depth 2
                                        ;     Child Loop BB184_19 Depth 2
	s_mul_u64 s[18:19], s[14:15], 24
	s_delay_alu instid0(SALU_CYCLE_1) | instskip(NEXT) | instid1(SALU_CYCLE_1)
	s_add_nc_u64 s[18:19], s[16:17], s[18:19]
	v_mad_nc_u64_u32 v[52:53], v0, 24, s[18:19]
	s_delay_alu instid0(VALU_DEP_1) | instskip(SKIP_1) | instid1(VALU_DEP_2)
	v_mad_nc_i64_i32 v[54:55], v18, 24, v[52:53]
	v_mad_nc_i64_i32 v[56:57], v16, 24, v[52:53]
	v_add_nc_u64_e32 v[76:77], v[54:55], v[2:3]
	s_delay_alu instid0(VALU_DEP_2)
	v_add_nc_u64_e32 v[78:79], v[56:57], v[2:3]
	s_clause 0x1
	global_load_b32 v75, v[76:77], off offset:8
	global_load_b32 v80, v[78:79], off offset:8
	s_wait_xcnt 0x1
	v_mad_nc_i64_i32 v[76:77], v14, 24, v[52:53]
	s_wait_xcnt 0x0
	s_delay_alu instid0(VALU_DEP_1)
	v_add_nc_u64_e32 v[78:79], v[76:77], v[2:3]
	global_load_b32 v81, v[78:79], off offset:8
	s_wait_xcnt 0x0
	v_mad_nc_i64_i32 v[78:79], v12, 24, v[52:53]
	global_load_b32 v82, v[78:79], off offset:4
	s_wait_xcnt 0x0
	v_add_nc_u64_e32 v[78:79], v[78:79], v[2:3]
	s_clause 0x3
	global_load_b32 v83, v[78:79], off offset:8
	global_load_b32 v84, v[76:77], off offset:4
	;; [unrolled: 1-line block ×4, first 2 shown]
	s_wait_loadcnt 0x5
	s_wait_xcnt 0x2
	v_and_b32_e32 v76, 0xf0f0f0f, v81
	s_wait_loadcnt 0x4
	s_wait_xcnt 0x0
	v_ashrrev_i32_e32 v54, v2, v82
	s_wait_loadcnt 0x3
	v_and_b32_e32 v56, 0xf0f0f0f, v83
	s_delay_alu instid0(VALU_DEP_2) | instskip(NEXT) | instid1(VALU_DEP_1)
	v_lshlrev_b32_e32 v55, 4, v54
	v_dual_lshrrev_b32 v77, 12, v54 :: v_dual_bitop2_b32 v55, 16, v55 bitop3:0x40
	s_delay_alu instid0(VALU_DEP_1) | instskip(SKIP_1) | instid1(VALU_DEP_2)
	v_or_b32_e32 v55, v55, v56
	s_wait_loadcnt 0x2
	v_dual_ashrrev_i32 v56, v2, v84 :: v_dual_bitop2_b32 v77, 16, v77 bitop3:0x40
	s_delay_alu instid0(VALU_DEP_1) | instskip(NEXT) | instid1(VALU_DEP_1)
	v_dual_lshrrev_b32 v78, 12, v56 :: v_dual_lshlrev_b32 v57, 4, v56
	v_and_b32_e32 v78, 16, v78
	s_delay_alu instid0(VALU_DEP_2) | instskip(NEXT) | instid1(VALU_DEP_1)
	v_and_b32_e32 v57, 16, v57
	v_dual_lshrrev_b32 v76, 4, v83 :: v_dual_bitop2_b32 v57, v57, v76 bitop3:0x54
	s_delay_alu instid0(VALU_DEP_1) | instskip(NEXT) | instid1(VALU_DEP_1)
	v_and_b32_e32 v76, 0xf0f0f0f, v76
	v_dual_lshrrev_b32 v77, 4, v81 :: v_dual_bitop2_b32 v76, v77, v76 bitop3:0x54
	s_delay_alu instid0(VALU_DEP_1) | instskip(NEXT) | instid1(VALU_DEP_1)
	v_and_b32_e32 v77, 0xf0f0f0f, v77
	v_dual_lshlrev_b32 v78, 11, v54 :: v_dual_bitop2_b32 v77, v78, v77 bitop3:0x54
	s_delay_alu instid0(VALU_DEP_1) | instskip(NEXT) | instid1(VALU_DEP_1)
	v_and_b32_e32 v78, 0x1000, v78
	v_dual_lshlrev_b32 v78, 11, v56 :: v_dual_bitop2_b32 v55, v55, v78 bitop3:0x54
	s_delay_alu instid0(VALU_DEP_1) | instskip(NEXT) | instid1(VALU_DEP_1)
	v_and_b32_e32 v78, 0x1000, v78
	v_or_b32_e32 v57, v57, v78
	v_lshrrev_b32_e32 v78, 5, v54
	s_delay_alu instid0(VALU_DEP_1) | instskip(NEXT) | instid1(VALU_DEP_1)
	v_and_b32_e32 v78, 0x1000, v78
	v_dual_lshrrev_b32 v78, 5, v56 :: v_dual_bitop2_b32 v76, v76, v78 bitop3:0x54
	s_delay_alu instid0(VALU_DEP_1) | instskip(NEXT) | instid1(VALU_DEP_1)
	v_and_b32_e32 v78, 0x1000, v78
	v_or_b32_e32 v77, v77, v78
	v_lshlrev_b32_e32 v78, 18, v54
	s_delay_alu instid0(VALU_DEP_1) | instskip(NEXT) | instid1(VALU_DEP_1)
	v_and_b32_e32 v78, 0x100000, v78
	v_dual_lshlrev_b32 v78, 18, v56 :: v_dual_bitop2_b32 v55, v55, v78 bitop3:0x54
	s_delay_alu instid0(VALU_DEP_1) | instskip(NEXT) | instid1(VALU_DEP_1)
	v_and_b32_e32 v78, 0x100000, v78
	v_or_b32_e32 v57, v57, v78
	v_lshlrev_b32_e32 v78, 2, v54
	s_delay_alu instid0(VALU_DEP_1) | instskip(NEXT) | instid1(VALU_DEP_1)
	v_and_b32_e32 v78, 0x100000, v78
	v_dual_lshlrev_b32 v78, 2, v56 :: v_dual_bitop2_b32 v76, v76, v78 bitop3:0x54
	s_delay_alu instid0(VALU_DEP_1) | instskip(NEXT) | instid1(VALU_DEP_1)
	v_and_b32_e32 v78, 0x100000, v78
	v_or_b32_e32 v77, v77, v78
	v_dual_lshlrev_b32 v78, 25, v54 :: v_dual_lshlrev_b32 v54, 9, v54
	s_delay_alu instid0(VALU_DEP_1) | instskip(NEXT) | instid1(VALU_DEP_2)
	v_and_b32_e32 v78, 0x10000000, v78
	v_and_b32_e32 v54, 0x10000000, v54
	s_delay_alu instid0(VALU_DEP_2) | instskip(NEXT) | instid1(VALU_DEP_2)
	v_or_b32_e32 v55, v55, v78
	v_dual_lshlrev_b32 v78, 25, v56 :: v_dual_bitop2_b32 v54, v76, v54 bitop3:0x54
	s_wait_loadcnt 0x1
	v_dual_lshlrev_b32 v56, 9, v56 :: v_dual_ashrrev_i32 v76, v2, v85
	ds_store_2addr_b32 v13, v55, v54 offset1:1
	v_mad_nc_i64_i32 v[54:55], v26, 24, v[52:53]
	v_and_b32_e32 v78, 0x10000000, v78
	v_and_b32_e32 v56, 0x10000000, v56
	s_delay_alu instid0(VALU_DEP_2) | instskip(NEXT) | instid1(VALU_DEP_2)
	v_dual_lshrrev_b32 v79, 12, v76 :: v_dual_bitop2_b32 v57, v57, v78 bitop3:0x54
	v_or_b32_e32 v56, v77, v56
	v_and_b32_e32 v78, 0xf0f0f0f, v75
	s_wait_loadcnt 0x0
	s_delay_alu instid0(VALU_DEP_3)
	v_dual_ashrrev_i32 v77, v2, v86 :: v_dual_bitop2_b32 v79, 16, v79 bitop3:0x40
	v_lshrrev_b32_e32 v75, 4, v75
	ds_store_2addr_b32 v15, v57, v56 offset1:1
	v_add_nc_u64_e32 v[56:57], v[54:55], v[2:3]
	v_and_b32_e32 v75, 0xf0f0f0f, v75
	global_load_b32 v81, v[56:57], off offset:8
	s_wait_xcnt 0x0
	v_lshlrev_b32_e32 v56, 4, v76
	v_and_b32_e32 v57, 0xf0f0f0f, v80
	s_delay_alu instid0(VALU_DEP_2) | instskip(NEXT) | instid1(VALU_DEP_1)
	v_and_b32_e32 v56, 16, v56
	v_or_b32_e32 v56, v56, v57
	v_lshlrev_b32_e32 v57, 4, v77
	s_delay_alu instid0(VALU_DEP_1) | instskip(NEXT) | instid1(VALU_DEP_1)
	v_and_b32_e32 v57, 16, v57
	v_dual_lshrrev_b32 v78, 4, v80 :: v_dual_bitop2_b32 v57, v57, v78 bitop3:0x54
	s_delay_alu instid0(VALU_DEP_1) | instskip(NEXT) | instid1(VALU_DEP_1)
	v_and_b32_e32 v78, 0xf0f0f0f, v78
	v_dual_lshrrev_b32 v79, 12, v77 :: v_dual_bitop2_b32 v78, v79, v78 bitop3:0x54
	s_delay_alu instid0(VALU_DEP_1) | instskip(NEXT) | instid1(VALU_DEP_1)
	v_and_b32_e32 v79, 16, v79
	v_dual_lshlrev_b32 v79, 11, v76 :: v_dual_bitop2_b32 v75, v79, v75 bitop3:0x54
	s_delay_alu instid0(VALU_DEP_1) | instskip(NEXT) | instid1(VALU_DEP_1)
	v_and_b32_e32 v79, 0x1000, v79
	v_dual_lshlrev_b32 v79, 11, v77 :: v_dual_bitop2_b32 v56, v56, v79 bitop3:0x54
	s_delay_alu instid0(VALU_DEP_1) | instskip(NEXT) | instid1(VALU_DEP_1)
	v_and_b32_e32 v79, 0x1000, v79
	v_dual_lshrrev_b32 v79, 5, v76 :: v_dual_bitop2_b32 v57, v57, v79 bitop3:0x54
	s_delay_alu instid0(VALU_DEP_1) | instskip(NEXT) | instid1(VALU_DEP_1)
	v_and_b32_e32 v79, 0x1000, v79
	v_dual_lshrrev_b32 v79, 5, v77 :: v_dual_bitop2_b32 v78, v78, v79 bitop3:0x54
	s_delay_alu instid0(VALU_DEP_1) | instskip(NEXT) | instid1(VALU_DEP_1)
	v_and_b32_e32 v79, 0x1000, v79
	v_dual_lshlrev_b32 v79, 18, v76 :: v_dual_bitop2_b32 v75, v75, v79 bitop3:0x54
	s_delay_alu instid0(VALU_DEP_1) | instskip(NEXT) | instid1(VALU_DEP_1)
	v_and_b32_e32 v79, 0x100000, v79
	v_dual_lshlrev_b32 v79, 18, v77 :: v_dual_bitop2_b32 v56, v56, v79 bitop3:0x54
	;; [unrolled: 3-line block ×5, first 2 shown]
	v_lshlrev_b32_e32 v76, 9, v76
	s_delay_alu instid0(VALU_DEP_2) | instskip(NEXT) | instid1(VALU_DEP_2)
	v_and_b32_e32 v79, 0x10000000, v79
	v_and_b32_e32 v76, 0x10000000, v76
	s_delay_alu instid0(VALU_DEP_2) | instskip(NEXT) | instid1(VALU_DEP_2)
	v_or_b32_e32 v56, v56, v79
	v_dual_lshlrev_b32 v78, 25, v77 :: v_dual_bitop2_b32 v76, v78, v76 bitop3:0x54
	ds_store_2addr_b32 v17, v56, v76 offset1:1
	v_and_b32_e32 v78, 0x10000000, v78
	s_delay_alu instid0(VALU_DEP_1) | instskip(SKIP_1) | instid1(VALU_DEP_2)
	v_dual_lshlrev_b32 v76, 9, v77 :: v_dual_bitop2_b32 v78, v57, v78 bitop3:0x54
	v_mad_nc_i64_i32 v[56:57], v24, 24, v[52:53]
	v_and_b32_e32 v76, 0x10000000, v76
	s_delay_alu instid0(VALU_DEP_1) | instskip(NEXT) | instid1(VALU_DEP_3)
	v_or_b32_e32 v75, v75, v76
	v_add_nc_u64_e32 v[76:77], v[56:57], v[2:3]
	ds_store_2addr_b32 v19, v78, v75 offset1:1
	global_load_b32 v80, v[76:77], off offset:8
	s_wait_xcnt 0x0
	v_mad_nc_i64_i32 v[76:77], v22, 24, v[52:53]
	s_delay_alu instid0(VALU_DEP_1)
	v_add_nc_u64_e32 v[78:79], v[76:77], v[2:3]
	global_load_b32 v75, v[78:79], off offset:8
	s_wait_xcnt 0x0
	v_mad_nc_i64_i32 v[78:79], v20, 24, v[52:53]
	global_load_b32 v82, v[78:79], off offset:4
	s_wait_xcnt 0x0
	v_add_nc_u64_e32 v[78:79], v[78:79], v[2:3]
	s_clause 0x3
	global_load_b32 v83, v[78:79], off offset:8
	global_load_b32 v84, v[76:77], off offset:4
	;; [unrolled: 1-line block ×4, first 2 shown]
	s_wait_loadcnt 0x6
	s_wait_xcnt 0x3
	v_and_b32_e32 v78, 0xf0f0f0f, v80
	v_lshrrev_b32_e32 v80, 4, v80
	s_delay_alu instid0(VALU_DEP_1) | instskip(SKIP_4) | instid1(VALU_DEP_1)
	v_and_b32_e32 v80, 0xf0f0f0f, v80
	s_wait_loadcnt 0x5
	s_wait_xcnt 0x2
	v_and_b32_e32 v76, 0xf0f0f0f, v75
	v_lshrrev_b32_e32 v75, 4, v75
	v_and_b32_e32 v75, 0xf0f0f0f, v75
	s_wait_loadcnt 0x4
	s_wait_xcnt 0x0
	v_ashrrev_i32_e32 v54, v2, v82
	v_and_b32_e32 v82, 0xf0f0f0f, v81
	s_delay_alu instid0(VALU_DEP_2) | instskip(SKIP_2) | instid1(VALU_DEP_2)
	v_dual_lshrrev_b32 v81, 4, v81 :: v_dual_lshlrev_b32 v55, 4, v54
	s_wait_loadcnt 0x3
	v_and_b32_e32 v56, 0xf0f0f0f, v83
	v_and_b32_e32 v81, 0xf0f0f0f, v81
	s_delay_alu instid0(VALU_DEP_3) | instskip(NEXT) | instid1(VALU_DEP_1)
	v_and_b32_e32 v55, 16, v55
	v_or_b32_e32 v55, v55, v56
	s_wait_loadcnt 0x2
	v_ashrrev_i32_e32 v56, v2, v84
	s_delay_alu instid0(VALU_DEP_1) | instskip(NEXT) | instid1(VALU_DEP_1)
	v_lshlrev_b32_e32 v57, 4, v56
	v_and_b32_e32 v57, 16, v57
	s_wait_loadcnt 0x1
	s_delay_alu instid0(VALU_DEP_1) | instskip(NEXT) | instid1(VALU_DEP_1)
	v_dual_ashrrev_i32 v76, v2, v85 :: v_dual_bitop2_b32 v57, v57, v76 bitop3:0x54
	v_lshlrev_b32_e32 v77, 4, v76
	s_delay_alu instid0(VALU_DEP_1) | instskip(NEXT) | instid1(VALU_DEP_1)
	v_and_b32_e32 v77, 16, v77
	v_or_b32_e32 v77, v77, v78
	s_wait_loadcnt 0x0
	v_ashrrev_i32_e32 v78, v2, v86
	s_delay_alu instid0(VALU_DEP_1) | instskip(NEXT) | instid1(VALU_DEP_1)
	v_lshlrev_b32_e32 v79, 4, v78
	v_and_b32_e32 v79, 16, v79
	s_delay_alu instid0(VALU_DEP_1) | instskip(SKIP_1) | instid1(VALU_DEP_2)
	v_dual_lshrrev_b32 v82, 4, v83 :: v_dual_bitop2_b32 v79, v79, v82 bitop3:0x54
	v_lshrrev_b32_e32 v83, 12, v54
	v_and_b32_e32 v82, 0xf0f0f0f, v82
	s_delay_alu instid0(VALU_DEP_2) | instskip(NEXT) | instid1(VALU_DEP_1)
	v_and_b32_e32 v83, 16, v83
	v_dual_lshrrev_b32 v83, 12, v56 :: v_dual_bitop2_b32 v82, v83, v82 bitop3:0x54
	s_delay_alu instid0(VALU_DEP_1) | instskip(NEXT) | instid1(VALU_DEP_1)
	v_and_b32_e32 v83, 16, v83
	v_dual_lshrrev_b32 v83, 12, v76 :: v_dual_bitop2_b32 v75, v83, v75 bitop3:0x54
	s_delay_alu instid0(VALU_DEP_1) | instskip(NEXT) | instid1(VALU_DEP_1)
	;; [unrolled: 3-line block ×3, first 2 shown]
	v_and_b32_e32 v83, 16, v83
	v_dual_lshlrev_b32 v83, 11, v54 :: v_dual_bitop2_b32 v81, v83, v81 bitop3:0x54
	s_delay_alu instid0(VALU_DEP_1) | instskip(NEXT) | instid1(VALU_DEP_1)
	v_and_b32_e32 v83, 0x1000, v83
	v_dual_lshlrev_b32 v83, 11, v56 :: v_dual_bitop2_b32 v55, v55, v83 bitop3:0x54
	s_delay_alu instid0(VALU_DEP_1) | instskip(NEXT) | instid1(VALU_DEP_1)
	;; [unrolled: 3-line block ×4, first 2 shown]
	v_and_b32_e32 v83, 0x1000, v83
	v_dual_lshrrev_b32 v83, 5, v54 :: v_dual_bitop2_b32 v79, v79, v83 bitop3:0x54
	s_delay_alu instid0(VALU_DEP_1) | instskip(NEXT) | instid1(VALU_DEP_1)
	v_and_b32_e32 v83, 0x1000, v83
	v_dual_lshrrev_b32 v83, 5, v56 :: v_dual_bitop2_b32 v82, v82, v83 bitop3:0x54
	s_delay_alu instid0(VALU_DEP_1) | instskip(NEXT) | instid1(VALU_DEP_1)
	v_and_b32_e32 v83, 0x1000, v83
	v_dual_lshrrev_b32 v83, 5, v76 :: v_dual_bitop2_b32 v75, v75, v83 bitop3:0x54
	s_delay_alu instid0(VALU_DEP_1) | instskip(NEXT) | instid1(VALU_DEP_1)
	v_and_b32_e32 v83, 0x1000, v83
	v_dual_lshrrev_b32 v83, 5, v78 :: v_dual_bitop2_b32 v80, v80, v83 bitop3:0x54
	s_delay_alu instid0(VALU_DEP_1) | instskip(NEXT) | instid1(VALU_DEP_1)
	v_and_b32_e32 v83, 0x1000, v83
	v_dual_lshlrev_b32 v83, 18, v54 :: v_dual_bitop2_b32 v81, v81, v83 bitop3:0x54
	s_delay_alu instid0(VALU_DEP_1) | instskip(NEXT) | instid1(VALU_DEP_1)
	v_and_b32_e32 v83, 0x100000, v83
	v_dual_lshlrev_b32 v83, 18, v56 :: v_dual_bitop2_b32 v55, v55, v83 bitop3:0x54
	s_delay_alu instid0(VALU_DEP_1) | instskip(NEXT) | instid1(VALU_DEP_1)
	;; [unrolled: 3-line block ×8, first 2 shown]
	v_and_b32_e32 v83, 0x100000, v83
	v_dual_lshlrev_b32 v83, 25, v54 :: v_dual_bitop2_b32 v81, v81, v83 bitop3:0x54
	v_lshlrev_b32_e32 v54, 9, v54
	s_delay_alu instid0(VALU_DEP_2) | instskip(NEXT) | instid1(VALU_DEP_2)
	v_and_b32_e32 v83, 0x10000000, v83
	v_and_b32_e32 v54, 0x10000000, v54
	s_delay_alu instid0(VALU_DEP_2) | instskip(NEXT) | instid1(VALU_DEP_2)
	v_dual_lshlrev_b32 v83, 25, v56 :: v_dual_bitop2_b32 v55, v55, v83 bitop3:0x54
	v_dual_lshlrev_b32 v56, 9, v56 :: v_dual_bitop2_b32 v54, v82, v54 bitop3:0x54
	s_delay_alu instid0(VALU_DEP_2) | instskip(NEXT) | instid1(VALU_DEP_2)
	v_and_b32_e32 v83, 0x10000000, v83
	v_and_b32_e32 v56, 0x10000000, v56
	s_delay_alu instid0(VALU_DEP_2) | instskip(NEXT) | instid1(VALU_DEP_2)
	v_dual_lshlrev_b32 v83, 25, v76 :: v_dual_bitop2_b32 v57, v57, v83 bitop3:0x54
	v_or_b32_e32 v56, v75, v56
	v_dual_lshlrev_b32 v75, 9, v76 :: v_dual_lshlrev_b32 v76, 9, v78
	ds_store_2addr_b32 v21, v55, v54 offset1:1
	v_and_b32_e32 v83, 0x10000000, v83
	v_mad_nc_i64_i32 v[54:55], v32, 24, v[52:53]
	v_and_b32_e32 v75, 0x10000000, v75
	v_and_b32_e32 v76, 0x10000000, v76
	s_delay_alu instid0(VALU_DEP_4) | instskip(NEXT) | instid1(VALU_DEP_3)
	v_dual_lshlrev_b32 v83, 25, v78 :: v_dual_bitop2_b32 v77, v77, v83 bitop3:0x54
	v_or_b32_e32 v75, v80, v75
	s_delay_alu instid0(VALU_DEP_3)
	v_or_b32_e32 v78, v81, v76
	ds_store_2addr_b32 v23, v57, v56 offset1:1
	v_mad_nc_i64_i32 v[56:57], v34, 24, v[52:53]
	v_and_b32_e32 v83, 0x10000000, v83
	ds_store_2addr_b32 v25, v77, v75 offset1:1
	v_mad_nc_i64_i32 v[76:77], v30, 24, v[52:53]
	v_or_b32_e32 v79, v79, v83
	ds_store_2addr_b32 v27, v79, v78 offset1:1
	v_add_nc_u64_e32 v[78:79], v[54:55], v[2:3]
	s_clause 0x1
	global_load_b32 v75, v[78:79], off offset:8
	global_load_b32 v80, v[56:57], off offset:4
	s_wait_xcnt 0x1
	v_add_nc_u64_e32 v[78:79], v[76:77], v[2:3]
	global_load_b32 v81, v[78:79], off offset:8
	s_wait_xcnt 0x0
	v_mad_nc_i64_i32 v[78:79], v28, 24, v[52:53]
	global_load_b32 v82, v[78:79], off offset:4
	s_wait_xcnt 0x0
	v_add_nc_u64_e32 v[78:79], v[78:79], v[2:3]
	s_clause 0x2
	global_load_b32 v83, v[78:79], off offset:8
	global_load_b32 v84, v[76:77], off offset:4
	;; [unrolled: 1-line block ×3, first 2 shown]
	s_wait_xcnt 0x0
	v_add_nc_u64_e32 v[54:55], v[56:57], v[2:3]
	global_load_b32 v86, v[54:55], off offset:8
	s_wait_loadcnt 0x7
	v_and_b32_e32 v78, 0xf0f0f0f, v75
	v_lshrrev_b32_e32 v75, 4, v75
	s_delay_alu instid0(VALU_DEP_1)
	v_and_b32_e32 v75, 0xf0f0f0f, v75
	s_wait_loadcnt 0x5
	v_and_b32_e32 v76, 0xf0f0f0f, v81
	s_wait_loadcnt 0x4
	s_wait_xcnt 0x0
	v_ashrrev_i32_e32 v54, v2, v82
	s_delay_alu instid0(VALU_DEP_1) | instskip(SKIP_2) | instid1(VALU_DEP_2)
	v_lshlrev_b32_e32 v55, 4, v54
	s_wait_loadcnt 0x3
	v_and_b32_e32 v56, 0xf0f0f0f, v83
	v_dual_lshrrev_b32 v79, 12, v54 :: v_dual_bitop2_b32 v55, 16, v55 bitop3:0x40
	s_delay_alu instid0(VALU_DEP_1) | instskip(SKIP_2) | instid1(VALU_DEP_1)
	v_or_b32_e32 v55, v55, v56
	s_wait_loadcnt 0x2
	v_ashrrev_i32_e32 v56, v2, v84
	v_lshlrev_b32_e32 v57, 4, v56
	s_delay_alu instid0(VALU_DEP_1) | instskip(SKIP_1) | instid1(VALU_DEP_1)
	v_and_b32_e32 v57, 16, v57
	s_wait_loadcnt 0x1
	v_dual_ashrrev_i32 v76, v2, v85 :: v_dual_bitop2_b32 v57, v57, v76 bitop3:0x54
	s_delay_alu instid0(VALU_DEP_1) | instskip(NEXT) | instid1(VALU_DEP_1)
	v_dual_lshlrev_b32 v77, 4, v76 :: v_dual_bitop2_b32 v79, 16, v79 bitop3:0x40
	v_and_b32_e32 v77, 16, v77
	s_delay_alu instid0(VALU_DEP_1) | instskip(NEXT) | instid1(VALU_DEP_1)
	v_dual_lshrrev_b32 v78, 4, v83 :: v_dual_bitop2_b32 v77, v77, v78 bitop3:0x54
	v_and_b32_e32 v78, 0xf0f0f0f, v78
	s_delay_alu instid0(VALU_DEP_1) | instskip(SKIP_1) | instid1(VALU_DEP_2)
	v_dual_lshrrev_b32 v79, 4, v81 :: v_dual_bitop2_b32 v78, v79, v78 bitop3:0x54
	v_lshrrev_b32_e32 v81, 12, v56
	v_and_b32_e32 v79, 0xf0f0f0f, v79
	s_delay_alu instid0(VALU_DEP_2) | instskip(NEXT) | instid1(VALU_DEP_1)
	v_and_b32_e32 v81, 16, v81
	v_dual_lshrrev_b32 v81, 12, v76 :: v_dual_bitop2_b32 v79, v81, v79 bitop3:0x54
	s_delay_alu instid0(VALU_DEP_1) | instskip(NEXT) | instid1(VALU_DEP_1)
	v_and_b32_e32 v81, 16, v81
	v_dual_lshlrev_b32 v81, 11, v54 :: v_dual_bitop2_b32 v75, v81, v75 bitop3:0x54
	s_delay_alu instid0(VALU_DEP_1) | instskip(NEXT) | instid1(VALU_DEP_1)
	v_and_b32_e32 v81, 0x1000, v81
	v_dual_lshlrev_b32 v81, 11, v56 :: v_dual_bitop2_b32 v55, v55, v81 bitop3:0x54
	;; [unrolled: 3-line block ×3, first 2 shown]
	s_delay_alu instid0(VALU_DEP_1) | instskip(NEXT) | instid1(VALU_DEP_1)
	v_and_b32_e32 v81, 0x1000, v81
	v_dual_lshrrev_b32 v81, 5, v54 :: v_dual_bitop2_b32 v77, v77, v81 bitop3:0x54
	s_delay_alu instid0(VALU_DEP_1) | instskip(NEXT) | instid1(VALU_DEP_1)
	v_and_b32_e32 v81, 0x1000, v81
	v_dual_lshrrev_b32 v81, 5, v56 :: v_dual_bitop2_b32 v78, v78, v81 bitop3:0x54
	;; [unrolled: 3-line block ×3, first 2 shown]
	s_delay_alu instid0(VALU_DEP_1) | instskip(NEXT) | instid1(VALU_DEP_1)
	v_and_b32_e32 v81, 0x1000, v81
	v_dual_lshlrev_b32 v81, 18, v54 :: v_dual_bitop2_b32 v75, v75, v81 bitop3:0x54
	s_delay_alu instid0(VALU_DEP_1) | instskip(NEXT) | instid1(VALU_DEP_1)
	v_and_b32_e32 v81, 0x100000, v81
	v_dual_lshlrev_b32 v81, 18, v56 :: v_dual_bitop2_b32 v55, v55, v81 bitop3:0x54
	;; [unrolled: 3-line block ×7, first 2 shown]
	v_lshlrev_b32_e32 v54, 9, v54
	s_delay_alu instid0(VALU_DEP_2) | instskip(NEXT) | instid1(VALU_DEP_2)
	v_and_b32_e32 v81, 0x10000000, v81
	v_and_b32_e32 v54, 0x10000000, v54
	s_delay_alu instid0(VALU_DEP_2) | instskip(NEXT) | instid1(VALU_DEP_2)
	v_dual_lshlrev_b32 v81, 25, v56 :: v_dual_bitop2_b32 v55, v55, v81 bitop3:0x54
	v_dual_lshlrev_b32 v56, 9, v56 :: v_dual_bitop2_b32 v54, v78, v54 bitop3:0x54
	s_delay_alu instid0(VALU_DEP_2) | instskip(NEXT) | instid1(VALU_DEP_2)
	v_and_b32_e32 v81, 0x10000000, v81
	v_and_b32_e32 v56, 0x10000000, v56
	s_delay_alu instid0(VALU_DEP_2)
	v_dual_lshlrev_b32 v81, 25, v76 :: v_dual_bitop2_b32 v57, v57, v81 bitop3:0x54
	v_lshlrev_b32_e32 v76, 9, v76
	ds_store_2addr_b32 v31, v55, v54 offset1:1
	v_mad_nc_i64_i32 v[54:55], v42, 24, v[52:53]
	v_or_b32_e32 v56, v79, v56
	v_and_b32_e32 v81, 0x10000000, v81
	v_and_b32_e32 v76, 0x10000000, v76
	ds_store_2addr_b32 v33, v57, v56 offset1:1
	v_or_b32_e32 v77, v77, v81
	v_or_b32_e32 v75, v75, v76
	v_mad_nc_i64_i32 v[56:57], v40, 24, v[52:53]
	ds_store_2addr_b32 v35, v77, v75 offset1:1
	v_add_nc_u64_e32 v[76:77], v[54:55], v[2:3]
	global_load_b32 v75, v[76:77], off offset:8
	s_wait_xcnt 0x0
	v_add_nc_u64_e32 v[76:77], v[56:57], v[2:3]
	global_load_b32 v81, v[76:77], off offset:8
	s_wait_xcnt 0x0
	v_mad_nc_i64_i32 v[76:77], v38, 24, v[52:53]
	v_mad_nc_i64_i32 v[52:53], v36, 24, v[52:53]
	s_delay_alu instid0(VALU_DEP_2)
	v_add_nc_u64_e32 v[78:79], v[76:77], v[2:3]
	s_clause 0x1
	global_load_b32 v78, v[78:79], off offset:8
	global_load_b32 v79, v[52:53], off offset:4
	s_wait_xcnt 0x0
	v_add_nc_u64_e32 v[52:53], v[52:53], v[2:3]
	s_clause 0x3
	global_load_b32 v82, v[52:53], off offset:8
	global_load_b32 v83, v[76:77], off offset:4
	;; [unrolled: 1-line block ×4, first 2 shown]
	s_wait_loadcnt 0x8
	s_wait_xcnt 0x3
	v_dual_ashrrev_i32 v52, v2, v80 :: v_dual_lshrrev_b32 v53, 4, v86
	s_wait_xcnt 0x1
	s_delay_alu instid0(VALU_DEP_1) | instskip(NEXT) | instid1(VALU_DEP_2)
	v_dual_lshlrev_b32 v55, 4, v52 :: v_dual_lshrrev_b32 v54, 12, v52
	v_and_b32_e32 v53, 0xf0f0f0f, v53
	s_delay_alu instid0(VALU_DEP_2) | instskip(NEXT) | instid1(VALU_DEP_3)
	v_and_b32_e32 v55, 16, v55
	v_and_b32_e32 v54, 16, v54
	s_delay_alu instid0(VALU_DEP_1) | instskip(SKIP_1) | instid1(VALU_DEP_1)
	v_or_b32_e32 v53, v54, v53
	v_and_b32_e32 v54, 0xf0f0f0f, v86
	v_dual_lshrrev_b32 v55, 5, v52 :: v_dual_bitop2_b32 v54, v55, v54 bitop3:0x54
	s_delay_alu instid0(VALU_DEP_1) | instskip(NEXT) | instid1(VALU_DEP_1)
	v_and_b32_e32 v55, 0x1000, v55
	v_dual_lshlrev_b32 v55, 11, v52 :: v_dual_bitop2_b32 v53, v53, v55 bitop3:0x54
	s_delay_alu instid0(VALU_DEP_1) | instskip(NEXT) | instid1(VALU_DEP_1)
	v_and_b32_e32 v55, 0x1000, v55
	v_dual_lshlrev_b32 v55, 2, v52 :: v_dual_bitop2_b32 v54, v54, v55 bitop3:0x54
	;; [unrolled: 3-line block ×4, first 2 shown]
	v_lshlrev_b32_e32 v52, 25, v52
	s_delay_alu instid0(VALU_DEP_2) | instskip(NEXT) | instid1(VALU_DEP_2)
	v_and_b32_e32 v55, 0x10000000, v55
	v_and_b32_e32 v52, 0x10000000, v52
	s_wait_loadcnt 0x3
	s_wait_xcnt 0x0
	s_delay_alu instid0(VALU_DEP_2) | instskip(SKIP_1) | instid1(VALU_DEP_2)
	v_dual_lshrrev_b32 v56, 4, v82 :: v_dual_bitop2_b32 v53, v53, v55 bitop3:0x54
	v_ashrrev_i32_e32 v55, v2, v79
	v_and_b32_e32 v56, 0xf0f0f0f, v56
	s_delay_alu instid0(VALU_DEP_2) | instskip(SKIP_1) | instid1(VALU_DEP_2)
	v_dual_lshrrev_b32 v57, 12, v55 :: v_dual_lshlrev_b32 v76, 4, v55
	v_dual_lshlrev_b32 v54, 11, v55 :: v_dual_bitop2_b32 v52, v54, v52 bitop3:0x54
	v_and_b32_e32 v57, 16, v57
	s_delay_alu instid0(VALU_DEP_3) | instskip(NEXT) | instid1(VALU_DEP_3)
	v_and_b32_e32 v76, 16, v76
	v_and_b32_e32 v54, 0x1000, v54
	s_delay_alu instid0(VALU_DEP_3) | instskip(SKIP_1) | instid1(VALU_DEP_1)
	v_or_b32_e32 v56, v57, v56
	v_and_b32_e32 v57, 0xf0f0f0f, v82
	v_dual_lshrrev_b32 v76, 5, v55 :: v_dual_bitop2_b32 v57, v76, v57 bitop3:0x54
	s_delay_alu instid0(VALU_DEP_1) | instskip(NEXT) | instid1(VALU_DEP_2)
	v_or_b32_e32 v54, v57, v54
	v_and_b32_e32 v76, 0x1000, v76
	s_delay_alu instid0(VALU_DEP_1) | instskip(NEXT) | instid1(VALU_DEP_1)
	v_dual_lshlrev_b32 v57, 2, v55 :: v_dual_bitop2_b32 v56, v56, v76 bitop3:0x54
	v_and_b32_e32 v57, 0x100000, v57
	s_delay_alu instid0(VALU_DEP_1) | instskip(NEXT) | instid1(VALU_DEP_1)
	v_dual_lshlrev_b32 v57, 18, v55 :: v_dual_bitop2_b32 v56, v56, v57 bitop3:0x54
	v_and_b32_e32 v57, 0x100000, v57
	s_delay_alu instid0(VALU_DEP_1)
	v_dual_lshlrev_b32 v57, 9, v55 :: v_dual_bitop2_b32 v54, v54, v57 bitop3:0x54
	v_lshlrev_b32_e32 v55, 25, v55
	ds_store_2addr_b32 v37, v52, v53 offset1:1
	v_mad_nc_u64_u32 v[52:53], v4, 24, s[18:19]
	s_lshl_b32 s18, s14, 5
	v_and_b32_e32 v57, 0x10000000, v57
	v_and_b32_e32 v55, 0x10000000, v55
	s_cmp_lt_i32 s18, s5
	s_delay_alu instid0(VALU_DEP_2) | instskip(NEXT) | instid1(VALU_DEP_2)
	v_or_b32_e32 v56, v56, v57
	v_or_b32_e32 v54, v54, v55
	ds_store_2addr_b32 v39, v54, v56 offset1:1
	v_mad_nc_i64_i32 v[54:55], v44, 24, v[52:53]
	global_load_b32 v56, v[54:55], off
	s_wait_xcnt 0x0
	v_mad_nc_i64_i32 v[54:55], v46, 24, v[52:53]
	global_load_b32 v57, v[54:55], off
	s_wait_xcnt 0x0
	v_mad_nc_i64_i32 v[54:55], v48, 24, v[52:53]
	v_mad_nc_i64_i32 v[52:53], v50, 24, v[52:53]
	s_clause 0x1
	global_load_b32 v54, v[54:55], off
	global_load_b32 v52, v[52:53], off
	s_wait_loadcnt 0x6
	s_wait_xcnt 0x0
	v_dual_ashrrev_i32 v53, v2, v83 :: v_dual_lshrrev_b32 v55, 4, v78
	s_delay_alu instid0(VALU_DEP_1) | instskip(NEXT) | instid1(VALU_DEP_2)
	v_lshrrev_b32_e32 v76, 12, v53
	v_and_b32_e32 v55, 0xf0f0f0f, v55
	s_delay_alu instid0(VALU_DEP_2) | instskip(NEXT) | instid1(VALU_DEP_1)
	v_dual_lshlrev_b32 v77, 4, v53 :: v_dual_bitop2_b32 v76, 16, v76 bitop3:0x40
	v_and_b32_e32 v77, 16, v77
	s_delay_alu instid0(VALU_DEP_2) | instskip(SKIP_1) | instid1(VALU_DEP_1)
	v_or_b32_e32 v55, v76, v55
	v_and_b32_e32 v76, 0xf0f0f0f, v78
	v_dual_lshrrev_b32 v78, 4, v81 :: v_dual_bitop2_b32 v76, v77, v76 bitop3:0x54
	v_lshrrev_b32_e32 v77, 5, v53
	s_delay_alu instid0(VALU_DEP_2) | instskip(NEXT) | instid1(VALU_DEP_2)
	v_and_b32_e32 v78, 0xf0f0f0f, v78
	v_and_b32_e32 v77, 0x1000, v77
	s_delay_alu instid0(VALU_DEP_1) | instskip(SKIP_1) | instid1(VALU_DEP_1)
	v_or_b32_e32 v55, v55, v77
	v_lshlrev_b32_e32 v77, 11, v53
	v_and_b32_e32 v77, 0x1000, v77
	s_delay_alu instid0(VALU_DEP_1) | instskip(SKIP_1) | instid1(VALU_DEP_1)
	v_or_b32_e32 v76, v76, v77
	v_lshlrev_b32_e32 v77, 2, v53
	;; [unrolled: 4-line block ×3, first 2 shown]
	v_and_b32_e32 v77, 0x100000, v77
	s_delay_alu instid0(VALU_DEP_1) | instskip(SKIP_1) | instid1(VALU_DEP_1)
	v_or_b32_e32 v76, v76, v77
	v_dual_lshlrev_b32 v77, 9, v53 :: v_dual_lshlrev_b32 v53, 25, v53
	v_and_b32_e32 v77, 0x10000000, v77
	s_delay_alu instid0(VALU_DEP_2) | instskip(NEXT) | instid1(VALU_DEP_2)
	v_and_b32_e32 v53, 0x10000000, v53
	v_or_b32_e32 v55, v55, v77
	s_wait_loadcnt 0x4
	v_ashrrev_i32_e32 v77, v2, v85
	s_delay_alu instid0(VALU_DEP_1) | instskip(NEXT) | instid1(VALU_DEP_1)
	v_dual_lshrrev_b32 v79, 12, v77 :: v_dual_lshlrev_b32 v80, 4, v77
	v_and_b32_e32 v79, 16, v79
	s_delay_alu instid0(VALU_DEP_2) | instskip(NEXT) | instid1(VALU_DEP_2)
	v_and_b32_e32 v80, 16, v80
	v_or_b32_e32 v78, v79, v78
	v_and_b32_e32 v79, 0xf0f0f0f, v81
	v_lshrrev_b32_e32 v81, 4, v75
	v_and_b32_e32 v75, 0xf0f0f0f, v75
	s_delay_alu instid0(VALU_DEP_3) | instskip(NEXT) | instid1(VALU_DEP_3)
	v_dual_lshrrev_b32 v80, 5, v77 :: v_dual_bitop2_b32 v79, v80, v79 bitop3:0x54
	v_and_b32_e32 v81, 0xf0f0f0f, v81
	s_delay_alu instid0(VALU_DEP_2) | instskip(NEXT) | instid1(VALU_DEP_1)
	v_and_b32_e32 v80, 0x1000, v80
	v_dual_lshlrev_b32 v80, 11, v77 :: v_dual_bitop2_b32 v78, v78, v80 bitop3:0x54
	s_delay_alu instid0(VALU_DEP_1) | instskip(NEXT) | instid1(VALU_DEP_1)
	v_and_b32_e32 v80, 0x1000, v80
	v_dual_lshlrev_b32 v80, 2, v77 :: v_dual_bitop2_b32 v79, v79, v80 bitop3:0x54
	s_delay_alu instid0(VALU_DEP_1) | instskip(NEXT) | instid1(VALU_DEP_1)
	;; [unrolled: 3-line block ×3, first 2 shown]
	v_and_b32_e32 v80, 0x100000, v80
	v_or_b32_e32 v79, v79, v80
	v_dual_ashrrev_i32 v80, v2, v84 :: v_dual_bitop2_b32 v53, v76, v53 bitop3:0x54
	v_dual_lshlrev_b32 v76, 9, v77 :: v_dual_lshlrev_b32 v77, 25, v77
	s_delay_alu instid0(VALU_DEP_2) | instskip(NEXT) | instid1(VALU_DEP_2)
	v_lshrrev_b32_e32 v82, 12, v80
	v_and_b32_e32 v76, 0x10000000, v76
	s_delay_alu instid0(VALU_DEP_3) | instskip(NEXT) | instid1(VALU_DEP_3)
	v_and_b32_e32 v77, 0x10000000, v77
	v_and_b32_e32 v82, 16, v82
	s_delay_alu instid0(VALU_DEP_3) | instskip(NEXT) | instid1(VALU_DEP_2)
	v_or_b32_e32 v76, v78, v76
	v_dual_lshlrev_b32 v78, 9, v80 :: v_dual_bitop2_b32 v81, v82, v81 bitop3:0x54
	s_delay_alu instid0(VALU_DEP_4) | instskip(SKIP_1) | instid1(VALU_DEP_3)
	v_dual_lshlrev_b32 v82, 4, v80 :: v_dual_bitop2_b32 v77, v79, v77 bitop3:0x54
	v_lshlrev_b32_e32 v79, 25, v80
	v_and_b32_e32 v78, 0x10000000, v78
	s_delay_alu instid0(VALU_DEP_3) | instskip(NEXT) | instid1(VALU_DEP_3)
	v_and_b32_e32 v82, 16, v82
	v_and_b32_e32 v79, 0x10000000, v79
	s_delay_alu instid0(VALU_DEP_2) | instskip(NEXT) | instid1(VALU_DEP_1)
	v_dual_lshrrev_b32 v82, 5, v80 :: v_dual_bitop2_b32 v75, v82, v75 bitop3:0x54
	v_and_b32_e32 v82, 0x1000, v82
	s_delay_alu instid0(VALU_DEP_1) | instskip(NEXT) | instid1(VALU_DEP_1)
	v_dual_lshlrev_b32 v82, 11, v80 :: v_dual_bitop2_b32 v81, v81, v82 bitop3:0x54
	v_and_b32_e32 v82, 0x1000, v82
	s_delay_alu instid0(VALU_DEP_1) | instskip(NEXT) | instid1(VALU_DEP_1)
	v_dual_lshlrev_b32 v82, 2, v80 :: v_dual_bitop2_b32 v75, v75, v82 bitop3:0x54
	;; [unrolled: 3-line block ×3, first 2 shown]
	v_or_b32_e32 v78, v81, v78
	s_delay_alu instid0(VALU_DEP_2) | instskip(NEXT) | instid1(VALU_DEP_1)
	v_and_b32_e32 v82, 0x100000, v82
	v_or_b32_e32 v75, v75, v82
	s_delay_alu instid0(VALU_DEP_1)
	v_or_b32_e32 v75, v75, v79
	ds_store_2addr_b32 v41, v53, v55 offset1:1
	ds_store_2addr_b32 v43, v77, v76 offset1:1
	ds_store_2addr_b32 v45, v75, v78 offset1:1
	s_wait_loadcnt 0x3
	ds_store_b32 v47, v56
	s_wait_loadcnt 0x2
	ds_store_b32 v49, v57
	;; [unrolled: 2-line block ×4, first 2 shown]
	s_cbranch_scc0 .LBB184_4
; %bb.6:                                ;   in Loop: Header=BB184_5 Depth=1
	v_add_nc_u32_e32 v52, s14, v29
	s_delay_alu instid0(VALU_DEP_1) | instskip(SKIP_1) | instid1(SALU_CYCLE_1)
	v_cmp_gt_i32_e64 s1, s6, v52
	s_and_b32 s19, s0, s1
	s_and_saveexec_b32 s1, s19
	s_cbranch_execz .LBB184_8
; %bb.7:                                ;   in Loop: Header=BB184_5 Depth=1
	v_add_nc_u32_e32 v52, v8, v52
	s_delay_alu instid0(VALU_DEP_1)
	v_mad_nc_i64_i32 v[52:53], v52, 36, v[10:11]
	global_load_b32 v52, v[52:53], off offset:4
	s_wait_loadcnt 0x0
	ds_store_b32 v61, v52
.LBB184_8:                              ;   in Loop: Header=BB184_5 Depth=1
	s_or_b32 exec_lo, exec_lo, s1
	v_add_nc_u32_e32 v52, s14, v5
	s_delay_alu instid0(VALU_DEP_1) | instskip(SKIP_1) | instid1(SALU_CYCLE_1)
	v_cmp_gt_i32_e64 s1, s6, v52
	s_and_b32 s19, s8, s1
	s_and_saveexec_b32 s1, s19
	s_cbranch_execz .LBB184_10
; %bb.9:                                ;   in Loop: Header=BB184_5 Depth=1
	v_add_nc_u32_e32 v53, v8, v52
	s_delay_alu instid0(VALU_DEP_1)
	v_mad_nc_i64_i32 v[54:55], v53, 36, s[2:3]
	global_load_b32 v53, v[54:55], off
	s_wait_loadcnt 0x0
	ds_store_b32 v62, v53
.LBB184_10:                             ;   in Loop: Header=BB184_5 Depth=1
	s_or_b32 exec_lo, exec_lo, s1
	v_dual_mov_b32 v53, v59 :: v_dual_mov_b32 v55, v60
	v_mul_u32_u24_e32 v54, 0x104, v5
	v_dual_mov_b32 v56, v71 :: v_dual_mov_b32 v57, v68
	v_dual_mov_b32 v75, v66 :: v_dual_mov_b32 v76, v64
	s_mov_b32 s1, -4
	s_wait_dscnt 0x0
	s_barrier_signal -1
	s_barrier_wait -1
.LBB184_11:                             ;   Parent Loop BB184_5 Depth=1
                                        ; =>  This Inner Loop Header: Depth=2
	ds_load_2addr_b32 v[78:79], v53 offset0:3 offset1:4
	ds_load_2addr_b32 v[80:81], v53 offset0:5 offset1:6
	ds_load_2addr_b32 v[82:83], v54 offset1:1
	ds_load_2addr_b32 v[84:85], v53 offset0:1 offset1:2
	ds_load_2addr_b32 v[86:87], v53 offset1:7
	v_add_nc_u32_e32 v77, 0x2080, v54
	v_add_nc_u32_e32 v96, 0x2088, v54
	;; [unrolled: 1-line block ×4, first 2 shown]
	ds_load_b32 v118, v56
	ds_load_b32 v119, v57
	;; [unrolled: 1-line block ×4, first 2 shown]
	v_add_nc_u32_e32 v102, 0x4100, v54
	v_add_nc_u32_e32 v104, 0x4108, v54
	;; [unrolled: 1-line block ×8, first 2 shown]
	ds_load_b32 v122, v55
	ds_load_2addr_b32 v[88:89], v54 offset0:2 offset1:3
	ds_load_2addr_b32 v[90:91], v54 offset0:4 offset1:5
	;; [unrolled: 1-line block ×3, first 2 shown]
	ds_load_2addr_b32 v[94:95], v77 offset1:1
	ds_load_2addr_b32 v[96:97], v96 offset1:1
	;; [unrolled: 1-line block ×12, first 2 shown]
	s_wait_dscnt 0x18
	v_dual_add_nc_u32 v57, 4, v57 :: v_dual_lshlrev_b32 v77, 8, v79
	v_dual_lshlrev_b32 v127, 8, v78 :: v_dual_lshlrev_b32 v129, 24, v79
	v_lshlrev_b32_e32 v130, 16, v79
	s_wait_dscnt 0x14
	v_dual_lshlrev_b32 v128, 8, v87 :: v_dual_lshlrev_b32 v131, 24, v84
	v_lshlrev_b32_e32 v132, 16, v84
	v_dual_lshlrev_b32 v133, 24, v80 :: v_dual_lshlrev_b32 v134, 16, v80
	v_dual_lshlrev_b32 v141, 24, v87 :: v_dual_lshlrev_b32 v142, 16, v87
	;; [unrolled: 1-line block ×4, first 2 shown]
	s_wait_dscnt 0xf
	v_pk_mul_f16 v118, v122, v118
	v_pk_mul_f16 v119, v122, v119
	;; [unrolled: 1-line block ×3, first 2 shown]
	v_dot4_i32_iu8 v82, v86, v82, 0 neg_lo:[1,1,0]
	v_dual_lshlrev_b32 v135, 24, v85 :: v_dual_lshlrev_b32 v136, 16, v85
	v_dual_lshlrev_b32 v137, 24, v81 :: v_dual_lshlrev_b32 v138, 16, v81
	;; [unrolled: 1-line block ×3, first 2 shown]
	v_perm_b32 v144, v81, v85, 0xc0c0703
	v_perm_b32 v145, v87, v78, 0x7030c0c
	v_pk_mul_f16 v121, v122, v121
	s_wait_dscnt 0xb
	v_dot4_i32_iu8 v94, v86, v94, 0 neg_lo:[1,1,0]
	s_wait_dscnt 0x7
	v_dot4_i32_iu8 v102, v86, v102, 0 neg_lo:[1,1,0]
	v_perm_b32 v122, v130, v129, 0xc0c0703
	v_perm_b32 v146, v79, v77, 0x7030c0c
	;; [unrolled: 1-line block ×6, first 2 shown]
	s_wait_dscnt 0x3
	v_perm_b32 v134, v86, v111, 0xc0c0501
	v_perm_b32 v153, v86, v111, 0xc0c0703
	v_perm_b32 v154, v110, v79, 0xc0c0703
	v_perm_b32 v155, v86, v111, 0xc0c0400
	v_perm_b32 v86, v86, v111, 0xc0c0602
	v_perm_b32 v111, v142, v141, 0xc0c0703
	v_perm_b32 v130, v110, v130, 0xc0c0503
	v_perm_b32 v129, v110, v129, 0xc0c0403
	v_perm_b32 v77, v110, v77, 0xc0c0603
	s_wait_dscnt 0x2
	v_perm_b32 v110, v113, v112, 0x5010c0c
	v_perm_b32 v143, v80, v84, 0x7030c0c
	;; [unrolled: 1-line block ×15, first 2 shown]
	s_wait_dscnt 0x1
	v_perm_b32 v113, v115, v114, 0xc0c0602
	s_wait_dscnt 0x0
	v_perm_b32 v124, v117, v116, 0x6020c0c
	v_perm_b32 v125, v126, v125, 0xc0c0703
	;; [unrolled: 1-line block ×7, first 2 shown]
	v_or_b32_e32 v139, v145, v144
	v_perm_b32 v141, v115, v114, 0xc0c0703
	v_perm_b32 v144, v117, v116, 0x7030c0c
	;; [unrolled: 1-line block ×6, first 2 shown]
	v_cvt_f32_f16_e32 v78, v120
	v_dual_lshrrev_b32 v120, 16, v120 :: v_dual_bitop2_b32 v122, v146, v122 bitop3:0x54
	v_or_b32_e32 v87, v87, v111
	v_or_b32_e32 v111, v132, v130
	;; [unrolled: 1-line block ×6, first 2 shown]
	v_dot4_i32_iu8 v82, v122, v83, v82 neg_lo:[1,1,0]
	v_dot4_i32_iu8 v83, v122, v95, v94 neg_lo:[1,1,0]
	;; [unrolled: 1-line block ×3, first 2 shown]
	v_or_b32_e32 v95, v117, v116
	v_dot4_i32_iu8 v102, v111, v110, 0 neg_lo:[1,1,0]
	v_dot4_i32_iu8 v77, v77, v86, 0 neg_lo:[1,1,0]
	v_dual_add_nc_u32 v55, 4, v55 :: v_dual_bitop2_b32 v80, v80, v148 bitop3:0x54
	v_dual_add_nc_u32 v56, 4, v56 :: v_dual_bitop2_b32 v85, v85, v149 bitop3:0x54
	s_delay_alu instid0(VALU_DEP_4) | instskip(SKIP_4) | instid1(VALU_DEP_4)
	v_dot4_i32_iu8 v86, v95, v114, v102 neg_lo:[1,1,0]
	v_or_b32_e32 v84, v84, v147
	v_or_b32_e32 v130, v156, v153
	;; [unrolled: 1-line block ×3, first 2 shown]
	v_dual_add_nc_u32 v53, 32, v53 :: v_dual_bitop2_b32 v81, v81, v150 bitop3:0x54
	v_dot4_i32_iu8 v82, v84, v88, v82 neg_lo:[1,1,0]
	v_dot4_i32_iu8 v83, v84, v96, v83 neg_lo:[1,1,0]
	;; [unrolled: 1-line block ×3, first 2 shown]
	v_or_b32_e32 v129, v131, v129
	v_or_b32_e32 v131, v133, v155
	v_dot4_i32_iu8 v82, v80, v89, v82 neg_lo:[1,1,0]
	v_dot4_i32_iu8 v83, v80, v97, v83 neg_lo:[1,1,0]
	;; [unrolled: 1-line block ×3, first 2 shown]
	v_or_b32_e32 v112, v124, v113
	v_or_b32_e32 v113, v126, v125
	;; [unrolled: 1-line block ×3, first 2 shown]
	v_dot4_i32_iu8 v88, v132, v130, 0 neg_lo:[1,1,0]
	v_dot4_i32_iu8 v82, v85, v90, v82 neg_lo:[1,1,0]
	;; [unrolled: 1-line block ×4, first 2 shown]
	v_cvt_f32_f16_e32 v79, v121
	v_dual_lshrrev_b32 v121, 16, v121 :: v_dual_bitop2_b32 v136, v152, v151 bitop3:0x54
	v_dual_add_nc_u32 v54, 32, v54 :: v_dual_bitop2_b32 v123, v128, v127 bitop3:0x54
	v_or_b32_e32 v124, v137, v135
	v_dot4_i32_iu8 v84, v129, v131, 0 neg_lo:[1,1,0]
	v_dot4_i32_iu8 v85, v139, v125, v88 neg_lo:[1,1,0]
	;; [unrolled: 1-line block ×7, first 2 shown]
	v_add_nc_u32_e32 v85, v86, v85
	v_dot4_i32_iu8 v82, v136, v92, v82 neg_lo:[1,1,0]
	v_dot4_i32_iu8 v83, v136, v100, v83 neg_lo:[1,1,0]
	;; [unrolled: 1-line block ×3, first 2 shown]
	v_cvt_f32_f16_e32 v81, v121
	v_add3_u32 v77, v84, v77, v85
	v_dot4_i32_iu8 v82, v87, v93, v82 neg_lo:[1,1,0]
	v_dot4_i32_iu8 v84, v87, v101, v83 neg_lo:[1,1,0]
	;; [unrolled: 1-line block ×3, first 2 shown]
	v_cvt_f32_f16_e32 v80, v120
	v_cvt_f32_i32_e32 v83, v77
	v_cvt_f32_i32_e32 v77, v82
	;; [unrolled: 1-line block ×4, first 2 shown]
	v_dual_add_nc_u32 v76, 4, v76 :: v_dual_add_nc_u32 v75, 4, v75
	s_delay_alu instid0(VALU_DEP_4) | instskip(NEXT) | instid1(VALU_DEP_4)
	v_fma_mix_f32 v77, v118, v77, v118 op_sel:[0,0,1] op_sel_hi:[1,0,1]
	v_fma_mix_f32 v84, v119, v84, v119 op_sel:[0,0,1] op_sel_hi:[1,0,1]
	s_delay_alu instid0(VALU_DEP_4) | instskip(SKIP_1) | instid1(VALU_DEP_2)
	v_pk_fma_f32 v[78:79], v[78:79], v[82:83], v[80:81]
	s_add_co_i32 s1, s1, 4
	v_dual_add_f32 v73, v73, v77 :: v_dual_add_f32 v70, v70, v84
	s_delay_alu instid0(VALU_DEP_2)
	v_pk_add_f32 v[6:7], v[6:7], v[78:79]
	s_cmp_lt_u32 s1, 12
	s_cbranch_scc1 .LBB184_11
; %bb.12:                               ;   in Loop: Header=BB184_5 Depth=1
	s_bitset1_b32 s18, 7
	s_delay_alu instid0(SALU_CYCLE_1)
	s_cmp_ge_i32 s18, s5
	s_barrier_signal -1
	s_barrier_wait -1
	s_cbranch_scc1 .LBB184_4
; %bb.13:                               ;   in Loop: Header=BB184_5 Depth=1
	v_add_nc_u32_e32 v53, s14, v63
	s_delay_alu instid0(VALU_DEP_1) | instskip(SKIP_1) | instid1(SALU_CYCLE_1)
	v_cmp_gt_i32_e64 s1, s6, v53
	s_and_b32 s18, s0, s1
	s_and_saveexec_b32 s1, s18
	s_cbranch_execz .LBB184_15
; %bb.14:                               ;   in Loop: Header=BB184_5 Depth=1
	v_add_nc_u32_e32 v53, v8, v53
	s_delay_alu instid0(VALU_DEP_1)
	v_mad_nc_i64_i32 v[54:55], v53, 36, v[10:11]
	global_load_b32 v53, v[54:55], off offset:4
	s_wait_loadcnt 0x0
	ds_store_b32 v61, v53
.LBB184_15:                             ;   in Loop: Header=BB184_5 Depth=1
	s_or_b32 exec_lo, exec_lo, s1
	s_and_saveexec_b32 s18, vcc_lo
	s_cbranch_execz .LBB184_18
; %bb.16:                               ;   in Loop: Header=BB184_5 Depth=1
	v_or_b32_e32 v53, 4, v52
	s_delay_alu instid0(VALU_DEP_1) | instskip(SKIP_1) | instid1(SALU_CYCLE_1)
	v_cmp_gt_i32_e64 s1, s6, v53
	s_and_b32 s1, s0, s1
	s_and_b32 exec_lo, exec_lo, s1
	s_cbranch_execz .LBB184_18
; %bb.17:                               ;   in Loop: Header=BB184_5 Depth=1
	v_ashrrev_i32_e32 v53, 31, v52
	s_delay_alu instid0(VALU_DEP_1) | instskip(NEXT) | instid1(VALU_DEP_1)
	v_add_nc_u64_e32 v[52:53], v[8:9], v[52:53]
	v_mad_nc_u64_u32 v[54:55], v52, 36, s[2:3]
	s_delay_alu instid0(VALU_DEP_1)
	v_mad_i32_i24 v55, v53, 36, v55
	global_load_b32 v52, v[54:55], off offset:144
	s_wait_loadcnt 0x0
	ds_store_b32 v62, v52
.LBB184_18:                             ;   in Loop: Header=BB184_5 Depth=1
	s_or_b32 exec_lo, exec_lo, s18
	v_dual_mov_b32 v52, v60 :: v_dual_mov_b32 v53, v59
	v_dual_mov_b32 v54, v74 :: v_dual_mov_b32 v55, v72
	;; [unrolled: 1-line block ×3, first 2 shown]
	v_mov_b32_e32 v75, v65
	s_mov_b32 s1, 12
	s_wait_dscnt 0x0
	s_barrier_signal -1
	s_barrier_wait -1
.LBB184_19:                             ;   Parent Loop BB184_5 Depth=1
                                        ; =>  This Inner Loop Header: Depth=2
	ds_load_2addr_b32 v[76:77], v53 offset1:7
	ds_load_2addr_b32 v[78:79], v53 offset0:3 offset1:4
	ds_load_2addr_b32 v[80:81], v53 offset0:5 offset1:6
	;; [unrolled: 1-line block ×3, first 2 shown]
	ds_load_b32 v116, v52
	ds_load_b32 v117, v55
	;; [unrolled: 1-line block ×5, first 2 shown]
	v_add_nc_u32_e32 v92, 0x2080, v54
	v_add_nc_u32_e32 v94, 0x2088, v54
	v_add_nc_u32_e32 v96, 0x2090, v54
	v_add_nc_u32_e32 v98, 0x2098, v54
	v_add_nc_u32_e32 v100, 0x4100, v54
	v_add_nc_u32_e32 v102, 0x4108, v54
	v_add_nc_u32_e32 v104, 0x4110, v54
	v_add_nc_u32_e32 v106, 0x4118, v54
	v_add_nc_u32_e32 v108, 0x6180, v54
	v_add_nc_u32_e32 v110, 0x6188, v54
	v_add_nc_u32_e32 v112, 0x6190, v54
	v_add_nc_u32_e32 v114, 0x6198, v54
	ds_load_2addr_b32 v[84:85], v54 offset1:1
	ds_load_2addr_b32 v[86:87], v54 offset0:2 offset1:3
	ds_load_2addr_b32 v[88:89], v54 offset0:4 offset1:5
	;; [unrolled: 1-line block ×3, first 2 shown]
	ds_load_2addr_b32 v[92:93], v92 offset1:1
	ds_load_2addr_b32 v[94:95], v94 offset1:1
	;; [unrolled: 1-line block ×12, first 2 shown]
	s_wait_dscnt 0x17
	v_dual_add_nc_u32 v56, 4, v56 :: v_dual_lshlrev_b32 v121, 8, v79
	v_dual_lshlrev_b32 v128, 24, v79 :: v_dual_lshlrev_b32 v129, 16, v79
	s_wait_dscnt 0x15
	v_dual_lshlrev_b32 v122, 8, v82 :: v_dual_lshlrev_b32 v123, 8, v80
	s_wait_dscnt 0x13
	v_pk_mul_f16 v117, v116, v117
	s_wait_dscnt 0x12
	v_pk_mul_f16 v118, v116, v118
	;; [unrolled: 2-line block ×3, first 2 shown]
	v_dual_lshlrev_b32 v130, 24, v82 :: v_dual_lshlrev_b32 v131, 16, v82
	s_wait_dscnt 0x10
	v_pk_mul_f16 v116, v116, v120
	v_perm_b32 v120, v129, v128, 0xc0c0703
	v_perm_b32 v145, v79, v121, 0x7030c0c
	v_dual_lshlrev_b32 v132, 24, v80 :: v_dual_lshlrev_b32 v133, 16, v80
	s_wait_dscnt 0xf
	v_dot4_i32_iu8 v84, v76, v84, 0 neg_lo:[1,1,0]
	v_perm_b32 v142, v80, v82, 0x7030c0c
	s_wait_dscnt 0xb
	v_dot4_i32_iu8 v92, v76, v92, 0 neg_lo:[1,1,0]
	s_wait_dscnt 0x7
	v_dot4_i32_iu8 v100, v76, v100, 0 neg_lo:[1,1,0]
	v_perm_b32 v146, v131, v130, 0xc0c0703
	v_perm_b32 v82, v82, v122, 0x7030c0c
	s_wait_dscnt 0x3
	v_perm_b32 v153, v76, v109, 0xc0c0501
	v_perm_b32 v155, v76, v109, 0xc0c0703
	;; [unrolled: 1-line block ×4, first 2 shown]
	v_cvt_f32_f16_e32 v76, v119
	v_dual_lshrrev_b32 v119, 16, v119 :: v_dual_bitop2_b32 v120, v145, v120 bitop3:0x54
	v_dual_lshlrev_b32 v124, 8, v83 :: v_dual_lshlrev_b32 v125, 8, v81
	v_dual_lshlrev_b32 v126, 8, v78 :: v_dual_lshlrev_b32 v127, 8, v77
	;; [unrolled: 1-line block ×6, first 2 shown]
	v_perm_b32 v147, v133, v132, 0xc0c0703
	v_perm_b32 v80, v80, v123, 0x7030c0c
	;; [unrolled: 1-line block ×4, first 2 shown]
	s_wait_dscnt 0x2
	v_perm_b32 v133, v111, v110, 0x5010c0c
	v_perm_b32 v154, v111, v110, 0x7030c0c
	;; [unrolled: 1-line block ×3, first 2 shown]
	v_dual_add_nc_u32 v55, 4, v55 :: v_dual_bitop2_b32 v82, v82, v146 bitop3:0x54
	v_dot4_i32_iu8 v84, v120, v85, v84 neg_lo:[1,1,0]
	v_dot4_i32_iu8 v85, v120, v93, v92 neg_lo:[1,1,0]
	;; [unrolled: 1-line block ×3, first 2 shown]
	v_perm_b32 v143, v81, v83, 0xc0c0703
	v_perm_b32 v144, v77, v78, 0x7030c0c
	;; [unrolled: 1-line block ×15, first 2 shown]
	s_wait_dscnt 0x1
	v_perm_b32 v111, v113, v112, 0xc0c0602
	s_wait_dscnt 0x0
	v_perm_b32 v122, v115, v114, 0x6020c0c
	v_perm_b32 v123, v125, v124, 0xc0c0703
	;; [unrolled: 1-line block ×13, first 2 shown]
	v_dual_add_nc_u32 v54, 32, v54 :: v_dual_bitop2_b32 v80, v80, v147 bitop3:0x54
	v_or_b32_e32 v129, v131, v129
	v_or_b32_e32 v131, v133, v153
	;; [unrolled: 1-line block ×4, first 2 shown]
	v_dot4_i32_iu8 v84, v82, v86, v84 neg_lo:[1,1,0]
	v_dot4_i32_iu8 v85, v82, v94, v85 neg_lo:[1,1,0]
	;; [unrolled: 1-line block ×3, first 2 shown]
	v_perm_b32 v149, v137, v136, 0xc0c0703
	v_or_b32_e32 v136, v144, v143
	v_dual_add_nc_u32 v53, 32, v53 :: v_dual_bitop2_b32 v83, v83, v148 bitop3:0x54
	v_or_b32_e32 v109, v110, v109
	v_or_b32_e32 v110, v122, v111
	;; [unrolled: 1-line block ×6, first 2 shown]
	v_dot4_i32_iu8 v100, v129, v131, 0 neg_lo:[1,1,0]
	v_dot4_i32_iu8 v79, v79, v133, 0 neg_lo:[1,1,0]
	;; [unrolled: 1-line block ×5, first 2 shown]
	v_cvt_f32_f16_e32 v77, v116
	v_lshrrev_b32_e32 v116, 16, v116
	v_or_b32_e32 v128, v130, v128
	v_or_b32_e32 v130, v132, v156
	;; [unrolled: 1-line block ×3, first 2 shown]
	v_dot4_i32_iu8 v84, v83, v88, v84 neg_lo:[1,1,0]
	v_dot4_i32_iu8 v85, v83, v96, v85 neg_lo:[1,1,0]
	;; [unrolled: 1-line block ×5, first 2 shown]
	v_or_b32_e32 v81, v81, v149
	v_dual_add_nc_u32 v52, 4, v52 :: v_dual_bitop2_b32 v78, v78, v150 bitop3:0x54
	v_or_b32_e32 v121, v126, v125
	v_or_b32_e32 v122, v134, v127
	v_dot4_i32_iu8 v86, v108, v109, 0 neg_lo:[1,1,0]
	v_dot4_i32_iu8 v82, v128, v130, 0 neg_lo:[1,1,0]
	;; [unrolled: 1-line block ×3, first 2 shown]
	v_or_b32_e32 v135, v152, v151
	v_dot4_i32_iu8 v85, v81, v97, v85 neg_lo:[1,1,0]
	v_dot4_i32_iu8 v86, v111, v110, v86 neg_lo:[1,1,0]
	;; [unrolled: 1-line block ×4, first 2 shown]
	v_add_nc_u32_e32 v82, v83, v79
	v_dot4_i32_iu8 v83, v78, v90, v84 neg_lo:[1,1,0]
	v_dot4_i32_iu8 v84, v78, v98, v85 neg_lo:[1,1,0]
	;; [unrolled: 1-line block ×3, first 2 shown]
	v_cvt_f32_f16_e32 v79, v116
	v_add3_u32 v80, v81, v86, v82
	v_dot4_i32_iu8 v82, v135, v91, v83 neg_lo:[1,1,0]
	v_dual_add_nc_u32 v75, 4, v75 :: v_dual_add_nc_u32 v57, 4, v57
	s_add_co_i32 s1, s1, 4
	s_delay_alu instid0(VALU_DEP_3) | instskip(NEXT) | instid1(VALU_DEP_3)
	v_cvt_f32_i32_e32 v81, v80
	v_cvt_f32_i32_e32 v82, v82
	s_cmp_lt_u32 s1, 28
	s_delay_alu instid0(VALU_DEP_1) | instskip(NEXT) | instid1(VALU_DEP_1)
	v_fma_mix_f32 v82, v117, v82, v117 op_sel:[0,0,1] op_sel_hi:[1,0,1]
	v_add_f32_e32 v73, v73, v82
	v_dot4_i32_iu8 v83, v135, v99, v84 neg_lo:[1,1,0]
	v_dot4_i32_iu8 v84, v135, v107, v78 neg_lo:[1,1,0]
	v_cvt_f32_f16_e32 v78, v119
	s_delay_alu instid0(VALU_DEP_3) | instskip(NEXT) | instid1(VALU_DEP_3)
	v_cvt_f32_i32_e32 v83, v83
	v_cvt_f32_i32_e32 v80, v84
	s_delay_alu instid0(VALU_DEP_2) | instskip(NEXT) | instid1(VALU_DEP_2)
	v_fma_mix_f32 v83, v118, v83, v118 op_sel:[0,0,1] op_sel_hi:[1,0,1]
	v_pk_fma_f32 v[76:77], v[76:77], v[80:81], v[78:79]
	s_delay_alu instid0(VALU_DEP_2) | instskip(NEXT) | instid1(VALU_DEP_2)
	v_add_f32_e32 v70, v70, v83
	v_pk_add_f32 v[6:7], v[6:7], v[76:77]
	s_cbranch_scc1 .LBB184_19
; %bb.20:                               ;   in Loop: Header=BB184_5 Depth=1
	s_barrier_signal -1
	s_barrier_wait -1
	s_branch .LBB184_4
.LBB184_21:
	s_mul_i32 s0, s10, s7
	s_wait_loadcnt 0x0
	v_cmp_gt_i32_e32 vcc_lo, s0, v1
	s_and_saveexec_b32 s0, vcc_lo
	s_cbranch_execz .LBB184_30
; %bb.22:
	v_mul_lo_u32 v0, v1, s9
	v_add_nc_u32_e32 v1, s11, v5
	s_mov_b32 s0, exec_lo
	s_delay_alu instid0(VALU_DEP_1)
	v_cmpx_gt_u32_e64 s9, v1
	s_cbranch_execz .LBB184_24
; %bb.23:
	s_delay_alu instid0(VALU_DEP_3)
	v_add_nc_u32_e32 v2, v0, v1
	global_store_b32 v2, v73, s[12:13] scale_offset
.LBB184_24:
	s_wait_xcnt 0x0
	s_or_b32 exec_lo, exec_lo, s0
	v_add_nc_u32_e32 v2, 32, v1
	s_mov_b32 s0, exec_lo
	s_delay_alu instid0(VALU_DEP_1)
	v_cmpx_gt_u32_e64 s9, v2
	s_cbranch_execz .LBB184_26
; %bb.25:
	v_add_nc_u32_e32 v2, v0, v2
	global_store_b32 v2, v70, s[12:13] scale_offset
.LBB184_26:
	s_wait_xcnt 0x0
	s_or_b32 exec_lo, exec_lo, s0
	v_add_nc_u32_e32 v2, 64, v1
	s_mov_b32 s0, exec_lo
	s_delay_alu instid0(VALU_DEP_1)
	v_cmpx_gt_u32_e64 s9, v2
	s_cbranch_execz .LBB184_28
; %bb.27:
	v_add_nc_u32_e32 v2, v0, v2
	global_store_b32 v2, v6, s[12:13] scale_offset
.LBB184_28:
	s_wait_xcnt 0x0
	s_or_b32 exec_lo, exec_lo, s0
	v_add_nc_u32_e32 v1, 0x60, v1
	s_delay_alu instid0(VALU_DEP_1)
	v_cmp_gt_u32_e32 vcc_lo, s9, v1
	s_and_b32 exec_lo, exec_lo, vcc_lo
	s_cbranch_execz .LBB184_30
; %bb.29:
	v_add_nc_u32_e32 v0, v0, v1
	global_store_b32 v0, v7, s[12:13] scale_offset
.LBB184_30:
	s_sendmsg sendmsg(MSG_DEALLOC_VGPRS)
	s_endpgm
	.section	.rodata,"a",@progbits
	.p2align	6, 0x0
	.amdhsa_kernel _ZL8moe_q5_1IfLb1EEvPKvS1_PT_PKiS5_S5_iiiiiii
		.amdhsa_group_segment_fixed_size 38656
		.amdhsa_private_segment_fixed_size 0
		.amdhsa_kernarg_size 76
		.amdhsa_user_sgpr_count 2
		.amdhsa_user_sgpr_dispatch_ptr 0
		.amdhsa_user_sgpr_queue_ptr 0
		.amdhsa_user_sgpr_kernarg_segment_ptr 1
		.amdhsa_user_sgpr_dispatch_id 0
		.amdhsa_user_sgpr_kernarg_preload_length 0
		.amdhsa_user_sgpr_kernarg_preload_offset 0
		.amdhsa_user_sgpr_private_segment_size 0
		.amdhsa_wavefront_size32 1
		.amdhsa_uses_dynamic_stack 0
		.amdhsa_enable_private_segment 0
		.amdhsa_system_sgpr_workgroup_id_x 1
		.amdhsa_system_sgpr_workgroup_id_y 1
		.amdhsa_system_sgpr_workgroup_id_z 0
		.amdhsa_system_sgpr_workgroup_info 0
		.amdhsa_system_vgpr_workitem_id 1
		.amdhsa_next_free_vgpr 157
		.amdhsa_next_free_sgpr 21
		.amdhsa_named_barrier_count 0
		.amdhsa_reserve_vcc 1
		.amdhsa_float_round_mode_32 0
		.amdhsa_float_round_mode_16_64 0
		.amdhsa_float_denorm_mode_32 3
		.amdhsa_float_denorm_mode_16_64 3
		.amdhsa_fp16_overflow 0
		.amdhsa_memory_ordered 1
		.amdhsa_forward_progress 1
		.amdhsa_inst_pref_size 77
		.amdhsa_round_robin_scheduling 0
		.amdhsa_exception_fp_ieee_invalid_op 0
		.amdhsa_exception_fp_denorm_src 0
		.amdhsa_exception_fp_ieee_div_zero 0
		.amdhsa_exception_fp_ieee_overflow 0
		.amdhsa_exception_fp_ieee_underflow 0
		.amdhsa_exception_fp_ieee_inexact 0
		.amdhsa_exception_int_div_zero 0
	.end_amdhsa_kernel
	.section	.text._ZL8moe_q5_1IfLb1EEvPKvS1_PT_PKiS5_S5_iiiiiii,"axG",@progbits,_ZL8moe_q5_1IfLb1EEvPKvS1_PT_PKiS5_S5_iiiiiii,comdat
.Lfunc_end184:
	.size	_ZL8moe_q5_1IfLb1EEvPKvS1_PT_PKiS5_S5_iiiiiii, .Lfunc_end184-_ZL8moe_q5_1IfLb1EEvPKvS1_PT_PKiS5_S5_iiiiiii
                                        ; -- End function
	.set _ZL8moe_q5_1IfLb1EEvPKvS1_PT_PKiS5_S5_iiiiiii.num_vgpr, 157
	.set _ZL8moe_q5_1IfLb1EEvPKvS1_PT_PKiS5_S5_iiiiiii.num_agpr, 0
	.set _ZL8moe_q5_1IfLb1EEvPKvS1_PT_PKiS5_S5_iiiiiii.numbered_sgpr, 21
	.set _ZL8moe_q5_1IfLb1EEvPKvS1_PT_PKiS5_S5_iiiiiii.num_named_barrier, 0
	.set _ZL8moe_q5_1IfLb1EEvPKvS1_PT_PKiS5_S5_iiiiiii.private_seg_size, 0
	.set _ZL8moe_q5_1IfLb1EEvPKvS1_PT_PKiS5_S5_iiiiiii.uses_vcc, 1
	.set _ZL8moe_q5_1IfLb1EEvPKvS1_PT_PKiS5_S5_iiiiiii.uses_flat_scratch, 0
	.set _ZL8moe_q5_1IfLb1EEvPKvS1_PT_PKiS5_S5_iiiiiii.has_dyn_sized_stack, 0
	.set _ZL8moe_q5_1IfLb1EEvPKvS1_PT_PKiS5_S5_iiiiiii.has_recursion, 0
	.set _ZL8moe_q5_1IfLb1EEvPKvS1_PT_PKiS5_S5_iiiiiii.has_indirect_call, 0
	.section	.AMDGPU.csdata,"",@progbits
; Kernel info:
; codeLenInByte = 9808
; TotalNumSgprs: 23
; NumVgprs: 157
; ScratchSize: 0
; MemoryBound: 0
; FloatMode: 240
; IeeeMode: 1
; LDSByteSize: 38656 bytes/workgroup (compile time only)
; SGPRBlocks: 0
; VGPRBlocks: 9
; NumSGPRsForWavesPerEU: 23
; NumVGPRsForWavesPerEU: 157
; NamedBarCnt: 0
; Occupancy: 6
; WaveLimiterHint : 1
; COMPUTE_PGM_RSRC2:SCRATCH_EN: 0
; COMPUTE_PGM_RSRC2:USER_SGPR: 2
; COMPUTE_PGM_RSRC2:TRAP_HANDLER: 0
; COMPUTE_PGM_RSRC2:TGID_X_EN: 1
; COMPUTE_PGM_RSRC2:TGID_Y_EN: 1
; COMPUTE_PGM_RSRC2:TGID_Z_EN: 0
; COMPUTE_PGM_RSRC2:TIDIG_COMP_CNT: 1
	.section	.text._ZL8moe_q8_0IfLb0EEvPKvS1_PT_PKiS5_S5_iiiiiii,"axG",@progbits,_ZL8moe_q8_0IfLb0EEvPKvS1_PT_PKiS5_S5_iiiiiii,comdat
	.globl	_ZL8moe_q8_0IfLb0EEvPKvS1_PT_PKiS5_S5_iiiiiii ; -- Begin function _ZL8moe_q8_0IfLb0EEvPKvS1_PT_PKiS5_S5_iiiiiii
	.p2align	8
	.type	_ZL8moe_q8_0IfLb0EEvPKvS1_PT_PKiS5_S5_iiiiiii,@function
_ZL8moe_q8_0IfLb0EEvPKvS1_PT_PKiS5_S5_iiiiiii: ; @_ZL8moe_q8_0IfLb0EEvPKvS1_PT_PKiS5_S5_iiiiiii
; %bb.0:
	s_load_b128 s[4:7], s[0:1], 0x18
	s_bfe_u32 s2, ttmp6, 0x40010
	s_bfe_u32 s3, ttmp6, 0x40004
	s_add_co_i32 s2, s2, 1
	s_getreg_b32 s8, hwreg(HW_REG_IB_STS2, 6, 4)
	s_mul_i32 s2, ttmp7, s2
	s_delay_alu instid0(SALU_CYCLE_1)
	s_add_co_i32 s3, s3, s2
	s_cmp_eq_u32 s8, 0
	s_cselect_b32 s2, ttmp7, s3
	s_wait_kmcnt 0x0
	s_load_b32 s14, s[6:7], s2 offset:0x0 scale_offset
	s_wait_kmcnt 0x0
	s_cmp_gt_u32 s14, 0xff
	s_cbranch_scc1 .LBB185_22
; %bb.1:
	s_load_b64 s[6:7], s[0:1], 0x28
	s_lshl_b32 s2, s2, 3
	s_wait_kmcnt 0x0
	s_load_b32 s3, s[6:7], 0x0
	s_wait_kmcnt 0x0
	s_cmp_gt_u32 s2, s3
	s_cbranch_scc1 .LBB185_22
; %bb.2:
	v_bfe_u32 v12, v0, 10, 10
	s_bfe_u32 s9, ttmp6, 0x4000c
	s_and_b32 s10, ttmp6, 15
	s_add_co_i32 s9, s9, 1
	v_and_b32_e32 v5, 0x3ff, v0
	v_dual_add_nc_u32 v1, s2, v12 :: v_dual_mov_b32 v9, 0
	s_mul_i32 s9, ttmp9, s9
	s_mov_b32 s15, 0
	s_add_co_i32 s10, s10, s9
	global_load_b32 v3, v1, s[4:5] scale_offset
	s_clause 0x2
	s_load_b64 s[12:13], s[0:1], 0x30
	s_load_b64 s[2:3], s[0:1], 0x10
	s_load_b128 s[4:7], s[0:1], 0x3c
	s_cmp_eq_u32 s8, 0
	v_dual_mov_b32 v8, v9 :: v_dual_mov_b32 v17, v9
	s_cselect_b32 s8, ttmp9, s10
	v_mov_b32_e32 v19, v9
	s_lshl_b32 s18, s8, 7
	s_wait_kmcnt 0x0
	s_cmp_lt_i32 s13, 32
	s_cbranch_scc1 .LBB185_13
; %bb.3:
	s_abs_i32 s19, s7
	s_load_b128 s[8:11], s[0:1], 0x0
	s_cvt_f32_u32 s16, s19
	s_ashr_i32 s17, s13, 31
	s_wait_loadcnt 0x0
	v_dual_lshlrev_b32 v9, 3, v12 :: v_dual_sub_nc_u32 v6, 0, v3
	v_rcp_iflag_f32_e32 v4, s16
	s_mul_i32 s16, s14, s12
	s_sub_co_i32 s14, 0, s19
	v_dual_mov_b32 v1, 0 :: v_dual_lshlrev_b32 v8, 2, v5
	v_bfe_u32 v14, v0, 2, 8
	v_dual_lshlrev_b32 v19, 4, v12 :: v_dual_bitop2_b32 v15, s7, v3 bitop3:0x14
	s_wait_xcnt 0x0
	v_readfirstlane_b32 s0, v4
	v_dual_add_nc_u32 v23, 64, v5 :: v_dual_bitop2_b32 v4, 3, v0 bitop3:0x40
	v_lshl_add_u32 v7, v12, 7, 0x4a40
	v_mad_u32_u24 v13, 0x84, v12, v8
	s_mul_f32 s1, s0, 0x4f7ffffe
	v_bfe_u32 v2, v0, 3, 7
	v_dual_add_nc_u32 v25, 32, v5 :: v_dual_bitop2_b32 v16, 31, v0 bitop3:0x40
	s_delay_alu instid0(SALU_CYCLE_1)
	s_cvt_u32_f32 s12, s1
	s_lshr_b32 s1, s17, 27
	v_and_b32_e32 v0, 28, v8
	s_add_co_i32 s1, s13, s1
	s_mul_i32 s14, s14, s12
	s_ashr_i32 s1, s1, 5
	s_mul_hi_u32 s14, s12, s14
	v_add_nc_u16 v22, v14, v9
	s_add_co_i32 s12, s12, s14
	s_lshl_b32 s14, s1, 3
	v_max_i32_e32 v17, v3, v6
	v_mul_lo_u32 v6, s1, v12
	v_add_nc_u32_e32 v9, v14, v9
	v_lshrrev_b16 v29, 1, v22
	s_ashr_i32 s20, s5, 31
	v_add_nc_u32_e32 v8, 0x4e40, v8
	v_cmp_gt_u32_e64 s0, 4, v5
	s_wait_kmcnt 0x0
	v_add_nc_u64_e32 v[40:41], s[10:11], v[0:1]
	v_and_b32_e32 v29, 0x1ffc, v29
	s_ashr_i32 s17, s16, 31
	v_mul_u32_u24_e32 v11, 0x84, v5
	s_add_nc_u64 s[8:9], s[8:9], s[16:17]
	v_add_nc_u32_e32 v10, s14, v6
	v_mul_hi_u32 v18, v17, s12
	v_lshlrev_b32_e32 v27, 2, v4
	s_lshr_b32 s12, s20, 27
	s_mul_i32 s20, s1, s18
	v_dual_add_nc_u32 v12, s14, v10 :: v_dual_ashrrev_i32 v28, 31, v15
	v_lshl_add_u32 v15, v16, 2, v7
	v_add3_u32 v33, v29, v27, 0x4200
	s_add_co_i32 s5, s5, s12
	s_delay_alu instid0(VALU_DEP_3)
	v_add_nc_u32_e32 v14, s14, v12
	s_ashr_i32 s5, s5, 5
	v_mul_lo_u32 v20, v18, s19
	s_ashr_i32 s21, s20, 31
	v_lshlrev_b32_e32 v36, 2, v2
	s_mul_u64 s[20:21], s[20:21], 34
	s_delay_alu instid0(SALU_CYCLE_1) | instskip(NEXT) | instid1(VALU_DEP_2)
	s_add_nc_u64 s[8:9], s[8:9], s[20:21]
	v_dual_sub_nc_u32 v17, v17, v20 :: v_dual_add_nc_u32 v20, 1, v18
	s_delay_alu instid0(VALU_DEP_1) | instskip(SKIP_2) | instid1(VALU_DEP_4)
	v_subrev_nc_u32_e32 v24, s19, v17
	v_cmp_le_u32_e32 vcc_lo, s19, v17
	v_add_nc_u32_e32 v16, s14, v14
	v_dual_cndmask_b32 v26, v18, v20 :: v_dual_add_nc_u32 v21, 0x60, v5
	s_delay_alu instid0(VALU_DEP_4) | instskip(NEXT) | instid1(VALU_DEP_3)
	v_cndmask_b32_e32 v17, v17, v24, vcc_lo
	v_add_nc_u32_e32 v18, s14, v16
	v_mul_lo_u32 v20, s1, v9
	s_delay_alu instid0(VALU_DEP_4) | instskip(NEXT) | instid1(VALU_DEP_3)
	v_dual_add_nc_u32 v24, 1, v26 :: v_dual_add_nc_u32 v30, 64, v9
	v_add_nc_u32_e32 v22, s14, v18
	v_cmp_le_u32_e32 vcc_lo, s19, v17
	s_delay_alu instid0(VALU_DEP_3) | instskip(NEXT) | instid1(VALU_DEP_4)
	v_dual_lshlrev_b32 v9, 4, v9 :: v_dual_lshrrev_b32 v31, 1, v30
	v_dual_lshlrev_b32 v35, 4, v30 :: v_dual_cndmask_b32 v17, v26, v24, vcc_lo
	s_delay_alu instid0(VALU_DEP_4) | instskip(SKIP_1) | instid1(VALU_DEP_4)
	v_add_nc_u32_e32 v24, s14, v22
	v_lshl_add_u32 v44, s1, 6, v20
	v_and_b32_e32 v30, 0x3ffc, v31
	v_add_nc_u32_e32 v33, v33, v9
	v_xor_b32_e32 v17, v17, v28
	v_dual_mov_b32 v9, v1 :: v_dual_add_nc_u32 v26, s14, v24
	s_delay_alu instid0(VALU_DEP_4) | instskip(NEXT) | instid1(VALU_DEP_3)
	v_add3_u32 v37, v30, v27, 0x4200
	v_dual_lshrrev_b32 v27, 1, v21 :: v_dual_sub_nc_u32 v17, v17, v28
	s_delay_alu instid0(VALU_DEP_3) | instskip(NEXT) | instid1(VALU_DEP_3)
	v_dual_add_nc_u32 v28, s14, v26 :: v_dual_lshrrev_b32 v23, 1, v23
	v_add_nc_u32_e32 v35, v37, v35
	s_delay_alu instid0(VALU_DEP_3) | instskip(NEXT) | instid1(VALU_DEP_4)
	v_and_b32_e32 v27, 0xfc, v27
	v_cmp_gt_i32_e32 vcc_lo, s4, v17
	s_delay_alu instid0(VALU_DEP_4) | instskip(SKIP_3) | instid1(VALU_DEP_4)
	v_dual_add_nc_u32 v30, s14, v28 :: v_dual_lshrrev_b32 v25, 1, v25
	v_mul_lo_u32 v21, v17, s5
	v_lshlrev_b32_e32 v17, 4, v5
	v_and_b32_e32 v29, 0xfc, v23
	v_add_nc_u32_e32 v32, s14, v30
	v_and_b32_e32 v31, 0xfc, v25
	s_and_b32 s12, s0, vcc_lo
	v_add3_u32 v23, v17, v27, 0x4800
	v_add3_u32 v25, v17, v29, 0x4600
	v_add_nc_u32_e32 v34, s14, v32
	v_add3_u32 v29, v17, v36, 0x4200
	v_add3_u32 v27, v17, v31, 0x4400
	v_add_nc_u32_e32 v31, 0x4e40, v19
	s_delay_alu instid0(VALU_DEP_4) | instskip(SKIP_1) | instid1(VALU_DEP_2)
	v_dual_mov_b32 v17, v1 :: v_dual_add_nc_u32 v36, s14, v34
	v_dual_add_nc_u32 v37, v8, v19 :: v_dual_mov_b32 v19, v1
	v_dual_mov_b32 v8, v1 :: v_dual_add_nc_u32 v38, s14, v36
	s_delay_alu instid0(VALU_DEP_1)
	v_add_nc_u32_e32 v42, s14, v38
	s_mov_b32 s14, s15
	s_branch .LBB185_5
.LBB185_4:                              ;   in Loop: Header=BB185_5 Depth=1
	s_add_co_i32 s14, s14, 4
	s_delay_alu instid0(SALU_CYCLE_1)
	s_cmp_ge_i32 s14, s1
	s_cbranch_scc1 .LBB185_13
.LBB185_5:                              ; =>This Loop Header: Depth=1
                                        ;     Child Loop BB185_11 Depth 2
	s_mul_u64 s[16:17], s[14:15], 34
	s_lshl_b32 s0, s14, 5
	s_add_nc_u64 s[16:17], s[8:9], s[16:17]
	s_cmp_ge_i32 s0, s13
	v_mad_nc_u64_u32 v[46:47], v2, 34, s[16:17]
	v_mad_nc_u64_u32 v[48:49], v4, 34, s[16:17]
	s_delay_alu instid0(VALU_DEP_2)
	v_mad_nc_u64_u32 v[50:51], v6, 34, v[46:47]
	v_mad_nc_u64_u32 v[52:53], v10, 34, v[46:47]
	;; [unrolled: 1-line block ×13, first 2 shown]
	v_add_nc_u64_e32 v[50:51], v[50:51], v[0:1]
	v_mad_nc_u64_u32 v[76:77], v36, 34, v[46:47]
	v_add_nc_u64_e32 v[52:53], v[52:53], v[0:1]
	v_mad_nc_u64_u32 v[78:79], v38, 34, v[46:47]
	;; [unrolled: 2-line block ×5, first 2 shown]
	v_add_nc_u64_e32 v[60:61], v[60:61], v[0:1]
	v_add_nc_u64_e32 v[62:63], v[62:63], v[0:1]
	;; [unrolled: 1-line block ×3, first 2 shown]
	s_clause 0x9
	global_load_b32 v39, v[50:51], off offset:2
	global_load_b32 v43, v[52:53], off offset:2
	;; [unrolled: 1-line block ×8, first 2 shown]
	global_load_u16 v87, v[80:81], off
	global_load_u16 v88, v[48:49], off
	s_wait_xcnt 0x0
	v_add_nc_u64_e32 v[48:49], v[66:67], v[0:1]
	v_add_nc_u64_e32 v[50:51], v[68:69], v[0:1]
	;; [unrolled: 1-line block ×8, first 2 shown]
	s_clause 0x7
	global_load_b32 v62, v[48:49], off offset:2
	global_load_b32 v63, v[50:51], off offset:2
	;; [unrolled: 1-line block ×8, first 2 shown]
	s_wait_xcnt 0x0
	v_add_nc_u32_e32 v46, 0x420, v13
	v_add_nc_u32_e32 v47, 0x840, v13
	v_add_nc_u32_e32 v48, 0xc60, v13
	v_add_nc_u32_e32 v49, 0x1080, v13
	v_add_nc_u32_e32 v50, 0x14a0, v13
	v_add_nc_u32_e32 v51, 0x18c0, v13
	v_add_nc_u32_e32 v52, 0x1ce0, v13
	v_add_nc_u32_e32 v53, 0x2100, v13
	v_add_nc_u32_e32 v54, 0x2520, v13
	v_add_nc_u32_e32 v55, 0x2940, v13
	v_add_nc_u32_e32 v56, 0x2d60, v13
	v_add_nc_u32_e32 v57, 0x3180, v13
	v_add_nc_u32_e32 v58, 0x35a0, v13
	v_add_nc_u32_e32 v59, 0x39c0, v13
	v_add_nc_u32_e32 v60, 0x3de0, v13
	s_wait_loadcnt 0x9
	v_cvt_f32_f16_e32 v61, v87
	s_wait_loadcnt 0x8
	v_cvt_f32_f16_e32 v70, v88
	ds_store_b32 v13, v39
	ds_store_b32 v46, v43
	;; [unrolled: 1-line block ×8, first 2 shown]
	s_wait_loadcnt 0x7
	ds_store_b32 v53, v62
	s_wait_loadcnt 0x6
	ds_store_b32 v54, v63
	;; [unrolled: 2-line block ×8, first 2 shown]
	ds_store_b32 v33, v61
	ds_store_b32 v35, v70
	s_cbranch_scc1 .LBB185_4
; %bb.6:                                ;   in Loop: Header=BB185_5 Depth=1
	v_add_nc_u32_e32 v39, s14, v2
	s_delay_alu instid0(VALU_DEP_1) | instskip(SKIP_1) | instid1(SALU_CYCLE_1)
	v_cmp_gt_i32_e64 s0, s5, v39
	s_and_b32 s16, vcc_lo, s0
	s_and_saveexec_b32 s0, s16
	s_cbranch_execz .LBB185_8
; %bb.7:                                ;   in Loop: Header=BB185_5 Depth=1
	v_add_nc_u32_e32 v39, v21, v39
	s_delay_alu instid0(VALU_DEP_1)
	v_mad_nc_i64_i32 v[46:47], v39, 36, v[40:41]
	global_load_b32 v39, v[46:47], off offset:4
	s_wait_loadcnt 0x0
	ds_store_b32 v15, v39
.LBB185_8:                              ;   in Loop: Header=BB185_5 Depth=1
	s_or_b32 exec_lo, exec_lo, s0
	v_or_b32_e32 v39, s14, v5
	s_delay_alu instid0(VALU_DEP_1) | instskip(SKIP_1) | instid1(SALU_CYCLE_1)
	v_cmp_gt_i32_e64 s0, s5, v39
	s_and_b32 s16, s12, s0
	s_and_saveexec_b32 s0, s16
	s_cbranch_execz .LBB185_10
; %bb.9:                                ;   in Loop: Header=BB185_5 Depth=1
	v_add_nc_u32_e32 v39, v21, v39
	s_delay_alu instid0(VALU_DEP_1)
	v_mad_nc_i64_i32 v[46:47], v39, 36, s[10:11]
	global_load_b32 v39, v[46:47], off
	s_wait_loadcnt 0x0
	v_cvt_f32_f16_e32 v39, v39
	ds_store_b32 v37, v39
.LBB185_10:                             ;   in Loop: Header=BB185_5 Depth=1
	s_or_b32 exec_lo, exec_lo, s0
	v_dual_mov_b32 v39, v7 :: v_dual_mov_b32 v43, v31
	v_dual_mov_b32 v45, v29 :: v_dual_mov_b32 v46, v27
	;; [unrolled: 1-line block ×3, first 2 shown]
	v_mov_b32_e32 v49, v11
	s_mov_b32 s0, -8
	s_wait_dscnt 0x0
	s_barrier_signal -1
	s_barrier_wait -1
.LBB185_11:                             ;   Parent Loop BB185_5 Depth=1
                                        ; =>  This Inner Loop Header: Depth=2
	ds_load_b32 v58, v43
	ds_load_b32 v94, v45
	ds_load_2addr_b32 v[60:61], v49 offset1:1
	ds_load_b32 v95, v46
	ds_load_b32 v62, v47
	;; [unrolled: 1-line block ×3, first 2 shown]
	ds_load_b128 v[50:53], v39
	ds_load_b128 v[54:57], v39 offset:16
	v_add_nc_u32_e32 v59, 0x1080, v49
	v_add_nc_u32_e32 v72, 0x1088, v49
	;; [unrolled: 1-line block ×12, first 2 shown]
	ds_load_2addr_b32 v[64:65], v49 offset0:2 offset1:3
	ds_load_2addr_b32 v[66:67], v49 offset0:4 offset1:5
	;; [unrolled: 1-line block ×3, first 2 shown]
	ds_load_2addr_b32 v[70:71], v59 offset1:1
	ds_load_2addr_b32 v[72:73], v72 offset1:1
	;; [unrolled: 1-line block ×12, first 2 shown]
	s_wait_dscnt 0x15
	v_dual_mul_f32 v59, v58, v94 :: v_dual_add_nc_u32 v49, 32, v49
	v_dual_add_nc_u32 v48, 4, v48 :: v_dual_add_nc_u32 v47, 4, v47
	v_add_nc_u32_e32 v46, 4, v46
	s_wait_dscnt 0x10
	v_dot4_i32_iu8 v60, v50, v60, 0 neg_lo:[1,1,0]
	v_perm_b32 v94, v50, v51, 0xc0c0501
	v_perm_b32 v96, v53, v52, 0x5010c0c
	;; [unrolled: 1-line block ×6, first 2 shown]
	s_wait_dscnt 0xb
	v_dot4_i32_iu8 v70, v50, v70, 0 neg_lo:[1,1,0]
	s_wait_dscnt 0x7
	v_dot4_i32_iu8 v50, v50, v78, 0 neg_lo:[1,1,0]
	v_add_nc_u32_e32 v45, 4, v45
	v_dot4_i32_iu8 v60, v51, v61, v60 neg_lo:[1,1,0]
	v_or_b32_e32 v61, v96, v94
	s_wait_dscnt 0x3
	v_perm_b32 v78, v86, v87, 0xc0c0501
	s_wait_dscnt 0x2
	v_perm_b32 v94, v89, v88, 0x5010c0c
	v_or_b32_e32 v96, v98, v97
	v_perm_b32 v97, v86, v87, 0xc0c0703
	v_perm_b32 v98, v89, v88, 0x7030c0c
	v_dot4_i32_iu8 v70, v51, v71, v70 neg_lo:[1,1,0]
	v_dot4_i32_iu8 v50, v51, v79, v50 neg_lo:[1,1,0]
	v_perm_b32 v100, v53, v52, 0x4000c0c
	v_perm_b32 v102, v53, v52, 0x6020c0c
	;; [unrolled: 1-line block ×10, first 2 shown]
	v_dot4_i32_iu8 v51, v52, v64, v60 neg_lo:[1,1,0]
	v_or_b32_e32 v60, v94, v78
	v_or_b32_e32 v64, v98, v97
	v_dot4_i32_iu8 v70, v52, v72, v70 neg_lo:[1,1,0]
	v_dot4_i32_iu8 v50, v52, v80, v50 neg_lo:[1,1,0]
	v_or_b32_e32 v99, v100, v99
	v_perm_b32 v100, v86, v87, 0xc0c0400
	v_dual_add_nc_u32 v43, 4, v43 :: v_dual_bitop2_b32 v101, v102, v101 bitop3:0x54
	v_perm_b32 v102, v89, v88, 0x4000c0c
	v_perm_b32 v86, v86, v87, 0xc0c0602
	;; [unrolled: 1-line block ×3, first 2 shown]
	v_or_b32_e32 v88, v104, v103
	s_wait_dscnt 0x1
	v_perm_b32 v89, v91, v90, 0xc0c0602
	s_wait_dscnt 0x0
	v_perm_b32 v103, v93, v92, 0x6020c0c
	v_dual_add_nc_u32 v39, 32, v39 :: v_dual_bitop2_b32 v104, v106, v105 bitop3:0x54
	v_perm_b32 v105, v91, v90, 0xc0c0400
	v_or_b32_e32 v107, v108, v107
	v_perm_b32 v108, v91, v90, 0xc0c0703
	v_or_b32_e32 v109, v110, v109
	v_perm_b32 v110, v93, v92, 0x7030c0c
	v_perm_b32 v90, v91, v90, 0xc0c0501
	;; [unrolled: 1-line block ×3, first 2 shown]
	v_dot4_i32_iu8 v51, v53, v65, v51 neg_lo:[1,1,0]
	v_dot4_i32_iu8 v52, v60, v61, 0 neg_lo:[1,1,0]
	;; [unrolled: 1-line block ×5, first 2 shown]
	v_perm_b32 v106, v93, v92, 0x4000c0c
	v_or_b32_e32 v71, v102, v100
	v_or_b32_e32 v78, v87, v86
	;; [unrolled: 1-line block ×5, first 2 shown]
	v_dot4_i32_iu8 v51, v54, v66, v51 neg_lo:[1,1,0]
	v_dot4_i32_iu8 v64, v54, v74, v64 neg_lo:[1,1,0]
	;; [unrolled: 1-line block ×3, first 2 shown]
	v_or_b32_e32 v86, v106, v105
	v_dot4_i32_iu8 v61, v78, v101, 0 neg_lo:[1,1,0]
	v_dot4_i32_iu8 v53, v71, v99, 0 neg_lo:[1,1,0]
	;; [unrolled: 1-line block ×9, first 2 shown]
	v_add_nc_u32_e32 v52, v52, v54
	v_dot4_i32_iu8 v51, v56, v68, v51 neg_lo:[1,1,0]
	v_dot4_i32_iu8 v54, v56, v76, v60 neg_lo:[1,1,0]
	;; [unrolled: 1-line block ×3, first 2 shown]
	v_mul_f32_e32 v55, v58, v95
	v_add3_u32 v52, v53, v61, v52
	v_dot4_i32_iu8 v56, v57, v69, v51 neg_lo:[1,1,0]
	v_dot4_i32_iu8 v54, v57, v77, v54 neg_lo:[1,1,0]
	;; [unrolled: 1-line block ×3, first 2 shown]
	v_pk_mul_f32 v[50:51], v[58:59], v[62:63] op_sel_hi:[0,1]
	v_cvt_f32_i32_e32 v53, v52
	v_cvt_f32_i32_e32 v56, v56
	;; [unrolled: 1-line block ×4, first 2 shown]
	s_add_co_i32 s0, s0, 8
	s_delay_alu instid0(VALU_DEP_3) | instskip(NEXT) | instid1(VALU_DEP_3)
	v_fmac_f32_e32 v19, v59, v56
	v_fmac_f32_e32 v17, v55, v54
	s_delay_alu instid0(VALU_DEP_3)
	v_pk_fma_f32 v[8:9], v[50:51], v[52:53], v[8:9]
	s_cmp_lt_u32 s0, 24
	s_cbranch_scc1 .LBB185_11
; %bb.12:                               ;   in Loop: Header=BB185_5 Depth=1
	s_barrier_signal -1
	s_barrier_wait -1
	s_branch .LBB185_4
.LBB185_13:
	s_mul_i32 s0, s7, s4
	s_wait_loadcnt 0x0
	v_cmp_gt_i32_e32 vcc_lo, s0, v3
	s_and_saveexec_b32 s0, vcc_lo
	s_cbranch_execz .LBB185_22
; %bb.14:
	v_mul_lo_u32 v0, v3, s6
	v_add_nc_u32_e32 v1, s18, v5
	s_mov_b32 s0, exec_lo
	s_delay_alu instid0(VALU_DEP_1)
	v_cmpx_gt_u32_e64 s6, v1
	s_cbranch_execz .LBB185_16
; %bb.15:
	s_delay_alu instid0(VALU_DEP_3)
	v_add_nc_u32_e32 v2, v0, v1
	global_store_b32 v2, v19, s[2:3] scale_offset
.LBB185_16:
	s_wait_xcnt 0x0
	s_or_b32 exec_lo, exec_lo, s0
	v_add_nc_u32_e32 v2, 32, v1
	s_mov_b32 s0, exec_lo
	s_delay_alu instid0(VALU_DEP_1)
	v_cmpx_gt_u32_e64 s6, v2
	s_cbranch_execz .LBB185_18
; %bb.17:
	v_add_nc_u32_e32 v2, v0, v2
	global_store_b32 v2, v17, s[2:3] scale_offset
.LBB185_18:
	s_wait_xcnt 0x0
	s_or_b32 exec_lo, exec_lo, s0
	v_add_nc_u32_e32 v2, 64, v1
	s_mov_b32 s0, exec_lo
	s_delay_alu instid0(VALU_DEP_1)
	v_cmpx_gt_u32_e64 s6, v2
	s_cbranch_execz .LBB185_20
; %bb.19:
	v_add_nc_u32_e32 v2, v0, v2
	global_store_b32 v2, v8, s[2:3] scale_offset
.LBB185_20:
	s_wait_xcnt 0x0
	s_or_b32 exec_lo, exec_lo, s0
	v_add_nc_u32_e32 v1, 0x60, v1
	s_delay_alu instid0(VALU_DEP_1)
	v_cmp_gt_u32_e32 vcc_lo, s6, v1
	s_and_b32 exec_lo, exec_lo, vcc_lo
	s_cbranch_execz .LBB185_22
; %bb.21:
	v_add_nc_u32_e32 v0, v0, v1
	global_store_b32 v0, v9, s[2:3] scale_offset
.LBB185_22:
	s_sendmsg sendmsg(MSG_DEALLOC_VGPRS)
	s_endpgm
	.section	.rodata,"a",@progbits
	.p2align	6, 0x0
	.amdhsa_kernel _ZL8moe_q8_0IfLb0EEvPKvS1_PT_PKiS5_S5_iiiiiii
		.amdhsa_group_segment_fixed_size 20160
		.amdhsa_private_segment_fixed_size 0
		.amdhsa_kernarg_size 76
		.amdhsa_user_sgpr_count 2
		.amdhsa_user_sgpr_dispatch_ptr 0
		.amdhsa_user_sgpr_queue_ptr 0
		.amdhsa_user_sgpr_kernarg_segment_ptr 1
		.amdhsa_user_sgpr_dispatch_id 0
		.amdhsa_user_sgpr_kernarg_preload_length 0
		.amdhsa_user_sgpr_kernarg_preload_offset 0
		.amdhsa_user_sgpr_private_segment_size 0
		.amdhsa_wavefront_size32 1
		.amdhsa_uses_dynamic_stack 0
		.amdhsa_enable_private_segment 0
		.amdhsa_system_sgpr_workgroup_id_x 1
		.amdhsa_system_sgpr_workgroup_id_y 1
		.amdhsa_system_sgpr_workgroup_id_z 0
		.amdhsa_system_sgpr_workgroup_info 0
		.amdhsa_system_vgpr_workitem_id 1
		.amdhsa_next_free_vgpr 111
		.amdhsa_next_free_sgpr 22
		.amdhsa_named_barrier_count 0
		.amdhsa_reserve_vcc 1
		.amdhsa_float_round_mode_32 0
		.amdhsa_float_round_mode_16_64 0
		.amdhsa_float_denorm_mode_32 3
		.amdhsa_float_denorm_mode_16_64 3
		.amdhsa_fp16_overflow 0
		.amdhsa_memory_ordered 1
		.amdhsa_forward_progress 1
		.amdhsa_inst_pref_size 27
		.amdhsa_round_robin_scheduling 0
		.amdhsa_exception_fp_ieee_invalid_op 0
		.amdhsa_exception_fp_denorm_src 0
		.amdhsa_exception_fp_ieee_div_zero 0
		.amdhsa_exception_fp_ieee_overflow 0
		.amdhsa_exception_fp_ieee_underflow 0
		.amdhsa_exception_fp_ieee_inexact 0
		.amdhsa_exception_int_div_zero 0
	.end_amdhsa_kernel
	.section	.text._ZL8moe_q8_0IfLb0EEvPKvS1_PT_PKiS5_S5_iiiiiii,"axG",@progbits,_ZL8moe_q8_0IfLb0EEvPKvS1_PT_PKiS5_S5_iiiiiii,comdat
.Lfunc_end185:
	.size	_ZL8moe_q8_0IfLb0EEvPKvS1_PT_PKiS5_S5_iiiiiii, .Lfunc_end185-_ZL8moe_q8_0IfLb0EEvPKvS1_PT_PKiS5_S5_iiiiiii
                                        ; -- End function
	.set _ZL8moe_q8_0IfLb0EEvPKvS1_PT_PKiS5_S5_iiiiiii.num_vgpr, 111
	.set _ZL8moe_q8_0IfLb0EEvPKvS1_PT_PKiS5_S5_iiiiiii.num_agpr, 0
	.set _ZL8moe_q8_0IfLb0EEvPKvS1_PT_PKiS5_S5_iiiiiii.numbered_sgpr, 22
	.set _ZL8moe_q8_0IfLb0EEvPKvS1_PT_PKiS5_S5_iiiiiii.num_named_barrier, 0
	.set _ZL8moe_q8_0IfLb0EEvPKvS1_PT_PKiS5_S5_iiiiiii.private_seg_size, 0
	.set _ZL8moe_q8_0IfLb0EEvPKvS1_PT_PKiS5_S5_iiiiiii.uses_vcc, 1
	.set _ZL8moe_q8_0IfLb0EEvPKvS1_PT_PKiS5_S5_iiiiiii.uses_flat_scratch, 0
	.set _ZL8moe_q8_0IfLb0EEvPKvS1_PT_PKiS5_S5_iiiiiii.has_dyn_sized_stack, 0
	.set _ZL8moe_q8_0IfLb0EEvPKvS1_PT_PKiS5_S5_iiiiiii.has_recursion, 0
	.set _ZL8moe_q8_0IfLb0EEvPKvS1_PT_PKiS5_S5_iiiiiii.has_indirect_call, 0
	.section	.AMDGPU.csdata,"",@progbits
; Kernel info:
; codeLenInByte = 3380
; TotalNumSgprs: 24
; NumVgprs: 111
; ScratchSize: 0
; MemoryBound: 0
; FloatMode: 240
; IeeeMode: 1
; LDSByteSize: 20160 bytes/workgroup (compile time only)
; SGPRBlocks: 0
; VGPRBlocks: 6
; NumSGPRsForWavesPerEU: 24
; NumVGPRsForWavesPerEU: 111
; NamedBarCnt: 0
; Occupancy: 9
; WaveLimiterHint : 1
; COMPUTE_PGM_RSRC2:SCRATCH_EN: 0
; COMPUTE_PGM_RSRC2:USER_SGPR: 2
; COMPUTE_PGM_RSRC2:TRAP_HANDLER: 0
; COMPUTE_PGM_RSRC2:TGID_X_EN: 1
; COMPUTE_PGM_RSRC2:TGID_Y_EN: 1
; COMPUTE_PGM_RSRC2:TGID_Z_EN: 0
; COMPUTE_PGM_RSRC2:TIDIG_COMP_CNT: 1
	.section	.text._ZL8moe_q8_0IfLb1EEvPKvS1_PT_PKiS5_S5_iiiiiii,"axG",@progbits,_ZL8moe_q8_0IfLb1EEvPKvS1_PT_PKiS5_S5_iiiiiii,comdat
	.globl	_ZL8moe_q8_0IfLb1EEvPKvS1_PT_PKiS5_S5_iiiiiii ; -- Begin function _ZL8moe_q8_0IfLb1EEvPKvS1_PT_PKiS5_S5_iiiiiii
	.p2align	8
	.type	_ZL8moe_q8_0IfLb1EEvPKvS1_PT_PKiS5_S5_iiiiiii,@function
_ZL8moe_q8_0IfLb1EEvPKvS1_PT_PKiS5_S5_iiiiiii: ; @_ZL8moe_q8_0IfLb1EEvPKvS1_PT_PKiS5_S5_iiiiiii
; %bb.0:
	s_load_b128 s[4:7], s[0:1], 0x18
	s_bfe_u32 s2, ttmp6, 0x40010
	s_bfe_u32 s8, ttmp6, 0x40004
	s_add_co_i32 s2, s2, 1
	s_delay_alu instid0(SALU_CYCLE_1)
	s_mul_i32 s3, ttmp7, s2
	s_getreg_b32 s2, hwreg(HW_REG_IB_STS2, 6, 4)
	s_add_co_i32 s8, s8, s3
	s_cmp_eq_u32 s2, 0
	s_cselect_b32 s3, ttmp7, s8
	s_wait_kmcnt 0x0
	s_load_b32 s14, s[6:7], s3 offset:0x0 scale_offset
	s_wait_kmcnt 0x0
	s_cmp_gt_u32 s14, 0xff
	s_cbranch_scc1 .LBB186_22
; %bb.1:
	s_load_b64 s[6:7], s[0:1], 0x28
	s_lshl_b32 s3, s3, 3
	s_wait_kmcnt 0x0
	s_load_b32 s6, s[6:7], 0x0
	s_wait_kmcnt 0x0
	s_cmp_gt_u32 s3, s6
	s_cbranch_scc1 .LBB186_22
; %bb.2:
	v_bfe_u32 v20, v0, 10, 10
	s_and_b32 s11, ttmp6, 15
	v_and_b32_e32 v3, 0x3ff, v0
	s_mov_b32 s15, 0
	s_delay_alu instid0(VALU_DEP_2) | instskip(SKIP_1) | instid1(SALU_CYCLE_1)
	v_dual_mov_b32 v19, 0 :: v_dual_add_nc_u32 v1, s3, v20
	s_bfe_u32 s3, ttmp6, 0x4000c
	s_add_co_i32 s3, s3, 1
	s_delay_alu instid0(VALU_DEP_1)
	v_dual_mov_b32 v18, v19 :: v_dual_mov_b32 v41, v19
	global_load_b32 v1, v1, s[4:5] scale_offset
	s_wait_xcnt 0x0
	s_clause 0x2
	s_load_b128 s[4:7], s[0:1], 0x30
	s_load_b64 s[12:13], s[0:1], 0x10
	s_load_b96 s[8:10], s[0:1], 0x40
	s_mul_i32 s3, ttmp9, s3
	v_mov_b32_e32 v50, v19
	s_add_co_i32 s11, s11, s3
	s_cmp_eq_u32 s2, 0
	s_cselect_b32 s2, ttmp9, s11
	s_delay_alu instid0(SALU_CYCLE_1)
	s_lshl_b32 s11, s2, 7
	s_wait_kmcnt 0x0
	s_cmp_lt_i32 s5, 32
	s_cbranch_scc1 .LBB186_13
; %bb.3:
	s_load_b128 s[0:3], s[0:1], 0x0
	s_ashr_i32 s16, s5, 31
	s_ashr_i32 s17, s8, 31
	s_mul_i32 s18, s14, s4
	s_lshr_b32 s14, s16, 27
	s_lshr_b32 s16, s17, 27
	s_ashr_i32 s19, s18, 31
	s_add_co_i32 s8, s8, s16
	s_not_b32 s4, s11
	s_add_co_i32 s14, s5, s14
	s_add_co_i32 s6, s6, s4
	s_wait_loadcnt 0x0
	v_dual_sub_nc_u32 v27, 0, v1 :: v_dual_min_i32 v7, s6, v20
	s_ashr_i32 s4, s14, 5
	v_dual_mov_b32 v5, 0 :: v_dual_lshlrev_b32 v18, 2, v3
	v_bfe_u32 v2, v0, 3, 7
	v_add_min_i32_e64 v9, v20, 8, s6
	v_add_min_i32_e64 v11, v20, 16, s6
	;; [unrolled: 1-line block ×3, first 2 shown]
	s_wait_kmcnt 0x0
	s_add_nc_u64 s[18:19], s[0:1], s[18:19]
	s_abs_i32 s0, s10
	s_ashr_i32 s1, s8, 5
	s_cvt_f32_u32 s8, s0
	s_sub_co_i32 s14, 0, s0
	v_add_min_i32_e64 v15, v20, 32, s6
	v_add_min_i32_e64 v19, v20, 40, s6
	v_rcp_iflag_f32_e32 v16, s8
	v_add_min_i32_e64 v22, v20, 48, s6
	v_add_min_i32_e64 v24, v20, 56, s6
	;; [unrolled: 1-line block ×6, first 2 shown]
	v_readfirstlane_b32 s8, v16
	v_bfe_u32 v16, v0, 2, 8
	v_add_min_i32_e64 v38, 0x60, v20, s6
	v_add_min_i32_e64 v41, 0x68, v20, s6
	;; [unrolled: 1-line block ×3, first 2 shown]
	s_mul_f32 s8, s8, 0x4f7ffffe
	v_lshl_add_u32 v16, v20, 3, v16
	v_add_min_i32_e64 v45, 0x78, v20, s6
	v_mul_lo_u32 v6, v7, s4
	s_cvt_u32_f32 s8, s8
	v_mad_u32 v7, 0x84, v7, v18
	v_add_min_i32_e64 v42, v16, 64, s6
	v_max_i32_e32 v30, v1, v27
	s_mul_i32 s14, s14, s8
	v_min_i32_e32 v40, s6, v16
	s_mul_hi_u32 s14, s8, s14
	v_ashrrev_i32_e32 v46, 31, v42
	s_add_co_i32 s8, s8, s14
	s_delay_alu instid0(VALU_DEP_2)
	v_dual_ashrrev_i32 v35, 31, v40 :: v_dual_bitop2_b32 v4, 28, v18 bitop3:0x40
	v_mul_hi_u32 v34, v30, s8
	v_mul_lo_u32 v8, v9, s4
	v_mad_u32 v9, 0x84, v9, v18
	v_mul_lo_u32 v10, v11, s4
	v_dual_lshrrev_b32 v35, 29, v35 :: v_dual_lshrrev_b32 v46, 29, v46
	v_mad_u32 v11, 0x84, v11, v18
	v_mul_lo_u32 v12, v13, s4
	v_mad_u32 v13, 0x84, v13, v18
	s_delay_alu instid0(VALU_DEP_4) | instskip(SKIP_3) | instid1(VALU_DEP_4)
	v_dual_add_nc_u32 v16, v40, v35 :: v_dual_add_nc_u32 v46, v42, v46
	v_mul_lo_u32 v43, v34, s0
	v_mul_lo_u32 v14, v15, s4
	v_mad_u32 v15, 0x84, v15, v18
	v_ashrrev_i32_e32 v47, 3, v16
	v_and_b32_e32 v16, 3, v0
	v_mad_u32 v17, 0x84, v19, v18
	v_mad_u32 v21, 0x84, v22, v18
	;; [unrolled: 1-line block ×6, first 2 shown]
	v_sub_nc_u32_e32 v30, v30, v43
	v_dual_lshlrev_b32 v43, 2, v47 :: v_dual_add_nc_u32 v47, 1, v34
	v_lshlrev_b32_e32 v48, 2, v16
	v_mad_u32 v31, 0x84, v36, v18
	s_delay_alu instid0(VALU_DEP_4)
	v_subrev_nc_u32_e32 v49, s0, v30
	v_cmp_le_u32_e32 vcc_lo, s0, v30
	v_mad_u32 v33, 0x84, v38, v18
	v_add3_u32 v50, v43, v48, 0x4200
	v_dual_ashrrev_i32 v46, 3, v46 :: v_dual_bitop2_b32 v43, s10, v1 bitop3:0x14
	v_cndmask_b32_e32 v34, v34, v47, vcc_lo
	v_dual_cndmask_b32 v30, v30, v49 :: v_dual_lshlrev_b32 v53, 4, v40
	s_delay_alu instid0(VALU_DEP_3) | instskip(NEXT) | instid1(VALU_DEP_3)
	v_dual_ashrrev_i32 v43, 31, v43 :: v_dual_lshlrev_b32 v55, 4, v42
	v_add_nc_u32_e32 v47, 1, v34
	v_lshlrev_b32_e32 v46, 2, v46
	s_delay_alu instid0(VALU_DEP_4)
	v_cmp_le_u32_e32 vcc_lo, s0, v30
	v_lshlrev_b32_e32 v49, 4, v3
	v_mad_u32 v35, 0x84, v41, v18
	v_mad_u32 v37, 0x84, v44, v18
	;; [unrolled: 1-line block ×3, first 2 shown]
	v_cndmask_b32_e32 v30, v34, v47, vcc_lo
	v_add3_u32 v34, v46, v48, 0x4200
	v_add_nc_u32_e32 v46, 0x60, v3
	v_dual_add_nc_u32 v47, 64, v3 :: v_dual_add_nc_u32 v48, 32, v3
	v_and_b32_e32 v0, 31, v0
	v_add_nc_u32_e32 v18, 0x4e40, v18
	s_delay_alu instid0(VALU_DEP_4) | instskip(NEXT) | instid1(VALU_DEP_4)
	v_dual_lshrrev_b32 v46, 1, v46 :: v_dual_bitop2_b32 v30, v30, v43 bitop3:0x14
	v_dual_lshrrev_b32 v48, 1, v48 :: v_dual_lshrrev_b32 v47, 1, v47
	v_add_nc_u32_e32 v55, v34, v55
	v_mul_lo_u32 v34, v41, s4
	s_delay_alu instid0(VALU_DEP_4)
	v_sub_nc_u32_e32 v30, v30, v43
	v_and_b32_e32 v43, 0xfc, v46
	v_and_b32_e32 v46, 0xfc, v47
	;; [unrolled: 1-line block ×3, first 2 shown]
	v_lshlrev_b32_e32 v48, 2, v2
	v_cmp_gt_i32_e32 vcc_lo, s7, v30
	v_add3_u32 v43, v49, v43, 0x4800
	v_add3_u32 v46, v49, v46, 0x4600
	;; [unrolled: 1-line block ×4, first 2 shown]
	v_lshl_add_u32 v49, v20, 7, 0x4a40
	v_lshlrev_b32_e32 v20, 4, v20
	v_mul_lo_u32 v52, v30, s1
	v_mul_lo_u32 v30, v36, s4
	;; [unrolled: 1-line block ×3, first 2 shown]
	v_lshl_add_u32 v51, v0, 2, v49
	v_add_nc_u32_e32 v54, 0x4e40, v20
	v_mul_lo_u32 v0, v19, s4
	v_mul_lo_u32 v40, v40, s4
	;; [unrolled: 1-line block ×3, first 2 shown]
	v_dual_mov_b32 v41, v5 :: v_dual_add_nc_u32 v56, v18, v20
	v_mul_lo_u32 v20, v22, s4
	v_mul_lo_u32 v22, v24, s4
	;; [unrolled: 1-line block ×7, first 2 shown]
	s_mul_i32 s16, s4, s11
	v_cmp_gt_u32_e64 s0, 4, v3
	v_add_nc_u64_e32 v[44:45], s[2:3], v[4:5]
	s_ashr_i32 s17, s16, 31
	v_dual_mov_b32 v18, v5 :: v_dual_add_nc_u32 v53, v50, v53
	v_mov_b32_e32 v19, v5
	v_mul_u32_u24_e32 v57, 0x84, v3
	v_mov_b32_e32 v50, v5
	s_mul_u64 s[16:17], s[16:17], 34
	s_and_b32 s6, s0, vcc_lo
	s_add_nc_u64 s[16:17], s[18:19], s[16:17]
	s_mov_b32 s14, s15
	s_branch .LBB186_5
.LBB186_4:                              ;   in Loop: Header=BB186_5 Depth=1
	s_add_co_i32 s14, s14, 4
	s_delay_alu instid0(SALU_CYCLE_1)
	s_cmp_ge_i32 s14, s4
	s_cbranch_scc1 .LBB186_13
.LBB186_5:                              ; =>This Loop Header: Depth=1
                                        ;     Child Loop BB186_11 Depth 2
	s_mul_u64 s[18:19], s[14:15], 34
	s_lshl_b32 s0, s14, 5
	s_add_nc_u64 s[18:19], s[16:17], s[18:19]
	s_cmp_ge_i32 s0, s5
	v_mad_nc_u64_u32 v[58:59], v2, 34, s[18:19]
	v_mad_nc_u64_u32 v[60:61], v16, 34, s[18:19]
	s_delay_alu instid0(VALU_DEP_2)
	v_mad_nc_i64_i32 v[62:63], v6, 34, v[58:59]
	v_mad_nc_i64_i32 v[64:65], v8, 34, v[58:59]
	;; [unrolled: 1-line block ×17, first 2 shown]
	v_add_nc_u64_e32 v[62:63], v[62:63], v[4:5]
	v_mad_nc_i64_i32 v[58:59], v38, 34, v[58:59]
	v_add_nc_u64_e32 v[64:65], v[64:65], v[4:5]
	v_add_nc_u64_e32 v[66:67], v[66:67], v[4:5]
	;; [unrolled: 1-line block ×7, first 2 shown]
	s_clause 0x9
	global_load_u16 v94, v[92:93], off
	global_load_u16 v95, v[60:61], off
	global_load_b32 v96, v[62:63], off offset:2
	global_load_b32 v97, v[64:65], off offset:2
	global_load_b32 v98, v[66:67], off offset:2
	global_load_b32 v99, v[68:69], off offset:2
	global_load_b32 v100, v[70:71], off offset:2
	global_load_b32 v101, v[72:73], off offset:2
	global_load_b32 v102, v[74:75], off offset:2
	global_load_b32 v103, v[76:77], off offset:2
	s_wait_xcnt 0x8
	v_add_nc_u64_e32 v[60:61], v[78:79], v[4:5]
	s_wait_xcnt 0x7
	v_add_nc_u64_e32 v[62:63], v[80:81], v[4:5]
	;; [unrolled: 2-line block ×7, first 2 shown]
	v_add_nc_u64_e32 v[58:59], v[58:59], v[4:5]
	s_clause 0x7
	global_load_b32 v74, v[60:61], off offset:2
	global_load_b32 v75, v[62:63], off offset:2
	;; [unrolled: 1-line block ×8, first 2 shown]
	s_wait_loadcnt 0x11
	s_wait_xcnt 0x0
	v_cvt_f32_f16_e32 v58, v94
	s_wait_loadcnt 0x10
	v_cvt_f32_f16_e32 v59, v95
	s_wait_loadcnt 0xf
	ds_store_b32 v7, v96
	ds_store_b32 v53, v58
	s_wait_loadcnt 0xe
	ds_store_b32 v9, v97
	s_wait_loadcnt 0xd
	;; [unrolled: 2-line block ×15, first 2 shown]
	ds_store_b32 v39, v81
	ds_store_b32 v55, v59
	s_cbranch_scc1 .LBB186_4
; %bb.6:                                ;   in Loop: Header=BB186_5 Depth=1
	v_add_nc_u32_e32 v58, s14, v2
	s_delay_alu instid0(VALU_DEP_1) | instskip(SKIP_1) | instid1(SALU_CYCLE_1)
	v_cmp_gt_i32_e64 s0, s1, v58
	s_and_b32 s8, vcc_lo, s0
	s_and_saveexec_b32 s0, s8
	s_cbranch_execz .LBB186_8
; %bb.7:                                ;   in Loop: Header=BB186_5 Depth=1
	v_add_nc_u32_e32 v58, v52, v58
	s_delay_alu instid0(VALU_DEP_1)
	v_mad_nc_i64_i32 v[58:59], v58, 36, v[44:45]
	global_load_b32 v58, v[58:59], off offset:4
	s_wait_loadcnt 0x0
	ds_store_b32 v51, v58
.LBB186_8:                              ;   in Loop: Header=BB186_5 Depth=1
	s_or_b32 exec_lo, exec_lo, s0
	v_or_b32_e32 v58, s14, v3
	s_delay_alu instid0(VALU_DEP_1) | instskip(SKIP_1) | instid1(SALU_CYCLE_1)
	v_cmp_gt_i32_e64 s0, s1, v58
	s_and_b32 s8, s6, s0
	s_and_saveexec_b32 s0, s8
	s_cbranch_execz .LBB186_10
; %bb.9:                                ;   in Loop: Header=BB186_5 Depth=1
	v_add_nc_u32_e32 v58, v52, v58
	s_delay_alu instid0(VALU_DEP_1)
	v_mad_nc_i64_i32 v[58:59], v58, 36, s[2:3]
	global_load_b32 v58, v[58:59], off
	s_wait_loadcnt 0x0
	v_cvt_f32_f16_e32 v58, v58
	ds_store_b32 v56, v58
.LBB186_10:                             ;   in Loop: Header=BB186_5 Depth=1
	s_or_b32 exec_lo, exec_lo, s0
	v_dual_mov_b32 v58, v49 :: v_dual_mov_b32 v59, v54
	v_dual_mov_b32 v60, v48 :: v_dual_mov_b32 v61, v47
	;; [unrolled: 1-line block ×3, first 2 shown]
	v_mov_b32_e32 v64, v57
	s_mov_b32 s0, -8
	s_wait_dscnt 0x0
	s_barrier_signal -1
	s_barrier_wait -1
.LBB186_11:                             ;   Parent Loop BB186_5 Depth=1
                                        ; =>  This Inner Loop Header: Depth=2
	ds_load_b32 v74, v59
	ds_load_b32 v110, v60
	ds_load_2addr_b32 v[76:77], v64 offset1:1
	ds_load_b32 v111, v61
	ds_load_b32 v78, v62
	;; [unrolled: 1-line block ×3, first 2 shown]
	ds_load_b128 v[66:69], v58
	ds_load_b128 v[70:73], v58 offset:16
	v_add_nc_u32_e32 v65, 0x1080, v64
	v_add_nc_u32_e32 v75, 0x1088, v64
	;; [unrolled: 1-line block ×12, first 2 shown]
	ds_load_2addr_b32 v[80:81], v64 offset0:2 offset1:3
	ds_load_2addr_b32 v[82:83], v64 offset0:4 offset1:5
	;; [unrolled: 1-line block ×3, first 2 shown]
	ds_load_2addr_b32 v[86:87], v65 offset1:1
	ds_load_2addr_b32 v[88:89], v75 offset1:1
	ds_load_2addr_b32 v[90:91], v90 offset1:1
	ds_load_2addr_b32 v[92:93], v92 offset1:1
	ds_load_2addr_b32 v[94:95], v94 offset1:1
	ds_load_2addr_b32 v[96:97], v96 offset1:1
	ds_load_2addr_b32 v[98:99], v98 offset1:1
	ds_load_2addr_b32 v[100:101], v100 offset1:1
	ds_load_2addr_b32 v[102:103], v102 offset1:1
	ds_load_2addr_b32 v[104:105], v104 offset1:1
	ds_load_2addr_b32 v[106:107], v106 offset1:1
	ds_load_2addr_b32 v[108:109], v108 offset1:1
	s_wait_dscnt 0x15
	v_dual_mul_f32 v65, v74, v110 :: v_dual_add_nc_u32 v64, 32, v64
	v_dual_add_nc_u32 v63, 4, v63 :: v_dual_add_nc_u32 v62, 4, v62
	v_add_nc_u32_e32 v61, 4, v61
	s_wait_dscnt 0x10
	v_dot4_i32_iu8 v75, v66, v76, 0 neg_lo:[1,1,0]
	v_perm_b32 v76, v66, v67, 0xc0c0501
	v_perm_b32 v110, v69, v68, 0x5010c0c
	;; [unrolled: 1-line block ×6, first 2 shown]
	s_wait_dscnt 0xb
	v_dot4_i32_iu8 v86, v66, v86, 0 neg_lo:[1,1,0]
	s_wait_dscnt 0x7
	v_dot4_i32_iu8 v66, v66, v94, 0 neg_lo:[1,1,0]
	v_dot4_i32_iu8 v75, v67, v77, v75 neg_lo:[1,1,0]
	v_or_b32_e32 v76, v110, v76
	s_wait_dscnt 0x3
	v_perm_b32 v77, v102, v103, 0xc0c0501
	s_wait_dscnt 0x2
	v_perm_b32 v94, v105, v104, 0x5010c0c
	v_dual_add_nc_u32 v59, 4, v59 :: v_dual_bitop2_b32 v110, v113, v112 bitop3:0x54
	v_perm_b32 v112, v102, v103, 0xc0c0703
	v_perm_b32 v113, v105, v104, 0x7030c0c
	v_dot4_i32_iu8 v86, v67, v87, v86 neg_lo:[1,1,0]
	v_dot4_i32_iu8 v66, v67, v95, v66 neg_lo:[1,1,0]
	v_dot4_i32_iu8 v67, v68, v80, v75 neg_lo:[1,1,0]
	v_perm_b32 v115, v69, v68, 0x4000c0c
	v_perm_b32 v117, v69, v68, 0x6020c0c
	;; [unrolled: 1-line block ×10, first 2 shown]
	v_or_b32_e32 v75, v94, v77
	v_or_b32_e32 v77, v113, v112
	v_dot4_i32_iu8 v86, v68, v88, v86 neg_lo:[1,1,0]
	v_dot4_i32_iu8 v66, v68, v96, v66 neg_lo:[1,1,0]
	;; [unrolled: 1-line block ×3, first 2 shown]
	v_dual_add_nc_u32 v60, 4, v60 :: v_dual_bitop2_b32 v114, v115, v114 bitop3:0x54
	v_perm_b32 v115, v102, v103, 0xc0c0400
	v_dual_add_nc_u32 v58, 32, v58 :: v_dual_bitop2_b32 v116, v117, v116 bitop3:0x54
	v_perm_b32 v117, v105, v104, 0x4000c0c
	v_perm_b32 v102, v102, v103, 0xc0c0602
	;; [unrolled: 1-line block ×3, first 2 shown]
	v_or_b32_e32 v104, v119, v118
	s_wait_dscnt 0x1
	v_perm_b32 v105, v107, v106, 0xc0c0602
	v_or_b32_e32 v119, v121, v120
	v_perm_b32 v120, v107, v106, 0xc0c0400
	v_or_b32_e32 v122, v123, v122
	v_perm_b32 v123, v107, v106, 0xc0c0703
	v_or_b32_e32 v124, v125, v124
	s_wait_dscnt 0x0
	v_perm_b32 v125, v109, v108, 0x7030c0c
	v_perm_b32 v106, v107, v106, 0xc0c0501
	;; [unrolled: 1-line block ×3, first 2 shown]
	v_dot4_i32_iu8 v68, v75, v76, 0 neg_lo:[1,1,0]
	v_dot4_i32_iu8 v75, v77, v110, 0 neg_lo:[1,1,0]
	;; [unrolled: 1-line block ×5, first 2 shown]
	v_or_b32_e32 v87, v103, v102
	v_or_b32_e32 v102, v125, v123
	;; [unrolled: 1-line block ×3, first 2 shown]
	v_dot4_i32_iu8 v77, v70, v90, v77 neg_lo:[1,1,0]
	v_dot4_i32_iu8 v66, v70, v98, v66 neg_lo:[1,1,0]
	;; [unrolled: 1-line block ×8, first 2 shown]
	v_perm_b32 v118, v109, v108, 0x6020c0c
	v_perm_b32 v121, v109, v108, 0x4000c0c
	v_dual_add_nc_u32 v68, v68, v70 :: v_dual_bitop2_b32 v80, v117, v115 bitop3:0x54
	v_dot4_i32_iu8 v70, v72, v92, v75 neg_lo:[1,1,0]
	v_dot4_i32_iu8 v66, v72, v100, v66 neg_lo:[1,1,0]
	;; [unrolled: 1-line block ×3, first 2 shown]
	v_or_b32_e32 v94, v118, v105
	v_or_b32_e32 v95, v121, v120
	v_dot4_i32_iu8 v76, v87, v116, 0 neg_lo:[1,1,0]
	v_dot4_i32_iu8 v69, v80, v114, 0 neg_lo:[1,1,0]
	v_cvt_f32_i32_e32 v72, v72
	v_dot4_i32_iu8 v70, v73, v93, v70 neg_lo:[1,1,0]
	v_dot4_i32_iu8 v73, v73, v101, v66 neg_lo:[1,1,0]
	v_mul_f32_e32 v71, v74, v111
	v_dot4_i32_iu8 v69, v95, v119, v69 neg_lo:[1,1,0]
	v_fmac_f32_e32 v50, v65, v72
	v_dot4_i32_iu8 v76, v94, v104, v76 neg_lo:[1,1,0]
	v_pk_mul_f32 v[66:67], v[74:75], v[78:79] op_sel_hi:[0,1]
	v_cvt_f32_i32_e32 v70, v70
	s_add_co_i32 s0, s0, 8
	s_delay_alu instid0(VALU_DEP_3) | instskip(SKIP_1) | instid1(VALU_DEP_2)
	v_add3_u32 v68, v69, v76, v68
	s_cmp_lt_u32 s0, 24
	v_fmac_f32_e32 v41, v71, v70
	s_delay_alu instid0(VALU_DEP_2) | instskip(SKIP_1) | instid1(VALU_DEP_1)
	v_cvt_f32_i32_e32 v69, v68
	v_cvt_f32_i32_e32 v68, v73
	v_pk_fma_f32 v[18:19], v[66:67], v[68:69], v[18:19]
	s_cbranch_scc1 .LBB186_11
; %bb.12:                               ;   in Loop: Header=BB186_5 Depth=1
	s_barrier_signal -1
	s_barrier_wait -1
	s_branch .LBB186_4
.LBB186_13:
	s_mul_i32 s0, s10, s7
	s_wait_loadcnt 0x0
	v_cmp_gt_i32_e32 vcc_lo, s0, v1
	s_and_saveexec_b32 s0, vcc_lo
	s_cbranch_execz .LBB186_22
; %bb.14:
	v_mul_lo_u32 v0, v1, s9
	v_add_nc_u32_e32 v1, s11, v3
	s_mov_b32 s0, exec_lo
	s_delay_alu instid0(VALU_DEP_1)
	v_cmpx_gt_u32_e64 s9, v1
	s_cbranch_execz .LBB186_16
; %bb.15:
	s_delay_alu instid0(VALU_DEP_3)
	v_add_nc_u32_e32 v2, v0, v1
	global_store_b32 v2, v50, s[12:13] scale_offset
.LBB186_16:
	s_wait_xcnt 0x0
	s_or_b32 exec_lo, exec_lo, s0
	v_add_nc_u32_e32 v2, 32, v1
	s_mov_b32 s0, exec_lo
	s_delay_alu instid0(VALU_DEP_1)
	v_cmpx_gt_u32_e64 s9, v2
	s_cbranch_execz .LBB186_18
; %bb.17:
	v_add_nc_u32_e32 v2, v0, v2
	global_store_b32 v2, v41, s[12:13] scale_offset
.LBB186_18:
	s_wait_xcnt 0x0
	s_or_b32 exec_lo, exec_lo, s0
	v_add_nc_u32_e32 v2, 64, v1
	s_mov_b32 s0, exec_lo
	s_delay_alu instid0(VALU_DEP_1)
	v_cmpx_gt_u32_e64 s9, v2
	s_cbranch_execz .LBB186_20
; %bb.19:
	v_add_nc_u32_e32 v2, v0, v2
	global_store_b32 v2, v18, s[12:13] scale_offset
.LBB186_20:
	s_wait_xcnt 0x0
	s_or_b32 exec_lo, exec_lo, s0
	v_add_nc_u32_e32 v1, 0x60, v1
	s_delay_alu instid0(VALU_DEP_1)
	v_cmp_gt_u32_e32 vcc_lo, s9, v1
	s_and_b32 exec_lo, exec_lo, vcc_lo
	s_cbranch_execz .LBB186_22
; %bb.21:
	v_add_nc_u32_e32 v0, v0, v1
	global_store_b32 v0, v19, s[12:13] scale_offset
.LBB186_22:
	s_sendmsg sendmsg(MSG_DEALLOC_VGPRS)
	s_endpgm
	.section	.rodata,"a",@progbits
	.p2align	6, 0x0
	.amdhsa_kernel _ZL8moe_q8_0IfLb1EEvPKvS1_PT_PKiS5_S5_iiiiiii
		.amdhsa_group_segment_fixed_size 20160
		.amdhsa_private_segment_fixed_size 0
		.amdhsa_kernarg_size 76
		.amdhsa_user_sgpr_count 2
		.amdhsa_user_sgpr_dispatch_ptr 0
		.amdhsa_user_sgpr_queue_ptr 0
		.amdhsa_user_sgpr_kernarg_segment_ptr 1
		.amdhsa_user_sgpr_dispatch_id 0
		.amdhsa_user_sgpr_kernarg_preload_length 0
		.amdhsa_user_sgpr_kernarg_preload_offset 0
		.amdhsa_user_sgpr_private_segment_size 0
		.amdhsa_wavefront_size32 1
		.amdhsa_uses_dynamic_stack 0
		.amdhsa_enable_private_segment 0
		.amdhsa_system_sgpr_workgroup_id_x 1
		.amdhsa_system_sgpr_workgroup_id_y 1
		.amdhsa_system_sgpr_workgroup_id_z 0
		.amdhsa_system_sgpr_workgroup_info 0
		.amdhsa_system_vgpr_workitem_id 1
		.amdhsa_next_free_vgpr 126
		.amdhsa_next_free_sgpr 20
		.amdhsa_named_barrier_count 0
		.amdhsa_reserve_vcc 1
		.amdhsa_float_round_mode_32 0
		.amdhsa_float_round_mode_16_64 0
		.amdhsa_float_denorm_mode_32 3
		.amdhsa_float_denorm_mode_16_64 3
		.amdhsa_fp16_overflow 0
		.amdhsa_memory_ordered 1
		.amdhsa_forward_progress 1
		.amdhsa_inst_pref_size 29
		.amdhsa_round_robin_scheduling 0
		.amdhsa_exception_fp_ieee_invalid_op 0
		.amdhsa_exception_fp_denorm_src 0
		.amdhsa_exception_fp_ieee_div_zero 0
		.amdhsa_exception_fp_ieee_overflow 0
		.amdhsa_exception_fp_ieee_underflow 0
		.amdhsa_exception_fp_ieee_inexact 0
		.amdhsa_exception_int_div_zero 0
	.end_amdhsa_kernel
	.section	.text._ZL8moe_q8_0IfLb1EEvPKvS1_PT_PKiS5_S5_iiiiiii,"axG",@progbits,_ZL8moe_q8_0IfLb1EEvPKvS1_PT_PKiS5_S5_iiiiiii,comdat
.Lfunc_end186:
	.size	_ZL8moe_q8_0IfLb1EEvPKvS1_PT_PKiS5_S5_iiiiiii, .Lfunc_end186-_ZL8moe_q8_0IfLb1EEvPKvS1_PT_PKiS5_S5_iiiiiii
                                        ; -- End function
	.set _ZL8moe_q8_0IfLb1EEvPKvS1_PT_PKiS5_S5_iiiiiii.num_vgpr, 126
	.set _ZL8moe_q8_0IfLb1EEvPKvS1_PT_PKiS5_S5_iiiiiii.num_agpr, 0
	.set _ZL8moe_q8_0IfLb1EEvPKvS1_PT_PKiS5_S5_iiiiiii.numbered_sgpr, 20
	.set _ZL8moe_q8_0IfLb1EEvPKvS1_PT_PKiS5_S5_iiiiiii.num_named_barrier, 0
	.set _ZL8moe_q8_0IfLb1EEvPKvS1_PT_PKiS5_S5_iiiiiii.private_seg_size, 0
	.set _ZL8moe_q8_0IfLb1EEvPKvS1_PT_PKiS5_S5_iiiiiii.uses_vcc, 1
	.set _ZL8moe_q8_0IfLb1EEvPKvS1_PT_PKiS5_S5_iiiiiii.uses_flat_scratch, 0
	.set _ZL8moe_q8_0IfLb1EEvPKvS1_PT_PKiS5_S5_iiiiiii.has_dyn_sized_stack, 0
	.set _ZL8moe_q8_0IfLb1EEvPKvS1_PT_PKiS5_S5_iiiiiii.has_recursion, 0
	.set _ZL8moe_q8_0IfLb1EEvPKvS1_PT_PKiS5_S5_iiiiiii.has_indirect_call, 0
	.section	.AMDGPU.csdata,"",@progbits
; Kernel info:
; codeLenInByte = 3692
; TotalNumSgprs: 22
; NumVgprs: 126
; ScratchSize: 0
; MemoryBound: 0
; FloatMode: 240
; IeeeMode: 1
; LDSByteSize: 20160 bytes/workgroup (compile time only)
; SGPRBlocks: 0
; VGPRBlocks: 7
; NumSGPRsForWavesPerEU: 22
; NumVGPRsForWavesPerEU: 126
; NamedBarCnt: 0
; Occupancy: 8
; WaveLimiterHint : 1
; COMPUTE_PGM_RSRC2:SCRATCH_EN: 0
; COMPUTE_PGM_RSRC2:USER_SGPR: 2
; COMPUTE_PGM_RSRC2:TRAP_HANDLER: 0
; COMPUTE_PGM_RSRC2:TGID_X_EN: 1
; COMPUTE_PGM_RSRC2:TGID_Y_EN: 1
; COMPUTE_PGM_RSRC2:TGID_Z_EN: 0
; COMPUTE_PGM_RSRC2:TIDIG_COMP_CNT: 1
	.section	.text._ZL8moe_q2_KIfLb0EEvPKvS1_PT_PKiS5_S5_iiiiiii,"axG",@progbits,_ZL8moe_q2_KIfLb0EEvPKvS1_PT_PKiS5_S5_iiiiiii,comdat
	.globl	_ZL8moe_q2_KIfLb0EEvPKvS1_PT_PKiS5_S5_iiiiiii ; -- Begin function _ZL8moe_q2_KIfLb0EEvPKvS1_PT_PKiS5_S5_iiiiiii
	.p2align	8
	.type	_ZL8moe_q2_KIfLb0EEvPKvS1_PT_PKiS5_S5_iiiiiii,@function
_ZL8moe_q2_KIfLb0EEvPKvS1_PT_PKiS5_S5_iiiiiii: ; @_ZL8moe_q2_KIfLb0EEvPKvS1_PT_PKiS5_S5_iiiiiii
; %bb.0:
	s_load_b128 s[4:7], s[0:1], 0x18
	s_bfe_u32 s2, ttmp6, 0x40010
	s_bfe_u32 s8, ttmp6, 0x40004
	s_add_co_i32 s2, s2, 1
	s_delay_alu instid0(SALU_CYCLE_1)
	s_mul_i32 s3, ttmp7, s2
	s_getreg_b32 s2, hwreg(HW_REG_IB_STS2, 6, 4)
	s_add_co_i32 s8, s8, s3
	s_cmp_eq_u32 s2, 0
	s_cselect_b32 s3, ttmp7, s8
	s_wait_kmcnt 0x0
	s_load_b32 s12, s[6:7], s3 offset:0x0 scale_offset
	s_wait_kmcnt 0x0
	s_cmp_gt_u32 s12, 0xff
	s_cbranch_scc1 .LBB187_47
; %bb.1:
	s_load_b64 s[6:7], s[0:1], 0x28
	s_lshl_b32 s3, s3, 3
	s_wait_kmcnt 0x0
	s_load_b32 s6, s[6:7], 0x0
	s_wait_kmcnt 0x0
	s_cmp_gt_u32 s3, s6
	s_cbranch_scc1 .LBB187_47
; %bb.2:
	v_bfe_u32 v1, v0, 10, 10
	s_and_b32 s13, ttmp6, 15
	v_and_b32_e32 v13, 0x3ff, v0
	s_delay_alu instid0(VALU_DEP_2) | instskip(SKIP_1) | instid1(SALU_CYCLE_1)
	v_add_nc_u32_e32 v2, s3, v1
	s_bfe_u32 s3, ttmp6, 0x4000c
	s_add_co_i32 s3, s3, 1
	s_delay_alu instid0(SALU_CYCLE_1)
	s_mul_i32 s3, ttmp9, s3
	global_load_b32 v9, v2, s[4:5] scale_offset
	s_clause 0x2
	s_load_b64 s[10:11], s[0:1], 0x30
	s_load_b64 s[8:9], s[0:1], 0x10
	s_load_b128 s[4:7], s[0:1], 0x3c
	s_add_co_i32 s13, s13, s3
	s_cmp_eq_u32 s2, 0
	s_cselect_b32 s2, ttmp9, s13
	s_mov_b32 s13, 0
	s_lshl_b32 s18, s2, 7
	s_wait_kmcnt 0x0
	s_cmp_lt_i32 s11, 0x100
	s_cbranch_scc1 .LBB187_37
; %bb.3:
	s_load_b128 s[0:3], s[0:1], 0x0
	s_mul_i32 s16, s12, s10
	s_wait_loadcnt 0x0
	v_dual_sub_nc_u32 v7, 0, v9 :: v_dual_bitop2_b32 v64, 7, v0 bitop3:0x40
	s_ashr_i32 s17, s16, 31
	v_dual_mov_b32 v11, 0 :: v_dual_lshlrev_b32 v4, 2, v13
	s_delay_alu instid0(VALU_DEP_2) | instskip(SKIP_2) | instid1(VALU_DEP_4)
	v_dual_lshlrev_b32 v22, 2, v64 :: v_dual_max_i32 v7, v9, v7
	v_lshlrev_b32_e32 v5, 4, v1
	v_bfe_u32 v2, v0, 1, 9
	v_and_b32_e32 v10, 60, v4
	v_and_b32_e32 v16, 1, v0
	v_bfe_u32 v45, v0, 3, 7
	s_ashr_i32 s14, s11, 31
	v_add_nc_u32_e32 v2, v2, v5
	s_ashr_i32 s15, s5, 31
	s_lshr_b32 s10, s14, 24
	v_lshl_add_u32 v56, v1, 2, v45
	s_lshr_b32 s12, s15, 27
	s_wait_kmcnt 0x0
	s_add_nc_u64 s[16:17], s[0:1], s[16:17]
	s_abs_i32 s0, s7
	v_and_b32_e32 v6, 0x7f, v2
	s_cvt_f32_u32 s1, s0
	s_sub_co_i32 s19, 0, s0
	s_add_co_i32 s10, s11, s10
	s_add_co_i32 s12, s5, s12
	v_rcp_iflag_f32_e32 v3, s1
	s_ashr_i32 s5, s10, 8
	s_ashr_i32 s10, s12, 5
	s_lshl_b32 s12, s5, 3
	v_mad_u32_u24 v15, 0x84, v1, v4
	v_mul_i32_i24_e32 v12, s5, v1
	v_lshrrev_b32_e32 v2, 2, v2
	v_readfirstlane_b32 s1, v3
	v_lshlrev_b32_e32 v3, 2, v16
	v_mad_i32_i24 v14, s5, v1, s12
	v_lshl_add_u32 v51, v1, 7, 0x56a0
	v_dual_mov_b32 v19, v11 :: v_dual_bitop2_b32 v2, 28, v2 bitop3:0x40
	s_mul_f32 s1, s1, 0x4f7ffffe
	v_lshl_or_b32 v3, v6, 3, v3
	v_and_b32_e32 v21, 0x1ffc, v56
	v_add_nc_u32_e32 v55, 0x5aa0, v5
	s_cvt_u32_f32 s1, s1
	v_bfe_u32 v8, v0, 4, 6
	v_add3_u32 v49, v3, v2, 0x5280
	v_dual_add_nc_u32 v2, 32, v56 :: v_dual_add_nc_u32 v3, 64, v56
	s_mul_i32 s19, s19, s1
	v_lshlrev_b32_e32 v40, 5, v56
	s_mul_hi_u32 s19, s1, s19
	s_delay_alu instid0(VALU_DEP_2)
	v_dual_lshlrev_b32 v44, 5, v2 :: v_dual_bitop2_b32 v18, 12, v4 bitop3:0x40
	s_add_co_i32 s1, s1, s19
	v_and_b32_e32 v28, 0x3ffc, v3
	v_mul_hi_u32 v20, v7, s1
	v_lshlrev_b32_e32 v48, 5, v3
	v_and_b32_e32 v26, 0x3ffc, v2
	v_add3_u32 v21, v21, v22, 0x4200
	v_add3_u32 v46, v28, v22, 0x4200
	s_lshl_b32 s19, s5, 5
	v_cmp_lt_u32_e64 s1, 3, v64
	v_xor_b32_e32 v1, s7, v9
	v_add3_u32 v42, v26, v22, 0x4200
	s_mul_i32 s14, s5, s18
	v_add_nc_u32_e32 v17, 0x420, v15
	v_mul_lo_u32 v24, v20, s0
	v_add_nc_u32_e32 v3, 1, v20
	s_ashr_i32 s15, s14, 31
	v_add_nc_u32_e32 v25, 0x840, v15
	v_add_nc_u32_e32 v27, 0xc60, v15
	;; [unrolled: 1-line block ×8, first 2 shown]
	v_sub_nc_u32_e32 v7, v7, v24
	v_add_nc_u32_e32 v47, 0x2940, v15
	v_add_nc_u32_e32 v92, 0x2d60, v15
	;; [unrolled: 1-line block ×4, first 2 shown]
	v_cmp_le_u32_e32 vcc_lo, s0, v7
	v_add_nc_u32_e32 v23, 0x60, v56
	v_add_nc_u32_e32 v95, 0x39c0, v15
	;; [unrolled: 1-line block ×3, first 2 shown]
	v_dual_cndmask_b32 v20, v20, v3 :: v_dual_lshlrev_b32 v101, 2, v8
	s_delay_alu instid0(VALU_DEP_4) | instskip(SKIP_3) | instid1(VALU_DEP_4)
	v_and_b32_e32 v30, 0x3ffc, v23
	v_lshlrev_b32_e32 v52, 5, v23
	v_subrev_nc_u32_e32 v23, s0, v7
	v_dual_mov_b32 v3, v11 :: v_dual_bitop2_b32 v2, 28, v4 bitop3:0x40
	v_add3_u32 v50, v30, v22, 0x4200
	s_delay_alu instid0(VALU_DEP_3) | instskip(SKIP_2) | instid1(VALU_DEP_3)
	v_dual_cndmask_b32 v7, v7, v23, vcc_lo :: v_dual_bitop2_b32 v22, 31, v0 bitop3:0x40
	v_dual_add_nc_u32 v23, 1, v20 :: v_dual_ashrrev_i32 v1, 31, v1
	v_add_nc_u32_e32 v57, v55, v4
	v_lshl_add_u32 v53, v22, 2, v51
	s_delay_alu instid0(VALU_DEP_4)
	v_cmp_le_u32_e32 vcc_lo, s0, v7
	v_dual_add_nc_u32 v4, 32, v13 :: v_dual_lshlrev_b32 v54, 1, v13
	v_add_nc_u32_e32 v22, 0x60, v13
	v_dual_cndmask_b32 v5, v20, v23 :: v_dual_add_nc_u32 v24, s12, v14
	v_dual_add_nc_u32 v20, 64, v13 :: v_dual_lshlrev_b32 v23, 5, v13
	v_and_b32_e32 v0, 0xfc, v0
	v_and_b32_e32 v31, 0x1fc, v4
	;; [unrolled: 1-line block ×3, first 2 shown]
	s_delay_alu instid0(VALU_DEP_4) | instskip(SKIP_1) | instid1(VALU_DEP_4)
	v_and_b32_e32 v34, 0x1fc, v20
	v_dual_lshlrev_b32 v58, 1, v4 :: v_dual_bitop2_b32 v5, v5, v1 bitop3:0x14
	v_dual_add_nc_u32 v59, v23, v0 :: v_dual_add_nc_u32 v61, v23, v31
	s_delay_alu instid0(VALU_DEP_3) | instskip(SKIP_1) | instid1(VALU_DEP_4)
	v_dual_add_nc_u32 v63, v23, v34 :: v_dual_add_nc_u32 v65, v23, v36
	v_dual_mov_b32 v23, v11 :: v_dual_add_nc_u32 v26, s12, v24
	v_dual_lshlrev_b32 v66, 1, v22 :: v_dual_sub_nc_u32 v1, v5, v1
	v_dual_lshrrev_b32 v5, 4, v4 :: v_dual_lshrrev_b32 v0, 4, v22
	s_delay_alu instid0(VALU_DEP_3) | instskip(SKIP_1) | instid1(VALU_DEP_4)
	v_add_nc_u32_e32 v28, s12, v26
	v_lshrrev_b32_e32 v79, 3, v22
	v_mul_lo_u32 v30, v1, s10
	v_add_nc_u32_e32 v81, v21, v40
	v_dual_add_nc_u32 v82, v42, v44 :: v_dual_lshlrev_b32 v85, 2, v54
	v_add_nc_u32_e32 v32, s12, v28
	v_dual_lshlrev_b32 v60, 1, v20 :: v_dual_lshrrev_b32 v62, 4, v20
	v_dual_mov_b32 v21, v11 :: v_dual_add_nc_u32 v84, v50, v52
	s_delay_alu instid0(VALU_DEP_3) | instskip(SKIP_3) | instid1(VALU_DEP_4)
	v_dual_lshlrev_b32 v87, 2, v58 :: v_dual_add_nc_u32 v34, s12, v32
	v_dual_lshrrev_b32 v67, 3, v4 :: v_dual_ashrrev_i32 v31, 31, v30
	v_lshlrev_b32_e32 v86, 2, v5
	v_mul_i32_i24_e32 v54, s5, v56
	v_add_nc_u32_e32 v36, s12, v34
	v_mad_i32_i24 v56, s5, v56, s19
	v_mul_u32_u24_e32 v7, 33, v13
	v_dual_lshlrev_b32 v88, 2, v62 :: v_dual_lshlrev_b32 v89, 2, v60
	s_delay_alu instid0(VALU_DEP_4) | instskip(NEXT) | instid1(VALU_DEP_4)
	v_add_nc_u32_e32 v40, s12, v36
	v_dual_add_nc_u32 v60, s19, v56 :: v_dual_lshlrev_b32 v91, 2, v66
	v_cmp_gt_u32_e32 vcc_lo, 4, v13
	v_cmp_gt_i32_e64 s0, s4, v1
	s_delay_alu instid0(VALU_DEP_4) | instskip(SKIP_3) | instid1(VALU_DEP_4)
	v_add_nc_u32_e32 v42, s12, v40
	v_add_nc_u32_e32 v83, v46, v48
	v_add_nc_u64_e32 v[38:39], s[2:3], v[2:3]
	v_dual_lshrrev_b32 v78, 3, v20 :: v_dual_lshlrev_b32 v80, 2, v7
	v_dual_add_nc_u32 v44, s12, v42 :: v_dual_mov_b32 v22, v11
	v_mov_b32_e32 v20, v11
	v_mul_i32_i24_e32 v50, s5, v6
	v_add_nc_u32_e32 v97, 0x4200, v59
	s_delay_alu instid0(VALU_DEP_4)
	v_add_nc_u32_e32 v46, s12, v44
	v_lshlrev_b32_e32 v90, 2, v0
	v_add_nc_u32_e32 v98, 0x4600, v61
	v_add_nc_u32_e32 v99, 0x4a00, v63
	;; [unrolled: 1-line block ×4, first 2 shown]
	v_cndmask_b32_e64 v64, 0, 1, s1
	v_add_nc_u32_e32 v66, s19, v60
	s_mul_u64 s[14:15], s[14:15], 0x54
	s_delay_alu instid0(VALU_DEP_3) | instskip(SKIP_2) | instid1(VALU_DEP_1)
	v_add_nc_u32_e32 v52, s12, v48
	s_add_nc_u64 s[14:15], s[16:17], s[14:15]
	s_and_b32 s16, vcc_lo, s0
	v_add_nc_u32_e32 v58, s12, v52
	s_delay_alu instid0(VALU_DEP_1)
	v_add_nc_u32_e32 v62, s12, v58
	s_mov_b32 s12, s13
	s_branch .LBB187_5
.LBB187_4:                              ;   in Loop: Header=BB187_5 Depth=1
	s_add_co_i32 s12, s12, 2
	s_delay_alu instid0(SALU_CYCLE_1)
	s_cmp_ge_i32 s12, s5
	s_cbranch_scc1 .LBB187_38
.LBB187_5:                              ; =>This Loop Header: Depth=1
                                        ;     Child Loop BB187_11 Depth 2
                                        ;     Child Loop BB187_19 Depth 2
	;; [unrolled: 1-line block ×4, first 2 shown]
	s_mul_u64 s[20:21], s[12:13], 0x54
	s_lshl_b32 s17, s12, 8
	s_add_nc_u64 s[20:21], s[14:15], s[20:21]
	s_cmp_lt_i32 s17, s11
	s_wait_xcnt 0x5
	v_mad_nc_u64_u32 v[0:1], 0x54, v8, s[20:21]
	s_wait_xcnt 0x0
	v_mad_nc_u64_u32 v[4:5], 0x54, v64, s[20:21]
	v_mad_nc_u64_u32 v[2:3], 0x54, v50, s[20:21]
	s_delay_alu instid0(VALU_DEP_3)
	v_mad_nc_u64_u32 v[6:7], 0x54, v12, v[0:1]
	v_mad_nc_u64_u32 v[68:69], 0x54, v14, v[0:1]
	;; [unrolled: 1-line block ×14, first 2 shown]
	v_add_nc_u64_e32 v[6:7], v[6:7], v[10:11]
	v_mad_nc_u64_u32 v[118:119], 0x54, v58, v[0:1]
	v_add_nc_u64_e32 v[68:69], v[68:69], v[10:11]
	v_mad_nc_u64_u32 v[0:1], 0x54, v62, v[0:1]
	v_add_nc_u64_e32 v[70:71], v[70:71], v[10:11]
	v_add_nc_u64_e32 v[72:73], v[72:73], v[10:11]
	;; [unrolled: 1-line block ×8, first 2 shown]
	s_clause 0x7
	global_load_b32 v120, v[6:7], off offset:16
	global_load_b32 v121, v[68:69], off offset:16
	;; [unrolled: 1-line block ×8, first 2 shown]
	s_wait_xcnt 0x7
	v_add_nc_u64_e32 v[6:7], v[108:109], v[10:11]
	s_wait_xcnt 0x6
	v_add_nc_u64_e32 v[68:69], v[110:111], v[10:11]
	;; [unrolled: 2-line block ×4, first 2 shown]
	v_mad_nc_u64_u32 v[2:3], 0x54, v16, v[2:3]
	s_wait_xcnt 0x3
	v_add_nc_u64_e32 v[74:75], v[116:117], v[10:11]
	s_wait_xcnt 0x1
	v_mad_nc_u64_u32 v[102:103], 0x54, v54, v[4:5]
	v_add_nc_u64_e32 v[76:77], v[118:119], v[10:11]
	s_wait_xcnt 0x0
	v_mad_nc_u64_u32 v[104:105], 0x54, v56, v[4:5]
	v_add_nc_u64_e32 v[0:1], v[0:1], v[10:11]
	v_mad_nc_u64_u32 v[108:109], 0x54, v60, v[4:5]
	v_mad_nc_u64_u32 v[4:5], 0x54, v66, v[4:5]
	s_clause 0xc
	global_load_b32 v110, v[106:107], off offset:16
	global_load_b32 v111, v[6:7], off offset:16
	;; [unrolled: 1-line block ×9, first 2 shown]
	global_load_b32 v119, v[102:103], off
	global_load_b32 v128, v[104:105], off
	;; [unrolled: 1-line block ×4, first 2 shown]
	s_wait_loadcnt 0x14
	ds_store_b32 v15, v120
	s_wait_loadcnt 0x13
	ds_store_b32 v17, v121
	;; [unrolled: 2-line block ×21, first 2 shown]
	s_cbranch_scc0 .LBB187_4
; %bb.6:                                ;   in Loop: Header=BB187_5 Depth=1
	s_lshl_b32 s19, s12, 3
	s_wait_xcnt 0x5
	v_add_nc_u32_e32 v0, s19, v45
	s_delay_alu instid0(VALU_DEP_1)
	v_cmp_gt_i32_e64 s1, s10, v0
	s_and_b32 s20, s0, s1
	s_wait_xcnt 0x0
	s_and_saveexec_b32 s1, s20
	s_cbranch_execz .LBB187_8
; %bb.7:                                ;   in Loop: Header=BB187_5 Depth=1
	v_add_nc_u32_e32 v0, v30, v0
	s_delay_alu instid0(VALU_DEP_1)
	v_mad_nc_i64_i32 v[0:1], v0, 36, v[38:39]
	global_load_b32 v0, v[0:1], off offset:4
	s_wait_loadcnt 0x0
	ds_store_b32 v53, v0
.LBB187_8:                              ;   in Loop: Header=BB187_5 Depth=1
	s_or_b32 exec_lo, exec_lo, s1
	v_add_nc_u32_e32 v68, s19, v13
	s_delay_alu instid0(VALU_DEP_1) | instskip(SKIP_1) | instid1(SALU_CYCLE_1)
	v_cmp_gt_i32_e64 s1, s10, v68
	s_and_b32 s20, s16, s1
	s_and_saveexec_b32 s1, s20
	s_cbranch_execz .LBB187_10
; %bb.9:                                ;   in Loop: Header=BB187_5 Depth=1
	v_add_nc_u32_e32 v0, v30, v68
	s_delay_alu instid0(VALU_DEP_1)
	v_mad_nc_i64_i32 v[0:1], v0, 36, s[2:3]
	global_load_b32 v0, v[0:1], off
	s_wait_loadcnt 0x0
	v_cvt_f32_f16_e32 v0, v0
	ds_store_b32 v57, v0
.LBB187_10:                             ;   in Loop: Header=BB187_5 Depth=1
	s_or_b32 exec_lo, exec_lo, s1
	v_dual_mov_b32 v69, v55 :: v_dual_mov_b32 v71, v51
	s_mov_b32 s1, 0
	s_wait_dscnt 0x0
	s_barrier_signal -1
	s_barrier_wait -1
.LBB187_11:                             ;   Parent Loop BB187_5 Depth=1
                                        ; =>  This Inner Loop Header: Depth=2
	s_and_b32 s21, s1, 0x3ffffff8
	ds_load_b32 v70, v69
	ds_load_b128 v[4:7], v71
	ds_load_b128 v[0:3], v71 offset:16
	v_lshl_add_u32 v74, s21, 2, v80
	s_lshr_b32 s22, s1, 2
	s_and_b32 s20, s1, -16
	s_and_b32 s21, s22, 0x3ffffffc
	s_add_co_i32 s20, s1, s20
	ds_load_2addr_b32 v[72:73], v74 offset0:4 offset1:7
	s_addk_co_i32 s21, 0x5280
	v_dual_add_nc_u32 v75, s20, v97 :: v_dual_add_nc_u32 v76, s20, v98
	v_dual_add_nc_u32 v124, s20, v99 :: v_dual_add_nc_u32 v77, s20, v100
	v_add3_u32 v108, s21, v101, v85
	v_add3_u32 v109, s21, v86, v87
	;; [unrolled: 1-line block ×4, first 2 shown]
	v_add_nc_u32_e32 v112, 0x1080, v74
	v_add_nc_u32_e32 v113, 0x1088, v74
	;; [unrolled: 1-line block ×12, first 2 shown]
	ds_load_2addr_b32 v[102:103], v74 offset1:1
	ds_load_2addr_b32 v[104:105], v74 offset0:2 offset1:3
	ds_load_2addr_b32 v[106:107], v74 offset0:5 offset1:6
	ds_load_u16 v132, v75
	ds_load_b32 v133, v108
	ds_load_b32 v134, v109
	;; [unrolled: 1-line block ×4, first 2 shown]
	ds_load_u16 v77, v77
	ds_load_2addr_b32 v[108:109], v114 offset0:36 offset1:39
	ds_load_2addr_b32 v[110:111], v112 offset1:1
	ds_load_2addr_b32 v[112:113], v113 offset1:1
	ds_load_2addr_b32 v[114:115], v115 offset1:1
	ds_load_2addr_b32 v[116:117], v116 offset1:1
	ds_load_2addr_b32 v[118:119], v118 offset1:1
	ds_load_u16 v75, v76
	ds_load_2addr_b32 v[120:121], v120 offset1:1
	ds_load_2addr_b32 v[122:123], v122 offset1:1
	ds_load_u16 v76, v124
	ds_load_2addr_b32 v[124:125], v125 offset1:1
	ds_load_2addr_b32 v[126:127], v126 offset1:1
	;; [unrolled: 1-line block ×4, first 2 shown]
	s_wait_dscnt 0x15
	v_dual_ashrrev_i32 v103, s1, v103 :: v_dual_ashrrev_i32 v105, s1, v105
	v_lshrrev_b16 v136, 8, v0
	v_dual_ashrrev_i32 v137, 24, v4 :: v_dual_ashrrev_i32 v144, 24, v5
	v_dual_ashrrev_i32 v138, 24, v0 :: v_dual_ashrrev_i32 v145, 24, v1
	v_bfe_i32 v140, v0, 0, 8
	v_bfe_i32 v141, v0, 16, 8
	;; [unrolled: 1-line block ×4, first 2 shown]
	v_lshrrev_b16 v0, 8, v1
	v_bfe_i32 v146, v4, 8, 8
	v_bfe_i32 v4, v1, 0, 8
	;; [unrolled: 1-line block ×4, first 2 shown]
	v_and_b32_e32 v168, 3, v103
	v_bfe_u32 v169, v103, 8, 2
	v_bfe_u32 v170, v103, 16, 2
	v_lshrrev_b32_e32 v103, 24, v103
	v_bfe_i32 v139, v5, 8, 8
	v_bfe_i32 v5, v5, 16, 8
	v_dual_ashrrev_i32 v72, s1, v72 :: v_dual_ashrrev_i32 v73, s1, v73
	v_mul_i32_i24_e32 v168, v168, v1
	s_wait_dscnt 0x9
	v_dual_ashrrev_i32 v117, s1, v117 :: v_dual_bitop2_b32 v103, 3, v103 bitop3:0x40
	v_dual_ashrrev_i32 v149, 24, v2 :: v_dual_ashrrev_i32 v156, 24, v3
	v_bfe_i32 v160, v3, 16, 8
	v_bfe_i32 v161, v3, 0, 8
	;; [unrolled: 1-line block ×4, first 2 shown]
	v_dual_ashrrev_i32 v107, s1, v107 :: v_dual_bitop2_b32 v171, 3, v72 bitop3:0x40
	v_bfe_u32 v172, v72, 8, 2
	v_bfe_u32 v173, v72, 16, 2
	v_dual_lshrrev_b32 v72, 24, v72 :: v_dual_ashrrev_i32 v111, s1, v111
	v_mad_i32_i24 v168, v169, v139, v168
	v_mul_i32_i24_e32 v169, v170, v5
	v_mul_i32_i24_e32 v103, v103, v144
	s_delay_alu instid0(VALU_DEP_4) | instskip(SKIP_2) | instid1(VALU_DEP_4)
	v_and_b32_e32 v72, 3, v72
	v_lshrrev_b16 v148, 8, v6
	v_dual_ashrrev_i32 v150, 24, v6 :: v_dual_ashrrev_i32 v157, 24, v7
	v_add3_u32 v103, v168, v169, v103
	v_mul_i32_i24_e32 v169, v172, v3
	v_bfe_i32 v151, v6, 16, 8
	v_bfe_i32 v152, v6, 0, 8
	v_dual_add_nc_u32 v6, v146, v139 :: v_dual_ashrrev_i32 v102, s1, v102
	s_wait_dscnt 0x3
	v_ashrrev_i32_e32 v125, s1, v125
	v_mad_i32_i24 v169, v171, v140, v169
	v_mul_i32_i24_e32 v171, v173, v141
	v_mul_i32_i24_e32 v72, v72, v138
	v_dual_ashrrev_i32 v104, s1, v104 :: v_dual_ashrrev_i32 v106, s1, v106
	v_and_b32_e32 v168, 3, v102
	v_dual_ashrrev_i32 v108, s1, v108 :: v_dual_bitop2_b32 v170, 3, v111 bitop3:0x40
	s_delay_alu instid0(VALU_DEP_4) | instskip(SKIP_4) | instid1(VALU_DEP_4)
	v_add3_u32 v72, v169, v171, v72
	v_and_b32_e32 v169, 3, v117
	v_dual_add_nc_u32 v165, v1, v142 :: v_dual_bitop2_b32 v171, 3, v125 bitop3:0x40
	v_add_nc_u32_e32 v167, v4, v140
	v_mul_i32_i24_e32 v170, v170, v1
	v_mul_i32_i24_e32 v169, v169, v1
	s_delay_alu instid0(VALU_DEP_4)
	v_mul_i32_i24_e32 v1, v171, v1
	v_bfe_u32 v171, v111, 8, 2
	v_mul_i32_i24_e32 v168, v142, v168
	v_bfe_i32 v136, v0, 0, 8
	v_ashrrev_i32_e32 v110, s1, v110
	v_bfe_i32 v153, v2, 16, 8
	v_mad_i32_i24 v170, v171, v139, v170
	v_bfe_u32 v171, v117, 8, 2
	v_bfe_i32 v154, v2, 0, 8
	v_bfe_i32 v155, v2, 8, 8
	v_lshrrev_b16 v2, 8, v7
	v_add_nc_u32_e32 v0, v145, v138
	v_mad_i32_i24 v169, v171, v139, v169
	v_bfe_u32 v171, v125, 8, 2
	v_ashrrev_i32_e32 v116, s1, v116
	v_bfe_i32 v163, v2, 0, 8
	v_dual_add_nc_u32 v2, v144, v137 :: v_dual_add_nc_u32 v164, v5, v143
	v_add_nc_u32_e32 v166, v147, v141
	v_mad_i32_i24 v139, v171, v139, v1
	v_dual_lshrrev_b32 v171, 24, v111 :: v_dual_bitop2_b32 v1, 3, v104 bitop3:0x40
	v_bfe_u32 v111, v111, 16, 2
	v_bfe_i32 v148, v148, 0, 8
	v_ashrrev_i32_e32 v112, s1, v112
	s_delay_alu instid0(VALU_DEP_4) | instskip(SKIP_3) | instid1(VALU_DEP_4)
	v_mul_i32_i24_e32 v1, v1, v152
	v_and_b32_e32 v171, 3, v171
	v_mul_i32_i24_e32 v111, v111, v5
	v_dual_ashrrev_i32 v124, s1, v124 :: v_dual_ashrrev_i32 v118, s1, v118
	v_add3_u32 v103, v103, v1, v168
	v_and_b32_e32 v1, 3, v108
	v_bfe_u32 v168, v108, 8, 2
	v_bfe_i32 v158, v7, 16, 8
	v_bfe_i32 v159, v7, 0, 8
	v_lshrrev_b16 v7, 8, v132
	v_mul_i32_i24_e32 v1, v1, v140
	v_lshrrev_b32_e32 v172, 24, v104
	v_add3_u32 v164, v164, v151, v158
	v_add3_u32 v165, v165, v152, v159
	v_dual_ashrrev_i32 v122, s1, v122 :: v_dual_lshrrev_b32 v174, 24, v105
	v_mad_i32_i24 v1, v168, v3, v1
	v_lshrrev_b32_e32 v168, 24, v108
	v_bfe_u32 v108, v108, 16, 2
	v_dual_lshrrev_b32 v175, 24, v73 :: v_dual_ashrrev_i32 v119, s1, v119
	v_add3_u32 v167, v167, v154, v161
	s_delay_alu instid0(VALU_DEP_4) | instskip(NEXT) | instid1(VALU_DEP_4)
	v_and_b32_e32 v168, 3, v168
	v_mul_i32_i24_e32 v108, v108, v141
	s_wait_dscnt 0x1
	v_dual_ashrrev_i32 v121, s1, v121 :: v_dual_ashrrev_i32 v128, s1, v128
	v_ashrrev_i32_e32 v129, s1, v129
	v_mul_i32_i24_e32 v168, v168, v138
	v_ashrrev_i32_e32 v114, s1, v114
	v_lshrrev_b16 v176, 8, v76
	v_add3_u32 v166, v166, v153, v160
	s_add_co_i32 s20, s1, 2
	v_add3_u32 v108, v1, v108, v168
	v_ashrrev_i32_e32 v1, s1, v120
	v_mul_i32_i24_e32 v171, v171, v144
	v_and_b32_e32 v120, 3, v106
	s_cmp_lt_u32 s1, 6
	v_dual_ashrrev_i32 v127, s1, v127 :: v_dual_ashrrev_i32 v109, s1, v109
	s_delay_alu instid0(VALU_DEP_3) | instskip(SKIP_4) | instid1(VALU_DEP_4)
	v_add3_u32 v111, v170, v111, v171
	v_lshrrev_b32_e32 v170, 8, v106
	v_mul_i32_i24_e32 v120, v120, v4
	v_lshrrev_b16 v171, 8, v77
	v_dual_ashrrev_i32 v113, s1, v113 :: v_dual_ashrrev_i32 v115, s1, v115
	v_and_b32_e32 v168, 3, v170
	v_add3_u32 v170, v2, v150, v157
	v_bfe_u32 v2, v125, 16, 2
	v_lshrrev_b32_e32 v173, 16, v107
	v_ashrrev_i32_e32 v123, s1, v123
	v_mul_i32_i24_e32 v168, v168, v136
	v_add_nc_u32_e32 v71, 32, v71
	v_mul_i32_i24_e32 v2, v2, v5
	v_add_nc_u32_e32 v69, 4, v69
	s_delay_alu instid0(VALU_DEP_4) | instskip(SKIP_3) | instid1(VALU_DEP_3)
	v_add3_u32 v72, v72, v120, v168
	v_ashrrev_i32_e32 v120, s1, v126
	v_bfe_u32 v126, v117, 16, 2
	v_bfe_u32 v117, v117, 24, 2
	v_and_b32_e32 v168, 3, v120
	s_delay_alu instid0(VALU_DEP_3) | instskip(NEXT) | instid1(VALU_DEP_3)
	v_mul_i32_i24_e32 v126, v126, v5
	v_mul_i32_i24_e32 v117, v117, v144
	v_bfe_u32 v5, v125, 24, 2
	v_bfe_u32 v125, v120, 16, 2
	s_delay_alu instid0(VALU_DEP_3) | instskip(SKIP_1) | instid1(VALU_DEP_4)
	v_add3_u32 v117, v169, v126, v117
	v_and_b32_e32 v126, 3, v1
	v_mul_i32_i24_e32 v5, v5, v144
	v_add3_u32 v169, v6, v148, v163
	v_add3_u32 v6, v0, v149, v156
	v_bfe_u32 v0, v1, 16, 2
	v_mul_i32_i24_e32 v126, v126, v140
	v_add3_u32 v5, v139, v2, v5
	v_cvt_f32_f16_e64 v2, v135
	v_lshrrev_b32_e32 v135, 16, v135
	v_mul_i32_i24_e32 v140, v168, v140
	v_bfe_u32 v168, v1, 8, 2
	v_bfe_u32 v1, v1, 24, 2
	v_mul_i32_i24_e32 v125, v125, v141
	v_mul_i32_i24_e32 v0, v0, v141
	v_lshrrev_b32_e32 v144, 16, v73
	v_mad_i32_i24 v126, v168, v3, v126
	v_bfe_u32 v168, v120, 8, 2
	v_bfe_u32 v120, v120, 24, 2
	v_mul_i32_i24_e32 v1, v1, v138
	v_bfe_u32 v139, v105, 8, 2
	v_bfe_u32 v141, v77, 4, 4
	v_mad_i32_i24 v140, v168, v3, v140
	v_mul_i32_i24_e32 v120, v120, v138
	v_bfe_u32 v168, v132, 4, 4
	v_and_b32_e32 v132, 15, v132
	v_add3_u32 v126, v126, v0, v1
	v_add_nc_u32_e32 v3, v136, v3
	v_add3_u32 v120, v140, v125, v120
	v_and_b32_e32 v125, 3, v110
	v_and_b32_e32 v138, 3, v112
	;; [unrolled: 1-line block ×3, first 2 shown]
	v_add3_u32 v177, v3, v155, v162
	v_cvt_f32_f16_e64 v1, v134
	v_mul_i32_i24_e32 v125, v142, v125
	v_mul_i32_i24_e32 v138, v138, v152
	v_dual_lshrrev_b32 v134, 16, v134 :: v_dual_bitop2_b32 v144, 3, v144 bitop3:0x40
	v_cvt_f32_f16_e64 v3, v135
	v_bfe_u32 v135, v113, 8, 2
	s_delay_alu instid0(VALU_DEP_4)
	v_add3_u32 v111, v111, v138, v125
	v_bfe_u32 v125, v102, 8, 2
	v_bfe_u32 v138, v102, 16, 2
	v_cvt_f32_f16_e64 v0, v133
	v_lshrrev_b32_e32 v133, 16, v133
	v_mul_i32_i24_e32 v139, v139, v163
	v_mul_i32_i24_e32 v125, v146, v125
	;; [unrolled: 1-line block ×4, first 2 shown]
	v_and_b32_e32 v77, 15, v77
	v_and_b32_e32 v132, 0xffff, v132
	s_delay_alu instid0(VALU_DEP_4) | instskip(SKIP_1) | instid1(VALU_DEP_4)
	v_add3_u32 v103, v103, v125, v138
	v_dual_lshrrev_b32 v125, 8, v114 :: v_dual_bitop2_b32 v138, 3, v114 bitop3:0x40
	v_and_b32_e32 v77, 0xffff, v77
	s_delay_alu instid0(VALU_DEP_2) | instskip(NEXT) | instid1(VALU_DEP_3)
	v_and_b32_e32 v125, 3, v125
	v_mul_i32_i24_e32 v138, v138, v4
	s_delay_alu instid0(VALU_DEP_2) | instskip(NEXT) | instid1(VALU_DEP_1)
	v_mul_i32_i24_e32 v125, v125, v136
	v_add3_u32 v108, v108, v138, v125
	v_dual_lshrrev_b32 v125, 16, v106 :: v_dual_bitop2_b32 v138, 3, v105 bitop3:0x40
	s_delay_alu instid0(VALU_DEP_1) | instskip(NEXT) | instid1(VALU_DEP_1)
	v_dual_lshrrev_b32 v106, 24, v106 :: v_dual_bitop2_b32 v125, 3, v125 bitop3:0x40
	v_and_b32_e32 v106, 3, v106
	s_delay_alu instid0(VALU_DEP_2) | instskip(NEXT) | instid1(VALU_DEP_2)
	v_mul_i32_i24_e32 v125, v125, v147
	v_mul_i32_i24_e32 v106, v106, v145
	s_delay_alu instid0(VALU_DEP_1) | instskip(SKIP_2) | instid1(VALU_DEP_2)
	v_add3_u32 v72, v72, v125, v106
	v_and_b32_e32 v106, 3, v116
	v_and_b32_e32 v125, 3, v118
	v_mul_i32_i24_e32 v106, v142, v106
	s_delay_alu instid0(VALU_DEP_2) | instskip(NEXT) | instid1(VALU_DEP_1)
	v_mul_i32_i24_e32 v125, v125, v152
	v_add3_u32 v106, v117, v125, v106
	v_and_b32_e32 v117, 3, v121
	v_bfe_u32 v125, v121, 8, 2
	s_delay_alu instid0(VALU_DEP_2) | instskip(NEXT) | instid1(VALU_DEP_2)
	v_mul_i32_i24_e32 v117, v117, v4
	v_mul_i32_i24_e32 v125, v125, v136
	s_delay_alu instid0(VALU_DEP_1) | instskip(SKIP_2) | instid1(VALU_DEP_1)
	v_add3_u32 v117, v126, v117, v125
	s_wait_dscnt 0x0
	v_dual_ashrrev_i32 v125, s1, v130 :: v_dual_bitop2_b32 v126, 3, v124 bitop3:0x40
	v_and_b32_e32 v130, 3, v125
	s_delay_alu instid0(VALU_DEP_2)
	v_mul_i32_i24_e32 v126, v142, v126
	v_bfe_u32 v142, v73, 8, 2
	v_bfe_u32 v73, v76, 4, 4
	v_and_b32_e32 v76, 15, v76
	v_mul_i32_i24_e32 v130, v130, v152
	v_and_b32_e32 v152, 3, v127
	v_mul_i32_i24_e32 v142, v142, v162
	v_mul_lo_u32 v73, 0x1010101, v73
	v_and_b32_e32 v76, 0xffff, v76
	v_add3_u32 v126, v5, v130, v126
	v_mul_i32_i24_e32 v4, v152, v4
	v_bfe_u32 v152, v127, 8, 2
	v_bfe_u32 v5, v102, 24, 2
	v_dual_lshrrev_b32 v102, 8, v104 :: v_dual_lshrrev_b32 v130, 16, v105
	v_bfe_u32 v105, v121, 24, 2
	s_delay_alu instid0(VALU_DEP_4)
	v_mul_i32_i24_e32 v136, v152, v136
	v_lshrrev_b32_e32 v152, 16, v104
	v_mul_lo_u32 v104, 0x1010101, v168
	v_and_b32_e32 v102, 3, v102
	v_mul_i32_i24_e32 v5, v137, v5
	v_add3_u32 v120, v120, v4, v136
	v_mul_i32_i24_e32 v105, v105, v145
	v_and_b32_e32 v130, 3, v130
	v_mul_i32_i24_e32 v102, v102, v148
	v_bfe_i32 v4, v104, 0, 8
	v_bfe_i32 v136, v104, 8, 8
	s_delay_alu instid0(VALU_DEP_3) | instskip(SKIP_1) | instid1(VALU_DEP_4)
	v_add3_u32 v168, v103, v5, v102
	v_dual_lshrrev_b32 v5, 16, v114 :: v_dual_lshrrev_b32 v102, 24, v114
	v_mul_i32_i24_e32 v4, v165, v4
	v_bfe_u32 v103, v121, 16, 2
	v_and_b32_e32 v121, 3, v113
	s_delay_alu instid0(VALU_DEP_4)
	v_and_b32_e32 v5, 3, v5
	v_and_b32_e32 v102, 3, v102
	v_mad_i32_i24 v4, v169, v136, v4
	v_bfe_i32 v136, v104, 16, 8
	v_lshrrev_b32_e32 v104, 24, v104
	v_mul_i32_i24_e32 v103, v103, v147
	v_mul_i32_i24_e32 v5, v5, v147
	;; [unrolled: 1-line block ×5, first 2 shown]
	v_add3_u32 v117, v117, v103, v105
	v_bfe_u32 v103, v116, 8, 2
	v_bfe_u32 v105, v116, 16, 2
	v_add3_u32 v108, v108, v5, v102
	v_add3_u32 v104, v4, v136, v104
	v_bfe_u32 v4, v110, 8, 2
	v_bfe_u32 v136, v110, 16, 2
	v_mul_i32_i24_e32 v103, v103, v146
	v_mul_i32_i24_e32 v105, v105, v143
	v_bfe_u32 v102, v75, 4, 4
	v_mul_i32_i24_e32 v4, v146, v4
	v_mul_i32_i24_e32 v136, v143, v136
	v_bfe_u32 v110, v110, 24, 2
	v_add3_u32 v106, v106, v103, v105
	v_bfe_u32 v103, v127, 16, 2
	v_bfe_u32 v105, v127, 24, 2
	v_add3_u32 v111, v111, v4, v136
	v_dual_lshrrev_b32 v136, 8, v107 :: v_dual_bitop2_b32 v4, 3, v107 bitop3:0x40
	v_lshrrev_b32_e32 v107, 24, v107
	v_ashrrev_i32_e32 v131, s1, v131
	v_mul_lo_u32 v102, 0x1010101, v102
	s_delay_alu instid0(VALU_DEP_4)
	v_mul_i32_i24_e32 v4, v4, v154
	v_and_b32_e32 v5, 3, v136
	v_mul_i32_i24_e32 v103, v103, v147
	v_bfe_u32 v127, v124, 8, 2
	v_mul_i32_i24_e32 v105, v105, v145
	v_mul_i32_i24_e32 v110, v137, v110
	;; [unrolled: 1-line block ×3, first 2 shown]
	v_lshrrev_b32_e32 v147, 16, v115
	v_and_b32_e32 v107, 3, v107
	v_add3_u32 v120, v120, v103, v105
	v_bfe_u32 v103, v124, 16, 2
	v_add3_u32 v136, v72, v4, v5
	v_and_b32_e32 v72, 0xffff, v7
	v_mul_i32_i24_e32 v105, v127, v146
	v_and_b32_e32 v127, 3, v109
	v_mul_i32_i24_e32 v103, v103, v143
	s_delay_alu instid0(VALU_DEP_4) | instskip(SKIP_2) | instid1(VALU_DEP_4)
	v_dual_lshrrev_b32 v146, 16, v109 :: v_dual_lshrrev_b32 v72, 4, v72
	v_cvt_f32_f16_e64 v5, v134
	v_mul_lo_u32 v134, 0x1010101, v141
	v_add3_u32 v126, v126, v105, v103
	v_bfe_i32 v103, v102, 8, 8
	v_mul_lo_u32 v145, 0x1010101, v72
	v_bfe_i32 v72, v102, 0, 8
	v_dual_lshrrev_b32 v105, 8, v112 :: v_dual_lshrrev_b32 v141, 16, v113
	v_bfe_u32 v116, v116, 24, 2
	v_lshrrev_b32_e32 v113, 24, v113
	s_delay_alu instid0(VALU_DEP_4) | instskip(NEXT) | instid1(VALU_DEP_4)
	v_mul_i32_i24_e32 v72, v165, v72
	v_and_b32_e32 v105, 3, v105
	v_mul_i32_i24_e32 v107, v107, v149
	v_mul_i32_i24_e32 v116, v116, v137
	v_bfe_u32 v124, v124, 24, 2
	v_mad_i32_i24 v72, v169, v103, v72
	v_lshrrev_b32_e32 v103, 24, v102
	v_bfe_i32 v102, v102, 16, 8
	v_mul_i32_i24_e32 v105, v105, v148
	v_bfe_u32 v143, v109, 8, 2
	v_lshrrev_b32_e32 v109, 24, v109
	v_mul_i32_i24_e32 v103, v170, v103
	v_mul_i32_i24_e32 v102, v164, v102
	v_add3_u32 v105, v111, v110, v105
	v_dual_lshrrev_b32 v110, 16, v112 :: v_dual_lshrrev_b32 v111, 24, v112
	v_and_b32_e32 v112, 3, v115
	s_delay_alu instid0(VALU_DEP_4)
	v_add3_u32 v72, v72, v102, v103
	v_bfe_i32 v102, v73, 0, 8
	v_bfe_i32 v103, v73, 8, 8
	v_mul_i32_i24_e32 v124, v124, v137
	v_mul_i32_i24_e32 v112, v112, v154
	v_and_b32_e32 v137, 3, v128
	v_mul_i32_i24_e32 v102, v165, v102
	v_mul_i32_i24_e32 v121, v121, v159
	v_mul_i32_i24_e32 v127, v127, v161
	v_and_b32_e32 v147, 3, v147
	v_mul_i32_i24_e32 v137, v137, v154
	v_mad_i32_i24 v102, v169, v103, v102
	v_bfe_i32 v103, v73, 16, 8
	v_lshrrev_b32_e32 v73, 24, v73
	v_cvt_f32_f16_e64 v4, v133
	v_and_b32_e32 v133, 0xffff, v171
	v_lshrrev_b16 v114, 8, v75
	v_mul_i32_i24_e32 v103, v164, v103
	v_mul_i32_i24_e32 v73, v170, v73
	s_delay_alu instid0(VALU_DEP_4) | instskip(SKIP_2) | instid1(VALU_DEP_4)
	v_dual_lshrrev_b32 v133, 4, v133 :: v_dual_bitop2_b32 v111, 3, v111 bitop3:0x40
	v_and_b32_e32 v110, 3, v110
	v_mul_i32_i24_e32 v143, v143, v162
	v_add3_u32 v73, v102, v103, v73
	v_bfe_i32 v102, v145, 0, 8
	v_bfe_i32 v103, v145, 8, 8
	v_mul_lo_u32 v133, 0x1010101, v133
	v_mul_i32_i24_e32 v110, v110, v151
	v_and_b32_e32 v146, 3, v146
	v_mul_i32_i24_e32 v102, v167, v102
	v_mul_i32_i24_e32 v103, v177, v103
	v_and_b32_e32 v7, 15, v7
	v_and_b32_e32 v75, 15, v75
	;; [unrolled: 1-line block ×3, first 2 shown]
	s_mov_b32 s1, s20
	v_add3_u32 v102, v104, v102, v103
	v_mul_i32_i24_e32 v103, v138, v159
	v_mul_i32_i24_e32 v104, v140, v161
	v_and_b32_e32 v138, 3, v152
	v_and_b32_e32 v140, 3, v172
	v_dual_lshrrev_b32 v172, 8, v118 :: v_dual_bitop2_b32 v152, 3, v173 bitop3:0x40
	v_cvt_f32_f16_e64 v173, v74
	s_delay_alu instid0(VALU_DEP_4) | instskip(NEXT) | instid1(VALU_DEP_4)
	v_mul_i32_i24_e32 v138, v138, v151
	v_mul_i32_i24_e32 v140, v140, v150
	s_delay_alu instid0(VALU_DEP_4) | instskip(SKIP_2) | instid1(VALU_DEP_4)
	v_dual_lshrrev_b32 v74, 16, v74 :: v_dual_bitop2_b32 v172, 3, v172 bitop3:0x40
	v_mul_i32_i24_e32 v144, v144, v160
	v_and_b32_e32 v75, 0xffff, v75
	v_add3_u32 v138, v168, v138, v140
	v_dual_lshrrev_b32 v140, 8, v115 :: v_dual_lshrrev_b32 v115, 24, v115
	v_mul_i32_i24_e32 v152, v152, v153
	v_and_b32_e32 v168, 3, v175
	v_mul_i32_i24_e32 v172, v172, v148
	s_delay_alu instid0(VALU_DEP_4)
	v_and_b32_e32 v140, 3, v140
	v_and_b32_e32 v115, 3, v115
	v_add3_u32 v107, v136, v152, v107
	v_lshrrev_b32_e32 v152, 8, v122
	v_add3_u32 v106, v106, v116, v172
	v_dual_lshrrev_b32 v172, 16, v122 :: v_dual_bitop2_b32 v116, 3, v122 bitop3:0x40
	s_delay_alu instid0(VALU_DEP_3) | instskip(SKIP_1) | instid1(VALU_DEP_3)
	v_dual_lshrrev_b32 v122, 24, v122 :: v_dual_bitop2_b32 v152, 3, v152 bitop3:0x40
	v_mul_i32_i24_e32 v140, v140, v155
	v_mul_i32_i24_e32 v116, v116, v154
	s_delay_alu instid0(VALU_DEP_3) | instskip(NEXT) | instid1(VALU_DEP_4)
	v_dual_lshrrev_b32 v154, 8, v123 :: v_dual_bitop2_b32 v122, 3, v122 bitop3:0x40
	v_mul_i32_i24_e32 v152, v152, v155
	s_delay_alu instid0(VALU_DEP_4)
	v_add3_u32 v108, v108, v112, v140
	v_and_b32_e32 v140, 3, v174
	v_mul_i32_i24_e32 v115, v115, v149
	v_mul_i32_i24_e32 v122, v122, v149
	v_add3_u32 v116, v117, v116, v152
	v_dual_lshrrev_b32 v152, 8, v125 :: v_dual_lshrrev_b32 v117, 16, v118
	v_lshrrev_b32_e32 v118, 24, v118
	v_and_b32_e32 v112, 0xffff, v114
	v_and_b32_e32 v172, 3, v172
	s_delay_alu instid0(VALU_DEP_4)
	v_and_b32_e32 v152, 3, v152
	v_and_b32_e32 v154, 3, v154
	;; [unrolled: 1-line block ×5, first 2 shown]
	v_mul_i32_i24_e32 v148, v152, v148
	v_lshrrev_b32_e32 v152, 8, v128
	v_mul_i32_i24_e32 v118, v118, v150
	v_mul_i32_i24_e32 v154, v154, v162
	v_lshrrev_b32_e32 v112, 4, v112
	v_add3_u32 v124, v126, v124, v148
	v_and_b32_e32 v152, 3, v152
	v_and_b32_e32 v126, 3, v123
	v_dual_lshrrev_b32 v136, 4, v136 :: v_dual_bitop2_b32 v148, 3, v119 bitop3:0x40
	v_mul_lo_u32 v112, 0x1010101, v112
	s_delay_alu instid0(VALU_DEP_4)
	v_mul_i32_i24_e32 v152, v152, v155
	v_and_b32_e32 v155, 3, v131
	v_and_b32_e32 v141, 3, v141
	v_mul_i32_i24_e32 v130, v130, v158
	v_cvt_f32_f16_e32 v74, v74
	v_add3_u32 v120, v120, v137, v152
	v_dual_lshrrev_b32 v137, 8, v119 :: v_dual_bitop2_b32 v152, 3, v129 bitop3:0x40
	v_mul_i32_i24_e32 v148, v148, v159
	v_mul_i32_i24_e32 v155, v155, v159
	v_lshrrev_b32_e32 v159, 16, v125
	v_mul_i32_i24_e32 v126, v126, v161
	v_mul_i32_i24_e32 v152, v152, v161
	v_dual_lshrrev_b32 v161, 16, v128 :: v_dual_lshrrev_b32 v128, 24, v128
	s_delay_alu instid0(VALU_DEP_4) | instskip(SKIP_1) | instid1(VALU_DEP_3)
	v_dual_lshrrev_b32 v125, 24, v125 :: v_dual_bitop2_b32 v159, 3, v159 bitop3:0x40
	v_mul_i32_i24_e32 v147, v147, v153
	v_and_b32_e32 v161, 3, v161
	s_delay_alu instid0(VALU_DEP_4)
	v_and_b32_e32 v128, 3, v128
	v_and_b32_e32 v137, 3, v137
	;; [unrolled: 1-line block ×4, first 2 shown]
	v_mul_i32_i24_e32 v141, v141, v158
	v_mul_i32_i24_e32 v128, v128, v149
	v_lshrrev_b32_e32 v149, 8, v129
	v_mul_i32_i24_e32 v111, v111, v150
	v_mul_i32_i24_e32 v125, v125, v150
	v_lshrrev_b32_e32 v150, 8, v131
	v_mul_i32_i24_e32 v172, v172, v153
	v_and_b32_e32 v149, 3, v149
	v_mul_i32_i24_e32 v137, v137, v163
	v_mul_i32_i24_e32 v168, v168, v156
	v_and_b32_e32 v150, 3, v150
	v_mul_i32_i24_e32 v109, v109, v156
	v_mul_i32_i24_e32 v149, v149, v162
	v_lshrrev_b32_e32 v162, 16, v131
	v_mul_i32_i24_e32 v153, v161, v153
	v_dual_lshrrev_b32 v161, 16, v119 :: v_dual_lshrrev_b32 v119, 24, v119
	v_mul_i32_i24_e32 v117, v117, v151
	v_mul_i32_i24_e32 v151, v159, v151
	v_dual_lshrrev_b32 v159, 16, v123 :: v_dual_lshrrev_b32 v123, 24, v123
	v_mul_i32_i24_e32 v150, v150, v163
	v_dual_lshrrev_b32 v163, 16, v129 :: v_dual_lshrrev_b32 v129, 24, v129
	v_and_b32_e32 v161, 3, v161
	v_dual_lshrrev_b32 v131, 24, v131 :: v_dual_bitop2_b32 v162, 3, v162 bitop3:0x40
	v_and_b32_e32 v123, 3, v123
	s_delay_alu instid0(VALU_DEP_4) | instskip(NEXT) | instid1(VALU_DEP_4)
	v_and_b32_e32 v129, 3, v129
	v_mul_i32_i24_e32 v161, v161, v158
	s_delay_alu instid0(VALU_DEP_4)
	v_mul_i32_i24_e32 v158, v162, v158
	v_lshrrev_b16 v162, 8, v134
	v_and_b32_e32 v159, 3, v159
	v_and_b32_e32 v119, 3, v119
	;; [unrolled: 1-line block ×4, first 2 shown]
	v_mul_lo_u32 v136, 0x1010101, v136
	v_and_b32_e32 v113, 3, v113
	v_mul_i32_i24_e32 v123, v123, v156
	v_mul_i32_i24_e32 v129, v129, v156
	v_bfe_i32 v156, v162, 0, 8
	v_lshrrev_b32_e32 v162, 24, v133
	v_mul_i32_i24_e32 v140, v140, v157
	v_mul_i32_i24_e32 v113, v113, v157
	v_mul_i32_i24_e32 v159, v159, v160
	v_mul_i32_i24_e32 v119, v119, v157
	v_mul_i32_i24_e32 v131, v131, v157
	v_bfe_i32 v157, v134, 16, 8
	v_mul_i32_i24_e32 v162, v6, v162
	v_and_b32_e32 v175, 0xffff, v7
	v_lshrrev_b32_e32 v7, 24, v145
	v_mul_i32_i24_e32 v146, v146, v160
	v_mul_i32_i24_e32 v160, v163, v160
	v_bfe_i32 v163, v134, 0, 8
	v_lshrrev_b32_e32 v134, 24, v134
	v_mul_i32_i24_e32 v156, v169, v156
	v_bfe_i32 v169, v133, 8, 8
	v_mul_i32_i24_e32 v7, v6, v7
	v_add3_u32 v106, v106, v117, v118
	v_mad_i32_i24 v134, v170, v134, v162
	v_bfe_i32 v170, v133, 16, 8
	v_bfe_i32 v133, v133, 0, 8
	;; [unrolled: 1-line block ×3, first 2 shown]
	v_add3_u32 v106, v106, v148, v137
	v_add3_u32 v103, v138, v103, v139
	v_mul_i32_i24_e32 v170, v166, v170
	v_mul_i32_i24_e32 v133, v167, v133
	v_mul_i32_i24_e32 v162, v166, v162
	v_add3_u32 v104, v107, v104, v142
	v_add3_u32 v107, v116, v172, v122
	v_mad_i32_i24 v157, v164, v157, v170
	v_bfe_i32 v164, v112, 16, 8
	v_bfe_i32 v170, v136, 16, 8
	v_mad_i32_i24 v133, v165, v163, v133
	v_bfe_i32 v163, v112, 0, 8
	v_bfe_i32 v165, v136, 0, 8
	v_mul_i32_i24_e32 v164, v166, v164
	v_mul_i32_i24_e32 v166, v166, v170
	v_bfe_i32 v170, v112, 8, 8
	v_mul_i32_i24_e32 v163, v167, v163
	v_mul_i32_i24_e32 v165, v167, v165
	v_bfe_i32 v167, v136, 8, 8
	v_lshrrev_b32_e32 v112, 24, v112
	v_mul_i32_i24_e32 v170, v177, v170
	v_lshrrev_b32_e32 v136, 24, v136
	v_add3_u32 v7, v102, v162, v7
	v_mul_i32_i24_e32 v167, v177, v167
	v_mul_i32_i24_e32 v112, v6, v112
	v_add3_u32 v72, v72, v163, v170
	v_add3_u32 v102, v105, v110, v111
	;; [unrolled: 1-line block ×3, first 2 shown]
	v_mul_i32_i24_e32 v6, v6, v136
	v_add3_u32 v73, v73, v165, v167
	v_add3_u32 v72, v72, v164, v112
	;; [unrolled: 1-line block ×6, first 2 shown]
	v_cvt_f32_i32_e32 v6, v7
	v_cvt_f32_i32_e32 v7, v72
	v_add3_u32 v72, v110, v158, v131
	v_add3_u32 v108, v120, v153, v128
	v_cvt_f32_i32_e32 v110, v73
	v_add3_u32 v73, v102, v141, v113
	v_add3_u32 v102, v106, v161, v119
	v_mul_lo_u32 v72, v72, v77
	v_add3_u32 v103, v103, v130, v140
	v_add3_u32 v108, v108, v152, v149
	v_and_b32_e32 v174, 15, v176
	v_mul_lo_u32 v76, v102, v76
	v_and_b32_e32 v171, 0xffff, v171
	v_add3_u32 v107, v107, v126, v154
	v_mul_lo_u32 v77, v103, v132
	v_add3_u32 v103, v108, v160, v129
	v_mul_i32_i24_e32 v169, v177, v169
	v_mul_lo_u32 v75, v73, v75
	v_and_b32_e32 v114, 15, v114
	v_and_b32_e32 v174, 0xffff, v174
	v_add3_u32 v105, v105, v127, v143
	v_add3_u32 v102, v107, v159, v123
	v_mad_u32 v72, v103, v171, v72
	v_add3_u32 v111, v156, v169, v134
	v_and_b32_e32 v114, 0xffff, v114
	v_add3_u32 v104, v104, v144, v168
	v_add3_u32 v103, v105, v146, v109
	v_mad_u32 v76, v102, v174, v76
	v_add3_u32 v111, v133, v157, v111
	v_pk_mul_f32 v[4:5], v[4:5], v[6:7]
	v_mad_u32 v77, v104, v175, v77
	v_mad_u32 v75, v103, v114, v75
	v_mul_f32_e32 v6, v74, v110
	v_cvt_f32_i32_e32 v73, v111
	v_cvt_f32_i32_e32 v72, v72
	;; [unrolled: 1-line block ×3, first 2 shown]
	s_delay_alu instid0(VALU_DEP_2) | instskip(SKIP_2) | instid1(VALU_DEP_3)
	v_pk_mul_f32 v[2:3], v[2:3], v[72:73]
	v_cvt_f32_i32_e32 v72, v77
	v_cvt_f32_i32_e32 v73, v75
	v_dual_mul_f32 v74, v173, v7 :: v_dual_mov_b32 v75, v2
	s_delay_alu instid0(VALU_DEP_4) | instskip(NEXT) | instid1(VALU_DEP_3)
	v_mov_b32_e32 v7, v3
	v_pk_fma_f32 v[0:1], v[0:1], v[72:73], v[4:5] neg_lo:[0,0,1] neg_hi:[0,0,1]
	s_delay_alu instid0(VALU_DEP_2) | instskip(NEXT) | instid1(VALU_DEP_2)
	v_pk_add_f32 v[2:3], v[74:75], v[6:7] neg_lo:[0,1] neg_hi:[0,1]
	v_pk_fma_f32 v[22:23], v[70:71], v[0:1], v[22:23] op_sel_hi:[0,1,1]
	s_delay_alu instid0(VALU_DEP_2)
	v_pk_fma_f32 v[20:21], v[70:71], v[2:3], v[20:21] op_sel_hi:[0,1,1]
	s_cbranch_scc1 .LBB187_11
; %bb.12:                               ;   in Loop: Header=BB187_5 Depth=1
	s_or_b32 s1, s17, 0x80
	s_delay_alu instid0(SALU_CYCLE_1)
	s_cmp_ge_i32 s1, s11
	s_barrier_signal -1
	s_barrier_wait -1
	s_cbranch_scc1 .LBB187_4
; %bb.13:                               ;   in Loop: Header=BB187_5 Depth=1
	v_add_nc_u32_e32 v0, s19, v67
	s_delay_alu instid0(VALU_DEP_1) | instskip(SKIP_1) | instid1(SALU_CYCLE_1)
	v_cmp_gt_i32_e64 s1, s10, v0
	s_and_b32 s20, s0, s1
	s_and_saveexec_b32 s1, s20
	s_cbranch_execz .LBB187_15
; %bb.14:                               ;   in Loop: Header=BB187_5 Depth=1
	v_add_nc_u32_e32 v0, v30, v0
	s_delay_alu instid0(VALU_DEP_1)
	v_mad_nc_i64_i32 v[0:1], v0, 36, v[38:39]
	global_load_b32 v0, v[0:1], off offset:4
	s_wait_loadcnt 0x0
	ds_store_b32 v53, v0
.LBB187_15:                             ;   in Loop: Header=BB187_5 Depth=1
	s_or_b32 exec_lo, exec_lo, s1
	s_and_saveexec_b32 s20, vcc_lo
	s_cbranch_execz .LBB187_18
; %bb.16:                               ;   in Loop: Header=BB187_5 Depth=1
	v_or_b32_e32 v0, 4, v68
	s_delay_alu instid0(VALU_DEP_1) | instskip(SKIP_1) | instid1(SALU_CYCLE_1)
	v_cmp_gt_i32_e64 s1, s10, v0
	s_and_b32 s1, s0, s1
	s_and_b32 exec_lo, exec_lo, s1
	s_cbranch_execz .LBB187_18
; %bb.17:                               ;   in Loop: Header=BB187_5 Depth=1
	v_ashrrev_i32_e32 v69, 31, v68
	s_delay_alu instid0(VALU_DEP_1) | instskip(NEXT) | instid1(VALU_DEP_1)
	v_add_nc_u64_e32 v[0:1], v[30:31], v[68:69]
	v_mad_nc_u64_u32 v[2:3], v0, 36, s[2:3]
	s_delay_alu instid0(VALU_DEP_1)
	v_mad_i32_i24 v3, v1, 36, v3
	global_load_b32 v0, v[2:3], off offset:144
	s_wait_loadcnt 0x0
	v_cvt_f32_f16_e32 v0, v0
	ds_store_b32 v57, v0
.LBB187_18:                             ;   in Loop: Header=BB187_5 Depth=1
	s_or_b32 exec_lo, exec_lo, s20
	v_dual_mov_b32 v69, v51 :: v_dual_mov_b32 v71, v55
	s_mov_b32 s1, 8
	s_wait_dscnt 0x0
	s_barrier_signal -1
	s_barrier_wait -1
.LBB187_19:                             ;   Parent Loop BB187_5 Depth=1
                                        ; =>  This Inner Loop Header: Depth=2
	s_and_b32 s22, s1, 0x3ffffff8
	ds_load_b32 v70, v71
	ds_load_b128 v[4:7], v69
	ds_load_b128 v[0:3], v69 offset:16
	v_lshl_add_u32 v102, s22, 2, v80
	s_lshr_b32 s23, s1, 2
	s_and_b32 s21, s1, -16
	s_and_b32 s22, s23, 0x3ffffffc
	s_add_co_i32 s21, s1, s21
	ds_load_2addr_b32 v[72:73], v102 offset0:4 offset1:7
	s_addk_co_i32 s22, 0x5280
	v_dual_add_nc_u32 v103, s21, v59 :: v_dual_add_nc_u32 v104, s21, v61
	v_dual_add_nc_u32 v105, s21, v63 :: v_dual_add_nc_u32 v108, s21, v65
	v_add3_u32 v109, s22, v101, v85
	v_add3_u32 v110, s22, v86, v87
	v_add3_u32 v111, s22, v88, v89
	v_add3_u32 v112, s22, v90, v91
	v_add_nc_u32_e32 v113, 0x1080, v102
	v_add_nc_u32_e32 v114, 0x1088, v102
	;; [unrolled: 1-line block ×12, first 2 shown]
	ds_load_2addr_b32 v[76:77], v102 offset1:1
	ds_load_2addr_b32 v[74:75], v102 offset0:2 offset1:3
	ds_load_2addr_b32 v[106:107], v102 offset0:5 offset1:6
	ds_load_u16 v132, v103 offset:16896
	ds_load_u16 v133, v108 offset:19968
	;; [unrolled: 1-line block ×4, first 2 shown]
	ds_load_b32 v135, v109
	ds_load_b32 v136, v110
	;; [unrolled: 1-line block ×4, first 2 shown]
	ds_load_2addr_b32 v[108:109], v115 offset0:36 offset1:39
	ds_load_2addr_b32 v[110:111], v113 offset1:1
	ds_load_2addr_b32 v[112:113], v114 offset1:1
	;; [unrolled: 1-line block ×11, first 2 shown]
	s_wait_dscnt 0x18
	v_lshrrev_b16 v139, 8, v0
	v_dual_ashrrev_i32 v140, 24, v4 :: v_dual_ashrrev_i32 v147, 24, v5
	v_dual_ashrrev_i32 v141, 24, v0 :: v_dual_ashrrev_i32 v148, 24, v1
	v_bfe_i32 v142, v5, 8, 8
	v_bfe_i32 v143, v0, 0, 8
	;; [unrolled: 1-line block ×5, first 2 shown]
	v_lshrrev_b16 v0, 8, v1
	v_bfe_i32 v149, v4, 8, 8
	v_bfe_i32 v150, v1, 0, 8
	v_bfe_i32 v151, v1, 16, 8
	v_bfe_i32 v152, v5, 0, 8
	v_bfe_i32 v153, v5, 16, 8
	v_lshrrev_b16 v1, 8, v6
	v_dual_ashrrev_i32 v154, 24, v2 :: v_dual_ashrrev_i32 v102, 24, v3
	v_bfe_i32 v158, v2, 16, 8
	v_bfe_i32 v159, v2, 0, 8
	;; [unrolled: 1-line block ×3, first 2 shown]
	v_lshrrev_b16 v2, 8, v7
	s_add_co_i32 s20, s1, -8
	v_dual_ashrrev_i32 v155, 24, v6 :: v_dual_ashrrev_i32 v103, 24, v7
	v_bfe_i32 v156, v6, 16, 8
	v_bfe_i32 v157, v6, 0, 8
	;; [unrolled: 1-line block ×10, first 2 shown]
	v_dual_add_nc_u32 v0, v148, v141 :: v_dual_add_nc_u32 v1, v147, v140
	v_dual_add_nc_u32 v2, v153, v146 :: v_dual_add_nc_u32 v3, v152, v145
	;; [unrolled: 1-line block ×3, first 2 shown]
	s_wait_dscnt 0x16
	v_dual_add_nc_u32 v6, v149, v142 :: v_dual_ashrrev_i32 v76, s20, v76
	s_wait_dscnt 0x15
	v_dual_ashrrev_i32 v77, s20, v77 :: v_dual_ashrrev_i32 v75, s20, v75
	v_dual_ashrrev_i32 v72, s20, v72 :: v_dual_ashrrev_i32 v73, s20, v73
	v_bfe_i32 v139, v139, 0, 8
	s_wait_dscnt 0x11
	v_lshrrev_b16 v171, 8, v134
	v_bfe_u32 v172, v134, 4, 4
	v_and_b32_e32 v134, 15, v134
	s_wait_dscnt 0x10
	v_lshrrev_b16 v173, 8, v105
	v_bfe_u32 v174, v105, 4, 4
	v_and_b32_e32 v105, 15, v105
	v_add3_u32 v176, v6, v165, v166
	v_add3_u32 v177, v1, v155, v103
	;; [unrolled: 1-line block ×6, first 2 shown]
	s_wait_dscnt 0xd
	v_cvt_f32_f16_e64 v6, v137
	v_lshrrev_b32_e32 v3, 16, v137
	v_cvt_f32_f16_e64 v1, v136
	v_cvt_f32_f16_e64 v0, v135
	v_dual_lshrrev_b32 v4, 16, v136 :: v_dual_lshrrev_b32 v135, 16, v135
	s_wait_dscnt 0xc
	v_lshrrev_b32_e32 v136, 16, v138
	v_cvt_f32_f16_e64 v2, v138
	v_and_b32_e32 v137, 3, v77
	v_bfe_u32 v138, v77, 8, 2
	v_bfe_u32 v183, v77, 16, 2
	v_dual_lshrrev_b32 v77, 24, v77 :: v_dual_bitop2_b32 v187, 3, v72 bitop3:0x40
	v_bfe_u32 v188, v72, 8, 2
	v_bfe_u32 v189, v72, 16, 2
	v_dual_lshrrev_b32 v72, 24, v72 :: v_dual_ashrrev_i32 v74, s20, v74
	v_ashrrev_i32_e32 v107, s20, v107
	v_dual_lshrrev_b32 v186, 16, v75 :: v_dual_bitop2_b32 v184, 3, v75 bitop3:0x40
	v_bfe_u32 v185, v75, 8, 2
	s_wait_dscnt 0x9
	v_dual_ashrrev_i32 v113, s20, v113 :: v_dual_ashrrev_i32 v108, s20, v108
	s_wait_dscnt 0x5
	v_dual_ashrrev_i32 v117, s20, v117 :: v_dual_ashrrev_i32 v120, s20, v120
	;; [unrolled: 2-line block ×3, first 2 shown]
	v_dual_lshrrev_b32 v75, 24, v75 :: v_dual_ashrrev_i32 v122, s20, v122
	v_dual_ashrrev_i32 v118, s20, v118 :: v_dual_ashrrev_i32 v123, s20, v123
	v_mul_i32_i24_e32 v137, v137, v152
	v_mul_i32_i24_e32 v188, v188, v139
	v_and_b32_e32 v77, 3, v77
	v_dual_ashrrev_i32 v106, s20, v106 :: v_dual_bitop2_b32 v72, 3, v72 bitop3:0x40
	v_dual_ashrrev_i32 v110, s20, v110 :: v_dual_ashrrev_i32 v111, s20, v111
	v_lshrrev_b16 v167, 8, v132
	v_dual_ashrrev_i32 v109, s20, v109 :: v_dual_ashrrev_i32 v116, s20, v116
	v_dual_lshrrev_b32 v198, 16, v74 :: v_dual_bitop2_b32 v196, 3, v74 bitop3:0x40
	v_dual_ashrrev_i32 v114, s20, v114 :: v_dual_bitop2_b32 v202, 3, v107 bitop3:0x40
	v_and_b32_e32 v214, 3, v108
	v_and_b32_e32 v226, 3, v120
	;; [unrolled: 1-line block ×3, first 2 shown]
	v_mad_i32_i24 v137, v138, v142, v137
	v_mul_i32_i24_e32 v183, v183, v153
	v_mul_i32_i24_e32 v77, v77, v147
	v_mad_i32_i24 v187, v187, v143, v188
	v_mul_i32_i24_e32 v189, v189, v144
	v_mul_i32_i24_e32 v72, v72, v141
	v_bfe_u32 v168, v132, 4, 4
	v_and_b32_e32 v132, 15, v132
	v_bfe_u32 v170, v133, 4, 4
	v_add3_u32 v179, v5, v159, v162
	v_dual_ashrrev_i32 v121, s20, v121 :: v_dual_ashrrev_i32 v124, s20, v124
	v_dual_ashrrev_i32 v127, s20, v127 :: v_dual_ashrrev_i32 v112, s20, v112
	v_dual_lshrrev_b32 v197, 8, v74 :: v_dual_bitop2_b32 v193, 3, v76 bitop3:0x40
	v_dual_lshrrev_b32 v74, 24, v74 :: v_dual_ashrrev_i32 v115, s20, v115
	v_dual_lshrrev_b32 v200, 8, v106 :: v_dual_bitop2_b32 v199, 3, v106 bitop3:0x40
	v_and_b32_e32 v207, 0xffff, v171
	v_and_b32_e32 v171, 15, v171
	v_cvt_f32_f16_e32 v5, v4
	v_cvt_f32_f16_e64 v4, v135
	v_dual_lshrrev_b32 v219, 16, v109 :: v_dual_bitop2_b32 v135, 3, v111 bitop3:0x40
	v_bfe_u32 v215, v108, 8, 2
	v_bfe_u32 v216, v108, 16, 2
	v_dual_lshrrev_b32 v108, 24, v108 :: v_dual_bitop2_b32 v223, 3, v117 bitop3:0x40
	v_dual_ashrrev_i32 v119, s20, v119 :: v_dual_bitop2_b32 v235, 3, v125 bitop3:0x40
	s_wait_dscnt 0x1
	v_ashrrev_i32_e32 v128, s20, v128
	v_and_b32_e32 v205, 0xffff, v167
	v_dual_lshrrev_b32 v213, 16, v113 :: v_dual_bitop2_b32 v167, 15, v167 bitop3:0x40
	v_dual_lshrrev_b32 v138, 8, v112 :: v_dual_bitop2_b32 v211, 3, v113 bitop3:0x40
	v_bfe_u32 v212, v113, 8, 2
	v_and_b32_e32 v220, 3, v116
	v_bfe_u32 v227, v120, 8, 2
	v_bfe_u32 v239, v126, 8, 2
	v_add3_u32 v77, v137, v183, v77
	v_and_b32_e32 v183, 3, v198
	v_dual_lshrrev_b32 v188, 8, v114 :: v_dual_bitop2_b32 v198, 3, v114 bitop3:0x40
	v_add3_u32 v72, v187, v189, v72
	v_dual_lshrrev_b32 v187, 16, v114 :: v_dual_lshrrev_b32 v114, 24, v114
	v_lshrrev_b32_e32 v113, 24, v113
	v_mul_i32_i24_e32 v214, v214, v143
	v_mul_i32_i24_e32 v226, v226, v143
	;; [unrolled: 1-line block ×3, first 2 shown]
	v_lshrrev_b16 v169, 8, v133
	v_dual_lshrrev_b32 v192, 16, v73 :: v_dual_bitop2_b32 v190, 3, v73 bitop3:0x40
	v_bfe_u32 v191, v73, 8, 2
	v_bfe_u32 v194, v76, 8, 2
	;; [unrolled: 1-line block ×4, first 2 shown]
	v_dual_lshrrev_b32 v201, 16, v106 :: v_dual_lshrrev_b32 v106, 24, v106
	v_dual_lshrrev_b32 v203, 8, v107 :: v_dual_lshrrev_b32 v204, 16, v107
	;; [unrolled: 1-line block ×3, first 2 shown]
	s_wait_dscnt 0x0
	v_dual_ashrrev_i32 v130, s20, v130 :: v_dual_ashrrev_i32 v129, s20, v129
	v_ashrrev_i32_e32 v131, s20, v131
	v_mul_lo_u32 v170, 0x1010101, v170
	v_and_b32_e32 v208, 0xffff, v173
	v_and_b32_e32 v173, 15, v173
	v_cvt_f32_f16_e64 v209, v3
	v_cvt_f32_f16_e64 v3, v136
	v_bfe_u32 v136, v111, 8, 2
	v_bfe_u32 v210, v111, 16, 2
	v_dual_lshrrev_b32 v111, 24, v111 :: v_dual_bitop2_b32 v217, 3, v109 bitop3:0x40
	v_lshrrev_b32_e32 v137, 16, v112
	v_bfe_u32 v221, v116, 8, 2
	v_bfe_u32 v222, v116, 16, 2
	;; [unrolled: 1-line block ×8, first 2 shown]
	v_and_b32_e32 v232, 3, v124
	v_bfe_u32 v233, v124, 8, 2
	v_bfe_u32 v234, v124, 16, 2
	;; [unrolled: 1-line block ×8, first 2 shown]
	v_and_b32_e32 v244, 3, v110
	v_bfe_u32 v245, v110, 8, 2
	v_bfe_u32 v246, v110, 24, 2
	;; [unrolled: 1-line block ×3, first 2 shown]
	v_dual_lshrrev_b32 v238, 8, v118 :: v_dual_bitop2_b32 v247, 3, v112 bitop3:0x40
	v_lshrrev_b32_e32 v112, 24, v112
	v_and_b32_e32 v200, 3, v200
	v_mul_i32_i24_e32 v135, v135, v152
	v_mul_i32_i24_e32 v223, v223, v152
	;; [unrolled: 1-line block ×3, first 2 shown]
	v_and_b32_e32 v108, 3, v108
	v_dual_add_nc_u32 v175, v164, v139 :: v_dual_bitop2_b32 v133, 15, v133 bitop3:0x40
	v_mul_lo_u32 v168, 0x1010101, v168
	v_mul_lo_u32 v172, 0x1010101, v172
	v_mad_i32_i24 v214, v215, v139, v214
	v_mad_i32_i24 v226, v227, v139, v226
	;; [unrolled: 1-line block ×3, first 2 shown]
	v_dual_lshrrev_b32 v205, 4, v205 :: v_dual_bitop2_b32 v239, 3, v119 bitop3:0x40
	v_and_b32_e32 v206, 0xffff, v169
	v_and_b32_e32 v169, 15, v169
	v_mul_lo_u32 v174, 0x1010101, v174
	v_dual_lshrrev_b32 v235, 8, v115 :: v_dual_bitop2_b32 v229, 3, v121 bitop3:0x40
	v_bfe_u32 v230, v121, 8, 2
	v_and_b32_e32 v241, 3, v127
	v_bfe_u32 v242, v127, 8, 2
	v_dual_lshrrev_b32 v215, 16, v122 :: v_dual_bitop2_b32 v197, 3, v197 bitop3:0x40
	v_mul_i32_i24_e32 v193, v145, v193
	v_mul_i32_i24_e32 v76, v146, v76
	;; [unrolled: 1-line block ×4, first 2 shown]
	v_and_b32_e32 v189, 3, v201
	v_and_b32_e32 v106, 3, v106
	;; [unrolled: 1-line block ×3, first 2 shown]
	v_mad_i32_i24 v135, v136, v142, v135
	v_lshrrev_b32_e32 v136, 16, v115
	v_mul_i32_i24_e32 v199, v199, v150
	v_and_b32_e32 v73, 3, v73
	v_mad_i32_i24 v223, v224, v142, v223
	v_and_b32_e32 v224, 3, v118
	v_mad_i32_i24 v142, v236, v142, v152
	v_dual_lshrrev_b32 v236, 8, v122 :: v_dual_bitop2_b32 v152, 3, v122 bitop3:0x40
	v_lshrrev_b32_e32 v122, 24, v122
	v_mul_i32_i24_e32 v244, v145, v244
	v_mul_i32_i24_e32 v220, v145, v220
	;; [unrolled: 1-line block ×3, first 2 shown]
	v_lshrrev_b32_e32 v232, 8, v123
	v_mul_i32_i24_e32 v210, v210, v153
	v_mul_i32_i24_e32 v225, v225, v153
	;; [unrolled: 1-line block ×3, first 2 shown]
	v_and_b32_e32 v237, 3, v130
	v_mul_i32_i24_e32 v216, v216, v144
	v_mul_i32_i24_e32 v110, v146, v110
	;; [unrolled: 1-line block ×4, first 2 shown]
	v_dual_lshrrev_b32 v206, 4, v206 :: v_dual_bitop2_b32 v234, 3, v131 bitop3:0x40
	v_mul_i32_i24_e32 v246, v140, v246
	v_mul_i32_i24_e32 v116, v116, v140
	v_mul_i32_i24_e32 v124, v124, v140
	v_dual_lshrrev_b32 v140, 8, v128 :: v_dual_bitop2_b32 v111, 3, v111 bitop3:0x40
	v_lshrrev_b32_e32 v208, 4, v208
	v_mul_i32_i24_e32 v117, v117, v147
	v_mul_i32_i24_e32 v125, v125, v147
	;; [unrolled: 1-line block ×5, first 2 shown]
	v_dual_lshrrev_b32 v141, 8, v129 :: v_dual_bitop2_b32 v188, 3, v188 bitop3:0x40
	v_mul_i32_i24_e32 v200, v200, v164
	v_mul_lo_u32 v205, 0x1010101, v205
	v_bfe_u32 v218, v109, 8, 2
	v_bfe_u32 v231, v121, 16, 2
	;; [unrolled: 1-line block ×3, first 2 shown]
	v_mul_i32_i24_e32 v184, v184, v161
	v_and_b32_e32 v74, 3, v74
	v_mul_i32_i24_e32 v194, v149, v194
	v_dual_lshrrev_b32 v109, 24, v109 :: v_dual_bitop2_b32 v203, 3, v203 bitop3:0x40
	v_dual_lshrrev_b32 v227, 16, v118 :: v_dual_lshrrev_b32 v118, 24, v118
	v_and_b32_e32 v143, 3, v123
	v_mul_i32_i24_e32 v229, v229, v150
	v_mul_i32_i24_e32 v247, v247, v157
	;; [unrolled: 1-line block ×4, first 2 shown]
	v_lshrrev_b32_e32 v237, 16, v119
	v_mul_i32_i24_e32 v198, v198, v150
	v_mul_i32_i24_e32 v150, v241, v150
	v_dual_lshrrev_b32 v241, 16, v123 :: v_dual_lshrrev_b32 v123, 24, v123
	v_mul_i32_i24_e32 v211, v211, v161
	v_mul_i32_i24_e32 v239, v239, v161
	;; [unrolled: 1-line block ×3, first 2 shown]
	v_lshrrev_b32_e32 v234, 8, v130
	v_mul_i32_i24_e32 v230, v230, v164
	v_mul_i32_i24_e32 v242, v242, v164
	;; [unrolled: 1-line block ×3, first 2 shown]
	v_lshrrev_b32_e32 v188, 8, v131
	v_and_b32_e32 v187, 3, v187
	v_mul_i32_i24_e32 v189, v189, v151
	v_and_b32_e32 v114, 3, v114
	v_mul_i32_i24_e32 v106, v106, v148
	v_mul_i32_i24_e32 v248, v73, v102
	v_and_b32_e32 v73, 3, v236
	v_and_b32_e32 v232, 3, v232
	;; [unrolled: 1-line block ×4, first 2 shown]
	v_mul_lo_u32 v208, 0x1010101, v208
	v_and_b32_e32 v235, 3, v235
	v_add3_u32 v77, v77, v196, v193
	v_add3_u32 v108, v214, v216, v108
	;; [unrolled: 1-line block ×5, first 2 shown]
	v_bfe_u32 v121, v121, 24, 2
	v_bfe_u32 v127, v127, 24, 2
	v_mul_i32_i24_e32 v245, v149, v245
	v_mul_i32_i24_e32 v221, v221, v149
	;; [unrolled: 1-line block ×3, first 2 shown]
	v_and_b32_e32 v233, 3, v128
	v_add3_u32 v175, v175, v160, v163
	v_and_b32_e32 v75, 3, v75
	v_and_b32_e32 v192, 3, v192
	v_mul_i32_i24_e32 v191, v191, v163
	v_mul_i32_i24_e32 v111, v111, v147
	v_dual_lshrrev_b32 v147, 16, v130 :: v_dual_lshrrev_b32 v130, 24, v130
	v_mul_i32_i24_e32 v231, v231, v151
	v_mul_i32_i24_e32 v243, v243, v151
	v_dual_lshrrev_b32 v142, 24, v205 :: v_dual_bitop2_b32 v138, 3, v138 bitop3:0x40
	v_mul_i32_i24_e32 v197, v197, v165
	v_mul_i32_i24_e32 v203, v203, v160
	v_mul_i32_i24_e32 v218, v218, v163
	v_and_b32_e32 v236, 3, v238
	v_and_b32_e32 v234, 3, v234
	v_mul_i32_i24_e32 v235, v235, v160
	v_mul_i32_i24_e32 v73, v73, v160
	;; [unrolled: 1-line block ×3, first 2 shown]
	v_lshrrev_b32_e32 v160, 24, v168
	v_mul_i32_i24_e32 v151, v187, v151
	v_mul_i32_i24_e32 v232, v232, v163
	;; [unrolled: 1-line block ×3, first 2 shown]
	v_lshrrev_b32_e32 v163, 24, v172
	v_mul_i32_i24_e32 v114, v114, v148
	v_add3_u32 v76, v77, v194, v76
	v_add3_u32 v77, v108, v198, v164
	;; [unrolled: 1-line block ×5, first 2 shown]
	v_mul_i32_i24_e32 v228, v228, v144
	v_mul_i32_i24_e32 v144, v240, v144
	;; [unrolled: 1-line block ×4, first 2 shown]
	v_lshrrev_b32_e32 v187, 16, v129
	v_mul_i32_i24_e32 v152, v152, v159
	v_mul_i32_i24_e32 v121, v121, v148
	;; [unrolled: 1-line block ×3, first 2 shown]
	v_dual_lshrrev_b32 v148, 16, v131 :: v_dual_lshrrev_b32 v131, 24, v131
	v_mul_i32_i24_e32 v159, v233, v159
	v_dual_lshrrev_b32 v207, 4, v207 :: v_dual_bitop2_b32 v233, 3, v129 bitop3:0x40
	v_lshrrev_b32_e32 v240, 8, v119
	v_mul_i32_i24_e32 v183, v183, v156
	v_mul_i32_i24_e32 v74, v74, v155
	v_and_b32_e32 v227, 3, v227
	v_and_b32_e32 v147, 3, v147
	;; [unrolled: 1-line block ×3, first 2 shown]
	v_mul_lo_u32 v206, 0x1010101, v206
	v_and_b32_e32 v137, 3, v137
	v_mul_i32_i24_e32 v138, v138, v165
	v_mul_i32_i24_e32 v236, v236, v165
	;; [unrolled: 1-line block ×3, first 2 shown]
	v_add3_u32 v111, v135, v210, v111
	v_add3_u32 v76, v76, v195, v197
	;; [unrolled: 1-line block ×7, first 2 shown]
	v_mul_lo_u32 v207, 0x1010101, v207
	v_dual_lshrrev_b32 v119, 24, v119 :: v_dual_bitop2_b32 v204, 3, v204 bitop3:0x40
	v_and_b32_e32 v186, 3, v186
	v_mul_i32_i24_e32 v185, v185, v166
	v_and_b32_e32 v118, 3, v118
	v_and_b32_e32 v238, 3, v240
	;; [unrolled: 1-line block ×3, first 2 shown]
	v_bfe_i32 v234, v168, 16, 8
	v_mul_i32_i24_e32 v137, v137, v156
	v_mul_i32_i24_e32 v227, v227, v156
	;; [unrolled: 1-line block ×3, first 2 shown]
	v_bfe_i32 v156, v168, 8, 8
	v_bfe_i32 v168, v168, 0, 8
	v_mul_i32_i24_e32 v130, v130, v155
	v_add3_u32 v111, v111, v247, v244
	v_add3_u32 v74, v76, v183, v74
	;; [unrolled: 1-line block ×5, first 2 shown]
	v_mul_i32_i24_e32 v190, v190, v162
	v_and_b32_e32 v107, 3, v107
	v_mul_i32_i24_e32 v217, v217, v162
	v_lshrrev_b32_e32 v129, 24, v129
	v_mul_i32_i24_e32 v143, v143, v162
	v_mul_i32_i24_e32 v162, v233, v162
	v_dual_lshrrev_b32 v233, 16, v128 :: v_dual_lshrrev_b32 v128, 24, v128
	v_add3_u32 v108, v120, v229, v230
	v_add3_u32 v120, v126, v150, v242
	v_and_b32_e32 v112, 3, v112
	v_and_b32_e32 v213, 3, v213
	;; [unrolled: 1-line block ×3, first 2 shown]
	v_mul_i32_i24_e32 v212, v212, v166
	v_mul_i32_i24_e32 v186, v186, v104
	;; [unrolled: 1-line block ×3, first 2 shown]
	v_and_b32_e32 v237, 3, v237
	v_and_b32_e32 v119, 3, v119
	;; [unrolled: 1-line block ×4, first 2 shown]
	v_mul_i32_i24_e32 v118, v118, v155
	v_mul_i32_i24_e32 v238, v238, v166
	v_mul_i32_i24_e32 v166, v188, v166
	v_mul_i32_i24_e32 v168, v181, v168
	v_add3_u32 v110, v111, v245, v110
	v_add3_u32 v74, v74, v184, v185
	;; [unrolled: 1-line block ×3, first 2 shown]
	v_dual_lshrrev_b32 v115, 24, v115 :: v_dual_bitop2_b32 v136, 3, v136 bitop3:0x40
	v_add_nc_u32_e32 v71, 4, v71
	v_mul_i32_i24_e32 v204, v204, v158
	v_mul_i32_i24_e32 v107, v107, v154
	v_and_b32_e32 v215, 3, v215
	v_and_b32_e32 v233, 3, v233
	;; [unrolled: 1-line block ×3, first 2 shown]
	v_add3_u32 v72, v72, v202, v203
	v_add3_u32 v111, v120, v243, v127
	v_mul_i32_i24_e32 v213, v213, v104
	v_mul_i32_i24_e32 v237, v237, v104
	;; [unrolled: 1-line block ×6, first 2 shown]
	v_mad_i32_i24 v153, v176, v156, v168
	v_lshrrev_b32_e32 v156, 24, v206
	v_bfe_i32 v168, v206, 16, 8
	v_bfe_i32 v193, v206, 8, 8
	;; [unrolled: 1-line block ×3, first 2 shown]
	v_lshrrev_b32_e32 v206, 24, v207
	v_mul_i32_i24_e32 v112, v112, v155
	v_add3_u32 v110, v110, v246, v138
	v_add3_u32 v77, v77, v227, v118
	;; [unrolled: 1-line block ×4, first 2 shown]
	v_dual_add_nc_u32 v69, 32, v69 :: v_dual_bitop2_b32 v115, 3, v115 bitop3:0x40
	v_and_b32_e32 v122, 3, v122
	v_mul_i32_i24_e32 v136, v136, v158
	v_mul_i32_i24_e32 v215, v215, v158
	;; [unrolled: 1-line block ×4, first 2 shown]
	v_add3_u32 v108, v108, v231, v121
	v_add3_u32 v72, v72, v204, v107
	;; [unrolled: 1-line block ×3, first 2 shown]
	v_and_b32_e32 v219, 3, v219
	v_and_b32_e32 v109, 3, v109
	;; [unrolled: 1-line block ×7, first 2 shown]
	v_add3_u32 v110, v110, v137, v112
	v_add3_u32 v77, v77, v239, v238
	;; [unrolled: 1-line block ×3, first 2 shown]
	v_mul_i32_i24_e32 v115, v115, v154
	v_mul_i32_i24_e32 v122, v122, v154
	v_add3_u32 v73, v108, v152, v73
	v_add3_u32 v107, v107, v158, v128
	v_mul_i32_i24_e32 v192, v192, v7
	v_lshrrev_b16 v233, 8, v170
	v_bfe_i32 v188, v172, 16, 8
	v_bfe_i32 v148, v172, 8, 8
	v_bfe_i32 v172, v172, 0, 8
	v_mul_i32_i24_e32 v219, v219, v7
	v_mul_i32_i24_e32 v240, v240, v7
	;; [unrolled: 1-line block ×3, first 2 shown]
	v_lshrrev_b32_e32 v187, 24, v174
	v_bfe_i32 v131, v174, 16, 8
	v_mul_i32_i24_e32 v109, v109, v102
	v_mul_i32_i24_e32 v123, v123, v102
	;; [unrolled: 1-line block ×3, first 2 shown]
	v_bfe_i32 v129, v174, 8, 8
	v_bfe_i32 v174, v174, 0, 8
	v_mul_i32_i24_e32 v234, v182, v234
	v_mul_i32_i24_e32 v160, v177, v160
	v_bfe_i32 v135, v205, 0, 8
	v_bfe_i32 v139, v205, 8, 8
	v_and_b32_e32 v105, 0xffff, v105
	v_add3_u32 v110, v110, v211, v212
	v_add3_u32 v77, v77, v237, v119
	v_mul_lo_u32 v75, v75, v133
	v_add3_u32 v76, v76, v136, v115
	v_add3_u32 v112, v72, v190, v191
	;; [unrolled: 1-line block ×4, first 2 shown]
	v_bfe_i32 v155, v170, 0, 8
	v_bfe_i32 v154, v170, 16, 8
	v_lshrrev_b32_e32 v170, 24, v170
	v_bfe_i32 v233, v233, 0, 8
	v_mul_i32_i24_e32 v172, v181, v172
	v_mul_i32_i24_e32 v174, v181, v174
	v_bfe_i32 v144, v205, 16, 8
	v_mul_i32_i24_e32 v125, v178, v142
	v_mul_i32_i24_e32 v135, v179, v135
	;; [unrolled: 1-line block ×3, first 2 shown]
	v_add3_u32 v142, v153, v234, v160
	v_mul_i32_i24_e32 v153, v178, v156
	v_and_b32_e32 v132, 0xffff, v132
	v_and_b32_e32 v134, 0xffff, v134
	v_add3_u32 v104, v110, v213, v113
	v_mul_lo_u32 v77, v77, v105
	v_and_b32_e32 v169, 0xffff, v169
	v_add3_u32 v106, v112, v192, v248
	v_add3_u32 v112, v115, v143, v232
	;; [unrolled: 1-line block ×3, first 2 shown]
	v_mul_i32_i24_e32 v163, v177, v163
	v_mul_i32_i24_e32 v188, v182, v188
	;; [unrolled: 1-line block ×5, first 2 shown]
	v_bfe_i32 v200, v207, 0, 8
	v_bfe_i32 v205, v207, 8, 8
	v_mad_i32_i24 v148, v176, v148, v172
	v_lshrrev_b32_e32 v172, 24, v208
	v_bfe_i32 v210, v208, 16, 8
	v_bfe_i32 v214, v208, 8, 8
	;; [unrolled: 1-line block ×3, first 2 shown]
	v_mad_i32_i24 v129, v176, v129, v174
	v_mul_i32_i24_e32 v126, v180, v144
	v_mul_i32_i24_e32 v144, v179, v196
	;; [unrolled: 1-line block ×4, first 2 shown]
	v_add3_u32 v117, v142, v135, v139
	v_mad_i32_i24 v120, v177, v170, v153
	v_mul_lo_u32 v74, v74, v132
	v_mul_lo_u32 v103, v104, v134
	v_and_b32_e32 v173, 0xffff, v173
	v_add3_u32 v76, v76, v217, v218
	v_add3_u32 v102, v112, v240, v123
	v_mad_u32 v7, v7, v169, v75
	v_bfe_i32 v207, v207, 16, 8
	v_mul_i32_i24_e32 v160, v179, v200
	v_mul_i32_i24_e32 v164, v175, v205
	v_add3_u32 v148, v148, v188, v163
	v_mul_i32_i24_e32 v168, v178, v172
	v_mul_i32_i24_e32 v172, v179, v208
	;; [unrolled: 1-line block ×3, first 2 shown]
	v_add3_u32 v129, v129, v131, v187
	v_mad_i32_i24 v121, v182, v154, v150
	v_mad_i32_i24 v127, v181, v155, v144
	v_add3_u32 v108, v117, v126, v125
	v_add3_u32 v111, v199, v145, v120
	v_and_b32_e32 v167, 0xffff, v167
	v_and_b32_e32 v171, 0xffff, v171
	v_add3_u32 v76, v76, v219, v109
	v_mad_u32 v77, v102, v173, v77
	v_mul_i32_i24_e32 v156, v178, v206
	v_mul_i32_i24_e32 v157, v180, v207
	;; [unrolled: 1-line block ×3, first 2 shown]
	v_add3_u32 v131, v148, v160, v164
	v_add3_u32 v129, v129, v172, v174
	v_cvt_f32_i32_e32 v72, v108
	v_add3_u32 v108, v127, v121, v111
	v_mad_u32 v102, v106, v167, v74
	v_mad_u32 v76, v76, v171, v103
	v_add3_u32 v114, v131, v157, v156
	v_add3_u32 v116, v129, v163, v168
	v_cvt_f32_i32_e32 v75, v108
	v_cvt_f32_i32_e32 v74, v7
	;; [unrolled: 1-line block ×5, first 2 shown]
	s_add_co_i32 s20, s1, 2
	v_pk_mul_f32 v[2:3], v[2:3], v[74:75]
	v_cvt_f32_i32_e32 v74, v102
	v_pk_mul_f32 v[4:5], v[4:5], v[72:73]
	v_mul_f32_e32 v72, v209, v111
	v_cvt_f32_i32_e32 v75, v76
	v_mul_f32_e32 v6, v6, v7
	v_dual_mov_b32 v7, v2 :: v_dual_mov_b32 v73, v3
	s_cmp_lt_u32 s1, 14
	s_delay_alu instid0(VALU_DEP_3) | instskip(SKIP_1) | instid1(VALU_DEP_2)
	v_pk_fma_f32 v[0:1], v[0:1], v[74:75], v[4:5] neg_lo:[0,0,1] neg_hi:[0,0,1]
	s_mov_b32 s1, s20
	v_pk_add_f32 v[2:3], v[6:7], v[72:73] neg_lo:[0,1] neg_hi:[0,1]
	s_delay_alu instid0(VALU_DEP_2) | instskip(NEXT) | instid1(VALU_DEP_2)
	v_pk_fma_f32 v[22:23], v[70:71], v[0:1], v[22:23] op_sel_hi:[0,1,1]
	v_pk_fma_f32 v[20:21], v[70:71], v[2:3], v[20:21] op_sel_hi:[0,1,1]
	s_cbranch_scc1 .LBB187_19
; %bb.20:                               ;   in Loop: Header=BB187_5 Depth=1
	s_or_b32 s1, s17, 0x100
	s_delay_alu instid0(SALU_CYCLE_1)
	s_cmp_ge_i32 s1, s11
	s_barrier_signal -1
	s_barrier_wait -1
	s_cbranch_scc1 .LBB187_4
; %bb.21:                               ;   in Loop: Header=BB187_5 Depth=1
	v_add_nc_u32_e32 v0, s19, v78
	s_delay_alu instid0(VALU_DEP_1) | instskip(SKIP_1) | instid1(SALU_CYCLE_1)
	v_cmp_gt_i32_e64 s1, s10, v0
	s_and_b32 s20, s0, s1
	s_and_saveexec_b32 s1, s20
	s_cbranch_execz .LBB187_23
; %bb.22:                               ;   in Loop: Header=BB187_5 Depth=1
	v_add_nc_u32_e32 v0, v30, v0
	s_delay_alu instid0(VALU_DEP_1)
	v_mad_nc_i64_i32 v[0:1], v0, 36, v[38:39]
	global_load_b32 v0, v[0:1], off offset:4
	s_wait_loadcnt 0x0
	ds_store_b32 v53, v0
.LBB187_23:                             ;   in Loop: Header=BB187_5 Depth=1
	s_or_b32 exec_lo, exec_lo, s1
	s_and_saveexec_b32 s20, vcc_lo
	s_cbranch_execz .LBB187_26
; %bb.24:                               ;   in Loop: Header=BB187_5 Depth=1
	v_or_b32_e32 v0, 8, v68
	s_delay_alu instid0(VALU_DEP_1) | instskip(SKIP_1) | instid1(SALU_CYCLE_1)
	v_cmp_gt_i32_e64 s1, s10, v0
	s_and_b32 s1, s0, s1
	s_and_b32 exec_lo, exec_lo, s1
	s_cbranch_execz .LBB187_26
; %bb.25:                               ;   in Loop: Header=BB187_5 Depth=1
	v_ashrrev_i32_e32 v69, 31, v68
	s_delay_alu instid0(VALU_DEP_1) | instskip(NEXT) | instid1(VALU_DEP_1)
	v_add_nc_u64_e32 v[0:1], v[30:31], v[68:69]
	v_mad_nc_u64_u32 v[2:3], v0, 36, s[2:3]
	s_delay_alu instid0(VALU_DEP_1)
	v_mad_i32_i24 v3, v1, 36, v3
	global_load_b32 v0, v[2:3], off offset:288
	s_wait_loadcnt 0x0
	v_cvt_f32_f16_e32 v0, v0
	ds_store_b32 v57, v0
.LBB187_26:                             ;   in Loop: Header=BB187_5 Depth=1
	s_or_b32 exec_lo, exec_lo, s20
	v_dual_mov_b32 v1, v51 :: v_dual_mov_b32 v69, v55
	s_mov_b32 s1, 16
	s_wait_dscnt 0x0
	s_barrier_signal -1
	s_barrier_wait -1
.LBB187_27:                             ;   Parent Loop BB187_5 Depth=1
                                        ; =>  This Inner Loop Header: Depth=2
	s_and_b32 s22, s1, 0x3ffffff8
	s_add_co_i32 s20, s1, -16
	v_lshl_add_u32 v72, s22, 2, v80
	s_lshr_b32 s22, s1, 2
	s_and_b32 s21, s1, -16
	s_and_b32 s22, s22, 0x3ffffffc
	s_add_co_i32 s21, s1, s21
	ds_load_2addr_b32 v[2:3], v72 offset1:1
	s_addk_co_i32 s22, 0x5280
	ds_load_2addr_b32 v[6:7], v72 offset0:2 offset1:3
	ds_load_b32 v0, v69
	v_add_nc_u32_e32 v146, 0x2118, v72
	v_add_nc_u32_e32 v166, 0x3188, v72
	;; [unrolled: 1-line block ×4, first 2 shown]
	s_wait_dscnt 0x2
	v_dual_add_nc_u32 v69, 4, v69 :: v_dual_ashrrev_i32 v103, s20, v2
	v_ashrrev_i32_e32 v4, s20, v3
	ds_load_2addr_b32 v[2:3], v72 offset0:4 offset1:7
	v_dual_add_nc_u32 v109, s21, v59 :: v_dual_lshrrev_b32 v114, 24, v4
	v_and_b32_e32 v111, 3, v4
	v_bfe_u32 v112, v4, 8, 2
	v_bfe_u32 v113, v4, 16, 2
	s_wait_dscnt 0x0
	v_dual_ashrrev_i32 v2, s20, v2 :: v_dual_ashrrev_i32 v108, s20, v3
	v_add3_u32 v3, s22, v101, v85
	s_delay_alu instid0(VALU_DEP_2)
	v_dual_lshrrev_b32 v121, 24, v2 :: v_dual_bitop2_b32 v118, 3, v2 bitop3:0x40
	v_bfe_u32 v119, v2, 8, 2
	v_bfe_u32 v120, v2, 16, 2
	v_add_nc_u32_e32 v2, 0x1080, v72
	ds_load_b32 v110, v3
	v_dual_lshrrev_b32 v124, 16, v108 :: v_dual_bitop2_b32 v122, 3, v108 bitop3:0x40
	v_bfe_u32 v123, v108, 8, 2
	ds_load_2addr_b32 v[2:3], v2 offset1:1
	s_wait_dscnt 0x0
	v_dual_ashrrev_i32 v125, s20, v2 :: v_dual_bitop2_b32 v124, 3, v124 bitop3:0x40
	v_ashrrev_i32_e32 v4, s20, v3
	v_add_nc_u32_e32 v2, 0x1088, v72
	s_delay_alu instid0(VALU_DEP_2)
	v_dual_lshrrev_b32 v134, 24, v4 :: v_dual_bitop2_b32 v131, 3, v4 bitop3:0x40
	ds_load_2addr_b32 v[70:71], v2 offset1:1
	v_add_nc_u32_e32 v2, 0x1000, v72
	v_bfe_u32 v132, v4, 8, 2
	v_bfe_u32 v133, v4, 16, 2
	ds_load_2addr_b32 v[2:3], v2 offset0:36 offset1:39
	s_wait_dscnt 0x1
	v_ashrrev_i32_e32 v126, s20, v71
	v_add3_u32 v71, s22, v88, v89
	ds_load_b32 v71, v71
	s_wait_dscnt 0x1
	v_dual_ashrrev_i32 v7, s20, v7 :: v_dual_ashrrev_i32 v2, s20, v2
	v_ashrrev_i32_e32 v128, s20, v3
	v_add3_u32 v3, s22, v86, v87
	v_dual_lshrrev_b32 v137, 16, v126 :: v_dual_bitop2_b32 v135, 3, v126 bitop3:0x40
	s_delay_alu instid0(VALU_DEP_4)
	v_dual_lshrrev_b32 v141, 24, v2 :: v_dual_bitop2_b32 v138, 3, v2 bitop3:0x40
	v_bfe_u32 v139, v2, 8, 2
	v_bfe_u32 v140, v2, 16, 2
	v_add_nc_u32_e32 v2, 0x2100, v72
	ds_load_b32 v130, v3
	v_dual_lshrrev_b32 v117, 16, v7 :: v_dual_bitop2_b32 v115, 3, v7 bitop3:0x40
	v_bfe_u32 v116, v7, 8, 2
	ds_load_2addr_b32 v[2:3], v2 offset1:1
	v_lshrrev_b32_e32 v7, 24, v7
	v_bfe_u32 v136, v126, 8, 2
	v_dual_lshrrev_b32 v144, 16, v128 :: v_dual_bitop2_b32 v142, 3, v128 bitop3:0x40
	s_wait_dscnt 0x2
	v_cvt_f32_f16_e64 v164, v71
	v_add_nc_u32_e32 v127, 0x1094, v72
	v_bfe_u32 v143, v128, 8, 2
	s_wait_dscnt 0x0
	v_dual_ashrrev_i32 v4, s20, v2 :: v_dual_ashrrev_i32 v5, s20, v3
	v_add_nc_u32_e32 v2, 0x2110, v72
	s_delay_alu instid0(VALU_DEP_2) | instskip(NEXT) | instid1(VALU_DEP_3)
	v_dual_add_nc_u32 v147, s21, v63 :: v_dual_bitop2_b32 v148, 3, v4 bitop3:0x40
	v_and_b32_e32 v152, 3, v5
	ds_load_2addr_b32 v[2:3], v2 offset1:1
	v_bfe_u32 v149, v4, 8, 2
	v_bfe_u32 v150, v4, 16, 2
	;; [unrolled: 1-line block ×6, first 2 shown]
	s_wait_dscnt 0x0
	v_dual_ashrrev_i32 v2, s20, v2 :: v_dual_ashrrev_i32 v3, s20, v3
	s_delay_alu instid0(VALU_DEP_1)
	v_and_b32_e32 v156, 3, v2
	v_bfe_u32 v157, v2, 8, 2
	v_bfe_u32 v158, v2, 16, 2
	v_bfe_u32 v159, v2, 24, 2
	v_lshrrev_b32_e32 v2, 16, v71
	v_and_b32_e32 v160, 3, v3
	v_bfe_u32 v161, v3, 8, 2
	v_bfe_u32 v162, v3, 16, 2
	;; [unrolled: 1-line block ×3, first 2 shown]
	v_cvt_f32_f16_e64 v165, v2
	v_add_nc_u32_e32 v2, 0x3180, v72
	v_add3_u32 v71, s22, v90, v91
	v_add_nc_u32_e32 v145, 0x2108, v72
	ds_load_2addr_b32 v[2:3], v2 offset1:1
	ds_load_b32 v71, v71
	s_wait_dscnt 0x1
	v_ashrrev_i32_e32 v4, s20, v2
	v_add_nc_u32_e32 v2, 0x3190, v72
	v_dual_ashrrev_i32 v5, s20, v3 :: v_dual_add_nc_u32 v168, s21, v65
	s_delay_alu instid0(VALU_DEP_3)
	v_and_b32_e32 v169, 3, v4
	ds_load_2addr_b32 v[2:3], v2 offset1:1
	v_bfe_u32 v75, v4, 8, 2
	v_bfe_u32 v74, v4, 16, 2
	;; [unrolled: 1-line block ×3, first 2 shown]
	v_and_b32_e32 v170, 3, v5
	v_bfe_u32 v171, v5, 8, 2
	v_bfe_u32 v172, v5, 16, 2
	;; [unrolled: 1-line block ×3, first 2 shown]
	s_wait_dscnt 0x0
	v_dual_ashrrev_i32 v2, s20, v2 :: v_dual_ashrrev_i32 v3, s20, v3
	s_delay_alu instid0(VALU_DEP_1)
	v_and_b32_e32 v174, 3, v2
	v_bfe_u32 v175, v2, 8, 2
	v_bfe_u32 v176, v2, 16, 2
	v_bfe_u32 v177, v2, 24, 2
	v_and_b32_e32 v178, 3, v3
	v_bfe_u32 v179, v3, 8, 2
	v_bfe_u32 v77, v3, 16, 2
	v_bfe_u32 v76, v3, 24, 2
	ds_load_b128 v[2:5], v1
	ds_load_b128 v[104:107], v1 offset:16
	s_wait_dscnt 0x1
	v_ashrrev_i32_e32 v102, 24, v2
	v_bfe_i32 v185, v2, 0, 8
	v_bfe_i32 v186, v2, 16, 8
	;; [unrolled: 1-line block ×3, first 2 shown]
	v_lshrrev_b16 v2, 8, v4
	s_wait_dscnt 0x0
	v_lshrrev_b16 v180, 8, v104
	v_ashrrev_i32_e32 v181, 24, v104
	v_bfe_i32 v183, v104, 0, 8
	v_bfe_i32 v184, v104, 16, 8
	v_lshrrev_b16 v104, 8, v105
	v_dual_ashrrev_i32 v187, 24, v3 :: v_dual_ashrrev_i32 v189, 24, v105
	v_ashrrev_i32_e32 v195, 24, v106
	v_bfe_i32 v197, v2, 0, 8
	v_lshrrev_b16 v2, 8, v5
	v_bfe_i32 v180, v180, 0, 8
	v_bfe_i32 v182, v3, 8, 8
	;; [unrolled: 1-line block ×4, first 2 shown]
	v_dual_ashrrev_i32 v196, 24, v4 :: v_dual_ashrrev_i32 v203, 24, v107
	v_bfe_i32 v198, v4, 16, 8
	v_bfe_i32 v199, v4, 0, 8
	v_ashrrev_i32_e32 v204, 24, v5
	v_bfe_i32 v205, v2, 0, 8
	v_dual_add_nc_u32 v2, v189, v181 :: v_dual_add_nc_u32 v4, v187, v102
	v_bfe_i32 v193, v3, 0, 8
	v_bfe_i32 v202, v106, 8, 8
	;; [unrolled: 1-line block ×7, first 2 shown]
	v_dual_add_nc_u32 v3, v188, v180 :: v_dual_add_nc_u32 v5, v194, v186
	v_dual_add_nc_u32 v104, v193, v185 :: v_dual_add_nc_u32 v107, v190, v182
	v_add3_u32 v212, v4, v196, v204
	v_ashrrev_i32_e32 v4, s20, v6
	v_bfe_i32 v191, v105, 0, 8
	v_bfe_i32 v192, v105, 16, 8
	v_add3_u32 v213, v3, v202, v210
	v_add3_u32 v214, v2, v195, v203
	;; [unrolled: 1-line block ×3, first 2 shown]
	v_mul_i32_i24_e32 v2, v111, v193
	v_mul_i32_i24_e32 v3, v131, v193
	v_dual_ashrrev_i32 v5, s20, v70 :: v_dual_bitop2_b32 v6, 3, v125 bitop3:0x40
	v_add3_u32 v211, v107, v197, v205
	v_mul_i32_i24_e32 v107, v135, v207
	v_and_b32_e32 v70, 3, v103
	v_dual_lshrrev_b32 v219, 8, v4 :: v_dual_bitop2_b32 v131, 3, v134 bitop3:0x40
	v_and_b32_e32 v135, 3, v4
	v_dual_lshrrev_b32 v220, 8, v5 :: v_dual_bitop2_b32 v114, 3, v114 bitop3:0x40
	v_bfe_i32 v200, v106, 16, 8
	v_bfe_i32 v201, v106, 0, 8
	v_dual_add_nc_u32 v105, v192, v184 :: v_dual_add_nc_u32 v106, v191, v183
	v_dual_lshrrev_b32 v221, 16, v4 :: v_dual_bitop2_b32 v134, 3, v5 bitop3:0x40
	v_mul_i32_i24_e32 v113, v113, v194
	v_mul_i32_i24_e32 v133, v133, v194
	;; [unrolled: 1-line block ×4, first 2 shown]
	v_mad_i32_i24 v3, v132, v182, v3
	v_mad_i32_i24 v2, v112, v182, v2
	v_add3_u32 v215, v106, v201, v209
	v_add3_u32 v216, v105, v200, v208
	;; [unrolled: 1-line block ×3, first 2 shown]
	v_mul_i32_i24_e32 v104, v115, v207
	v_mul_i32_i24_e32 v105, v119, v180
	;; [unrolled: 1-line block ×3, first 2 shown]
	v_bfe_u32 v111, v125, 8, 2
	v_bfe_u32 v115, v103, 8, 2
	;; [unrolled: 1-line block ×6, first 2 shown]
	v_dual_lshrrev_b32 v222, 16, v5 :: v_dual_bitop2_b32 v220, 3, v220 bitop3:0x40
	v_mul_i32_i24_e32 v70, v185, v70
	v_mul_i32_i24_e32 v6, v185, v6
	;; [unrolled: 1-line block ×4, first 2 shown]
	v_add3_u32 v2, v2, v113, v114
	v_add3_u32 v3, v3, v133, v131
	v_dual_lshrrev_b32 v4, 24, v4 :: v_dual_bitop2_b32 v219, 3, v219 bitop3:0x40
	v_dual_lshrrev_b32 v5, 24, v5 :: v_dual_bitop2_b32 v222, 3, v222 bitop3:0x40
	v_mul_i32_i24_e32 v115, v190, v115
	v_mul_i32_i24_e32 v111, v190, v111
	;; [unrolled: 1-line block ×4, first 2 shown]
	v_add3_u32 v3, v3, v134, v6
	v_add3_u32 v2, v2, v135, v70
	v_and_b32_e32 v221, 3, v221
	v_and_b32_e32 v5, 3, v5
	;; [unrolled: 1-line block ×3, first 2 shown]
	v_mul_i32_i24_e32 v122, v102, v122
	v_mul_i32_i24_e32 v119, v102, v119
	;; [unrolled: 1-line block ×4, first 2 shown]
	v_add3_u32 v2, v2, v115, v103
	v_add3_u32 v3, v3, v111, v125
	v_mul_i32_i24_e32 v221, v221, v198
	v_mul_i32_i24_e32 v222, v222, v198
	;; [unrolled: 1-line block ×4, first 2 shown]
	v_add3_u32 v3, v3, v119, v220
	v_add3_u32 v2, v2, v122, v219
	v_mul_i32_i24_e32 v6, v138, v183
	v_mul_i32_i24_e32 v120, v120, v184
	;; [unrolled: 1-line block ×3, first 2 shown]
	v_add3_u32 v103, v3, v222, v5
	v_add3_u32 v70, v2, v221, v4
	ds_load_2addr_b32 v[2:3], v72 offset0:5 offset1:6
	ds_load_2addr_b32 v[4:5], v127 offset1:1
	v_mad_i32_i24 v105, v118, v183, v105
	v_mad_i32_i24 v6, v139, v180, v6
	v_mul_i32_i24_e32 v111, v142, v209
	v_mul_i32_i24_e32 v75, v75, v190
	;; [unrolled: 1-line block ×6, first 2 shown]
	s_wait_dscnt 0x0
	v_dual_ashrrev_i32 v2, s20, v2 :: v_dual_ashrrev_i32 v4, s20, v4
	v_and_b32_e32 v112, 3, v121
	v_dual_ashrrev_i32 v3, s20, v3 :: v_dual_bitop2_b32 v72, 3, v141 bitop3:0x40
	s_delay_alu instid0(VALU_DEP_3) | instskip(SKIP_3) | instid1(VALU_DEP_4)
	v_dual_lshrrev_b32 v115, 8, v2 :: v_dual_lshrrev_b32 v119, 8, v4
	v_dual_lshrrev_b32 v122, 16, v4 :: v_dual_ashrrev_i32 v5, s20, v5
	v_and_b32_e32 v113, 3, v4
	v_dual_lshrrev_b32 v121, 16, v2 :: v_dual_bitop2_b32 v114, 3, v2 bitop3:0x40
	v_and_b32_e32 v119, 3, v119
	v_dual_lshrrev_b32 v2, 24, v2 :: v_dual_bitop2_b32 v115, 3, v115 bitop3:0x40
	v_dual_lshrrev_b32 v4, 24, v4 :: v_dual_bitop2_b32 v122, 3, v122 bitop3:0x40
	v_mul_i32_i24_e32 v112, v112, v181
	v_mul_i32_i24_e32 v72, v72, v181
	v_dual_lshrrev_b32 v131, 8, v3 :: v_dual_bitop2_b32 v121, 3, v121 bitop3:0x40
	s_delay_alu instid0(VALU_DEP_4) | instskip(SKIP_1) | instid1(VALU_DEP_4)
	v_dual_lshrrev_b32 v132, 8, v5 :: v_dual_bitop2_b32 v4, 3, v4 bitop3:0x40
	v_dual_lshrrev_b32 v133, 16, v3 :: v_dual_bitop2_b32 v2, 3, v2 bitop3:0x40
	v_add3_u32 v6, v6, v135, v72
	v_add3_u32 v72, v105, v120, v112
	v_mul_i32_i24_e32 v105, v114, v191
	v_mul_i32_i24_e32 v112, v113, v191
	v_mul_i32_i24_e32 v113, v115, v188
	v_mul_i32_i24_e32 v114, v119, v188
	v_dual_lshrrev_b32 v134, 16, v5 :: v_dual_bitop2_b32 v125, 3, v5 bitop3:0x40
	v_dual_lshrrev_b32 v3, 24, v3 :: v_dual_bitop2_b32 v127, 3, v3 bitop3:0x40
	;; [unrolled: 1-line block ×3, first 2 shown]
	v_and_b32_e32 v131, 3, v131
	v_mul_i32_i24_e32 v115, v121, v192
	v_mul_i32_i24_e32 v118, v122, v192
	;; [unrolled: 1-line block ×4, first 2 shown]
	v_add3_u32 v72, v72, v105, v113
	v_add3_u32 v6, v6, v112, v114
	v_and_b32_e32 v134, 3, v134
	v_and_b32_e32 v133, 3, v133
	v_and_b32_e32 v5, 3, v5
	v_and_b32_e32 v3, 3, v3
	v_mul_i32_i24_e32 v119, v127, v201
	v_mul_i32_i24_e32 v120, v125, v201
	;; [unrolled: 1-line block ×4, first 2 shown]
	v_add3_u32 v4, v6, v118, v4
	v_add3_u32 v2, v72, v115, v2
	v_mul_i32_i24_e32 v125, v133, v200
	v_mul_i32_i24_e32 v127, v134, v200
	;; [unrolled: 1-line block ×3, first 2 shown]
	v_add3_u32 v4, v4, v120, v122
	v_add3_u32 v2, v2, v119, v121
	v_lshrrev_b32_e32 v121, 24, v126
	v_mul_i32_i24_e32 v3, v3, v195
	ds_load_u16 v6, v129 offset:17904
	v_add3_u32 v4, v4, v127, v5
	v_and_b32_e32 v135, 3, v144
	v_and_b32_e32 v121, 3, v121
	v_add3_u32 v5, v2, v125, v3
	ds_load_u16 v2, v109 offset:16880
	s_wait_dscnt 0x1
	v_lshrrev_b16 v72, 8, v6
	v_bfe_u32 v114, v6, 4, 4
	v_and_b32_e32 v6, 15, v6
	s_wait_dscnt 0x0
	v_lshrrev_b16 v3, 8, v2
	v_bfe_u32 v105, v2, 4, 4
	v_and_b32_e32 v112, 0xffff, v72
	v_and_b32_e32 v2, 15, v2
	v_and_b32_e32 v120, 3, v137
	v_and_b32_e32 v126, 0xffff, v6
	v_lshrrev_b32_e32 v6, 24, v108
	v_mul_lo_u32 v105, 0x1010101, v105
	v_and_b32_e32 v125, 0xffff, v2
	v_lshrrev_b32_e32 v2, 4, v112
	v_and_b32_e32 v113, 0xffff, v3
	v_mul_lo_u32 v114, 0x1010101, v114
	v_mul_i32_i24_e32 v120, v120, v206
	s_delay_alu instid0(VALU_DEP_4) | instskip(SKIP_4) | instid1(VALU_DEP_3)
	v_mul_lo_u32 v2, 0x1010101, v2
	v_and_b32_e32 v117, 3, v117
	v_lshrrev_b32_e32 v113, 4, v113
	v_bfe_i32 v109, v105, 16, 8
	v_lshrrev_b32_e32 v119, 24, v105
	v_mul_lo_u32 v113, 0x1010101, v113
	v_dual_lshrrev_b32 v118, 24, v114 :: v_dual_bitop2_b32 v122, 3, v7 bitop3:0x40
	v_bfe_i32 v115, v114, 16, 8
	v_bfe_i32 v112, v2, 0, 8
	;; [unrolled: 1-line block ×3, first 2 shown]
	v_lshrrev_b32_e32 v132, 24, v2
	v_bfe_i32 v134, v2, 16, 8
	v_dual_lshrrev_b32 v2, 24, v128 :: v_dual_bitop2_b32 v128, 3, v6 bitop3:0x40
	v_dual_lshrrev_b32 v6, 16, v130 :: v_dual_lshrrev_b32 v133, 24, v113
	v_mul_i32_i24_e32 v117, v117, v206
	s_delay_alu instid0(VALU_DEP_3) | instskip(SKIP_1) | instid1(VALU_DEP_4)
	v_and_b32_e32 v108, 3, v2
	v_and_b32_e32 v2, 15, v3
	v_cvt_f32_f16_e32 v7, v6
	v_mul_i32_i24_e32 v122, v122, v204
	v_mul_i32_i24_e32 v121, v121, v204
	;; [unrolled: 1-line block ×3, first 2 shown]
	v_and_b32_e32 v137, 0xffff, v2
	v_cvt_f32_f16_e32 v2, v110
	v_lshrrev_b32_e32 v110, 16, v110
	v_bfe_i32 v127, v113, 0, 8
	v_bfe_i32 v131, v113, 8, 8
	;; [unrolled: 1-line block ×3, first 2 shown]
	v_mul_i32_i24_e32 v109, v218, v109
	v_cvt_f32_f16_e32 v6, v110
	v_bfe_i32 v110, v105, 8, 8
	v_bfe_i32 v105, v105, 0, 8
	v_mul_i32_i24_e32 v115, v218, v115
	v_and_b32_e32 v3, 15, v72
	s_delay_alu instid0(VALU_DEP_3) | instskip(NEXT) | instid1(VALU_DEP_2)
	v_mul_i32_i24_e32 v105, v217, v105
	v_and_b32_e32 v72, 0xffff, v3
	v_cvt_f32_f16_e64 v3, v130
	v_mul_i32_i24_e32 v130, v151, v102
	s_delay_alu instid0(VALU_DEP_4) | instskip(SKIP_2) | instid1(VALU_DEP_2)
	v_mad_i32_i24 v105, v211, v110, v105
	v_mul_i32_i24_e32 v110, v116, v205
	v_mul_i32_i24_e32 v116, v136, v205
	v_add3_u32 v70, v70, v104, v110
	v_mul_i32_i24_e32 v104, v123, v210
	v_mul_i32_i24_e32 v110, v124, v208
	s_delay_alu instid0(VALU_DEP_4)
	v_add3_u32 v103, v103, v107, v116
	v_mul_i32_i24_e32 v107, v143, v210
	v_add3_u32 v70, v70, v117, v122
	v_mul_i32_i24_e32 v117, v128, v203
	;; [unrolled: 2-line block ×3, first 2 shown]
	v_add3_u32 v4, v4, v111, v107
	v_add3_u32 v103, v103, v120, v121
	v_mul_i32_i24_e32 v107, v216, v113
	v_add3_u32 v5, v5, v110, v117
	v_mul_i32_i24_e32 v117, v212, v118
	v_bfe_i32 v118, v114, 8, 8
	v_bfe_i32 v114, v114, 0, 8
	v_add3_u32 v4, v4, v116, v108
	v_mul_i32_i24_e32 v116, v212, v119
	v_mul_i32_i24_e32 v110, v215, v127
	;; [unrolled: 1-line block ×6, first 2 shown]
	v_add3_u32 v105, v105, v109, v116
	v_mul_lo_u32 v103, v103, v126
	v_mad_i32_i24 v114, v211, v118, v114
	v_mul_i32_i24_e32 v104, v214, v133
	v_mul_i32_i24_e32 v106, v214, v132
	;; [unrolled: 1-line block ×3, first 2 shown]
	v_add3_u32 v105, v105, v110, v112
	v_add3_u32 v109, v114, v115, v117
	v_mul_lo_u32 v70, v70, v125
	v_mul_i32_i24_e32 v126, v149, v190
	v_mul_i32_i24_e32 v128, v150, v186
	v_add3_u32 v104, v105, v107, v104
	v_add3_u32 v109, v109, v111, v113
	v_mad_u32 v4, v4, v72, v103
	v_mul_i32_i24_e32 v72, v152, v193
	v_mul_i32_i24_e32 v103, v154, v194
	v_cvt_f32_i32_e32 v104, v104
	v_add3_u32 v105, v109, v108, v106
	v_mul_i32_i24_e32 v108, v160, v191
	v_mad_i32_i24 v72, v153, v182, v72
	v_mad_u32 v70, v5, v137, v70
	v_mul_i32_i24_e32 v109, v161, v188
	v_cvt_f32_i32_e32 v105, v105
	v_mul_i32_i24_e32 v127, v162, v192
	v_cvt_f32_i32_e32 v5, v4
	v_mul_i32_i24_e32 v129, v163, v189
	s_delay_alu instid0(VALU_DEP_4) | instskip(SKIP_4) | instid1(VALU_DEP_4)
	v_pk_mul_f32 v[6:7], v[6:7], v[104:105]
	v_mul_i32_i24_e32 v104, v155, v187
	v_mul_i32_i24_e32 v105, v159, v181
	v_cvt_f32_i32_e32 v4, v70
	v_mul_i32_i24_e32 v70, v185, v148
	v_add3_u32 v72, v72, v103, v104
	v_mul_i32_i24_e32 v103, v156, v183
	v_mul_i32_i24_e32 v104, v158, v184
	v_pk_fma_f32 v[2:3], v[2:3], v[4:5], v[6:7] neg_lo:[0,0,1] neg_hi:[0,0,1]
	s_delay_alu instid0(VALU_DEP_3) | instskip(NEXT) | instid1(VALU_DEP_2)
	v_mad_i32_i24 v103, v157, v180, v103
	v_pk_fma_f32 v[22:23], v[0:1], v[2:3], v[22:23] op_sel_hi:[0,1,1]
	s_delay_alu instid0(VALU_DEP_2)
	v_add3_u32 v103, v103, v104, v105
	ds_load_2addr_b32 v[104:105], v145 offset1:1
	ds_load_2addr_b32 v[106:107], v146 offset1:1
	ds_load_u16 v110, v147 offset:18928
	s_wait_dscnt 0x1
	v_dual_ashrrev_i32 v104, s20, v104 :: v_dual_ashrrev_i32 v106, s20, v106
	s_wait_dscnt 0x0
	v_lshrrev_b16 v111, 8, v110
	v_dual_ashrrev_i32 v105, s20, v105 :: v_dual_ashrrev_i32 v107, s20, v107
	s_delay_alu instid0(VALU_DEP_3) | instskip(SKIP_1) | instid1(VALU_DEP_4)
	v_dual_lshrrev_b32 v117, 8, v104 :: v_dual_bitop2_b32 v114, 3, v104 bitop3:0x40
	v_dual_lshrrev_b32 v116, 8, v106 :: v_dual_lshrrev_b32 v118, 16, v106
	v_and_b32_e32 v112, 0xffff, v111
	s_delay_alu instid0(VALU_DEP_3) | instskip(NEXT) | instid1(VALU_DEP_4)
	v_mul_i32_i24_e32 v114, v114, v199
	v_dual_lshrrev_b32 v119, 16, v104 :: v_dual_bitop2_b32 v117, 3, v117 bitop3:0x40
	s_delay_alu instid0(VALU_DEP_4) | instskip(SKIP_1) | instid1(VALU_DEP_4)
	v_and_b32_e32 v116, 3, v116
	v_dual_lshrrev_b32 v104, 24, v104 :: v_dual_bitop2_b32 v118, 3, v118 bitop3:0x40
	v_add3_u32 v70, v72, v114, v70
	v_dual_lshrrev_b32 v112, 4, v112 :: v_dual_bitop2_b32 v115, 3, v106 bitop3:0x40
	v_dual_lshrrev_b32 v106, 24, v106 :: v_dual_bitop2_b32 v119, 3, v119 bitop3:0x40
	s_delay_alu instid0(VALU_DEP_4)
	v_dual_lshrrev_b32 v123, 8, v105 :: v_dual_bitop2_b32 v104, 3, v104 bitop3:0x40
	v_mul_i32_i24_e32 v117, v117, v197
	v_add3_u32 v72, v103, v108, v109
	v_add3_u32 v70, v70, v126, v128
	v_bfe_u32 v113, v110, 4, 4
	v_mul_lo_u32 v112, 0x1010101, v112
	v_dual_lshrrev_b32 v122, 8, v107 :: v_dual_bitop2_b32 v106, 3, v106 bitop3:0x40
	v_dual_lshrrev_b32 v125, 16, v105 :: v_dual_bitop2_b32 v121, 3, v105 bitop3:0x40
	v_dual_lshrrev_b32 v105, 24, v105 :: v_dual_bitop2_b32 v123, 3, v123 bitop3:0x40
	v_mul_i32_i24_e32 v115, v115, v201
	v_mul_i32_i24_e32 v116, v116, v202
	;; [unrolled: 1-line block ×4, first 2 shown]
	v_add3_u32 v72, v72, v127, v129
	v_add3_u32 v70, v70, v130, v117
	v_mul_lo_u32 v113, 0x1010101, v113
	v_dual_lshrrev_b32 v124, 16, v107 :: v_dual_bitop2_b32 v120, 3, v107 bitop3:0x40
	v_dual_lshrrev_b32 v107, 24, v107 :: v_dual_bitop2_b32 v122, 3, v122 bitop3:0x40
	v_dual_lshrrev_b32 v103, 24, v112 :: v_dual_bitop2_b32 v125, 3, v125 bitop3:0x40
	v_and_b32_e32 v105, 3, v105
	v_mul_i32_i24_e32 v118, v118, v200
	v_mul_i32_i24_e32 v106, v106, v195
	v_mul_i32_i24_e32 v121, v121, v207
	v_mul_i32_i24_e32 v123, v123, v205
	v_add3_u32 v72, v72, v115, v116
	v_add3_u32 v70, v70, v119, v104
	v_and_b32_e32 v124, 3, v124
	v_and_b32_e32 v107, 3, v107
	v_mul_i32_i24_e32 v120, v120, v209
	v_mul_i32_i24_e32 v122, v122, v210
	;; [unrolled: 1-line block ×4, first 2 shown]
	v_add3_u32 v72, v72, v118, v106
	v_add3_u32 v70, v70, v121, v123
	v_mul_i32_i24_e32 v124, v124, v208
	v_mul_i32_i24_e32 v107, v107, v203
	v_bfe_i32 v104, v112, 16, 8
	v_add3_u32 v72, v72, v120, v122
	v_add3_u32 v70, v70, v125, v105
	v_bfe_i32 v105, v112, 8, 8
	v_bfe_i32 v106, v112, 0, 8
	v_bfe_i32 v112, v113, 0, 8
	v_add3_u32 v72, v72, v124, v107
	v_lshrrev_b32_e32 v107, 24, v113
	v_bfe_i32 v108, v113, 16, 8
	v_bfe_i32 v109, v113, 8, 8
	v_mul_i32_i24_e32 v112, v217, v112
	v_mul_i32_i24_e32 v106, v215, v106
	v_mul_i32_i24_e32 v107, v212, v107
	v_mul_i32_i24_e32 v108, v218, v108
	v_mul_i32_i24_e32 v105, v213, v105
	v_mad_i32_i24 v109, v211, v109, v112
	v_mul_i32_i24_e32 v104, v216, v104
	v_mul_i32_i24_e32 v103, v214, v103
	s_delay_alu instid0(VALU_DEP_3) | instskip(NEXT) | instid1(VALU_DEP_1)
	v_add3_u32 v107, v109, v108, v107
	v_add3_u32 v105, v107, v106, v105
	v_mul_i32_i24_e32 v106, v173, v187
	s_delay_alu instid0(VALU_DEP_2) | instskip(SKIP_2) | instid1(VALU_DEP_2)
	v_add3_u32 v103, v105, v104, v103
	v_mul_i32_i24_e32 v104, v170, v193
	v_mul_i32_i24_e32 v105, v172, v194
	v_mad_i32_i24 v104, v171, v182, v104
	s_delay_alu instid0(VALU_DEP_1) | instskip(SKIP_3) | instid1(VALU_DEP_3)
	v_add3_u32 v108, v104, v105, v106
	v_mul_i32_i24_e32 v104, v174, v183
	v_mul_i32_i24_e32 v105, v176, v184
	;; [unrolled: 1-line block ×3, first 2 shown]
	v_mad_i32_i24 v104, v175, v180, v104
	s_delay_alu instid0(VALU_DEP_1)
	v_add3_u32 v109, v104, v105, v106
	ds_load_2addr_b32 v[104:105], v166 offset1:1
	ds_load_2addr_b32 v[106:107], v167 offset1:1
	ds_load_u16 v112, v168 offset:19952
	v_and_b32_e32 v110, 15, v110
	s_wait_dscnt 0x2
	v_dual_ashrrev_i32 v105, s20, v105 :: v_dual_bitop2_b32 v111, 15, v111 bitop3:0x40
	v_ashrrev_i32_e32 v104, s20, v104
	s_wait_dscnt 0x0
	v_lshrrev_b16 v113, 8, v112
	v_ashrrev_i32_e32 v107, s20, v107
	v_and_b32_e32 v110, 0xffff, v110
	v_ashrrev_i32_e32 v106, s20, v106
	v_bfe_u32 v115, v112, 4, 4
	v_and_b32_e32 v114, 0xffff, v113
	v_and_b32_e32 v116, 3, v104
	v_mul_lo_u32 v70, v70, v110
	v_dual_lshrrev_b32 v118, 8, v106 :: v_dual_bitop2_b32 v117, 3, v106 bitop3:0x40
	s_delay_alu instid0(VALU_DEP_4) | instskip(SKIP_2) | instid1(VALU_DEP_4)
	v_dual_lshrrev_b32 v114, 4, v114 :: v_dual_lshrrev_b32 v119, 8, v104
	v_mul_lo_u32 v115, 0x1010101, v115
	v_and_b32_e32 v111, 0xffff, v111
	v_and_b32_e32 v118, 3, v118
	s_delay_alu instid0(VALU_DEP_4)
	v_mul_lo_u32 v114, 0x1010101, v114
	v_dual_lshrrev_b32 v120, 16, v106 :: v_dual_bitop2_b32 v119, 3, v119 bitop3:0x40
	v_dual_lshrrev_b32 v121, 16, v104 :: v_dual_lshrrev_b32 v106, 24, v106
	v_mad_u32 v70, v72, v111, v70
	v_cvt_f32_i32_e32 v72, v103
	v_mul_i32_i24_e32 v103, v185, v169
	v_mul_i32_i24_e32 v110, v178, v191
	;; [unrolled: 1-line block ×3, first 2 shown]
	v_dual_lshrrev_b32 v104, 24, v104 :: v_dual_bitop2_b32 v121, 3, v121 bitop3:0x40
	v_dual_lshrrev_b32 v125, 8, v105 :: v_dual_bitop2_b32 v106, 3, v106 bitop3:0x40
	v_mul_i32_i24_e32 v116, v116, v199
	s_delay_alu instid0(VALU_DEP_3) | instskip(NEXT) | instid1(VALU_DEP_3)
	v_dual_lshrrev_b32 v126, 16, v107 :: v_dual_bitop2_b32 v104, 3, v104 bitop3:0x40
	v_dual_lshrrev_b32 v128, 24, v114 :: v_dual_bitop2_b32 v125, 3, v125 bitop3:0x40
	v_lshrrev_b16 v129, 8, v115
	s_delay_alu instid0(VALU_DEP_4)
	v_add3_u32 v103, v108, v116, v103
	v_add3_u32 v108, v109, v110, v111
	v_dual_lshrrev_b32 v124, 8, v107 :: v_dual_bitop2_b32 v120, 3, v120 bitop3:0x40
	v_and_b32_e32 v126, 3, v126
	v_bfe_i32 v130, v115, 0, 8
	v_bfe_i32 v131, v115, 16, 8
	v_lshrrev_b32_e32 v115, 24, v115
	v_bfe_i32 v132, v114, 16, 8
	v_bfe_i32 v133, v114, 8, 8
	;; [unrolled: 1-line block ×4, first 2 shown]
	v_mul_i32_i24_e32 v117, v117, v201
	v_mul_i32_i24_e32 v102, v119, v197
	;; [unrolled: 1-line block ×3, first 2 shown]
	v_add3_u32 v76, v108, v77, v76
	v_add3_u32 v74, v103, v75, v74
	v_mul_i32_i24_e32 v103, v214, v128
	v_dual_lshrrev_b32 v127, 16, v105 :: v_dual_bitop2_b32 v122, 3, v107 bitop3:0x40
	v_dual_lshrrev_b32 v107, 24, v107 :: v_dual_bitop2_b32 v123, 3, v105 bitop3:0x40
	;; [unrolled: 1-line block ×3, first 2 shown]
	v_mul_i32_i24_e32 v119, v121, v198
	v_mul_i32_i24_e32 v104, v104, v196
	v_add3_u32 v73, v74, v73, v102
	v_add3_u32 v74, v76, v117, v118
	v_mul_i32_i24_e32 v75, v211, v129
	v_mul_i32_i24_e32 v76, v215, v114
	;; [unrolled: 1-line block ×4, first 2 shown]
	v_mad_i32_i24 v103, v212, v115, v103
	v_and_b32_e32 v127, 3, v127
	v_and_b32_e32 v105, 3, v105
	v_mul_i32_i24_e32 v121, v123, v207
	v_mul_i32_i24_e32 v123, v125, v205
	v_add3_u32 v73, v73, v119, v104
	v_mad_i32_i24 v102, v218, v131, v102
	v_mad_i32_i24 v76, v217, v130, v76
	v_add3_u32 v75, v75, v77, v103
	v_mul_i32_i24_e32 v125, v127, v206
	v_mul_i32_i24_e32 v105, v105, v204
	v_add3_u32 v73, v73, v121, v123
	v_mul_i32_i24_e32 v120, v120, v200
	v_add3_u32 v77, v76, v102, v75
	v_and_b32_e32 v75, 15, v112
	v_mul_i32_i24_e32 v106, v106, v195
	v_add3_u32 v73, v73, v125, v105
	v_and_b32_e32 v107, 3, v107
	v_mul_i32_i24_e32 v122, v122, v209
	v_and_b32_e32 v75, 0xffff, v75
	v_mul_i32_i24_e32 v124, v124, v210
	v_add3_u32 v74, v74, v120, v106
	v_mul_i32_i24_e32 v126, v126, v208
	v_mul_i32_i24_e32 v107, v107, v203
	v_mul_lo_u32 v73, v73, v75
	v_and_b32_e32 v76, 15, v113
	v_add3_u32 v74, v74, v122, v124
	v_cvt_f32_i32_e32 v77, v77
	v_cvt_f32_i32_e32 v70, v70
	v_mul_f32_e32 v72, v165, v72
	v_and_b32_e32 v76, 0xffff, v76
	v_add3_u32 v74, v74, v126, v107
	s_add_co_i32 s20, s1, 2
	v_mul_f32_e32 v70, v164, v70
	s_cmp_lt_u32 s1, 22
	s_mov_b32 s1, s20
	v_mad_u32 v73, v74, v76, v73
	v_cvt_f32_f16_e32 v74, v71
	v_lshrrev_b32_e32 v71, 16, v71
	s_delay_alu instid0(VALU_DEP_1) | instskip(NEXT) | instid1(VALU_DEP_4)
	v_cvt_f32_f16_e32 v75, v71
	v_cvt_f32_i32_e32 v76, v73
	s_delay_alu instid0(VALU_DEP_1) | instskip(NEXT) | instid1(VALU_DEP_1)
	v_pk_mul_f32 v[74:75], v[74:75], v[76:77]
	v_dual_mov_b32 v71, v74 :: v_dual_mov_b32 v73, v75
	s_delay_alu instid0(VALU_DEP_1) | instskip(NEXT) | instid1(VALU_DEP_1)
	v_pk_add_f32 v[4:5], v[70:71], v[72:73] neg_lo:[0,1] neg_hi:[0,1]
	v_pk_fma_f32 v[20:21], v[0:1], v[4:5], v[20:21] op_sel_hi:[0,1,1]
	v_add_nc_u32_e32 v1, 32, v1
	s_cbranch_scc1 .LBB187_27
; %bb.28:                               ;   in Loop: Header=BB187_5 Depth=1
	s_or_b32 s1, s17, 0x180
	s_delay_alu instid0(SALU_CYCLE_1)
	s_cmp_ge_i32 s1, s11
	s_barrier_signal -1
	s_barrier_wait -1
	s_cbranch_scc1 .LBB187_4
; %bb.29:                               ;   in Loop: Header=BB187_5 Depth=1
	v_add_nc_u32_e32 v0, s19, v79
	s_delay_alu instid0(VALU_DEP_1) | instskip(SKIP_1) | instid1(SALU_CYCLE_1)
	v_cmp_gt_i32_e64 s1, s10, v0
	s_and_b32 s17, s0, s1
	s_and_saveexec_b32 s1, s17
	s_cbranch_execz .LBB187_31
; %bb.30:                               ;   in Loop: Header=BB187_5 Depth=1
	v_add_nc_u32_e32 v0, v30, v0
	s_delay_alu instid0(VALU_DEP_1)
	v_mad_nc_i64_i32 v[0:1], v0, 36, v[38:39]
	global_load_b32 v0, v[0:1], off offset:4
	s_wait_loadcnt 0x0
	ds_store_b32 v53, v0
.LBB187_31:                             ;   in Loop: Header=BB187_5 Depth=1
	s_or_b32 exec_lo, exec_lo, s1
	s_and_saveexec_b32 s17, vcc_lo
	s_cbranch_execz .LBB187_34
; %bb.32:                               ;   in Loop: Header=BB187_5 Depth=1
	v_or_b32_e32 v0, 12, v68
	s_delay_alu instid0(VALU_DEP_1) | instskip(SKIP_1) | instid1(SALU_CYCLE_1)
	v_cmp_gt_i32_e64 s1, s10, v0
	s_and_b32 s1, s0, s1
	s_and_b32 exec_lo, exec_lo, s1
	s_cbranch_execz .LBB187_34
; %bb.33:                               ;   in Loop: Header=BB187_5 Depth=1
	v_ashrrev_i32_e32 v69, 31, v68
	s_delay_alu instid0(VALU_DEP_1) | instskip(NEXT) | instid1(VALU_DEP_1)
	v_add_nc_u64_e32 v[0:1], v[30:31], v[68:69]
	v_mad_nc_u64_u32 v[2:3], v0, 36, s[2:3]
	s_delay_alu instid0(VALU_DEP_1)
	v_mad_i32_i24 v3, v1, 36, v3
	global_load_b32 v0, v[2:3], off offset:432
	s_wait_loadcnt 0x0
	v_cvt_f32_f16_e32 v0, v0
	ds_store_b32 v57, v0
.LBB187_34:                             ;   in Loop: Header=BB187_5 Depth=1
	s_or_b32 exec_lo, exec_lo, s17
	v_dual_mov_b32 v1, v51 :: v_dual_mov_b32 v74, v55
	s_mov_b32 s1, 24
	s_wait_dscnt 0x0
	s_barrier_signal -1
	s_barrier_wait -1
.LBB187_35:                             ;   Parent Loop BB187_5 Depth=1
                                        ; =>  This Inner Loop Header: Depth=2
	s_and_b32 s20, s1, 0x3ffffff8
	s_sub_co_i32 s17, s1, 24
	v_lshl_add_u32 v70, s20, 2, v80
	s_lshr_b32 s20, s1, 2
	s_and_b32 s19, s1, -16
	s_and_b32 s20, s20, 0x3ffffffc
	s_add_co_i32 s19, s1, s19
	ds_load_2addr_b32 v[2:3], v70 offset1:1
	s_addk_co_i32 s20, 0x5280
	ds_load_2addr_b32 v[6:7], v70 offset0:2 offset1:3
	ds_load_b32 v0, v74
	v_add_nc_u32_e32 v126, 0x1094, v70
	v_add_nc_u32_e32 v144, 0x2108, v70
	;; [unrolled: 1-line block ×3, first 2 shown]
	v_dual_add_nc_u32 v128, s19, v61 :: v_dual_add_nc_u32 v74, 4, v74
	s_wait_dscnt 0x2
	v_dual_ashrrev_i32 v106, s17, v2 :: v_dual_ashrrev_i32 v4, s17, v3
	ds_load_2addr_b32 v[2:3], v70 offset0:4 offset1:7
	v_dual_add_nc_u32 v108, s19, v59 :: v_dual_lshrrev_b32 v113, 24, v4
	v_and_b32_e32 v110, 3, v4
	v_bfe_u32 v111, v4, 8, 2
	v_bfe_u32 v112, v4, 16, 2
	s_wait_dscnt 0x0
	v_dual_ashrrev_i32 v2, s17, v2 :: v_dual_ashrrev_i32 v107, s17, v3
	v_add3_u32 v3, s20, v101, v85
	s_delay_alu instid0(VALU_DEP_2)
	v_dual_lshrrev_b32 v120, 24, v2 :: v_dual_bitop2_b32 v117, 3, v2 bitop3:0x40
	v_bfe_u32 v118, v2, 8, 2
	v_bfe_u32 v119, v2, 16, 2
	v_add_nc_u32_e32 v2, 0x1080, v70
	ds_load_b32 v109, v3
	v_dual_lshrrev_b32 v123, 16, v107 :: v_dual_bitop2_b32 v121, 3, v107 bitop3:0x40
	v_bfe_u32 v122, v107, 8, 2
	ds_load_2addr_b32 v[2:3], v2 offset1:1
	v_ashrrev_i32_e32 v7, s17, v7
	v_and_b32_e32 v123, 3, v123
	s_delay_alu instid0(VALU_DEP_2) | instskip(SKIP_1) | instid1(VALU_DEP_2)
	v_dual_lshrrev_b32 v116, 16, v7 :: v_dual_bitop2_b32 v114, 3, v7 bitop3:0x40
	v_bfe_u32 v115, v7, 8, 2
	v_dual_lshrrev_b32 v7, 24, v7 :: v_dual_bitop2_b32 v116, 3, v116 bitop3:0x40
	s_wait_dscnt 0x0
	v_dual_ashrrev_i32 v124, s17, v2 :: v_dual_ashrrev_i32 v4, s17, v3
	v_add_nc_u32_e32 v2, 0x1088, v70
	s_delay_alu instid0(VALU_DEP_2)
	v_dual_lshrrev_b32 v133, 24, v4 :: v_dual_bitop2_b32 v130, 3, v4 bitop3:0x40
	ds_load_2addr_b32 v[68:69], v2 offset1:1
	v_add_nc_u32_e32 v2, 0x1000, v70
	v_bfe_u32 v131, v4, 8, 2
	v_bfe_u32 v132, v4, 16, 2
	ds_load_2addr_b32 v[2:3], v2 offset0:36 offset1:39
	s_wait_dscnt 0x1
	v_ashrrev_i32_e32 v125, s17, v69
	v_add3_u32 v69, s20, v88, v89
	s_wait_dscnt 0x0
	v_dual_ashrrev_i32 v2, s17, v2 :: v_dual_ashrrev_i32 v127, s17, v3
	v_add3_u32 v3, s20, v86, v87
	ds_load_b32 v69, v69
	v_dual_lshrrev_b32 v136, 16, v125 :: v_dual_bitop2_b32 v134, 3, v125 bitop3:0x40
	v_dual_lshrrev_b32 v140, 24, v2 :: v_dual_bitop2_b32 v137, 3, v2 bitop3:0x40
	v_bfe_u32 v138, v2, 8, 2
	v_bfe_u32 v139, v2, 16, 2
	v_add_nc_u32_e32 v2, 0x2100, v70
	ds_load_b32 v129, v3
	v_bfe_u32 v135, v125, 8, 2
	v_dual_lshrrev_b32 v143, 16, v127 :: v_dual_bitop2_b32 v141, 3, v127 bitop3:0x40
	ds_load_2addr_b32 v[2:3], v2 offset1:1
	v_bfe_u32 v142, v127, 8, 2
	s_wait_dscnt 0x2
	v_cvt_f32_f16_e64 v163, v69
	v_add_nc_u32_e32 v145, 0x2118, v70
	s_wait_dscnt 0x0
	v_dual_ashrrev_i32 v4, s17, v2 :: v_dual_ashrrev_i32 v5, s17, v3
	v_add_nc_u32_e32 v2, 0x2110, v70
	s_delay_alu instid0(VALU_DEP_2)
	v_dual_add_nc_u32 v146, s19, v63 :: v_dual_bitop2_b32 v147, 3, v4 bitop3:0x40
	v_bfe_u32 v148, v4, 8, 2
	ds_load_2addr_b32 v[2:3], v2 offset1:1
	v_bfe_u32 v149, v4, 16, 2
	v_bfe_u32 v150, v4, 24, 2
	;; [unrolled: 1-line block ×5, first 2 shown]
	s_wait_dscnt 0x0
	v_dual_ashrrev_i32 v2, s17, v2 :: v_dual_ashrrev_i32 v3, s17, v3
	s_delay_alu instid0(VALU_DEP_1)
	v_and_b32_e32 v155, 3, v2
	v_bfe_u32 v156, v2, 8, 2
	v_bfe_u32 v157, v2, 16, 2
	;; [unrolled: 1-line block ×3, first 2 shown]
	v_dual_lshrrev_b32 v2, 16, v69 :: v_dual_bitop2_b32 v159, 3, v3 bitop3:0x40
	v_bfe_u32 v160, v3, 8, 2
	v_bfe_u32 v161, v3, 16, 2
	;; [unrolled: 1-line block ×3, first 2 shown]
	s_delay_alu instid0(VALU_DEP_4)
	v_cvt_f32_f16_e64 v164, v2
	v_add_nc_u32_e32 v2, 0x3180, v70
	v_add3_u32 v69, s20, v90, v91
	v_add_nc_u32_e32 v165, 0x3188, v70
	ds_load_2addr_b32 v[2:3], v2 offset1:1
	ds_load_b32 v69, v69
	s_wait_dscnt 0x1
	v_dual_ashrrev_i32 v4, s17, v2 :: v_dual_bitop2_b32 v151, 3, v5 bitop3:0x40
	v_add_nc_u32_e32 v2, 0x3190, v70
	v_dual_ashrrev_i32 v5, s17, v3 :: v_dual_add_nc_u32 v167, s19, v65
	s_delay_alu instid0(VALU_DEP_3)
	v_and_b32_e32 v168, 3, v4
	ds_load_2addr_b32 v[2:3], v2 offset1:1
	v_bfe_u32 v73, v4, 8, 2
	v_bfe_u32 v72, v4, 16, 2
	;; [unrolled: 1-line block ×3, first 2 shown]
	v_and_b32_e32 v169, 3, v5
	v_bfe_u32 v170, v5, 8, 2
	v_bfe_u32 v171, v5, 16, 2
	;; [unrolled: 1-line block ×3, first 2 shown]
	s_wait_dscnt 0x0
	v_dual_ashrrev_i32 v2, s17, v2 :: v_dual_ashrrev_i32 v3, s17, v3
	s_delay_alu instid0(VALU_DEP_1)
	v_and_b32_e32 v173, 3, v2
	v_bfe_u32 v174, v2, 8, 2
	v_bfe_u32 v175, v2, 16, 2
	;; [unrolled: 1-line block ×3, first 2 shown]
	v_and_b32_e32 v177, 3, v3
	v_bfe_u32 v178, v3, 8, 2
	v_bfe_u32 v76, v3, 16, 2
	;; [unrolled: 1-line block ×3, first 2 shown]
	ds_load_b128 v[2:5], v1
	ds_load_b128 v[102:105], v1 offset:16
	s_wait_dscnt 0x1
	v_ashrrev_i32_e32 v77, 24, v2
	s_wait_dscnt 0x0
	v_lshrrev_b16 v179, 8, v102
	v_ashrrev_i32_e32 v180, 24, v102
	v_bfe_i32 v182, v102, 0, 8
	v_bfe_i32 v183, v102, 16, 8
	;; [unrolled: 1-line block ×4, first 2 shown]
	v_lshrrev_b16 v102, 8, v103
	v_bfe_i32 v189, v2, 8, 8
	v_lshrrev_b16 v2, 8, v4
	v_bfe_i32 v179, v179, 0, 8
	v_ashrrev_i32_e32 v186, 24, v3
	v_bfe_i32 v187, v102, 0, 8
	v_dual_ashrrev_i32 v188, 24, v103 :: v_dual_ashrrev_i32 v194, 24, v104
	v_bfe_i32 v193, v3, 16, 8
	v_bfe_i32 v196, v2, 0, 8
	v_lshrrev_b16 v2, 8, v5
	v_bfe_i32 v181, v3, 8, 8
	v_bfe_i32 v192, v3, 0, 8
	v_dual_ashrrev_i32 v195, 24, v4 :: v_dual_ashrrev_i32 v202, 24, v105
	v_bfe_i32 v197, v4, 16, 8
	v_bfe_i32 v198, v4, 0, 8
	;; [unrolled: 1-line block ×3, first 2 shown]
	v_ashrrev_i32_e32 v203, 24, v5
	v_bfe_i32 v204, v2, 0, 8
	v_bfe_i32 v205, v5, 16, 8
	v_bfe_i32 v206, v5, 0, 8
	v_bfe_i32 v209, v105, 8, 8
	v_dual_add_nc_u32 v2, v188, v180 :: v_dual_add_nc_u32 v3, v187, v179
	v_add_nc_u32_e32 v4, v186, v77
	v_dual_add_nc_u32 v5, v193, v185 :: v_dual_add_nc_u32 v102, v192, v184
	v_bfe_i32 v190, v103, 0, 8
	v_bfe_i32 v191, v103, 16, 8
	v_bfe_i32 v207, v105, 16, 8
	v_bfe_i32 v208, v105, 0, 8
	v_add_nc_u32_e32 v105, v189, v181
	v_add3_u32 v211, v4, v195, v203
	v_add3_u32 v212, v3, v201, v209
	;; [unrolled: 1-line block ×4, first 2 shown]
	v_mul_i32_i24_e32 v2, v110, v192
	v_mul_i32_i24_e32 v3, v130, v192
	v_dual_ashrrev_i32 v4, s17, v6 :: v_dual_ashrrev_i32 v5, s17, v68
	v_and_b32_e32 v68, 3, v106
	v_and_b32_e32 v130, 3, v133
	s_delay_alu instid0(VALU_DEP_3)
	v_dual_lshrrev_b32 v220, 16, v4 :: v_dual_bitop2_b32 v113, 3, v113 bitop3:0x40
	v_bfe_i32 v199, v104, 16, 8
	v_bfe_i32 v200, v104, 0, 8
	v_dual_add_nc_u32 v103, v191, v183 :: v_dual_add_nc_u32 v104, v190, v182
	v_add3_u32 v210, v105, v196, v204
	v_mul_i32_i24_e32 v105, v134, v206
	v_dual_lshrrev_b32 v219, 8, v5 :: v_dual_bitop2_b32 v6, 3, v124 bitop3:0x40
	v_dual_lshrrev_b32 v221, 16, v5 :: v_dual_bitop2_b32 v133, 3, v5 bitop3:0x40
	;; [unrolled: 1-line block ×3, first 2 shown]
	v_mul_i32_i24_e32 v112, v112, v193
	v_mul_i32_i24_e32 v132, v132, v193
	v_mul_i32_i24_e32 v113, v113, v186
	v_mul_i32_i24_e32 v130, v130, v186
	v_mad_i32_i24 v3, v131, v181, v3
	v_mad_i32_i24 v2, v111, v181, v2
	v_add3_u32 v214, v104, v200, v208
	v_add3_u32 v215, v103, v199, v207
	;; [unrolled: 1-line block ×3, first 2 shown]
	v_mul_i32_i24_e32 v102, v114, v206
	v_mul_i32_i24_e32 v103, v118, v179
	;; [unrolled: 1-line block ×3, first 2 shown]
	v_bfe_u32 v110, v124, 8, 2
	v_bfe_u32 v114, v106, 8, 2
	v_bfe_u32 v118, v124, 24, 2
	v_bfe_u32 v121, v106, 24, 2
	v_bfe_u32 v124, v124, 16, 2
	v_bfe_u32 v106, v106, 16, 2
	v_lshrrev_b32_e32 v4, 24, v4
	v_mul_i32_i24_e32 v68, v184, v68
	v_mul_i32_i24_e32 v6, v184, v6
	;; [unrolled: 1-line block ×4, first 2 shown]
	v_add3_u32 v2, v2, v112, v113
	v_add3_u32 v3, v3, v132, v130
	v_dual_lshrrev_b32 v5, 24, v5 :: v_dual_bitop2_b32 v219, 3, v219 bitop3:0x40
	v_and_b32_e32 v218, 3, v218
	v_mul_i32_i24_e32 v114, v189, v114
	v_mul_i32_i24_e32 v110, v189, v110
	;; [unrolled: 1-line block ×4, first 2 shown]
	v_add3_u32 v3, v3, v133, v6
	v_add3_u32 v2, v2, v134, v68
	v_and_b32_e32 v221, 3, v221
	v_and_b32_e32 v220, 3, v220
	;; [unrolled: 1-line block ×4, first 2 shown]
	v_mul_i32_i24_e32 v121, v77, v121
	v_mul_i32_i24_e32 v118, v77, v118
	;; [unrolled: 1-line block ×4, first 2 shown]
	v_add3_u32 v2, v2, v114, v106
	v_add3_u32 v3, v3, v110, v124
	v_mul_i32_i24_e32 v220, v220, v197
	v_mul_i32_i24_e32 v221, v221, v197
	;; [unrolled: 1-line block ×4, first 2 shown]
	v_add3_u32 v3, v3, v118, v219
	v_add3_u32 v2, v2, v121, v218
	v_mul_i32_i24_e32 v6, v137, v182
	v_mul_i32_i24_e32 v119, v119, v183
	;; [unrolled: 1-line block ×3, first 2 shown]
	v_add3_u32 v106, v3, v221, v5
	v_add3_u32 v68, v2, v220, v4
	ds_load_2addr_b32 v[2:3], v70 offset0:5 offset1:6
	ds_load_2addr_b32 v[4:5], v126 offset1:1
	v_mad_i32_i24 v103, v117, v182, v103
	v_mad_i32_i24 v6, v138, v179, v6
	v_mul_i32_i24_e32 v110, v141, v208
	v_mul_i32_i24_e32 v73, v73, v189
	;; [unrolled: 1-line block ×6, first 2 shown]
	s_wait_dscnt 0x0
	v_dual_ashrrev_i32 v2, s17, v2 :: v_dual_ashrrev_i32 v4, s17, v4
	v_and_b32_e32 v70, 3, v140
	v_dual_ashrrev_i32 v3, s17, v3 :: v_dual_bitop2_b32 v111, 3, v120 bitop3:0x40
	s_delay_alu instid0(VALU_DEP_3) | instskip(SKIP_2) | instid1(VALU_DEP_3)
	v_dual_lshrrev_b32 v114, 8, v2 :: v_dual_bitop2_b32 v112, 3, v4 bitop3:0x40
	v_dual_lshrrev_b32 v118, 8, v4 :: v_dual_ashrrev_i32 v5, s17, v5
	v_dual_lshrrev_b32 v121, 16, v4 :: v_dual_bitop2_b32 v113, 3, v2 bitop3:0x40
	v_dual_lshrrev_b32 v130, 8, v3 :: v_dual_bitop2_b32 v114, 3, v114 bitop3:0x40
	s_delay_alu instid0(VALU_DEP_3) | instskip(SKIP_4) | instid1(VALU_DEP_4)
	v_dual_lshrrev_b32 v4, 24, v4 :: v_dual_bitop2_b32 v118, 3, v118 bitop3:0x40
	v_dual_lshrrev_b32 v120, 16, v2 :: v_dual_lshrrev_b32 v2, 24, v2
	v_mul_i32_i24_e32 v111, v111, v180
	v_mul_i32_i24_e32 v70, v70, v180
	v_dual_lshrrev_b32 v132, 16, v3 :: v_dual_bitop2_b32 v121, 3, v121 bitop3:0x40
	v_dual_lshrrev_b32 v131, 8, v5 :: v_dual_bitop2_b32 v120, 3, v120 bitop3:0x40
	;; [unrolled: 1-line block ×3, first 2 shown]
	v_and_b32_e32 v2, 3, v2
	v_add3_u32 v6, v6, v134, v70
	v_add3_u32 v70, v103, v119, v111
	v_mul_i32_i24_e32 v103, v113, v190
	v_mul_i32_i24_e32 v111, v112, v190
	;; [unrolled: 1-line block ×4, first 2 shown]
	v_dual_lshrrev_b32 v5, 24, v5 :: v_dual_bitop2_b32 v124, 3, v5 bitop3:0x40
	v_and_b32_e32 v126, 3, v3
	v_and_b32_e32 v131, 3, v131
	v_dual_lshrrev_b32 v3, 24, v3 :: v_dual_bitop2_b32 v130, 3, v130 bitop3:0x40
	v_mul_i32_i24_e32 v114, v120, v191
	v_mul_i32_i24_e32 v117, v121, v191
	;; [unrolled: 1-line block ×4, first 2 shown]
	v_add3_u32 v70, v70, v103, v112
	v_add3_u32 v6, v6, v111, v113
	v_and_b32_e32 v133, 3, v133
	v_and_b32_e32 v132, 3, v132
	;; [unrolled: 1-line block ×4, first 2 shown]
	v_mul_i32_i24_e32 v118, v126, v200
	v_mul_i32_i24_e32 v119, v124, v200
	;; [unrolled: 1-line block ×4, first 2 shown]
	v_add3_u32 v4, v6, v117, v4
	v_add3_u32 v2, v70, v114, v2
	v_mul_i32_i24_e32 v126, v133, v199
	v_mul_i32_i24_e32 v3, v3, v194
	;; [unrolled: 1-line block ×3, first 2 shown]
	v_add3_u32 v4, v4, v119, v121
	v_add3_u32 v2, v2, v118, v120
	v_lshrrev_b32_e32 v120, 24, v125
	v_mul_i32_i24_e32 v124, v132, v199
	ds_load_u16 v6, v128 offset:17904
	v_add3_u32 v4, v4, v126, v5
	v_and_b32_e32 v119, 3, v136
	v_and_b32_e32 v120, 3, v120
	v_add3_u32 v5, v2, v124, v3
	ds_load_u16 v2, v108 offset:16880
	v_and_b32_e32 v134, 3, v143
	s_wait_dscnt 0x1
	v_lshrrev_b16 v70, 8, v6
	v_bfe_u32 v113, v6, 4, 4
	v_and_b32_e32 v6, 15, v6
	s_wait_dscnt 0x0
	v_lshrrev_b16 v3, 8, v2
	v_bfe_u32 v103, v2, 4, 4
	v_and_b32_e32 v111, 0xffff, v70
	v_and_b32_e32 v2, 15, v2
	;; [unrolled: 1-line block ×4, first 2 shown]
	v_mul_lo_u32 v103, 0x1010101, v103
	v_lshrrev_b32_e32 v6, 24, v107
	v_and_b32_e32 v124, 0xffff, v2
	s_delay_alu instid0(VALU_DEP_4) | instskip(SKIP_2) | instid1(VALU_DEP_3)
	v_dual_lshrrev_b32 v2, 4, v111 :: v_dual_lshrrev_b32 v112, 4, v112
	v_mul_lo_u32 v113, 0x1010101, v113
	v_mul_i32_i24_e32 v116, v116, v205
	v_mul_lo_u32 v2, 0x1010101, v2
	s_delay_alu instid0(VALU_DEP_4) | instskip(SKIP_4) | instid1(VALU_DEP_3)
	v_mul_lo_u32 v112, 0x1010101, v112
	v_and_b32_e32 v121, 3, v7
	v_bfe_i32 v108, v103, 16, 8
	v_dual_lshrrev_b32 v118, 24, v103 :: v_dual_lshrrev_b32 v117, 24, v113
	v_bfe_i32 v114, v113, 16, 8
	v_mul_i32_i24_e32 v108, v217, v108
	v_bfe_i32 v111, v2, 0, 8
	v_bfe_i32 v128, v2, 8, 8
	v_lshrrev_b32_e32 v131, 24, v2
	v_bfe_i32 v133, v2, 16, 8
	v_dual_lshrrev_b32 v2, 24, v127 :: v_dual_bitop2_b32 v127, 3, v6 bitop3:0x40
	v_lshrrev_b32_e32 v6, 16, v129
	v_mul_i32_i24_e32 v119, v119, v205
	v_mul_i32_i24_e32 v120, v120, v203
	s_delay_alu instid0(VALU_DEP_4)
	v_and_b32_e32 v107, 3, v2
	v_and_b32_e32 v2, 15, v3
	v_cvt_f32_f16_e32 v7, v6
	v_lshrrev_b32_e32 v132, 24, v112
	v_mul_i32_i24_e32 v121, v121, v203
	v_mul_i32_i24_e32 v107, v107, v202
	v_and_b32_e32 v136, 0xffff, v2
	v_cvt_f32_f16_e32 v2, v109
	v_lshrrev_b32_e32 v109, 16, v109
	v_bfe_i32 v126, v112, 0, 8
	v_bfe_i32 v130, v112, 8, 8
	;; [unrolled: 1-line block ×3, first 2 shown]
	v_mul_i32_i24_e32 v114, v217, v114
	v_cvt_f32_f16_e32 v6, v109
	v_bfe_i32 v109, v103, 8, 8
	v_bfe_i32 v103, v103, 0, 8
	v_and_b32_e32 v3, 15, v70
	s_delay_alu instid0(VALU_DEP_2) | instskip(NEXT) | instid1(VALU_DEP_2)
	v_mul_i32_i24_e32 v103, v216, v103
	v_and_b32_e32 v70, 0xffff, v3
	v_cvt_f32_f16_e64 v3, v129
	v_mul_i32_i24_e32 v129, v150, v77
	s_delay_alu instid0(VALU_DEP_4) | instskip(SKIP_2) | instid1(VALU_DEP_2)
	v_mad_i32_i24 v103, v210, v109, v103
	v_mul_i32_i24_e32 v109, v115, v204
	v_mul_i32_i24_e32 v115, v135, v204
	v_add3_u32 v68, v68, v102, v109
	s_delay_alu instid0(VALU_DEP_2)
	v_add3_u32 v105, v106, v105, v115
	v_mul_i32_i24_e32 v109, v123, v207
	v_mul_i32_i24_e32 v106, v142, v209
	v_mul_i32_i24_e32 v115, v134, v207
	v_add3_u32 v68, v68, v116, v121
	v_add3_u32 v102, v105, v119, v120
	v_mul_i32_i24_e32 v105, v122, v209
	v_mul_i32_i24_e32 v116, v127, v202
	v_add3_u32 v4, v4, v110, v106
	v_mul_i32_i24_e32 v106, v215, v112
	v_mul_i32_i24_e32 v110, v214, v111
	v_add3_u32 v5, v5, v104, v105
	v_mul_i32_i24_e32 v111, v212, v130
	v_add3_u32 v4, v4, v115, v107
	v_mul_i32_i24_e32 v115, v211, v118
	v_mul_i32_i24_e32 v112, v212, v128
	v_add3_u32 v5, v5, v109, v116
	v_mul_i32_i24_e32 v116, v211, v117
	v_bfe_i32 v117, v113, 8, 8
	v_bfe_i32 v113, v113, 0, 8
	v_mul_i32_i24_e32 v109, v214, v126
	v_add3_u32 v103, v103, v108, v115
	v_mul_lo_u32 v102, v102, v125
	v_mul_i32_i24_e32 v104, v213, v132
	v_mul_i32_i24_e32 v113, v216, v113
	;; [unrolled: 1-line block ×4, first 2 shown]
	v_add3_u32 v103, v103, v109, v111
	v_mul_lo_u32 v68, v68, v124
	v_mad_i32_i24 v113, v210, v117, v113
	v_mul_i32_i24_e32 v125, v148, v189
	v_mul_i32_i24_e32 v126, v161, v191
	v_add3_u32 v104, v103, v106, v104
	v_mad_u32 v4, v4, v70, v102
	v_add3_u32 v108, v113, v114, v116
	v_mul_i32_i24_e32 v70, v151, v192
	v_mul_i32_i24_e32 v127, v149, v185
	v_cvt_f32_i32_e32 v102, v104
	v_mul_i32_i24_e32 v104, v158, v180
	v_add3_u32 v108, v108, v110, v112
	v_mad_i32_i24 v70, v152, v181, v70
	v_mad_u32 v68, v5, v136, v68
	v_mul_i32_i24_e32 v128, v162, v188
	s_delay_alu instid0(VALU_DEP_4) | instskip(SKIP_3) | instid1(VALU_DEP_4)
	v_add3_u32 v103, v108, v107, v105
	v_cvt_f32_i32_e32 v5, v4
	v_mul_i32_i24_e32 v107, v159, v190
	v_mul_i32_i24_e32 v108, v160, v187
	v_cvt_f32_i32_e32 v103, v103
	v_cvt_f32_i32_e32 v4, v68
	v_mul_i32_i24_e32 v68, v184, v147
	s_delay_alu instid0(VALU_DEP_3) | instskip(SKIP_2) | instid1(VALU_DEP_3)
	v_pk_mul_f32 v[6:7], v[6:7], v[102:103]
	v_mul_i32_i24_e32 v102, v153, v193
	v_mul_i32_i24_e32 v103, v154, v186
	v_pk_fma_f32 v[2:3], v[2:3], v[4:5], v[6:7] neg_lo:[0,0,1] neg_hi:[0,0,1]
	s_delay_alu instid0(VALU_DEP_2) | instskip(SKIP_2) | instid1(VALU_DEP_4)
	v_add3_u32 v70, v70, v102, v103
	v_mul_i32_i24_e32 v102, v155, v182
	v_mul_i32_i24_e32 v103, v157, v183
	v_pk_fma_f32 v[22:23], v[0:1], v[2:3], v[22:23] op_sel_hi:[0,1,1]
	s_delay_alu instid0(VALU_DEP_3) | instskip(NEXT) | instid1(VALU_DEP_1)
	v_mad_i32_i24 v102, v156, v179, v102
	v_add3_u32 v106, v102, v103, v104
	ds_load_2addr_b32 v[102:103], v144 offset1:1
	ds_load_2addr_b32 v[104:105], v145 offset1:1
	ds_load_u16 v109, v146 offset:18928
	s_wait_dscnt 0x1
	v_dual_ashrrev_i32 v102, s17, v102 :: v_dual_ashrrev_i32 v104, s17, v104
	s_wait_dscnt 0x0
	v_lshrrev_b16 v110, 8, v109
	v_bfe_u32 v112, v109, 4, 4
	s_delay_alu instid0(VALU_DEP_3) | instskip(SKIP_1) | instid1(VALU_DEP_4)
	v_dual_ashrrev_i32 v105, s17, v105 :: v_dual_bitop2_b32 v113, 3, v102 bitop3:0x40
	v_lshrrev_b32_e32 v116, 8, v102
	v_and_b32_e32 v111, 0xffff, v110
	v_dual_lshrrev_b32 v115, 8, v104 :: v_dual_ashrrev_i32 v103, s17, v103
	s_delay_alu instid0(VALU_DEP_4) | instskip(SKIP_1) | instid1(VALU_DEP_4)
	v_mul_i32_i24_e32 v113, v113, v198
	v_dual_lshrrev_b32 v118, 16, v102 :: v_dual_bitop2_b32 v114, 3, v104 bitop3:0x40
	v_lshrrev_b32_e32 v111, 4, v111
	s_delay_alu instid0(VALU_DEP_4)
	v_and_b32_e32 v115, 3, v115
	v_dual_lshrrev_b32 v102, 24, v102 :: v_dual_bitop2_b32 v116, 3, v116 bitop3:0x40
	v_dual_lshrrev_b32 v117, 16, v104 :: v_dual_lshrrev_b32 v104, 24, v104
	v_add3_u32 v68, v70, v113, v68
	v_add3_u32 v70, v106, v107, v108
	v_mul_lo_u32 v112, 0x1010101, v112
	v_mul_lo_u32 v111, 0x1010101, v111
	v_dual_lshrrev_b32 v122, 8, v103 :: v_dual_bitop2_b32 v117, 3, v117 bitop3:0x40
	v_dual_lshrrev_b32 v121, 8, v105 :: v_dual_bitop2_b32 v118, 3, v118 bitop3:0x40
	;; [unrolled: 1-line block ×4, first 2 shown]
	v_mul_i32_i24_e32 v114, v114, v200
	v_mul_i32_i24_e32 v116, v116, v196
	;; [unrolled: 1-line block ×3, first 2 shown]
	v_add3_u32 v70, v70, v126, v128
	v_add3_u32 v68, v68, v125, v127
	v_dual_lshrrev_b32 v105, 24, v105 :: v_dual_bitop2_b32 v119, 3, v105 bitop3:0x40
	v_dual_lshrrev_b32 v103, 24, v103 :: v_dual_bitop2_b32 v120, 3, v103 bitop3:0x40
	v_and_b32_e32 v121, 3, v121
	v_dual_lshrrev_b32 v106, 24, v112 :: v_dual_bitop2_b32 v122, 3, v122 bitop3:0x40
	v_mul_i32_i24_e32 v118, v118, v197
	v_mul_i32_i24_e32 v117, v117, v199
	v_mul_i32_i24_e32 v102, v102, v195
	v_mul_i32_i24_e32 v104, v104, v194
	v_add3_u32 v68, v68, v129, v116
	v_add3_u32 v70, v70, v114, v115
	v_and_b32_e32 v123, 3, v123
	v_and_b32_e32 v124, 3, v124
	;; [unrolled: 1-line block ×4, first 2 shown]
	v_mul_i32_i24_e32 v120, v120, v206
	v_mul_i32_i24_e32 v119, v119, v208
	;; [unrolled: 1-line block ×3, first 2 shown]
	v_add3_u32 v70, v70, v117, v104
	v_add3_u32 v68, v68, v118, v102
	v_lshrrev_b32_e32 v102, 24, v111
	v_mul_i32_i24_e32 v121, v121, v209
	v_mul_i32_i24_e32 v124, v124, v205
	;; [unrolled: 1-line block ×5, first 2 shown]
	v_add3_u32 v68, v68, v120, v122
	v_add3_u32 v70, v70, v119, v121
	v_bfe_i32 v104, v111, 8, 8
	v_bfe_i32 v107, v112, 16, 8
	;; [unrolled: 1-line block ×3, first 2 shown]
	v_add3_u32 v68, v68, v124, v103
	v_add3_u32 v70, v70, v123, v105
	v_bfe_i32 v103, v111, 16, 8
	v_bfe_i32 v105, v111, 0, 8
	;; [unrolled: 1-line block ×3, first 2 shown]
	v_and_b32_e32 v109, 15, v109
	v_mul_i32_i24_e32 v107, v217, v107
	v_mul_i32_i24_e32 v106, v211, v106
	;; [unrolled: 1-line block ×4, first 2 shown]
	v_and_b32_e32 v109, 0xffff, v109
	v_mul_i32_i24_e32 v104, v212, v104
	v_and_b32_e32 v110, 15, v110
	v_mul_i32_i24_e32 v103, v215, v103
	v_mad_i32_i24 v108, v210, v108, v111
	v_mul_lo_u32 v68, v68, v109
	v_mul_i32_i24_e32 v102, v213, v102
	v_and_b32_e32 v110, 0xffff, v110
	v_mul_i32_i24_e32 v109, v177, v190
	v_add3_u32 v106, v108, v107, v106
	s_delay_alu instid0(VALU_DEP_1) | instskip(SKIP_3) | instid1(VALU_DEP_4)
	v_add3_u32 v104, v106, v105, v104
	v_mul_i32_i24_e32 v106, v184, v168
	v_mad_u32 v68, v70, v110, v68
	v_mul_i32_i24_e32 v110, v178, v187
	v_add3_u32 v102, v104, v103, v102
	v_mul_i32_i24_e32 v103, v171, v193
	v_mul_i32_i24_e32 v104, v172, v186
	s_delay_alu instid0(VALU_DEP_3) | instskip(SKIP_2) | instid1(VALU_DEP_3)
	v_cvt_f32_i32_e32 v70, v102
	v_mul_i32_i24_e32 v102, v169, v192
	v_cvt_f32_i32_e32 v68, v68
	v_mul_f32_e32 v70, v164, v70
	s_delay_alu instid0(VALU_DEP_3) | instskip(NEXT) | instid1(VALU_DEP_3)
	v_mad_i32_i24 v102, v170, v181, v102
	v_mul_f32_e32 v68, v163, v68
	s_delay_alu instid0(VALU_DEP_2) | instskip(SKIP_3) | instid1(VALU_DEP_3)
	v_add3_u32 v107, v102, v103, v104
	v_mul_i32_i24_e32 v102, v173, v182
	v_mul_i32_i24_e32 v103, v175, v183
	;; [unrolled: 1-line block ×3, first 2 shown]
	v_mad_i32_i24 v102, v174, v179, v102
	s_delay_alu instid0(VALU_DEP_1)
	v_add3_u32 v108, v102, v103, v104
	ds_load_2addr_b32 v[102:103], v165 offset1:1
	ds_load_2addr_b32 v[104:105], v166 offset1:1
	ds_load_u16 v111, v167 offset:19952
	s_wait_dscnt 0x1
	v_dual_ashrrev_i32 v102, s17, v102 :: v_dual_ashrrev_i32 v104, s17, v104
	s_wait_dscnt 0x0
	v_lshrrev_b16 v112, 8, v111
	v_bfe_u32 v114, v111, 4, 4
	s_delay_alu instid0(VALU_DEP_3) | instskip(SKIP_1) | instid1(VALU_DEP_4)
	v_dual_ashrrev_i32 v105, s17, v105 :: v_dual_bitop2_b32 v115, 3, v102 bitop3:0x40
	v_lshrrev_b32_e32 v118, 8, v102
	v_and_b32_e32 v113, 0xffff, v112
	v_dual_lshrrev_b32 v119, 16, v104 :: v_dual_bitop2_b32 v116, 3, v104 bitop3:0x40
	v_lshrrev_b32_e32 v117, 8, v104
	v_mul_i32_i24_e32 v115, v115, v198
	s_delay_alu instid0(VALU_DEP_4) | instskip(SKIP_3) | instid1(VALU_DEP_4)
	v_lshrrev_b32_e32 v113, 4, v113
	v_mul_lo_u32 v114, 0x1010101, v114
	v_dual_lshrrev_b32 v104, 24, v104 :: v_dual_bitop2_b32 v118, 3, v118 bitop3:0x40
	v_dual_lshrrev_b32 v120, 16, v102 :: v_dual_bitop2_b32 v117, 3, v117 bitop3:0x40
	v_mul_lo_u32 v113, 0x1010101, v113
	v_dual_lshrrev_b32 v102, 24, v102 :: v_dual_bitop2_b32 v119, 3, v119 bitop3:0x40
	v_add3_u32 v106, v107, v115, v106
	s_delay_alu instid0(VALU_DEP_4) | instskip(SKIP_1) | instid1(VALU_DEP_4)
	v_dual_lshrrev_b32 v123, 8, v105 :: v_dual_bitop2_b32 v120, 3, v120 bitop3:0x40
	v_mul_i32_i24_e32 v77, v118, v196
	v_dual_lshrrev_b32 v125, 16, v105 :: v_dual_bitop2_b32 v102, 3, v102 bitop3:0x40
	s_delay_alu instid0(VALU_DEP_4)
	v_add3_u32 v72, v106, v73, v72
	v_ashrrev_i32_e32 v103, s17, v103
	v_dual_lshrrev_b32 v127, 24, v113 :: v_dual_bitop2_b32 v123, 3, v123 bitop3:0x40
	v_lshrrev_b16 v128, 8, v114
	v_mul_i32_i24_e32 v118, v120, v197
	v_mul_i32_i24_e32 v102, v102, v195
	v_add3_u32 v107, v108, v109, v110
	v_add3_u32 v71, v72, v71, v77
	v_dual_lshrrev_b32 v124, 8, v103 :: v_dual_bitop2_b32 v104, 3, v104 bitop3:0x40
	v_and_b32_e32 v125, 3, v125
	v_bfe_i32 v129, v114, 0, 8
	v_bfe_i32 v130, v114, 16, 8
	v_lshrrev_b32_e32 v114, 24, v114
	v_bfe_i32 v131, v113, 16, 8
	v_bfe_i32 v132, v113, 8, 8
	;; [unrolled: 1-line block ×4, first 2 shown]
	v_mul_i32_i24_e32 v116, v116, v200
	v_mul_i32_i24_e32 v117, v117, v201
	v_add3_u32 v75, v107, v76, v75
	v_add3_u32 v71, v71, v118, v102
	v_mul_i32_i24_e32 v102, v213, v127
	v_dual_lshrrev_b32 v126, 16, v103 :: v_dual_bitop2_b32 v121, 3, v105 bitop3:0x40
	v_dual_lshrrev_b32 v105, 24, v105 :: v_dual_bitop2_b32 v122, 3, v103 bitop3:0x40
	;; [unrolled: 1-line block ×3, first 2 shown]
	v_add3_u32 v72, v75, v116, v117
	v_mul_i32_i24_e32 v73, v210, v128
	v_mul_i32_i24_e32 v75, v214, v113
	v_mul_i32_i24_e32 v76, v212, v132
	v_mul_i32_i24_e32 v77, v215, v131
	v_mad_i32_i24 v102, v211, v114, v102
	v_and_b32_e32 v126, 3, v126
	v_and_b32_e32 v103, 3, v103
	v_mul_i32_i24_e32 v120, v122, v206
	v_mul_i32_i24_e32 v122, v124, v204
	v_mad_i32_i24 v77, v217, v130, v77
	v_mad_i32_i24 v75, v216, v129, v75
	v_add3_u32 v73, v73, v76, v102
	v_mul_i32_i24_e32 v124, v126, v205
	v_mul_i32_i24_e32 v103, v103, v203
	v_add3_u32 v71, v71, v120, v122
	v_mul_i32_i24_e32 v119, v119, v199
	v_add3_u32 v75, v75, v77, v73
	v_and_b32_e32 v73, 15, v111
	v_mul_i32_i24_e32 v104, v104, v194
	v_add3_u32 v71, v71, v124, v103
	v_and_b32_e32 v105, 3, v105
	v_mul_i32_i24_e32 v121, v121, v208
	v_and_b32_e32 v73, 0xffff, v73
	v_mul_i32_i24_e32 v123, v123, v209
	v_add3_u32 v72, v72, v119, v104
	v_mul_i32_i24_e32 v125, v125, v207
	v_mul_i32_i24_e32 v105, v105, v202
	v_mul_lo_u32 v71, v71, v73
	v_and_b32_e32 v76, 15, v112
	v_add3_u32 v72, v72, v121, v123
	v_cvt_f32_i32_e32 v77, v75
	s_add_co_i32 s17, s1, 2
	s_cmp_lt_u32 s1, 30
	v_and_b32_e32 v76, 0xffff, v76
	v_add3_u32 v72, v72, v125, v105
	s_mov_b32 s1, s17
	s_delay_alu instid0(VALU_DEP_1) | instskip(SKIP_2) | instid1(VALU_DEP_1)
	v_mad_u32 v71, v72, v76, v71
	v_cvt_f32_f16_e32 v72, v69
	v_lshrrev_b32_e32 v69, 16, v69
	v_cvt_f32_f16_e32 v73, v69
	s_delay_alu instid0(VALU_DEP_4) | instskip(NEXT) | instid1(VALU_DEP_1)
	v_cvt_f32_i32_e32 v76, v71
	v_pk_mul_f32 v[72:73], v[72:73], v[76:77]
	s_delay_alu instid0(VALU_DEP_1) | instskip(NEXT) | instid1(VALU_DEP_1)
	v_dual_mov_b32 v69, v72 :: v_dual_mov_b32 v71, v73
	v_pk_add_f32 v[4:5], v[68:69], v[70:71] neg_lo:[0,1] neg_hi:[0,1]
	s_delay_alu instid0(VALU_DEP_1)
	v_pk_fma_f32 v[20:21], v[0:1], v[4:5], v[20:21] op_sel_hi:[0,1,1]
	v_add_nc_u32_e32 v1, 32, v1
	s_cbranch_scc1 .LBB187_35
; %bb.36:                               ;   in Loop: Header=BB187_5 Depth=1
	s_barrier_signal -1
	s_barrier_wait -1
	s_branch .LBB187_4
.LBB187_37:
	v_mov_b32_e32 v22, 0
	s_delay_alu instid0(VALU_DEP_1)
	v_dual_mov_b32 v23, v22 :: v_dual_mov_b32 v20, v22
	v_mov_b32_e32 v21, v22
.LBB187_38:
	s_mul_i32 s0, s7, s4
	s_wait_loadcnt 0x0
	v_cmp_gt_i32_e32 vcc_lo, s0, v9
	s_wait_xcnt 0x0
	s_and_saveexec_b32 s0, vcc_lo
	s_cbranch_execz .LBB187_47
; %bb.39:
	v_mul_lo_u32 v0, v9, s6
	v_add_nc_u32_e32 v1, s18, v13
	s_mov_b32 s0, exec_lo
	s_delay_alu instid0(VALU_DEP_1)
	v_cmpx_gt_u32_e64 s6, v1
	s_cbranch_execz .LBB187_41
; %bb.40:
	s_delay_alu instid0(VALU_DEP_3)
	v_add_nc_u32_e32 v2, v0, v1
	global_store_b32 v2, v22, s[8:9] scale_offset
.LBB187_41:
	s_wait_xcnt 0x0
	s_or_b32 exec_lo, exec_lo, s0
	v_add_nc_u32_e32 v2, 32, v1
	s_mov_b32 s0, exec_lo
	s_delay_alu instid0(VALU_DEP_1)
	v_cmpx_gt_u32_e64 s6, v2
	s_cbranch_execz .LBB187_43
; %bb.42:
	v_add_nc_u32_e32 v2, v0, v2
	global_store_b32 v2, v23, s[8:9] scale_offset
.LBB187_43:
	s_wait_xcnt 0x0
	s_or_b32 exec_lo, exec_lo, s0
	v_add_nc_u32_e32 v2, 64, v1
	s_mov_b32 s0, exec_lo
	s_delay_alu instid0(VALU_DEP_1)
	v_cmpx_gt_u32_e64 s6, v2
	s_cbranch_execz .LBB187_45
; %bb.44:
	v_add_nc_u32_e32 v2, v0, v2
	global_store_b32 v2, v20, s[8:9] scale_offset
.LBB187_45:
	s_wait_xcnt 0x0
	s_or_b32 exec_lo, exec_lo, s0
	v_add_nc_u32_e32 v1, 0x60, v1
	s_delay_alu instid0(VALU_DEP_1)
	v_cmp_gt_u32_e32 vcc_lo, s6, v1
	s_and_b32 exec_lo, exec_lo, vcc_lo
	s_cbranch_execz .LBB187_47
; %bb.46:
	v_add_nc_u32_e32 v0, v0, v1
	global_store_b32 v0, v21, s[8:9] scale_offset
.LBB187_47:
	s_sendmsg sendmsg(MSG_DEALLOC_VGPRS)
	s_endpgm
	.section	.rodata,"a",@progbits
	.p2align	6, 0x0
	.amdhsa_kernel _ZL8moe_q2_KIfLb0EEvPKvS1_PT_PKiS5_S5_iiiiiii
		.amdhsa_group_segment_fixed_size 23328
		.amdhsa_private_segment_fixed_size 0
		.amdhsa_kernarg_size 76
		.amdhsa_user_sgpr_count 2
		.amdhsa_user_sgpr_dispatch_ptr 0
		.amdhsa_user_sgpr_queue_ptr 0
		.amdhsa_user_sgpr_kernarg_segment_ptr 1
		.amdhsa_user_sgpr_dispatch_id 0
		.amdhsa_user_sgpr_kernarg_preload_length 0
		.amdhsa_user_sgpr_kernarg_preload_offset 0
		.amdhsa_user_sgpr_private_segment_size 0
		.amdhsa_wavefront_size32 1
		.amdhsa_uses_dynamic_stack 0
		.amdhsa_enable_private_segment 0
		.amdhsa_system_sgpr_workgroup_id_x 1
		.amdhsa_system_sgpr_workgroup_id_y 1
		.amdhsa_system_sgpr_workgroup_id_z 0
		.amdhsa_system_sgpr_workgroup_info 0
		.amdhsa_system_vgpr_workitem_id 1
		.amdhsa_next_free_vgpr 249
		.amdhsa_next_free_sgpr 24
		.amdhsa_named_barrier_count 0
		.amdhsa_reserve_vcc 1
		.amdhsa_float_round_mode_32 0
		.amdhsa_float_round_mode_16_64 0
		.amdhsa_float_denorm_mode_32 3
		.amdhsa_float_denorm_mode_16_64 3
		.amdhsa_fp16_overflow 0
		.amdhsa_memory_ordered 1
		.amdhsa_forward_progress 1
		.amdhsa_inst_pref_size 160
		.amdhsa_round_robin_scheduling 0
		.amdhsa_exception_fp_ieee_invalid_op 0
		.amdhsa_exception_fp_denorm_src 0
		.amdhsa_exception_fp_ieee_div_zero 0
		.amdhsa_exception_fp_ieee_overflow 0
		.amdhsa_exception_fp_ieee_underflow 0
		.amdhsa_exception_fp_ieee_inexact 0
		.amdhsa_exception_int_div_zero 0
	.end_amdhsa_kernel
	.section	.text._ZL8moe_q2_KIfLb0EEvPKvS1_PT_PKiS5_S5_iiiiiii,"axG",@progbits,_ZL8moe_q2_KIfLb0EEvPKvS1_PT_PKiS5_S5_iiiiiii,comdat
.Lfunc_end187:
	.size	_ZL8moe_q2_KIfLb0EEvPKvS1_PT_PKiS5_S5_iiiiiii, .Lfunc_end187-_ZL8moe_q2_KIfLb0EEvPKvS1_PT_PKiS5_S5_iiiiiii
                                        ; -- End function
	.set _ZL8moe_q2_KIfLb0EEvPKvS1_PT_PKiS5_S5_iiiiiii.num_vgpr, 249
	.set _ZL8moe_q2_KIfLb0EEvPKvS1_PT_PKiS5_S5_iiiiiii.num_agpr, 0
	.set _ZL8moe_q2_KIfLb0EEvPKvS1_PT_PKiS5_S5_iiiiiii.numbered_sgpr, 24
	.set _ZL8moe_q2_KIfLb0EEvPKvS1_PT_PKiS5_S5_iiiiiii.num_named_barrier, 0
	.set _ZL8moe_q2_KIfLb0EEvPKvS1_PT_PKiS5_S5_iiiiiii.private_seg_size, 0
	.set _ZL8moe_q2_KIfLb0EEvPKvS1_PT_PKiS5_S5_iiiiiii.uses_vcc, 1
	.set _ZL8moe_q2_KIfLb0EEvPKvS1_PT_PKiS5_S5_iiiiiii.uses_flat_scratch, 0
	.set _ZL8moe_q2_KIfLb0EEvPKvS1_PT_PKiS5_S5_iiiiiii.has_dyn_sized_stack, 0
	.set _ZL8moe_q2_KIfLb0EEvPKvS1_PT_PKiS5_S5_iiiiiii.has_recursion, 0
	.set _ZL8moe_q2_KIfLb0EEvPKvS1_PT_PKiS5_S5_iiiiiii.has_indirect_call, 0
	.section	.AMDGPU.csdata,"",@progbits
; Kernel info:
; codeLenInByte = 20368
; TotalNumSgprs: 26
; NumVgprs: 249
; ScratchSize: 0
; MemoryBound: 0
; FloatMode: 240
; IeeeMode: 1
; LDSByteSize: 23328 bytes/workgroup (compile time only)
; SGPRBlocks: 0
; VGPRBlocks: 15
; NumSGPRsForWavesPerEU: 26
; NumVGPRsForWavesPerEU: 249
; NamedBarCnt: 0
; Occupancy: 4
; WaveLimiterHint : 1
; COMPUTE_PGM_RSRC2:SCRATCH_EN: 0
; COMPUTE_PGM_RSRC2:USER_SGPR: 2
; COMPUTE_PGM_RSRC2:TRAP_HANDLER: 0
; COMPUTE_PGM_RSRC2:TGID_X_EN: 1
; COMPUTE_PGM_RSRC2:TGID_Y_EN: 1
; COMPUTE_PGM_RSRC2:TGID_Z_EN: 0
; COMPUTE_PGM_RSRC2:TIDIG_COMP_CNT: 1
	.section	.text._ZL8moe_q2_KIfLb1EEvPKvS1_PT_PKiS5_S5_iiiiiii,"axG",@progbits,_ZL8moe_q2_KIfLb1EEvPKvS1_PT_PKiS5_S5_iiiiiii,comdat
	.globl	_ZL8moe_q2_KIfLb1EEvPKvS1_PT_PKiS5_S5_iiiiiii ; -- Begin function _ZL8moe_q2_KIfLb1EEvPKvS1_PT_PKiS5_S5_iiiiiii
	.p2align	8
	.type	_ZL8moe_q2_KIfLb1EEvPKvS1_PT_PKiS5_S5_iiiiiii,@function
_ZL8moe_q2_KIfLb1EEvPKvS1_PT_PKiS5_S5_iiiiiii: ; @_ZL8moe_q2_KIfLb1EEvPKvS1_PT_PKiS5_S5_iiiiiii
; %bb.0:
	s_load_b128 s[4:7], s[0:1], 0x18
	s_bfe_u32 s2, ttmp6, 0x40010
	s_bfe_u32 s8, ttmp6, 0x40004
	s_add_co_i32 s2, s2, 1
	s_delay_alu instid0(SALU_CYCLE_1)
	s_mul_i32 s3, ttmp7, s2
	s_getreg_b32 s2, hwreg(HW_REG_IB_STS2, 6, 4)
	s_add_co_i32 s8, s8, s3
	s_cmp_eq_u32 s2, 0
	s_cselect_b32 s3, ttmp7, s8
	s_wait_kmcnt 0x0
	s_load_b32 s14, s[6:7], s3 offset:0x0 scale_offset
	s_wait_kmcnt 0x0
	s_cmp_gt_u32 s14, 0xff
	s_cbranch_scc1 .LBB188_47
; %bb.1:
	s_load_b64 s[6:7], s[0:1], 0x28
	s_lshl_b32 s3, s3, 3
	s_wait_kmcnt 0x0
	s_load_b32 s6, s[6:7], 0x0
	s_wait_kmcnt 0x0
	s_cmp_gt_u32 s3, s6
	s_cbranch_scc1 .LBB188_47
; %bb.2:
	v_bfe_u32 v1, v0, 10, 10
	s_and_b32 s11, ttmp6, 15
	v_and_b32_e32 v23, 0x3ff, v0
	s_mov_b32 s15, 0
	s_delay_alu instid0(VALU_DEP_2) | instskip(SKIP_1) | instid1(SALU_CYCLE_1)
	v_add_nc_u32_e32 v2, s3, v1
	s_bfe_u32 s3, ttmp6, 0x4000c
	s_add_co_i32 s3, s3, 1
	s_delay_alu instid0(SALU_CYCLE_1)
	s_mul_i32 s3, ttmp9, s3
	global_load_b32 v11, v2, s[4:5] scale_offset
	s_wait_xcnt 0x0
	s_clause 0x2
	s_load_b128 s[4:7], s[0:1], 0x30
	s_load_b64 s[12:13], s[0:1], 0x10
	s_load_b96 s[8:10], s[0:1], 0x40
	s_add_co_i32 s11, s11, s3
	s_cmp_eq_u32 s2, 0
	s_cselect_b32 s2, ttmp9, s11
	s_delay_alu instid0(SALU_CYCLE_1)
	s_lshl_b32 s11, s2, 7
	s_wait_kmcnt 0x0
	s_cmp_lt_i32 s5, 0x100
	s_cbranch_scc1 .LBB188_37
; %bb.3:
	s_load_b128 s[0:3], s[0:1], 0x0
	s_mul_i32 s18, s14, s4
	s_not_b32 s4, s11
	v_dual_mov_b32 v9, 0 :: v_dual_lshlrev_b32 v4, 2, v23
	s_add_co_i32 s14, s6, s4
	s_delay_alu instid0(SALU_CYCLE_1) | instskip(SKIP_1) | instid1(VALU_DEP_3)
	v_dual_lshlrev_b32 v14, 4, v1 :: v_dual_min_i32 v5, s14, v1
	v_bfe_u32 v2, v0, 1, 9
	v_and_b32_e32 v8, 60, v4
	s_ashr_i32 s19, s18, 31
	s_ashr_i32 s17, s8, 31
	v_bfe_u32 v45, v0, 3, 7
	v_add_nc_u32_e32 v2, v2, v14
	s_lshr_b32 s17, s17, 27
	v_and_b32_e32 v10, 1, v0
	s_add_co_i32 s6, s8, s17
	v_lshl_add_u32 v15, v1, 2, v45
	v_and_b32_e32 v2, 0x7f, v2
	v_and_b32_e32 v26, 0xfc, v0
	s_wait_kmcnt 0x0
	s_add_nc_u64 s[18:19], s[0:1], s[18:19]
	s_abs_i32 s0, s10
	v_dual_lshlrev_b32 v13, 2, v10 :: v_dual_min_i32 v58, s14, v15
	s_cvt_f32_u32 s1, s0
	v_min_i32_e32 v56, s14, v2
	s_sub_co_i32 s8, 0, s0
	v_add_min_i32_e64 v60, v15, 32, s14
	v_rcp_iflag_f32_e32 v2, s1
	s_delay_alu instid0(VALU_DEP_2) | instskip(SKIP_1) | instid1(VALU_DEP_3)
	v_dual_ashrrev_i32 v12, 31, v58 :: v_dual_ashrrev_i32 v3, 31, v56
	v_add_min_i32_e64 v62, v15, 64, s14
	v_ashrrev_i32_e32 v17, 31, v60
	v_and_b32_e32 v66, 7, v0
	s_delay_alu instid0(VALU_DEP_4) | instskip(NEXT) | instid1(TRANS32_DEP_1)
	v_lshrrev_b32_e32 v12, 30, v12
	v_readfirstlane_b32 s1, v2
	s_delay_alu instid0(VALU_DEP_4)
	v_dual_lshrrev_b32 v2, 28, v3 :: v_dual_lshrrev_b32 v17, 30, v17
	v_lshlrev_b32_e32 v18, 3, v56
	v_add_min_i32_e64 v64, 0x60, v15, s14
	s_mul_f32 s1, s1, 0x4f7ffffe
	s_wait_loadcnt 0x0
	v_dual_add_nc_u32 v2, v56, v2 :: v_dual_sub_nc_u32 v3, 0, v11
	v_add_nc_u32_e32 v17, v60, v17
	s_cvt_u32_f32 s1, s1
	v_lshlrev_b32_e32 v21, 2, v66
	s_delay_alu instid0(VALU_DEP_3) | instskip(NEXT) | instid1(SALU_CYCLE_1)
	v_dual_ashrrev_i32 v2, 4, v2 :: v_dual_max_i32 v3, v11, v3
	s_mul_i32 s8, s8, s1
	v_lshl_add_u32 v61, v1, 7, 0x56a0
	s_mul_hi_u32 s8, s1, s8
	s_delay_alu instid0(VALU_DEP_2)
	v_lshlrev_b32_e32 v2, 2, v2
	s_add_co_i32 s1, s1, s8
	v_ashrrev_i32_e32 v15, 31, v62
	v_mul_hi_u32 v16, v3, s1
	v_and_b32_e32 v17, -4, v17
	v_add3_u32 v2, v2, v13, 0x5280
	v_dual_mov_b32 v13, v9 :: v_dual_add_nc_u32 v20, v58, v12
	v_lshrrev_b32_e32 v15, 30, v15
	v_add_nc_u32_e32 v78, 0x5aa0, v14
	s_ashr_i32 s16, s5, 31
	s_ashr_i32 s6, s6, 5
	v_and_b32_e32 v20, -4, v20
	s_lshr_b32 s16, s16, 24
	v_mul_lo_u32 v19, v16, s0
	v_and_b32_e32 v12, 12, v4
	v_add_min_i32_e64 v6, v1, 8, s14
	v_add_min_i32_e64 v7, v1, 16, s14
	;; [unrolled: 1-line block ×9, first 2 shown]
	v_dual_sub_nc_u32 v3, v3, v19 :: v_dual_add_nc_u32 v19, 1, v16
	v_add3_u32 v17, v17, v21, 0x4200
	v_add_min_i32_e64 v44, 0x50, v1, s14
	v_add_min_i32_e64 v46, 0x58, v1, s14
	s_delay_alu instid0(VALU_DEP_4) | instskip(SKIP_4) | instid1(VALU_DEP_3)
	v_subrev_nc_u32_e32 v24, s0, v3
	v_cmp_le_u32_e32 vcc_lo, s0, v3
	v_dual_ashrrev_i32 v22, 31, v64 :: v_dual_add_nc_u32 v15, v62, v15
	v_add_min_i32_e64 v48, 0x60, v1, s14
	v_add_min_i32_e64 v50, 0x68, v1, s14
	v_dual_cndmask_b32 v16, v16, v19 :: v_dual_lshrrev_b32 v19, 30, v22
	v_dual_cndmask_b32 v3, v3, v24, vcc_lo :: v_dual_bitop2_b32 v22, s10, v11 bitop3:0x14
	s_delay_alu instid0(VALU_DEP_2) | instskip(NEXT) | instid1(VALU_DEP_2)
	v_dual_add_nc_u32 v24, 1, v16 :: v_dual_bitop2_b32 v15, -4, v15 bitop3:0x40
	v_dual_add_nc_u32 v19, v64, v19 :: v_dual_ashrrev_i32 v22, 31, v22
	s_delay_alu instid0(VALU_DEP_3) | instskip(NEXT) | instid1(VALU_DEP_3)
	v_cmp_le_u32_e32 vcc_lo, s0, v3
	v_add3_u32 v15, v15, v21, 0x4200
	v_add_min_i32_e64 v52, 0x70, v1, s14
	v_add_min_i32_e64 v54, 0x78, v1, s14
	s_add_co_i32 s4, s5, s16
	v_dual_cndmask_b32 v3, v16, v24, vcc_lo :: v_dual_bitop2_b32 v16, -4, v19 bitop3:0x40
	v_add3_u32 v19, v20, v21, 0x4200
	v_add_nc_u32_e32 v20, 32, v23
	v_add_nc_u32_e32 v24, 0x60, v23
	s_delay_alu instid0(VALU_DEP_4)
	v_xor_b32_e32 v3, v3, v22
	v_add3_u32 v16, v16, v21, 0x4200
	v_add_nc_u32_e32 v21, 64, v23
	v_and_b32_e32 v28, 0x1fc, v20
	v_and_b32_e32 v53, 0x1fc, v24
	v_dual_sub_nc_u32 v22, v3, v22 :: v_dual_lshlrev_b32 v3, 5, v23
	v_lshlrev_b32_e32 v57, 5, v58
	v_and_b32_e32 v51, 0x1fc, v21
	v_add_nc_u32_e32 v55, v2, v18
	v_lshlrev_b32_e32 v2, 5, v62
	v_dual_add_nc_u32 v47, v3, v26 :: v_dual_add_nc_u32 v49, v3, v28
	s_delay_alu instid0(VALU_DEP_4) | instskip(SKIP_1) | instid1(VALU_DEP_4)
	v_dual_add_nc_u32 v51, v3, v51 :: v_dual_add_nc_u32 v53, v3, v53
	v_dual_lshlrev_b32 v3, 5, v60 :: v_dual_add_nc_u32 v57, v19, v57
	v_dual_lshlrev_b32 v18, 5, v64 :: v_dual_add_nc_u32 v63, v15, v2
	s_delay_alu instid0(VALU_DEP_2) | instskip(NEXT) | instid1(VALU_DEP_2)
	v_dual_lshlrev_b32 v1, 1, v20 :: v_dual_add_nc_u32 v59, v17, v3
	v_dual_add_nc_u32 v65, v16, v18 :: v_dual_bitop2_b32 v17, 31, v0 bitop3:0x40
	v_and_b32_e32 v2, 28, v4
	v_dual_lshrrev_b32 v86, 3, v20 :: v_dual_lshrrev_b32 v28, 4, v21
	s_delay_alu instid0(VALU_DEP_3)
	v_lshl_add_u32 v67, v17, 2, v61
	v_mul_lo_u32 v18, v22, s6
	v_dual_mov_b32 v17, v9 :: v_dual_lshlrev_b32 v26, 1, v21
	v_dual_add_nc_u32 v85, v78, v4 :: v_dual_mov_b32 v3, v9
	v_lshrrev_b32_e32 v87, 3, v21
	v_cmp_gt_i32_e64 s0, s7, v22
	v_mul_u32_u24_e32 v14, 33, v23
	v_lshlrev_b32_e32 v22, 1, v24
	s_ashr_i32 s4, s4, 8
	v_mad_u32 v25, 0x84, v5, v4
	v_mad_u32 v27, 0x84, v6, v4
	;; [unrolled: 1-line block ×16, first 2 shown]
	v_lshrrev_b32_e32 v4, 4, v20
	v_dual_lshrrev_b32 v68, 4, v24 :: v_dual_lshrrev_b32 v88, 3, v24
	v_dual_lshlrev_b32 v92, 2, v1 :: v_dual_lshlrev_b32 v93, 2, v28
	s_delay_alu instid0(VALU_DEP_2)
	v_dual_lshlrev_b32 v94, 2, v26 :: v_dual_lshlrev_b32 v95, 2, v68
	v_mul_lo_u32 v24, v5, s4
	v_mul_lo_u32 v26, v6, s4
	;; [unrolled: 1-line block ×21, first 2 shown]
	v_add_nc_u64_e32 v[20:21], s[2:3], v[2:3]
	v_dual_lshlrev_b32 v89, 2, v14 :: v_dual_lshlrev_b32 v2, 1, v23
	v_lshlrev_b32_e32 v96, 2, v22
	v_bfe_u32 v22, v0, 4, 6
	v_cmp_lt_u32_e64 s1, 3, v66
	s_mul_i32 s16, s4, s11
	v_cmp_gt_u32_e32 vcc_lo, 4, v23
	s_ashr_i32 s17, s16, 31
	v_dual_mov_b32 v16, v9 :: v_dual_ashrrev_i32 v19, 31, v18
	v_dual_mov_b32 v14, v9 :: v_dual_mov_b32 v15, v9
	v_dual_lshlrev_b32 v90, 2, v2 :: v_dual_lshlrev_b32 v91, 2, v4
	v_add_nc_u32_e32 v97, 0x4200, v47
	v_add_nc_u32_e32 v98, 0x4600, v49
	;; [unrolled: 1-line block ×4, first 2 shown]
	v_lshlrev_b32_e32 v101, 2, v22
	v_cndmask_b32_e64 v66, 0, 1, s1
	s_mul_u64 s[16:17], s[16:17], 0x54
	s_and_b32 s8, vcc_lo, s0
	s_add_nc_u64 s[16:17], s[18:19], s[16:17]
	s_mov_b32 s14, s15
	s_branch .LBB188_5
.LBB188_4:                              ;   in Loop: Header=BB188_5 Depth=1
	s_add_co_i32 s14, s14, 2
	s_delay_alu instid0(SALU_CYCLE_1)
	s_cmp_ge_i32 s14, s4
	s_cbranch_scc1 .LBB188_38
.LBB188_5:                              ; =>This Loop Header: Depth=1
                                        ;     Child Loop BB188_11 Depth 2
                                        ;     Child Loop BB188_19 Depth 2
	;; [unrolled: 1-line block ×4, first 2 shown]
	s_mul_u64 s[18:19], s[14:15], 0x54
	s_delay_alu instid0(SALU_CYCLE_1)
	s_add_nc_u64 s[18:19], s[16:17], s[18:19]
	s_wait_xcnt 0x5
	v_mad_nc_u64_u32 v[0:1], 0x54, v22, s[18:19]
	s_wait_xcnt 0x0
	v_mad_nc_u64_u32 v[4:5], 0x54, v66, s[18:19]
	v_mad_nc_i64_i32 v[2:3], 0x54, v56, s[18:19]
	s_lshl_b32 s18, s14, 8
	s_delay_alu instid0(SALU_CYCLE_1) | instskip(NEXT) | instid1(VALU_DEP_3)
	s_cmp_lt_i32 s18, s5
	v_mad_nc_i64_i32 v[6:7], 0x54, v24, v[0:1]
	v_mad_nc_i64_i32 v[68:69], 0x54, v26, v[0:1]
	;; [unrolled: 1-line block ×14, first 2 shown]
	v_add_nc_u64_e32 v[6:7], v[6:7], v[8:9]
	v_mad_nc_i64_i32 v[118:119], 0x54, v52, v[0:1]
	v_add_nc_u64_e32 v[68:69], v[68:69], v[8:9]
	v_mad_nc_i64_i32 v[0:1], 0x54, v54, v[0:1]
	v_add_nc_u64_e32 v[70:71], v[70:71], v[8:9]
	v_add_nc_u64_e32 v[72:73], v[72:73], v[8:9]
	;; [unrolled: 1-line block ×8, first 2 shown]
	s_clause 0x7
	global_load_b32 v120, v[6:7], off offset:16
	global_load_b32 v121, v[68:69], off offset:16
	;; [unrolled: 1-line block ×8, first 2 shown]
	s_wait_xcnt 0x7
	v_add_nc_u64_e32 v[6:7], v[108:109], v[8:9]
	s_wait_xcnt 0x6
	v_add_nc_u64_e32 v[68:69], v[110:111], v[8:9]
	s_wait_xcnt 0x5
	v_add_nc_u64_e32 v[70:71], v[112:113], v[8:9]
	s_wait_xcnt 0x4
	v_add_nc_u64_e32 v[72:73], v[114:115], v[8:9]
	v_mad_nc_u64_u32 v[2:3], 0x54, v10, v[2:3]
	s_wait_xcnt 0x3
	v_add_nc_u64_e32 v[74:75], v[116:117], v[8:9]
	s_wait_xcnt 0x1
	v_mad_nc_i64_i32 v[102:103], 0x54, v58, v[4:5]
	v_add_nc_u64_e32 v[76:77], v[118:119], v[8:9]
	s_wait_xcnt 0x0
	v_mad_nc_i64_i32 v[104:105], 0x54, v60, v[4:5]
	v_add_nc_u64_e32 v[0:1], v[0:1], v[8:9]
	v_mad_nc_i64_i32 v[108:109], 0x54, v62, v[4:5]
	v_mad_nc_i64_i32 v[4:5], 0x54, v64, v[4:5]
	s_clause 0xc
	global_load_b32 v110, v[106:107], off offset:16
	global_load_b32 v111, v[6:7], off offset:16
	;; [unrolled: 1-line block ×9, first 2 shown]
	global_load_b32 v119, v[102:103], off
	global_load_b32 v128, v[104:105], off
	;; [unrolled: 1-line block ×4, first 2 shown]
	s_wait_loadcnt 0x14
	ds_store_b32 v25, v120
	s_wait_loadcnt 0x13
	ds_store_b32 v27, v121
	;; [unrolled: 2-line block ×21, first 2 shown]
	s_cbranch_scc0 .LBB188_4
; %bb.6:                                ;   in Loop: Header=BB188_5 Depth=1
	s_lshl_b32 s19, s14, 3
	s_wait_xcnt 0x5
	v_add_nc_u32_e32 v0, s19, v45
	s_delay_alu instid0(VALU_DEP_1)
	v_cmp_gt_i32_e64 s1, s6, v0
	s_and_b32 s20, s0, s1
	s_wait_xcnt 0x0
	s_and_saveexec_b32 s1, s20
	s_cbranch_execz .LBB188_8
; %bb.7:                                ;   in Loop: Header=BB188_5 Depth=1
	v_add_nc_u32_e32 v0, v18, v0
	s_delay_alu instid0(VALU_DEP_1)
	v_mad_nc_i64_i32 v[0:1], v0, 36, v[20:21]
	global_load_b32 v0, v[0:1], off offset:4
	s_wait_loadcnt 0x0
	ds_store_b32 v67, v0
.LBB188_8:                              ;   in Loop: Header=BB188_5 Depth=1
	s_or_b32 exec_lo, exec_lo, s1
	v_add_nc_u32_e32 v68, s19, v23
	s_delay_alu instid0(VALU_DEP_1) | instskip(SKIP_1) | instid1(SALU_CYCLE_1)
	v_cmp_gt_i32_e64 s1, s6, v68
	s_and_b32 s20, s8, s1
	s_and_saveexec_b32 s1, s20
	s_cbranch_execz .LBB188_10
; %bb.9:                                ;   in Loop: Header=BB188_5 Depth=1
	v_add_nc_u32_e32 v0, v18, v68
	s_delay_alu instid0(VALU_DEP_1)
	v_mad_nc_i64_i32 v[0:1], v0, 36, s[2:3]
	global_load_b32 v0, v[0:1], off
	s_wait_loadcnt 0x0
	v_cvt_f32_f16_e32 v0, v0
	ds_store_b32 v85, v0
.LBB188_10:                             ;   in Loop: Header=BB188_5 Depth=1
	s_or_b32 exec_lo, exec_lo, s1
	v_dual_mov_b32 v69, v78 :: v_dual_mov_b32 v71, v61
	s_mov_b32 s1, 0
	s_wait_dscnt 0x0
	s_barrier_signal -1
	s_barrier_wait -1
.LBB188_11:                             ;   Parent Loop BB188_5 Depth=1
                                        ; =>  This Inner Loop Header: Depth=2
	s_and_b32 s21, s1, 0x3ffffff8
	ds_load_b32 v70, v69
	ds_load_b128 v[4:7], v71
	ds_load_b128 v[0:3], v71 offset:16
	v_lshl_add_u32 v74, s21, 2, v89
	s_lshr_b32 s22, s1, 2
	s_and_b32 s20, s1, -16
	s_and_b32 s21, s22, 0x3ffffffc
	s_add_co_i32 s20, s1, s20
	ds_load_2addr_b32 v[72:73], v74 offset0:4 offset1:7
	s_addk_co_i32 s21, 0x5280
	v_dual_add_nc_u32 v75, s20, v97 :: v_dual_add_nc_u32 v76, s20, v98
	v_dual_add_nc_u32 v124, s20, v99 :: v_dual_add_nc_u32 v77, s20, v100
	v_add3_u32 v108, s21, v101, v90
	v_add3_u32 v109, s21, v91, v92
	;; [unrolled: 1-line block ×4, first 2 shown]
	v_add_nc_u32_e32 v112, 0x1080, v74
	v_add_nc_u32_e32 v113, 0x1088, v74
	;; [unrolled: 1-line block ×12, first 2 shown]
	ds_load_2addr_b32 v[102:103], v74 offset1:1
	ds_load_2addr_b32 v[104:105], v74 offset0:2 offset1:3
	ds_load_2addr_b32 v[106:107], v74 offset0:5 offset1:6
	ds_load_u16 v132, v75
	ds_load_b32 v133, v108
	ds_load_b32 v134, v109
	;; [unrolled: 1-line block ×4, first 2 shown]
	ds_load_u16 v77, v77
	ds_load_2addr_b32 v[108:109], v114 offset0:36 offset1:39
	ds_load_2addr_b32 v[110:111], v112 offset1:1
	ds_load_2addr_b32 v[112:113], v113 offset1:1
	;; [unrolled: 1-line block ×5, first 2 shown]
	ds_load_u16 v75, v76
	ds_load_2addr_b32 v[120:121], v120 offset1:1
	ds_load_2addr_b32 v[122:123], v122 offset1:1
	ds_load_u16 v76, v124
	ds_load_2addr_b32 v[124:125], v125 offset1:1
	ds_load_2addr_b32 v[126:127], v126 offset1:1
	;; [unrolled: 1-line block ×4, first 2 shown]
	s_wait_dscnt 0x15
	v_dual_ashrrev_i32 v103, s1, v103 :: v_dual_ashrrev_i32 v105, s1, v105
	v_lshrrev_b16 v136, 8, v0
	v_dual_ashrrev_i32 v137, 24, v4 :: v_dual_ashrrev_i32 v144, 24, v5
	v_dual_ashrrev_i32 v138, 24, v0 :: v_dual_ashrrev_i32 v145, 24, v1
	v_bfe_i32 v140, v0, 0, 8
	v_bfe_i32 v141, v0, 16, 8
	v_bfe_i32 v142, v4, 0, 8
	v_bfe_i32 v143, v4, 16, 8
	v_lshrrev_b16 v0, 8, v1
	v_bfe_i32 v146, v4, 8, 8
	v_bfe_i32 v4, v1, 0, 8
	;; [unrolled: 1-line block ×4, first 2 shown]
	v_and_b32_e32 v168, 3, v103
	v_bfe_u32 v169, v103, 8, 2
	v_bfe_u32 v170, v103, 16, 2
	v_lshrrev_b32_e32 v103, 24, v103
	v_bfe_i32 v139, v5, 8, 8
	v_bfe_i32 v5, v5, 16, 8
	v_dual_ashrrev_i32 v72, s1, v72 :: v_dual_ashrrev_i32 v73, s1, v73
	v_mul_i32_i24_e32 v168, v168, v1
	s_wait_dscnt 0x9
	v_dual_ashrrev_i32 v117, s1, v117 :: v_dual_bitop2_b32 v103, 3, v103 bitop3:0x40
	v_dual_ashrrev_i32 v149, 24, v2 :: v_dual_ashrrev_i32 v156, 24, v3
	v_bfe_i32 v160, v3, 16, 8
	v_bfe_i32 v161, v3, 0, 8
	;; [unrolled: 1-line block ×4, first 2 shown]
	v_dual_ashrrev_i32 v107, s1, v107 :: v_dual_bitop2_b32 v171, 3, v72 bitop3:0x40
	v_bfe_u32 v172, v72, 8, 2
	v_bfe_u32 v173, v72, 16, 2
	v_dual_lshrrev_b32 v72, 24, v72 :: v_dual_ashrrev_i32 v111, s1, v111
	v_mad_i32_i24 v168, v169, v139, v168
	v_mul_i32_i24_e32 v169, v170, v5
	v_mul_i32_i24_e32 v103, v103, v144
	s_delay_alu instid0(VALU_DEP_4) | instskip(SKIP_2) | instid1(VALU_DEP_4)
	v_and_b32_e32 v72, 3, v72
	v_lshrrev_b16 v148, 8, v6
	v_dual_ashrrev_i32 v150, 24, v6 :: v_dual_ashrrev_i32 v157, 24, v7
	v_add3_u32 v103, v168, v169, v103
	v_mul_i32_i24_e32 v169, v172, v3
	v_bfe_i32 v151, v6, 16, 8
	v_bfe_i32 v152, v6, 0, 8
	v_dual_add_nc_u32 v6, v146, v139 :: v_dual_ashrrev_i32 v102, s1, v102
	s_wait_dscnt 0x3
	v_ashrrev_i32_e32 v125, s1, v125
	v_mad_i32_i24 v169, v171, v140, v169
	v_mul_i32_i24_e32 v171, v173, v141
	v_mul_i32_i24_e32 v72, v72, v138
	v_dual_ashrrev_i32 v104, s1, v104 :: v_dual_ashrrev_i32 v106, s1, v106
	v_and_b32_e32 v168, 3, v102
	v_dual_ashrrev_i32 v108, s1, v108 :: v_dual_bitop2_b32 v170, 3, v111 bitop3:0x40
	s_delay_alu instid0(VALU_DEP_4) | instskip(SKIP_4) | instid1(VALU_DEP_4)
	v_add3_u32 v72, v169, v171, v72
	v_and_b32_e32 v169, 3, v117
	v_dual_add_nc_u32 v165, v1, v142 :: v_dual_bitop2_b32 v171, 3, v125 bitop3:0x40
	v_add_nc_u32_e32 v167, v4, v140
	v_mul_i32_i24_e32 v170, v170, v1
	v_mul_i32_i24_e32 v169, v169, v1
	s_delay_alu instid0(VALU_DEP_4)
	v_mul_i32_i24_e32 v1, v171, v1
	v_bfe_u32 v171, v111, 8, 2
	v_mul_i32_i24_e32 v168, v142, v168
	v_bfe_i32 v136, v0, 0, 8
	v_ashrrev_i32_e32 v110, s1, v110
	v_bfe_i32 v153, v2, 16, 8
	v_mad_i32_i24 v170, v171, v139, v170
	v_bfe_u32 v171, v117, 8, 2
	v_bfe_i32 v154, v2, 0, 8
	v_bfe_i32 v155, v2, 8, 8
	v_lshrrev_b16 v2, 8, v7
	v_add_nc_u32_e32 v0, v145, v138
	v_mad_i32_i24 v169, v171, v139, v169
	v_bfe_u32 v171, v125, 8, 2
	v_ashrrev_i32_e32 v116, s1, v116
	v_bfe_i32 v163, v2, 0, 8
	v_dual_add_nc_u32 v2, v144, v137 :: v_dual_add_nc_u32 v164, v5, v143
	v_add_nc_u32_e32 v166, v147, v141
	v_mad_i32_i24 v139, v171, v139, v1
	v_dual_lshrrev_b32 v171, 24, v111 :: v_dual_bitop2_b32 v1, 3, v104 bitop3:0x40
	v_bfe_u32 v111, v111, 16, 2
	v_bfe_i32 v148, v148, 0, 8
	v_ashrrev_i32_e32 v112, s1, v112
	s_delay_alu instid0(VALU_DEP_4) | instskip(SKIP_3) | instid1(VALU_DEP_4)
	v_mul_i32_i24_e32 v1, v1, v152
	v_and_b32_e32 v171, 3, v171
	v_mul_i32_i24_e32 v111, v111, v5
	v_dual_ashrrev_i32 v124, s1, v124 :: v_dual_ashrrev_i32 v118, s1, v118
	v_add3_u32 v103, v103, v1, v168
	v_and_b32_e32 v1, 3, v108
	v_bfe_u32 v168, v108, 8, 2
	v_bfe_i32 v158, v7, 16, 8
	v_bfe_i32 v159, v7, 0, 8
	v_lshrrev_b16 v7, 8, v132
	v_mul_i32_i24_e32 v1, v1, v140
	v_lshrrev_b32_e32 v172, 24, v104
	v_add3_u32 v164, v164, v151, v158
	v_add3_u32 v165, v165, v152, v159
	v_dual_ashrrev_i32 v122, s1, v122 :: v_dual_lshrrev_b32 v174, 24, v105
	v_mad_i32_i24 v1, v168, v3, v1
	v_lshrrev_b32_e32 v168, 24, v108
	v_bfe_u32 v108, v108, 16, 2
	v_dual_lshrrev_b32 v175, 24, v73 :: v_dual_ashrrev_i32 v119, s1, v119
	v_add3_u32 v167, v167, v154, v161
	s_delay_alu instid0(VALU_DEP_4) | instskip(NEXT) | instid1(VALU_DEP_4)
	v_and_b32_e32 v168, 3, v168
	v_mul_i32_i24_e32 v108, v108, v141
	s_wait_dscnt 0x1
	v_dual_ashrrev_i32 v121, s1, v121 :: v_dual_ashrrev_i32 v128, s1, v128
	v_ashrrev_i32_e32 v129, s1, v129
	v_mul_i32_i24_e32 v168, v168, v138
	v_ashrrev_i32_e32 v114, s1, v114
	v_lshrrev_b16 v176, 8, v76
	v_add3_u32 v166, v166, v153, v160
	s_add_co_i32 s20, s1, 2
	v_add3_u32 v108, v1, v108, v168
	v_ashrrev_i32_e32 v1, s1, v120
	v_mul_i32_i24_e32 v171, v171, v144
	v_and_b32_e32 v120, 3, v106
	s_cmp_lt_u32 s1, 6
	v_dual_ashrrev_i32 v127, s1, v127 :: v_dual_ashrrev_i32 v109, s1, v109
	s_delay_alu instid0(VALU_DEP_3) | instskip(SKIP_4) | instid1(VALU_DEP_4)
	v_add3_u32 v111, v170, v111, v171
	v_lshrrev_b32_e32 v170, 8, v106
	v_mul_i32_i24_e32 v120, v120, v4
	v_lshrrev_b16 v171, 8, v77
	v_dual_ashrrev_i32 v113, s1, v113 :: v_dual_ashrrev_i32 v115, s1, v115
	v_and_b32_e32 v168, 3, v170
	v_add3_u32 v170, v2, v150, v157
	v_bfe_u32 v2, v125, 16, 2
	v_lshrrev_b32_e32 v173, 16, v107
	v_ashrrev_i32_e32 v123, s1, v123
	v_mul_i32_i24_e32 v168, v168, v136
	v_add_nc_u32_e32 v71, 32, v71
	v_mul_i32_i24_e32 v2, v2, v5
	v_add_nc_u32_e32 v69, 4, v69
	s_delay_alu instid0(VALU_DEP_4) | instskip(SKIP_3) | instid1(VALU_DEP_3)
	v_add3_u32 v72, v72, v120, v168
	v_ashrrev_i32_e32 v120, s1, v126
	v_bfe_u32 v126, v117, 16, 2
	v_bfe_u32 v117, v117, 24, 2
	v_and_b32_e32 v168, 3, v120
	s_delay_alu instid0(VALU_DEP_3) | instskip(NEXT) | instid1(VALU_DEP_3)
	v_mul_i32_i24_e32 v126, v126, v5
	v_mul_i32_i24_e32 v117, v117, v144
	v_bfe_u32 v5, v125, 24, 2
	v_bfe_u32 v125, v120, 16, 2
	s_delay_alu instid0(VALU_DEP_3) | instskip(SKIP_1) | instid1(VALU_DEP_4)
	v_add3_u32 v117, v169, v126, v117
	v_and_b32_e32 v126, 3, v1
	v_mul_i32_i24_e32 v5, v5, v144
	v_add3_u32 v169, v6, v148, v163
	v_add3_u32 v6, v0, v149, v156
	v_bfe_u32 v0, v1, 16, 2
	v_mul_i32_i24_e32 v126, v126, v140
	v_add3_u32 v5, v139, v2, v5
	v_cvt_f32_f16_e64 v2, v135
	v_lshrrev_b32_e32 v135, 16, v135
	v_mul_i32_i24_e32 v140, v168, v140
	v_bfe_u32 v168, v1, 8, 2
	v_bfe_u32 v1, v1, 24, 2
	v_mul_i32_i24_e32 v125, v125, v141
	v_mul_i32_i24_e32 v0, v0, v141
	v_lshrrev_b32_e32 v144, 16, v73
	v_mad_i32_i24 v126, v168, v3, v126
	v_bfe_u32 v168, v120, 8, 2
	v_bfe_u32 v120, v120, 24, 2
	v_mul_i32_i24_e32 v1, v1, v138
	v_bfe_u32 v139, v105, 8, 2
	v_bfe_u32 v141, v77, 4, 4
	v_mad_i32_i24 v140, v168, v3, v140
	v_mul_i32_i24_e32 v120, v120, v138
	v_bfe_u32 v168, v132, 4, 4
	v_and_b32_e32 v132, 15, v132
	v_add3_u32 v126, v126, v0, v1
	v_add_nc_u32_e32 v3, v136, v3
	v_add3_u32 v120, v140, v125, v120
	v_and_b32_e32 v125, 3, v110
	v_and_b32_e32 v138, 3, v112
	;; [unrolled: 1-line block ×3, first 2 shown]
	v_add3_u32 v177, v3, v155, v162
	v_cvt_f32_f16_e64 v1, v134
	v_mul_i32_i24_e32 v125, v142, v125
	v_mul_i32_i24_e32 v138, v138, v152
	v_dual_lshrrev_b32 v134, 16, v134 :: v_dual_bitop2_b32 v144, 3, v144 bitop3:0x40
	v_cvt_f32_f16_e64 v3, v135
	v_bfe_u32 v135, v113, 8, 2
	s_delay_alu instid0(VALU_DEP_4)
	v_add3_u32 v111, v111, v138, v125
	v_bfe_u32 v125, v102, 8, 2
	v_bfe_u32 v138, v102, 16, 2
	v_cvt_f32_f16_e64 v0, v133
	v_lshrrev_b32_e32 v133, 16, v133
	v_mul_i32_i24_e32 v139, v139, v163
	v_mul_i32_i24_e32 v125, v146, v125
	;; [unrolled: 1-line block ×4, first 2 shown]
	v_and_b32_e32 v77, 15, v77
	v_and_b32_e32 v132, 0xffff, v132
	s_delay_alu instid0(VALU_DEP_4) | instskip(SKIP_1) | instid1(VALU_DEP_4)
	v_add3_u32 v103, v103, v125, v138
	v_dual_lshrrev_b32 v125, 8, v114 :: v_dual_bitop2_b32 v138, 3, v114 bitop3:0x40
	v_and_b32_e32 v77, 0xffff, v77
	s_delay_alu instid0(VALU_DEP_2) | instskip(NEXT) | instid1(VALU_DEP_3)
	v_and_b32_e32 v125, 3, v125
	v_mul_i32_i24_e32 v138, v138, v4
	s_delay_alu instid0(VALU_DEP_2) | instskip(NEXT) | instid1(VALU_DEP_1)
	v_mul_i32_i24_e32 v125, v125, v136
	v_add3_u32 v108, v108, v138, v125
	v_dual_lshrrev_b32 v125, 16, v106 :: v_dual_bitop2_b32 v138, 3, v105 bitop3:0x40
	s_delay_alu instid0(VALU_DEP_1) | instskip(NEXT) | instid1(VALU_DEP_1)
	v_dual_lshrrev_b32 v106, 24, v106 :: v_dual_bitop2_b32 v125, 3, v125 bitop3:0x40
	v_and_b32_e32 v106, 3, v106
	s_delay_alu instid0(VALU_DEP_2) | instskip(NEXT) | instid1(VALU_DEP_2)
	v_mul_i32_i24_e32 v125, v125, v147
	v_mul_i32_i24_e32 v106, v106, v145
	s_delay_alu instid0(VALU_DEP_1) | instskip(SKIP_2) | instid1(VALU_DEP_2)
	v_add3_u32 v72, v72, v125, v106
	v_and_b32_e32 v106, 3, v116
	v_and_b32_e32 v125, 3, v118
	v_mul_i32_i24_e32 v106, v142, v106
	s_delay_alu instid0(VALU_DEP_2) | instskip(NEXT) | instid1(VALU_DEP_1)
	v_mul_i32_i24_e32 v125, v125, v152
	v_add3_u32 v106, v117, v125, v106
	v_and_b32_e32 v117, 3, v121
	v_bfe_u32 v125, v121, 8, 2
	s_delay_alu instid0(VALU_DEP_2) | instskip(NEXT) | instid1(VALU_DEP_2)
	v_mul_i32_i24_e32 v117, v117, v4
	v_mul_i32_i24_e32 v125, v125, v136
	s_delay_alu instid0(VALU_DEP_1) | instskip(SKIP_2) | instid1(VALU_DEP_1)
	v_add3_u32 v117, v126, v117, v125
	s_wait_dscnt 0x0
	v_dual_ashrrev_i32 v125, s1, v130 :: v_dual_bitop2_b32 v126, 3, v124 bitop3:0x40
	v_and_b32_e32 v130, 3, v125
	s_delay_alu instid0(VALU_DEP_2)
	v_mul_i32_i24_e32 v126, v142, v126
	v_bfe_u32 v142, v73, 8, 2
	v_bfe_u32 v73, v76, 4, 4
	v_and_b32_e32 v76, 15, v76
	v_mul_i32_i24_e32 v130, v130, v152
	v_and_b32_e32 v152, 3, v127
	v_mul_i32_i24_e32 v142, v142, v162
	v_mul_lo_u32 v73, 0x1010101, v73
	v_and_b32_e32 v76, 0xffff, v76
	v_add3_u32 v126, v5, v130, v126
	v_mul_i32_i24_e32 v4, v152, v4
	v_bfe_u32 v152, v127, 8, 2
	v_bfe_u32 v5, v102, 24, 2
	v_dual_lshrrev_b32 v102, 8, v104 :: v_dual_lshrrev_b32 v130, 16, v105
	v_bfe_u32 v105, v121, 24, 2
	s_delay_alu instid0(VALU_DEP_4)
	v_mul_i32_i24_e32 v136, v152, v136
	v_lshrrev_b32_e32 v152, 16, v104
	v_mul_lo_u32 v104, 0x1010101, v168
	v_and_b32_e32 v102, 3, v102
	v_mul_i32_i24_e32 v5, v137, v5
	v_add3_u32 v120, v120, v4, v136
	v_mul_i32_i24_e32 v105, v105, v145
	v_and_b32_e32 v130, 3, v130
	v_mul_i32_i24_e32 v102, v102, v148
	v_bfe_i32 v4, v104, 0, 8
	v_bfe_i32 v136, v104, 8, 8
	s_delay_alu instid0(VALU_DEP_3) | instskip(SKIP_1) | instid1(VALU_DEP_4)
	v_add3_u32 v168, v103, v5, v102
	v_dual_lshrrev_b32 v5, 16, v114 :: v_dual_lshrrev_b32 v102, 24, v114
	v_mul_i32_i24_e32 v4, v165, v4
	v_bfe_u32 v103, v121, 16, 2
	v_and_b32_e32 v121, 3, v113
	s_delay_alu instid0(VALU_DEP_4)
	v_and_b32_e32 v5, 3, v5
	v_and_b32_e32 v102, 3, v102
	v_mad_i32_i24 v4, v169, v136, v4
	v_bfe_i32 v136, v104, 16, 8
	v_lshrrev_b32_e32 v104, 24, v104
	v_mul_i32_i24_e32 v103, v103, v147
	v_mul_i32_i24_e32 v5, v5, v147
	;; [unrolled: 1-line block ×5, first 2 shown]
	v_add3_u32 v117, v117, v103, v105
	v_bfe_u32 v103, v116, 8, 2
	v_bfe_u32 v105, v116, 16, 2
	v_add3_u32 v108, v108, v5, v102
	v_add3_u32 v104, v4, v136, v104
	v_bfe_u32 v4, v110, 8, 2
	v_bfe_u32 v136, v110, 16, 2
	v_mul_i32_i24_e32 v103, v103, v146
	v_mul_i32_i24_e32 v105, v105, v143
	v_bfe_u32 v102, v75, 4, 4
	v_mul_i32_i24_e32 v4, v146, v4
	v_mul_i32_i24_e32 v136, v143, v136
	v_bfe_u32 v110, v110, 24, 2
	v_add3_u32 v106, v106, v103, v105
	v_bfe_u32 v103, v127, 16, 2
	v_bfe_u32 v105, v127, 24, 2
	v_add3_u32 v111, v111, v4, v136
	v_dual_lshrrev_b32 v136, 8, v107 :: v_dual_bitop2_b32 v4, 3, v107 bitop3:0x40
	v_lshrrev_b32_e32 v107, 24, v107
	v_ashrrev_i32_e32 v131, s1, v131
	v_mul_lo_u32 v102, 0x1010101, v102
	s_delay_alu instid0(VALU_DEP_4)
	v_mul_i32_i24_e32 v4, v4, v154
	v_and_b32_e32 v5, 3, v136
	v_mul_i32_i24_e32 v103, v103, v147
	v_bfe_u32 v127, v124, 8, 2
	v_mul_i32_i24_e32 v105, v105, v145
	v_mul_i32_i24_e32 v110, v137, v110
	;; [unrolled: 1-line block ×3, first 2 shown]
	v_lshrrev_b32_e32 v147, 16, v115
	v_and_b32_e32 v107, 3, v107
	v_add3_u32 v120, v120, v103, v105
	v_bfe_u32 v103, v124, 16, 2
	v_add3_u32 v136, v72, v4, v5
	v_and_b32_e32 v72, 0xffff, v7
	v_mul_i32_i24_e32 v105, v127, v146
	v_and_b32_e32 v127, 3, v109
	v_mul_i32_i24_e32 v103, v103, v143
	s_delay_alu instid0(VALU_DEP_4) | instskip(SKIP_2) | instid1(VALU_DEP_4)
	v_dual_lshrrev_b32 v146, 16, v109 :: v_dual_lshrrev_b32 v72, 4, v72
	v_cvt_f32_f16_e64 v5, v134
	v_mul_lo_u32 v134, 0x1010101, v141
	v_add3_u32 v126, v126, v105, v103
	v_bfe_i32 v103, v102, 8, 8
	v_mul_lo_u32 v145, 0x1010101, v72
	v_bfe_i32 v72, v102, 0, 8
	v_dual_lshrrev_b32 v105, 8, v112 :: v_dual_lshrrev_b32 v141, 16, v113
	v_bfe_u32 v116, v116, 24, 2
	v_lshrrev_b32_e32 v113, 24, v113
	s_delay_alu instid0(VALU_DEP_4) | instskip(NEXT) | instid1(VALU_DEP_4)
	v_mul_i32_i24_e32 v72, v165, v72
	v_and_b32_e32 v105, 3, v105
	v_mul_i32_i24_e32 v107, v107, v149
	v_mul_i32_i24_e32 v116, v116, v137
	v_bfe_u32 v124, v124, 24, 2
	v_mad_i32_i24 v72, v169, v103, v72
	v_lshrrev_b32_e32 v103, 24, v102
	v_bfe_i32 v102, v102, 16, 8
	v_mul_i32_i24_e32 v105, v105, v148
	v_bfe_u32 v143, v109, 8, 2
	v_lshrrev_b32_e32 v109, 24, v109
	v_mul_i32_i24_e32 v103, v170, v103
	v_mul_i32_i24_e32 v102, v164, v102
	v_add3_u32 v105, v111, v110, v105
	v_dual_lshrrev_b32 v110, 16, v112 :: v_dual_lshrrev_b32 v111, 24, v112
	v_and_b32_e32 v112, 3, v115
	s_delay_alu instid0(VALU_DEP_4)
	v_add3_u32 v72, v72, v102, v103
	v_bfe_i32 v102, v73, 0, 8
	v_bfe_i32 v103, v73, 8, 8
	v_mul_i32_i24_e32 v124, v124, v137
	v_mul_i32_i24_e32 v112, v112, v154
	v_and_b32_e32 v137, 3, v128
	v_mul_i32_i24_e32 v102, v165, v102
	v_mul_i32_i24_e32 v121, v121, v159
	;; [unrolled: 1-line block ×3, first 2 shown]
	v_and_b32_e32 v147, 3, v147
	v_mul_i32_i24_e32 v137, v137, v154
	v_mad_i32_i24 v102, v169, v103, v102
	v_bfe_i32 v103, v73, 16, 8
	v_lshrrev_b32_e32 v73, 24, v73
	v_cvt_f32_f16_e64 v4, v133
	v_and_b32_e32 v133, 0xffff, v171
	v_lshrrev_b16 v114, 8, v75
	v_mul_i32_i24_e32 v103, v164, v103
	v_mul_i32_i24_e32 v73, v170, v73
	s_delay_alu instid0(VALU_DEP_4) | instskip(SKIP_2) | instid1(VALU_DEP_4)
	v_dual_lshrrev_b32 v133, 4, v133 :: v_dual_bitop2_b32 v111, 3, v111 bitop3:0x40
	v_and_b32_e32 v110, 3, v110
	v_mul_i32_i24_e32 v143, v143, v162
	v_add3_u32 v73, v102, v103, v73
	v_bfe_i32 v102, v145, 0, 8
	v_bfe_i32 v103, v145, 8, 8
	v_mul_lo_u32 v133, 0x1010101, v133
	v_mul_i32_i24_e32 v110, v110, v151
	v_and_b32_e32 v146, 3, v146
	v_mul_i32_i24_e32 v102, v167, v102
	v_mul_i32_i24_e32 v103, v177, v103
	v_and_b32_e32 v7, 15, v7
	v_and_b32_e32 v75, 15, v75
	;; [unrolled: 1-line block ×3, first 2 shown]
	s_mov_b32 s1, s20
	v_add3_u32 v102, v104, v102, v103
	v_mul_i32_i24_e32 v103, v138, v159
	v_mul_i32_i24_e32 v104, v140, v161
	v_and_b32_e32 v138, 3, v152
	v_and_b32_e32 v140, 3, v172
	v_dual_lshrrev_b32 v172, 8, v118 :: v_dual_bitop2_b32 v152, 3, v173 bitop3:0x40
	v_cvt_f32_f16_e64 v173, v74
	s_delay_alu instid0(VALU_DEP_4) | instskip(NEXT) | instid1(VALU_DEP_4)
	v_mul_i32_i24_e32 v138, v138, v151
	v_mul_i32_i24_e32 v140, v140, v150
	s_delay_alu instid0(VALU_DEP_4) | instskip(SKIP_2) | instid1(VALU_DEP_4)
	v_dual_lshrrev_b32 v74, 16, v74 :: v_dual_bitop2_b32 v172, 3, v172 bitop3:0x40
	v_mul_i32_i24_e32 v144, v144, v160
	v_and_b32_e32 v75, 0xffff, v75
	v_add3_u32 v138, v168, v138, v140
	v_dual_lshrrev_b32 v140, 8, v115 :: v_dual_lshrrev_b32 v115, 24, v115
	v_mul_i32_i24_e32 v152, v152, v153
	v_and_b32_e32 v168, 3, v175
	v_mul_i32_i24_e32 v172, v172, v148
	s_delay_alu instid0(VALU_DEP_4)
	v_and_b32_e32 v140, 3, v140
	v_and_b32_e32 v115, 3, v115
	v_add3_u32 v107, v136, v152, v107
	v_lshrrev_b32_e32 v152, 8, v122
	v_add3_u32 v106, v106, v116, v172
	v_dual_lshrrev_b32 v172, 16, v122 :: v_dual_bitop2_b32 v116, 3, v122 bitop3:0x40
	s_delay_alu instid0(VALU_DEP_3) | instskip(SKIP_1) | instid1(VALU_DEP_3)
	v_dual_lshrrev_b32 v122, 24, v122 :: v_dual_bitop2_b32 v152, 3, v152 bitop3:0x40
	v_mul_i32_i24_e32 v140, v140, v155
	v_mul_i32_i24_e32 v116, v116, v154
	s_delay_alu instid0(VALU_DEP_3) | instskip(NEXT) | instid1(VALU_DEP_4)
	v_dual_lshrrev_b32 v154, 8, v123 :: v_dual_bitop2_b32 v122, 3, v122 bitop3:0x40
	v_mul_i32_i24_e32 v152, v152, v155
	s_delay_alu instid0(VALU_DEP_4)
	v_add3_u32 v108, v108, v112, v140
	v_and_b32_e32 v140, 3, v174
	v_mul_i32_i24_e32 v115, v115, v149
	v_mul_i32_i24_e32 v122, v122, v149
	v_add3_u32 v116, v117, v116, v152
	v_dual_lshrrev_b32 v152, 8, v125 :: v_dual_lshrrev_b32 v117, 16, v118
	v_lshrrev_b32_e32 v118, 24, v118
	v_and_b32_e32 v112, 0xffff, v114
	v_and_b32_e32 v172, 3, v172
	s_delay_alu instid0(VALU_DEP_4)
	v_and_b32_e32 v152, 3, v152
	v_and_b32_e32 v154, 3, v154
	;; [unrolled: 1-line block ×5, first 2 shown]
	v_mul_i32_i24_e32 v148, v152, v148
	v_lshrrev_b32_e32 v152, 8, v128
	v_mul_i32_i24_e32 v118, v118, v150
	v_mul_i32_i24_e32 v154, v154, v162
	v_lshrrev_b32_e32 v112, 4, v112
	v_add3_u32 v124, v126, v124, v148
	v_and_b32_e32 v152, 3, v152
	v_and_b32_e32 v126, 3, v123
	v_dual_lshrrev_b32 v136, 4, v136 :: v_dual_bitop2_b32 v148, 3, v119 bitop3:0x40
	v_mul_lo_u32 v112, 0x1010101, v112
	s_delay_alu instid0(VALU_DEP_4)
	v_mul_i32_i24_e32 v152, v152, v155
	v_and_b32_e32 v155, 3, v131
	v_and_b32_e32 v141, 3, v141
	v_mul_i32_i24_e32 v130, v130, v158
	v_cvt_f32_f16_e32 v74, v74
	v_add3_u32 v120, v120, v137, v152
	v_dual_lshrrev_b32 v137, 8, v119 :: v_dual_bitop2_b32 v152, 3, v129 bitop3:0x40
	v_mul_i32_i24_e32 v148, v148, v159
	v_mul_i32_i24_e32 v155, v155, v159
	v_lshrrev_b32_e32 v159, 16, v125
	v_mul_i32_i24_e32 v126, v126, v161
	v_mul_i32_i24_e32 v152, v152, v161
	v_dual_lshrrev_b32 v161, 16, v128 :: v_dual_lshrrev_b32 v128, 24, v128
	s_delay_alu instid0(VALU_DEP_4) | instskip(SKIP_1) | instid1(VALU_DEP_3)
	v_dual_lshrrev_b32 v125, 24, v125 :: v_dual_bitop2_b32 v159, 3, v159 bitop3:0x40
	v_mul_i32_i24_e32 v147, v147, v153
	v_and_b32_e32 v161, 3, v161
	s_delay_alu instid0(VALU_DEP_4)
	v_and_b32_e32 v128, 3, v128
	v_and_b32_e32 v137, 3, v137
	;; [unrolled: 1-line block ×4, first 2 shown]
	v_mul_i32_i24_e32 v141, v141, v158
	v_mul_i32_i24_e32 v128, v128, v149
	v_lshrrev_b32_e32 v149, 8, v129
	v_mul_i32_i24_e32 v111, v111, v150
	v_mul_i32_i24_e32 v125, v125, v150
	v_lshrrev_b32_e32 v150, 8, v131
	v_mul_i32_i24_e32 v172, v172, v153
	v_and_b32_e32 v149, 3, v149
	v_mul_i32_i24_e32 v137, v137, v163
	v_mul_i32_i24_e32 v168, v168, v156
	v_and_b32_e32 v150, 3, v150
	v_mul_i32_i24_e32 v109, v109, v156
	v_mul_i32_i24_e32 v149, v149, v162
	v_lshrrev_b32_e32 v162, 16, v131
	v_mul_i32_i24_e32 v153, v161, v153
	v_dual_lshrrev_b32 v161, 16, v119 :: v_dual_lshrrev_b32 v119, 24, v119
	v_mul_i32_i24_e32 v117, v117, v151
	v_mul_i32_i24_e32 v151, v159, v151
	v_dual_lshrrev_b32 v159, 16, v123 :: v_dual_lshrrev_b32 v123, 24, v123
	v_mul_i32_i24_e32 v150, v150, v163
	v_dual_lshrrev_b32 v163, 16, v129 :: v_dual_lshrrev_b32 v129, 24, v129
	v_and_b32_e32 v161, 3, v161
	v_dual_lshrrev_b32 v131, 24, v131 :: v_dual_bitop2_b32 v162, 3, v162 bitop3:0x40
	v_and_b32_e32 v123, 3, v123
	s_delay_alu instid0(VALU_DEP_4) | instskip(NEXT) | instid1(VALU_DEP_4)
	v_and_b32_e32 v129, 3, v129
	v_mul_i32_i24_e32 v161, v161, v158
	s_delay_alu instid0(VALU_DEP_4)
	v_mul_i32_i24_e32 v158, v162, v158
	v_lshrrev_b16 v162, 8, v134
	v_and_b32_e32 v159, 3, v159
	v_and_b32_e32 v119, 3, v119
	;; [unrolled: 1-line block ×4, first 2 shown]
	v_mul_lo_u32 v136, 0x1010101, v136
	v_and_b32_e32 v113, 3, v113
	v_mul_i32_i24_e32 v123, v123, v156
	v_mul_i32_i24_e32 v129, v129, v156
	v_bfe_i32 v156, v162, 0, 8
	v_lshrrev_b32_e32 v162, 24, v133
	v_mul_i32_i24_e32 v140, v140, v157
	v_mul_i32_i24_e32 v113, v113, v157
	;; [unrolled: 1-line block ×5, first 2 shown]
	v_bfe_i32 v157, v134, 16, 8
	v_mul_i32_i24_e32 v162, v6, v162
	v_and_b32_e32 v175, 0xffff, v7
	v_lshrrev_b32_e32 v7, 24, v145
	v_mul_i32_i24_e32 v146, v146, v160
	v_mul_i32_i24_e32 v160, v163, v160
	v_bfe_i32 v163, v134, 0, 8
	v_lshrrev_b32_e32 v134, 24, v134
	v_mul_i32_i24_e32 v156, v169, v156
	v_bfe_i32 v169, v133, 8, 8
	v_mul_i32_i24_e32 v7, v6, v7
	v_add3_u32 v106, v106, v117, v118
	v_mad_i32_i24 v134, v170, v134, v162
	v_bfe_i32 v170, v133, 16, 8
	v_bfe_i32 v133, v133, 0, 8
	;; [unrolled: 1-line block ×3, first 2 shown]
	v_add3_u32 v106, v106, v148, v137
	v_add3_u32 v103, v138, v103, v139
	v_mul_i32_i24_e32 v170, v166, v170
	v_mul_i32_i24_e32 v133, v167, v133
	;; [unrolled: 1-line block ×3, first 2 shown]
	v_add3_u32 v104, v107, v104, v142
	v_add3_u32 v107, v116, v172, v122
	v_mad_i32_i24 v157, v164, v157, v170
	v_bfe_i32 v164, v112, 16, 8
	v_bfe_i32 v170, v136, 16, 8
	v_mad_i32_i24 v133, v165, v163, v133
	v_bfe_i32 v163, v112, 0, 8
	v_bfe_i32 v165, v136, 0, 8
	v_mul_i32_i24_e32 v164, v166, v164
	v_mul_i32_i24_e32 v166, v166, v170
	v_bfe_i32 v170, v112, 8, 8
	v_mul_i32_i24_e32 v163, v167, v163
	v_mul_i32_i24_e32 v165, v167, v165
	v_bfe_i32 v167, v136, 8, 8
	v_lshrrev_b32_e32 v112, 24, v112
	v_mul_i32_i24_e32 v170, v177, v170
	v_lshrrev_b32_e32 v136, 24, v136
	v_add3_u32 v7, v102, v162, v7
	v_mul_i32_i24_e32 v167, v177, v167
	v_mul_i32_i24_e32 v112, v6, v112
	v_add3_u32 v72, v72, v163, v170
	v_add3_u32 v102, v105, v110, v111
	;; [unrolled: 1-line block ×3, first 2 shown]
	v_mul_i32_i24_e32 v6, v6, v136
	v_add3_u32 v73, v73, v165, v167
	v_add3_u32 v72, v72, v164, v112
	;; [unrolled: 1-line block ×6, first 2 shown]
	v_cvt_f32_i32_e32 v6, v7
	v_cvt_f32_i32_e32 v7, v72
	v_add3_u32 v72, v110, v158, v131
	v_add3_u32 v108, v120, v153, v128
	v_cvt_f32_i32_e32 v110, v73
	v_add3_u32 v73, v102, v141, v113
	v_add3_u32 v102, v106, v161, v119
	v_mul_lo_u32 v72, v72, v77
	v_add3_u32 v103, v103, v130, v140
	v_add3_u32 v108, v108, v152, v149
	v_and_b32_e32 v174, 15, v176
	v_mul_lo_u32 v76, v102, v76
	v_and_b32_e32 v171, 0xffff, v171
	v_add3_u32 v107, v107, v126, v154
	v_mul_lo_u32 v77, v103, v132
	v_add3_u32 v103, v108, v160, v129
	v_mul_i32_i24_e32 v169, v177, v169
	v_mul_lo_u32 v75, v73, v75
	v_and_b32_e32 v114, 15, v114
	v_and_b32_e32 v174, 0xffff, v174
	v_add3_u32 v105, v105, v127, v143
	v_add3_u32 v102, v107, v159, v123
	v_mad_u32 v72, v103, v171, v72
	v_add3_u32 v111, v156, v169, v134
	v_and_b32_e32 v114, 0xffff, v114
	v_add3_u32 v104, v104, v144, v168
	v_add3_u32 v103, v105, v146, v109
	v_mad_u32 v76, v102, v174, v76
	v_add3_u32 v111, v133, v157, v111
	v_pk_mul_f32 v[4:5], v[4:5], v[6:7]
	v_mad_u32 v77, v104, v175, v77
	v_mad_u32 v75, v103, v114, v75
	v_mul_f32_e32 v6, v74, v110
	v_cvt_f32_i32_e32 v73, v111
	v_cvt_f32_i32_e32 v72, v72
	;; [unrolled: 1-line block ×3, first 2 shown]
	s_delay_alu instid0(VALU_DEP_2) | instskip(SKIP_2) | instid1(VALU_DEP_3)
	v_pk_mul_f32 v[2:3], v[2:3], v[72:73]
	v_cvt_f32_i32_e32 v72, v77
	v_cvt_f32_i32_e32 v73, v75
	v_dual_mul_f32 v74, v173, v7 :: v_dual_mov_b32 v75, v2
	s_delay_alu instid0(VALU_DEP_4) | instskip(NEXT) | instid1(VALU_DEP_3)
	v_mov_b32_e32 v7, v3
	v_pk_fma_f32 v[0:1], v[0:1], v[72:73], v[4:5] neg_lo:[0,0,1] neg_hi:[0,0,1]
	s_delay_alu instid0(VALU_DEP_2) | instskip(NEXT) | instid1(VALU_DEP_2)
	v_pk_add_f32 v[2:3], v[74:75], v[6:7] neg_lo:[0,1] neg_hi:[0,1]
	v_pk_fma_f32 v[16:17], v[70:71], v[0:1], v[16:17] op_sel_hi:[0,1,1]
	s_delay_alu instid0(VALU_DEP_2)
	v_pk_fma_f32 v[14:15], v[70:71], v[2:3], v[14:15] op_sel_hi:[0,1,1]
	s_cbranch_scc1 .LBB188_11
; %bb.12:                               ;   in Loop: Header=BB188_5 Depth=1
	s_or_b32 s1, s18, 0x80
	s_delay_alu instid0(SALU_CYCLE_1)
	s_cmp_ge_i32 s1, s5
	s_barrier_signal -1
	s_barrier_wait -1
	s_cbranch_scc1 .LBB188_4
; %bb.13:                               ;   in Loop: Header=BB188_5 Depth=1
	v_add_nc_u32_e32 v0, s19, v86
	s_delay_alu instid0(VALU_DEP_1) | instskip(SKIP_1) | instid1(SALU_CYCLE_1)
	v_cmp_gt_i32_e64 s1, s6, v0
	s_and_b32 s20, s0, s1
	s_and_saveexec_b32 s1, s20
	s_cbranch_execz .LBB188_15
; %bb.14:                               ;   in Loop: Header=BB188_5 Depth=1
	v_add_nc_u32_e32 v0, v18, v0
	s_delay_alu instid0(VALU_DEP_1)
	v_mad_nc_i64_i32 v[0:1], v0, 36, v[20:21]
	global_load_b32 v0, v[0:1], off offset:4
	s_wait_loadcnt 0x0
	ds_store_b32 v67, v0
.LBB188_15:                             ;   in Loop: Header=BB188_5 Depth=1
	s_or_b32 exec_lo, exec_lo, s1
	s_and_saveexec_b32 s20, vcc_lo
	s_cbranch_execz .LBB188_18
; %bb.16:                               ;   in Loop: Header=BB188_5 Depth=1
	v_or_b32_e32 v0, 4, v68
	s_delay_alu instid0(VALU_DEP_1) | instskip(SKIP_1) | instid1(SALU_CYCLE_1)
	v_cmp_gt_i32_e64 s1, s6, v0
	s_and_b32 s1, s0, s1
	s_and_b32 exec_lo, exec_lo, s1
	s_cbranch_execz .LBB188_18
; %bb.17:                               ;   in Loop: Header=BB188_5 Depth=1
	v_ashrrev_i32_e32 v69, 31, v68
	s_delay_alu instid0(VALU_DEP_1) | instskip(NEXT) | instid1(VALU_DEP_1)
	v_add_nc_u64_e32 v[0:1], v[18:19], v[68:69]
	v_mad_nc_u64_u32 v[2:3], v0, 36, s[2:3]
	s_delay_alu instid0(VALU_DEP_1)
	v_mad_i32_i24 v3, v1, 36, v3
	global_load_b32 v0, v[2:3], off offset:144
	s_wait_loadcnt 0x0
	v_cvt_f32_f16_e32 v0, v0
	ds_store_b32 v85, v0
.LBB188_18:                             ;   in Loop: Header=BB188_5 Depth=1
	s_or_b32 exec_lo, exec_lo, s20
	v_dual_mov_b32 v69, v61 :: v_dual_mov_b32 v71, v78
	s_mov_b32 s1, 8
	s_wait_dscnt 0x0
	s_barrier_signal -1
	s_barrier_wait -1
.LBB188_19:                             ;   Parent Loop BB188_5 Depth=1
                                        ; =>  This Inner Loop Header: Depth=2
	s_and_b32 s22, s1, 0x3ffffff8
	ds_load_b32 v70, v71
	ds_load_b128 v[4:7], v69
	ds_load_b128 v[0:3], v69 offset:16
	v_lshl_add_u32 v102, s22, 2, v89
	s_lshr_b32 s23, s1, 2
	s_and_b32 s21, s1, -16
	s_and_b32 s22, s23, 0x3ffffffc
	s_add_co_i32 s21, s1, s21
	ds_load_2addr_b32 v[72:73], v102 offset0:4 offset1:7
	s_addk_co_i32 s22, 0x5280
	v_dual_add_nc_u32 v103, s21, v47 :: v_dual_add_nc_u32 v104, s21, v49
	v_dual_add_nc_u32 v105, s21, v51 :: v_dual_add_nc_u32 v108, s21, v53
	v_add3_u32 v109, s22, v101, v90
	v_add3_u32 v110, s22, v91, v92
	;; [unrolled: 1-line block ×4, first 2 shown]
	v_add_nc_u32_e32 v113, 0x1080, v102
	v_add_nc_u32_e32 v114, 0x1088, v102
	;; [unrolled: 1-line block ×12, first 2 shown]
	ds_load_2addr_b32 v[76:77], v102 offset1:1
	ds_load_2addr_b32 v[74:75], v102 offset0:2 offset1:3
	ds_load_2addr_b32 v[106:107], v102 offset0:5 offset1:6
	ds_load_u16 v132, v103 offset:16896
	ds_load_u16 v133, v108 offset:19968
	;; [unrolled: 1-line block ×4, first 2 shown]
	ds_load_b32 v135, v109
	ds_load_b32 v136, v110
	;; [unrolled: 1-line block ×4, first 2 shown]
	ds_load_2addr_b32 v[108:109], v115 offset0:36 offset1:39
	ds_load_2addr_b32 v[110:111], v113 offset1:1
	ds_load_2addr_b32 v[112:113], v114 offset1:1
	ds_load_2addr_b32 v[114:115], v116 offset1:1
	ds_load_2addr_b32 v[116:117], v117 offset1:1
	ds_load_2addr_b32 v[118:119], v118 offset1:1
	ds_load_2addr_b32 v[120:121], v120 offset1:1
	ds_load_2addr_b32 v[122:123], v122 offset1:1
	ds_load_2addr_b32 v[124:125], v124 offset1:1
	ds_load_2addr_b32 v[126:127], v126 offset1:1
	ds_load_2addr_b32 v[128:129], v128 offset1:1
	ds_load_2addr_b32 v[130:131], v130 offset1:1
	s_wait_dscnt 0x18
	v_lshrrev_b16 v139, 8, v0
	v_dual_ashrrev_i32 v140, 24, v4 :: v_dual_ashrrev_i32 v147, 24, v5
	v_dual_ashrrev_i32 v141, 24, v0 :: v_dual_ashrrev_i32 v148, 24, v1
	v_bfe_i32 v142, v5, 8, 8
	v_bfe_i32 v143, v0, 0, 8
	;; [unrolled: 1-line block ×5, first 2 shown]
	v_lshrrev_b16 v0, 8, v1
	v_bfe_i32 v149, v4, 8, 8
	v_bfe_i32 v150, v1, 0, 8
	;; [unrolled: 1-line block ×5, first 2 shown]
	v_lshrrev_b16 v1, 8, v6
	v_dual_ashrrev_i32 v154, 24, v2 :: v_dual_ashrrev_i32 v102, 24, v3
	v_bfe_i32 v158, v2, 16, 8
	v_bfe_i32 v159, v2, 0, 8
	;; [unrolled: 1-line block ×3, first 2 shown]
	v_lshrrev_b16 v2, 8, v7
	s_add_co_i32 s20, s1, -8
	v_dual_ashrrev_i32 v155, 24, v6 :: v_dual_ashrrev_i32 v103, 24, v7
	v_bfe_i32 v156, v6, 16, 8
	v_bfe_i32 v157, v6, 0, 8
	;; [unrolled: 1-line block ×10, first 2 shown]
	v_dual_add_nc_u32 v0, v148, v141 :: v_dual_add_nc_u32 v1, v147, v140
	v_dual_add_nc_u32 v2, v153, v146 :: v_dual_add_nc_u32 v3, v152, v145
	v_dual_add_nc_u32 v4, v151, v144 :: v_dual_add_nc_u32 v5, v150, v143
	s_wait_dscnt 0x16
	v_dual_add_nc_u32 v6, v149, v142 :: v_dual_ashrrev_i32 v76, s20, v76
	s_wait_dscnt 0x15
	v_dual_ashrrev_i32 v77, s20, v77 :: v_dual_ashrrev_i32 v75, s20, v75
	v_dual_ashrrev_i32 v72, s20, v72 :: v_dual_ashrrev_i32 v73, s20, v73
	v_bfe_i32 v139, v139, 0, 8
	s_wait_dscnt 0x11
	v_lshrrev_b16 v171, 8, v134
	v_bfe_u32 v172, v134, 4, 4
	v_and_b32_e32 v134, 15, v134
	s_wait_dscnt 0x10
	v_lshrrev_b16 v173, 8, v105
	v_bfe_u32 v174, v105, 4, 4
	v_and_b32_e32 v105, 15, v105
	v_add3_u32 v176, v6, v165, v166
	v_add3_u32 v177, v1, v155, v103
	;; [unrolled: 1-line block ×6, first 2 shown]
	s_wait_dscnt 0xd
	v_cvt_f32_f16_e64 v6, v137
	v_lshrrev_b32_e32 v3, 16, v137
	v_cvt_f32_f16_e64 v1, v136
	v_cvt_f32_f16_e64 v0, v135
	v_dual_lshrrev_b32 v4, 16, v136 :: v_dual_lshrrev_b32 v135, 16, v135
	s_wait_dscnt 0xc
	v_lshrrev_b32_e32 v136, 16, v138
	v_cvt_f32_f16_e64 v2, v138
	v_and_b32_e32 v137, 3, v77
	v_bfe_u32 v138, v77, 8, 2
	v_bfe_u32 v183, v77, 16, 2
	v_dual_lshrrev_b32 v77, 24, v77 :: v_dual_bitop2_b32 v187, 3, v72 bitop3:0x40
	v_bfe_u32 v188, v72, 8, 2
	v_bfe_u32 v189, v72, 16, 2
	v_dual_lshrrev_b32 v72, 24, v72 :: v_dual_ashrrev_i32 v74, s20, v74
	v_ashrrev_i32_e32 v107, s20, v107
	v_dual_lshrrev_b32 v186, 16, v75 :: v_dual_bitop2_b32 v184, 3, v75 bitop3:0x40
	v_bfe_u32 v185, v75, 8, 2
	s_wait_dscnt 0x9
	v_dual_ashrrev_i32 v113, s20, v113 :: v_dual_ashrrev_i32 v108, s20, v108
	s_wait_dscnt 0x5
	v_dual_ashrrev_i32 v117, s20, v117 :: v_dual_ashrrev_i32 v120, s20, v120
	;; [unrolled: 2-line block ×3, first 2 shown]
	v_dual_lshrrev_b32 v75, 24, v75 :: v_dual_ashrrev_i32 v122, s20, v122
	v_dual_ashrrev_i32 v118, s20, v118 :: v_dual_ashrrev_i32 v123, s20, v123
	v_mul_i32_i24_e32 v137, v137, v152
	v_mul_i32_i24_e32 v188, v188, v139
	v_and_b32_e32 v77, 3, v77
	v_dual_ashrrev_i32 v106, s20, v106 :: v_dual_bitop2_b32 v72, 3, v72 bitop3:0x40
	v_dual_ashrrev_i32 v110, s20, v110 :: v_dual_ashrrev_i32 v111, s20, v111
	v_lshrrev_b16 v167, 8, v132
	v_dual_ashrrev_i32 v109, s20, v109 :: v_dual_ashrrev_i32 v116, s20, v116
	v_dual_lshrrev_b32 v198, 16, v74 :: v_dual_bitop2_b32 v196, 3, v74 bitop3:0x40
	v_dual_ashrrev_i32 v114, s20, v114 :: v_dual_bitop2_b32 v202, 3, v107 bitop3:0x40
	v_and_b32_e32 v214, 3, v108
	v_and_b32_e32 v226, 3, v120
	v_and_b32_e32 v238, 3, v126
	v_mad_i32_i24 v137, v138, v142, v137
	v_mul_i32_i24_e32 v183, v183, v153
	v_mul_i32_i24_e32 v77, v77, v147
	v_mad_i32_i24 v187, v187, v143, v188
	v_mul_i32_i24_e32 v189, v189, v144
	v_mul_i32_i24_e32 v72, v72, v141
	v_bfe_u32 v168, v132, 4, 4
	v_and_b32_e32 v132, 15, v132
	v_bfe_u32 v170, v133, 4, 4
	v_add3_u32 v179, v5, v159, v162
	v_dual_ashrrev_i32 v121, s20, v121 :: v_dual_ashrrev_i32 v124, s20, v124
	v_dual_ashrrev_i32 v127, s20, v127 :: v_dual_ashrrev_i32 v112, s20, v112
	v_dual_lshrrev_b32 v197, 8, v74 :: v_dual_bitop2_b32 v193, 3, v76 bitop3:0x40
	v_dual_lshrrev_b32 v74, 24, v74 :: v_dual_ashrrev_i32 v115, s20, v115
	v_dual_lshrrev_b32 v200, 8, v106 :: v_dual_bitop2_b32 v199, 3, v106 bitop3:0x40
	v_and_b32_e32 v207, 0xffff, v171
	v_and_b32_e32 v171, 15, v171
	v_cvt_f32_f16_e32 v5, v4
	v_cvt_f32_f16_e64 v4, v135
	v_dual_lshrrev_b32 v219, 16, v109 :: v_dual_bitop2_b32 v135, 3, v111 bitop3:0x40
	v_bfe_u32 v215, v108, 8, 2
	v_bfe_u32 v216, v108, 16, 2
	v_dual_lshrrev_b32 v108, 24, v108 :: v_dual_bitop2_b32 v223, 3, v117 bitop3:0x40
	v_dual_ashrrev_i32 v119, s20, v119 :: v_dual_bitop2_b32 v235, 3, v125 bitop3:0x40
	s_wait_dscnt 0x1
	v_ashrrev_i32_e32 v128, s20, v128
	v_and_b32_e32 v205, 0xffff, v167
	v_dual_lshrrev_b32 v213, 16, v113 :: v_dual_bitop2_b32 v167, 15, v167 bitop3:0x40
	v_dual_lshrrev_b32 v138, 8, v112 :: v_dual_bitop2_b32 v211, 3, v113 bitop3:0x40
	v_bfe_u32 v212, v113, 8, 2
	v_and_b32_e32 v220, 3, v116
	v_bfe_u32 v227, v120, 8, 2
	v_bfe_u32 v239, v126, 8, 2
	v_add3_u32 v77, v137, v183, v77
	v_and_b32_e32 v183, 3, v198
	v_dual_lshrrev_b32 v188, 8, v114 :: v_dual_bitop2_b32 v198, 3, v114 bitop3:0x40
	v_add3_u32 v72, v187, v189, v72
	v_dual_lshrrev_b32 v187, 16, v114 :: v_dual_lshrrev_b32 v114, 24, v114
	v_lshrrev_b32_e32 v113, 24, v113
	v_mul_i32_i24_e32 v214, v214, v143
	v_mul_i32_i24_e32 v226, v226, v143
	;; [unrolled: 1-line block ×3, first 2 shown]
	v_lshrrev_b16 v169, 8, v133
	v_dual_lshrrev_b32 v192, 16, v73 :: v_dual_bitop2_b32 v190, 3, v73 bitop3:0x40
	v_bfe_u32 v191, v73, 8, 2
	v_bfe_u32 v194, v76, 8, 2
	;; [unrolled: 1-line block ×4, first 2 shown]
	v_dual_lshrrev_b32 v201, 16, v106 :: v_dual_lshrrev_b32 v106, 24, v106
	v_dual_lshrrev_b32 v203, 8, v107 :: v_dual_lshrrev_b32 v204, 16, v107
	;; [unrolled: 1-line block ×3, first 2 shown]
	s_wait_dscnt 0x0
	v_dual_ashrrev_i32 v130, s20, v130 :: v_dual_ashrrev_i32 v129, s20, v129
	v_ashrrev_i32_e32 v131, s20, v131
	v_mul_lo_u32 v170, 0x1010101, v170
	v_and_b32_e32 v208, 0xffff, v173
	v_and_b32_e32 v173, 15, v173
	v_cvt_f32_f16_e64 v209, v3
	v_cvt_f32_f16_e64 v3, v136
	v_bfe_u32 v136, v111, 8, 2
	v_bfe_u32 v210, v111, 16, 2
	v_dual_lshrrev_b32 v111, 24, v111 :: v_dual_bitop2_b32 v217, 3, v109 bitop3:0x40
	v_lshrrev_b32_e32 v137, 16, v112
	v_bfe_u32 v221, v116, 8, 2
	v_bfe_u32 v222, v116, 16, 2
	;; [unrolled: 1-line block ×8, first 2 shown]
	v_and_b32_e32 v232, 3, v124
	v_bfe_u32 v233, v124, 8, 2
	v_bfe_u32 v234, v124, 16, 2
	;; [unrolled: 1-line block ×8, first 2 shown]
	v_and_b32_e32 v244, 3, v110
	v_bfe_u32 v245, v110, 8, 2
	v_bfe_u32 v246, v110, 24, 2
	v_bfe_u32 v110, v110, 16, 2
	v_dual_lshrrev_b32 v238, 8, v118 :: v_dual_bitop2_b32 v247, 3, v112 bitop3:0x40
	v_lshrrev_b32_e32 v112, 24, v112
	v_and_b32_e32 v200, 3, v200
	v_mul_i32_i24_e32 v135, v135, v152
	v_mul_i32_i24_e32 v223, v223, v152
	;; [unrolled: 1-line block ×3, first 2 shown]
	v_and_b32_e32 v108, 3, v108
	v_dual_add_nc_u32 v175, v164, v139 :: v_dual_bitop2_b32 v133, 15, v133 bitop3:0x40
	v_mul_lo_u32 v168, 0x1010101, v168
	v_mul_lo_u32 v172, 0x1010101, v172
	v_mad_i32_i24 v214, v215, v139, v214
	v_mad_i32_i24 v226, v227, v139, v226
	;; [unrolled: 1-line block ×3, first 2 shown]
	v_dual_lshrrev_b32 v205, 4, v205 :: v_dual_bitop2_b32 v239, 3, v119 bitop3:0x40
	v_and_b32_e32 v206, 0xffff, v169
	v_and_b32_e32 v169, 15, v169
	v_mul_lo_u32 v174, 0x1010101, v174
	v_dual_lshrrev_b32 v235, 8, v115 :: v_dual_bitop2_b32 v229, 3, v121 bitop3:0x40
	v_bfe_u32 v230, v121, 8, 2
	v_and_b32_e32 v241, 3, v127
	v_bfe_u32 v242, v127, 8, 2
	v_dual_lshrrev_b32 v215, 16, v122 :: v_dual_bitop2_b32 v197, 3, v197 bitop3:0x40
	v_mul_i32_i24_e32 v193, v145, v193
	v_mul_i32_i24_e32 v76, v146, v76
	;; [unrolled: 1-line block ×4, first 2 shown]
	v_and_b32_e32 v189, 3, v201
	v_and_b32_e32 v106, 3, v106
	;; [unrolled: 1-line block ×3, first 2 shown]
	v_mad_i32_i24 v135, v136, v142, v135
	v_lshrrev_b32_e32 v136, 16, v115
	v_mul_i32_i24_e32 v199, v199, v150
	v_and_b32_e32 v73, 3, v73
	v_mad_i32_i24 v223, v224, v142, v223
	v_and_b32_e32 v224, 3, v118
	v_mad_i32_i24 v142, v236, v142, v152
	v_dual_lshrrev_b32 v236, 8, v122 :: v_dual_bitop2_b32 v152, 3, v122 bitop3:0x40
	v_lshrrev_b32_e32 v122, 24, v122
	v_mul_i32_i24_e32 v244, v145, v244
	v_mul_i32_i24_e32 v220, v145, v220
	;; [unrolled: 1-line block ×3, first 2 shown]
	v_lshrrev_b32_e32 v232, 8, v123
	v_mul_i32_i24_e32 v210, v210, v153
	v_mul_i32_i24_e32 v225, v225, v153
	;; [unrolled: 1-line block ×3, first 2 shown]
	v_and_b32_e32 v237, 3, v130
	v_mul_i32_i24_e32 v216, v216, v144
	v_mul_i32_i24_e32 v110, v146, v110
	;; [unrolled: 1-line block ×4, first 2 shown]
	v_dual_lshrrev_b32 v206, 4, v206 :: v_dual_bitop2_b32 v234, 3, v131 bitop3:0x40
	v_mul_i32_i24_e32 v246, v140, v246
	v_mul_i32_i24_e32 v116, v116, v140
	;; [unrolled: 1-line block ×3, first 2 shown]
	v_dual_lshrrev_b32 v140, 8, v128 :: v_dual_bitop2_b32 v111, 3, v111 bitop3:0x40
	v_lshrrev_b32_e32 v208, 4, v208
	v_mul_i32_i24_e32 v117, v117, v147
	v_mul_i32_i24_e32 v125, v125, v147
	;; [unrolled: 1-line block ×5, first 2 shown]
	v_dual_lshrrev_b32 v141, 8, v129 :: v_dual_bitop2_b32 v188, 3, v188 bitop3:0x40
	v_mul_i32_i24_e32 v200, v200, v164
	v_mul_lo_u32 v205, 0x1010101, v205
	v_bfe_u32 v218, v109, 8, 2
	v_bfe_u32 v231, v121, 16, 2
	;; [unrolled: 1-line block ×3, first 2 shown]
	v_mul_i32_i24_e32 v184, v184, v161
	v_and_b32_e32 v74, 3, v74
	v_mul_i32_i24_e32 v194, v149, v194
	v_dual_lshrrev_b32 v109, 24, v109 :: v_dual_bitop2_b32 v203, 3, v203 bitop3:0x40
	v_dual_lshrrev_b32 v227, 16, v118 :: v_dual_lshrrev_b32 v118, 24, v118
	v_and_b32_e32 v143, 3, v123
	v_mul_i32_i24_e32 v229, v229, v150
	v_mul_i32_i24_e32 v247, v247, v157
	;; [unrolled: 1-line block ×4, first 2 shown]
	v_lshrrev_b32_e32 v237, 16, v119
	v_mul_i32_i24_e32 v198, v198, v150
	v_mul_i32_i24_e32 v150, v241, v150
	v_dual_lshrrev_b32 v241, 16, v123 :: v_dual_lshrrev_b32 v123, 24, v123
	v_mul_i32_i24_e32 v211, v211, v161
	v_mul_i32_i24_e32 v239, v239, v161
	v_mul_i32_i24_e32 v161, v234, v161
	v_lshrrev_b32_e32 v234, 8, v130
	v_mul_i32_i24_e32 v230, v230, v164
	v_mul_i32_i24_e32 v242, v242, v164
	v_mul_i32_i24_e32 v164, v188, v164
	v_lshrrev_b32_e32 v188, 8, v131
	v_and_b32_e32 v187, 3, v187
	v_mul_i32_i24_e32 v189, v189, v151
	v_and_b32_e32 v114, 3, v114
	v_mul_i32_i24_e32 v106, v106, v148
	v_mul_i32_i24_e32 v248, v73, v102
	v_and_b32_e32 v73, 3, v236
	v_and_b32_e32 v232, 3, v232
	v_and_b32_e32 v140, 3, v140
	v_and_b32_e32 v141, 3, v141
	v_mul_lo_u32 v208, 0x1010101, v208
	v_and_b32_e32 v235, 3, v235
	v_add3_u32 v77, v77, v196, v193
	v_add3_u32 v108, v214, v216, v108
	;; [unrolled: 1-line block ×5, first 2 shown]
	v_bfe_u32 v121, v121, 24, 2
	v_bfe_u32 v127, v127, 24, 2
	v_mul_i32_i24_e32 v245, v149, v245
	v_mul_i32_i24_e32 v221, v221, v149
	v_mul_i32_i24_e32 v149, v233, v149
	v_and_b32_e32 v233, 3, v128
	v_add3_u32 v175, v175, v160, v163
	v_and_b32_e32 v75, 3, v75
	v_and_b32_e32 v192, 3, v192
	v_mul_i32_i24_e32 v191, v191, v163
	v_mul_i32_i24_e32 v111, v111, v147
	v_dual_lshrrev_b32 v147, 16, v130 :: v_dual_lshrrev_b32 v130, 24, v130
	v_mul_i32_i24_e32 v231, v231, v151
	v_mul_i32_i24_e32 v243, v243, v151
	v_dual_lshrrev_b32 v142, 24, v205 :: v_dual_bitop2_b32 v138, 3, v138 bitop3:0x40
	v_mul_i32_i24_e32 v197, v197, v165
	v_mul_i32_i24_e32 v203, v203, v160
	;; [unrolled: 1-line block ×3, first 2 shown]
	v_and_b32_e32 v236, 3, v238
	v_and_b32_e32 v234, 3, v234
	v_mul_i32_i24_e32 v235, v235, v160
	v_mul_i32_i24_e32 v73, v73, v160
	v_mul_i32_i24_e32 v140, v140, v160
	v_lshrrev_b32_e32 v160, 24, v168
	v_mul_i32_i24_e32 v151, v187, v151
	v_mul_i32_i24_e32 v232, v232, v163
	;; [unrolled: 1-line block ×3, first 2 shown]
	v_lshrrev_b32_e32 v163, 24, v172
	v_mul_i32_i24_e32 v114, v114, v148
	v_add3_u32 v76, v77, v194, v76
	v_add3_u32 v77, v108, v198, v164
	;; [unrolled: 1-line block ×5, first 2 shown]
	v_mul_i32_i24_e32 v228, v228, v144
	v_mul_i32_i24_e32 v144, v240, v144
	v_mul_i32_i24_e32 v202, v202, v159
	v_mul_i32_i24_e32 v201, v201, v159
	v_lshrrev_b32_e32 v187, 16, v129
	v_mul_i32_i24_e32 v152, v152, v159
	v_mul_i32_i24_e32 v121, v121, v148
	;; [unrolled: 1-line block ×3, first 2 shown]
	v_dual_lshrrev_b32 v148, 16, v131 :: v_dual_lshrrev_b32 v131, 24, v131
	v_mul_i32_i24_e32 v159, v233, v159
	v_dual_lshrrev_b32 v207, 4, v207 :: v_dual_bitop2_b32 v233, 3, v129 bitop3:0x40
	v_lshrrev_b32_e32 v240, 8, v119
	v_mul_i32_i24_e32 v183, v183, v156
	v_mul_i32_i24_e32 v74, v74, v155
	v_and_b32_e32 v227, 3, v227
	v_and_b32_e32 v147, 3, v147
	;; [unrolled: 1-line block ×3, first 2 shown]
	v_mul_lo_u32 v206, 0x1010101, v206
	v_and_b32_e32 v137, 3, v137
	v_mul_i32_i24_e32 v138, v138, v165
	v_mul_i32_i24_e32 v236, v236, v165
	;; [unrolled: 1-line block ×3, first 2 shown]
	v_add3_u32 v111, v135, v210, v111
	v_add3_u32 v76, v76, v195, v197
	;; [unrolled: 1-line block ×7, first 2 shown]
	v_mul_lo_u32 v207, 0x1010101, v207
	v_dual_lshrrev_b32 v119, 24, v119 :: v_dual_bitop2_b32 v204, 3, v204 bitop3:0x40
	v_and_b32_e32 v186, 3, v186
	v_mul_i32_i24_e32 v185, v185, v166
	v_and_b32_e32 v118, 3, v118
	v_and_b32_e32 v238, 3, v240
	;; [unrolled: 1-line block ×3, first 2 shown]
	v_bfe_i32 v234, v168, 16, 8
	v_mul_i32_i24_e32 v137, v137, v156
	v_mul_i32_i24_e32 v227, v227, v156
	;; [unrolled: 1-line block ×3, first 2 shown]
	v_bfe_i32 v156, v168, 8, 8
	v_bfe_i32 v168, v168, 0, 8
	v_mul_i32_i24_e32 v130, v130, v155
	v_add3_u32 v111, v111, v247, v244
	v_add3_u32 v74, v76, v183, v74
	;; [unrolled: 1-line block ×5, first 2 shown]
	v_mul_i32_i24_e32 v190, v190, v162
	v_and_b32_e32 v107, 3, v107
	v_mul_i32_i24_e32 v217, v217, v162
	v_lshrrev_b32_e32 v129, 24, v129
	v_mul_i32_i24_e32 v143, v143, v162
	v_mul_i32_i24_e32 v162, v233, v162
	v_dual_lshrrev_b32 v233, 16, v128 :: v_dual_lshrrev_b32 v128, 24, v128
	v_add3_u32 v108, v120, v229, v230
	v_add3_u32 v120, v126, v150, v242
	v_and_b32_e32 v112, 3, v112
	v_and_b32_e32 v213, 3, v213
	;; [unrolled: 1-line block ×3, first 2 shown]
	v_mul_i32_i24_e32 v212, v212, v166
	v_mul_i32_i24_e32 v186, v186, v104
	;; [unrolled: 1-line block ×3, first 2 shown]
	v_and_b32_e32 v237, 3, v237
	v_and_b32_e32 v119, 3, v119
	;; [unrolled: 1-line block ×4, first 2 shown]
	v_mul_i32_i24_e32 v118, v118, v155
	v_mul_i32_i24_e32 v238, v238, v166
	;; [unrolled: 1-line block ×4, first 2 shown]
	v_add3_u32 v110, v111, v245, v110
	v_add3_u32 v74, v74, v184, v185
	;; [unrolled: 1-line block ×3, first 2 shown]
	v_dual_lshrrev_b32 v115, 24, v115 :: v_dual_bitop2_b32 v136, 3, v136 bitop3:0x40
	v_add_nc_u32_e32 v71, 4, v71
	v_mul_i32_i24_e32 v204, v204, v158
	v_mul_i32_i24_e32 v107, v107, v154
	v_and_b32_e32 v215, 3, v215
	v_and_b32_e32 v233, 3, v233
	;; [unrolled: 1-line block ×3, first 2 shown]
	v_add3_u32 v72, v72, v202, v203
	v_add3_u32 v111, v120, v243, v127
	v_mul_i32_i24_e32 v213, v213, v104
	v_mul_i32_i24_e32 v237, v237, v104
	;; [unrolled: 1-line block ×6, first 2 shown]
	v_mad_i32_i24 v153, v176, v156, v168
	v_lshrrev_b32_e32 v156, 24, v206
	v_bfe_i32 v168, v206, 16, 8
	v_bfe_i32 v193, v206, 8, 8
	;; [unrolled: 1-line block ×3, first 2 shown]
	v_lshrrev_b32_e32 v206, 24, v207
	v_mul_i32_i24_e32 v112, v112, v155
	v_add3_u32 v110, v110, v246, v138
	v_add3_u32 v77, v77, v227, v118
	;; [unrolled: 1-line block ×4, first 2 shown]
	v_dual_add_nc_u32 v69, 32, v69 :: v_dual_bitop2_b32 v115, 3, v115 bitop3:0x40
	v_and_b32_e32 v122, 3, v122
	v_mul_i32_i24_e32 v136, v136, v158
	v_mul_i32_i24_e32 v215, v215, v158
	;; [unrolled: 1-line block ×4, first 2 shown]
	v_add3_u32 v108, v108, v231, v121
	v_add3_u32 v72, v72, v204, v107
	;; [unrolled: 1-line block ×3, first 2 shown]
	v_and_b32_e32 v219, 3, v219
	v_and_b32_e32 v109, 3, v109
	v_and_b32_e32 v240, 3, v241
	v_and_b32_e32 v123, 3, v123
	v_and_b32_e32 v187, 3, v187
	v_and_b32_e32 v129, 3, v129
	v_and_b32_e32 v133, 0xffff, v133
	v_add3_u32 v110, v110, v137, v112
	v_add3_u32 v77, v77, v239, v238
	;; [unrolled: 1-line block ×3, first 2 shown]
	v_mul_i32_i24_e32 v115, v115, v154
	v_mul_i32_i24_e32 v122, v122, v154
	v_add3_u32 v73, v108, v152, v73
	v_add3_u32 v107, v107, v158, v128
	v_mul_i32_i24_e32 v192, v192, v7
	v_lshrrev_b16 v233, 8, v170
	v_bfe_i32 v188, v172, 16, 8
	v_bfe_i32 v148, v172, 8, 8
	;; [unrolled: 1-line block ×3, first 2 shown]
	v_mul_i32_i24_e32 v219, v219, v7
	v_mul_i32_i24_e32 v240, v240, v7
	;; [unrolled: 1-line block ×3, first 2 shown]
	v_lshrrev_b32_e32 v187, 24, v174
	v_bfe_i32 v131, v174, 16, 8
	v_mul_i32_i24_e32 v109, v109, v102
	v_mul_i32_i24_e32 v123, v123, v102
	;; [unrolled: 1-line block ×3, first 2 shown]
	v_bfe_i32 v129, v174, 8, 8
	v_bfe_i32 v174, v174, 0, 8
	v_mul_i32_i24_e32 v234, v182, v234
	v_mul_i32_i24_e32 v160, v177, v160
	v_bfe_i32 v135, v205, 0, 8
	v_bfe_i32 v139, v205, 8, 8
	v_and_b32_e32 v105, 0xffff, v105
	v_add3_u32 v110, v110, v211, v212
	v_add3_u32 v77, v77, v237, v119
	v_mul_lo_u32 v75, v75, v133
	v_add3_u32 v76, v76, v136, v115
	v_add3_u32 v112, v72, v190, v191
	;; [unrolled: 1-line block ×4, first 2 shown]
	v_bfe_i32 v155, v170, 0, 8
	v_bfe_i32 v154, v170, 16, 8
	v_lshrrev_b32_e32 v170, 24, v170
	v_bfe_i32 v233, v233, 0, 8
	v_mul_i32_i24_e32 v172, v181, v172
	v_mul_i32_i24_e32 v174, v181, v174
	v_bfe_i32 v144, v205, 16, 8
	v_mul_i32_i24_e32 v125, v178, v142
	v_mul_i32_i24_e32 v135, v179, v135
	;; [unrolled: 1-line block ×3, first 2 shown]
	v_add3_u32 v142, v153, v234, v160
	v_mul_i32_i24_e32 v153, v178, v156
	v_and_b32_e32 v132, 0xffff, v132
	v_and_b32_e32 v134, 0xffff, v134
	v_add3_u32 v104, v110, v213, v113
	v_mul_lo_u32 v77, v77, v105
	v_and_b32_e32 v169, 0xffff, v169
	v_add3_u32 v106, v112, v192, v248
	v_add3_u32 v112, v115, v143, v232
	;; [unrolled: 1-line block ×3, first 2 shown]
	v_mul_i32_i24_e32 v163, v177, v163
	v_mul_i32_i24_e32 v188, v182, v188
	v_mul_i32_i24_e32 v131, v182, v131
	v_mul_i32_i24_e32 v187, v177, v187
	v_mul_i32_i24_e32 v199, v176, v233
	v_bfe_i32 v200, v207, 0, 8
	v_bfe_i32 v205, v207, 8, 8
	v_mad_i32_i24 v148, v176, v148, v172
	v_lshrrev_b32_e32 v172, 24, v208
	v_bfe_i32 v210, v208, 16, 8
	v_bfe_i32 v214, v208, 8, 8
	;; [unrolled: 1-line block ×3, first 2 shown]
	v_mad_i32_i24 v129, v176, v129, v174
	v_mul_i32_i24_e32 v126, v180, v144
	v_mul_i32_i24_e32 v144, v179, v196
	v_mul_i32_i24_e32 v145, v175, v193
	v_mul_i32_i24_e32 v150, v180, v168
	v_add3_u32 v117, v142, v135, v139
	v_mad_i32_i24 v120, v177, v170, v153
	v_mul_lo_u32 v74, v74, v132
	v_mul_lo_u32 v103, v104, v134
	v_and_b32_e32 v173, 0xffff, v173
	v_add3_u32 v76, v76, v217, v218
	v_add3_u32 v102, v112, v240, v123
	v_mad_u32 v7, v7, v169, v75
	v_bfe_i32 v207, v207, 16, 8
	v_mul_i32_i24_e32 v160, v179, v200
	v_mul_i32_i24_e32 v164, v175, v205
	v_add3_u32 v148, v148, v188, v163
	v_mul_i32_i24_e32 v168, v178, v172
	v_mul_i32_i24_e32 v172, v179, v208
	;; [unrolled: 1-line block ×3, first 2 shown]
	v_add3_u32 v129, v129, v131, v187
	v_mad_i32_i24 v121, v182, v154, v150
	v_mad_i32_i24 v127, v181, v155, v144
	v_add3_u32 v108, v117, v126, v125
	v_add3_u32 v111, v199, v145, v120
	v_and_b32_e32 v167, 0xffff, v167
	v_and_b32_e32 v171, 0xffff, v171
	v_add3_u32 v76, v76, v219, v109
	v_mad_u32 v77, v102, v173, v77
	v_mul_i32_i24_e32 v156, v178, v206
	v_mul_i32_i24_e32 v157, v180, v207
	;; [unrolled: 1-line block ×3, first 2 shown]
	v_add3_u32 v131, v148, v160, v164
	v_add3_u32 v129, v129, v172, v174
	v_cvt_f32_i32_e32 v72, v108
	v_add3_u32 v108, v127, v121, v111
	v_mad_u32 v102, v106, v167, v74
	v_mad_u32 v76, v76, v171, v103
	v_add3_u32 v114, v131, v157, v156
	v_add3_u32 v116, v129, v163, v168
	v_cvt_f32_i32_e32 v75, v108
	v_cvt_f32_i32_e32 v74, v7
	;; [unrolled: 1-line block ×5, first 2 shown]
	s_add_co_i32 s20, s1, 2
	v_pk_mul_f32 v[2:3], v[2:3], v[74:75]
	v_cvt_f32_i32_e32 v74, v102
	v_pk_mul_f32 v[4:5], v[4:5], v[72:73]
	v_mul_f32_e32 v72, v209, v111
	v_cvt_f32_i32_e32 v75, v76
	v_mul_f32_e32 v6, v6, v7
	v_dual_mov_b32 v7, v2 :: v_dual_mov_b32 v73, v3
	s_cmp_lt_u32 s1, 14
	s_delay_alu instid0(VALU_DEP_3) | instskip(SKIP_1) | instid1(VALU_DEP_2)
	v_pk_fma_f32 v[0:1], v[0:1], v[74:75], v[4:5] neg_lo:[0,0,1] neg_hi:[0,0,1]
	s_mov_b32 s1, s20
	v_pk_add_f32 v[2:3], v[6:7], v[72:73] neg_lo:[0,1] neg_hi:[0,1]
	s_delay_alu instid0(VALU_DEP_2) | instskip(NEXT) | instid1(VALU_DEP_2)
	v_pk_fma_f32 v[16:17], v[70:71], v[0:1], v[16:17] op_sel_hi:[0,1,1]
	v_pk_fma_f32 v[14:15], v[70:71], v[2:3], v[14:15] op_sel_hi:[0,1,1]
	s_cbranch_scc1 .LBB188_19
; %bb.20:                               ;   in Loop: Header=BB188_5 Depth=1
	s_or_b32 s1, s18, 0x100
	s_delay_alu instid0(SALU_CYCLE_1)
	s_cmp_ge_i32 s1, s5
	s_barrier_signal -1
	s_barrier_wait -1
	s_cbranch_scc1 .LBB188_4
; %bb.21:                               ;   in Loop: Header=BB188_5 Depth=1
	v_add_nc_u32_e32 v0, s19, v87
	s_delay_alu instid0(VALU_DEP_1) | instskip(SKIP_1) | instid1(SALU_CYCLE_1)
	v_cmp_gt_i32_e64 s1, s6, v0
	s_and_b32 s20, s0, s1
	s_and_saveexec_b32 s1, s20
	s_cbranch_execz .LBB188_23
; %bb.22:                               ;   in Loop: Header=BB188_5 Depth=1
	v_add_nc_u32_e32 v0, v18, v0
	s_delay_alu instid0(VALU_DEP_1)
	v_mad_nc_i64_i32 v[0:1], v0, 36, v[20:21]
	global_load_b32 v0, v[0:1], off offset:4
	s_wait_loadcnt 0x0
	ds_store_b32 v67, v0
.LBB188_23:                             ;   in Loop: Header=BB188_5 Depth=1
	s_or_b32 exec_lo, exec_lo, s1
	s_and_saveexec_b32 s20, vcc_lo
	s_cbranch_execz .LBB188_26
; %bb.24:                               ;   in Loop: Header=BB188_5 Depth=1
	v_or_b32_e32 v0, 8, v68
	s_delay_alu instid0(VALU_DEP_1) | instskip(SKIP_1) | instid1(SALU_CYCLE_1)
	v_cmp_gt_i32_e64 s1, s6, v0
	s_and_b32 s1, s0, s1
	s_and_b32 exec_lo, exec_lo, s1
	s_cbranch_execz .LBB188_26
; %bb.25:                               ;   in Loop: Header=BB188_5 Depth=1
	v_ashrrev_i32_e32 v69, 31, v68
	s_delay_alu instid0(VALU_DEP_1) | instskip(NEXT) | instid1(VALU_DEP_1)
	v_add_nc_u64_e32 v[0:1], v[18:19], v[68:69]
	v_mad_nc_u64_u32 v[2:3], v0, 36, s[2:3]
	s_delay_alu instid0(VALU_DEP_1)
	v_mad_i32_i24 v3, v1, 36, v3
	global_load_b32 v0, v[2:3], off offset:288
	s_wait_loadcnt 0x0
	v_cvt_f32_f16_e32 v0, v0
	ds_store_b32 v85, v0
.LBB188_26:                             ;   in Loop: Header=BB188_5 Depth=1
	s_or_b32 exec_lo, exec_lo, s20
	v_dual_mov_b32 v1, v61 :: v_dual_mov_b32 v69, v78
	s_mov_b32 s1, 16
	s_wait_dscnt 0x0
	s_barrier_signal -1
	s_barrier_wait -1
.LBB188_27:                             ;   Parent Loop BB188_5 Depth=1
                                        ; =>  This Inner Loop Header: Depth=2
	s_and_b32 s22, s1, 0x3ffffff8
	s_add_co_i32 s20, s1, -16
	v_lshl_add_u32 v72, s22, 2, v89
	s_lshr_b32 s22, s1, 2
	s_and_b32 s21, s1, -16
	s_and_b32 s22, s22, 0x3ffffffc
	s_add_co_i32 s21, s1, s21
	ds_load_2addr_b32 v[2:3], v72 offset1:1
	s_addk_co_i32 s22, 0x5280
	ds_load_2addr_b32 v[6:7], v72 offset0:2 offset1:3
	ds_load_b32 v0, v69
	v_add_nc_u32_e32 v146, 0x2118, v72
	v_add_nc_u32_e32 v166, 0x3188, v72
	v_add_nc_u32_e32 v167, 0x3198, v72
	v_add_nc_u32_e32 v129, s21, v49
	s_wait_dscnt 0x2
	v_dual_add_nc_u32 v69, 4, v69 :: v_dual_ashrrev_i32 v103, s20, v2
	v_ashrrev_i32_e32 v4, s20, v3
	ds_load_2addr_b32 v[2:3], v72 offset0:4 offset1:7
	v_dual_add_nc_u32 v109, s21, v47 :: v_dual_lshrrev_b32 v114, 24, v4
	v_and_b32_e32 v111, 3, v4
	v_bfe_u32 v112, v4, 8, 2
	v_bfe_u32 v113, v4, 16, 2
	s_wait_dscnt 0x0
	v_dual_ashrrev_i32 v2, s20, v2 :: v_dual_ashrrev_i32 v108, s20, v3
	v_add3_u32 v3, s22, v101, v90
	s_delay_alu instid0(VALU_DEP_2)
	v_dual_lshrrev_b32 v121, 24, v2 :: v_dual_bitop2_b32 v118, 3, v2 bitop3:0x40
	v_bfe_u32 v119, v2, 8, 2
	v_bfe_u32 v120, v2, 16, 2
	v_add_nc_u32_e32 v2, 0x1080, v72
	ds_load_b32 v110, v3
	v_dual_lshrrev_b32 v124, 16, v108 :: v_dual_bitop2_b32 v122, 3, v108 bitop3:0x40
	v_bfe_u32 v123, v108, 8, 2
	ds_load_2addr_b32 v[2:3], v2 offset1:1
	s_wait_dscnt 0x0
	v_dual_ashrrev_i32 v125, s20, v2 :: v_dual_bitop2_b32 v124, 3, v124 bitop3:0x40
	v_ashrrev_i32_e32 v4, s20, v3
	v_add_nc_u32_e32 v2, 0x1088, v72
	s_delay_alu instid0(VALU_DEP_2)
	v_dual_lshrrev_b32 v134, 24, v4 :: v_dual_bitop2_b32 v131, 3, v4 bitop3:0x40
	ds_load_2addr_b32 v[70:71], v2 offset1:1
	v_add_nc_u32_e32 v2, 0x1000, v72
	v_bfe_u32 v132, v4, 8, 2
	v_bfe_u32 v133, v4, 16, 2
	ds_load_2addr_b32 v[2:3], v2 offset0:36 offset1:39
	s_wait_dscnt 0x1
	v_ashrrev_i32_e32 v126, s20, v71
	v_add3_u32 v71, s22, v93, v94
	ds_load_b32 v71, v71
	s_wait_dscnt 0x1
	v_dual_ashrrev_i32 v7, s20, v7 :: v_dual_ashrrev_i32 v2, s20, v2
	v_ashrrev_i32_e32 v128, s20, v3
	v_add3_u32 v3, s22, v91, v92
	v_dual_lshrrev_b32 v137, 16, v126 :: v_dual_bitop2_b32 v135, 3, v126 bitop3:0x40
	s_delay_alu instid0(VALU_DEP_4)
	v_dual_lshrrev_b32 v141, 24, v2 :: v_dual_bitop2_b32 v138, 3, v2 bitop3:0x40
	v_bfe_u32 v139, v2, 8, 2
	v_bfe_u32 v140, v2, 16, 2
	v_add_nc_u32_e32 v2, 0x2100, v72
	ds_load_b32 v130, v3
	v_dual_lshrrev_b32 v117, 16, v7 :: v_dual_bitop2_b32 v115, 3, v7 bitop3:0x40
	v_bfe_u32 v116, v7, 8, 2
	ds_load_2addr_b32 v[2:3], v2 offset1:1
	v_lshrrev_b32_e32 v7, 24, v7
	v_bfe_u32 v136, v126, 8, 2
	v_dual_lshrrev_b32 v144, 16, v128 :: v_dual_bitop2_b32 v142, 3, v128 bitop3:0x40
	s_wait_dscnt 0x2
	v_cvt_f32_f16_e64 v164, v71
	v_add_nc_u32_e32 v127, 0x1094, v72
	v_bfe_u32 v143, v128, 8, 2
	s_wait_dscnt 0x0
	v_dual_ashrrev_i32 v4, s20, v2 :: v_dual_ashrrev_i32 v5, s20, v3
	v_add_nc_u32_e32 v2, 0x2110, v72
	s_delay_alu instid0(VALU_DEP_2) | instskip(NEXT) | instid1(VALU_DEP_3)
	v_dual_add_nc_u32 v147, s21, v51 :: v_dual_bitop2_b32 v148, 3, v4 bitop3:0x40
	v_and_b32_e32 v152, 3, v5
	ds_load_2addr_b32 v[2:3], v2 offset1:1
	v_bfe_u32 v149, v4, 8, 2
	v_bfe_u32 v150, v4, 16, 2
	;; [unrolled: 1-line block ×6, first 2 shown]
	s_wait_dscnt 0x0
	v_dual_ashrrev_i32 v2, s20, v2 :: v_dual_ashrrev_i32 v3, s20, v3
	s_delay_alu instid0(VALU_DEP_1)
	v_and_b32_e32 v156, 3, v2
	v_bfe_u32 v157, v2, 8, 2
	v_bfe_u32 v158, v2, 16, 2
	;; [unrolled: 1-line block ×3, first 2 shown]
	v_lshrrev_b32_e32 v2, 16, v71
	v_and_b32_e32 v160, 3, v3
	v_bfe_u32 v161, v3, 8, 2
	v_bfe_u32 v162, v3, 16, 2
	;; [unrolled: 1-line block ×3, first 2 shown]
	v_cvt_f32_f16_e64 v165, v2
	v_add_nc_u32_e32 v2, 0x3180, v72
	v_add3_u32 v71, s22, v95, v96
	v_add_nc_u32_e32 v145, 0x2108, v72
	ds_load_2addr_b32 v[2:3], v2 offset1:1
	ds_load_b32 v71, v71
	s_wait_dscnt 0x1
	v_ashrrev_i32_e32 v4, s20, v2
	v_add_nc_u32_e32 v2, 0x3190, v72
	v_dual_ashrrev_i32 v5, s20, v3 :: v_dual_add_nc_u32 v168, s21, v53
	s_delay_alu instid0(VALU_DEP_3)
	v_and_b32_e32 v169, 3, v4
	ds_load_2addr_b32 v[2:3], v2 offset1:1
	v_bfe_u32 v75, v4, 8, 2
	v_bfe_u32 v74, v4, 16, 2
	;; [unrolled: 1-line block ×3, first 2 shown]
	v_and_b32_e32 v170, 3, v5
	v_bfe_u32 v171, v5, 8, 2
	v_bfe_u32 v172, v5, 16, 2
	;; [unrolled: 1-line block ×3, first 2 shown]
	s_wait_dscnt 0x0
	v_dual_ashrrev_i32 v2, s20, v2 :: v_dual_ashrrev_i32 v3, s20, v3
	s_delay_alu instid0(VALU_DEP_1)
	v_and_b32_e32 v174, 3, v2
	v_bfe_u32 v175, v2, 8, 2
	v_bfe_u32 v176, v2, 16, 2
	;; [unrolled: 1-line block ×3, first 2 shown]
	v_and_b32_e32 v178, 3, v3
	v_bfe_u32 v179, v3, 8, 2
	v_bfe_u32 v77, v3, 16, 2
	;; [unrolled: 1-line block ×3, first 2 shown]
	ds_load_b128 v[2:5], v1
	ds_load_b128 v[104:107], v1 offset:16
	s_wait_dscnt 0x1
	v_ashrrev_i32_e32 v102, 24, v2
	v_bfe_i32 v185, v2, 0, 8
	v_bfe_i32 v186, v2, 16, 8
	;; [unrolled: 1-line block ×3, first 2 shown]
	v_lshrrev_b16 v2, 8, v4
	s_wait_dscnt 0x0
	v_lshrrev_b16 v180, 8, v104
	v_ashrrev_i32_e32 v181, 24, v104
	v_bfe_i32 v183, v104, 0, 8
	v_bfe_i32 v184, v104, 16, 8
	v_lshrrev_b16 v104, 8, v105
	v_dual_ashrrev_i32 v187, 24, v3 :: v_dual_ashrrev_i32 v189, 24, v105
	v_ashrrev_i32_e32 v195, 24, v106
	v_bfe_i32 v197, v2, 0, 8
	v_lshrrev_b16 v2, 8, v5
	v_bfe_i32 v180, v180, 0, 8
	v_bfe_i32 v182, v3, 8, 8
	;; [unrolled: 1-line block ×4, first 2 shown]
	v_dual_ashrrev_i32 v196, 24, v4 :: v_dual_ashrrev_i32 v203, 24, v107
	v_bfe_i32 v198, v4, 16, 8
	v_bfe_i32 v199, v4, 0, 8
	v_ashrrev_i32_e32 v204, 24, v5
	v_bfe_i32 v205, v2, 0, 8
	v_dual_add_nc_u32 v2, v189, v181 :: v_dual_add_nc_u32 v4, v187, v102
	v_bfe_i32 v193, v3, 0, 8
	v_bfe_i32 v202, v106, 8, 8
	;; [unrolled: 1-line block ×7, first 2 shown]
	v_dual_add_nc_u32 v3, v188, v180 :: v_dual_add_nc_u32 v5, v194, v186
	v_dual_add_nc_u32 v104, v193, v185 :: v_dual_add_nc_u32 v107, v190, v182
	v_add3_u32 v212, v4, v196, v204
	v_ashrrev_i32_e32 v4, s20, v6
	v_bfe_i32 v191, v105, 0, 8
	v_bfe_i32 v192, v105, 16, 8
	v_add3_u32 v213, v3, v202, v210
	v_add3_u32 v214, v2, v195, v203
	;; [unrolled: 1-line block ×3, first 2 shown]
	v_mul_i32_i24_e32 v2, v111, v193
	v_mul_i32_i24_e32 v3, v131, v193
	v_dual_ashrrev_i32 v5, s20, v70 :: v_dual_bitop2_b32 v6, 3, v125 bitop3:0x40
	v_add3_u32 v211, v107, v197, v205
	v_mul_i32_i24_e32 v107, v135, v207
	v_and_b32_e32 v70, 3, v103
	v_dual_lshrrev_b32 v219, 8, v4 :: v_dual_bitop2_b32 v131, 3, v134 bitop3:0x40
	v_and_b32_e32 v135, 3, v4
	v_dual_lshrrev_b32 v220, 8, v5 :: v_dual_bitop2_b32 v114, 3, v114 bitop3:0x40
	v_bfe_i32 v200, v106, 16, 8
	v_bfe_i32 v201, v106, 0, 8
	v_dual_add_nc_u32 v105, v192, v184 :: v_dual_add_nc_u32 v106, v191, v183
	v_dual_lshrrev_b32 v221, 16, v4 :: v_dual_bitop2_b32 v134, 3, v5 bitop3:0x40
	v_mul_i32_i24_e32 v113, v113, v194
	v_mul_i32_i24_e32 v133, v133, v194
	;; [unrolled: 1-line block ×4, first 2 shown]
	v_mad_i32_i24 v3, v132, v182, v3
	v_mad_i32_i24 v2, v112, v182, v2
	v_add3_u32 v215, v106, v201, v209
	v_add3_u32 v216, v105, v200, v208
	;; [unrolled: 1-line block ×3, first 2 shown]
	v_mul_i32_i24_e32 v104, v115, v207
	v_mul_i32_i24_e32 v105, v119, v180
	;; [unrolled: 1-line block ×3, first 2 shown]
	v_bfe_u32 v111, v125, 8, 2
	v_bfe_u32 v115, v103, 8, 2
	;; [unrolled: 1-line block ×6, first 2 shown]
	v_dual_lshrrev_b32 v222, 16, v5 :: v_dual_bitop2_b32 v220, 3, v220 bitop3:0x40
	v_mul_i32_i24_e32 v70, v185, v70
	v_mul_i32_i24_e32 v6, v185, v6
	;; [unrolled: 1-line block ×4, first 2 shown]
	v_add3_u32 v2, v2, v113, v114
	v_add3_u32 v3, v3, v133, v131
	v_dual_lshrrev_b32 v4, 24, v4 :: v_dual_bitop2_b32 v219, 3, v219 bitop3:0x40
	v_dual_lshrrev_b32 v5, 24, v5 :: v_dual_bitop2_b32 v222, 3, v222 bitop3:0x40
	v_mul_i32_i24_e32 v115, v190, v115
	v_mul_i32_i24_e32 v111, v190, v111
	;; [unrolled: 1-line block ×4, first 2 shown]
	v_add3_u32 v3, v3, v134, v6
	v_add3_u32 v2, v2, v135, v70
	v_and_b32_e32 v221, 3, v221
	v_and_b32_e32 v5, 3, v5
	;; [unrolled: 1-line block ×3, first 2 shown]
	v_mul_i32_i24_e32 v122, v102, v122
	v_mul_i32_i24_e32 v119, v102, v119
	;; [unrolled: 1-line block ×4, first 2 shown]
	v_add3_u32 v2, v2, v115, v103
	v_add3_u32 v3, v3, v111, v125
	v_mul_i32_i24_e32 v221, v221, v198
	v_mul_i32_i24_e32 v222, v222, v198
	;; [unrolled: 1-line block ×4, first 2 shown]
	v_add3_u32 v3, v3, v119, v220
	v_add3_u32 v2, v2, v122, v219
	v_mul_i32_i24_e32 v6, v138, v183
	v_mul_i32_i24_e32 v120, v120, v184
	;; [unrolled: 1-line block ×3, first 2 shown]
	v_add3_u32 v103, v3, v222, v5
	v_add3_u32 v70, v2, v221, v4
	ds_load_2addr_b32 v[2:3], v72 offset0:5 offset1:6
	ds_load_2addr_b32 v[4:5], v127 offset1:1
	v_mad_i32_i24 v105, v118, v183, v105
	v_mad_i32_i24 v6, v139, v180, v6
	v_mul_i32_i24_e32 v111, v142, v209
	v_mul_i32_i24_e32 v75, v75, v190
	;; [unrolled: 1-line block ×6, first 2 shown]
	s_wait_dscnt 0x0
	v_dual_ashrrev_i32 v2, s20, v2 :: v_dual_ashrrev_i32 v4, s20, v4
	v_and_b32_e32 v112, 3, v121
	v_dual_ashrrev_i32 v3, s20, v3 :: v_dual_bitop2_b32 v72, 3, v141 bitop3:0x40
	s_delay_alu instid0(VALU_DEP_3) | instskip(SKIP_3) | instid1(VALU_DEP_4)
	v_dual_lshrrev_b32 v115, 8, v2 :: v_dual_lshrrev_b32 v119, 8, v4
	v_dual_lshrrev_b32 v122, 16, v4 :: v_dual_ashrrev_i32 v5, s20, v5
	v_and_b32_e32 v113, 3, v4
	v_dual_lshrrev_b32 v121, 16, v2 :: v_dual_bitop2_b32 v114, 3, v2 bitop3:0x40
	v_and_b32_e32 v119, 3, v119
	v_dual_lshrrev_b32 v2, 24, v2 :: v_dual_bitop2_b32 v115, 3, v115 bitop3:0x40
	v_dual_lshrrev_b32 v4, 24, v4 :: v_dual_bitop2_b32 v122, 3, v122 bitop3:0x40
	v_mul_i32_i24_e32 v112, v112, v181
	v_mul_i32_i24_e32 v72, v72, v181
	v_dual_lshrrev_b32 v131, 8, v3 :: v_dual_bitop2_b32 v121, 3, v121 bitop3:0x40
	s_delay_alu instid0(VALU_DEP_4) | instskip(SKIP_1) | instid1(VALU_DEP_4)
	v_dual_lshrrev_b32 v132, 8, v5 :: v_dual_bitop2_b32 v4, 3, v4 bitop3:0x40
	v_dual_lshrrev_b32 v133, 16, v3 :: v_dual_bitop2_b32 v2, 3, v2 bitop3:0x40
	v_add3_u32 v6, v6, v135, v72
	v_add3_u32 v72, v105, v120, v112
	v_mul_i32_i24_e32 v105, v114, v191
	v_mul_i32_i24_e32 v112, v113, v191
	;; [unrolled: 1-line block ×4, first 2 shown]
	v_dual_lshrrev_b32 v134, 16, v5 :: v_dual_bitop2_b32 v125, 3, v5 bitop3:0x40
	v_dual_lshrrev_b32 v3, 24, v3 :: v_dual_bitop2_b32 v127, 3, v3 bitop3:0x40
	;; [unrolled: 1-line block ×3, first 2 shown]
	v_and_b32_e32 v131, 3, v131
	v_mul_i32_i24_e32 v115, v121, v192
	v_mul_i32_i24_e32 v118, v122, v192
	;; [unrolled: 1-line block ×4, first 2 shown]
	v_add3_u32 v72, v72, v105, v113
	v_add3_u32 v6, v6, v112, v114
	v_and_b32_e32 v134, 3, v134
	v_and_b32_e32 v133, 3, v133
	;; [unrolled: 1-line block ×4, first 2 shown]
	v_mul_i32_i24_e32 v119, v127, v201
	v_mul_i32_i24_e32 v120, v125, v201
	;; [unrolled: 1-line block ×4, first 2 shown]
	v_add3_u32 v4, v6, v118, v4
	v_add3_u32 v2, v72, v115, v2
	v_mul_i32_i24_e32 v125, v133, v200
	v_mul_i32_i24_e32 v127, v134, v200
	;; [unrolled: 1-line block ×3, first 2 shown]
	v_add3_u32 v4, v4, v120, v122
	v_add3_u32 v2, v2, v119, v121
	v_lshrrev_b32_e32 v121, 24, v126
	v_mul_i32_i24_e32 v3, v3, v195
	ds_load_u16 v6, v129 offset:17904
	v_add3_u32 v4, v4, v127, v5
	v_and_b32_e32 v135, 3, v144
	v_and_b32_e32 v121, 3, v121
	v_add3_u32 v5, v2, v125, v3
	ds_load_u16 v2, v109 offset:16880
	s_wait_dscnt 0x1
	v_lshrrev_b16 v72, 8, v6
	v_bfe_u32 v114, v6, 4, 4
	v_and_b32_e32 v6, 15, v6
	s_wait_dscnt 0x0
	v_lshrrev_b16 v3, 8, v2
	v_bfe_u32 v105, v2, 4, 4
	v_and_b32_e32 v112, 0xffff, v72
	v_and_b32_e32 v2, 15, v2
	;; [unrolled: 1-line block ×4, first 2 shown]
	v_lshrrev_b32_e32 v6, 24, v108
	v_mul_lo_u32 v105, 0x1010101, v105
	v_and_b32_e32 v125, 0xffff, v2
	v_lshrrev_b32_e32 v2, 4, v112
	v_and_b32_e32 v113, 0xffff, v3
	v_mul_lo_u32 v114, 0x1010101, v114
	v_mul_i32_i24_e32 v120, v120, v206
	s_delay_alu instid0(VALU_DEP_4) | instskip(SKIP_4) | instid1(VALU_DEP_3)
	v_mul_lo_u32 v2, 0x1010101, v2
	v_and_b32_e32 v117, 3, v117
	v_lshrrev_b32_e32 v113, 4, v113
	v_bfe_i32 v109, v105, 16, 8
	v_lshrrev_b32_e32 v119, 24, v105
	v_mul_lo_u32 v113, 0x1010101, v113
	v_dual_lshrrev_b32 v118, 24, v114 :: v_dual_bitop2_b32 v122, 3, v7 bitop3:0x40
	v_bfe_i32 v115, v114, 16, 8
	v_bfe_i32 v112, v2, 0, 8
	;; [unrolled: 1-line block ×3, first 2 shown]
	v_lshrrev_b32_e32 v132, 24, v2
	v_bfe_i32 v134, v2, 16, 8
	v_dual_lshrrev_b32 v2, 24, v128 :: v_dual_bitop2_b32 v128, 3, v6 bitop3:0x40
	v_dual_lshrrev_b32 v6, 16, v130 :: v_dual_lshrrev_b32 v133, 24, v113
	v_mul_i32_i24_e32 v117, v117, v206
	s_delay_alu instid0(VALU_DEP_3) | instskip(SKIP_1) | instid1(VALU_DEP_4)
	v_and_b32_e32 v108, 3, v2
	v_and_b32_e32 v2, 15, v3
	v_cvt_f32_f16_e32 v7, v6
	v_mul_i32_i24_e32 v122, v122, v204
	v_mul_i32_i24_e32 v121, v121, v204
	;; [unrolled: 1-line block ×3, first 2 shown]
	v_and_b32_e32 v137, 0xffff, v2
	v_cvt_f32_f16_e32 v2, v110
	v_lshrrev_b32_e32 v110, 16, v110
	v_bfe_i32 v127, v113, 0, 8
	v_bfe_i32 v131, v113, 8, 8
	;; [unrolled: 1-line block ×3, first 2 shown]
	v_mul_i32_i24_e32 v109, v218, v109
	v_cvt_f32_f16_e32 v6, v110
	v_bfe_i32 v110, v105, 8, 8
	v_bfe_i32 v105, v105, 0, 8
	v_mul_i32_i24_e32 v115, v218, v115
	v_and_b32_e32 v3, 15, v72
	s_delay_alu instid0(VALU_DEP_3) | instskip(NEXT) | instid1(VALU_DEP_2)
	v_mul_i32_i24_e32 v105, v217, v105
	v_and_b32_e32 v72, 0xffff, v3
	v_cvt_f32_f16_e64 v3, v130
	v_mul_i32_i24_e32 v130, v151, v102
	s_delay_alu instid0(VALU_DEP_4) | instskip(SKIP_2) | instid1(VALU_DEP_2)
	v_mad_i32_i24 v105, v211, v110, v105
	v_mul_i32_i24_e32 v110, v116, v205
	v_mul_i32_i24_e32 v116, v136, v205
	v_add3_u32 v70, v70, v104, v110
	v_mul_i32_i24_e32 v104, v123, v210
	v_mul_i32_i24_e32 v110, v124, v208
	s_delay_alu instid0(VALU_DEP_4)
	v_add3_u32 v103, v103, v107, v116
	v_mul_i32_i24_e32 v107, v143, v210
	v_add3_u32 v70, v70, v117, v122
	v_mul_i32_i24_e32 v117, v128, v203
	;; [unrolled: 2-line block ×3, first 2 shown]
	v_add3_u32 v4, v4, v111, v107
	v_add3_u32 v103, v103, v120, v121
	v_mul_i32_i24_e32 v107, v216, v113
	v_add3_u32 v5, v5, v110, v117
	v_mul_i32_i24_e32 v117, v212, v118
	v_bfe_i32 v118, v114, 8, 8
	v_bfe_i32 v114, v114, 0, 8
	v_add3_u32 v4, v4, v116, v108
	v_mul_i32_i24_e32 v116, v212, v119
	v_mul_i32_i24_e32 v110, v215, v127
	;; [unrolled: 1-line block ×6, first 2 shown]
	v_add3_u32 v105, v105, v109, v116
	v_mul_lo_u32 v103, v103, v126
	v_mad_i32_i24 v114, v211, v118, v114
	v_mul_i32_i24_e32 v104, v214, v133
	v_mul_i32_i24_e32 v106, v214, v132
	;; [unrolled: 1-line block ×3, first 2 shown]
	v_add3_u32 v105, v105, v110, v112
	v_add3_u32 v109, v114, v115, v117
	v_mul_lo_u32 v70, v70, v125
	v_mul_i32_i24_e32 v126, v149, v190
	v_mul_i32_i24_e32 v128, v150, v186
	v_add3_u32 v104, v105, v107, v104
	v_add3_u32 v109, v109, v111, v113
	v_mad_u32 v4, v4, v72, v103
	v_mul_i32_i24_e32 v72, v152, v193
	v_mul_i32_i24_e32 v103, v154, v194
	v_cvt_f32_i32_e32 v104, v104
	v_add3_u32 v105, v109, v108, v106
	v_mul_i32_i24_e32 v108, v160, v191
	v_mad_i32_i24 v72, v153, v182, v72
	v_mad_u32 v70, v5, v137, v70
	v_mul_i32_i24_e32 v109, v161, v188
	v_cvt_f32_i32_e32 v105, v105
	v_mul_i32_i24_e32 v127, v162, v192
	v_cvt_f32_i32_e32 v5, v4
	v_mul_i32_i24_e32 v129, v163, v189
	s_delay_alu instid0(VALU_DEP_4) | instskip(SKIP_4) | instid1(VALU_DEP_4)
	v_pk_mul_f32 v[6:7], v[6:7], v[104:105]
	v_mul_i32_i24_e32 v104, v155, v187
	v_mul_i32_i24_e32 v105, v159, v181
	v_cvt_f32_i32_e32 v4, v70
	v_mul_i32_i24_e32 v70, v185, v148
	v_add3_u32 v72, v72, v103, v104
	v_mul_i32_i24_e32 v103, v156, v183
	v_mul_i32_i24_e32 v104, v158, v184
	v_pk_fma_f32 v[2:3], v[2:3], v[4:5], v[6:7] neg_lo:[0,0,1] neg_hi:[0,0,1]
	s_delay_alu instid0(VALU_DEP_3) | instskip(NEXT) | instid1(VALU_DEP_2)
	v_mad_i32_i24 v103, v157, v180, v103
	v_pk_fma_f32 v[16:17], v[0:1], v[2:3], v[16:17] op_sel_hi:[0,1,1]
	s_delay_alu instid0(VALU_DEP_2)
	v_add3_u32 v103, v103, v104, v105
	ds_load_2addr_b32 v[104:105], v145 offset1:1
	ds_load_2addr_b32 v[106:107], v146 offset1:1
	ds_load_u16 v110, v147 offset:18928
	s_wait_dscnt 0x1
	v_dual_ashrrev_i32 v104, s20, v104 :: v_dual_ashrrev_i32 v106, s20, v106
	s_wait_dscnt 0x0
	v_lshrrev_b16 v111, 8, v110
	v_dual_ashrrev_i32 v105, s20, v105 :: v_dual_ashrrev_i32 v107, s20, v107
	s_delay_alu instid0(VALU_DEP_3) | instskip(SKIP_1) | instid1(VALU_DEP_4)
	v_dual_lshrrev_b32 v117, 8, v104 :: v_dual_bitop2_b32 v114, 3, v104 bitop3:0x40
	v_dual_lshrrev_b32 v116, 8, v106 :: v_dual_lshrrev_b32 v118, 16, v106
	v_and_b32_e32 v112, 0xffff, v111
	s_delay_alu instid0(VALU_DEP_3) | instskip(NEXT) | instid1(VALU_DEP_4)
	v_mul_i32_i24_e32 v114, v114, v199
	v_dual_lshrrev_b32 v119, 16, v104 :: v_dual_bitop2_b32 v117, 3, v117 bitop3:0x40
	s_delay_alu instid0(VALU_DEP_4) | instskip(SKIP_1) | instid1(VALU_DEP_4)
	v_and_b32_e32 v116, 3, v116
	v_dual_lshrrev_b32 v104, 24, v104 :: v_dual_bitop2_b32 v118, 3, v118 bitop3:0x40
	v_add3_u32 v70, v72, v114, v70
	v_dual_lshrrev_b32 v112, 4, v112 :: v_dual_bitop2_b32 v115, 3, v106 bitop3:0x40
	v_dual_lshrrev_b32 v106, 24, v106 :: v_dual_bitop2_b32 v119, 3, v119 bitop3:0x40
	s_delay_alu instid0(VALU_DEP_4)
	v_dual_lshrrev_b32 v123, 8, v105 :: v_dual_bitop2_b32 v104, 3, v104 bitop3:0x40
	v_mul_i32_i24_e32 v117, v117, v197
	v_add3_u32 v72, v103, v108, v109
	v_add3_u32 v70, v70, v126, v128
	v_bfe_u32 v113, v110, 4, 4
	v_mul_lo_u32 v112, 0x1010101, v112
	v_dual_lshrrev_b32 v122, 8, v107 :: v_dual_bitop2_b32 v106, 3, v106 bitop3:0x40
	v_dual_lshrrev_b32 v125, 16, v105 :: v_dual_bitop2_b32 v121, 3, v105 bitop3:0x40
	;; [unrolled: 1-line block ×3, first 2 shown]
	v_mul_i32_i24_e32 v115, v115, v201
	v_mul_i32_i24_e32 v116, v116, v202
	;; [unrolled: 1-line block ×4, first 2 shown]
	v_add3_u32 v72, v72, v127, v129
	v_add3_u32 v70, v70, v130, v117
	v_mul_lo_u32 v113, 0x1010101, v113
	v_dual_lshrrev_b32 v124, 16, v107 :: v_dual_bitop2_b32 v120, 3, v107 bitop3:0x40
	v_dual_lshrrev_b32 v107, 24, v107 :: v_dual_bitop2_b32 v122, 3, v122 bitop3:0x40
	;; [unrolled: 1-line block ×3, first 2 shown]
	v_and_b32_e32 v105, 3, v105
	v_mul_i32_i24_e32 v118, v118, v200
	v_mul_i32_i24_e32 v106, v106, v195
	;; [unrolled: 1-line block ×4, first 2 shown]
	v_add3_u32 v72, v72, v115, v116
	v_add3_u32 v70, v70, v119, v104
	v_and_b32_e32 v124, 3, v124
	v_and_b32_e32 v107, 3, v107
	v_mul_i32_i24_e32 v120, v120, v209
	v_mul_i32_i24_e32 v122, v122, v210
	v_mul_i32_i24_e32 v125, v125, v206
	v_mul_i32_i24_e32 v105, v105, v204
	v_add3_u32 v72, v72, v118, v106
	v_add3_u32 v70, v70, v121, v123
	v_mul_i32_i24_e32 v124, v124, v208
	v_mul_i32_i24_e32 v107, v107, v203
	v_bfe_i32 v104, v112, 16, 8
	v_add3_u32 v72, v72, v120, v122
	v_add3_u32 v70, v70, v125, v105
	v_bfe_i32 v105, v112, 8, 8
	v_bfe_i32 v106, v112, 0, 8
	;; [unrolled: 1-line block ×3, first 2 shown]
	v_add3_u32 v72, v72, v124, v107
	v_lshrrev_b32_e32 v107, 24, v113
	v_bfe_i32 v108, v113, 16, 8
	v_bfe_i32 v109, v113, 8, 8
	v_mul_i32_i24_e32 v112, v217, v112
	v_mul_i32_i24_e32 v106, v215, v106
	;; [unrolled: 1-line block ×5, first 2 shown]
	v_mad_i32_i24 v109, v211, v109, v112
	v_mul_i32_i24_e32 v104, v216, v104
	v_mul_i32_i24_e32 v103, v214, v103
	s_delay_alu instid0(VALU_DEP_3) | instskip(NEXT) | instid1(VALU_DEP_1)
	v_add3_u32 v107, v109, v108, v107
	v_add3_u32 v105, v107, v106, v105
	v_mul_i32_i24_e32 v106, v173, v187
	s_delay_alu instid0(VALU_DEP_2) | instskip(SKIP_2) | instid1(VALU_DEP_2)
	v_add3_u32 v103, v105, v104, v103
	v_mul_i32_i24_e32 v104, v170, v193
	v_mul_i32_i24_e32 v105, v172, v194
	v_mad_i32_i24 v104, v171, v182, v104
	s_delay_alu instid0(VALU_DEP_1) | instskip(SKIP_3) | instid1(VALU_DEP_3)
	v_add3_u32 v108, v104, v105, v106
	v_mul_i32_i24_e32 v104, v174, v183
	v_mul_i32_i24_e32 v105, v176, v184
	;; [unrolled: 1-line block ×3, first 2 shown]
	v_mad_i32_i24 v104, v175, v180, v104
	s_delay_alu instid0(VALU_DEP_1)
	v_add3_u32 v109, v104, v105, v106
	ds_load_2addr_b32 v[104:105], v166 offset1:1
	ds_load_2addr_b32 v[106:107], v167 offset1:1
	ds_load_u16 v112, v168 offset:19952
	v_and_b32_e32 v110, 15, v110
	s_wait_dscnt 0x2
	v_dual_ashrrev_i32 v105, s20, v105 :: v_dual_bitop2_b32 v111, 15, v111 bitop3:0x40
	v_ashrrev_i32_e32 v104, s20, v104
	s_wait_dscnt 0x0
	v_lshrrev_b16 v113, 8, v112
	v_ashrrev_i32_e32 v107, s20, v107
	v_and_b32_e32 v110, 0xffff, v110
	v_ashrrev_i32_e32 v106, s20, v106
	v_bfe_u32 v115, v112, 4, 4
	v_and_b32_e32 v114, 0xffff, v113
	v_and_b32_e32 v116, 3, v104
	v_mul_lo_u32 v70, v70, v110
	v_dual_lshrrev_b32 v118, 8, v106 :: v_dual_bitop2_b32 v117, 3, v106 bitop3:0x40
	s_delay_alu instid0(VALU_DEP_4) | instskip(SKIP_2) | instid1(VALU_DEP_4)
	v_dual_lshrrev_b32 v114, 4, v114 :: v_dual_lshrrev_b32 v119, 8, v104
	v_mul_lo_u32 v115, 0x1010101, v115
	v_and_b32_e32 v111, 0xffff, v111
	v_and_b32_e32 v118, 3, v118
	s_delay_alu instid0(VALU_DEP_4)
	v_mul_lo_u32 v114, 0x1010101, v114
	v_dual_lshrrev_b32 v120, 16, v106 :: v_dual_bitop2_b32 v119, 3, v119 bitop3:0x40
	v_dual_lshrrev_b32 v121, 16, v104 :: v_dual_lshrrev_b32 v106, 24, v106
	v_mad_u32 v70, v72, v111, v70
	v_cvt_f32_i32_e32 v72, v103
	v_mul_i32_i24_e32 v103, v185, v169
	v_mul_i32_i24_e32 v110, v178, v191
	;; [unrolled: 1-line block ×3, first 2 shown]
	v_dual_lshrrev_b32 v104, 24, v104 :: v_dual_bitop2_b32 v121, 3, v121 bitop3:0x40
	v_dual_lshrrev_b32 v125, 8, v105 :: v_dual_bitop2_b32 v106, 3, v106 bitop3:0x40
	v_mul_i32_i24_e32 v116, v116, v199
	s_delay_alu instid0(VALU_DEP_3) | instskip(NEXT) | instid1(VALU_DEP_3)
	v_dual_lshrrev_b32 v126, 16, v107 :: v_dual_bitop2_b32 v104, 3, v104 bitop3:0x40
	v_dual_lshrrev_b32 v128, 24, v114 :: v_dual_bitop2_b32 v125, 3, v125 bitop3:0x40
	v_lshrrev_b16 v129, 8, v115
	s_delay_alu instid0(VALU_DEP_4)
	v_add3_u32 v103, v108, v116, v103
	v_add3_u32 v108, v109, v110, v111
	v_dual_lshrrev_b32 v124, 8, v107 :: v_dual_bitop2_b32 v120, 3, v120 bitop3:0x40
	v_and_b32_e32 v126, 3, v126
	v_bfe_i32 v130, v115, 0, 8
	v_bfe_i32 v131, v115, 16, 8
	v_lshrrev_b32_e32 v115, 24, v115
	v_bfe_i32 v132, v114, 16, 8
	v_bfe_i32 v133, v114, 8, 8
	;; [unrolled: 1-line block ×4, first 2 shown]
	v_mul_i32_i24_e32 v117, v117, v201
	v_mul_i32_i24_e32 v102, v119, v197
	;; [unrolled: 1-line block ×3, first 2 shown]
	v_add3_u32 v76, v108, v77, v76
	v_add3_u32 v74, v103, v75, v74
	v_mul_i32_i24_e32 v103, v214, v128
	v_dual_lshrrev_b32 v127, 16, v105 :: v_dual_bitop2_b32 v122, 3, v107 bitop3:0x40
	v_dual_lshrrev_b32 v107, 24, v107 :: v_dual_bitop2_b32 v123, 3, v105 bitop3:0x40
	;; [unrolled: 1-line block ×3, first 2 shown]
	v_mul_i32_i24_e32 v119, v121, v198
	v_mul_i32_i24_e32 v104, v104, v196
	v_add3_u32 v73, v74, v73, v102
	v_add3_u32 v74, v76, v117, v118
	v_mul_i32_i24_e32 v75, v211, v129
	v_mul_i32_i24_e32 v76, v215, v114
	;; [unrolled: 1-line block ×4, first 2 shown]
	v_mad_i32_i24 v103, v212, v115, v103
	v_and_b32_e32 v127, 3, v127
	v_and_b32_e32 v105, 3, v105
	v_mul_i32_i24_e32 v121, v123, v207
	v_mul_i32_i24_e32 v123, v125, v205
	v_add3_u32 v73, v73, v119, v104
	v_mad_i32_i24 v102, v218, v131, v102
	v_mad_i32_i24 v76, v217, v130, v76
	v_add3_u32 v75, v75, v77, v103
	v_mul_i32_i24_e32 v125, v127, v206
	v_mul_i32_i24_e32 v105, v105, v204
	v_add3_u32 v73, v73, v121, v123
	v_mul_i32_i24_e32 v120, v120, v200
	v_add3_u32 v77, v76, v102, v75
	v_and_b32_e32 v75, 15, v112
	v_mul_i32_i24_e32 v106, v106, v195
	v_add3_u32 v73, v73, v125, v105
	v_and_b32_e32 v107, 3, v107
	v_mul_i32_i24_e32 v122, v122, v209
	v_and_b32_e32 v75, 0xffff, v75
	v_mul_i32_i24_e32 v124, v124, v210
	v_add3_u32 v74, v74, v120, v106
	v_mul_i32_i24_e32 v126, v126, v208
	v_mul_i32_i24_e32 v107, v107, v203
	v_mul_lo_u32 v73, v73, v75
	v_and_b32_e32 v76, 15, v113
	v_add3_u32 v74, v74, v122, v124
	v_cvt_f32_i32_e32 v77, v77
	v_cvt_f32_i32_e32 v70, v70
	v_mul_f32_e32 v72, v165, v72
	v_and_b32_e32 v76, 0xffff, v76
	v_add3_u32 v74, v74, v126, v107
	s_add_co_i32 s20, s1, 2
	v_mul_f32_e32 v70, v164, v70
	s_cmp_lt_u32 s1, 22
	s_mov_b32 s1, s20
	v_mad_u32 v73, v74, v76, v73
	v_cvt_f32_f16_e32 v74, v71
	v_lshrrev_b32_e32 v71, 16, v71
	s_delay_alu instid0(VALU_DEP_1) | instskip(NEXT) | instid1(VALU_DEP_4)
	v_cvt_f32_f16_e32 v75, v71
	v_cvt_f32_i32_e32 v76, v73
	s_delay_alu instid0(VALU_DEP_1) | instskip(NEXT) | instid1(VALU_DEP_1)
	v_pk_mul_f32 v[74:75], v[74:75], v[76:77]
	v_dual_mov_b32 v71, v74 :: v_dual_mov_b32 v73, v75
	s_delay_alu instid0(VALU_DEP_1) | instskip(NEXT) | instid1(VALU_DEP_1)
	v_pk_add_f32 v[4:5], v[70:71], v[72:73] neg_lo:[0,1] neg_hi:[0,1]
	v_pk_fma_f32 v[14:15], v[0:1], v[4:5], v[14:15] op_sel_hi:[0,1,1]
	v_add_nc_u32_e32 v1, 32, v1
	s_cbranch_scc1 .LBB188_27
; %bb.28:                               ;   in Loop: Header=BB188_5 Depth=1
	s_or_b32 s1, s18, 0x180
	s_delay_alu instid0(SALU_CYCLE_1)
	s_cmp_ge_i32 s1, s5
	s_barrier_signal -1
	s_barrier_wait -1
	s_cbranch_scc1 .LBB188_4
; %bb.29:                               ;   in Loop: Header=BB188_5 Depth=1
	v_add_nc_u32_e32 v0, s19, v88
	s_delay_alu instid0(VALU_DEP_1) | instskip(SKIP_1) | instid1(SALU_CYCLE_1)
	v_cmp_gt_i32_e64 s1, s6, v0
	s_and_b32 s18, s0, s1
	s_and_saveexec_b32 s1, s18
	s_cbranch_execz .LBB188_31
; %bb.30:                               ;   in Loop: Header=BB188_5 Depth=1
	v_add_nc_u32_e32 v0, v18, v0
	s_delay_alu instid0(VALU_DEP_1)
	v_mad_nc_i64_i32 v[0:1], v0, 36, v[20:21]
	global_load_b32 v0, v[0:1], off offset:4
	s_wait_loadcnt 0x0
	ds_store_b32 v67, v0
.LBB188_31:                             ;   in Loop: Header=BB188_5 Depth=1
	s_or_b32 exec_lo, exec_lo, s1
	s_and_saveexec_b32 s18, vcc_lo
	s_cbranch_execz .LBB188_34
; %bb.32:                               ;   in Loop: Header=BB188_5 Depth=1
	v_or_b32_e32 v0, 12, v68
	s_delay_alu instid0(VALU_DEP_1) | instskip(SKIP_1) | instid1(SALU_CYCLE_1)
	v_cmp_gt_i32_e64 s1, s6, v0
	s_and_b32 s1, s0, s1
	s_and_b32 exec_lo, exec_lo, s1
	s_cbranch_execz .LBB188_34
; %bb.33:                               ;   in Loop: Header=BB188_5 Depth=1
	v_ashrrev_i32_e32 v69, 31, v68
	s_delay_alu instid0(VALU_DEP_1) | instskip(NEXT) | instid1(VALU_DEP_1)
	v_add_nc_u64_e32 v[0:1], v[18:19], v[68:69]
	v_mad_nc_u64_u32 v[2:3], v0, 36, s[2:3]
	s_delay_alu instid0(VALU_DEP_1)
	v_mad_i32_i24 v3, v1, 36, v3
	global_load_b32 v0, v[2:3], off offset:432
	s_wait_loadcnt 0x0
	v_cvt_f32_f16_e32 v0, v0
	ds_store_b32 v85, v0
.LBB188_34:                             ;   in Loop: Header=BB188_5 Depth=1
	s_or_b32 exec_lo, exec_lo, s18
	v_dual_mov_b32 v1, v61 :: v_dual_mov_b32 v74, v78
	s_mov_b32 s1, 24
	s_wait_dscnt 0x0
	s_barrier_signal -1
	s_barrier_wait -1
.LBB188_35:                             ;   Parent Loop BB188_5 Depth=1
                                        ; =>  This Inner Loop Header: Depth=2
	s_and_b32 s20, s1, 0x3ffffff8
	s_sub_co_i32 s18, s1, 24
	v_lshl_add_u32 v70, s20, 2, v89
	s_lshr_b32 s20, s1, 2
	s_and_b32 s19, s1, -16
	s_and_b32 s20, s20, 0x3ffffffc
	s_add_co_i32 s19, s1, s19
	ds_load_2addr_b32 v[2:3], v70 offset1:1
	s_addk_co_i32 s20, 0x5280
	ds_load_2addr_b32 v[6:7], v70 offset0:2 offset1:3
	ds_load_b32 v0, v74
	v_add_nc_u32_e32 v126, 0x1094, v70
	v_add_nc_u32_e32 v144, 0x2108, v70
	;; [unrolled: 1-line block ×3, first 2 shown]
	v_dual_add_nc_u32 v128, s19, v49 :: v_dual_add_nc_u32 v74, 4, v74
	s_wait_dscnt 0x2
	v_dual_ashrrev_i32 v106, s18, v2 :: v_dual_ashrrev_i32 v4, s18, v3
	ds_load_2addr_b32 v[2:3], v70 offset0:4 offset1:7
	v_dual_add_nc_u32 v108, s19, v47 :: v_dual_lshrrev_b32 v113, 24, v4
	v_and_b32_e32 v110, 3, v4
	v_bfe_u32 v111, v4, 8, 2
	v_bfe_u32 v112, v4, 16, 2
	s_wait_dscnt 0x0
	v_dual_ashrrev_i32 v2, s18, v2 :: v_dual_ashrrev_i32 v107, s18, v3
	v_add3_u32 v3, s20, v101, v90
	s_delay_alu instid0(VALU_DEP_2)
	v_dual_lshrrev_b32 v120, 24, v2 :: v_dual_bitop2_b32 v117, 3, v2 bitop3:0x40
	v_bfe_u32 v118, v2, 8, 2
	v_bfe_u32 v119, v2, 16, 2
	v_add_nc_u32_e32 v2, 0x1080, v70
	ds_load_b32 v109, v3
	v_dual_lshrrev_b32 v123, 16, v107 :: v_dual_bitop2_b32 v121, 3, v107 bitop3:0x40
	v_bfe_u32 v122, v107, 8, 2
	ds_load_2addr_b32 v[2:3], v2 offset1:1
	v_ashrrev_i32_e32 v7, s18, v7
	v_and_b32_e32 v123, 3, v123
	s_delay_alu instid0(VALU_DEP_2) | instskip(SKIP_1) | instid1(VALU_DEP_2)
	v_dual_lshrrev_b32 v116, 16, v7 :: v_dual_bitop2_b32 v114, 3, v7 bitop3:0x40
	v_bfe_u32 v115, v7, 8, 2
	v_dual_lshrrev_b32 v7, 24, v7 :: v_dual_bitop2_b32 v116, 3, v116 bitop3:0x40
	s_wait_dscnt 0x0
	v_dual_ashrrev_i32 v124, s18, v2 :: v_dual_ashrrev_i32 v4, s18, v3
	v_add_nc_u32_e32 v2, 0x1088, v70
	s_delay_alu instid0(VALU_DEP_2)
	v_dual_lshrrev_b32 v133, 24, v4 :: v_dual_bitop2_b32 v130, 3, v4 bitop3:0x40
	ds_load_2addr_b32 v[68:69], v2 offset1:1
	v_add_nc_u32_e32 v2, 0x1000, v70
	v_bfe_u32 v131, v4, 8, 2
	v_bfe_u32 v132, v4, 16, 2
	ds_load_2addr_b32 v[2:3], v2 offset0:36 offset1:39
	s_wait_dscnt 0x1
	v_ashrrev_i32_e32 v125, s18, v69
	v_add3_u32 v69, s20, v93, v94
	s_wait_dscnt 0x0
	v_dual_ashrrev_i32 v2, s18, v2 :: v_dual_ashrrev_i32 v127, s18, v3
	v_add3_u32 v3, s20, v91, v92
	ds_load_b32 v69, v69
	v_dual_lshrrev_b32 v136, 16, v125 :: v_dual_bitop2_b32 v134, 3, v125 bitop3:0x40
	v_dual_lshrrev_b32 v140, 24, v2 :: v_dual_bitop2_b32 v137, 3, v2 bitop3:0x40
	v_bfe_u32 v138, v2, 8, 2
	v_bfe_u32 v139, v2, 16, 2
	v_add_nc_u32_e32 v2, 0x2100, v70
	ds_load_b32 v129, v3
	v_bfe_u32 v135, v125, 8, 2
	v_dual_lshrrev_b32 v143, 16, v127 :: v_dual_bitop2_b32 v141, 3, v127 bitop3:0x40
	ds_load_2addr_b32 v[2:3], v2 offset1:1
	v_bfe_u32 v142, v127, 8, 2
	s_wait_dscnt 0x2
	v_cvt_f32_f16_e64 v163, v69
	v_add_nc_u32_e32 v145, 0x2118, v70
	s_wait_dscnt 0x0
	v_dual_ashrrev_i32 v4, s18, v2 :: v_dual_ashrrev_i32 v5, s18, v3
	v_add_nc_u32_e32 v2, 0x2110, v70
	s_delay_alu instid0(VALU_DEP_2)
	v_dual_add_nc_u32 v146, s19, v51 :: v_dual_bitop2_b32 v147, 3, v4 bitop3:0x40
	v_bfe_u32 v148, v4, 8, 2
	ds_load_2addr_b32 v[2:3], v2 offset1:1
	v_bfe_u32 v149, v4, 16, 2
	v_bfe_u32 v150, v4, 24, 2
	;; [unrolled: 1-line block ×5, first 2 shown]
	s_wait_dscnt 0x0
	v_dual_ashrrev_i32 v2, s18, v2 :: v_dual_ashrrev_i32 v3, s18, v3
	s_delay_alu instid0(VALU_DEP_1)
	v_and_b32_e32 v155, 3, v2
	v_bfe_u32 v156, v2, 8, 2
	v_bfe_u32 v157, v2, 16, 2
	;; [unrolled: 1-line block ×3, first 2 shown]
	v_dual_lshrrev_b32 v2, 16, v69 :: v_dual_bitop2_b32 v159, 3, v3 bitop3:0x40
	v_bfe_u32 v160, v3, 8, 2
	v_bfe_u32 v161, v3, 16, 2
	;; [unrolled: 1-line block ×3, first 2 shown]
	s_delay_alu instid0(VALU_DEP_4)
	v_cvt_f32_f16_e64 v164, v2
	v_add_nc_u32_e32 v2, 0x3180, v70
	v_add3_u32 v69, s20, v95, v96
	v_add_nc_u32_e32 v165, 0x3188, v70
	ds_load_2addr_b32 v[2:3], v2 offset1:1
	ds_load_b32 v69, v69
	s_wait_dscnt 0x1
	v_dual_ashrrev_i32 v4, s18, v2 :: v_dual_bitop2_b32 v151, 3, v5 bitop3:0x40
	v_add_nc_u32_e32 v2, 0x3190, v70
	v_dual_ashrrev_i32 v5, s18, v3 :: v_dual_add_nc_u32 v167, s19, v53
	s_delay_alu instid0(VALU_DEP_3)
	v_and_b32_e32 v168, 3, v4
	ds_load_2addr_b32 v[2:3], v2 offset1:1
	v_bfe_u32 v73, v4, 8, 2
	v_bfe_u32 v72, v4, 16, 2
	;; [unrolled: 1-line block ×3, first 2 shown]
	v_and_b32_e32 v169, 3, v5
	v_bfe_u32 v170, v5, 8, 2
	v_bfe_u32 v171, v5, 16, 2
	;; [unrolled: 1-line block ×3, first 2 shown]
	s_wait_dscnt 0x0
	v_dual_ashrrev_i32 v2, s18, v2 :: v_dual_ashrrev_i32 v3, s18, v3
	s_delay_alu instid0(VALU_DEP_1)
	v_and_b32_e32 v173, 3, v2
	v_bfe_u32 v174, v2, 8, 2
	v_bfe_u32 v175, v2, 16, 2
	;; [unrolled: 1-line block ×3, first 2 shown]
	v_and_b32_e32 v177, 3, v3
	v_bfe_u32 v178, v3, 8, 2
	v_bfe_u32 v76, v3, 16, 2
	;; [unrolled: 1-line block ×3, first 2 shown]
	ds_load_b128 v[2:5], v1
	ds_load_b128 v[102:105], v1 offset:16
	s_wait_dscnt 0x1
	v_ashrrev_i32_e32 v77, 24, v2
	s_wait_dscnt 0x0
	v_lshrrev_b16 v179, 8, v102
	v_ashrrev_i32_e32 v180, 24, v102
	v_bfe_i32 v182, v102, 0, 8
	v_bfe_i32 v183, v102, 16, 8
	;; [unrolled: 1-line block ×4, first 2 shown]
	v_lshrrev_b16 v102, 8, v103
	v_bfe_i32 v189, v2, 8, 8
	v_lshrrev_b16 v2, 8, v4
	v_bfe_i32 v179, v179, 0, 8
	v_ashrrev_i32_e32 v186, 24, v3
	v_bfe_i32 v187, v102, 0, 8
	v_dual_ashrrev_i32 v188, 24, v103 :: v_dual_ashrrev_i32 v194, 24, v104
	v_bfe_i32 v193, v3, 16, 8
	v_bfe_i32 v196, v2, 0, 8
	v_lshrrev_b16 v2, 8, v5
	v_bfe_i32 v181, v3, 8, 8
	v_bfe_i32 v192, v3, 0, 8
	v_dual_ashrrev_i32 v195, 24, v4 :: v_dual_ashrrev_i32 v202, 24, v105
	v_bfe_i32 v197, v4, 16, 8
	v_bfe_i32 v198, v4, 0, 8
	;; [unrolled: 1-line block ×3, first 2 shown]
	v_ashrrev_i32_e32 v203, 24, v5
	v_bfe_i32 v204, v2, 0, 8
	v_bfe_i32 v205, v5, 16, 8
	;; [unrolled: 1-line block ×4, first 2 shown]
	v_dual_add_nc_u32 v2, v188, v180 :: v_dual_add_nc_u32 v3, v187, v179
	v_add_nc_u32_e32 v4, v186, v77
	v_dual_add_nc_u32 v5, v193, v185 :: v_dual_add_nc_u32 v102, v192, v184
	v_bfe_i32 v190, v103, 0, 8
	v_bfe_i32 v191, v103, 16, 8
	;; [unrolled: 1-line block ×4, first 2 shown]
	v_add_nc_u32_e32 v105, v189, v181
	v_add3_u32 v211, v4, v195, v203
	v_add3_u32 v212, v3, v201, v209
	;; [unrolled: 1-line block ×4, first 2 shown]
	v_mul_i32_i24_e32 v2, v110, v192
	v_mul_i32_i24_e32 v3, v130, v192
	v_dual_ashrrev_i32 v4, s18, v6 :: v_dual_ashrrev_i32 v5, s18, v68
	v_and_b32_e32 v68, 3, v106
	v_and_b32_e32 v130, 3, v133
	s_delay_alu instid0(VALU_DEP_3)
	v_dual_lshrrev_b32 v220, 16, v4 :: v_dual_bitop2_b32 v113, 3, v113 bitop3:0x40
	v_bfe_i32 v199, v104, 16, 8
	v_bfe_i32 v200, v104, 0, 8
	v_dual_add_nc_u32 v103, v191, v183 :: v_dual_add_nc_u32 v104, v190, v182
	v_add3_u32 v210, v105, v196, v204
	v_mul_i32_i24_e32 v105, v134, v206
	v_dual_lshrrev_b32 v219, 8, v5 :: v_dual_bitop2_b32 v6, 3, v124 bitop3:0x40
	v_dual_lshrrev_b32 v221, 16, v5 :: v_dual_bitop2_b32 v133, 3, v5 bitop3:0x40
	;; [unrolled: 1-line block ×3, first 2 shown]
	v_mul_i32_i24_e32 v112, v112, v193
	v_mul_i32_i24_e32 v132, v132, v193
	v_mul_i32_i24_e32 v113, v113, v186
	v_mul_i32_i24_e32 v130, v130, v186
	v_mad_i32_i24 v3, v131, v181, v3
	v_mad_i32_i24 v2, v111, v181, v2
	v_add3_u32 v214, v104, v200, v208
	v_add3_u32 v215, v103, v199, v207
	;; [unrolled: 1-line block ×3, first 2 shown]
	v_mul_i32_i24_e32 v102, v114, v206
	v_mul_i32_i24_e32 v103, v118, v179
	;; [unrolled: 1-line block ×3, first 2 shown]
	v_bfe_u32 v110, v124, 8, 2
	v_bfe_u32 v114, v106, 8, 2
	;; [unrolled: 1-line block ×6, first 2 shown]
	v_lshrrev_b32_e32 v4, 24, v4
	v_mul_i32_i24_e32 v68, v184, v68
	v_mul_i32_i24_e32 v6, v184, v6
	;; [unrolled: 1-line block ×4, first 2 shown]
	v_add3_u32 v2, v2, v112, v113
	v_add3_u32 v3, v3, v132, v130
	v_dual_lshrrev_b32 v5, 24, v5 :: v_dual_bitop2_b32 v219, 3, v219 bitop3:0x40
	v_and_b32_e32 v218, 3, v218
	v_mul_i32_i24_e32 v114, v189, v114
	v_mul_i32_i24_e32 v110, v189, v110
	;; [unrolled: 1-line block ×4, first 2 shown]
	v_add3_u32 v3, v3, v133, v6
	v_add3_u32 v2, v2, v134, v68
	v_and_b32_e32 v221, 3, v221
	v_and_b32_e32 v220, 3, v220
	;; [unrolled: 1-line block ×4, first 2 shown]
	v_mul_i32_i24_e32 v121, v77, v121
	v_mul_i32_i24_e32 v118, v77, v118
	;; [unrolled: 1-line block ×4, first 2 shown]
	v_add3_u32 v2, v2, v114, v106
	v_add3_u32 v3, v3, v110, v124
	v_mul_i32_i24_e32 v220, v220, v197
	v_mul_i32_i24_e32 v221, v221, v197
	;; [unrolled: 1-line block ×4, first 2 shown]
	v_add3_u32 v3, v3, v118, v219
	v_add3_u32 v2, v2, v121, v218
	v_mul_i32_i24_e32 v6, v137, v182
	v_mul_i32_i24_e32 v119, v119, v183
	;; [unrolled: 1-line block ×3, first 2 shown]
	v_add3_u32 v106, v3, v221, v5
	v_add3_u32 v68, v2, v220, v4
	ds_load_2addr_b32 v[2:3], v70 offset0:5 offset1:6
	ds_load_2addr_b32 v[4:5], v126 offset1:1
	v_mad_i32_i24 v103, v117, v182, v103
	v_mad_i32_i24 v6, v138, v179, v6
	v_mul_i32_i24_e32 v110, v141, v208
	v_mul_i32_i24_e32 v73, v73, v189
	;; [unrolled: 1-line block ×6, first 2 shown]
	s_wait_dscnt 0x0
	v_dual_ashrrev_i32 v2, s18, v2 :: v_dual_ashrrev_i32 v4, s18, v4
	v_and_b32_e32 v70, 3, v140
	v_dual_ashrrev_i32 v3, s18, v3 :: v_dual_bitop2_b32 v111, 3, v120 bitop3:0x40
	s_delay_alu instid0(VALU_DEP_3) | instskip(SKIP_2) | instid1(VALU_DEP_3)
	v_dual_lshrrev_b32 v114, 8, v2 :: v_dual_bitop2_b32 v112, 3, v4 bitop3:0x40
	v_dual_lshrrev_b32 v118, 8, v4 :: v_dual_ashrrev_i32 v5, s18, v5
	v_dual_lshrrev_b32 v121, 16, v4 :: v_dual_bitop2_b32 v113, 3, v2 bitop3:0x40
	v_dual_lshrrev_b32 v130, 8, v3 :: v_dual_bitop2_b32 v114, 3, v114 bitop3:0x40
	s_delay_alu instid0(VALU_DEP_3) | instskip(SKIP_4) | instid1(VALU_DEP_4)
	v_dual_lshrrev_b32 v4, 24, v4 :: v_dual_bitop2_b32 v118, 3, v118 bitop3:0x40
	v_dual_lshrrev_b32 v120, 16, v2 :: v_dual_lshrrev_b32 v2, 24, v2
	v_mul_i32_i24_e32 v111, v111, v180
	v_mul_i32_i24_e32 v70, v70, v180
	v_dual_lshrrev_b32 v132, 16, v3 :: v_dual_bitop2_b32 v121, 3, v121 bitop3:0x40
	v_dual_lshrrev_b32 v131, 8, v5 :: v_dual_bitop2_b32 v120, 3, v120 bitop3:0x40
	;; [unrolled: 1-line block ×3, first 2 shown]
	v_and_b32_e32 v2, 3, v2
	v_add3_u32 v6, v6, v134, v70
	v_add3_u32 v70, v103, v119, v111
	v_mul_i32_i24_e32 v103, v113, v190
	v_mul_i32_i24_e32 v111, v112, v190
	;; [unrolled: 1-line block ×4, first 2 shown]
	v_dual_lshrrev_b32 v5, 24, v5 :: v_dual_bitop2_b32 v124, 3, v5 bitop3:0x40
	v_and_b32_e32 v126, 3, v3
	v_and_b32_e32 v131, 3, v131
	v_dual_lshrrev_b32 v3, 24, v3 :: v_dual_bitop2_b32 v130, 3, v130 bitop3:0x40
	v_mul_i32_i24_e32 v114, v120, v191
	v_mul_i32_i24_e32 v117, v121, v191
	;; [unrolled: 1-line block ×4, first 2 shown]
	v_add3_u32 v70, v70, v103, v112
	v_add3_u32 v6, v6, v111, v113
	v_and_b32_e32 v133, 3, v133
	v_and_b32_e32 v132, 3, v132
	;; [unrolled: 1-line block ×4, first 2 shown]
	v_mul_i32_i24_e32 v118, v126, v200
	v_mul_i32_i24_e32 v119, v124, v200
	;; [unrolled: 1-line block ×4, first 2 shown]
	v_add3_u32 v4, v6, v117, v4
	v_add3_u32 v2, v70, v114, v2
	v_mul_i32_i24_e32 v126, v133, v199
	v_mul_i32_i24_e32 v3, v3, v194
	;; [unrolled: 1-line block ×3, first 2 shown]
	v_add3_u32 v4, v4, v119, v121
	v_add3_u32 v2, v2, v118, v120
	v_lshrrev_b32_e32 v120, 24, v125
	v_mul_i32_i24_e32 v124, v132, v199
	ds_load_u16 v6, v128 offset:17904
	v_add3_u32 v4, v4, v126, v5
	v_and_b32_e32 v119, 3, v136
	v_and_b32_e32 v120, 3, v120
	v_add3_u32 v5, v2, v124, v3
	ds_load_u16 v2, v108 offset:16880
	v_and_b32_e32 v134, 3, v143
	s_wait_dscnt 0x1
	v_lshrrev_b16 v70, 8, v6
	v_bfe_u32 v113, v6, 4, 4
	v_and_b32_e32 v6, 15, v6
	s_wait_dscnt 0x0
	v_lshrrev_b16 v3, 8, v2
	v_bfe_u32 v103, v2, 4, 4
	v_and_b32_e32 v111, 0xffff, v70
	v_and_b32_e32 v2, 15, v2
	;; [unrolled: 1-line block ×4, first 2 shown]
	v_mul_lo_u32 v103, 0x1010101, v103
	v_lshrrev_b32_e32 v6, 24, v107
	v_and_b32_e32 v124, 0xffff, v2
	s_delay_alu instid0(VALU_DEP_4) | instskip(SKIP_2) | instid1(VALU_DEP_3)
	v_dual_lshrrev_b32 v2, 4, v111 :: v_dual_lshrrev_b32 v112, 4, v112
	v_mul_lo_u32 v113, 0x1010101, v113
	v_mul_i32_i24_e32 v116, v116, v205
	v_mul_lo_u32 v2, 0x1010101, v2
	s_delay_alu instid0(VALU_DEP_4) | instskip(SKIP_4) | instid1(VALU_DEP_3)
	v_mul_lo_u32 v112, 0x1010101, v112
	v_and_b32_e32 v121, 3, v7
	v_bfe_i32 v108, v103, 16, 8
	v_dual_lshrrev_b32 v118, 24, v103 :: v_dual_lshrrev_b32 v117, 24, v113
	v_bfe_i32 v114, v113, 16, 8
	v_mul_i32_i24_e32 v108, v217, v108
	v_bfe_i32 v111, v2, 0, 8
	v_bfe_i32 v128, v2, 8, 8
	v_lshrrev_b32_e32 v131, 24, v2
	v_bfe_i32 v133, v2, 16, 8
	v_dual_lshrrev_b32 v2, 24, v127 :: v_dual_bitop2_b32 v127, 3, v6 bitop3:0x40
	v_lshrrev_b32_e32 v6, 16, v129
	v_mul_i32_i24_e32 v119, v119, v205
	v_mul_i32_i24_e32 v120, v120, v203
	s_delay_alu instid0(VALU_DEP_4)
	v_and_b32_e32 v107, 3, v2
	v_and_b32_e32 v2, 15, v3
	v_cvt_f32_f16_e32 v7, v6
	v_lshrrev_b32_e32 v132, 24, v112
	v_mul_i32_i24_e32 v121, v121, v203
	v_mul_i32_i24_e32 v107, v107, v202
	v_and_b32_e32 v136, 0xffff, v2
	v_cvt_f32_f16_e32 v2, v109
	v_lshrrev_b32_e32 v109, 16, v109
	v_bfe_i32 v126, v112, 0, 8
	v_bfe_i32 v130, v112, 8, 8
	;; [unrolled: 1-line block ×3, first 2 shown]
	v_mul_i32_i24_e32 v114, v217, v114
	v_cvt_f32_f16_e32 v6, v109
	v_bfe_i32 v109, v103, 8, 8
	v_bfe_i32 v103, v103, 0, 8
	v_and_b32_e32 v3, 15, v70
	s_delay_alu instid0(VALU_DEP_2) | instskip(NEXT) | instid1(VALU_DEP_2)
	v_mul_i32_i24_e32 v103, v216, v103
	v_and_b32_e32 v70, 0xffff, v3
	v_cvt_f32_f16_e64 v3, v129
	v_mul_i32_i24_e32 v129, v150, v77
	s_delay_alu instid0(VALU_DEP_4) | instskip(SKIP_2) | instid1(VALU_DEP_2)
	v_mad_i32_i24 v103, v210, v109, v103
	v_mul_i32_i24_e32 v109, v115, v204
	v_mul_i32_i24_e32 v115, v135, v204
	v_add3_u32 v68, v68, v102, v109
	s_delay_alu instid0(VALU_DEP_2)
	v_add3_u32 v105, v106, v105, v115
	v_mul_i32_i24_e32 v109, v123, v207
	v_mul_i32_i24_e32 v106, v142, v209
	;; [unrolled: 1-line block ×3, first 2 shown]
	v_add3_u32 v68, v68, v116, v121
	v_add3_u32 v102, v105, v119, v120
	v_mul_i32_i24_e32 v105, v122, v209
	v_mul_i32_i24_e32 v116, v127, v202
	v_add3_u32 v4, v4, v110, v106
	v_mul_i32_i24_e32 v106, v215, v112
	v_mul_i32_i24_e32 v110, v214, v111
	v_add3_u32 v5, v5, v104, v105
	v_mul_i32_i24_e32 v111, v212, v130
	v_add3_u32 v4, v4, v115, v107
	v_mul_i32_i24_e32 v115, v211, v118
	v_mul_i32_i24_e32 v112, v212, v128
	v_add3_u32 v5, v5, v109, v116
	v_mul_i32_i24_e32 v116, v211, v117
	v_bfe_i32 v117, v113, 8, 8
	v_bfe_i32 v113, v113, 0, 8
	v_mul_i32_i24_e32 v109, v214, v126
	v_add3_u32 v103, v103, v108, v115
	v_mul_lo_u32 v102, v102, v125
	v_mul_i32_i24_e32 v104, v213, v132
	v_mul_i32_i24_e32 v113, v216, v113
	;; [unrolled: 1-line block ×4, first 2 shown]
	v_add3_u32 v103, v103, v109, v111
	v_mul_lo_u32 v68, v68, v124
	v_mad_i32_i24 v113, v210, v117, v113
	v_mul_i32_i24_e32 v125, v148, v189
	v_mul_i32_i24_e32 v126, v161, v191
	v_add3_u32 v104, v103, v106, v104
	v_mad_u32 v4, v4, v70, v102
	v_add3_u32 v108, v113, v114, v116
	v_mul_i32_i24_e32 v70, v151, v192
	v_mul_i32_i24_e32 v127, v149, v185
	v_cvt_f32_i32_e32 v102, v104
	v_mul_i32_i24_e32 v104, v158, v180
	v_add3_u32 v108, v108, v110, v112
	v_mad_i32_i24 v70, v152, v181, v70
	v_mad_u32 v68, v5, v136, v68
	v_mul_i32_i24_e32 v128, v162, v188
	s_delay_alu instid0(VALU_DEP_4) | instskip(SKIP_3) | instid1(VALU_DEP_4)
	v_add3_u32 v103, v108, v107, v105
	v_cvt_f32_i32_e32 v5, v4
	v_mul_i32_i24_e32 v107, v159, v190
	v_mul_i32_i24_e32 v108, v160, v187
	v_cvt_f32_i32_e32 v103, v103
	v_cvt_f32_i32_e32 v4, v68
	v_mul_i32_i24_e32 v68, v184, v147
	s_delay_alu instid0(VALU_DEP_3) | instskip(SKIP_2) | instid1(VALU_DEP_3)
	v_pk_mul_f32 v[6:7], v[6:7], v[102:103]
	v_mul_i32_i24_e32 v102, v153, v193
	v_mul_i32_i24_e32 v103, v154, v186
	v_pk_fma_f32 v[2:3], v[2:3], v[4:5], v[6:7] neg_lo:[0,0,1] neg_hi:[0,0,1]
	s_delay_alu instid0(VALU_DEP_2) | instskip(SKIP_2) | instid1(VALU_DEP_4)
	v_add3_u32 v70, v70, v102, v103
	v_mul_i32_i24_e32 v102, v155, v182
	v_mul_i32_i24_e32 v103, v157, v183
	v_pk_fma_f32 v[16:17], v[0:1], v[2:3], v[16:17] op_sel_hi:[0,1,1]
	s_delay_alu instid0(VALU_DEP_3) | instskip(NEXT) | instid1(VALU_DEP_1)
	v_mad_i32_i24 v102, v156, v179, v102
	v_add3_u32 v106, v102, v103, v104
	ds_load_2addr_b32 v[102:103], v144 offset1:1
	ds_load_2addr_b32 v[104:105], v145 offset1:1
	ds_load_u16 v109, v146 offset:18928
	s_wait_dscnt 0x1
	v_dual_ashrrev_i32 v102, s18, v102 :: v_dual_ashrrev_i32 v104, s18, v104
	s_wait_dscnt 0x0
	v_lshrrev_b16 v110, 8, v109
	v_bfe_u32 v112, v109, 4, 4
	s_delay_alu instid0(VALU_DEP_3) | instskip(SKIP_1) | instid1(VALU_DEP_4)
	v_dual_ashrrev_i32 v105, s18, v105 :: v_dual_bitop2_b32 v113, 3, v102 bitop3:0x40
	v_lshrrev_b32_e32 v116, 8, v102
	v_and_b32_e32 v111, 0xffff, v110
	v_dual_lshrrev_b32 v115, 8, v104 :: v_dual_ashrrev_i32 v103, s18, v103
	s_delay_alu instid0(VALU_DEP_4) | instskip(SKIP_1) | instid1(VALU_DEP_4)
	v_mul_i32_i24_e32 v113, v113, v198
	v_dual_lshrrev_b32 v118, 16, v102 :: v_dual_bitop2_b32 v114, 3, v104 bitop3:0x40
	v_lshrrev_b32_e32 v111, 4, v111
	s_delay_alu instid0(VALU_DEP_4)
	v_and_b32_e32 v115, 3, v115
	v_dual_lshrrev_b32 v102, 24, v102 :: v_dual_bitop2_b32 v116, 3, v116 bitop3:0x40
	v_dual_lshrrev_b32 v117, 16, v104 :: v_dual_lshrrev_b32 v104, 24, v104
	v_add3_u32 v68, v70, v113, v68
	v_add3_u32 v70, v106, v107, v108
	v_mul_lo_u32 v112, 0x1010101, v112
	v_mul_lo_u32 v111, 0x1010101, v111
	v_dual_lshrrev_b32 v122, 8, v103 :: v_dual_bitop2_b32 v117, 3, v117 bitop3:0x40
	v_dual_lshrrev_b32 v121, 8, v105 :: v_dual_bitop2_b32 v118, 3, v118 bitop3:0x40
	;; [unrolled: 1-line block ×4, first 2 shown]
	v_mul_i32_i24_e32 v114, v114, v200
	v_mul_i32_i24_e32 v116, v116, v196
	;; [unrolled: 1-line block ×3, first 2 shown]
	v_add3_u32 v70, v70, v126, v128
	v_add3_u32 v68, v68, v125, v127
	v_dual_lshrrev_b32 v105, 24, v105 :: v_dual_bitop2_b32 v119, 3, v105 bitop3:0x40
	v_dual_lshrrev_b32 v103, 24, v103 :: v_dual_bitop2_b32 v120, 3, v103 bitop3:0x40
	v_and_b32_e32 v121, 3, v121
	v_dual_lshrrev_b32 v106, 24, v112 :: v_dual_bitop2_b32 v122, 3, v122 bitop3:0x40
	v_mul_i32_i24_e32 v118, v118, v197
	v_mul_i32_i24_e32 v117, v117, v199
	;; [unrolled: 1-line block ×4, first 2 shown]
	v_add3_u32 v68, v68, v129, v116
	v_add3_u32 v70, v70, v114, v115
	v_and_b32_e32 v123, 3, v123
	v_and_b32_e32 v124, 3, v124
	;; [unrolled: 1-line block ×4, first 2 shown]
	v_mul_i32_i24_e32 v120, v120, v206
	v_mul_i32_i24_e32 v119, v119, v208
	;; [unrolled: 1-line block ×3, first 2 shown]
	v_add3_u32 v70, v70, v117, v104
	v_add3_u32 v68, v68, v118, v102
	v_lshrrev_b32_e32 v102, 24, v111
	v_mul_i32_i24_e32 v121, v121, v209
	v_mul_i32_i24_e32 v124, v124, v205
	;; [unrolled: 1-line block ×5, first 2 shown]
	v_add3_u32 v68, v68, v120, v122
	v_add3_u32 v70, v70, v119, v121
	v_bfe_i32 v104, v111, 8, 8
	v_bfe_i32 v107, v112, 16, 8
	;; [unrolled: 1-line block ×3, first 2 shown]
	v_add3_u32 v68, v68, v124, v103
	v_add3_u32 v70, v70, v123, v105
	v_bfe_i32 v103, v111, 16, 8
	v_bfe_i32 v105, v111, 0, 8
	;; [unrolled: 1-line block ×3, first 2 shown]
	v_and_b32_e32 v109, 15, v109
	v_mul_i32_i24_e32 v107, v217, v107
	v_mul_i32_i24_e32 v106, v211, v106
	;; [unrolled: 1-line block ×4, first 2 shown]
	v_and_b32_e32 v109, 0xffff, v109
	v_mul_i32_i24_e32 v104, v212, v104
	v_and_b32_e32 v110, 15, v110
	v_mul_i32_i24_e32 v103, v215, v103
	v_mad_i32_i24 v108, v210, v108, v111
	v_mul_lo_u32 v68, v68, v109
	v_mul_i32_i24_e32 v102, v213, v102
	v_and_b32_e32 v110, 0xffff, v110
	v_mul_i32_i24_e32 v109, v177, v190
	v_add3_u32 v106, v108, v107, v106
	s_delay_alu instid0(VALU_DEP_1) | instskip(SKIP_3) | instid1(VALU_DEP_4)
	v_add3_u32 v104, v106, v105, v104
	v_mul_i32_i24_e32 v106, v184, v168
	v_mad_u32 v68, v70, v110, v68
	v_mul_i32_i24_e32 v110, v178, v187
	v_add3_u32 v102, v104, v103, v102
	v_mul_i32_i24_e32 v103, v171, v193
	v_mul_i32_i24_e32 v104, v172, v186
	s_delay_alu instid0(VALU_DEP_3) | instskip(SKIP_2) | instid1(VALU_DEP_3)
	v_cvt_f32_i32_e32 v70, v102
	v_mul_i32_i24_e32 v102, v169, v192
	v_cvt_f32_i32_e32 v68, v68
	v_mul_f32_e32 v70, v164, v70
	s_delay_alu instid0(VALU_DEP_3) | instskip(NEXT) | instid1(VALU_DEP_3)
	v_mad_i32_i24 v102, v170, v181, v102
	v_mul_f32_e32 v68, v163, v68
	s_delay_alu instid0(VALU_DEP_2) | instskip(SKIP_3) | instid1(VALU_DEP_3)
	v_add3_u32 v107, v102, v103, v104
	v_mul_i32_i24_e32 v102, v173, v182
	v_mul_i32_i24_e32 v103, v175, v183
	;; [unrolled: 1-line block ×3, first 2 shown]
	v_mad_i32_i24 v102, v174, v179, v102
	s_delay_alu instid0(VALU_DEP_1)
	v_add3_u32 v108, v102, v103, v104
	ds_load_2addr_b32 v[102:103], v165 offset1:1
	ds_load_2addr_b32 v[104:105], v166 offset1:1
	ds_load_u16 v111, v167 offset:19952
	s_wait_dscnt 0x1
	v_dual_ashrrev_i32 v102, s18, v102 :: v_dual_ashrrev_i32 v104, s18, v104
	s_wait_dscnt 0x0
	v_lshrrev_b16 v112, 8, v111
	v_bfe_u32 v114, v111, 4, 4
	s_delay_alu instid0(VALU_DEP_3) | instskip(SKIP_1) | instid1(VALU_DEP_4)
	v_dual_ashrrev_i32 v105, s18, v105 :: v_dual_bitop2_b32 v115, 3, v102 bitop3:0x40
	v_lshrrev_b32_e32 v118, 8, v102
	v_and_b32_e32 v113, 0xffff, v112
	v_dual_lshrrev_b32 v119, 16, v104 :: v_dual_bitop2_b32 v116, 3, v104 bitop3:0x40
	v_lshrrev_b32_e32 v117, 8, v104
	v_mul_i32_i24_e32 v115, v115, v198
	s_delay_alu instid0(VALU_DEP_4) | instskip(SKIP_3) | instid1(VALU_DEP_4)
	v_lshrrev_b32_e32 v113, 4, v113
	v_mul_lo_u32 v114, 0x1010101, v114
	v_dual_lshrrev_b32 v104, 24, v104 :: v_dual_bitop2_b32 v118, 3, v118 bitop3:0x40
	v_dual_lshrrev_b32 v120, 16, v102 :: v_dual_bitop2_b32 v117, 3, v117 bitop3:0x40
	v_mul_lo_u32 v113, 0x1010101, v113
	v_dual_lshrrev_b32 v102, 24, v102 :: v_dual_bitop2_b32 v119, 3, v119 bitop3:0x40
	v_add3_u32 v106, v107, v115, v106
	s_delay_alu instid0(VALU_DEP_4) | instskip(SKIP_1) | instid1(VALU_DEP_4)
	v_dual_lshrrev_b32 v123, 8, v105 :: v_dual_bitop2_b32 v120, 3, v120 bitop3:0x40
	v_mul_i32_i24_e32 v77, v118, v196
	v_dual_lshrrev_b32 v125, 16, v105 :: v_dual_bitop2_b32 v102, 3, v102 bitop3:0x40
	s_delay_alu instid0(VALU_DEP_4)
	v_add3_u32 v72, v106, v73, v72
	v_ashrrev_i32_e32 v103, s18, v103
	v_dual_lshrrev_b32 v127, 24, v113 :: v_dual_bitop2_b32 v123, 3, v123 bitop3:0x40
	v_lshrrev_b16 v128, 8, v114
	v_mul_i32_i24_e32 v118, v120, v197
	v_mul_i32_i24_e32 v102, v102, v195
	v_add3_u32 v107, v108, v109, v110
	v_add3_u32 v71, v72, v71, v77
	v_dual_lshrrev_b32 v124, 8, v103 :: v_dual_bitop2_b32 v104, 3, v104 bitop3:0x40
	v_and_b32_e32 v125, 3, v125
	v_bfe_i32 v129, v114, 0, 8
	v_bfe_i32 v130, v114, 16, 8
	v_lshrrev_b32_e32 v114, 24, v114
	v_bfe_i32 v131, v113, 16, 8
	v_bfe_i32 v132, v113, 8, 8
	;; [unrolled: 1-line block ×4, first 2 shown]
	v_mul_i32_i24_e32 v116, v116, v200
	v_mul_i32_i24_e32 v117, v117, v201
	v_add3_u32 v75, v107, v76, v75
	v_add3_u32 v71, v71, v118, v102
	v_mul_i32_i24_e32 v102, v213, v127
	v_dual_lshrrev_b32 v126, 16, v103 :: v_dual_bitop2_b32 v121, 3, v105 bitop3:0x40
	v_dual_lshrrev_b32 v105, 24, v105 :: v_dual_bitop2_b32 v122, 3, v103 bitop3:0x40
	;; [unrolled: 1-line block ×3, first 2 shown]
	v_add3_u32 v72, v75, v116, v117
	v_mul_i32_i24_e32 v73, v210, v128
	v_mul_i32_i24_e32 v75, v214, v113
	v_mul_i32_i24_e32 v76, v212, v132
	v_mul_i32_i24_e32 v77, v215, v131
	v_mad_i32_i24 v102, v211, v114, v102
	v_and_b32_e32 v126, 3, v126
	v_and_b32_e32 v103, 3, v103
	v_mul_i32_i24_e32 v120, v122, v206
	v_mul_i32_i24_e32 v122, v124, v204
	v_mad_i32_i24 v77, v217, v130, v77
	v_mad_i32_i24 v75, v216, v129, v75
	v_add3_u32 v73, v73, v76, v102
	v_mul_i32_i24_e32 v124, v126, v205
	v_mul_i32_i24_e32 v103, v103, v203
	v_add3_u32 v71, v71, v120, v122
	v_mul_i32_i24_e32 v119, v119, v199
	v_add3_u32 v75, v75, v77, v73
	v_and_b32_e32 v73, 15, v111
	v_mul_i32_i24_e32 v104, v104, v194
	v_add3_u32 v71, v71, v124, v103
	v_and_b32_e32 v105, 3, v105
	v_mul_i32_i24_e32 v121, v121, v208
	v_and_b32_e32 v73, 0xffff, v73
	v_mul_i32_i24_e32 v123, v123, v209
	v_add3_u32 v72, v72, v119, v104
	v_mul_i32_i24_e32 v125, v125, v207
	v_mul_i32_i24_e32 v105, v105, v202
	v_mul_lo_u32 v71, v71, v73
	v_and_b32_e32 v76, 15, v112
	v_add3_u32 v72, v72, v121, v123
	v_cvt_f32_i32_e32 v77, v75
	s_add_co_i32 s18, s1, 2
	s_cmp_lt_u32 s1, 30
	v_and_b32_e32 v76, 0xffff, v76
	v_add3_u32 v72, v72, v125, v105
	s_mov_b32 s1, s18
	s_delay_alu instid0(VALU_DEP_1) | instskip(SKIP_2) | instid1(VALU_DEP_1)
	v_mad_u32 v71, v72, v76, v71
	v_cvt_f32_f16_e32 v72, v69
	v_lshrrev_b32_e32 v69, 16, v69
	v_cvt_f32_f16_e32 v73, v69
	s_delay_alu instid0(VALU_DEP_4) | instskip(NEXT) | instid1(VALU_DEP_1)
	v_cvt_f32_i32_e32 v76, v71
	v_pk_mul_f32 v[72:73], v[72:73], v[76:77]
	s_delay_alu instid0(VALU_DEP_1) | instskip(NEXT) | instid1(VALU_DEP_1)
	v_dual_mov_b32 v69, v72 :: v_dual_mov_b32 v71, v73
	v_pk_add_f32 v[4:5], v[68:69], v[70:71] neg_lo:[0,1] neg_hi:[0,1]
	s_delay_alu instid0(VALU_DEP_1)
	v_pk_fma_f32 v[14:15], v[0:1], v[4:5], v[14:15] op_sel_hi:[0,1,1]
	v_add_nc_u32_e32 v1, 32, v1
	s_cbranch_scc1 .LBB188_35
; %bb.36:                               ;   in Loop: Header=BB188_5 Depth=1
	s_barrier_signal -1
	s_barrier_wait -1
	s_branch .LBB188_4
.LBB188_37:
	v_mov_b32_e32 v16, 0
	s_delay_alu instid0(VALU_DEP_1)
	v_dual_mov_b32 v17, v16 :: v_dual_mov_b32 v14, v16
	v_mov_b32_e32 v15, v16
.LBB188_38:
	s_mul_i32 s0, s10, s7
	s_wait_loadcnt 0x0
	v_cmp_gt_i32_e32 vcc_lo, s0, v11
	s_wait_xcnt 0x0
	s_and_saveexec_b32 s0, vcc_lo
	s_cbranch_execz .LBB188_47
; %bb.39:
	v_mul_lo_u32 v0, v11, s9
	v_add_nc_u32_e32 v1, s11, v23
	s_mov_b32 s0, exec_lo
	s_delay_alu instid0(VALU_DEP_1)
	v_cmpx_gt_u32_e64 s9, v1
	s_cbranch_execz .LBB188_41
; %bb.40:
	s_delay_alu instid0(VALU_DEP_3)
	v_add_nc_u32_e32 v2, v0, v1
	global_store_b32 v2, v16, s[12:13] scale_offset
.LBB188_41:
	s_wait_xcnt 0x0
	s_or_b32 exec_lo, exec_lo, s0
	v_add_nc_u32_e32 v2, 32, v1
	s_mov_b32 s0, exec_lo
	s_delay_alu instid0(VALU_DEP_1)
	v_cmpx_gt_u32_e64 s9, v2
	s_cbranch_execz .LBB188_43
; %bb.42:
	v_add_nc_u32_e32 v2, v0, v2
	global_store_b32 v2, v17, s[12:13] scale_offset
.LBB188_43:
	s_wait_xcnt 0x0
	s_or_b32 exec_lo, exec_lo, s0
	v_add_nc_u32_e32 v2, 64, v1
	s_mov_b32 s0, exec_lo
	s_delay_alu instid0(VALU_DEP_1)
	v_cmpx_gt_u32_e64 s9, v2
	s_cbranch_execz .LBB188_45
; %bb.44:
	v_add_nc_u32_e32 v2, v0, v2
	global_store_b32 v2, v14, s[12:13] scale_offset
.LBB188_45:
	s_wait_xcnt 0x0
	s_or_b32 exec_lo, exec_lo, s0
	v_add_nc_u32_e32 v1, 0x60, v1
	s_delay_alu instid0(VALU_DEP_1)
	v_cmp_gt_u32_e32 vcc_lo, s9, v1
	s_and_b32 exec_lo, exec_lo, vcc_lo
	s_cbranch_execz .LBB188_47
; %bb.46:
	v_add_nc_u32_e32 v0, v0, v1
	global_store_b32 v0, v15, s[12:13] scale_offset
.LBB188_47:
	s_sendmsg sendmsg(MSG_DEALLOC_VGPRS)
	s_endpgm
	.section	.rodata,"a",@progbits
	.p2align	6, 0x0
	.amdhsa_kernel _ZL8moe_q2_KIfLb1EEvPKvS1_PT_PKiS5_S5_iiiiiii
		.amdhsa_group_segment_fixed_size 23328
		.amdhsa_private_segment_fixed_size 0
		.amdhsa_kernarg_size 76
		.amdhsa_user_sgpr_count 2
		.amdhsa_user_sgpr_dispatch_ptr 0
		.amdhsa_user_sgpr_queue_ptr 0
		.amdhsa_user_sgpr_kernarg_segment_ptr 1
		.amdhsa_user_sgpr_dispatch_id 0
		.amdhsa_user_sgpr_kernarg_preload_length 0
		.amdhsa_user_sgpr_kernarg_preload_offset 0
		.amdhsa_user_sgpr_private_segment_size 0
		.amdhsa_wavefront_size32 1
		.amdhsa_uses_dynamic_stack 0
		.amdhsa_enable_private_segment 0
		.amdhsa_system_sgpr_workgroup_id_x 1
		.amdhsa_system_sgpr_workgroup_id_y 1
		.amdhsa_system_sgpr_workgroup_id_z 0
		.amdhsa_system_sgpr_workgroup_info 0
		.amdhsa_system_vgpr_workitem_id 1
		.amdhsa_next_free_vgpr 249
		.amdhsa_next_free_sgpr 24
		.amdhsa_named_barrier_count 0
		.amdhsa_reserve_vcc 1
		.amdhsa_float_round_mode_32 0
		.amdhsa_float_round_mode_16_64 0
		.amdhsa_float_denorm_mode_32 3
		.amdhsa_float_denorm_mode_16_64 3
		.amdhsa_fp16_overflow 0
		.amdhsa_memory_ordered 1
		.amdhsa_forward_progress 1
		.amdhsa_inst_pref_size 163
		.amdhsa_round_robin_scheduling 0
		.amdhsa_exception_fp_ieee_invalid_op 0
		.amdhsa_exception_fp_denorm_src 0
		.amdhsa_exception_fp_ieee_div_zero 0
		.amdhsa_exception_fp_ieee_overflow 0
		.amdhsa_exception_fp_ieee_underflow 0
		.amdhsa_exception_fp_ieee_inexact 0
		.amdhsa_exception_int_div_zero 0
	.end_amdhsa_kernel
	.section	.text._ZL8moe_q2_KIfLb1EEvPKvS1_PT_PKiS5_S5_iiiiiii,"axG",@progbits,_ZL8moe_q2_KIfLb1EEvPKvS1_PT_PKiS5_S5_iiiiiii,comdat
.Lfunc_end188:
	.size	_ZL8moe_q2_KIfLb1EEvPKvS1_PT_PKiS5_S5_iiiiiii, .Lfunc_end188-_ZL8moe_q2_KIfLb1EEvPKvS1_PT_PKiS5_S5_iiiiiii
                                        ; -- End function
	.set _ZL8moe_q2_KIfLb1EEvPKvS1_PT_PKiS5_S5_iiiiiii.num_vgpr, 249
	.set _ZL8moe_q2_KIfLb1EEvPKvS1_PT_PKiS5_S5_iiiiiii.num_agpr, 0
	.set _ZL8moe_q2_KIfLb1EEvPKvS1_PT_PKiS5_S5_iiiiiii.numbered_sgpr, 24
	.set _ZL8moe_q2_KIfLb1EEvPKvS1_PT_PKiS5_S5_iiiiiii.num_named_barrier, 0
	.set _ZL8moe_q2_KIfLb1EEvPKvS1_PT_PKiS5_S5_iiiiiii.private_seg_size, 0
	.set _ZL8moe_q2_KIfLb1EEvPKvS1_PT_PKiS5_S5_iiiiiii.uses_vcc, 1
	.set _ZL8moe_q2_KIfLb1EEvPKvS1_PT_PKiS5_S5_iiiiiii.uses_flat_scratch, 0
	.set _ZL8moe_q2_KIfLb1EEvPKvS1_PT_PKiS5_S5_iiiiiii.has_dyn_sized_stack, 0
	.set _ZL8moe_q2_KIfLb1EEvPKvS1_PT_PKiS5_S5_iiiiiii.has_recursion, 0
	.set _ZL8moe_q2_KIfLb1EEvPKvS1_PT_PKiS5_S5_iiiiiii.has_indirect_call, 0
	.section	.AMDGPU.csdata,"",@progbits
; Kernel info:
; codeLenInByte = 20744
; TotalNumSgprs: 26
; NumVgprs: 249
; ScratchSize: 0
; MemoryBound: 0
; FloatMode: 240
; IeeeMode: 1
; LDSByteSize: 23328 bytes/workgroup (compile time only)
; SGPRBlocks: 0
; VGPRBlocks: 15
; NumSGPRsForWavesPerEU: 26
; NumVGPRsForWavesPerEU: 249
; NamedBarCnt: 0
; Occupancy: 4
; WaveLimiterHint : 1
; COMPUTE_PGM_RSRC2:SCRATCH_EN: 0
; COMPUTE_PGM_RSRC2:USER_SGPR: 2
; COMPUTE_PGM_RSRC2:TRAP_HANDLER: 0
; COMPUTE_PGM_RSRC2:TGID_X_EN: 1
; COMPUTE_PGM_RSRC2:TGID_Y_EN: 1
; COMPUTE_PGM_RSRC2:TGID_Z_EN: 0
; COMPUTE_PGM_RSRC2:TIDIG_COMP_CNT: 1
	.section	.text._ZL8moe_q3_KIfLb0EEvPKvS1_PT_PKiS5_S5_iiiiiii,"axG",@progbits,_ZL8moe_q3_KIfLb0EEvPKvS1_PT_PKiS5_S5_iiiiiii,comdat
	.globl	_ZL8moe_q3_KIfLb0EEvPKvS1_PT_PKiS5_S5_iiiiiii ; -- Begin function _ZL8moe_q3_KIfLb0EEvPKvS1_PT_PKiS5_S5_iiiiiii
	.p2align	8
	.type	_ZL8moe_q3_KIfLb0EEvPKvS1_PT_PKiS5_S5_iiiiiii,@function
_ZL8moe_q3_KIfLb0EEvPKvS1_PT_PKiS5_S5_iiiiiii: ; @_ZL8moe_q3_KIfLb0EEvPKvS1_PT_PKiS5_S5_iiiiiii
; %bb.0:
	s_load_b128 s[4:7], s[0:1], 0x18
	s_bfe_u32 s2, ttmp6, 0x40010
	s_bfe_u32 s8, ttmp6, 0x40004
	s_add_co_i32 s2, s2, 1
	s_delay_alu instid0(SALU_CYCLE_1)
	s_mul_i32 s3, ttmp7, s2
	s_getreg_b32 s2, hwreg(HW_REG_IB_STS2, 6, 4)
	s_add_co_i32 s8, s8, s3
	s_cmp_eq_u32 s2, 0
	s_cselect_b32 s3, ttmp7, s8
	s_wait_kmcnt 0x0
	s_load_b32 s12, s[6:7], s3 offset:0x0 scale_offset
	s_wait_kmcnt 0x0
	s_cmp_gt_u32 s12, 0xff
	s_cbranch_scc1 .LBB189_47
; %bb.1:
	s_load_b64 s[6:7], s[0:1], 0x28
	s_lshl_b32 s3, s3, 3
	s_wait_kmcnt 0x0
	s_load_b32 s6, s[6:7], 0x0
	s_wait_kmcnt 0x0
	s_cmp_gt_u32 s3, s6
	s_cbranch_scc1 .LBB189_47
; %bb.2:
	v_bfe_u32 v1, v0, 10, 10
	s_and_b32 s13, ttmp6, 15
	v_and_b32_e32 v11, 0x3ff, v0
	s_delay_alu instid0(VALU_DEP_2) | instskip(SKIP_1) | instid1(SALU_CYCLE_1)
	v_add_nc_u32_e32 v2, s3, v1
	s_bfe_u32 s3, ttmp6, 0x4000c
	s_add_co_i32 s3, s3, 1
	s_delay_alu instid0(SALU_CYCLE_1)
	s_mul_i32 s3, ttmp9, s3
	global_load_b32 v9, v2, s[4:5] scale_offset
	s_clause 0x2
	s_load_b64 s[10:11], s[0:1], 0x30
	s_load_b64 s[8:9], s[0:1], 0x10
	s_load_b128 s[4:7], s[0:1], 0x3c
	s_add_co_i32 s13, s13, s3
	s_cmp_eq_u32 s2, 0
	s_cselect_b32 s2, ttmp9, s13
	s_mov_b32 s13, 0
	s_lshl_b32 s18, s2, 7
	s_wait_kmcnt 0x0
	s_cmp_lt_i32 s11, 0x100
	s_cbranch_scc1 .LBB189_37
; %bb.3:
	v_bfe_u32 v8, v0, 4, 6
	v_dual_lshlrev_b32 v5, 4, v1 :: v_dual_bitop2_b32 v4, 15, v0 bitop3:0x40
	v_dual_lshlrev_b32 v2, 1, v1 :: v_dual_bitop2_b32 v10, 1, v0 bitop3:0x40
	v_bfe_u32 v6, v0, 1, 9
	s_load_b128 s[0:3], s[0:1], 0x0
	v_dual_mov_b32 v13, 0 :: v_dual_lshlrev_b32 v7, 2, v11
	s_delay_alu instid0(VALU_DEP_2)
	v_dual_lshlrev_b32 v15, 2, v10 :: v_dual_add_nc_u32 v3, v6, v5
	v_add_nc_u16 v14, v8, v2
	v_lshlrev_b32_e32 v12, 2, v4
	s_mul_i32 s16, s12, s10
	v_dual_add_nc_u32 v64, 64, v11 :: v_dual_add_nc_u32 v66, 32, v11
	v_and_b32_e32 v58, 0x7f, v3
	v_lshrrev_b32_e32 v3, 2, v3
	v_lshrrev_b16 v14, 1, v14
	v_add_nc_u32_e32 v60, v8, v2
	s_ashr_i32 s17, s16, 31
	v_lshl_or_b32 v2, v58, 3, v15
	v_and_b32_e32 v3, 28, v3
	v_and_b32_e32 v15, 0xffff, v14
	v_dual_add_nc_u32 v16, 16, v60 :: v_dual_add_nc_u32 v17, 32, v60
	v_and_b32_e32 v84, 7, v0
	s_delay_alu instid0(VALU_DEP_4) | instskip(NEXT) | instid1(VALU_DEP_4)
	v_add3_u32 v29, v2, v3, 0x7380
	v_dual_lshlrev_b32 v2, 2, v15 :: v_dual_add_nc_u32 v18, 48, v60
	s_delay_alu instid0(VALU_DEP_4)
	v_lshlrev_b32_e32 v3, 1, v16
	s_wait_kmcnt 0x0
	s_add_nc_u64 s[16:17], s[0:1], s[16:17]
	s_abs_i32 s0, s7
	v_add3_u32 v19, v2, v12, 0x4200
	v_lshlrev_b32_e32 v21, 1, v18
	v_and_b32_e32 v2, 0x3ffc, v3
	v_dual_lshlrev_b32 v3, 1, v17 :: v_dual_lshlrev_b32 v20, 6, v60
	v_dual_lshlrev_b32 v23, 6, v16 :: v_dual_lshlrev_b32 v26, 6, v17
	s_delay_alu instid0(VALU_DEP_3) | instskip(NEXT) | instid1(VALU_DEP_3)
	v_add3_u32 v22, v2, v12, 0x4200
	v_and_b32_e32 v2, 0x3ffc, v3
	v_and_b32_e32 v3, 0x3ffc, v21
	v_add_nc_u32_e32 v16, 64, v60
	v_add_nc_u32_e32 v21, 0x50, v60
	s_cvt_f32_u32 s19, s0
	v_add3_u32 v24, v2, v12, 0x4200
	v_add3_u32 v27, v3, v12, 0x4200
	s_delay_alu instid0(VALU_DEP_3) | instskip(SKIP_3) | instid1(VALU_DEP_3)
	v_dual_lshlrev_b32 v2, 1, v16 :: v_dual_lshlrev_b32 v3, 1, v21
	v_rcp_iflag_f32_e32 v28, s19
	v_add_nc_u32_e32 v17, 0x60, v60
	v_lshlrev_b32_e32 v18, 6, v18
	v_and_b32_e32 v2, 0x3ffc, v2
	v_and_b32_e32 v3, 0x3ffc, v3
	s_sub_co_i32 s20, 0, s0
	v_lshlrev_b32_e32 v30, 1, v17
	v_readfirstlane_b32 s19, v28
	v_and_b32_e32 v28, 3, v0
	v_add3_u32 v36, v3, v12, 0x4200
	v_add3_u32 v32, v2, v12, 0x4200
	v_and_b32_e32 v3, 0x3ffc, v30
	s_mul_f32 s19, s19, 0x4f7ffffe
	v_cmp_gt_u32_e32 vcc_lo, 2, v28
	v_add_nc_u32_e32 v2, 0x70, v60
	v_lshlrev_b32_e32 v34, 6, v16
	v_add3_u32 v30, v3, v12, 0x4200
	v_add_nc_u16 v3, v28, -2
	s_wait_loadcnt 0x0
	v_sub_nc_u32_e32 v31, 0, v9
	s_cvt_u32_f32 s19, s19
	v_dual_lshlrev_b32 v16, 1, v2 :: v_dual_lshlrev_b32 v14, 2, v84
	v_mov_b32_e32 v15, v13
	s_delay_alu instid0(SALU_CYCLE_1)
	s_mul_i32 s20, s20, s19
	v_dual_cndmask_b32 v3, v3, v28, vcc_lo :: v_dual_max_i32 v35, v9, v31
	s_mul_hi_u32 s20, s19, s20
	v_bfe_u32 v31, v0, 3, 7
	s_add_co_i32 s19, s19, s20
	v_and_b32_e32 v16, 0x3ffc, v16
	v_mul_hi_u32 v37, v35, s19
	v_and_b32_e32 v3, 0xff, v3
	v_lshl_add_u32 v68, v1, 2, v31
	v_lshlrev_b32_e32 v42, 6, v2
	v_add3_u32 v40, v16, v12, 0x4200
	s_ashr_i32 s14, s11, 31
	v_lshlrev_b32_e32 v16, 2, v3
	v_and_b32_e32 v2, 0x1ffc, v68
	v_add_nc_u32_e32 v3, 32, v68
	v_add_nc_u32_e32 v41, 0x60, v68
	v_dual_lshlrev_b32 v46, 5, v68 :: v_dual_lshlrev_b32 v49, 5, v11
	v_add_nc_u32_e32 v51, v19, v20
	v_add3_u32 v44, v2, v14, 0x6300
	v_add_nc_u32_e32 v2, 64, v68
	v_dual_lshlrev_b32 v33, 1, v28 :: v_dual_lshlrev_b32 v50, 5, v3
	v_mul_lo_u32 v28, v37, s0
	v_and_b32_e32 v39, 0x3ffc, v3
	s_delay_alu instid0(VALU_DEP_4)
	v_and_b32_e32 v43, 0x3ffc, v2
	v_lshlrev_b32_e32 v54, 5, v2
	v_and_b32_e32 v45, 0x1fc, v64
	s_lshr_b32 s10, s14, 24
	v_add3_u32 v48, v39, v14, 0x6300
	v_xor_b32_e32 v39, s7, v9
	v_add3_u32 v52, v43, v14, 0x6300
	s_add_co_i32 s10, s11, s10
	v_dual_add_nc_u32 v45, v49, v45 :: v_dual_sub_nc_u32 v28, v35, v28
	v_add_nc_u32_e32 v35, 1, v37
	s_ashr_i32 s10, s10, 8
	s_ashr_i32 s15, s5, 31
	s_lshl_b32 s1, s10, 3
	v_subrev_nc_u32_e32 v2, s0, v28
	v_cmp_le_u32_e32 vcc_lo, s0, v28
	s_lshr_b32 s12, s15, 27
	v_dual_add_nc_u32 v55, v24, v26 :: v_dual_lshlrev_b32 v76, 4, v64
	v_mad_i32_i24 v24, s10, v1, s1
	v_dual_cndmask_b32 v28, v28, v2 :: v_dual_lshlrev_b32 v21, 6, v21
	v_dual_mov_b32 v18, v13 :: v_dual_add_nc_u32 v57, v27, v18
	v_and_b32_e32 v3, 0x3ffc, v41
	v_lshlrev_b32_e32 v62, 5, v41
	s_add_co_i32 s5, s5, s12
	v_mad_u32_u24 v25, 0x84, v1, v7
	s_ashr_i32 s5, s5, 5
	v_add3_u32 v56, v3, v14, 0x6300
	v_dual_cndmask_b32 v3, v37, v35, vcc_lo :: v_dual_bitop2_b32 v37, 31, v0 bitop3:0x40
	v_cmp_le_u32_e32 vcc_lo, s0, v28
	v_dual_add_nc_u32 v53, v22, v23 :: v_dual_lshrrev_b32 v70, 1, v66
	s_delay_alu instid0(VALU_DEP_3) | instskip(SKIP_1) | instid1(VALU_DEP_2)
	v_dual_add_nc_u32 v41, 1, v3 :: v_dual_add_nc_u32 v65, v40, v42
	v_dual_mov_b32 v19, v13 :: v_dual_lshrrev_b32 v40, 4, v64
	v_dual_mov_b32 v20, v13 :: v_dual_cndmask_b32 v28, v3, v41, vcc_lo
	v_dual_mov_b32 v3, v13 :: v_dual_ashrrev_i32 v43, 31, v39
	v_add_nc_u32_e32 v39, 0x7ba0, v5
	v_dual_lshlrev_b32 v38, 6, v17 :: v_dual_bitop2_b32 v2, 28, v7 bitop3:0x40
	v_add_nc_u32_e32 v59, v32, v34
	s_delay_alu instid0(VALU_DEP_4) | instskip(SKIP_2) | instid1(VALU_DEP_3)
	v_xor_b32_e32 v5, v28, v43
	v_add_nc_u32_e32 v28, 0x60, v11
	v_dual_add_nc_u32 v41, v39, v7 :: v_dual_lshlrev_b32 v7, 4, v66
	v_dual_add_nc_u32 v67, v44, v46 :: v_dual_sub_nc_u32 v5, v5, v43
	s_delay_alu instid0(VALU_DEP_3)
	v_and_b32_e32 v43, 0x1fc, v28
	v_dual_lshlrev_b32 v42, 4, v28 :: v_dual_add_nc_u32 v69, v48, v50
	v_dual_lshrrev_b32 v44, 1, v28 :: v_dual_add_nc_u32 v71, v52, v54
	v_lshlrev_b32_e32 v46, 1, v28
	v_mul_lo_u32 v22, v5, s5
	v_dual_add_nc_u32 v73, v56, v62 :: v_dual_lshrrev_b32 v48, 4, v28
	v_lshrrev_b32_e32 v79, 3, v28
	v_dual_add_nc_u32 v28, s1, v24 :: v_dual_add_nc_u32 v63, v30, v38
	v_lshlrev_b32_e32 v38, 1, v64
	v_add_nc_u64_e32 v[26:27], s[2:3], v[2:3]
	s_delay_alu instid0(VALU_DEP_3) | instskip(SKIP_2) | instid1(VALU_DEP_3)
	v_dual_lshlrev_b32 v2, 1, v11 :: v_dual_add_nc_u32 v30, s1, v28
	v_dual_add_nc_u32 v61, v36, v21 :: v_dual_mov_b32 v21, v13
	v_dual_lshrrev_b32 v36, 1, v64 :: v_dual_lshlrev_b32 v98, 2, v7
	v_add_nc_u32_e32 v32, s1, v30
	v_dual_lshlrev_b32 v97, 2, v70 :: v_dual_lshlrev_b32 v102, 2, v76
	v_dual_lshlrev_b32 v104, 2, v38 :: v_dual_lshlrev_b32 v103, 2, v40
	s_delay_alu instid0(VALU_DEP_3) | instskip(SKIP_3) | instid1(VALU_DEP_3)
	v_dual_lshlrev_b32 v106, 2, v42 :: v_dual_add_nc_u32 v34, s1, v32
	v_lshlrev_b32_e32 v101, 2, v36
	v_dual_lshlrev_b32 v105, 2, v44 :: v_dual_lshlrev_b32 v108, 2, v46
	s_lshl_b32 s12, s10, 4
	v_add_nc_u32_e32 v36, s1, v34
	v_mad_i32_i24 v46, s10, v60, s12
	v_and_b32_e32 v47, 0x1fc, v66
	v_dual_lshlrev_b32 v72, 1, v66 :: v_dual_lshrrev_b32 v74, 4, v66
	s_delay_alu instid0(VALU_DEP_4) | instskip(NEXT) | instid1(VALU_DEP_4)
	v_add_nc_u32_e32 v38, s1, v36
	v_dual_lshlrev_b32 v107, 2, v48 :: v_dual_add_nc_u32 v50, s12, v46
	v_dual_lshrrev_b32 v75, 3, v66 :: v_dual_lshrrev_b32 v77, 3, v64
	s_delay_alu instid0(VALU_DEP_3) | instskip(SKIP_1) | instid1(VALU_DEP_3)
	v_add_nc_u32_e32 v42, s1, v38
	s_lshl_b32 s19, s10, 5
	v_add_nc_u32_e32 v54, s12, v50
	v_and_b32_e32 v0, 0xfc, v0
	v_dual_lshlrev_b32 v99, 2, v74 :: v_dual_lshlrev_b32 v100, 2, v72
	v_add_nc_u32_e32 v44, s1, v42
	s_delay_alu instid0(VALU_DEP_4) | instskip(SKIP_2) | instid1(VALU_DEP_4)
	v_add_nc_u32_e32 v62, s12, v54
	v_mul_i32_i24_e32 v64, s10, v68
	v_mad_i32_i24 v68, s10, v68, s19
	v_dual_add_nc_u32 v43, v49, v43 :: v_dual_add_nc_u32 v48, s1, v44
	s_delay_alu instid0(VALU_DEP_4) | instskip(SKIP_2) | instid1(VALU_DEP_4)
	v_dual_add_nc_u32 v70, s12, v62 :: v_dual_add_nc_u32 v47, v49, v47
	v_add_nc_u32_e32 v49, v49, v0
	v_mul_u32_u24_e32 v0, 33, v11
	v_add_nc_u32_e32 v52, s1, v48
	s_delay_alu instid0(VALU_DEP_4) | instskip(SKIP_2) | instid1(VALU_DEP_4)
	v_dual_lshlrev_b32 v127, 2, v8 :: v_dual_add_nc_u32 v74, s12, v70
	v_add_nc_u32_e32 v76, s19, v68
	v_lshl_add_u32 v35, v1, 7, 0x77a0
	v_add_nc_u32_e32 v56, s1, v52
	v_dual_lshlrev_b32 v81, 2, v0 :: v_dual_lshlrev_b32 v0, 4, v11
	s_mul_i32 s14, s10, s18
	v_cmp_gt_u32_e32 vcc_lo, 4, v11
	s_delay_alu instid0(VALU_DEP_3)
	v_add_nc_u32_e32 v66, s1, v56
	v_cmp_gt_i32_e64 s0, s4, v5
	s_ashr_i32 s15, s14, 31
	v_mov_b32_e32 v17, v13
	v_lshl_add_u32 v37, v37, 2, v35
	v_add_nc_u32_e32 v72, s1, v66
	v_ashrrev_i32_e32 v23, 31, v22
	v_dual_lshlrev_b32 v83, 2, v6 :: v_dual_lshlrev_b32 v85, 2, v0
	v_dual_lshlrev_b32 v96, 2, v2 :: v_dual_bitop2_b32 v87, 4, v2 bitop3:0x40
	s_delay_alu instid0(VALU_DEP_4)
	v_dual_add_nc_u32 v78, s1, v72 :: v_dual_add_nc_u32 v82, s12, v74
	v_cmp_lt_u32_e64 s1, 7, v4
	v_mul_i32_i24_e32 v40, s10, v1
	v_add_nc_u32_e32 v109, 0x420, v25
	v_add_nc_u32_e32 v110, 0x840, v25
	v_add_nc_u32_e32 v111, 0xc60, v25
	v_cndmask_b32_e64 v80, 0, 1, s1
	v_cmp_lt_u32_e64 s1, 3, v84
	v_add_nc_u32_e32 v112, 0x1080, v25
	v_add_nc_u32_e32 v113, 0x14a0, v25
	;; [unrolled: 1-line block ×12, first 2 shown]
	v_mul_i32_i24_e32 v58, s10, v58
	v_mul_i32_i24_e32 v60, s10, v60
	v_add_nc_u32_e32 v124, 0x6f00, v43
	v_add_nc_u32_e32 v125, 0x6700, v47
	;; [unrolled: 1-line block ×3, first 2 shown]
	v_cndmask_b32_e64 v84, 0, 1, s1
	v_add_nc_u32_e32 v86, s19, v76
	s_mul_u64 s[14:15], s[14:15], 0x6e
	s_and_b32 s19, vcc_lo, s0
	s_add_nc_u64 s[14:15], s[16:17], s[14:15]
	s_mov_b32 s12, s13
	s_branch .LBB189_5
.LBB189_4:                              ;   in Loop: Header=BB189_5 Depth=1
	s_add_co_i32 s12, s12, 2
	s_delay_alu instid0(SALU_CYCLE_1)
	s_cmp_ge_i32 s12, s10
	s_cbranch_scc1 .LBB189_38
.LBB189_5:                              ; =>This Loop Header: Depth=1
                                        ;     Child Loop BB189_11 Depth 2
                                        ;     Child Loop BB189_19 Depth 2
	;; [unrolled: 1-line block ×4, first 2 shown]
	s_mul_u64 s[16:17], s[12:13], 0x6e
	s_delay_alu instid0(SALU_CYCLE_1) | instskip(NEXT) | instid1(SALU_CYCLE_1)
	s_add_nc_u64 s[16:17], s[14:15], s[16:17]
	v_mad_nc_u64_u32 v[0:1], 0x6e, v8, s[16:17]
	v_mad_nc_u64_u32 v[2:3], 0x6e, v58, s[16:17]
	;; [unrolled: 1-line block ×4, first 2 shown]
	s_lshl_b32 s16, s12, 8
	s_delay_alu instid0(SALU_CYCLE_1) | instskip(NEXT) | instid1(VALU_DEP_4)
	s_cmp_lt_i32 s16, s11
	v_mad_nc_u64_u32 v[88:89], 0x6e, v40, v[0:1]
	v_mad_nc_u64_u32 v[90:91], 0x6e, v24, v[0:1]
	;; [unrolled: 1-line block ×11, first 2 shown]
	v_add_nc_u64_e32 v[88:89], v[88:89], v[12:13]
	v_add_nc_u64_e32 v[90:91], v[90:91], v[12:13]
	;; [unrolled: 1-line block ×3, first 2 shown]
	v_mad_nc_u64_u32 v[140:141], 0x6e, v48, v[0:1]
	v_add_nc_u64_e32 v[94:95], v[94:95], v[12:13]
	v_mad_nc_u64_u32 v[142:143], 0x6e, v52, v[0:1]
	v_add_nc_u64_e32 v[128:129], v[128:129], v[12:13]
	v_add_nc_u64_e32 v[130:131], v[130:131], v[12:13]
	;; [unrolled: 1-line block ×5, first 2 shown]
	s_clause 0x7
	global_load_b32 v152, v[88:89], off offset:32
	global_load_b32 v153, v[90:91], off offset:32
	;; [unrolled: 1-line block ×8, first 2 shown]
	s_wait_xcnt 0x6
	v_mad_nc_u64_u32 v[90:91], 0x6e, v56, v[0:1]
	s_wait_xcnt 0x5
	v_mad_nc_u64_u32 v[92:93], 0x6e, v66, v[0:1]
	s_wait_xcnt 0x4
	v_mad_nc_u64_u32 v[94:95], 0x6e, v72, v[0:1]
	v_mad_nc_u64_u32 v[0:1], 0x6e, v78, v[0:1]
	s_wait_xcnt 0x0
	v_mad_nc_u64_u32 v[134:135], 0x6e, v76, v[6:7]
	v_mad_nc_u64_u32 v[148:149], 0x6e, v64, v[6:7]
	v_add_nc_u64_e32 v[88:89], v[136:137], v[12:13]
	v_mad_nc_u64_u32 v[136:137], 0x6e, v86, v[6:7]
	global_load_u16 v160, v[2:3], off offset:108
	s_wait_xcnt 0x0
	v_mad_nc_u64_u32 v[2:3], 0x6e, v60, v[4:5]
	v_add_nc_u64_e32 v[128:129], v[138:139], v[12:13]
	v_mad_nc_u64_u32 v[138:139], 0x6e, v46, v[4:5]
	v_mad_nc_u64_u32 v[6:7], 0x6e, v68, v[6:7]
	v_add_nc_u64_e32 v[130:131], v[140:141], v[12:13]
	v_mad_nc_u64_u32 v[140:141], 0x6e, v50, v[4:5]
	v_add_nc_u64_e32 v[132:133], v[142:143], v[12:13]
	v_mad_nc_u64_u32 v[142:143], 0x6e, v54, v[4:5]
	v_mad_nc_u64_u32 v[144:145], 0x6e, v62, v[4:5]
	;; [unrolled: 1-line block ×3, first 2 shown]
	v_add_nc_u64_e32 v[90:91], v[90:91], v[12:13]
	v_mad_nc_u64_u32 v[150:151], 0x6e, v74, v[4:5]
	v_add_nc_u64_e32 v[92:93], v[92:93], v[12:13]
	v_add_nc_u64_e32 v[94:95], v[94:95], v[12:13]
	;; [unrolled: 1-line block ×3, first 2 shown]
	s_clause 0x9
	global_load_b32 v161, v[134:135], off offset:104
	global_load_b32 v162, v[136:137], off offset:104
	;; [unrolled: 1-line block ×10, first 2 shown]
	s_wait_xcnt 0x0
	v_add_nc_u64_e32 v[0:1], v[148:149], v[16:17]
	v_add_nc_u64_e32 v[90:91], v[134:135], v[16:17]
	s_clause 0x6
	global_load_b32 v92, v[2:3], off
	global_load_b32 v93, v[138:139], off
	;; [unrolled: 1-line block ×7, first 2 shown]
	s_wait_xcnt 0x6
	v_mad_nc_u64_u32 v[2:3], 0x6e, v82, v[4:5]
	v_add_nc_u64_e32 v[88:89], v[6:7], v[16:17]
	v_add_nc_u64_e32 v[4:5], v[136:137], v[16:17]
	s_clause 0x6
	global_load_b32 v131, v[0:1], off offset:96
	global_load_b32 v132, v[6:7], off offset:104
	;; [unrolled: 1-line block ×6, first 2 shown]
	global_load_b32 v137, v[2:3], off
	s_wait_loadcnt 0x20
	ds_store_b32 v25, v152
	s_wait_loadcnt 0x1f
	ds_store_b32 v109, v153
	;; [unrolled: 2-line block ×16, first 2 shown]
	s_wait_xcnt 0x0
	v_cvt_f32_f16_e64 v2, v160
	s_wait_loadcnt 0xd
	v_not_b32_e32 v3, v92
	s_wait_loadcnt 0x6
	v_ashrrev_i32_e32 v90, v87, v131
	v_not_b32_e32 v4, v93
	s_wait_loadcnt 0x3
	v_dual_ashrrev_i32 v93, v33, v132 :: v_dual_ashrrev_i32 v92, v87, v134
	s_wait_loadcnt 0x2
	v_dual_ashrrev_i32 v91, v33, v135 :: v_dual_ashrrev_i32 v0, v33, v161
	v_ashrrev_i32_e32 v1, v33, v162
	v_not_b32_e32 v5, v94
	v_ashrrev_i32_e32 v94, v87, v133
	v_not_b32_e32 v6, v95
	s_wait_loadcnt 0x1
	v_ashrrev_i32_e32 v95, v87, v136
	v_not_b32_e32 v7, v128
	ds_store_b32 v29, v2
	ds_store_b32 v51, v3
	;; [unrolled: 1-line block ×6, first 2 shown]
	v_and_b32_e32 v2, 0xf0f0f0f, v90
	v_dual_lshlrev_b32 v3, 4, v91 :: v_dual_lshlrev_b32 v5, 4, v93
	v_and_b32_e32 v4, 0xf0f0f0f, v92
	v_dual_lshlrev_b32 v0, 4, v0 :: v_dual_lshlrev_b32 v1, 4, v1
	v_and_b32_e32 v6, 0xf0f0f0f, v94
	v_and_b32_e32 v7, 0xf0f0f0f, v95
	v_and_or_b32 v2, 0x30303030, v3, v2
	v_and_or_b32 v3, 0x30303030, v5, v4
	v_not_b32_e32 v88, v129
	v_and_or_b32 v0, 0x30303030, v0, v6
	v_and_or_b32 v1, 0x30303030, v1, v7
	v_lshlrev_b16 v4, 8, v2
	v_dual_lshrrev_b32 v5, 16, v2 :: v_dual_lshrrev_b32 v7, 16, v3
	v_lshlrev_b16 v6, 8, v3
	ds_store_b32 v61, v88
	v_lshlrev_b16 v88, 8, v0
	v_dual_lshrrev_b32 v90, 16, v0 :: v_dual_lshrrev_b32 v92, 16, v1
	v_add_nc_u16 v4, 0xe000, v4
	v_lshlrev_b16 v93, 8, v5
	v_add_nc_u16 v6, 0xe000, v6
	v_lshlrev_b16 v94, 8, v7
	;; [unrolled: 2-line block ×3, first 2 shown]
	v_lshlrev_b16 v91, 8, v1
	v_lshlrev_b16 v129, 8, v92
	v_lshrrev_b16 v4, 8, v4
	v_add_nc_u16 v93, 0xe000, v93
	v_lshrrev_b16 v6, 8, v6
	v_add_nc_u16 v94, 0xe000, v94
	;; [unrolled: 2-line block ×3, first 2 shown]
	v_add_nc_u16 v91, 0xe000, v91
	v_add_nc_u16 v129, 0xe000, v129
	v_bitop3_b16 v2, v2, v4, 0x3f00 bitop3:0xec
	v_lshrrev_b16 v4, 8, v93
	v_bitop3_b16 v3, v3, v6, 0x3f00 bitop3:0xec
	v_lshrrev_b16 v6, 8, v94
	;; [unrolled: 2-line block ×3, first 2 shown]
	v_lshrrev_b16 v91, 8, v91
	v_lshrrev_b16 v93, 8, v129
	v_bitop3_b16 v4, v5, v4, 0x3f00 bitop3:0xec
	v_bitop3_b16 v5, v7, v6, 0x3f00 bitop3:0xec
	;; [unrolled: 1-line block ×5, first 2 shown]
	v_add_nc_u16 v2, 0xe000, v2
	v_add_nc_u16 v4, 0xe000, v4
	;; [unrolled: 1-line block ×8, first 2 shown]
	v_and_b32_e32 v2, 0xffff, v2
	v_dual_lshlrev_b32 v4, 16, v4 :: v_dual_lshlrev_b32 v5, 16, v5
	v_and_b32_e32 v3, 0xffff, v3
	v_and_b32_e32 v0, 0xffff, v0
	v_dual_lshlrev_b32 v6, 16, v6 :: v_dual_lshlrev_b32 v7, 16, v7
	v_and_b32_e32 v1, 0xffff, v1
	v_not_b32_e32 v89, v130
	s_wait_loadcnt 0x0
	v_not_b32_e32 v128, v137
	v_or_b32_e32 v2, v2, v4
	v_or_b32_e32 v3, v3, v5
	;; [unrolled: 1-line block ×4, first 2 shown]
	ds_store_b32 v63, v89
	ds_store_b32 v65, v128
	;; [unrolled: 1-line block ×6, first 2 shown]
	s_cbranch_scc0 .LBB189_4
; %bb.6:                                ;   in Loop: Header=BB189_5 Depth=1
	s_lshl_b32 s17, s12, 3
	s_delay_alu instid0(SALU_CYCLE_1) | instskip(NEXT) | instid1(VALU_DEP_1)
	v_add_nc_u32_e32 v0, s17, v31
	v_cmp_gt_i32_e64 s1, s5, v0
	s_and_b32 s20, s0, s1
	s_delay_alu instid0(SALU_CYCLE_1)
	s_and_saveexec_b32 s1, s20
	s_cbranch_execz .LBB189_8
; %bb.7:                                ;   in Loop: Header=BB189_5 Depth=1
	v_add_nc_u32_e32 v0, v22, v0
	s_delay_alu instid0(VALU_DEP_1)
	v_mad_nc_i64_i32 v[0:1], v0, 36, v[26:27]
	global_load_b32 v0, v[0:1], off offset:4
	s_wait_loadcnt 0x0
	ds_store_b32 v37, v0
.LBB189_8:                              ;   in Loop: Header=BB189_5 Depth=1
	s_or_b32 exec_lo, exec_lo, s1
	v_add_nc_u32_e32 v88, s17, v11
	s_delay_alu instid0(VALU_DEP_1) | instskip(SKIP_1) | instid1(SALU_CYCLE_1)
	v_cmp_gt_i32_e64 s1, s5, v88
	s_and_b32 s20, s19, s1
	s_and_saveexec_b32 s1, s20
	s_cbranch_execz .LBB189_10
; %bb.9:                                ;   in Loop: Header=BB189_5 Depth=1
	v_add_nc_u32_e32 v0, v22, v88
	s_delay_alu instid0(VALU_DEP_1)
	v_mad_nc_i64_i32 v[0:1], v0, 36, s[2:3]
	global_load_b32 v0, v[0:1], off
	s_wait_loadcnt 0x0
	v_cvt_f32_f16_e32 v0, v0
	ds_store_b32 v41, v0
.LBB189_10:                             ;   in Loop: Header=BB189_5 Depth=1
	s_or_b32 exec_lo, exec_lo, s1
	v_dual_mov_b32 v89, v39 :: v_dual_mov_b32 v91, v35
	s_mov_b32 s22, -2
	s_mov_b32 s1, 0
	s_mov_b32 s20, 0
	s_wait_dscnt 0x0
	s_barrier_signal -1
	s_barrier_wait -1
.LBB189_11:                             ;   Parent Loop BB189_5 Depth=1
                                        ; =>  This Inner Loop Header: Depth=2
	s_add_co_i32 s21, s22, 2
	s_and_b32 s23, s20, -16
	s_and_b32 s25, s21, 0x3ffffff8
	s_lshr_b32 s24, s21, 4
	s_add_co_i32 s22, s22, s23
	v_lshl_add_u32 v92, s25, 2, v81
	s_lshl_b32 s23, s24, 5
	v_dual_add_nc_u32 v93, s22, v125 :: v_dual_add_nc_u32 v94, s22, v124
	s_lshl_b32 s24, s24, 2
	v_dual_add_nc_u32 v95, s22, v45 :: v_dual_add_nc_u32 v128, s22, v126
	s_addk_co_i32 s23, 0x4200
	s_addk_co_i32 s24, 0x7380
	v_add3_u32 v129, s23, v83, v85
	v_add_nc_u32_e32 v194, 0x2118, v92
	v_add_nc_u32_e32 v196, 0x3180, v92
	;; [unrolled: 1-line block ×5, first 2 shown]
	ds_load_b128 v[4:7], v91
	ds_load_b128 v[0:3], v91 offset:16
	ds_load_b32 v90, v89
	v_add3_u32 v130, s24, v127, v96
	v_add3_u32 v131, s23, v97, v98
	;; [unrolled: 1-line block ×7, first 2 shown]
	ds_load_2addr_b32 v[144:145], v92 offset1:1
	ds_load_2addr_b32 v[146:147], v92 offset0:2 offset1:3
	ds_load_2addr_b32 v[148:149], v92 offset0:4 offset1:5
	;; [unrolled: 1-line block ×3, first 2 shown]
	v_add_nc_u32_e32 v137, 0x1080, v92
	v_add_nc_u32_e32 v138, 0x1088, v92
	;; [unrolled: 1-line block ×7, first 2 shown]
	ds_load_u16 v208, v93 offset:2
	ds_load_u16 v209, v94 offset:2
	;; [unrolled: 1-line block ×4, first 2 shown]
	ds_load_2addr_b32 v[152:153], v129 offset1:1
	ds_load_2addr_b32 v[154:155], v129 offset0:2 offset1:3
	ds_load_2addr_b32 v[156:157], v129 offset0:4 offset1:5
	;; [unrolled: 1-line block ×5, first 2 shown]
	ds_load_b32 v95, v132
	ds_load_b32 v92, v134
	ds_load_2addr_b32 v[164:165], v135 offset0:2 offset1:3
	ds_load_2addr_b32 v[166:167], v135 offset0:4 offset1:5
	ds_load_b32 v93, v136
	ds_load_b32 v94, v130
	ds_load_2addr_b32 v[168:169], v131 offset1:1
	ds_load_2addr_b32 v[170:171], v131 offset0:6 offset1:7
	ds_load_2addr_b32 v[172:173], v133 offset1:1
	ds_load_2addr_b32 v[174:175], v133 offset0:2 offset1:3
	ds_load_2addr_b32 v[176:177], v133 offset0:4 offset1:5
	;; [unrolled: 1-line block ×3, first 2 shown]
	ds_load_2addr_b32 v[180:181], v135 offset1:1
	ds_load_2addr_b32 v[182:183], v135 offset0:6 offset1:7
	ds_load_2addr_b32 v[184:185], v137 offset1:1
	ds_load_2addr_b32 v[186:187], v138 offset1:1
	;; [unrolled: 1-line block ×12, first 2 shown]
	s_wait_dscnt 0x16
	v_dual_ashrrev_i32 v166, s1, v166 :: v_dual_ashrrev_i32 v167, s1, v167
	v_dual_ashrrev_i32 v152, s1, v152 :: v_dual_ashrrev_i32 v153, s1, v153
	v_dual_ashrrev_i32 v158, s1, v158 :: v_dual_ashrrev_i32 v159, s1, v159
	s_delay_alu instid0(VALU_DEP_3) | instskip(SKIP_3) | instid1(VALU_DEP_3)
	v_dual_lshlrev_b32 v166, 2, v166 :: v_dual_lshlrev_b32 v167, 2, v167
	s_wait_dscnt 0xd
	v_dual_ashrrev_i32 v180, s1, v180 :: v_dual_ashrrev_i32 v181, s1, v181
	v_dual_lshlrev_b32 v152, 2, v152 :: v_dual_lshlrev_b32 v153, 2, v153
	v_and_b32_e32 v167, 0x4040404, v167
	v_and_b32_e32 v166, 0x4040404, v166
	s_wait_dscnt 0x5
	v_dual_ashrrev_i32 v196, s21, v196 :: v_dual_ashrrev_i32 v197, s21, v197
	v_dual_lshlrev_b32 v180, 2, v180 :: v_dual_lshlrev_b32 v181, 2, v181
	s_wait_dscnt 0x1
	v_dual_ashrrev_i32 v204, s21, v204 :: v_dual_ashrrev_i32 v205, s21, v205
	s_set_vgpr_msb 64                       ;  msbs: dst=1 src0=0 src1=0 src2=0
	v_bfe_u32 v19 /*v275*/, v197, 24, 2
	s_set_vgpr_msb 0                        ;  msbs: dst=0 src0=0 src1=0 src2=0
	v_and_b32_e32 v197, 0x3030303, v197
	s_set_vgpr_msb 64                       ;  msbs: dst=1 src0=0 src1=0 src2=0
	v_lshrrev_b32_e32 v69 /*v325*/, 24, v167
	v_and_b32_e32 v15 /*v271*/, 0x3030303, v204
	v_bfe_u32 v16 /*v272*/, v205, 24, 2
	s_set_vgpr_msb 0                        ;  msbs: dst=0 src0=0 src1=0 src2=0
	v_and_b32_e32 v205, 0x3030303, v205
	v_bfe_u32 v204, v204, 24, 2
	s_set_vgpr_msb 64                       ;  msbs: dst=1 src0=0 src1=0 src2=0
	v_lshrrev_b32_e32 v33 /*v289*/, 16, v197
	s_set_vgpr_msb 0                        ;  msbs: dst=0 src0=0 src1=0 src2=0
	v_and_b32_e32 v152, 0x4040404, v152
	s_set_vgpr_msb 0x45                     ;  msbs: dst=1 src0=1 src1=1 src2=0
	v_sub_nc_u16 v16 /*v272*/, v16 /*v272*/, v69 /*v325*/
	s_set_vgpr_msb 64                       ;  msbs: dst=1 src0=0 src1=0 src2=0
	v_dual_lshrrev_b32 v31 /*v287*/, 16, v205 :: v_dual_lshrrev_b32 v69 /*v325*/, 24, v166
	s_set_vgpr_msb 0                        ;  msbs: dst=0 src0=0 src1=0 src2=0
	v_dual_ashrrev_i32 v156, s1, v156 :: v_dual_ashrrev_i32 v157, s1, v157
	v_dual_lshlrev_b32 v158, 2, v158 :: v_dual_lshlrev_b32 v159, 2, v159
	s_set_vgpr_msb 4                        ;  msbs: dst=0 src0=0 src1=1 src2=0
	v_sub_nc_u16 v204, v204, v69 /*v325*/
	s_set_vgpr_msb 64                       ;  msbs: dst=1 src0=0 src1=0 src2=0
	v_lshrrev_b32_e32 v69 /*v325*/, 16, v167
	v_and_b32_e32 v14 /*v270*/, 0x3030303, v196
	s_set_vgpr_msb 0                        ;  msbs: dst=0 src0=0 src1=0 src2=0
	v_and_b32_e32 v181, 0x4040404, v181
	s_set_vgpr_msb 0x44                     ;  msbs: dst=1 src0=0 src1=1 src2=0
	v_lshrrev_b32_e32 v30 /*v286*/, 16, v15 /*v271*/
	s_set_vgpr_msb 0                        ;  msbs: dst=0 src0=0 src1=0 src2=0
	v_dual_lshlrev_b32 v156, 2, v156 :: v_dual_lshlrev_b32 v157, 2, v157
	s_set_vgpr_msb 0x45                     ;  msbs: dst=1 src0=1 src1=1 src2=0
	v_sub_nc_u16 v31 /*v287*/, v31 /*v287*/, v69 /*v325*/
	s_set_vgpr_msb 64                       ;  msbs: dst=1 src0=0 src1=0 src2=0
	v_lshrrev_b32_e32 v69 /*v325*/, 16, v166
	s_set_vgpr_msb 0                        ;  msbs: dst=0 src0=0 src1=0 src2=0
	v_and_b32_e32 v180, 0x4040404, v180
	v_and_b32_e32 v158, 0x4040404, v158
	s_set_vgpr_msb 0x44                     ;  msbs: dst=1 src0=0 src1=1 src2=0
	v_lshrrev_b32_e32 v32 /*v288*/, 16, v14 /*v270*/
	s_set_vgpr_msb 0                        ;  msbs: dst=0 src0=0 src1=0 src2=0
	v_bfe_u32 v196, v196, 24, 2
	s_set_vgpr_msb 0x45                     ;  msbs: dst=1 src0=1 src1=1 src2=0
	v_sub_nc_u16 v30 /*v286*/, v30 /*v286*/, v69 /*v325*/
	s_set_vgpr_msb 64                       ;  msbs: dst=1 src0=0 src1=0 src2=0
	v_lshrrev_b32_e32 v69 /*v325*/, 24, v181
	s_set_vgpr_msb 0                        ;  msbs: dst=0 src0=0 src1=0 src2=0
	v_and_b32_e32 v157, 0x4040404, v157
	v_dual_ashrrev_i32 v144, s21, v144 :: v_dual_ashrrev_i32 v145, s21, v145
	v_and_b32_e32 v159, 0x4040404, v159
	s_set_vgpr_msb 0x45                     ;  msbs: dst=1 src0=1 src1=1 src2=0
	v_sub_nc_u16 v19 /*v275*/, v19 /*v275*/, v69 /*v325*/
	s_set_vgpr_msb 64                       ;  msbs: dst=1 src0=0 src1=0 src2=0
	v_lshrrev_b32_e32 v69 /*v325*/, 24, v180
	s_set_vgpr_msb 0                        ;  msbs: dst=0 src0=0 src1=0 src2=0
	v_and_b32_e32 v238, 0x3030303, v144
	s_set_vgpr_msb 0x44                     ;  msbs: dst=1 src0=0 src1=1 src2=0
	v_lshrrev_b16 v34 /*v290*/, 8, v14 /*v270*/
	s_set_vgpr_msb 0x41                     ;  msbs: dst=1 src0=1 src1=0 src2=0
	v_sub_nc_u16 v14 /*v270*/, v14 /*v270*/, v180
	s_set_vgpr_msb 0                        ;  msbs: dst=0 src0=0 src1=0 src2=0
	v_dual_ashrrev_i32 v148, s21, v148 :: v_dual_ashrrev_i32 v149, s21, v149
	s_set_vgpr_msb 4                        ;  msbs: dst=0 src0=0 src1=1 src2=0
	v_sub_nc_u16 v196, v196, v69 /*v325*/
	s_set_vgpr_msb 64                       ;  msbs: dst=1 src0=0 src1=0 src2=0
	v_lshrrev_b32_e32 v69 /*v325*/, 16, v181
	s_set_vgpr_msb 0                        ;  msbs: dst=0 src0=0 src1=0 src2=0
	v_and_b32_e32 v239, 0x3030303, v145
	v_lshrrev_b32_e32 v247, 16, v238
	v_dual_ashrrev_i32 v154, s1, v154 :: v_dual_ashrrev_i32 v155, s1, v155
	s_set_vgpr_msb 0x45                     ;  msbs: dst=1 src0=1 src1=1 src2=0
	v_sub_nc_u16 v33 /*v289*/, v33 /*v289*/, v69 /*v325*/
	s_set_vgpr_msb 64                       ;  msbs: dst=1 src0=0 src1=0 src2=0
	v_lshrrev_b32_e32 v69 /*v325*/, 16, v180
	s_set_vgpr_msb 1                        ;  msbs: dst=0 src0=1 src1=0 src2=0
	v_lshrrev_b16 v180, 8, v180
	v_and_b32_e32 v242, 0x3030303, v148
	v_lshrrev_b16 v246, 8, v238
	v_lshrrev_b32_e32 v249, 16, v239
	v_and_b32_e32 v153, 0x4040404, v153
	v_sub_nc_u16 v180, v34 /*v290*/, v180
	s_set_vgpr_msb 64                       ;  msbs: dst=1 src0=0 src1=0 src2=0
	v_lshrrev_b32_e32 v34 /*v290*/, 16, v152
	s_set_vgpr_msb 0                        ;  msbs: dst=0 src0=0 src1=0 src2=0
	v_sub_nc_u16 v238, v238, v152
	v_dual_ashrrev_i32 v146, s21, v146 :: v_dual_ashrrev_i32 v147, s21, v147
	v_dual_lshlrev_b32 v154, 2, v154 :: v_dual_lshlrev_b32 v155, 2, v155
	s_set_vgpr_msb 4                        ;  msbs: dst=0 src0=0 src1=1 src2=0
	v_sub_nc_u16 v247, v247, v34 /*v290*/
	s_set_vgpr_msb 64                       ;  msbs: dst=1 src0=0 src1=0 src2=0
	v_lshrrev_b32_e32 v34 /*v290*/, 24, v152
	s_set_vgpr_msb 0                        ;  msbs: dst=0 src0=0 src1=0 src2=0
	v_lshrrev_b16 v152, 8, v152
	v_lshrrev_b32_e32 v255, 16, v242
	v_and_b32_e32 v240, 0x3030303, v146
	v_lshrrev_b16 v248, 8, v239
	v_and_b32_e32 v154, 0x4040404, v154
	v_sub_nc_u16 v152, v246, v152
	v_lshrrev_b32_e32 v246, 16, v153
	v_sub_nc_u16 v239, v239, v153
	v_lshrrev_b16 v251, 8, v240
	v_and_b32_e32 v241, 0x3030303, v147
	v_lshrrev_b32_e32 v250, 16, v240
	v_sub_nc_u16 v246, v249, v246
	v_lshrrev_b32_e32 v249, 24, v153
	v_lshrrev_b16 v153, 8, v153
	v_and_b32_e32 v155, 0x4040404, v155
	v_sub_nc_u16 v240, v240, v154
	v_lshrrev_b32_e32 v253, 16, v241
	v_lshrrev_b16 v252, 8, v241
	v_sub_nc_u16 v153, v248, v153
	v_lshrrev_b16 v248, 8, v154
	v_and_b32_e32 v156, 0x4040404, v156
	v_sub_nc_u16 v241, v241, v155
	v_dual_ashrrev_i32 v150, s21, v150 :: v_dual_ashrrev_i32 v151, s21, v151
	s_delay_alu instid0(VALU_DEP_4)
	v_sub_nc_u16 v248, v251, v248
	v_dual_lshrrev_b32 v251, 24, v154 :: v_dual_lshrrev_b32 v154, 16, v154
	v_and_b32_e32 v243, 0x3030303, v149
	v_lshrrev_b16 v254, 8, v242
	v_sub_nc_u16 v242, v242, v156
	v_and_b32_e32 v244, 0x3030303, v150
	v_sub_nc_u16 v154, v250, v154
	v_lshrrev_b32_e32 v250, 16, v155
	s_set_vgpr_msb 64                       ;  msbs: dst=1 src0=0 src1=0 src2=0
	v_lshrrev_b32_e32 v1 /*v257*/, 16, v243
	s_set_vgpr_msb 0                        ;  msbs: dst=0 src0=0 src1=0 src2=0
	v_dual_ashrrev_i32 v160, s1, v160 :: v_dual_ashrrev_i32 v161, s1, v161
	s_set_vgpr_msb 64                       ;  msbs: dst=1 src0=0 src1=0 src2=0
	v_lshrrev_b16 v0 /*v256*/, 8, v243
	s_set_vgpr_msb 0                        ;  msbs: dst=0 src0=0 src1=0 src2=0
	v_sub_nc_u16 v250, v253, v250
	v_lshrrev_b32_e32 v253, 24, v155
	v_lshrrev_b16 v155, 8, v155
	s_set_vgpr_msb 64                       ;  msbs: dst=1 src0=0 src1=0 src2=0
	v_lshrrev_b32_e32 v2 /*v258*/, 16, v244
	s_set_vgpr_msb 0                        ;  msbs: dst=0 src0=0 src1=0 src2=0
	v_sub_nc_u16 v243, v243, v157
	v_dual_lshlrev_b32 v160, 2, v160 :: v_dual_lshlrev_b32 v161, 2, v161
	v_sub_nc_u16 v155, v252, v155
	v_lshrrev_b32_e32 v252, 16, v156
	s_set_vgpr_msb 64                       ;  msbs: dst=1 src0=0 src1=0 src2=0
	v_lshrrev_b16 v3 /*v259*/, 8, v244
	s_set_vgpr_msb 0                        ;  msbs: dst=0 src0=0 src1=0 src2=0
	v_and_b32_e32 v245, 0x3030303, v151
	v_dual_ashrrev_i32 v198, s21, v198 :: v_dual_ashrrev_i32 v199, s21, v199
	v_sub_nc_u16 v252, v255, v252
	v_lshrrev_b32_e32 v255, 24, v156
	v_lshrrev_b16 v156, 8, v156
	v_and_b32_e32 v160, 0x4040404, v160
	v_sub_nc_u16 v244, v244, v158
	v_dual_ashrrev_i32 v186, s21, v186 :: v_dual_ashrrev_i32 v187, s21, v187
	s_delay_alu instid0(VALU_DEP_4)
	v_sub_nc_u16 v156, v254, v156
	v_lshrrev_b32_e32 v254, 16, v157
	s_set_vgpr_msb 64                       ;  msbs: dst=1 src0=0 src1=0 src2=0
	v_bfe_u32 v24 /*v280*/, v199, 24, 2
	s_set_vgpr_msb 0                        ;  msbs: dst=0 src0=0 src1=0 src2=0
	v_and_b32_e32 v199, 0x3030303, v199
	s_set_vgpr_msb 64                       ;  msbs: dst=1 src0=0 src1=0 src2=0
	v_lshrrev_b32_e32 v5 /*v261*/, 16, v245
	s_set_vgpr_msb 1                        ;  msbs: dst=0 src0=1 src1=0 src2=0
	v_dual_ashrrev_i32 v162, s1, v162 :: v_dual_ashrrev_i32 v163, s1, v163
	v_sub_nc_u16 v254, v1 /*v257*/, v254
	s_set_vgpr_msb 64                       ;  msbs: dst=1 src0=0 src1=0 src2=0
	v_lshrrev_b32_e32 v1 /*v257*/, 24, v157
	s_set_vgpr_msb 0                        ;  msbs: dst=0 src0=0 src1=0 src2=0
	v_lshrrev_b16 v157, 8, v157
	v_bfe_u32 v151, v151, 24, 2
	v_dual_ashrrev_i32 v184, s21, v184 :: v_dual_ashrrev_i32 v185, s21, v185
	s_set_vgpr_msb 64                       ;  msbs: dst=1 src0=0 src1=0 src2=0
	v_lshrrev_b16 v4 /*v260*/, 8, v245
	s_set_vgpr_msb 1                        ;  msbs: dst=0 src0=1 src1=0 src2=0
	v_sub_nc_u16 v157, v0 /*v256*/, v157
	s_set_vgpr_msb 64                       ;  msbs: dst=1 src0=0 src1=0 src2=0
	v_lshrrev_b16 v0 /*v256*/, 8, v158
	v_and_b32_e32 v8 /*v264*/, 0x3030303, v186
	v_lshrrev_b32_e32 v49 /*v305*/, 16, v199
	s_set_vgpr_msb 0                        ;  msbs: dst=0 src0=0 src1=0 src2=0
	v_sub_nc_u16 v245, v245, v159
	v_dual_ashrrev_i32 v164, s1, v164 :: v_dual_ashrrev_i32 v165, s1, v165
	s_set_vgpr_msb 0x45                     ;  msbs: dst=1 src0=1 src1=1 src2=0
	v_sub_nc_u16 v0 /*v256*/, v3 /*v259*/, v0 /*v256*/
	s_set_vgpr_msb 64                       ;  msbs: dst=1 src0=0 src1=0 src2=0
	v_lshrrev_b32_e32 v3 /*v259*/, 24, v158
	s_set_vgpr_msb 1                        ;  msbs: dst=0 src0=1 src1=0 src2=0
	v_dual_lshrrev_b32 v158, 16, v158 :: v_dual_ashrrev_i32 v168, s1, v168
	v_dual_ashrrev_i32 v169, s1, v169 :: v_dual_ashrrev_i32 v200, s21, v200
	v_ashrrev_i32_e32 v201, s21, v201
	s_delay_alu instid0(VALU_DEP_3)
	v_sub_nc_u16 v158, v2 /*v258*/, v158
	s_set_vgpr_msb 64                       ;  msbs: dst=1 src0=0 src1=0 src2=0
	v_lshrrev_b32_e32 v2 /*v258*/, 16, v159
	s_set_vgpr_msb 0                        ;  msbs: dst=0 src0=0 src1=0 src2=0
	v_dual_lshlrev_b32 v162, 2, v162 :: v_dual_lshlrev_b32 v163, 2, v163
	s_set_vgpr_msb 64                       ;  msbs: dst=1 src0=0 src1=0 src2=0
	v_and_b32_e32 v6 /*v262*/, 0x3030303, v184
	s_set_vgpr_msb 0                        ;  msbs: dst=0 src0=0 src1=0 src2=0
	v_bfe_u32 v186, v186, 24, 2
	s_set_vgpr_msb 0x45                     ;  msbs: dst=1 src0=1 src1=1 src2=0
	v_sub_nc_u16 v2 /*v258*/, v5 /*v261*/, v2 /*v258*/
	s_set_vgpr_msb 64                       ;  msbs: dst=1 src0=0 src1=0 src2=0
	v_lshrrev_b32_e32 v5 /*v261*/, 24, v159
	s_set_vgpr_msb 0                        ;  msbs: dst=0 src0=0 src1=0 src2=0
	v_lshrrev_b16 v159, 8, v159
	s_set_vgpr_msb 64                       ;  msbs: dst=1 src0=0 src1=0 src2=0
	v_and_b32_e32 v9 /*v265*/, 0x3030303, v187
	s_set_vgpr_msb 0                        ;  msbs: dst=0 src0=0 src1=0 src2=0
	v_and_b32_e32 v161, 0x4040404, v161
	s_set_vgpr_msb 0x44                     ;  msbs: dst=1 src0=0 src1=1 src2=0
	v_lshrrev_b16 v41 /*v297*/, 8, v8 /*v264*/
	s_set_vgpr_msb 4                        ;  msbs: dst=0 src0=0 src1=1 src2=0
	v_sub_nc_u16 v151, v151, v5 /*v261*/
	s_set_vgpr_msb 64                       ;  msbs: dst=1 src0=0 src1=0 src2=0
	v_lshrrev_b32_e32 v5 /*v261*/, 24, v160
	s_set_vgpr_msb 1                        ;  msbs: dst=0 src0=1 src1=0 src2=0
	v_sub_nc_u16 v159, v4 /*v260*/, v159
	s_set_vgpr_msb 64                       ;  msbs: dst=1 src0=0 src1=0 src2=0
	v_lshrrev_b16 v4 /*v260*/, 8, v160
	s_set_vgpr_msb 0                        ;  msbs: dst=0 src0=0 src1=0 src2=0
	v_dual_ashrrev_i32 v170, s1, v170 :: v_dual_ashrrev_i32 v171, s1, v171
	v_dual_ashrrev_i32 v172, s1, v172 :: v_dual_ashrrev_i32 v173, s1, v173
	v_bfe_u32 v144, v144, 24, 2
	v_dual_lshlrev_b32 v164, 2, v164 :: v_dual_lshlrev_b32 v165, 2, v165
	v_dual_lshlrev_b32 v168, 2, v168 :: v_dual_lshlrev_b32 v169, 2, v169
	v_bfe_u32 v187, v187, 24, 2
	s_set_vgpr_msb 64                       ;  msbs: dst=1 src0=0 src1=0 src2=0
	v_and_b32_e32 v10 /*v266*/, 0x3030303, v200
	v_and_b32_e32 v11 /*v267*/, 0x3030303, v201
	s_set_vgpr_msb 0                        ;  msbs: dst=0 src0=0 src1=0 src2=0
	v_and_b32_e32 v162, 0x4040404, v162
	v_and_b32_e32 v163, 0x4040404, v163
	s_set_vgpr_msb 0x44                     ;  msbs: dst=1 src0=0 src1=1 src2=0
	v_dual_lshrrev_b32 v38 /*v294*/, 16, v6 /*v262*/ :: v_dual_lshrrev_b32 v40 /*v296*/, 16, v8 /*v264*/
	v_lshrrev_b16 v42 /*v298*/, 8, v9 /*v265*/
	v_dual_lshrrev_b32 v43 /*v299*/, 16, v9 /*v265*/ :: v_dual_lshrrev_b32 v45 /*v301*/, 16, v10 /*v266*/
	s_set_vgpr_msb 0x41                     ;  msbs: dst=1 src0=1 src1=0 src2=0
	v_sub_nc_u16 v8 /*v264*/, v8 /*v264*/, v160
	s_set_vgpr_msb 0                        ;  msbs: dst=0 src0=0 src1=0 src2=0
	v_lshrrev_b32_e32 v160, 16, v160
	s_set_vgpr_msb 0x45                     ;  msbs: dst=1 src0=1 src1=1 src2=0
	v_sub_nc_u16 v4 /*v260*/, v41 /*v297*/, v4 /*v260*/
	s_set_vgpr_msb 64                       ;  msbs: dst=1 src0=0 src1=0 src2=0
	v_lshrrev_b32_e32 v41 /*v297*/, 24, v161
	s_set_vgpr_msb 4                        ;  msbs: dst=0 src0=0 src1=1 src2=0
	v_sub_nc_u16 v186, v186, v5 /*v261*/
	s_set_vgpr_msb 0x41                     ;  msbs: dst=1 src0=1 src1=0 src2=0
	v_lshrrev_b32_e32 v5 /*v261*/, 16, v161
	v_sub_nc_u16 v9 /*v265*/, v9 /*v265*/, v161
	s_set_vgpr_msb 0                        ;  msbs: dst=0 src0=0 src1=0 src2=0
	v_lshrrev_b16 v161, 8, v161
	v_dual_ashrrev_i32 v174, s1, v174 :: v_dual_ashrrev_i32 v175, s1, v175
	v_dual_ashrrev_i32 v176, s1, v176 :: v_dual_ashrrev_i32 v177, s1, v177
	;; [unrolled: 1-line block ×6, first 2 shown]
	v_dual_lshlrev_b32 v170, 2, v170 :: v_dual_lshlrev_b32 v171, 2, v171
	v_dual_lshlrev_b32 v172, 2, v172 :: v_dual_lshlrev_b32 v173, 2, v173
	v_bfe_u32 v200, v200, 24, 2
	v_bfe_u32 v201, v201, 24, 2
	s_set_vgpr_msb 64                       ;  msbs: dst=1 src0=0 src1=0 src2=0
	v_and_b32_e32 v20 /*v276*/, 0x3030303, v198
	s_set_vgpr_msb 0                        ;  msbs: dst=0 src0=0 src1=0 src2=0
	v_and_b32_e32 v164, 0x4040404, v164
	v_and_b32_e32 v165, 0x4040404, v165
	v_and_b32_e32 v168, 0x4040404, v168
	s_set_vgpr_msb 0x44                     ;  msbs: dst=1 src0=0 src1=1 src2=0
	v_lshrrev_b16 v44 /*v300*/, 8, v10 /*v266*/
	v_dual_lshrrev_b32 v47 /*v303*/, 16, v11 /*v267*/ :: v_dual_lshrrev_b32 v48 /*v304*/, 16, v20 /*v276*/
	s_set_vgpr_msb 4                        ;  msbs: dst=0 src0=0 src1=1 src2=0
	v_sub_nc_u16 v144, v144, v34 /*v290*/
	s_set_vgpr_msb 1                        ;  msbs: dst=0 src0=1 src1=0 src2=0
	v_sub_nc_u16 v160, v40 /*v296*/, v160
	s_set_vgpr_msb 64                       ;  msbs: dst=1 src0=0 src1=0 src2=0
	v_lshrrev_b32_e32 v40 /*v296*/, 16, v162
	s_set_vgpr_msb 0x45                     ;  msbs: dst=1 src0=1 src1=1 src2=0
	v_sub_nc_u16 v5 /*v261*/, v43 /*v299*/, v5 /*v261*/
	s_set_vgpr_msb 0x41                     ;  msbs: dst=1 src0=1 src1=0 src2=0
	v_lshrrev_b32_e32 v43 /*v299*/, 24, v162
	v_sub_nc_u16 v10 /*v266*/, v10 /*v266*/, v162
	s_set_vgpr_msb 0                        ;  msbs: dst=0 src0=0 src1=0 src2=0
	v_lshrrev_b16 v162, 8, v162
	s_set_vgpr_msb 4                        ;  msbs: dst=0 src0=0 src1=1 src2=0
	v_sub_nc_u16 v187, v187, v41 /*v297*/
	s_set_vgpr_msb 64                       ;  msbs: dst=1 src0=0 src1=0 src2=0
	v_lshrrev_b32_e32 v41 /*v297*/, 16, v163
	s_set_vgpr_msb 1                        ;  msbs: dst=0 src0=1 src1=0 src2=0
	v_sub_nc_u16 v161, v42 /*v298*/, v161
	s_set_vgpr_msb 64                       ;  msbs: dst=1 src0=0 src1=0 src2=0
	v_lshrrev_b32_e32 v42 /*v298*/, 24, v163
	s_set_vgpr_msb 0                        ;  msbs: dst=0 src0=0 src1=0 src2=0
	v_dual_ashrrev_i32 v190, s21, v190 :: v_dual_ashrrev_i32 v191, s21, v191
	v_dual_ashrrev_i32 v192, s21, v192 :: v_dual_ashrrev_i32 v193, s21, v193
	;; [unrolled: 1-line block ×3, first 2 shown]
	s_wait_dscnt 0x0
	v_dual_ashrrev_i32 v206, s21, v206 :: v_dual_ashrrev_i32 v207, s21, v207
	v_dual_lshlrev_b32 v182, 2, v182 :: v_dual_lshlrev_b32 v183, 2, v183
	v_dual_lshlrev_b32 v174, 2, v174 :: v_dual_lshlrev_b32 v175, 2, v175
	;; [unrolled: 1-line block ×4, first 2 shown]
	v_bfe_u32 v184, v184, 24, 2
	s_set_vgpr_msb 64                       ;  msbs: dst=1 src0=0 src1=0 src2=0
	v_and_b32_e32 v7 /*v263*/, 0x3030303, v185
	v_and_b32_e32 v12 /*v268*/, 0x3030303, v202
	;; [unrolled: 1-line block ×5, first 2 shown]
	s_set_vgpr_msb 0                        ;  msbs: dst=0 src0=0 src1=0 src2=0
	v_bfe_u32 v198, v198, 24, 2
	v_and_b32_e32 v169, 0x4040404, v169
	v_and_b32_e32 v170, 0x4040404, v170
	;; [unrolled: 1-line block ×5, first 2 shown]
	s_set_vgpr_msb 0x44                     ;  msbs: dst=1 src0=0 src1=1 src2=0
	v_lshrrev_b16 v36 /*v292*/, 8, v20 /*v276*/
	v_lshrrev_b16 v46 /*v302*/, 8, v11 /*v267*/
	s_set_vgpr_msb 64                       ;  msbs: dst=1 src0=0 src1=0 src2=0
	v_lshrrev_b16 v50 /*v306*/, 8, v199
	s_set_vgpr_msb 0x44                     ;  msbs: dst=1 src0=0 src1=1 src2=0
	v_lshrrev_b16 v53 /*v309*/, 8, v15 /*v271*/
	s_set_vgpr_msb 64                       ;  msbs: dst=1 src0=0 src1=0 src2=0
	v_lshrrev_b16 v55 /*v311*/, 8, v205
	s_set_vgpr_msb 0x45                     ;  msbs: dst=1 src0=1 src1=1 src2=0
	v_sub_nc_u16 v32 /*v288*/, v32 /*v288*/, v69 /*v325*/
	s_set_vgpr_msb 64                       ;  msbs: dst=1 src0=0 src1=0 src2=0
	v_lshrrev_b16 v69 /*v325*/, 8, v164
	s_set_vgpr_msb 0                        ;  msbs: dst=0 src0=0 src1=0 src2=0
	v_sub_nc_u16 v205, v205, v167
	s_set_vgpr_msb 0x41                     ;  msbs: dst=1 src0=1 src1=0 src2=0
	v_sub_nc_u16 v15 /*v271*/, v15 /*v271*/, v166
	v_sub_nc_u16 v11 /*v267*/, v11 /*v267*/, v163
	s_set_vgpr_msb 0                        ;  msbs: dst=0 src0=0 src1=0 src2=0
	v_lshrrev_b16 v163, 8, v163
	s_set_vgpr_msb 0x45                     ;  msbs: dst=1 src0=1 src1=1 src2=0
	v_sub_nc_u16 v40 /*v296*/, v45 /*v301*/, v40 /*v296*/
	s_set_vgpr_msb 0x41                     ;  msbs: dst=1 src0=1 src1=0 src2=0
	v_lshrrev_b32_e32 v45 /*v301*/, 16, v164
	v_sub_nc_u16 v20 /*v276*/, v20 /*v276*/, v164
	s_set_vgpr_msb 0                        ;  msbs: dst=0 src0=0 src1=0 src2=0
	v_lshrrev_b32_e32 v164, 24, v164
	s_set_vgpr_msb 4                        ;  msbs: dst=0 src0=0 src1=1 src2=0
	v_sub_nc_u16 v200, v200, v43 /*v299*/
	s_set_vgpr_msb 64                       ;  msbs: dst=1 src0=0 src1=0 src2=0
	v_lshrrev_b16 v43 /*v299*/, 8, v165
	s_set_vgpr_msb 1                        ;  msbs: dst=0 src0=1 src1=0 src2=0
	v_sub_nc_u16 v162, v44 /*v300*/, v162
	s_set_vgpr_msb 64                       ;  msbs: dst=1 src0=0 src1=0 src2=0
	v_lshrrev_b32_e32 v44 /*v300*/, 16, v165
	s_set_vgpr_msb 0                        ;  msbs: dst=0 src0=0 src1=0 src2=0
	v_sub_nc_u16 v199, v199, v165
	v_lshrrev_b32_e32 v165, 24, v165
	v_lshrrev_b16 v166, 8, v166
	v_lshrrev_b16 v167, 8, v167
	s_set_vgpr_msb 0x45                     ;  msbs: dst=1 src0=1 src1=1 src2=0
	v_sub_nc_u16 v41 /*v297*/, v47 /*v303*/, v41 /*v297*/
	s_set_vgpr_msb 64                       ;  msbs: dst=1 src0=0 src1=0 src2=0
	v_lshrrev_b32_e32 v47 /*v303*/, 16, v168
	s_set_vgpr_msb 4                        ;  msbs: dst=0 src0=0 src1=1 src2=0
	v_sub_nc_u16 v201, v201, v42 /*v298*/
	s_set_vgpr_msb 64                       ;  msbs: dst=1 src0=0 src1=0 src2=0
	v_lshrrev_b32_e32 v42 /*v298*/, 24, v168
	s_set_vgpr_msb 0                        ;  msbs: dst=0 src0=0 src1=0 src2=0
	v_lshlrev_b16 v144, 8, v144
	v_lshlrev_b16 v153, 8, v153
	v_bfe_u32 v145, v145, 24, 2
	v_bfe_u32 v146, v146, 24, 2
	;; [unrolled: 1-line block ×7, first 2 shown]
	s_set_vgpr_msb 64                       ;  msbs: dst=1 src0=0 src1=0 src2=0
	v_and_b32_e32 v17 /*v273*/, 0x3030303, v206
	v_and_b32_e32 v18 /*v274*/, 0x3030303, v207
	s_set_vgpr_msb 0                        ;  msbs: dst=0 src0=0 src1=0 src2=0
	v_bfe_u32 v188, v188, 24, 2
	v_bfe_u32 v189, v189, 24, 2
	s_set_vgpr_msb 64                       ;  msbs: dst=1 src0=0 src1=0 src2=0
	v_and_b32_e32 v23 /*v279*/, 0x3030303, v190
	v_and_b32_e32 v25 /*v281*/, 0x3030303, v191
	;; [unrolled: 1-line block ×4, first 2 shown]
	s_set_vgpr_msb 0                        ;  msbs: dst=0 src0=0 src1=0 src2=0
	v_and_b32_e32 v182, 0x4040404, v182
	v_and_b32_e32 v183, 0x4040404, v183
	v_and_b32_e32 v174, 0x4040404, v174
	v_and_b32_e32 v175, 0x4040404, v175
	v_and_b32_e32 v176, 0x4040404, v176
	v_and_b32_e32 v179, 0x4040404, v179
	s_set_vgpr_msb 0x44                     ;  msbs: dst=1 src0=0 src1=1 src2=0
	v_lshrrev_b16 v37 /*v293*/, 8, v6 /*v262*/
	v_lshrrev_b16 v39 /*v295*/, 8, v7 /*v263*/
	v_dual_lshrrev_b32 v51 /*v307*/, 16, v7 /*v263*/ :: v_dual_lshrrev_b32 v52 /*v308*/, 16, v12 /*v268*/
	v_lshrrev_b16 v54 /*v310*/, 8, v12 /*v268*/
	v_dual_lshrrev_b32 v57 /*v313*/, 16, v13 /*v269*/ :: v_dual_lshrrev_b32 v60 /*v316*/, 16, v22 /*v278*/
	;; [unrolled: 2-line block ×3, first 2 shown]
	v_lshrrev_b16 v61 /*v317*/, 8, v22 /*v278*/
	s_set_vgpr_msb 0x41                     ;  msbs: dst=1 src0=1 src1=0 src2=0
	v_sub_nc_u16 v6 /*v262*/, v6 /*v262*/, v168
	s_set_vgpr_msb 1                        ;  msbs: dst=0 src0=1 src1=0 src2=0
	v_lshrrev_b16 v168, 8, v168
	v_sub_nc_u16 v163, v46 /*v302*/, v163
	s_set_vgpr_msb 64                       ;  msbs: dst=1 src0=0 src1=0 src2=0
	v_lshrrev_b32_e32 v46 /*v302*/, 16, v169
	s_set_vgpr_msb 0x45                     ;  msbs: dst=1 src0=1 src1=1 src2=0
	v_sub_nc_u16 v45 /*v301*/, v48 /*v304*/, v45 /*v301*/
	s_set_vgpr_msb 0x41                     ;  msbs: dst=1 src0=1 src1=0 src2=0
	v_lshrrev_b32_e32 v48 /*v304*/, 24, v169
	v_sub_nc_u16 v7 /*v263*/, v7 /*v263*/, v169
	s_set_vgpr_msb 0                        ;  msbs: dst=0 src0=0 src1=0 src2=0
	v_lshrrev_b16 v169, 8, v169
	v_sub_nc_u16 v164, v198, v164
	v_lshrrev_b32_e32 v198, 24, v170
	s_set_vgpr_msb 0x45                     ;  msbs: dst=1 src0=1 src1=1 src2=0
	v_sub_nc_u16 v43 /*v299*/, v50 /*v306*/, v43 /*v299*/
	s_set_vgpr_msb 64                       ;  msbs: dst=1 src0=0 src1=0 src2=0
	v_lshrrev_b16 v50 /*v306*/, 8, v170
	s_set_vgpr_msb 1                        ;  msbs: dst=0 src0=1 src1=0 src2=0
	v_sub_nc_u16 v165, v24 /*v280*/, v165
	s_set_vgpr_msb 64                       ;  msbs: dst=1 src0=0 src1=0 src2=0
	v_lshrrev_b32_e32 v24 /*v280*/, 24, v171
	s_set_vgpr_msb 1                        ;  msbs: dst=0 src0=1 src1=0 src2=0
	v_sub_nc_u16 v166, v53 /*v309*/, v166
	s_set_vgpr_msb 64                       ;  msbs: dst=1 src0=0 src1=0 src2=0
	v_lshrrev_b32_e32 v53 /*v309*/, 16, v172
	s_set_vgpr_msb 1                        ;  msbs: dst=0 src0=1 src1=0 src2=0
	v_sub_nc_u16 v167, v55 /*v311*/, v167
	s_set_vgpr_msb 0x41                     ;  msbs: dst=1 src0=1 src1=0 src2=0
	v_lshrrev_b32_e32 v55 /*v311*/, 24, v172
	v_sub_nc_u16 v21 /*v277*/, v21 /*v277*/, v172
	s_set_vgpr_msb 0                        ;  msbs: dst=0 src0=0 src1=0 src2=0
	v_lshrrev_b16 v172, 8, v172
	s_set_vgpr_msb 0x45                     ;  msbs: dst=1 src0=1 src1=1 src2=0
	v_sub_nc_u16 v38 /*v294*/, v38 /*v294*/, v47 /*v303*/
	s_set_vgpr_msb 64                       ;  msbs: dst=1 src0=0 src1=0 src2=0
	v_lshrrev_b32_e32 v47 /*v303*/, 16, v173
	s_set_vgpr_msb 4                        ;  msbs: dst=0 src0=0 src1=1 src2=0
	v_sub_nc_u16 v184, v184, v42 /*v298*/
	s_set_vgpr_msb 0x41                     ;  msbs: dst=1 src0=1 src1=0 src2=0
	v_lshrrev_b32_e32 v42 /*v298*/, 24, v173
	v_sub_nc_u16 v22 /*v278*/, v22 /*v278*/, v173
	s_set_vgpr_msb 0                        ;  msbs: dst=0 src0=0 src1=0 src2=0
	v_lshrrev_b16 v173, 8, v173
	v_bitop3_b16 v144, v247, v144, 0xff bitop3:0xec
	v_bitop3_b16 v153, v239, v153, 0xff bitop3:0xec
	v_bfe_u32 v185, v185, 24, 2
	v_bfe_u32 v192, v192, 24, 2
	;; [unrolled: 1-line block ×4, first 2 shown]
	v_and_b32_e32 v177, 0x4040404, v177
	s_set_vgpr_msb 0x44                     ;  msbs: dst=1 src0=0 src1=1 src2=0
	v_dual_lshrrev_b32 v64 /*v320*/, 16, v25 /*v281*/ :: v_dual_lshrrev_b32 v66 /*v322*/, 16, v26 /*v282*/
	v_lshrrev_b16 v67 /*v323*/, 8, v26 /*v282*/
	s_set_vgpr_msb 0                        ;  msbs: dst=0 src0=0 src1=0 src2=0
	v_sub_nc_u16 v145, v145, v249
	s_set_vgpr_msb 4                        ;  msbs: dst=0 src0=0 src1=1 src2=0
	v_lshrrev_b32_e32 v249, 16, v29 /*v285*/
	s_set_vgpr_msb 0                        ;  msbs: dst=0 src0=0 src1=0 src2=0
	v_sub_nc_u16 v146, v146, v251
	s_set_vgpr_msb 4                        ;  msbs: dst=0 src0=0 src1=1 src2=0
	v_lshrrev_b16 v251, 8, v29 /*v285*/
	s_set_vgpr_msb 0                        ;  msbs: dst=0 src0=0 src1=0 src2=0
	v_sub_nc_u16 v147, v147, v253
	s_set_vgpr_msb 4                        ;  msbs: dst=0 src0=0 src1=1 src2=0
	v_lshrrev_b16 v253, 8, v17 /*v273*/
	s_set_vgpr_msb 0                        ;  msbs: dst=0 src0=0 src1=0 src2=0
	v_sub_nc_u16 v148, v148, v255
	s_set_vgpr_msb 4                        ;  msbs: dst=0 src0=0 src1=1 src2=0
	v_lshrrev_b32_e32 v255, 16, v17 /*v273*/
	v_sub_nc_u16 v149, v149, v1 /*v257*/
	s_set_vgpr_msb 0x44                     ;  msbs: dst=1 src0=0 src1=1 src2=0
	v_lshrrev_b16 v1 /*v257*/, 8, v18 /*v274*/
	s_set_vgpr_msb 4                        ;  msbs: dst=0 src0=0 src1=1 src2=0
	v_sub_nc_u16 v150, v150, v3 /*v259*/
	s_set_vgpr_msb 0x44                     ;  msbs: dst=1 src0=0 src1=1 src2=0
	v_lshrrev_b32_e32 v3 /*v259*/, 16, v18 /*v274*/
	s_set_vgpr_msb 0x41                     ;  msbs: dst=1 src0=1 src1=0 src2=0
	v_sub_nc_u16 v17 /*v273*/, v17 /*v273*/, v182
	v_sub_nc_u16 v18 /*v274*/, v18 /*v274*/, v183
	;; [unrolled: 1-line block ×3, first 2 shown]
	s_set_vgpr_msb 0                        ;  msbs: dst=0 src0=0 src1=0 src2=0
	v_lshrrev_b32_e32 v170, 16, v170
	s_set_vgpr_msb 0x45                     ;  msbs: dst=1 src0=1 src1=1 src2=0
	v_sub_nc_u16 v44 /*v300*/, v49 /*v305*/, v44 /*v300*/
	s_set_vgpr_msb 64                       ;  msbs: dst=1 src0=0 src1=0 src2=0
	v_lshrrev_b32_e32 v49 /*v305*/, 16, v171
	s_set_vgpr_msb 1                        ;  msbs: dst=0 src0=1 src1=0 src2=0
	v_sub_nc_u16 v168, v37 /*v293*/, v168
	s_set_vgpr_msb 64                       ;  msbs: dst=1 src0=0 src1=0 src2=0
	v_lshrrev_b32_e32 v37 /*v293*/, 16, v174
	s_set_vgpr_msb 1                        ;  msbs: dst=0 src0=1 src1=0 src2=0
	v_sub_nc_u16 v169, v39 /*v295*/, v169
	s_set_vgpr_msb 64                       ;  msbs: dst=1 src0=0 src1=0 src2=0
	v_lshrrev_b32_e32 v39 /*v295*/, 24, v175
	s_set_vgpr_msb 0                        ;  msbs: dst=0 src0=0 src1=0 src2=0
	v_sub_nc_u16 v198, v202, v198
	v_lshrrev_b32_e32 v202, 16, v176
	s_set_vgpr_msb 0x45                     ;  msbs: dst=1 src0=1 src1=1 src2=0
	v_sub_nc_u16 v50 /*v306*/, v54 /*v310*/, v50 /*v306*/
	s_set_vgpr_msb 0x41                     ;  msbs: dst=1 src0=1 src1=0 src2=0
	v_lshrrev_b32_e32 v54 /*v310*/, 24, v176
	v_sub_nc_u16 v26 /*v282*/, v26 /*v282*/, v176
	s_set_vgpr_msb 0                        ;  msbs: dst=0 src0=0 src1=0 src2=0
	v_lshrrev_b16 v176, 8, v176
	s_set_vgpr_msb 0x45                     ;  msbs: dst=1 src0=1 src1=1 src2=0
	v_sub_nc_u16 v53 /*v309*/, v59 /*v315*/, v53 /*v309*/
	s_set_vgpr_msb 64                       ;  msbs: dst=1 src0=0 src1=0 src2=0
	v_lshrrev_b32_e32 v59 /*v315*/, 16, v179
	s_set_vgpr_msb 4                        ;  msbs: dst=0 src0=0 src1=1 src2=0
	v_sub_nc_u16 v188, v188, v55 /*v311*/
	s_set_vgpr_msb 0x41                     ;  msbs: dst=1 src0=1 src1=0 src2=0
	v_lshrrev_b32_e32 v55 /*v311*/, 24, v179
	v_sub_nc_u16 v29 /*v285*/, v29 /*v285*/, v179
	s_set_vgpr_msb 1                        ;  msbs: dst=0 src0=1 src1=0 src2=0
	v_lshrrev_b16 v179, 8, v179
	v_sub_nc_u16 v172, v58 /*v314*/, v172
	s_set_vgpr_msb 64                       ;  msbs: dst=1 src0=0 src1=0 src2=0
	v_lshrrev_b16 v58 /*v314*/, 8, v182
	s_set_vgpr_msb 0x45                     ;  msbs: dst=1 src0=1 src1=1 src2=0
	v_sub_nc_u16 v47 /*v303*/, v60 /*v316*/, v47 /*v303*/
	s_set_vgpr_msb 64                       ;  msbs: dst=1 src0=0 src1=0 src2=0
	v_lshrrev_b32_e32 v60 /*v316*/, 16, v182
	s_set_vgpr_msb 0                        ;  msbs: dst=0 src0=0 src1=0 src2=0
	v_lshrrev_b32_e32 v182, 24, v182
	s_set_vgpr_msb 4                        ;  msbs: dst=0 src0=0 src1=1 src2=0
	v_sub_nc_u16 v189, v189, v42 /*v298*/
	s_set_vgpr_msb 64                       ;  msbs: dst=1 src0=0 src1=0 src2=0
	v_lshrrev_b16 v42 /*v298*/, 8, v183
	s_set_vgpr_msb 1                        ;  msbs: dst=0 src0=1 src1=0 src2=0
	v_sub_nc_u16 v173, v61 /*v317*/, v173
	s_set_vgpr_msb 64                       ;  msbs: dst=1 src0=0 src1=0 src2=0
	v_lshrrev_b32_e32 v61 /*v317*/, 16, v183
	s_set_vgpr_msb 0                        ;  msbs: dst=0 src0=0 src1=0 src2=0
	v_perm_b32 v144, v144, v247, 0xc0c0500
	v_perm_b32 v153, v153, v239, 0x5000c0c
	v_lshrrev_b32_e32 v183, 24, v183
	v_lshrrev_b16 v141, 8, v4
	v_dual_ashrrev_i32 v217, 24, v0 :: v_dual_ashrrev_i32 v219, 24, v1
	v_lshrrev_b16 v224, 8, v1
	v_bfe_i32 v134, v4, 0, 8
	v_lshrrev_b16 v229, 8, v0
	v_lshrrev_b16 v231, 8, v2
	s_set_vgpr_msb 64                       ;  msbs: dst=1 src0=0 src1=0 src2=0
	v_and_b32_e32 v27 /*v283*/, 0x3030303, v193
	s_set_vgpr_msb 0                        ;  msbs: dst=0 src0=0 src1=0 src2=0
	v_bfe_u32 v193, v193, 24, 2
	s_set_vgpr_msb 64                       ;  msbs: dst=1 src0=0 src1=0 src2=0
	v_lshrrev_b16 v35 /*v291*/, 8, v197
	s_set_vgpr_msb 0                        ;  msbs: dst=0 src0=0 src1=0 src2=0
	v_sub_nc_u16 v197, v197, v181
	v_lshrrev_b16 v181, 8, v181
	s_set_vgpr_msb 4                        ;  msbs: dst=0 src0=0 src1=1 src2=0
	v_sub_nc_u16 v185, v185, v48 /*v304*/
	s_set_vgpr_msb 1                        ;  msbs: dst=0 src0=1 src1=0 src2=0
	v_sub_nc_u16 v170, v52 /*v308*/, v170
	s_set_vgpr_msb 64                       ;  msbs: dst=1 src0=0 src1=0 src2=0
	v_lshrrev_b32_e32 v52 /*v308*/, 16, v177
	s_set_vgpr_msb 0x45                     ;  msbs: dst=1 src0=1 src1=1 src2=0
	v_sub_nc_u16 v49 /*v305*/, v57 /*v313*/, v49 /*v305*/
	s_set_vgpr_msb 64                       ;  msbs: dst=1 src0=0 src1=0 src2=0
	v_lshrrev_b32_e32 v57 /*v313*/, 24, v177
	s_set_vgpr_msb 4                        ;  msbs: dst=0 src0=0 src1=1 src2=0
	v_sub_nc_u16 v192, v192, v54 /*v310*/
	s_set_vgpr_msb 1                        ;  msbs: dst=0 src0=1 src1=0 src2=0
	v_sub_nc_u16 v176, v67 /*v323*/, v176
	s_set_vgpr_msb 0                        ;  msbs: dst=0 src0=0 src1=0 src2=0
	v_sub_nc_u16 v179, v251, v179
	s_set_vgpr_msb 4                        ;  msbs: dst=0 src0=0 src1=1 src2=0
	v_sub_nc_u16 v251, v253, v58 /*v314*/
	s_set_vgpr_msb 0                        ;  msbs: dst=0 src0=0 src1=0 src2=0
	v_sub_nc_u16 v182, v206, v182
	s_set_vgpr_msb 5                        ;  msbs: dst=0 src0=1 src1=1 src2=0
	v_sub_nc_u16 v206, v1 /*v257*/, v42 /*v298*/
	s_set_vgpr_msb 0x41                     ;  msbs: dst=1 src0=1 src1=0 src2=0
	v_bfe_i32 v1 /*v257*/, v10 /*v266*/, 0, 8
	v_bfe_i32 v10 /*v266*/, v21 /*v277*/, 0, 8
	;; [unrolled: 1-line block ×4, first 2 shown]
	s_set_vgpr_msb 0                        ;  msbs: dst=0 src0=0 src1=0 src2=0
	v_lshlrev_b16 v152, 8, v152
	v_lshlrev_b16 v155, 8, v155
	;; [unrolled: 1-line block ×8, first 2 shown]
	v_or_b32_e32 v144, v153, v144
	v_sub_nc_u16 v183, v207, v183
	v_lshrrev_b16 v143, 8, v5
	v_lshrrev_b16 v212, 8, v6
	v_dual_ashrrev_i32 v213, 24, v4 :: v_dual_ashrrev_i32 v215, 24, v5
	v_bfe_i32 v131, v0, 0, 8
	v_lshrrev_b16 v225, 8, v3
	v_dual_ashrrev_i32 v227, 24, v3 :: v_dual_ashrrev_i32 v232, 24, v2
	v_bfe_i32 v234, v141, 0, 8
	v_bfe_i32 v224, v224, 0, 8
	;; [unrolled: 1-line block ×4, first 2 shown]
	v_bfe_u32 v190, v190, 24, 2
	v_bfe_u32 v191, v191, 24, 2
	s_set_vgpr_msb 64                       ;  msbs: dst=1 src0=0 src1=0 src2=0
	v_and_b32_e32 v28 /*v284*/, 0x3030303, v194
	s_set_vgpr_msb 0                        ;  msbs: dst=0 src0=0 src1=0 src2=0
	v_and_b32_e32 v178, 0x4040404, v178
	s_set_vgpr_msb 0x45                     ;  msbs: dst=1 src0=1 src1=1 src2=0
	v_lshrrev_b32_e32 v68 /*v324*/, 16, v27 /*v283*/
	v_sub_nc_u16 v36 /*v292*/, v36 /*v292*/, v69 /*v325*/
	v_lshrrev_b16 v69 /*v325*/, 8, v27 /*v283*/
	s_set_vgpr_msb 1                        ;  msbs: dst=0 src0=1 src1=0 src2=0
	v_sub_nc_u16 v181, v35 /*v291*/, v181
	s_set_vgpr_msb 0x45                     ;  msbs: dst=1 src0=1 src1=1 src2=0
	v_sub_nc_u16 v46 /*v302*/, v51 /*v307*/, v46 /*v302*/
	s_set_vgpr_msb 0x41                     ;  msbs: dst=1 src0=1 src1=0 src2=0
	v_dual_lshrrev_b32 v51 /*v307*/, 24, v174 :: v_dual_lshrrev_b32 v48 /*v304*/, 16, v175
	v_sub_nc_u16 v27 /*v283*/, v27 /*v283*/, v177
	s_set_vgpr_msb 1                        ;  msbs: dst=0 src0=1 src1=0 src2=0
	v_lshrrev_b16 v177, 8, v177
	v_sub_nc_u16 v202, v66 /*v322*/, v202
	s_set_vgpr_msb 4                        ;  msbs: dst=0 src0=0 src1=1 src2=0
	v_sub_nc_u16 v193, v193, v57 /*v313*/
	s_set_vgpr_msb 1                        ;  msbs: dst=0 src0=1 src1=0 src2=0
	v_bfe_i32 v207, v14 /*v270*/, 0, 8
	s_set_vgpr_msb 0x41                     ;  msbs: dst=1 src0=1 src1=0 src2=0
	v_bfe_i32 v14 /*v270*/, v26 /*v282*/, 0, 8
	s_set_vgpr_msb 0                        ;  msbs: dst=0 src0=0 src1=0 src2=0
	v_bfe_i32 v204, v204, 0, 16
	s_set_vgpr_msb 0x41                     ;  msbs: dst=1 src0=1 src1=0 src2=0
	v_bfe_i32 v19 /*v275*/, v19 /*v275*/, 0, 16
	s_set_vgpr_msb 0                        ;  msbs: dst=0 src0=0 src1=0 src2=0
	v_bfe_i32 v167, v167, 0, 16
	v_bfe_i32 v183, v183, 0, 16
	v_lshlrev_b16 v162, 8, v162
	v_lshlrev_b16 v200, 8, v200
	s_set_vgpr_msb 0x44                     ;  msbs: dst=1 src0=0 src1=1 src2=0
	v_mul_i32_i24_e32 v10 /*v266*/, v134, v10 /*v266*/
	s_set_vgpr_msb 0                        ;  msbs: dst=0 src0=0 src1=0 src2=0
	v_lshlrev_b16 v189, 8, v189
	s_set_vgpr_msb 0x44                     ;  msbs: dst=1 src0=0 src1=1 src2=0
	v_mul_i32_i24_e32 v6 /*v262*/, v134, v6 /*v262*/
	s_set_vgpr_msb 0                        ;  msbs: dst=0 src0=0 src1=0 src2=0
	v_lshlrev_b16 v185, 8, v185
	v_lshlrev_b16 v176, 8, v176
	;; [unrolled: 1-line block ×3, first 2 shown]
	v_bfe_i32 v251, v251, 0, 16
	v_lshlrev_b16 v161, 8, v161
	v_bfe_i32 v166, v166, 0, 16
	v_bfe_i32 v182, v182, 0, 16
	s_set_vgpr_msb 1                        ;  msbs: dst=0 src0=1 src1=0 src2=0
	v_mul_i32_i24_e32 v219, v16 /*v272*/, v219
	s_set_vgpr_msb 0                        ;  msbs: dst=0 src0=0 src1=0 src2=0
	v_bitop3_b16 v152, v238, v152, 0xff bitop3:0xec
	v_bitop3_b16 v155, v241, v155, 0xff bitop3:0xec
	;; [unrolled: 1-line block ×3, first 2 shown]
	s_set_vgpr_msb 1                        ;  msbs: dst=0 src0=1 src1=0 src2=0
	v_bitop3_b16 v187, v5 /*v261*/, v187, 0xff bitop3:0xec
	s_set_vgpr_msb 0                        ;  msbs: dst=0 src0=0 src1=0 src2=0
	v_bfe_i32 v172, v172, 8, 8
	s_set_vgpr_msb 1                        ;  msbs: dst=0 src0=1 src1=0 src2=0
	v_bitop3_b16 v188, v53 /*v309*/, v188, 0xff bitop3:0xec
	s_set_vgpr_msb 0                        ;  msbs: dst=0 src0=0 src1=0 src2=0
	v_bfe_i32 v168, v168, 8, 8
	s_set_vgpr_msb 1                        ;  msbs: dst=0 src0=1 src1=0 src2=0
	v_bitop3_b16 v184, v38 /*v294*/, v184, 0xff bitop3:0xec
	v_lshrrev_b16 v221, 8, v7
	v_dual_ashrrev_i32 v223, 24, v7 :: v_dual_ashrrev_i32 v230, 24, v6
	s_set_vgpr_msb 0                        ;  msbs: dst=0 src0=0 src1=0 src2=0
	v_perm_b32 v138, v4, v4, 0xc0c0302
	v_bfe_i32 v143, v143, 0, 8
	v_bfe_i32 v212, v212, 0, 8
	;; [unrolled: 1-line block ×3, first 2 shown]
	s_set_vgpr_msb 0x44                     ;  msbs: dst=1 src0=0 src1=1 src2=0
	v_lshrrev_b16 v63 /*v319*/, 8, v23 /*v279*/
	v_lshrrev_b16 v65 /*v321*/, 8, v25 /*v281*/
	v_lshrrev_b32_e32 v35 /*v291*/, 16, v28 /*v284*/
	v_lshrrev_b16 v34 /*v290*/, 8, v28 /*v284*/
	s_set_vgpr_msb 0x41                     ;  msbs: dst=1 src0=1 src1=0 src2=0
	v_sub_nc_u16 v23 /*v279*/, v23 /*v279*/, v174
	s_set_vgpr_msb 0                        ;  msbs: dst=0 src0=0 src1=0 src2=0
	v_lshrrev_b16 v174, 8, v174
	s_set_vgpr_msb 0x41                     ;  msbs: dst=1 src0=1 src1=0 src2=0
	v_sub_nc_u16 v25 /*v281*/, v25 /*v281*/, v175
	v_sub_nc_u16 v28 /*v284*/, v28 /*v284*/, v178
	s_set_vgpr_msb 4                        ;  msbs: dst=0 src0=0 src1=1 src2=0
	v_sub_nc_u16 v190, v190, v51 /*v307*/
	v_sub_nc_u16 v191, v191, v39 /*v295*/
	s_set_vgpr_msb 0x45                     ;  msbs: dst=1 src0=1 src1=1 src2=0
	v_sub_nc_u16 v39 /*v295*/, v68 /*v324*/, v52 /*v308*/
	s_set_vgpr_msb 1                        ;  msbs: dst=0 src0=1 src1=0 src2=0
	v_sub_nc_u16 v177, v69 /*v325*/, v177
	s_set_vgpr_msb 0x41                     ;  msbs: dst=1 src0=1 src1=0 src2=0
	v_bfe_i32 v21 /*v277*/, v27 /*v283*/, 0, 8
	v_bfe_i32 v27 /*v283*/, v31 /*v287*/, 0, 8
	s_set_vgpr_msb 0                        ;  msbs: dst=0 src0=0 src1=0 src2=0
	v_bfe_i32 v196, v196, 0, 16
	v_bfe_i32 v181, v181, 0, 16
	s_set_vgpr_msb 0x41                     ;  msbs: dst=1 src0=1 src1=0 src2=0
	v_bfe_i32 v31 /*v287*/, v36 /*v292*/, 0, 16
	s_set_vgpr_msb 0                        ;  msbs: dst=0 src0=0 src1=0 src2=0
	v_bfe_i32 v180, v180, 0, 16
	v_bfe_i32 v165, v165, 0, 16
	;; [unrolled: 1-line block ×5, first 2 shown]
	s_set_vgpr_msb 0x44                     ;  msbs: dst=1 src0=0 src1=1 src2=0
	v_mul_i32_i24_e32 v1 /*v257*/, v131, v1 /*v257*/
	s_set_vgpr_msb 0                        ;  msbs: dst=0 src0=0 src1=0 src2=0
	v_lshlrev_b16 v148, 8, v148
	v_lshlrev_b16 v157, 8, v157
	;; [unrolled: 1-line block ×3, first 2 shown]
	v_bfe_i32 v164, v164, 0, 16
	s_set_vgpr_msb 0x44                     ;  msbs: dst=1 src0=0 src1=1 src2=0
	v_mul_i32_i24_e32 v14 /*v270*/, v131, v14 /*v270*/
	s_set_vgpr_msb 1                        ;  msbs: dst=0 src0=1 src1=0 src2=0
	v_lshlrev_b16 v193, 8, v193
	v_lshlrev_b16 v169, 8, v169
	v_lshlrev_b16 v173, 8, v173
	v_mul_i32_i24_e32 v215, v19 /*v275*/, v215
	s_set_vgpr_msb 0                        ;  msbs: dst=0 src0=0 src1=0 src2=0
	v_mul_i32_i24_e32 v167, v167, v224
	v_mul_i32_i24_e32 v183, v183, v227
	v_bfe_i32 v162, v162, 8, 8
	s_set_vgpr_msb 1                        ;  msbs: dst=0 src0=1 src1=0 src2=0
	v_bitop3_b16 v200, v40 /*v296*/, v200, 0xff bitop3:0xec
	v_bitop3_b16 v189, v47 /*v303*/, v189, 0xff bitop3:0xec
	;; [unrolled: 1-line block ×3, first 2 shown]
	s_set_vgpr_msb 0                        ;  msbs: dst=0 src0=0 src1=0 src2=0
	v_bfe_i32 v176, v176, 8, 8
	v_bitop3_b16 v192, v202, v192, 0xff bitop3:0xec
	v_mul_i32_i24_e32 v227, v251, v231
	v_mul_i32_i24_e32 v166, v166, v229
	v_perm_b32 v161, v161, v161, 0xc0c0c01
	v_mul_i32_i24_e32 v182, v182, v232
	v_mad_i32_i24 v204, v204, v217, v219
	v_perm_b32 v155, v155, v241, 0xc0c0500
	v_perm_b32 v147, v147, v250, 0x5000c0c
	s_set_vgpr_msb 4                        ;  msbs: dst=0 src0=0 src1=1 src2=0
	v_perm_b32 v187, v187, v5 /*v261*/, 0xc05000c
	s_set_vgpr_msb 16                       ;  msbs: dst=0 src0=0 src1=0 src2=1
	v_mad_i32_i24 v172, v234, v172, v10 /*v266*/
	s_set_vgpr_msb 4                        ;  msbs: dst=0 src0=0 src1=1 src2=0
	v_perm_b32 v188, v188, v53 /*v309*/, 0xc0c0500
	s_set_vgpr_msb 16                       ;  msbs: dst=0 src0=0 src1=0 src2=1
	v_mad_i32_i24 v168, v234, v168, v6 /*v262*/
	s_set_vgpr_msb 4                        ;  msbs: dst=0 src0=0 src1=1 src2=0
	v_perm_b32 v184, v184, v38 /*v294*/, 0xc0c0500
	s_set_vgpr_msb 0                        ;  msbs: dst=0 src0=0 src1=0 src2=0
	v_and_b32_e32 v152, 0xffff, v152
	v_bfe_u32 v203, v203, 24, 2
	s_set_vgpr_msb 0x44                     ;  msbs: dst=1 src0=0 src1=1 src2=0
	v_lshrrev_b16 v56 /*v312*/, 8, v13 /*v269*/
	s_set_vgpr_msb 0x41                     ;  msbs: dst=1 src0=1 src1=0 src2=0
	v_sub_nc_u16 v13 /*v269*/, v13 /*v269*/, v171
	s_set_vgpr_msb 0                        ;  msbs: dst=0 src0=0 src1=0 src2=0
	v_lshrrev_b16 v171, 8, v171
	v_lshlrev_b16 v156, 8, v156
	v_bfe_i32 v135, v5, 0, 8
	v_perm_b32 v142, v0, v0, 0xc0c0302
	v_bfe_i32 v221, v221, 0, 8
	s_set_vgpr_msb 0x45                     ;  msbs: dst=1 src0=1 src1=1 src2=0
	v_sub_nc_u16 v37 /*v293*/, v62 /*v318*/, v37 /*v293*/
	s_set_vgpr_msb 1                        ;  msbs: dst=0 src0=1 src1=0 src2=0
	v_sub_nc_u16 v174, v63 /*v319*/, v174
	s_set_vgpr_msb 4                        ;  msbs: dst=0 src0=0 src1=1 src2=0
	v_sub_nc_u16 v253, v255, v60 /*v316*/
	s_set_vgpr_msb 5                        ;  msbs: dst=0 src0=1 src1=1 src2=0
	v_sub_nc_u16 v255, v3 /*v259*/, v61 /*v317*/
	s_set_vgpr_msb 0                        ;  msbs: dst=0 src0=0 src1=0 src2=0
	v_bfe_i32 v197, v197, 0, 8
	s_set_vgpr_msb 0x41                     ;  msbs: dst=1 src0=1 src1=0 src2=0
	v_bfe_i32 v3 /*v259*/, v20 /*v276*/, 0, 8
	v_bfe_i32 v20 /*v276*/, v22 /*v278*/, 0, 8
	;; [unrolled: 1-line block ×8, first 2 shown]
	s_set_vgpr_msb 0                        ;  msbs: dst=0 src0=0 src1=0 src2=0
	v_bfe_i32 v154, v154, 0, 8
	v_bfe_i32 v160, v160, 0, 8
	s_set_vgpr_msb 0x41                     ;  msbs: dst=1 src0=1 src1=0 src2=0
	v_bfe_i32 v32 /*v288*/, v43 /*v299*/, 0, 16
	s_set_vgpr_msb 0                        ;  msbs: dst=0 src0=0 src1=0 src2=0
	v_lshlrev_b16 v145, 8, v145
	v_lshlrev_b16 v248, 8, v248
	;; [unrolled: 1-line block ×5, first 2 shown]
	v_mul_i32_i24_e32 v143, v181, v143
	s_set_vgpr_msb 1                        ;  msbs: dst=0 src0=1 src1=0 src2=0
	v_mul_i32_i24_e32 v181, v31 /*v287*/, v212
	s_set_vgpr_msb 0                        ;  msbs: dst=0 src0=0 src1=0 src2=0
	v_mul_i32_i24_e32 v180, v180, v234
	v_mul_i32_i24_e32 v165, v165, v223
	v_perm_b32 v158, v170, v158, 0x5040100
	v_mul_i32_i24_e32 v170, v206, v225
	v_bitop3_b16 v148, v252, v148, 0xff bitop3:0xec
	v_bitop3_b16 v157, v243, v157, 0xff bitop3:0xec
	s_set_vgpr_msb 1                        ;  msbs: dst=0 src0=1 src1=0 src2=0
	v_bitop3_b16 v201, v41 /*v297*/, v201, 0xff bitop3:0xec
	s_set_vgpr_msb 0                        ;  msbs: dst=0 src0=0 src1=0 src2=0
	v_mul_i32_i24_e32 v164, v164, v230
	s_set_vgpr_msb 1                        ;  msbs: dst=0 src0=1 src1=0 src2=0
	v_bitop3_b16 v193, v39 /*v295*/, v193, 0xff bitop3:0xec
	s_set_vgpr_msb 0                        ;  msbs: dst=0 src0=0 src1=0 src2=0
	v_perm_b32 v173, v173, v173, 0xc0c0c01
	v_perm_b32 v169, v169, v169, 0xc0c0c01
	v_mad_i32_i24 v196, v196, v213, v215
	s_set_vgpr_msb 16                       ;  msbs: dst=0 src0=0 src1=0 src2=1
	v_mad_i32_i24 v162, v229, v162, v1 /*v257*/
	s_set_vgpr_msb 4                        ;  msbs: dst=0 src0=0 src1=1 src2=0
	v_perm_b32 v200, v200, v40 /*v296*/, 0xc0c0500
	v_perm_b32 v189, v189, v47 /*v303*/, 0xc05000c
	v_perm_b32 v185, v185, v46 /*v302*/, 0xc05000c
	s_set_vgpr_msb 16                       ;  msbs: dst=0 src0=0 src1=0 src2=1
	v_mad_i32_i24 v176, v229, v176, v14 /*v270*/
	v_perm_b32 v192, v192, v202, 0xc0c0500
	s_set_vgpr_msb 0                        ;  msbs: dst=0 src0=0 src1=0 src2=0
	v_add3_u32 v166, v166, v167, v227
	v_bfe_i32 v167, v152, 8, 8
	v_or_b32_e32 v147, v147, v155
	v_or_b32_e32 v155, v187, v161
	v_add3_u32 v161, v204, v182, v183
	v_dot4_i32_iu8 v172, v138, v188, v172 neg_lo:[1,1,0]
	v_dot4_i32_iu8 v138, v138, v184, v168 neg_lo:[1,1,0]
	v_bfe_u32 v194, v194, 24, 2
	s_set_vgpr_msb 4                        ;  msbs: dst=0 src0=0 src1=1 src2=0
	v_sub_nc_u16 v203, v203, v24 /*v280*/
	s_set_vgpr_msb 64                       ;  msbs: dst=1 src0=0 src1=0 src2=0
	v_lshrrev_b32_e32 v24 /*v280*/, 16, v178
	s_set_vgpr_msb 1                        ;  msbs: dst=0 src0=1 src1=0 src2=0
	v_sub_nc_u16 v171, v56 /*v312*/, v171
	s_set_vgpr_msb 64                       ;  msbs: dst=1 src0=0 src1=0 src2=0
	v_lshrrev_b32_e32 v56 /*v312*/, 24, v178
	s_set_vgpr_msb 0                        ;  msbs: dst=0 src0=0 src1=0 src2=0
	v_bitop3_b16 v156, v242, v156, 0xff bitop3:0xec
	v_bfe_i32 v132, v1, 0, 8
	v_bfe_i32 v222, v7, 16, 8
	;; [unrolled: 1-line block ×3, first 2 shown]
	v_perm_b32 v136, v5, v5, 0xc030201
	v_bfe_i32 v233, v2, 16, 8
	v_lshrrev_b16 v175, 8, v175
	v_bfe_i32 v205, v205, 0, 8
	s_set_vgpr_msb 0x41                     ;  msbs: dst=1 src0=1 src1=0 src2=0
	v_bfe_i32 v11 /*v267*/, v11 /*v267*/, 0, 8
	v_bfe_i32 v26 /*v282*/, v29 /*v285*/, 0, 8
	;; [unrolled: 1-line block ×4, first 2 shown]
	s_set_vgpr_msb 0                        ;  msbs: dst=0 src0=0 src1=0 src2=0
	v_mul_i32_i24_e32 v197, v197, v135
	s_set_vgpr_msb 0x44                     ;  msbs: dst=1 src0=0 src1=1 src2=0
	v_lshlrev_b16 v4 /*v260*/, 8, v4 /*v260*/
	s_set_vgpr_msb 0                        ;  msbs: dst=0 src0=0 src1=0 src2=0
	v_lshlrev_b16 v174, 8, v174
	v_perm_b32 v154, v160, v154, 0x5040100
	s_set_vgpr_msb 1                        ;  msbs: dst=0 src0=1 src1=0 src2=0
	v_mul_i32_i24_e32 v160, v32 /*v288*/, v221
	s_set_vgpr_msb 0                        ;  msbs: dst=0 src0=0 src1=0 src2=0
	v_bitop3_b16 v145, v246, v145, 0xff bitop3:0xec
	v_bitop3_b16 v223, v240, v248, 0xff bitop3:0xec
	s_set_vgpr_msb 1                        ;  msbs: dst=0 src0=1 src1=0 src2=0
	v_bitop3_b16 v190, v37 /*v293*/, v190, 0xff bitop3:0xec
	s_set_vgpr_msb 0                        ;  msbs: dst=0 src0=0 src1=0 src2=0
	v_perm_b32 v163, v163, v163, 0xc0c0c01
	v_perm_b32 v177, v177, v177, 0xc0c0c01
	v_add3_u32 v143, v180, v143, v181
	v_perm_b32 v148, v148, v252, 0xc0c0500
	v_perm_b32 v157, v157, v243, 0x5000c0c
	s_set_vgpr_msb 4                        ;  msbs: dst=0 src0=0 src1=1 src2=0
	v_perm_b32 v201, v201, v41 /*v297*/, 0xc05000c
	v_perm_b32 v193, v193, v39 /*v295*/, 0xc05000c
	v_bfe_i32 v152, v152, 0, 8
	s_set_vgpr_msb 0                        ;  msbs: dst=0 src0=0 src1=0 src2=0
	v_dot4_i32_iu8 v162, v142, v200, v162 neg_lo:[1,1,0]
	v_or_b32_e32 v173, v189, v173
	v_or_b32_e32 v168, v185, v169
	v_add3_u32 v164, v196, v164, v165
	v_dot4_i32_iu8 v142, v142, v192, v176 neg_lo:[1,1,0]
	v_mul_i32_i24_e32 v167, v234, v167
	v_add3_u32 v161, v166, v170, v161
	s_set_vgpr_msb 4                        ;  msbs: dst=0 src0=0 src1=1 src2=0
	v_mad_i32_i24 v166, v135, v20 /*v276*/, v172
	v_mad_i32_i24 v135, v135, v7 /*v263*/, v138
	s_set_vgpr_msb 0                        ;  msbs: dst=0 src0=0 src1=0 src2=0
	v_lshrrev_b16 v178, 8, v178
	s_set_vgpr_msb 4                        ;  msbs: dst=0 src0=0 src1=1 src2=0
	v_sub_nc_u16 v194, v194, v56 /*v312*/
	s_set_vgpr_msb 0                        ;  msbs: dst=0 src0=0 src1=0 src2=0
	v_and_b32_e32 v156, 0xffff, v156
	v_bfe_i32 v216, v5, 16, 8
	v_bfe_i32 v133, v6, 0, 8
	v_perm_b32 v137, v5, v4, 0x5040302
	v_perm_b32 v139, v1, v1, 0xc030201
	s_set_vgpr_msb 0x45                     ;  msbs: dst=1 src0=1 src1=1 src2=0
	v_sub_nc_u16 v48 /*v304*/, v64 /*v320*/, v48 /*v304*/
	s_set_vgpr_msb 1                        ;  msbs: dst=0 src0=1 src1=0 src2=0
	v_sub_nc_u16 v175, v65 /*v321*/, v175
	s_set_vgpr_msb 0x41                     ;  msbs: dst=1 src0=1 src1=0 src2=0
	v_bfe_i32 v8 /*v264*/, v8 /*v264*/, 0, 8
	s_set_vgpr_msb 0                        ;  msbs: dst=0 src0=0 src1=0 src2=0
	v_mul_i32_i24_e32 v205, v205, v132
	v_lshlrev_b16 v146, 8, v146
	v_lshlrev_b16 v186, 8, v186
	;; [unrolled: 1-line block ×3, first 2 shown]
	s_set_vgpr_msb 1                        ;  msbs: dst=0 src0=1 src1=0 src2=0
	v_mul_i32_i24_e32 v221, v33 /*v289*/, v222
	s_set_vgpr_msb 0                        ;  msbs: dst=0 src0=0 src1=0 src2=0
	v_mad_i32_i24 v197, v207, v134, v197
	s_set_vgpr_msb 1                        ;  msbs: dst=0 src0=1 src1=0 src2=0
	v_bfe_i32 v222, v4 /*v260*/, 8, 8
	s_set_vgpr_msb 0                        ;  msbs: dst=0 src0=0 src1=0 src2=0
	v_perm_b32 v174, v174, v174, 0xc0c0c01
	v_pk_mul_lo_u16 v154, v154, v228 op_sel_hi:[1,0]
	v_perm_b32 v145, v145, v246, 0xc0c0500
	v_perm_b32 v181, v223, v240, 0x5000c0c
	s_set_vgpr_msb 4                        ;  msbs: dst=0 src0=0 src1=1 src2=0
	v_perm_b32 v190, v190, v37 /*v293*/, 0xc05000c
	s_set_vgpr_msb 0                        ;  msbs: dst=0 src0=0 src1=0 src2=0
	v_pk_mul_lo_u16 v158, v158, v233 op_sel_hi:[1,0]
	v_or_b32_e32 v148, v157, v148
	v_dual_add_nc_u32 v89, 4, v89 :: v_dual_bitop2_b32 v157, v201, v163 bitop3:0x54
	v_or_b32_e32 v165, v193, v177
	s_set_vgpr_msb 4                        ;  msbs: dst=0 src0=0 src1=1 src2=0
	v_mad_i32_i24 v162, v132, v11 /*v267*/, v162
	s_set_vgpr_msb 0                        ;  msbs: dst=0 src0=0 src1=0 src2=0
	v_add3_u32 v138, v143, v160, v164
	s_set_vgpr_msb 4                        ;  msbs: dst=0 src0=0 src1=1 src2=0
	v_mad_i32_i24 v132, v132, v21 /*v277*/, v142
	s_set_vgpr_msb 0                        ;  msbs: dst=0 src0=0 src1=0 src2=0
	v_mad_i32_i24 v134, v134, v152, v167
	v_dot4_i32_iu8 v143, v136, v173, v166 neg_lo:[1,1,0]
	v_dot4_i32_iu8 v135, v136, v168, v135 neg_lo:[1,1,0]
	v_bfe_i32 v130, v7, 0, 8
	v_bfe_u32 v195, v195, 24, 2
	s_set_vgpr_msb 0x45                     ;  msbs: dst=1 src0=1 src1=1 src2=0
	v_sub_nc_u16 v24 /*v280*/, v35 /*v291*/, v24 /*v280*/
	s_set_vgpr_msb 1                        ;  msbs: dst=0 src0=1 src1=0 src2=0
	v_sub_nc_u16 v178, v34 /*v290*/, v178
	s_set_vgpr_msb 0                        ;  msbs: dst=0 src0=0 src1=0 src2=0
	v_bfe_i32 v199, v199, 0, 8
	v_lshlrev_b16 v149, 8, v149
	s_set_vgpr_msb 0x44                     ;  msbs: dst=1 src0=0 src1=1 src2=0
	v_lshlrev_b16 v0 /*v256*/, 8, v0 /*v256*/
	s_set_vgpr_msb 0                        ;  msbs: dst=0 src0=0 src1=0 src2=0
	v_lshlrev_b16 v194, 8, v194
	v_bfe_i32 v153, v156, 8, 8
	v_bfe_i32 v214, v4, 16, 8
	;; [unrolled: 1-line block ×3, first 2 shown]
	v_perm_b32 v5, v6, v5, 0x5040302
	v_perm_b32 v6, v6, v6, 0xc030201
	s_set_vgpr_msb 0x41                     ;  msbs: dst=1 src0=1 src1=0 src2=0
	v_bfe_i32 v17 /*v273*/, v17 /*v273*/, 0, 8
	v_bfe_i32 v9 /*v265*/, v9 /*v265*/, 0, 8
	v_bfe_i32 v12 /*v268*/, v12 /*v268*/, 0, 8
	v_bfe_i32 v34 /*v290*/, v45 /*v301*/, 0, 8
	v_mul_i32_i24_e32 v3 /*v259*/, v3 /*v259*/, v133
	s_set_vgpr_msb 1                        ;  msbs: dst=0 src0=1 src1=0 src2=0
	v_lshlrev_b16 v175, 8, v175
	v_mul_i32_i24_e32 v216, v29 /*v285*/, v216
	s_set_vgpr_msb 0                        ;  msbs: dst=0 src0=0 src1=0 src2=0
	v_bfe_i32 v146, v146, 8, 8
	v_bfe_i32 v186, v186, 8, 8
	s_set_vgpr_msb 1                        ;  msbs: dst=0 src0=1 src1=0 src2=0
	v_bitop3_b16 v191, v48 /*v304*/, v191, 0xff bitop3:0xec
	s_set_vgpr_msb 0                        ;  msbs: dst=0 src0=0 src1=0 src2=0
	v_mul_i32_i24_e32 v180, v212, v222
	v_or_b32_e32 v145, v181, v145
	v_bfe_i32 v163, v154, 0, 16
	v_ashrrev_i32_e32 v154, 16, v154
	v_or_b32_e32 v169, v190, v174
	v_dot4_i32_iu8 v142, v139, v157, v162 neg_lo:[1,1,0]
	v_dot4_i32_iu8 v132, v139, v165, v132 neg_lo:[1,1,0]
	;; [unrolled: 1-line block ×3, first 2 shown]
	s_set_vgpr_msb 4                        ;  msbs: dst=0 src0=0 src1=1 src2=0
	v_mad_i32_i24 v137, v133, v22 /*v278*/, v143
	v_mad_i32_i24 v133, v133, v8 /*v264*/, v135
	v_bfe_i32 v226, v3, 16, 8
	s_set_vgpr_msb 0x41                     ;  msbs: dst=1 src0=1 src1=0 src2=0
	v_bfe_i32 v15 /*v271*/, v15 /*v271*/, 0, 8
	s_set_vgpr_msb 4                        ;  msbs: dst=0 src0=0 src1=1 src2=0
	v_sub_nc_u16 v195, v195, v55 /*v311*/
	v_bfe_i32 v255, v255, 0, 8
	s_set_vgpr_msb 0                        ;  msbs: dst=0 src0=0 src1=0 src2=0
	v_mul_i32_i24_e32 v199, v199, v130
	s_set_vgpr_msb 0x44                     ;  msbs: dst=1 src0=0 src1=1 src2=0
	v_lshlrev_b16 v35 /*v291*/, 8, v50 /*v306*/
	s_set_vgpr_msb 0                        ;  msbs: dst=0 src0=0 src1=0 src2=0
	v_lshlrev_b16 v178, 8, v178
	v_bitop3_b16 v149, v254, v149, 0xff bitop3:0xec
	s_set_vgpr_msb 4                        ;  msbs: dst=0 src0=0 src1=1 src2=0
	v_bitop3_b16 v224, v244, v0 /*v256*/, 0xff bitop3:0xec
	s_set_vgpr_msb 1                        ;  msbs: dst=0 src0=1 src1=0 src2=0
	v_bitop3_b16 v194, v24 /*v280*/, v194, 0xff bitop3:0xec
	s_set_vgpr_msb 0                        ;  msbs: dst=0 src0=0 src1=0 src2=0
	v_bfe_i32 v156, v156, 0, 8
	v_mul_i32_i24_e32 v153, v229, v153
	s_set_vgpr_msb 0x41                     ;  msbs: dst=1 src0=1 src1=0 src2=0
	v_mul_i32_i24_e32 v17 /*v273*/, v17 /*v273*/, v129
	s_set_vgpr_msb 0x44                     ;  msbs: dst=1 src0=0 src1=1 src2=0
	v_mul_i32_i24_e32 v9 /*v265*/, v130, v9 /*v265*/
	s_set_vgpr_msb 1                        ;  msbs: dst=0 src0=1 src1=0 src2=0
	v_mul_i32_i24_e32 v207, v34 /*v290*/, v228
	s_set_vgpr_msb 0                        ;  msbs: dst=0 src0=0 src1=0 src2=0
	v_perm_b32 v175, v175, v175, 0xc0c0c01
	s_set_vgpr_msb 1                        ;  msbs: dst=0 src0=1 src1=0 src2=0
	v_mad_i32_i24 v213, v30 /*v286*/, v214, v216
	s_set_vgpr_msb 0                        ;  msbs: dst=0 src0=0 src1=0 src2=0
	v_mul_i32_i24_e32 v146, v230, v146
	v_mul_i32_i24_e32 v186, v230, v186
	s_set_vgpr_msb 4                        ;  msbs: dst=0 src0=0 src1=1 src2=0
	v_perm_b32 v191, v191, v48 /*v304*/, 0xc05000c
	v_mad_i32_i24 v135, v129, v12 /*v268*/, v142
	v_mad_i32_i24 v129, v129, v25 /*v281*/, v132
	s_set_vgpr_msb 0                        ;  msbs: dst=0 src0=0 src1=0 src2=0
	v_dot4_i32_iu8 v5, v5, v145, v134 neg_lo:[1,1,0]
	v_dot4_i32_iu8 v6, v6, v169, v137 neg_lo:[1,1,0]
	v_add3_u32 v132, v133, v180, v154
	v_bfe_i32 v220, v1, 16, 8
	v_perm_b32 v140, v1, v0, 0x5040302
	s_set_vgpr_msb 4                        ;  msbs: dst=0 src0=0 src1=1 src2=0
	v_sub_nc_u16 v249, v249, v59 /*v315*/
	s_set_vgpr_msb 1                        ;  msbs: dst=0 src0=1 src1=0 src2=0
	v_lshlrev_b16 v159, 8, v159
	v_lshlrev_b16 v151, 8, v151
	;; [unrolled: 1-line block ×6, first 2 shown]
	v_mad_i32_i24 v205, v15 /*v271*/, v131, v205
	s_set_vgpr_msb 0                        ;  msbs: dst=0 src0=0 src1=0 src2=0
	v_mul_i32_i24_e32 v206, v255, v226
	s_set_vgpr_msb 1                        ;  msbs: dst=0 src0=1 src1=0 src2=0
	v_bfe_i32 v226, v35 /*v291*/, 8, 8
	s_set_vgpr_msb 0                        ;  msbs: dst=0 src0=0 src1=0 src2=0
	v_perm_b32 v178, v178, v178, 0xc0c0c01
	s_set_vgpr_msb 4                        ;  msbs: dst=0 src0=0 src1=1 src2=0
	v_add3_u32 v197, v197, v3 /*v259*/, v199
	s_set_vgpr_msb 0                        ;  msbs: dst=0 src0=0 src1=0 src2=0
	v_perm_b32 v149, v149, v254, 0xc0c0500
	v_perm_b32 v199, v224, v244, 0x5000c0c
	s_set_vgpr_msb 4                        ;  msbs: dst=0 src0=0 src1=1 src2=0
	v_perm_b32 v194, v194, v24 /*v280*/, 0xc05000c
	s_set_vgpr_msb 0                        ;  msbs: dst=0 src0=0 src1=0 src2=0
	v_mad_i32_i24 v131, v131, v156, v153
	v_perm_b32 v4, v7, v7, 0xc030201
	v_or_b32_e32 v174, v191, v175
	v_add3_u32 v175, v213, v207, v221
	v_add3_u32 v5, v5, v163, v146
	s_set_vgpr_msb 4                        ;  msbs: dst=0 src0=0 src1=1 src2=0
	v_mad_i32_i24 v6, v130, v23 /*v279*/, v6
	s_set_vgpr_msb 16                       ;  msbs: dst=0 src0=0 src1=0 src2=1
	v_add3_u32 v130, v132, v186, v9 /*v265*/
	v_bfe_i32 v218, v0, 16, 8
	v_bfe_i32 v128, v3, 0, 8
	v_perm_b32 v1, v2, v1, 0x5040302
	v_perm_b32 v2, v2, v2, 0xc030201
	s_set_vgpr_msb 0x41                     ;  msbs: dst=1 src0=1 src1=0 src2=0
	v_bfe_i32 v18 /*v274*/, v18 /*v274*/, 0, 8
	v_bfe_i32 v13 /*v269*/, v13 /*v269*/, 0, 8
	s_set_vgpr_msb 0                        ;  msbs: dst=0 src0=0 src1=0 src2=0
	v_bfe_i32 v253, v253, 0, 8
	v_lshlrev_b16 v171, 8, v171
	v_lshlrev_b16 v179, 8, v179
	s_set_vgpr_msb 1                        ;  msbs: dst=0 src0=1 src1=0 src2=0
	v_mul_i32_i24_e32 v220, v27 /*v283*/, v220
	s_set_vgpr_msb 0                        ;  msbs: dst=0 src0=0 src1=0 src2=0
	v_bitop3_b16 v159, v245, v159, 0xff bitop3:0xec
	s_set_vgpr_msb 1                        ;  msbs: dst=0 src0=1 src1=0 src2=0
	v_bitop3_b16 v151, v2 /*v258*/, v151, 0xff bitop3:0xec
	s_set_vgpr_msb 0                        ;  msbs: dst=0 src0=0 src1=0 src2=0
	v_bfe_i32 v150, v150, 8, 8
	s_set_vgpr_msb 1                        ;  msbs: dst=0 src0=1 src1=0 src2=0
	v_bitop3_b16 v203, v49 /*v305*/, v203, 0xff bitop3:0xec
	s_set_vgpr_msb 0                        ;  msbs: dst=0 src0=0 src1=0 src2=0
	v_bitop3_b16 v195, v249, v195, 0xff bitop3:0xec
	v_bfe_i32 v198, v198, 8, 8
	v_mul_i32_i24_e32 v202, v231, v226
	v_or_b32_e32 v149, v199, v149
	v_or_b32_e32 v176, v194, v178
	v_bfe_i32 v177, v158, 0, 16
	v_ashrrev_i32_e32 v158, 16, v158
	v_dot4_i32_iu8 v131, v140, v148, v131 neg_lo:[1,1,0]
	v_lshrrev_b16 v235, 8, v210
	v_bfe_i32 v141, v210, 0, 8
	v_lshrrev_b16 v210, 8, v211
	v_lshrrev_b16 v236, 8, v208
	v_bfe_i32 v208, v208, 0, 8
	v_bfe_i32 v211, v211, 0, 8
	v_lshrrev_b16 v237, 8, v209
	v_bfe_i32 v209, v209, 0, 8
	v_add3_u32 v136, v197, v175, v138
	v_dot4_i32_iu8 v5, v7, v147, v5 neg_lo:[1,1,0]
	v_dot4_i32_iu8 v6, v4, v174, v6 neg_lo:[1,1,0]
	;; [unrolled: 1-line block ×3, first 2 shown]
	s_set_vgpr_msb 0x41                     ;  msbs: dst=1 src0=1 src1=0 src2=0
	v_mul_i32_i24_e32 v18 /*v274*/, v18 /*v274*/, v128
	s_set_vgpr_msb 0x44                     ;  msbs: dst=1 src0=0 src1=1 src2=0
	v_mul_i32_i24_e32 v13 /*v269*/, v128, v13 /*v269*/
	s_set_vgpr_msb 0                        ;  msbs: dst=0 src0=0 src1=0 src2=0
	v_mul_i32_i24_e32 v225, v253, v233
	v_perm_b32 v171, v171, v171, 0xc0c0c01
	v_perm_b32 v179, v179, v179, 0xc0c0c01
	s_set_vgpr_msb 1                        ;  msbs: dst=0 src0=1 src1=0 src2=0
	v_mad_i32_i24 v217, v28 /*v284*/, v218, v220
	s_set_vgpr_msb 0                        ;  msbs: dst=0 src0=0 src1=0 src2=0
	v_perm_b32 v159, v159, v245, 0xc0c0500
	s_set_vgpr_msb 4                        ;  msbs: dst=0 src0=0 src1=1 src2=0
	v_perm_b32 v151, v151, v2 /*v258*/, 0x5000c0c
	s_set_vgpr_msb 0                        ;  msbs: dst=0 src0=0 src1=0 src2=0
	v_mul_i32_i24_e32 v150, v232, v150
	v_mul_i32_i24_e32 v198, v232, v198
	s_set_vgpr_msb 4                        ;  msbs: dst=0 src0=0 src1=1 src2=0
	v_perm_b32 v203, v203, v49 /*v305*/, 0xc05000c
	s_set_vgpr_msb 0                        ;  msbs: dst=0 src0=0 src1=0 src2=0
	v_perm_b32 v195, v195, v249, 0xc05000c
	v_dot4_i32_iu8 v1, v1, v149, v131 neg_lo:[1,1,0]
	v_add3_u32 v131, v135, v202, v158
	v_dot4_i32_iu8 v2, v2, v176, v129 neg_lo:[1,1,0]
	v_mul_lo_u32 v133, v136, v209
	v_mul_lo_u32 v5, v5, v211
	;; [unrolled: 1-line block ×4, first 2 shown]
	v_perm_b32 v0, v3, v3, 0xc030201
	s_set_vgpr_msb 20                       ;  msbs: dst=0 src0=0 src1=1 src2=1
	v_add3_u32 v205, v205, v17 /*v273*/, v18 /*v274*/
	s_set_vgpr_msb 0                        ;  msbs: dst=0 src0=0 src1=0 src2=0
	v_or_b32_e32 v151, v151, v159
	v_add3_u32 v159, v217, v225, v206
	v_or_b32_e32 v171, v203, v171
	v_or_b32_e32 v178, v195, v179
	v_add3_u32 v1, v1, v177, v150
	s_set_vgpr_msb 4                        ;  msbs: dst=0 src0=0 src1=1 src2=0
	v_mad_i32_i24 v2, v128, v26 /*v282*/, v2
	s_set_vgpr_msb 16                       ;  msbs: dst=0 src0=0 src1=0 src2=1
	v_add3_u32 v7, v131, v198, v13 /*v269*/
	v_bfe_i32 v235, v235, 0, 8
	v_bfe_i32 v236, v236, 0, 8
	;; [unrolled: 1-line block ×4, first 2 shown]
	s_set_vgpr_msb 0                        ;  msbs: dst=0 src0=0 src1=0 src2=0
	v_add3_u32 v129, v205, v159, v161
	v_dot4_i32_iu8 v1, v3, v151, v1 neg_lo:[1,1,0]
	v_dot4_i32_iu8 v2, v0, v178, v2 neg_lo:[1,1,0]
	;; [unrolled: 1-line block ×3, first 2 shown]
	s_add_co_i32 s20, s20, 2
	v_mad_u32 v7, v129, v128, v133
	v_mad_u32 v128, v1, v210, v5
	;; [unrolled: 1-line block ×4, first 2 shown]
	v_pk_mul_f32 v[0:1], v[90:91], v[94:95] op_sel_hi:[0,1]
	v_pk_mul_f32 v[2:3], v[90:91], v[92:93] op_sel_hi:[0,1]
	v_add_nc_u32_e32 v91, 32, v91
	s_add_co_i32 s1, s1, 1
	s_cmp_lt_u32 s21, 6
	s_mov_b32 s22, s21
	v_cvt_f32_i32_e32 v5, v7
	v_cvt_f32_i32_e32 v6, v128
	;; [unrolled: 1-line block ×4, first 2 shown]
	s_delay_alu instid0(VALU_DEP_2) | instskip(NEXT) | instid1(VALU_DEP_2)
	v_pk_fma_f32 v[20:21], v[2:3], v[4:5], v[20:21]
	v_pk_fma_f32 v[18:19], v[0:1], v[6:7], v[18:19]
	s_cbranch_scc1 .LBB189_11
; %bb.12:                               ;   in Loop: Header=BB189_5 Depth=1
	s_or_b32 s1, s16, 0x80
	s_delay_alu instid0(SALU_CYCLE_1)
	s_cmp_ge_i32 s1, s11
	s_barrier_signal -1
	s_barrier_wait -1
	s_cbranch_scc1 .LBB189_4
; %bb.13:                               ;   in Loop: Header=BB189_5 Depth=1
	v_add_nc_u32_e32 v0, s17, v75
	s_delay_alu instid0(VALU_DEP_1) | instskip(SKIP_1) | instid1(SALU_CYCLE_1)
	v_cmp_gt_i32_e64 s1, s5, v0
	s_and_b32 s20, s0, s1
	s_and_saveexec_b32 s1, s20
	s_cbranch_execz .LBB189_15
; %bb.14:                               ;   in Loop: Header=BB189_5 Depth=1
	v_add_nc_u32_e32 v0, v22, v0
	s_delay_alu instid0(VALU_DEP_1)
	v_mad_nc_i64_i32 v[0:1], v0, 36, v[26:27]
	global_load_b32 v0, v[0:1], off offset:4
	s_wait_loadcnt 0x0
	ds_store_b32 v37, v0
.LBB189_15:                             ;   in Loop: Header=BB189_5 Depth=1
	s_or_b32 exec_lo, exec_lo, s1
	s_and_saveexec_b32 s20, vcc_lo
	s_cbranch_execz .LBB189_18
; %bb.16:                               ;   in Loop: Header=BB189_5 Depth=1
	v_or_b32_e32 v0, 4, v88
	s_delay_alu instid0(VALU_DEP_1) | instskip(SKIP_1) | instid1(SALU_CYCLE_1)
	v_cmp_gt_i32_e64 s1, s5, v0
	s_and_b32 s1, s0, s1
	s_and_b32 exec_lo, exec_lo, s1
	s_cbranch_execz .LBB189_18
; %bb.17:                               ;   in Loop: Header=BB189_5 Depth=1
	v_ashrrev_i32_e32 v89, 31, v88
	s_delay_alu instid0(VALU_DEP_1) | instskip(NEXT) | instid1(VALU_DEP_1)
	v_add_nc_u64_e32 v[0:1], v[22:23], v[88:89]
	v_mad_nc_u64_u32 v[2:3], v0, 36, s[2:3]
	s_delay_alu instid0(VALU_DEP_1)
	v_mad_i32_i24 v3, v1, 36, v3
	global_load_b32 v0, v[2:3], off offset:144
	s_wait_loadcnt 0x0
	v_cvt_f32_f16_e32 v0, v0
	ds_store_b32 v41, v0
.LBB189_18:                             ;   in Loop: Header=BB189_5 Depth=1
	s_or_b32 exec_lo, exec_lo, s20
	v_dual_mov_b32 v89, v35 :: v_dual_mov_b32 v91, v39
	s_mov_b32 s1, 8
	s_mov_b32 s24, 6
	;; [unrolled: 1-line block ×3, first 2 shown]
	s_wait_dscnt 0x0
	s_barrier_signal -1
	s_barrier_wait -1
.LBB189_19:                             ;   Parent Loop BB189_5 Depth=1
                                        ; =>  This Inner Loop Header: Depth=2
	s_add_co_i32 s21, s24, 2
	s_add_co_i32 s22, s24, -6
	s_lshr_b32 s26, s21, 4
	s_and_b32 s23, s21, 0x3ffffff8
	s_and_b32 s25, s1, -16
	v_lshl_add_u32 v4, s23, 2, v81
	s_lshl_b32 s23, s26, 5
	s_add_co_i32 s24, s24, s25
	s_addk_co_i32 s23, 0x4200
	s_lshl_b32 s25, s26, 2
	v_add3_u32 v92, s23, v83, v85
	ds_load_2addr_b32 v[0:1], v4 offset1:1
	s_addk_co_i32 s25, 0x7380
	ds_load_b32 v90, v91
	s_add_co_i32 s1, s1, 2
	ds_load_2addr_b32 v[2:3], v92 offset1:1
	s_wait_dscnt 0x2
	v_dual_add_nc_u32 v139, s24, v49 :: v_dual_ashrrev_i32 v0, s22, v0
	s_wait_dscnt 0x0
	v_ashrrev_i32_e32 v2, s20, v2
	s_delay_alu instid0(VALU_DEP_2) | instskip(NEXT) | instid1(VALU_DEP_2)
	v_and_b32_e32 v5, 0x3030303, v0
	v_dual_ashrrev_i32 v3, s20, v3 :: v_dual_lshlrev_b32 v2, 2, v2
	s_delay_alu instid0(VALU_DEP_2) | instskip(SKIP_2) | instid1(VALU_DEP_4)
	v_lshrrev_b32_e32 v7, 16, v5
	v_bfe_u32 v0, v0, 24, 2
	v_lshrrev_b16 v6, 8, v5
	v_lshlrev_b32_e32 v3, 2, v3
	v_and_b32_e32 v2, 0x4040404, v2
	s_delay_alu instid0(VALU_DEP_2) | instskip(NEXT) | instid1(VALU_DEP_2)
	v_and_b32_e32 v3, 0x4040404, v3
	v_dual_lshrrev_b32 v94, 24, v2 :: v_dual_lshrrev_b32 v95, 16, v2
	v_lshrrev_b16 v93, 8, v2
	s_delay_alu instid0(VALU_DEP_2) | instskip(NEXT) | instid1(VALU_DEP_3)
	v_sub_nc_u16 v0, v0, v94
	v_sub_nc_u16 v163, v7, v95
	v_lshrrev_b32_e32 v7, 24, v3
	s_delay_alu instid0(VALU_DEP_3) | instskip(NEXT) | instid1(VALU_DEP_1)
	v_lshlrev_b16 v0, 8, v0
	v_bitop3_b16 v164, v163, v0, 0xff bitop3:0xec
	v_sub_nc_u16 v0, v5, v2
	v_sub_nc_u16 v2, v6, v93
	v_lshrrev_b32_e32 v93, 16, v3
	v_lshrrev_b16 v6, 8, v3
	v_perm_b32 v163, v164, v163, 0xc0c0500
	s_delay_alu instid0(VALU_DEP_4) | instskip(NEXT) | instid1(VALU_DEP_1)
	v_lshlrev_b16 v2, 8, v2
	v_bitop3_b16 v0, v0, v2, 0xff bitop3:0xec
	s_delay_alu instid0(VALU_DEP_1) | instskip(SKIP_1) | instid1(VALU_DEP_1)
	v_and_b32_e32 v167, 0xffff, v0
	v_ashrrev_i32_e32 v0, s22, v1
	v_and_b32_e32 v1, 0x3030303, v0
	v_bfe_u32 v0, v0, 24, 2
	s_delay_alu instid0(VALU_DEP_2) | instskip(NEXT) | instid1(VALU_DEP_2)
	v_lshrrev_b32_e32 v5, 16, v1
	v_sub_nc_u16 v0, v0, v7
	v_lshrrev_b16 v2, 8, v1
	v_sub_nc_u16 v168, v1, v3
	s_delay_alu instid0(VALU_DEP_4) | instskip(NEXT) | instid1(VALU_DEP_4)
	v_sub_nc_u16 v165, v5, v93
	v_lshlrev_b16 v0, 8, v0
	s_delay_alu instid0(VALU_DEP_1) | instskip(SKIP_4) | instid1(VALU_DEP_1)
	v_bitop3_b16 v166, v165, v0, 0xff bitop3:0xec
	v_sub_nc_u16 v0, v2, v6
	ds_load_2addr_b32 v[2:3], v92 offset0:2 offset1:3
	v_perm_b32 v165, v166, v165, 0xc0c0500
	v_lshlrev_b16 v0, 8, v0
	v_bitop3_b16 v169, v168, v0, 0xff bitop3:0xec
	ds_load_2addr_b32 v[0:1], v4 offset0:2 offset1:3
	v_perm_b32 v164, v169, v168, 0x5000c0c
	s_wait_dscnt 0x1
	s_delay_alu instid0(VALU_DEP_1) | instskip(NEXT) | instid1(VALU_DEP_1)
	v_dual_ashrrev_i32 v2, s20, v2 :: v_dual_bitop2_b32 v163, v164, v163 bitop3:0x54
	v_dual_ashrrev_i32 v3, s20, v3 :: v_dual_lshlrev_b32 v2, 2, v2
	s_wait_dscnt 0x0
	s_delay_alu instid0(VALU_DEP_1) | instskip(NEXT) | instid1(VALU_DEP_2)
	v_dual_lshlrev_b32 v3, 2, v3 :: v_dual_ashrrev_i32 v0, s22, v0
	v_and_b32_e32 v2, 0x4040404, v2
	s_delay_alu instid0(VALU_DEP_2) | instskip(NEXT) | instid1(VALU_DEP_3)
	v_and_b32_e32 v3, 0x4040404, v3
	v_and_b32_e32 v5, 0x3030303, v0
	v_bfe_u32 v0, v0, 24, 2
	s_delay_alu instid0(VALU_DEP_4) | instskip(SKIP_1) | instid1(VALU_DEP_4)
	v_dual_lshrrev_b32 v93, 16, v2 :: v_dual_lshrrev_b32 v94, 24, v2
	v_lshrrev_b16 v95, 8, v2
	v_lshrrev_b16 v7, 8, v5
	v_lshrrev_b32_e32 v6, 16, v5
	v_sub_nc_u16 v171, v5, v2
	v_sub_nc_u16 v0, v0, v94
	s_delay_alu instid0(VALU_DEP_4) | instskip(SKIP_2) | instid1(VALU_DEP_4)
	v_sub_nc_u16 v2, v7, v95
	v_lshrrev_b32_e32 v7, 24, v3
	v_sub_nc_u16 v174, v6, v93
	v_lshlrev_b16 v129, 8, v0
	v_ashrrev_i32_e32 v0, s22, v1
	v_lshlrev_b16 v2, 8, v2
	v_lshrrev_b32_e32 v93, 16, v3
	v_lshrrev_b16 v6, 8, v3
	v_bfe_i32 v174, v174, 0, 8
	v_and_b32_e32 v1, 0x3030303, v0
	v_bfe_u32 v0, v0, 24, 2
	v_bitop3_b16 v172, v171, v2, 0xff bitop3:0xec
	v_bfe_i32 v129, v129, 8, 8
	s_delay_alu instid0(VALU_DEP_4) | instskip(NEXT) | instid1(VALU_DEP_4)
	v_lshrrev_b32_e32 v5, 16, v1
	v_sub_nc_u16 v0, v0, v7
	v_lshrrev_b16 v2, 8, v1
	v_sub_nc_u16 v132, v1, v3
	v_perm_b32 v166, v172, v171, 0x5000c0c
	v_sub_nc_u16 v130, v5, v93
	v_lshlrev_b16 v0, 8, v0
	s_delay_alu instid0(VALU_DEP_1) | instskip(SKIP_4) | instid1(VALU_DEP_1)
	v_bitop3_b16 v131, v130, v0, 0xff bitop3:0xec
	v_sub_nc_u16 v0, v2, v6
	ds_load_2addr_b32 v[2:3], v92 offset0:4 offset1:5
	v_perm_b32 v130, v131, v130, 0x5000c0c
	v_lshlrev_b16 v0, 8, v0
	v_bitop3_b16 v133, v132, v0, 0xff bitop3:0xec
	ds_load_2addr_b32 v[0:1], v4 offset0:4 offset1:5
	v_perm_b32 v132, v133, v132, 0xc0c0500
	s_wait_dscnt 0x1
	s_delay_alu instid0(VALU_DEP_1) | instskip(NEXT) | instid1(VALU_DEP_1)
	v_dual_ashrrev_i32 v2, s20, v2 :: v_dual_bitop2_b32 v130, v130, v132 bitop3:0x54
	v_dual_ashrrev_i32 v3, s20, v3 :: v_dual_lshlrev_b32 v2, 2, v2
	s_wait_dscnt 0x0
	s_delay_alu instid0(VALU_DEP_1) | instskip(NEXT) | instid1(VALU_DEP_2)
	v_dual_lshlrev_b32 v3, 2, v3 :: v_dual_ashrrev_i32 v0, s22, v0
	v_and_b32_e32 v2, 0x4040404, v2
	s_delay_alu instid0(VALU_DEP_2) | instskip(NEXT) | instid1(VALU_DEP_3)
	v_and_b32_e32 v3, 0x4040404, v3
	v_and_b32_e32 v5, 0x3030303, v0
	v_bfe_u32 v0, v0, 24, 2
	s_delay_alu instid0(VALU_DEP_4) | instskip(SKIP_1) | instid1(VALU_DEP_4)
	v_dual_lshrrev_b32 v94, 24, v2 :: v_dual_lshrrev_b32 v95, 16, v2
	v_lshrrev_b16 v93, 8, v2
	v_lshrrev_b32_e32 v7, 16, v5
	v_lshrrev_b16 v6, 8, v5
	s_delay_alu instid0(VALU_DEP_4) | instskip(NEXT) | instid1(VALU_DEP_3)
	v_sub_nc_u16 v0, v0, v94
	v_sub_nc_u16 v151, v7, v95
	v_lshrrev_b32_e32 v7, 24, v3
	s_delay_alu instid0(VALU_DEP_3) | instskip(NEXT) | instid1(VALU_DEP_1)
	v_lshlrev_b16 v0, 8, v0
	v_bitop3_b16 v152, v151, v0, 0xff bitop3:0xec
	v_sub_nc_u16 v0, v5, v2
	v_sub_nc_u16 v2, v6, v93
	v_lshrrev_b32_e32 v93, 16, v3
	v_lshrrev_b16 v6, 8, v3
	v_perm_b32 v151, v152, v151, 0xc0c0500
	s_delay_alu instid0(VALU_DEP_4) | instskip(NEXT) | instid1(VALU_DEP_1)
	v_lshlrev_b16 v2, 8, v2
	v_bitop3_b16 v0, v0, v2, 0xff bitop3:0xec
	s_delay_alu instid0(VALU_DEP_1) | instskip(SKIP_1) | instid1(VALU_DEP_1)
	v_and_b32_e32 v158, 0xffff, v0
	v_ashrrev_i32_e32 v0, s22, v1
	v_and_b32_e32 v1, 0x3030303, v0
	v_bfe_u32 v0, v0, 24, 2
	s_delay_alu instid0(VALU_DEP_2) | instskip(NEXT) | instid1(VALU_DEP_2)
	v_lshrrev_b32_e32 v5, 16, v1
	v_sub_nc_u16 v0, v0, v7
	v_lshrrev_b16 v2, 8, v1
	v_sub_nc_u16 v159, v1, v3
	s_delay_alu instid0(VALU_DEP_4) | instskip(NEXT) | instid1(VALU_DEP_4)
	v_sub_nc_u16 v153, v5, v93
	v_lshlrev_b16 v0, 8, v0
	s_delay_alu instid0(VALU_DEP_1) | instskip(SKIP_3) | instid1(VALU_DEP_1)
	v_bitop3_b16 v154, v153, v0, 0xff bitop3:0xec
	v_sub_nc_u16 v0, v2, v6
	ds_load_2addr_b32 v[2:3], v92 offset0:6 offset1:7
	v_lshlrev_b16 v0, 8, v0
	v_bitop3_b16 v160, v159, v0, 0xff bitop3:0xec
	ds_load_2addr_b32 v[0:1], v4 offset0:6 offset1:7
	v_perm_b32 v152, v160, v159, 0x5000c0c
	s_wait_dscnt 0x1
	v_dual_ashrrev_i32 v2, s20, v2 :: v_dual_ashrrev_i32 v3, s20, v3
	s_delay_alu instid0(VALU_DEP_1) | instskip(SKIP_2) | instid1(VALU_DEP_2)
	v_dual_lshlrev_b32 v2, 2, v2 :: v_dual_lshlrev_b32 v3, 2, v3
	s_wait_dscnt 0x0
	v_ashrrev_i32_e32 v0, s22, v0
	v_and_b32_e32 v2, 0x4040404, v2
	s_delay_alu instid0(VALU_DEP_3) | instskip(NEXT) | instid1(VALU_DEP_3)
	v_and_b32_e32 v3, 0x4040404, v3
	v_and_b32_e32 v5, 0x3030303, v0
	v_bfe_u32 v0, v0, 24, 2
	s_delay_alu instid0(VALU_DEP_4) | instskip(SKIP_1) | instid1(VALU_DEP_4)
	v_dual_lshrrev_b32 v92, 16, v2 :: v_dual_lshrrev_b32 v93, 24, v2
	v_lshrrev_b16 v94, 8, v2
	v_lshrrev_b16 v7, 8, v5
	v_lshrrev_b32_e32 v6, 16, v5
	v_sub_nc_u16 v161, v5, v2
	v_sub_nc_u16 v0, v0, v93
	v_add3_u32 v93, s23, v97, v98
	v_sub_nc_u16 v2, v7, v94
	v_lshrrev_b32_e32 v7, 24, v3
	v_sub_nc_u16 v170, v6, v92
	v_lshlrev_b16 v134, 8, v0
	v_ashrrev_i32_e32 v0, s22, v1
	v_lshlrev_b16 v2, 8, v2
	v_lshrrev_b32_e32 v92, 16, v3
	v_lshrrev_b16 v6, 8, v3
	v_bfe_i32 v170, v170, 0, 8
	v_and_b32_e32 v1, 0x3030303, v0
	v_bfe_u32 v0, v0, 24, 2
	v_bitop3_b16 v162, v161, v2, 0xff bitop3:0xec
	v_bfe_i32 v131, v134, 8, 8
	s_delay_alu instid0(VALU_DEP_4) | instskip(NEXT) | instid1(VALU_DEP_4)
	v_lshrrev_b32_e32 v5, 16, v1
	v_sub_nc_u16 v0, v0, v7
	v_lshrrev_b16 v2, 8, v1
	v_sub_nc_u16 v137, v1, v3
	s_delay_alu instid0(VALU_DEP_4) | instskip(NEXT) | instid1(VALU_DEP_4)
	v_sub_nc_u16 v135, v5, v92
	v_lshlrev_b16 v0, 8, v0
	s_delay_alu instid0(VALU_DEP_1) | instskip(SKIP_3) | instid1(VALU_DEP_1)
	v_bitop3_b16 v136, v135, v0, 0xff bitop3:0xec
	v_sub_nc_u16 v0, v2, v6
	ds_load_2addr_b32 v[2:3], v93 offset1:1
	v_lshlrev_b16 v0, 8, v0
	v_bitop3_b16 v138, v137, v0, 0xff bitop3:0xec
	v_add3_u32 v0, s25, v127, v96
	ds_load_b32 v92, v0
	v_add_nc_u32_e32 v0, 0x1080, v4
	s_wait_dscnt 0x1
	v_ashrrev_i32_e32 v2, s20, v2
	ds_load_2addr_b32 v[0:1], v0 offset1:1
	v_dual_ashrrev_i32 v3, s20, v3 :: v_dual_lshlrev_b32 v2, 2, v2
	s_delay_alu instid0(VALU_DEP_1) | instskip(NEXT) | instid1(VALU_DEP_2)
	v_lshlrev_b32_e32 v3, 2, v3
	v_and_b32_e32 v2, 0x4040404, v2
	s_delay_alu instid0(VALU_DEP_2) | instskip(NEXT) | instid1(VALU_DEP_2)
	v_and_b32_e32 v3, 0x4040404, v3
	v_dual_lshrrev_b32 v95, 24, v2 :: v_dual_lshrrev_b32 v128, 16, v2
	v_lshrrev_b16 v94, 8, v2
	s_wait_dscnt 0x0
	v_ashrrev_i32_e32 v0, s22, v0
	s_delay_alu instid0(VALU_DEP_1) | instskip(SKIP_1) | instid1(VALU_DEP_2)
	v_and_b32_e32 v5, 0x3030303, v0
	v_bfe_u32 v0, v0, 24, 2
	v_lshrrev_b32_e32 v7, 16, v5
	s_delay_alu instid0(VALU_DEP_2) | instskip(SKIP_2) | instid1(VALU_DEP_4)
	v_sub_nc_u16 v0, v0, v95
	v_lshrrev_b16 v6, 8, v5
	v_sub_nc_u16 v195, v5, v2
	v_sub_nc_u16 v187, v7, v128
	s_delay_alu instid0(VALU_DEP_4) | instskip(SKIP_1) | instid1(VALU_DEP_4)
	v_lshlrev_b16 v0, 8, v0
	v_lshrrev_b32_e32 v7, 24, v3
	v_bfe_i32 v195, v195, 0, 8
	s_delay_alu instid0(VALU_DEP_3) | instskip(SKIP_3) | instid1(VALU_DEP_4)
	v_bitop3_b16 v188, v187, v0, 0xff bitop3:0xec
	v_sub_nc_u16 v0, v6, v94
	v_lshrrev_b32_e32 v94, 16, v3
	v_lshrrev_b16 v6, 8, v3
	v_perm_b32 v187, v188, v187, 0xc0c0500
	s_delay_alu instid0(VALU_DEP_4) | instskip(SKIP_1) | instid1(VALU_DEP_2)
	v_lshlrev_b16 v192, 8, v0
	v_ashrrev_i32_e32 v0, s22, v1
	v_bfe_i32 v192, v192, 8, 8
	s_delay_alu instid0(VALU_DEP_2) | instskip(SKIP_1) | instid1(VALU_DEP_2)
	v_and_b32_e32 v1, 0x3030303, v0
	v_bfe_u32 v0, v0, 24, 2
	v_lshrrev_b32_e32 v5, 16, v1
	s_delay_alu instid0(VALU_DEP_2) | instskip(SKIP_2) | instid1(VALU_DEP_4)
	v_sub_nc_u16 v0, v0, v7
	v_lshrrev_b16 v2, 8, v1
	v_sub_nc_u16 v197, v1, v3
	v_sub_nc_u16 v191, v5, v94
	s_delay_alu instid0(VALU_DEP_4) | instskip(NEXT) | instid1(VALU_DEP_3)
	v_lshlrev_b16 v0, 8, v0
	v_bfe_i32 v197, v197, 0, 8
	s_delay_alu instid0(VALU_DEP_2) | instskip(SKIP_4) | instid1(VALU_DEP_2)
	v_bitop3_b16 v193, v191, v0, 0xff bitop3:0xec
	v_sub_nc_u16 v0, v2, v6
	ds_load_2addr_b32 v[2:3], v93 offset0:2 offset1:3
	v_lshlrev_b16 v194, 8, v0
	v_add_nc_u32_e32 v0, 0x1088, v4
	v_perm_b32 v164, v194, v194, 0xc0c0c01
	ds_load_2addr_b32 v[0:1], v0 offset1:1
	s_wait_dscnt 0x1
	v_dual_ashrrev_i32 v2, s20, v2 :: v_dual_ashrrev_i32 v3, s20, v3
	s_delay_alu instid0(VALU_DEP_1) | instskip(SKIP_2) | instid1(VALU_DEP_2)
	v_dual_lshlrev_b32 v2, 2, v2 :: v_dual_lshlrev_b32 v3, 2, v3
	s_wait_dscnt 0x0
	v_ashrrev_i32_e32 v0, s22, v0
	v_and_b32_e32 v2, 0x4040404, v2
	s_delay_alu instid0(VALU_DEP_3) | instskip(NEXT) | instid1(VALU_DEP_3)
	v_and_b32_e32 v3, 0x4040404, v3
	v_and_b32_e32 v5, 0x3030303, v0
	v_bfe_u32 v0, v0, 24, 2
	s_delay_alu instid0(VALU_DEP_4) | instskip(SKIP_1) | instid1(VALU_DEP_4)
	v_dual_lshrrev_b32 v94, 16, v2 :: v_dual_lshrrev_b32 v128, 24, v2
	v_lshrrev_b16 v95, 8, v2
	v_lshrrev_b32_e32 v6, 16, v5
	v_lshrrev_b16 v7, 8, v5
	v_sub_nc_u16 v199, v5, v2
	v_sub_nc_u16 v0, v0, v128
	s_delay_alu instid0(VALU_DEP_4) | instskip(SKIP_2) | instid1(VALU_DEP_4)
	v_sub_nc_u16 v200, v6, v94
	v_lshrrev_b32_e32 v94, 16, v3
	v_lshrrev_b16 v6, 8, v3
	v_lshlrev_b16 v140, 8, v0
	v_sub_nc_u16 v0, v7, v95
	v_lshrrev_b32_e32 v7, 24, v3
	v_bfe_i32 v200, v200, 0, 8
	v_bfe_i32 v199, v199, 0, 8
	;; [unrolled: 1-line block ×3, first 2 shown]
	v_lshlrev_b16 v198, 8, v0
	v_ashrrev_i32_e32 v0, s22, v1
	v_perm_b32 v174, v200, v174, 0x5040100
	s_delay_alu instid0(VALU_DEP_3) | instskip(NEXT) | instid1(VALU_DEP_3)
	v_bfe_i32 v198, v198, 8, 8
	v_and_b32_e32 v1, 0x3030303, v0
	v_bfe_u32 v0, v0, 24, 2
	s_delay_alu instid0(VALU_DEP_2) | instskip(NEXT) | instid1(VALU_DEP_2)
	v_lshrrev_b32_e32 v5, 16, v1
	v_sub_nc_u16 v0, v0, v7
	v_lshrrev_b16 v2, 8, v1
	v_sub_nc_u16 v144, v1, v3
	s_delay_alu instid0(VALU_DEP_4) | instskip(NEXT) | instid1(VALU_DEP_4)
	v_sub_nc_u16 v141, v5, v94
	v_lshlrev_b16 v0, 8, v0
	s_delay_alu instid0(VALU_DEP_3) | instskip(NEXT) | instid1(VALU_DEP_2)
	v_bfe_i32 v144, v144, 0, 8
	v_bitop3_b16 v142, v141, v0, 0xff bitop3:0xec
	v_sub_nc_u16 v0, v2, v6
	ds_load_2addr_b32 v[2:3], v93 offset0:4 offset1:5
	v_lshlrev_b16 v143, 8, v0
	v_add_nc_u32_e32 v0, 0x1090, v4
	ds_load_2addr_b32 v[0:1], v0 offset1:1
	s_wait_dscnt 0x1
	v_dual_ashrrev_i32 v2, s20, v2 :: v_dual_ashrrev_i32 v3, s20, v3
	s_delay_alu instid0(VALU_DEP_1) | instskip(SKIP_2) | instid1(VALU_DEP_2)
	v_dual_lshlrev_b32 v2, 2, v2 :: v_dual_lshlrev_b32 v3, 2, v3
	s_wait_dscnt 0x0
	v_ashrrev_i32_e32 v0, s22, v0
	v_and_b32_e32 v2, 0x4040404, v2
	s_delay_alu instid0(VALU_DEP_3) | instskip(NEXT) | instid1(VALU_DEP_3)
	v_and_b32_e32 v3, 0x4040404, v3
	v_and_b32_e32 v5, 0x3030303, v0
	v_bfe_u32 v0, v0, 24, 2
	s_delay_alu instid0(VALU_DEP_4) | instskip(SKIP_1) | instid1(VALU_DEP_4)
	v_dual_lshrrev_b32 v95, 24, v2 :: v_dual_lshrrev_b32 v128, 16, v2
	v_lshrrev_b16 v94, 8, v2
	v_lshrrev_b32_e32 v7, 16, v5
	v_lshrrev_b16 v6, 8, v5
	s_delay_alu instid0(VALU_DEP_4) | instskip(SKIP_1) | instid1(VALU_DEP_4)
	v_sub_nc_u16 v0, v0, v95
	v_sub_nc_u16 v185, v5, v2
	;; [unrolled: 1-line block ×3, first 2 shown]
	v_lshrrev_b32_e32 v7, 24, v3
	s_delay_alu instid0(VALU_DEP_4) | instskip(NEXT) | instid1(VALU_DEP_4)
	v_lshlrev_b16 v0, 8, v0
	v_bfe_i32 v185, v185, 0, 8
	s_delay_alu instid0(VALU_DEP_2) | instskip(SKIP_3) | instid1(VALU_DEP_4)
	v_bitop3_b16 v180, v179, v0, 0xff bitop3:0xec
	v_sub_nc_u16 v0, v6, v94
	v_lshrrev_b32_e32 v94, 16, v3
	v_lshrrev_b16 v6, 8, v3
	v_perm_b32 v179, v180, v179, 0xc0c0500
	s_delay_alu instid0(VALU_DEP_4) | instskip(SKIP_1) | instid1(VALU_DEP_2)
	v_lshlrev_b16 v182, 8, v0
	v_ashrrev_i32_e32 v0, s22, v1
	v_bfe_i32 v182, v182, 8, 8
	s_delay_alu instid0(VALU_DEP_2) | instskip(SKIP_1) | instid1(VALU_DEP_2)
	v_and_b32_e32 v1, 0x3030303, v0
	v_bfe_u32 v0, v0, 24, 2
	v_lshrrev_b32_e32 v5, 16, v1
	s_delay_alu instid0(VALU_DEP_2) | instskip(SKIP_2) | instid1(VALU_DEP_4)
	v_sub_nc_u16 v0, v0, v7
	v_lshrrev_b16 v2, 8, v1
	v_sub_nc_u16 v186, v1, v3
	v_sub_nc_u16 v181, v5, v94
	s_delay_alu instid0(VALU_DEP_4) | instskip(NEXT) | instid1(VALU_DEP_3)
	v_lshlrev_b16 v0, 8, v0
	v_bfe_i32 v186, v186, 0, 8
	s_delay_alu instid0(VALU_DEP_2)
	v_bitop3_b16 v183, v181, v0, 0xff bitop3:0xec
	v_sub_nc_u16 v0, v2, v6
	ds_load_2addr_b32 v[2:3], v93 offset0:6 offset1:7
	v_lshlrev_b16 v184, 8, v0
	v_add_nc_u32_e32 v0, 0x1098, v4
	ds_load_2addr_b32 v[0:1], v0 offset1:1
	s_wait_dscnt 0x1
	v_dual_ashrrev_i32 v2, s20, v2 :: v_dual_ashrrev_i32 v3, s20, v3
	s_delay_alu instid0(VALU_DEP_1) | instskip(SKIP_2) | instid1(VALU_DEP_2)
	v_dual_lshlrev_b32 v2, 2, v2 :: v_dual_lshlrev_b32 v3, 2, v3
	s_wait_dscnt 0x0
	v_ashrrev_i32_e32 v0, s22, v0
	v_and_b32_e32 v2, 0x4040404, v2
	s_delay_alu instid0(VALU_DEP_3) | instskip(NEXT) | instid1(VALU_DEP_3)
	v_and_b32_e32 v3, 0x4040404, v3
	v_and_b32_e32 v5, 0x3030303, v0
	v_bfe_u32 v0, v0, 24, 2
	s_delay_alu instid0(VALU_DEP_4) | instskip(SKIP_1) | instid1(VALU_DEP_4)
	v_dual_lshrrev_b32 v93, 16, v2 :: v_dual_lshrrev_b32 v95, 24, v2
	v_lshrrev_b16 v94, 8, v2
	v_lshrrev_b32_e32 v6, 16, v5
	v_lshrrev_b16 v7, 8, v5
	v_sub_nc_u16 v190, v5, v2
	v_sub_nc_u16 v0, v0, v95
	s_delay_alu instid0(VALU_DEP_4) | instskip(SKIP_2) | instid1(VALU_DEP_4)
	v_sub_nc_u16 v196, v6, v93
	v_lshrrev_b32_e32 v93, 16, v3
	v_lshrrev_b16 v6, 8, v3
	v_lshlrev_b16 v145, 8, v0
	v_sub_nc_u16 v0, v7, v94
	v_lshrrev_b32_e32 v7, 24, v3
	v_add3_u32 v94, s23, v101, v102
	v_bfe_i32 v196, v196, 0, 8
	v_bfe_i32 v190, v190, 0, 8
	v_lshlrev_b16 v189, 8, v0
	v_ashrrev_i32_e32 v0, s22, v1
	s_delay_alu instid0(VALU_DEP_4) | instskip(NEXT) | instid1(VALU_DEP_3)
	v_perm_b32 v170, v196, v170, 0x5040100
	v_bfe_i32 v189, v189, 8, 8
	s_delay_alu instid0(VALU_DEP_3) | instskip(SKIP_1) | instid1(VALU_DEP_2)
	v_and_b32_e32 v1, 0x3030303, v0
	v_bfe_u32 v0, v0, 24, 2
	v_lshrrev_b32_e32 v5, 16, v1
	s_delay_alu instid0(VALU_DEP_2) | instskip(SKIP_2) | instid1(VALU_DEP_4)
	v_sub_nc_u16 v0, v0, v7
	v_lshrrev_b16 v2, 8, v1
	v_sub_nc_u16 v149, v1, v3
	v_sub_nc_u16 v146, v5, v93
	s_delay_alu instid0(VALU_DEP_4) | instskip(NEXT) | instid1(VALU_DEP_3)
	v_lshlrev_b16 v0, 8, v0
	v_bfe_i32 v149, v149, 0, 8
	s_delay_alu instid0(VALU_DEP_2)
	v_bitop3_b16 v147, v146, v0, 0xff bitop3:0xec
	v_sub_nc_u16 v0, v2, v6
	ds_load_2addr_b32 v[2:3], v94 offset1:1
	v_lshlrev_b16 v148, 8, v0
	v_add3_u32 v0, s25, v99, v100
	ds_load_b32 v93, v0
	v_add_nc_u32_e32 v0, 0x2100, v4
	ds_load_2addr_b32 v[0:1], v0 offset1:1
	s_wait_dscnt 0x2
	v_dual_ashrrev_i32 v2, s20, v2 :: v_dual_ashrrev_i32 v3, s20, v3
	s_delay_alu instid0(VALU_DEP_1) | instskip(NEXT) | instid1(VALU_DEP_1)
	v_dual_lshlrev_b32 v2, 2, v2 :: v_dual_lshlrev_b32 v3, 2, v3
	v_and_b32_e32 v2, 0x4040404, v2
	s_delay_alu instid0(VALU_DEP_2) | instskip(NEXT) | instid1(VALU_DEP_2)
	v_and_b32_e32 v3, 0x4040404, v3
	v_dual_lshrrev_b32 v128, 24, v2 :: v_dual_lshrrev_b32 v155, 16, v2
	s_wait_dscnt 0x0
	v_ashrrev_i32_e32 v0, s22, v0
	v_lshrrev_b16 v95, 8, v2
	s_delay_alu instid0(VALU_DEP_2) | instskip(SKIP_1) | instid1(VALU_DEP_2)
	v_and_b32_e32 v5, 0x3030303, v0
	v_bfe_u32 v0, v0, 24, 2
	v_dual_add_nc_u32 v150, s24, v47 :: v_dual_lshrrev_b32 v7, 16, v5
	s_delay_alu instid0(VALU_DEP_2)
	v_sub_nc_u16 v0, v0, v128
	v_lshrrev_b16 v6, 8, v5
	v_lshrrev_b32_e32 v128, 24, v3
	v_sub_nc_u16 v5, v5, v2
	v_sub_nc_u16 v201, v7, v155
	v_lshlrev_b16 v0, 8, v0
	v_lshrrev_b32_e32 v155, 16, v3
	s_delay_alu instid0(VALU_DEP_4) | instskip(NEXT) | instid1(VALU_DEP_3)
	v_bfe_i32 v224, v5, 0, 8
	v_bitop3_b16 v202, v201, v0, 0xff bitop3:0xec
	v_sub_nc_u16 v0, v6, v95
	v_lshrrev_b16 v95, 8, v3
	s_delay_alu instid0(VALU_DEP_3) | instskip(NEXT) | instid1(VALU_DEP_3)
	v_perm_b32 v201, v202, v201, 0xc0c0500
	v_lshlrev_b16 v6, 8, v0
	v_ashrrev_i32_e32 v0, s22, v1
	s_delay_alu instid0(VALU_DEP_2) | instskip(NEXT) | instid1(VALU_DEP_2)
	v_bfe_i32 v225, v6, 8, 8
	v_and_b32_e32 v1, 0x3030303, v0
	v_bfe_u32 v0, v0, 24, 2
	s_delay_alu instid0(VALU_DEP_2) | instskip(NEXT) | instid1(VALU_DEP_2)
	v_lshrrev_b32_e32 v7, 16, v1
	v_sub_nc_u16 v0, v0, v128
	v_lshrrev_b16 v2, 8, v1
	s_delay_alu instid0(VALU_DEP_3) | instskip(NEXT) | instid1(VALU_DEP_3)
	v_sub_nc_u16 v203, v7, v155
	v_lshlrev_b16 v0, 8, v0
	v_sub_nc_u16 v7, v1, v3
	s_delay_alu instid0(VALU_DEP_2)
	v_bitop3_b16 v204, v203, v0, 0xff bitop3:0xec
	v_sub_nc_u16 v0, v2, v95
	ds_load_2addr_b32 v[2:3], v94 offset0:2 offset1:3
	v_bfe_i32 v226, v7, 0, 8
	v_perm_b32 v203, v204, v203, 0xc05000c
	v_lshlrev_b16 v205, 8, v0
	v_add_nc_u32_e32 v0, 0x2108, v4
	s_delay_alu instid0(VALU_DEP_2) | instskip(SKIP_3) | instid1(VALU_DEP_1)
	v_perm_b32 v204, v205, v205, 0xc0c0c01
	ds_load_2addr_b32 v[0:1], v0 offset1:1
	s_wait_dscnt 0x1
	v_dual_ashrrev_i32 v2, s20, v2 :: v_dual_bitop2_b32 v203, v203, v204 bitop3:0x54
	v_dual_ashrrev_i32 v3, s20, v3 :: v_dual_lshlrev_b32 v2, 2, v2
	s_wait_dscnt 0x0
	s_delay_alu instid0(VALU_DEP_1) | instskip(NEXT) | instid1(VALU_DEP_2)
	v_dual_lshlrev_b32 v3, 2, v3 :: v_dual_ashrrev_i32 v0, s22, v0
	v_and_b32_e32 v2, 0x4040404, v2
	s_delay_alu instid0(VALU_DEP_2) | instskip(NEXT) | instid1(VALU_DEP_3)
	v_and_b32_e32 v3, 0x4040404, v3
	v_and_b32_e32 v95, 0x3030303, v0
	v_bfe_u32 v0, v0, 24, 2
	s_delay_alu instid0(VALU_DEP_4) | instskip(SKIP_1) | instid1(VALU_DEP_4)
	v_dual_lshrrev_b32 v157, 24, v2 :: v_dual_lshrrev_b32 v173, 16, v2
	v_lshrrev_b16 v156, 8, v2
	v_lshrrev_b32_e32 v155, 16, v95
	v_lshrrev_b16 v128, 8, v95
	s_delay_alu instid0(VALU_DEP_4) | instskip(SKIP_1) | instid1(VALU_DEP_4)
	v_sub_nc_u16 v0, v0, v157
	v_sub_nc_u16 v209, v95, v2
	;; [unrolled: 1-line block ×3, first 2 shown]
	v_lshrrev_b32_e32 v155, 24, v3
	s_delay_alu instid0(VALU_DEP_4) | instskip(NEXT) | instid1(VALU_DEP_4)
	v_lshlrev_b16 v0, 8, v0
	v_bfe_i32 v200, v209, 0, 8
	v_bfe_i32 v209, v167, 8, 8
	;; [unrolled: 1-line block ×3, first 2 shown]
	s_delay_alu instid0(VALU_DEP_4) | instskip(SKIP_3) | instid1(VALU_DEP_3)
	v_bitop3_b16 v207, v206, v0, 0xff bitop3:0xec
	v_sub_nc_u16 v0, v128, v156
	v_lshrrev_b32_e32 v156, 16, v3
	v_lshrrev_b16 v128, 8, v3
	v_lshlrev_b16 v208, 8, v0
	v_ashrrev_i32_e32 v0, s22, v1
	s_delay_alu instid0(VALU_DEP_1) | instskip(NEXT) | instid1(VALU_DEP_1)
	v_and_b32_e32 v1, 0x3030303, v0
	v_lshrrev_b32_e32 v95, 16, v1
	v_bfe_u32 v0, v0, 24, 2
	v_lshrrev_b16 v2, 8, v1
	v_sub_nc_u16 v213, v1, v3
	s_delay_alu instid0(VALU_DEP_4) | instskip(NEXT) | instid1(VALU_DEP_4)
	v_sub_nc_u16 v210, v95, v156
	v_sub_nc_u16 v0, v0, v155
	s_delay_alu instid0(VALU_DEP_1) | instskip(NEXT) | instid1(VALU_DEP_1)
	v_lshlrev_b16 v0, 8, v0
	v_bitop3_b16 v211, v210, v0, 0xff bitop3:0xec
	v_sub_nc_u16 v0, v2, v128
	ds_load_2addr_b32 v[2:3], v94 offset0:4 offset1:5
	v_lshlrev_b16 v212, 8, v0
	v_add_nc_u32_e32 v0, 0x2110, v4
	s_delay_alu instid0(VALU_DEP_2) | instskip(SKIP_3) | instid1(VALU_DEP_1)
	v_perm_b32 v188, v212, v212, 0xc0c0c01
	ds_load_2addr_b32 v[0:1], v0 offset1:1
	s_wait_dscnt 0x1
	v_dual_ashrrev_i32 v2, s20, v2 :: v_dual_ashrrev_i32 v3, s20, v3
	v_dual_lshlrev_b32 v2, 2, v2 :: v_dual_lshlrev_b32 v3, 2, v3
	s_wait_dscnt 0x0
	v_ashrrev_i32_e32 v0, s22, v0
	s_delay_alu instid0(VALU_DEP_2) | instskip(NEXT) | instid1(VALU_DEP_3)
	v_and_b32_e32 v2, 0x4040404, v2
	v_and_b32_e32 v3, 0x4040404, v3
	s_delay_alu instid0(VALU_DEP_3) | instskip(SKIP_1) | instid1(VALU_DEP_4)
	v_and_b32_e32 v95, 0x3030303, v0
	v_bfe_u32 v0, v0, 24, 2
	v_dual_lshrrev_b32 v157, 24, v2 :: v_dual_lshrrev_b32 v173, 16, v2
	v_lshrrev_b16 v156, 8, v2
	s_delay_alu instid0(VALU_DEP_4) | instskip(SKIP_1) | instid1(VALU_DEP_4)
	v_lshrrev_b32_e32 v155, 16, v95
	v_lshrrev_b16 v128, 8, v95
	v_sub_nc_u16 v0, v0, v157
	v_lshrrev_b32_e32 v157, 24, v3
	v_sub_nc_u16 v95, v95, v2
	v_sub_nc_u16 v214, v155, v173
	v_lshrrev_b32_e32 v173, 16, v3
	v_lshlrev_b16 v0, 8, v0
	s_delay_alu instid0(VALU_DEP_4) | instskip(SKIP_1) | instid1(VALU_DEP_3)
	v_bfe_i32 v228, v95, 0, 8
	v_add3_u32 v95, s23, v105, v106
	v_bitop3_b16 v215, v214, v0, 0xff bitop3:0xec
	v_sub_nc_u16 v0, v128, v156
	v_lshrrev_b16 v156, 8, v3
	s_delay_alu instid0(VALU_DEP_2) | instskip(SKIP_1) | instid1(VALU_DEP_2)
	v_lshlrev_b16 v128, 8, v0
	v_ashrrev_i32_e32 v0, s22, v1
	v_bfe_i32 v229, v128, 8, 8
	s_delay_alu instid0(VALU_DEP_2) | instskip(NEXT) | instid1(VALU_DEP_1)
	v_and_b32_e32 v1, 0x3030303, v0
	v_lshrrev_b32_e32 v155, 16, v1
	v_bfe_u32 v0, v0, 24, 2
	v_lshrrev_b16 v2, 8, v1
	s_delay_alu instid0(VALU_DEP_3) | instskip(NEXT) | instid1(VALU_DEP_3)
	v_sub_nc_u16 v216, v155, v173
	v_sub_nc_u16 v0, v0, v157
	;; [unrolled: 1-line block ×3, first 2 shown]
	s_delay_alu instid0(VALU_DEP_2) | instskip(NEXT) | instid1(VALU_DEP_2)
	v_lshlrev_b16 v0, 8, v0
	v_bfe_i32 v230, v173, 0, 8
	s_delay_alu instid0(VALU_DEP_2)
	v_bitop3_b16 v217, v216, v0, 0xff bitop3:0xec
	v_sub_nc_u16 v0, v2, v156
	ds_load_2addr_b32 v[2:3], v94 offset0:6 offset1:7
	v_lshlrev_b16 v218, 8, v0
	v_add_nc_u32_e32 v0, 0x2118, v4
	ds_load_2addr_b32 v[0:1], v0 offset1:1
	s_wait_dscnt 0x1
	v_dual_ashrrev_i32 v2, s20, v2 :: v_dual_ashrrev_i32 v3, s20, v3
	s_delay_alu instid0(VALU_DEP_1) | instskip(SKIP_2) | instid1(VALU_DEP_2)
	v_dual_lshlrev_b32 v2, 2, v2 :: v_dual_lshlrev_b32 v3, 2, v3
	s_wait_dscnt 0x0
	v_ashrrev_i32_e32 v0, s22, v0
	v_and_b32_e32 v2, 0x4040404, v2
	s_delay_alu instid0(VALU_DEP_3) | instskip(NEXT) | instid1(VALU_DEP_3)
	v_and_b32_e32 v3, 0x4040404, v3
	v_and_b32_e32 v155, 0x3030303, v0
	v_bfe_u32 v0, v0, 24, 2
	s_delay_alu instid0(VALU_DEP_4) | instskip(SKIP_1) | instid1(VALU_DEP_4)
	v_dual_lshrrev_b32 v175, 24, v2 :: v_dual_lshrrev_b32 v176, 16, v2
	v_lshrrev_b16 v94, 8, v2
	v_lshrrev_b32_e32 v157, 16, v155
	v_lshrrev_b16 v156, 8, v155
	s_delay_alu instid0(VALU_DEP_4)
	v_sub_nc_u16 v0, v0, v175
	v_sub_nc_u16 v222, v155, v2
	v_lshrrev_b32_e32 v155, 16, v3
	v_sub_nc_u16 v219, v157, v176
	v_lshrrev_b16 v157, 8, v3
	v_lshlrev_b16 v0, 8, v0
	v_bfe_i32 v196, v222, 0, 8
	s_delay_alu instid0(VALU_DEP_2) | instskip(SKIP_2) | instid1(VALU_DEP_2)
	v_bitop3_b16 v220, v219, v0, 0xff bitop3:0xec
	v_sub_nc_u16 v0, v156, v94
	v_lshrrev_b32_e32 v156, 24, v3
	v_lshlrev_b16 v221, 8, v0
	v_ashrrev_i32_e32 v0, s22, v1
	s_delay_alu instid0(VALU_DEP_1) | instskip(NEXT) | instid1(VALU_DEP_1)
	v_and_b32_e32 v1, 0x3030303, v0
	v_lshrrev_b32_e32 v94, 16, v1
	v_bfe_u32 v0, v0, 24, 2
	v_lshrrev_b16 v2, 8, v1
	v_sub_nc_u16 v223, v1, v3
	v_add3_u32 v1, s25, v103, v104
	v_sub_nc_u16 v155, v94, v155
	v_sub_nc_u16 v0, v0, v156
	ds_load_b32 v94, v1
	v_lshlrev_b16 v0, 8, v0
	s_delay_alu instid0(VALU_DEP_1)
	v_bitop3_b16 v156, v155, v0, 0xff bitop3:0xec
	v_sub_nc_u16 v0, v2, v157
	ds_load_2addr_b32 v[2:3], v95 offset1:1
	v_lshlrev_b16 v157, 8, v0
	v_add_nc_u32_e32 v0, s24, v45
	ds_load_u16 v0, v0 offset:27394
	s_wait_dscnt 0x1
	v_dual_ashrrev_i32 v2, s20, v2 :: v_dual_ashrrev_i32 v3, s20, v3
	s_delay_alu instid0(VALU_DEP_1)
	v_lshlrev_b32_e32 v3, 2, v3
	s_wait_dscnt 0x0
	v_lshrrev_b16 v1, 8, v0
	v_bfe_i32 v227, v0, 0, 8
	v_add_nc_u32_e32 v0, 0x3180, v4
	v_and_b32_e32 v3, 0x4040404, v3
	s_delay_alu instid0(VALU_DEP_4) | instskip(SKIP_2) | instid1(VALU_DEP_1)
	v_bfe_i32 v128, v1, 0, 8
	ds_load_2addr_b32 v[0:1], v0 offset1:1
	v_lshlrev_b32_e32 v2, 2, v2
	v_and_b32_e32 v2, 0x4040404, v2
	s_delay_alu instid0(VALU_DEP_1) | instskip(SKIP_3) | instid1(VALU_DEP_1)
	v_dual_lshrrev_b32 v173, 16, v2 :: v_dual_lshrrev_b32 v175, 24, v2
	v_lshrrev_b16 v176, 8, v2
	s_wait_dscnt 0x0
	v_ashrrev_i32_e32 v0, s22, v0
	v_and_b32_e32 v5, 0x3030303, v0
	v_bfe_u32 v0, v0, 24, 2
	s_delay_alu instid0(VALU_DEP_2) | instskip(NEXT) | instid1(VALU_DEP_2)
	v_lshrrev_b32_e32 v6, 16, v5
	v_sub_nc_u16 v232, v0, v175
	v_ashrrev_i32_e32 v0, s22, v1
	v_sub_nc_u16 v234, v5, v2
	v_lshrrev_b16 v7, 8, v5
	v_sub_nc_u16 v233, v6, v173
	v_lshrrev_b32_e32 v6, 24, v3
	v_bfe_u32 v1, v0, 24, 2
	v_and_b32_e32 v0, 0x3030303, v0
	v_sub_nc_u16 v231, v7, v176
	v_lshrrev_b32_e32 v7, 16, v3
	v_lshrrev_b16 v173, 8, v3
	v_sub_nc_u16 v238, v1, v6
	v_lshrrev_b32_e32 v2, 16, v0
	v_lshrrev_b16 v5, 8, v0
	v_sub_nc_u16 v235, v0, v3
	v_add_nc_u32_e32 v0, 0x3188, v4
	v_bfe_i32 v232, v232, 0, 16
	v_sub_nc_u16 v237, v2, v7
	ds_load_2addr_b32 v[2:3], v95 offset0:2 offset1:3
	v_sub_nc_u16 v236, v5, v173
	ds_load_2addr_b32 v[0:1], v0 offset1:1
	v_bfe_i32 v231, v231, 0, 16
	v_bfe_i32 v205, v237, 0, 8
	;; [unrolled: 1-line block ×3, first 2 shown]
	s_wait_dscnt 0x1
	v_dual_ashrrev_i32 v2, s20, v2 :: v_dual_ashrrev_i32 v3, s20, v3
	s_wait_dscnt 0x0
	s_delay_alu instid0(VALU_DEP_1) | instskip(NEXT) | instid1(VALU_DEP_2)
	v_dual_ashrrev_i32 v0, s22, v0 :: v_dual_lshlrev_b32 v2, 2, v2
	v_lshlrev_b32_e32 v3, 2, v3
	s_delay_alu instid0(VALU_DEP_2) | instskip(SKIP_1) | instid1(VALU_DEP_4)
	v_bfe_u32 v5, v0, 24, 2
	v_and_b32_e32 v0, 0x3030303, v0
	v_and_b32_e32 v2, 0x4040404, v2
	s_delay_alu instid0(VALU_DEP_4) | instskip(NEXT) | instid1(VALU_DEP_3)
	v_and_b32_e32 v3, 0x4040404, v3
	v_lshrrev_b32_e32 v6, 16, v0
	v_lshrrev_b16 v7, 8, v0
	s_delay_alu instid0(VALU_DEP_4) | instskip(SKIP_3) | instid1(VALU_DEP_3)
	v_sub_nc_u16 v239, v0, v2
	v_dual_ashrrev_i32 v0, s22, v1 :: v_dual_lshrrev_b32 v173, 24, v2
	v_lshrrev_b32_e32 v175, 16, v2
	v_lshrrev_b16 v176, 8, v2
	v_bfe_u32 v1, v0, 24, 2
	v_and_b32_e32 v0, 0x3030303, v0
	s_delay_alu instid0(VALU_DEP_4)
	v_sub_nc_u16 v241, v6, v175
	v_sub_nc_u16 v242, v5, v173
	v_lshrrev_b32_e32 v6, 24, v3
	v_sub_nc_u16 v240, v7, v176
	v_lshrrev_b32_e32 v2, 16, v0
	v_lshrrev_b16 v5, 8, v0
	v_sub_nc_u16 v243, v0, v3
	v_add_nc_u32_e32 v0, 0x3190, v4
	v_lshrrev_b32_e32 v7, 16, v3
	v_sub_nc_u16 v246, v1, v6
	v_lshrrev_b16 v173, 8, v3
	ds_load_2addr_b32 v[0:1], v0 offset1:1
	v_sub_nc_u16 v245, v2, v7
	ds_load_2addr_b32 v[2:3], v95 offset0:4 offset1:5
	v_sub_nc_u16 v244, v5, v173
	s_wait_dscnt 0x0
	v_dual_ashrrev_i32 v0, s22, v0 :: v_dual_ashrrev_i32 v2, s20, v2
	v_ashrrev_i32_e32 v3, s20, v3
	s_delay_alu instid0(VALU_DEP_2) | instskip(SKIP_1) | instid1(VALU_DEP_3)
	v_and_b32_e32 v5, 0x3030303, v0
	v_bfe_u32 v0, v0, 24, 2
	v_dual_lshlrev_b32 v2, 2, v2 :: v_dual_lshlrev_b32 v3, 2, v3
	s_delay_alu instid0(VALU_DEP_3) | instskip(SKIP_1) | instid1(VALU_DEP_3)
	v_lshrrev_b32_e32 v6, 16, v5
	v_lshrrev_b16 v7, 8, v5
	v_and_b32_e32 v2, 0x4040404, v2
	s_delay_alu instid0(VALU_DEP_4) | instskip(NEXT) | instid1(VALU_DEP_2)
	v_and_b32_e32 v3, 0x4040404, v3
	v_dual_lshrrev_b32 v173, 16, v2 :: v_dual_lshrrev_b32 v175, 24, v2
	v_lshrrev_b16 v176, 8, v2
	v_sub_nc_u16 v250, v5, v2
	s_delay_alu instid0(VALU_DEP_3) | instskip(NEXT) | instid1(VALU_DEP_4)
	v_sub_nc_u16 v249, v6, v173
	v_sub_nc_u16 v248, v0, v175
	v_dual_ashrrev_i32 v0, s22, v1 :: v_dual_lshrrev_b32 v6, 24, v3
	v_sub_nc_u16 v247, v7, v176
	v_lshrrev_b32_e32 v7, 16, v3
	v_lshrrev_b16 v173, 8, v3
	s_delay_alu instid0(VALU_DEP_4) | instskip(SKIP_2) | instid1(VALU_DEP_3)
	v_bfe_u32 v1, v0, 24, 2
	v_and_b32_e32 v0, 0x3030303, v0
	v_bfe_i32 v194, v249, 0, 8
	v_sub_nc_u16 v254, v1, v6
	s_delay_alu instid0(VALU_DEP_3) | instskip(SKIP_3) | instid1(VALU_DEP_4)
	v_lshrrev_b32_e32 v2, 16, v0
	v_lshrrev_b16 v5, 8, v0
	v_sub_nc_u16 v251, v0, v3
	v_add_nc_u32_e32 v0, 0x3198, v4
	v_sub_nc_u16 v253, v2, v7
	ds_load_2addr_b32 v[2:3], v95 offset0:6 offset1:7
	v_sub_nc_u16 v252, v5, v173
	ds_load_2addr_b32 v[0:1], v0 offset1:1
	s_wait_dscnt 0x1
	v_dual_ashrrev_i32 v2, s20, v2 :: v_dual_ashrrev_i32 v3, s20, v3
	s_wait_dscnt 0x0
	v_ashrrev_i32_e32 v0, s22, v0
	s_add_co_i32 s20, s20, 1
	s_cmp_lt_u32 s21, 14
	v_dual_lshlrev_b32 v2, 2, v2 :: v_dual_lshlrev_b32 v3, 2, v3
	s_delay_alu instid0(VALU_DEP_2) | instskip(SKIP_1) | instid1(VALU_DEP_3)
	v_bfe_u32 v4, v0, 24, 2
	v_and_b32_e32 v0, 0x3030303, v0
	v_and_b32_e32 v2, 0x4040404, v2
	s_delay_alu instid0(VALU_DEP_4) | instskip(NEXT) | instid1(VALU_DEP_3)
	v_and_b32_e32 v3, 0x4040404, v3
	v_lshrrev_b32_e32 v5, 16, v0
	v_lshrrev_b16 v6, 8, v0
	s_delay_alu instid0(VALU_DEP_4) | instskip(SKIP_3) | instid1(VALU_DEP_3)
	v_sub_nc_u16 v255, v0, v2
	v_dual_ashrrev_i32 v0, s22, v1 :: v_dual_lshrrev_b32 v7, 24, v2
	v_lshrrev_b32_e32 v95, 16, v2
	v_lshrrev_b16 v173, 8, v2
	v_bfe_u32 v1, v0, 24, 2
	v_and_b32_e32 v0, 0x3030303, v0
	s_set_vgpr_msb 64                       ;  msbs: dst=1 src0=0 src1=0 src2=0
	v_sub_nc_u16 v1 /*v257*/, v5, v95
	v_sub_nc_u16 v0 /*v256*/, v6, v173
	;; [unrolled: 1-line block ×3, first 2 shown]
	s_set_vgpr_msb 0                        ;  msbs: dst=0 src0=0 src1=0 src2=0
	v_dual_lshrrev_b32 v5, 24, v3 :: v_dual_lshrrev_b32 v6, 16, v3
	v_lshrrev_b32_e32 v2, 16, v0
	v_lshrrev_b16 v4, 8, v0
	v_lshrrev_b16 v7, 8, v3
	v_sub_nc_u16 v175, v0, v3
	v_add3_u32 v0, s25, v107, v108
	v_sub_nc_u16 v177, v2, v6
	v_sub_nc_u16 v178, v1, v5
	;; [unrolled: 1-line block ×3, first 2 shown]
	ds_load_b32 v95, v0
	ds_load_b128 v[4:7], v89
	ds_load_b128 v[0:3], v89 offset:16
	v_dual_add_nc_u32 v173, s24, v43 :: v_dual_bitop2_b32 v165, v166, v165 bitop3:0x54
	v_perm_b32 v166, v208, v208, 0xc0c0c01
	v_add_nc_u32_e32 v89, 32, v89
	ds_load_u16 v139, v139 offset:25346
	ds_load_u16 v150, v150 offset:26370
	s_mov_b32 s24, s21
	s_wait_dscnt 0x3
	s_set_vgpr_msb 64                       ;  msbs: dst=1 src0=0 src1=0 src2=0
	v_lshrrev_b16 v3 /*v259*/, 8, v4
	v_bfe_i32 v9 /*v265*/, v4, 0, 8
	s_set_vgpr_msb 0                        ;  msbs: dst=0 src0=0 src1=0 src2=0
	v_perm_b32 v202, v4, v4, 0xc0c0302
	s_set_vgpr_msb 64                       ;  msbs: dst=1 src0=0 src1=0 src2=0
	v_bfe_i32 v10 /*v266*/, v5, 0, 8
	s_set_vgpr_msb 0                        ;  msbs: dst=0 src0=0 src1=0 src2=0
	v_perm_b32 v204, v5, v5, 0xc030201
	s_set_vgpr_msb 0x41                     ;  msbs: dst=1 src0=1 src1=0 src2=0
	v_bfe_i32 v3 /*v259*/, v3 /*v259*/, 0, 8
	s_set_vgpr_msb 1                        ;  msbs: dst=0 src0=1 src1=0 src2=0
	v_mul_i32_i24_e32 v224, v9 /*v265*/, v224
	s_set_vgpr_msb 64                       ;  msbs: dst=1 src0=0 src1=0 src2=0
	v_lshrrev_b16 v4 /*v260*/, 8, v5
	v_ashrrev_i32_e32 v7 /*v263*/, 24, v4
	v_bfe_i32 v8 /*v264*/, v4, 16, 8
	s_set_vgpr_msb 1                        ;  msbs: dst=0 src0=1 src1=0 src2=0
	v_mul_i32_i24_e32 v209, v3 /*v259*/, v209
	v_mad_i32_i24 v224, v3 /*v259*/, v225, v224
	s_set_vgpr_msb 0                        ;  msbs: dst=0 src0=0 src1=0 src2=0
	v_bfe_i32 v225, v233, 0, 8
	v_ashrrev_i32_e32 v233, 24, v5
	s_set_vgpr_msb 1                        ;  msbs: dst=0 src0=1 src1=0 src2=0
	v_mul_i32_i24_e32 v195, v9 /*v265*/, v195
	v_mad_i32_i24 v167, v9 /*v265*/, v167, v209
	s_set_vgpr_msb 0                        ;  msbs: dst=0 src0=0 src1=0 src2=0
	v_dot4_i32_iu8 v201, v202, v201, v224 neg_lo:[1,1,0]
	v_perm_b32 v4, v5, v4, 0x5040302
	v_bfe_i32 v224, v234, 0, 8
	s_set_vgpr_msb 1                        ;  msbs: dst=0 src0=1 src1=0 src2=0
	v_bfe_i32 v234, v4 /*v260*/, 0, 8
	s_set_vgpr_msb 64                       ;  msbs: dst=1 src0=0 src1=0 src2=0
	v_bfe_i32 v4 /*v260*/, v5, 16, 8
	s_set_vgpr_msb 1                        ;  msbs: dst=0 src0=1 src1=0 src2=0
	v_mad_i32_i24 v201, v10 /*v266*/, v226, v201
	v_mad_i32_i24 v192, v3 /*v259*/, v192, v195
	s_set_vgpr_msb 0                        ;  msbs: dst=0 src0=0 src1=0 src2=0
	v_perm_b32 v5, v6, v5, 0x5040302
	s_set_vgpr_msb 64                       ;  msbs: dst=1 src0=0 src1=0 src2=0
	v_lshrrev_b16 v5 /*v261*/, 8, v6
	s_set_vgpr_msb 0                        ;  msbs: dst=0 src0=0 src1=0 src2=0
	v_bfe_i32 v226, v236, 0, 16
	v_dot4_i32_iu8 v201, v204, v203, v201 neg_lo:[1,1,0]
	v_bfe_i32 v203, v238, 0, 16
	v_bfe_i32 v236, v6, 0, 8
	v_dot4_i32_iu8 v187, v202, v187, v192 neg_lo:[1,1,0]
	v_mul_i32_i24_e32 v226, v226, v234
	s_set_vgpr_msb 1                        ;  msbs: dst=0 src0=1 src1=0 src2=0
	v_bfe_i32 v234, v5 /*v261*/, 0, 8
	s_set_vgpr_msb 0                        ;  msbs: dst=0 src0=0 src1=0 src2=0
	v_mul_i32_i24_e32 v203, v203, v233
	v_ashrrev_i32_e32 v233, 24, v6
	v_bfe_i32 v237, v6, 16, 8
	s_set_vgpr_msb 1                        ;  msbs: dst=0 src0=1 src1=0 src2=0
	v_mad_i32_i24 v187, v10 /*v266*/, v197, v187
	s_set_vgpr_msb 0                        ;  msbs: dst=0 src0=0 src1=0 src2=0
	v_perm_b32 v6, v6, v6, 0xc030201
	v_bfe_i32 v172, v7, 0, 8
	s_set_vgpr_msb 64                       ;  msbs: dst=1 src0=0 src1=0 src2=0
	v_lshrrev_b16 v6 /*v262*/, 8, v7
	s_set_vgpr_msb 4                        ;  msbs: dst=0 src0=0 src1=1 src2=0
	v_mul_i32_i24_e32 v231, v231, v3 /*v259*/
	v_mul_i32_i24_e32 v235, v235, v10 /*v266*/
	;; [unrolled: 1-line block ×3, first 2 shown]
	v_bfe_i32 v171, v7, 16, 8
	s_set_vgpr_msb 1                        ;  msbs: dst=0 src0=1 src1=0 src2=0
	v_bfe_i32 v169, v6 /*v262*/, 0, 8
	s_set_vgpr_msb 0                        ;  msbs: dst=0 src0=0 src1=0 src2=0
	v_bfe_i32 v192, v244, 0, 16
	v_bfe_i32 v197, v247, 0, 16
	v_pk_mul_lo_u16 v174, v174, v237 op_sel_hi:[1,0]
	v_perm_b32 v202, v218, v218, 0xc0c0c01
	v_or_b32_e32 v151, v152, v151
	v_mul_i32_i24_e32 v169, v192, v169
	s_set_vgpr_msb 4                        ;  msbs: dst=0 src0=0 src1=1 src2=0
	v_mad_i32_i24 v192, v224, v9 /*v265*/, v235
	s_set_vgpr_msb 0                        ;  msbs: dst=0 src0=0 src1=0 src2=0
	v_perm_b32 v152, v184, v184, 0xc0c0c01
	s_wait_dscnt 0x2
	v_bfe_i32 v160, v3, 16, 8
	v_bfe_i32 v195, v248, 0, 16
	v_mul_i32_i24_e32 v144, v172, v144
	v_dot4_i32_iu8 v4, v4, v163, v167 neg_lo:[1,1,0]
	v_perm_b32 v163, v193, v191, 0xc05000c
	v_bfe_i32 v167, v239, 0, 8
	v_bfe_i32 v191, v245, 0, 8
	;; [unrolled: 1-line block ×3, first 2 shown]
	v_mul_i32_i24_e32 v129, v233, v129
	v_mul_i32_i24_e32 v140, v233, v140
	v_dot4_i32_iu8 v165, v5, v165, v4 neg_lo:[1,1,0]
	v_perm_b32 v5, v207, v206, 0xc05000c
	v_dual_ashrrev_i32 v168, 24, v7 :: v_dual_bitop2_b32 v163, v163, v164 bitop3:0x54
	v_mad_i32_i24 v4, v236, v200, v201
	v_mul_i32_i24_e32 v164, v234, v198
	v_mul_i32_i24_e32 v167, v167, v236
	;; [unrolled: 1-line block ×4, first 2 shown]
	s_set_vgpr_msb 4                        ;  msbs: dst=0 src0=0 src1=1 src2=0
	v_mad_i32_i24 v191, v225, v8 /*v264*/, v205
	v_bfe_i32 v206, v158, 8, 8
	v_bfe_i32 v158, v158, 0, 8
	;; [unrolled: 1-line block ×3, first 2 shown]
	s_set_vgpr_msb 0                        ;  msbs: dst=0 src0=0 src1=0 src2=0
	v_perm_b32 v201, v217, v216, 0xc05000c
	v_bfe_i32 v205, v251, 0, 8
	v_dual_ashrrev_i32 v198, 24, v1 :: v_dual_bitop2_b32 v5, v5, v166 bitop3:0x54
	v_dot4_i32_iu8 v163, v204, v163, v187 neg_lo:[1,1,0]
	v_bfe_i32 v187, v213, 0, 8
	v_bfe_i32 v166, v240, 0, 16
	v_add3_u32 v167, v192, v167, v193
	v_perm_b32 v192, v215, v214, 0xc0c0500
	v_perm_b32 v193, v0, v0, 0xc0c0302
	v_bfe_i32 v204, v252, 0, 16
	v_or_b32_e32 v201, v201, v202
	v_perm_b32 v202, v1, v1, 0xc030201
	v_mul_i32_i24_e32 v205, v205, v200
	v_dot4_i32_iu8 v4, v6, v5, v4 neg_lo:[1,1,0]
	v_bfe_i32 v5, v242, 0, 16
	v_bfe_i32 v6, v241, 0, 8
	v_mul_i32_i24_e32 v166, v166, v234
	v_mad_i32_i24 v163, v236, v199, v163
	v_bfe_i32 v199, v1, 16, 8
	v_mad_i32_i24 v4, v172, v187, v4
	v_perm_b32 v187, v211, v210, 0xc05000c
	v_mul_i32_i24_e32 v5, v5, v233
	v_mul_i32_i24_e32 v6, v6, v237
	v_add3_u32 v166, v231, v226, v166
	s_delay_alu instid0(VALU_DEP_4) | instskip(SKIP_1) | instid1(VALU_DEP_4)
	v_or_b32_e32 v187, v187, v188
	v_perm_b32 v188, v7, v7, 0xc030201
	v_add3_u32 v6, v191, v6, v171
	v_bfe_i32 v171, v0, 16, 8
	s_delay_alu instid0(VALU_DEP_3) | instskip(SKIP_1) | instid1(VALU_DEP_2)
	v_dot4_i32_iu8 v4, v188, v187, v4 neg_lo:[1,1,0]
	v_bfe_i32 v187, v246, 0, 16
	v_mul_lo_u32 v4, v4, v227
	s_delay_alu instid0(VALU_DEP_2) | instskip(SKIP_4) | instid1(VALU_DEP_2)
	v_mul_i32_i24_e32 v168, v187, v168
	s_set_vgpr_msb 4                        ;  msbs: dst=0 src0=0 src1=1 src2=0
	v_mad_i32_i24 v187, v232, v7 /*v263*/, v203
	v_bfe_i32 v203, v253, 0, 8
	s_set_vgpr_msb 0                        ;  msbs: dst=0 src0=0 src1=0 src2=0
	v_add3_u32 v5, v187, v5, v168
	v_bfe_i32 v187, v0, 0, 8
	s_delay_alu instid0(VALU_DEP_3)
	v_mul_i32_i24_e32 v199, v203, v199
	v_bfe_i32 v203, v2, 0, 8
	v_lshrrev_b16 v168, 8, v3
	v_add3_u32 v5, v166, v169, v5
	v_mul_i32_i24_e32 v191, v187, v228
	v_lshrrev_b16 v166, 8, v1
	v_mul_i32_i24_e32 v185, v187, v185
	v_ashrrev_i32_e32 v169, 24, v0
	v_bfe_i32 v159, v168, 0, 8
	v_mad_i32_i24 v134, v194, v171, v199
	v_add3_u32 v5, v167, v6, v5
	v_lshrrev_b16 v6, 8, v0
	v_bfe_i32 v166, v166, 0, 8
	v_perm_b32 v0, v1, v0, 0x5040302
	v_lshrrev_b16 v167, 8, v2
	v_perm_b32 v1, v2, v1, 0x5040302
	v_bfe_i32 v6, v6, 0, 8
	v_mul_i32_i24_e32 v166, v204, v166
	v_bfe_i32 v204, v2, 16, 8
	v_bfe_i32 v167, v167, 0, 8
	s_delay_alu instid0(VALU_DEP_4)
	v_mad_i32_i24 v191, v6, v229, v191
	v_mul_i32_i24_e32 v206, v6, v206
	v_mul_i32_i24_e32 v197, v197, v6
	v_mad_i32_i24 v6, v6, v182, v185
	v_pk_mul_lo_u16 v170, v170, v204 op_sel_hi:[1,0]
	v_dot4_i32_iu8 v191, v193, v192, v191 neg_lo:[1,1,0]
	v_mad_i32_i24 v158, v187, v158, v206
	v_bfe_i32 v192, v250, 0, 8
	v_dot4_i32_iu8 v6, v193, v179, v6 neg_lo:[1,1,0]
	v_bfe_i32 v179, v174, 0, 16
	v_ashrrev_i32_e32 v174, 16, v174
	v_bfe_i32 v132, v170, 0, 16
	v_mad_i32_i24 v191, v200, v230, v191
	v_dot4_i32_iu8 v0, v0, v151, v158 neg_lo:[1,1,0]
	v_perm_b32 v151, v183, v181, 0xc05000c
	v_mad_i32_i24 v6, v200, v186, v6
	v_ashrrev_i32_e32 v158, 24, v3
	v_add3_u32 v129, v165, v179, v129
	v_add3_u32 v163, v163, v164, v174
	v_dot4_i32_iu8 v191, v202, v201, v191 neg_lo:[1,1,0]
	v_bfe_i32 v201, v254, 0, 16
	v_dual_ashrrev_i32 v133, 16, v170 :: v_dual_bitop2_b32 v151, v151, v152 bitop3:0x54
	v_perm_b32 v152, v154, v153, 0xc0c0500
	v_perm_b32 v153, v162, v161, 0x5000c0c
	v_dot4_i32_iu8 v7, v7, v130, v129 neg_lo:[1,1,0]
	v_perm_b32 v129, v142, v141, 0xc05000c
	v_perm_b32 v130, v143, v143, 0xc0c0c01
	v_bfe_i32 v161, v3, 0, 8
	v_bfe_i32 v162, v223, 0, 8
	;; [unrolled: 1-line block ×3, first 2 shown]
	v_add3_u32 v140, v163, v140, v144
	v_mul_i32_i24_e32 v198, v201, v198
	v_ashrrev_i32_e32 v201, 24, v2
	v_dot4_i32_iu8 v6, v202, v151, v6 neg_lo:[1,1,0]
	v_or_b32_e32 v152, v153, v152
	v_mul_i32_i24_e32 v151, v167, v189
	v_or_b32_e32 v129, v129, v130
	v_bfe_i32 v130, v145, 8, 8
	v_perm_b32 v153, v221, v221, 0xc0c0c01
	v_perm_b32 v2, v2, v2, 0xc030201
	v_mul_i32_i24_e32 v154, v154, v203
	v_mad_i32_i24 v6, v203, v190, v6
	v_dot4_i32_iu8 v0, v1, v152, v0 neg_lo:[1,1,0]
	v_mul_i32_i24_e32 v131, v201, v131
	v_mul_i32_i24_e32 v130, v201, v130
	v_perm_b32 v152, v220, v219, 0xc05000c
	v_mad_i32_i24 v1, v203, v196, v191
	v_dot4_i32_iu8 v129, v188, v129, v140 neg_lo:[1,1,0]
	v_add3_u32 v6, v6, v151, v133
	v_add3_u32 v0, v0, v132, v131
	v_mul_i32_i24_e32 v131, v161, v149
	v_or_b32_e32 v152, v152, v153
	s_set_vgpr_msb 1                        ;  msbs: dst=0 src0=1 src1=0 src2=0
	v_bfe_i32 v153, v0 /*v256*/, 0, 16
	s_set_vgpr_msb 0                        ;  msbs: dst=0 src0=0 src1=0 src2=0
	v_bfe_i32 v132, v175, 0, 8
	v_mad_i32_i24 v133, v195, v169, v198
	v_add3_u32 v6, v6, v130, v131
	v_perm_b32 v130, v138, v137, 0xc0c0500
	v_perm_b32 v131, v136, v135, 0x5000c0c
	v_dot4_i32_iu8 v1, v2, v152, v1 neg_lo:[1,1,0]
	s_set_vgpr_msb 1                        ;  msbs: dst=0 src0=1 src1=0 src2=0
	v_bfe_i32 v2, v2 /*v258*/, 0, 16
	v_bfe_i32 v152, v1 /*v257*/, 0, 8
	s_set_vgpr_msb 0                        ;  msbs: dst=0 src0=0 src1=0 src2=0
	v_mul_i32_i24_e32 v153, v153, v167
	v_mul_i32_i24_e32 v132, v132, v161
	v_mad_i32_i24 v135, v192, v187, v205
	v_or_b32_e32 v130, v131, v130
	v_perm_b32 v131, v148, v148, 0xc0c0c01
	v_mul_i32_i24_e32 v2, v2, v201
	v_mul_i32_i24_e32 v152, v152, v204
	v_add3_u32 v136, v197, v166, v153
	v_add3_u32 v132, v135, v154, v132
	v_dot4_i32_iu8 v130, v3, v130, v0 neg_lo:[1,1,0]
	v_perm_b32 v0, v147, v146, 0xc05000c
	v_perm_b32 v3, v3, v3, 0xc030201
	s_delay_alu instid0(VALU_DEP_2) | instskip(SKIP_1) | instid1(VALU_DEP_2)
	v_or_b32_e32 v0, v0, v131
	v_perm_b32 v131, v157, v157, 0xc0c0c01
	v_dot4_i32_iu8 v6, v3, v0, v6 neg_lo:[1,1,0]
	v_mad_i32_i24 v0, v161, v162, v1
	v_perm_b32 v1, v156, v155, 0xc05000c
	s_delay_alu instid0(VALU_DEP_1) | instskip(NEXT) | instid1(VALU_DEP_1)
	v_or_b32_e32 v1, v1, v131
	v_dot4_i32_iu8 v131, v3, v1, v0 neg_lo:[1,1,0]
	v_bfe_i32 v0, v178, 0, 16
	v_bfe_i32 v1, v177, 0, 8
	;; [unrolled: 1-line block ×3, first 2 shown]
	s_delay_alu instid0(VALU_DEP_3) | instskip(NEXT) | instid1(VALU_DEP_3)
	v_mul_i32_i24_e32 v0, v0, v158
	v_mul_i32_i24_e32 v1, v1, v160
	s_delay_alu instid0(VALU_DEP_3) | instskip(NEXT) | instid1(VALU_DEP_3)
	v_mul_i32_i24_e32 v3, v3, v159
	v_add3_u32 v0, v133, v2, v0
	s_delay_alu instid0(VALU_DEP_3) | instskip(NEXT) | instid1(VALU_DEP_2)
	v_add3_u32 v1, v134, v152, v1
	v_add3_u32 v0, v136, v3, v0
	v_pk_mul_f32 v[2:3], v[90:91], v[94:95] op_sel_hi:[0,1]
	s_delay_alu instid0(VALU_DEP_2)
	v_add3_u32 v132, v132, v1, v0
	ds_load_u16 v0, v173 offset:28418
	s_wait_dscnt 0x2
	v_lshrrev_b16 v167, 8, v139
	s_wait_dscnt 0x1
	v_lshrrev_b16 v168, 8, v150
	v_bfe_i32 v150, v150, 0, 8
	v_bfe_i32 v139, v139, 0, 8
	;; [unrolled: 1-line block ×3, first 2 shown]
	s_delay_alu instid0(VALU_DEP_4) | instskip(NEXT) | instid1(VALU_DEP_4)
	v_bfe_i32 v168, v168, 0, 8
	v_mul_lo_u32 v129, v129, v150
	s_delay_alu instid0(VALU_DEP_4) | instskip(NEXT) | instid1(VALU_DEP_2)
	v_mul_lo_u32 v7, v7, v139
	v_mad_u32 v6, v6, v168, v129
	s_delay_alu instid0(VALU_DEP_2) | instskip(SKIP_3) | instid1(VALU_DEP_2)
	v_mad_u32 v7, v130, v167, v7
	s_wait_dscnt 0x0
	v_lshrrev_b16 v1, 8, v0
	v_bfe_i32 v0, v0, 0, 8
	v_bfe_i32 v133, v1, 0, 8
	s_delay_alu instid0(VALU_DEP_2)
	v_mul_lo_u32 v5, v5, v0
	v_pk_mul_f32 v[0:1], v[90:91], v[92:93] op_sel_hi:[0,1]
	v_mad_u32 v90, v131, v128, v4
	v_add_nc_u32_e32 v91, 4, v91
	v_cvt_f32_i32_e32 v4, v7
	v_mad_u32 v92, v132, v133, v5
	v_cvt_f32_i32_e32 v5, v6
	v_cvt_f32_i32_e32 v6, v90
	s_delay_alu instid0(VALU_DEP_2) | instskip(NEXT) | instid1(VALU_DEP_4)
	v_pk_fma_f32 v[18:19], v[0:1], v[4:5], v[18:19]
	v_cvt_f32_i32_e32 v7, v92
	s_delay_alu instid0(VALU_DEP_1)
	v_pk_fma_f32 v[20:21], v[2:3], v[6:7], v[20:21]
	s_cbranch_scc1 .LBB189_19
; %bb.20:                               ;   in Loop: Header=BB189_5 Depth=1
	s_or_b32 s1, s16, 0x100
	s_delay_alu instid0(SALU_CYCLE_1)
	s_cmp_ge_i32 s1, s11
	s_barrier_signal -1
	s_barrier_wait -1
	s_cbranch_scc1 .LBB189_4
; %bb.21:                               ;   in Loop: Header=BB189_5 Depth=1
	v_add_nc_u32_e32 v0, s17, v77
	s_delay_alu instid0(VALU_DEP_1) | instskip(SKIP_1) | instid1(SALU_CYCLE_1)
	v_cmp_gt_i32_e64 s1, s5, v0
	s_and_b32 s20, s0, s1
	s_and_saveexec_b32 s1, s20
	s_cbranch_execz .LBB189_23
; %bb.22:                               ;   in Loop: Header=BB189_5 Depth=1
	v_add_nc_u32_e32 v0, v22, v0
	s_delay_alu instid0(VALU_DEP_1)
	v_mad_nc_i64_i32 v[0:1], v0, 36, v[26:27]
	global_load_b32 v0, v[0:1], off offset:4
	s_wait_loadcnt 0x0
	ds_store_b32 v37, v0
.LBB189_23:                             ;   in Loop: Header=BB189_5 Depth=1
	s_or_b32 exec_lo, exec_lo, s1
	s_and_saveexec_b32 s20, vcc_lo
	s_cbranch_execz .LBB189_26
; %bb.24:                               ;   in Loop: Header=BB189_5 Depth=1
	v_or_b32_e32 v0, 8, v88
	s_delay_alu instid0(VALU_DEP_1) | instskip(SKIP_1) | instid1(SALU_CYCLE_1)
	v_cmp_gt_i32_e64 s1, s5, v0
	s_and_b32 s1, s0, s1
	s_and_b32 exec_lo, exec_lo, s1
	s_cbranch_execz .LBB189_26
; %bb.25:                               ;   in Loop: Header=BB189_5 Depth=1
	v_ashrrev_i32_e32 v89, 31, v88
	s_delay_alu instid0(VALU_DEP_1) | instskip(NEXT) | instid1(VALU_DEP_1)
	v_add_nc_u64_e32 v[0:1], v[22:23], v[88:89]
	v_mad_nc_u64_u32 v[2:3], v0, 36, s[2:3]
	s_delay_alu instid0(VALU_DEP_1)
	v_mad_i32_i24 v3, v1, 36, v3
	global_load_b32 v0, v[2:3], off offset:288
	s_wait_loadcnt 0x0
	v_cvt_f32_f16_e32 v0, v0
	ds_store_b32 v41, v0
.LBB189_26:                             ;   in Loop: Header=BB189_5 Depth=1
	s_or_b32 exec_lo, exec_lo, s20
	v_dual_mov_b32 v89, v35 :: v_dual_mov_b32 v91, v39
	s_mov_b32 s1, 16
	s_mov_b32 s24, 14
	;; [unrolled: 1-line block ×3, first 2 shown]
	s_wait_dscnt 0x0
	s_barrier_signal -1
	s_barrier_wait -1
.LBB189_27:                             ;   Parent Loop BB189_5 Depth=1
                                        ; =>  This Inner Loop Header: Depth=2
	s_add_co_i32 s21, s24, 2
	s_add_co_i32 s22, s24, -14
	s_lshr_b32 s26, s21, 4
	s_and_b32 s23, s21, 0x3ffffff8
	s_and_b32 s25, s1, -16
	v_lshl_add_u32 v4, s23, 2, v81
	s_lshl_b32 s23, s26, 5
	s_add_co_i32 s24, s24, s25
	s_addk_co_i32 s23, 0x4200
	s_lshl_b32 s25, s26, 2
	v_add3_u32 v92, s23, v83, v85
	ds_load_2addr_b32 v[0:1], v4 offset1:1
	s_addk_co_i32 s25, 0x7380
	ds_load_b32 v90, v91
	s_add_co_i32 s1, s1, 2
	ds_load_2addr_b32 v[2:3], v92 offset1:1
	s_wait_dscnt 0x2
	v_dual_add_nc_u32 v139, s24, v49 :: v_dual_ashrrev_i32 v0, s22, v0
	s_wait_dscnt 0x0
	v_ashrrev_i32_e32 v2, s20, v2
	s_delay_alu instid0(VALU_DEP_2) | instskip(NEXT) | instid1(VALU_DEP_2)
	v_and_b32_e32 v5, 0x3030303, v0
	v_dual_ashrrev_i32 v3, s20, v3 :: v_dual_lshlrev_b32 v2, 2, v2
	s_delay_alu instid0(VALU_DEP_2) | instskip(SKIP_2) | instid1(VALU_DEP_4)
	v_lshrrev_b32_e32 v7, 16, v5
	v_bfe_u32 v0, v0, 24, 2
	v_lshrrev_b16 v6, 8, v5
	v_lshlrev_b32_e32 v3, 2, v3
	v_and_b32_e32 v2, 0x4040404, v2
	s_delay_alu instid0(VALU_DEP_2) | instskip(NEXT) | instid1(VALU_DEP_2)
	v_and_b32_e32 v3, 0x4040404, v3
	v_dual_lshrrev_b32 v94, 24, v2 :: v_dual_lshrrev_b32 v95, 16, v2
	v_lshrrev_b16 v93, 8, v2
	s_delay_alu instid0(VALU_DEP_2) | instskip(NEXT) | instid1(VALU_DEP_3)
	v_sub_nc_u16 v0, v0, v94
	v_sub_nc_u16 v163, v7, v95
	v_lshrrev_b32_e32 v7, 24, v3
	s_delay_alu instid0(VALU_DEP_3) | instskip(NEXT) | instid1(VALU_DEP_1)
	v_lshlrev_b16 v0, 8, v0
	v_bitop3_b16 v164, v163, v0, 0xff bitop3:0xec
	v_sub_nc_u16 v0, v5, v2
	v_sub_nc_u16 v2, v6, v93
	v_lshrrev_b32_e32 v93, 16, v3
	v_lshrrev_b16 v6, 8, v3
	v_perm_b32 v163, v164, v163, 0xc0c0500
	s_delay_alu instid0(VALU_DEP_4) | instskip(NEXT) | instid1(VALU_DEP_1)
	v_lshlrev_b16 v2, 8, v2
	v_bitop3_b16 v0, v0, v2, 0xff bitop3:0xec
	s_delay_alu instid0(VALU_DEP_1) | instskip(SKIP_1) | instid1(VALU_DEP_1)
	v_and_b32_e32 v167, 0xffff, v0
	v_ashrrev_i32_e32 v0, s22, v1
	v_and_b32_e32 v1, 0x3030303, v0
	v_bfe_u32 v0, v0, 24, 2
	s_delay_alu instid0(VALU_DEP_2) | instskip(NEXT) | instid1(VALU_DEP_2)
	v_lshrrev_b32_e32 v5, 16, v1
	v_sub_nc_u16 v0, v0, v7
	v_lshrrev_b16 v2, 8, v1
	v_sub_nc_u16 v168, v1, v3
	s_delay_alu instid0(VALU_DEP_4) | instskip(NEXT) | instid1(VALU_DEP_4)
	v_sub_nc_u16 v165, v5, v93
	v_lshlrev_b16 v0, 8, v0
	s_delay_alu instid0(VALU_DEP_1) | instskip(SKIP_4) | instid1(VALU_DEP_1)
	v_bitop3_b16 v166, v165, v0, 0xff bitop3:0xec
	v_sub_nc_u16 v0, v2, v6
	ds_load_2addr_b32 v[2:3], v92 offset0:2 offset1:3
	v_perm_b32 v165, v166, v165, 0xc0c0500
	v_lshlrev_b16 v0, 8, v0
	v_bitop3_b16 v169, v168, v0, 0xff bitop3:0xec
	ds_load_2addr_b32 v[0:1], v4 offset0:2 offset1:3
	v_perm_b32 v164, v169, v168, 0x5000c0c
	s_wait_dscnt 0x1
	s_delay_alu instid0(VALU_DEP_1) | instskip(NEXT) | instid1(VALU_DEP_1)
	v_dual_ashrrev_i32 v2, s20, v2 :: v_dual_bitop2_b32 v163, v164, v163 bitop3:0x54
	v_dual_ashrrev_i32 v3, s20, v3 :: v_dual_lshlrev_b32 v2, 2, v2
	s_wait_dscnt 0x0
	s_delay_alu instid0(VALU_DEP_1) | instskip(NEXT) | instid1(VALU_DEP_2)
	v_dual_lshlrev_b32 v3, 2, v3 :: v_dual_ashrrev_i32 v0, s22, v0
	v_and_b32_e32 v2, 0x4040404, v2
	s_delay_alu instid0(VALU_DEP_2) | instskip(NEXT) | instid1(VALU_DEP_3)
	v_and_b32_e32 v3, 0x4040404, v3
	v_and_b32_e32 v5, 0x3030303, v0
	v_bfe_u32 v0, v0, 24, 2
	s_delay_alu instid0(VALU_DEP_4) | instskip(SKIP_1) | instid1(VALU_DEP_4)
	v_dual_lshrrev_b32 v93, 16, v2 :: v_dual_lshrrev_b32 v94, 24, v2
	v_lshrrev_b16 v95, 8, v2
	v_lshrrev_b16 v7, 8, v5
	v_lshrrev_b32_e32 v6, 16, v5
	v_sub_nc_u16 v171, v5, v2
	v_sub_nc_u16 v0, v0, v94
	s_delay_alu instid0(VALU_DEP_4) | instskip(SKIP_2) | instid1(VALU_DEP_4)
	v_sub_nc_u16 v2, v7, v95
	v_lshrrev_b32_e32 v7, 24, v3
	v_sub_nc_u16 v174, v6, v93
	v_lshlrev_b16 v129, 8, v0
	v_ashrrev_i32_e32 v0, s22, v1
	v_lshlrev_b16 v2, 8, v2
	v_lshrrev_b32_e32 v93, 16, v3
	v_lshrrev_b16 v6, 8, v3
	v_bfe_i32 v174, v174, 0, 8
	v_and_b32_e32 v1, 0x3030303, v0
	v_bfe_u32 v0, v0, 24, 2
	v_bitop3_b16 v172, v171, v2, 0xff bitop3:0xec
	v_bfe_i32 v129, v129, 8, 8
	s_delay_alu instid0(VALU_DEP_4) | instskip(NEXT) | instid1(VALU_DEP_4)
	v_lshrrev_b32_e32 v5, 16, v1
	v_sub_nc_u16 v0, v0, v7
	v_lshrrev_b16 v2, 8, v1
	v_sub_nc_u16 v132, v1, v3
	v_perm_b32 v166, v172, v171, 0x5000c0c
	v_sub_nc_u16 v130, v5, v93
	v_lshlrev_b16 v0, 8, v0
	s_delay_alu instid0(VALU_DEP_1) | instskip(SKIP_4) | instid1(VALU_DEP_1)
	v_bitop3_b16 v131, v130, v0, 0xff bitop3:0xec
	v_sub_nc_u16 v0, v2, v6
	ds_load_2addr_b32 v[2:3], v92 offset0:4 offset1:5
	v_perm_b32 v130, v131, v130, 0x5000c0c
	v_lshlrev_b16 v0, 8, v0
	v_bitop3_b16 v133, v132, v0, 0xff bitop3:0xec
	ds_load_2addr_b32 v[0:1], v4 offset0:4 offset1:5
	v_perm_b32 v132, v133, v132, 0xc0c0500
	s_wait_dscnt 0x1
	s_delay_alu instid0(VALU_DEP_1) | instskip(NEXT) | instid1(VALU_DEP_1)
	v_dual_ashrrev_i32 v2, s20, v2 :: v_dual_bitop2_b32 v130, v130, v132 bitop3:0x54
	v_dual_ashrrev_i32 v3, s20, v3 :: v_dual_lshlrev_b32 v2, 2, v2
	s_wait_dscnt 0x0
	s_delay_alu instid0(VALU_DEP_1) | instskip(NEXT) | instid1(VALU_DEP_2)
	v_dual_lshlrev_b32 v3, 2, v3 :: v_dual_ashrrev_i32 v0, s22, v0
	v_and_b32_e32 v2, 0x4040404, v2
	s_delay_alu instid0(VALU_DEP_2) | instskip(NEXT) | instid1(VALU_DEP_3)
	v_and_b32_e32 v3, 0x4040404, v3
	v_and_b32_e32 v5, 0x3030303, v0
	v_bfe_u32 v0, v0, 24, 2
	s_delay_alu instid0(VALU_DEP_4) | instskip(SKIP_1) | instid1(VALU_DEP_4)
	v_dual_lshrrev_b32 v94, 24, v2 :: v_dual_lshrrev_b32 v95, 16, v2
	v_lshrrev_b16 v93, 8, v2
	v_lshrrev_b32_e32 v7, 16, v5
	v_lshrrev_b16 v6, 8, v5
	s_delay_alu instid0(VALU_DEP_4) | instskip(NEXT) | instid1(VALU_DEP_3)
	v_sub_nc_u16 v0, v0, v94
	v_sub_nc_u16 v151, v7, v95
	v_lshrrev_b32_e32 v7, 24, v3
	s_delay_alu instid0(VALU_DEP_3) | instskip(NEXT) | instid1(VALU_DEP_1)
	v_lshlrev_b16 v0, 8, v0
	v_bitop3_b16 v152, v151, v0, 0xff bitop3:0xec
	v_sub_nc_u16 v0, v5, v2
	v_sub_nc_u16 v2, v6, v93
	v_lshrrev_b32_e32 v93, 16, v3
	v_lshrrev_b16 v6, 8, v3
	v_perm_b32 v151, v152, v151, 0xc0c0500
	s_delay_alu instid0(VALU_DEP_4) | instskip(NEXT) | instid1(VALU_DEP_1)
	v_lshlrev_b16 v2, 8, v2
	v_bitop3_b16 v0, v0, v2, 0xff bitop3:0xec
	s_delay_alu instid0(VALU_DEP_1) | instskip(SKIP_1) | instid1(VALU_DEP_1)
	v_and_b32_e32 v158, 0xffff, v0
	v_ashrrev_i32_e32 v0, s22, v1
	v_and_b32_e32 v1, 0x3030303, v0
	v_bfe_u32 v0, v0, 24, 2
	s_delay_alu instid0(VALU_DEP_2) | instskip(NEXT) | instid1(VALU_DEP_2)
	v_lshrrev_b32_e32 v5, 16, v1
	v_sub_nc_u16 v0, v0, v7
	v_lshrrev_b16 v2, 8, v1
	v_sub_nc_u16 v159, v1, v3
	s_delay_alu instid0(VALU_DEP_4) | instskip(NEXT) | instid1(VALU_DEP_4)
	v_sub_nc_u16 v153, v5, v93
	v_lshlrev_b16 v0, 8, v0
	s_delay_alu instid0(VALU_DEP_1) | instskip(SKIP_3) | instid1(VALU_DEP_1)
	v_bitop3_b16 v154, v153, v0, 0xff bitop3:0xec
	v_sub_nc_u16 v0, v2, v6
	ds_load_2addr_b32 v[2:3], v92 offset0:6 offset1:7
	v_lshlrev_b16 v0, 8, v0
	v_bitop3_b16 v160, v159, v0, 0xff bitop3:0xec
	ds_load_2addr_b32 v[0:1], v4 offset0:6 offset1:7
	v_perm_b32 v152, v160, v159, 0x5000c0c
	s_wait_dscnt 0x1
	v_dual_ashrrev_i32 v2, s20, v2 :: v_dual_ashrrev_i32 v3, s20, v3
	s_delay_alu instid0(VALU_DEP_1) | instskip(SKIP_2) | instid1(VALU_DEP_2)
	v_dual_lshlrev_b32 v2, 2, v2 :: v_dual_lshlrev_b32 v3, 2, v3
	s_wait_dscnt 0x0
	v_ashrrev_i32_e32 v0, s22, v0
	v_and_b32_e32 v2, 0x4040404, v2
	s_delay_alu instid0(VALU_DEP_3) | instskip(NEXT) | instid1(VALU_DEP_3)
	v_and_b32_e32 v3, 0x4040404, v3
	v_and_b32_e32 v5, 0x3030303, v0
	v_bfe_u32 v0, v0, 24, 2
	s_delay_alu instid0(VALU_DEP_4) | instskip(SKIP_1) | instid1(VALU_DEP_4)
	v_dual_lshrrev_b32 v92, 16, v2 :: v_dual_lshrrev_b32 v93, 24, v2
	v_lshrrev_b16 v94, 8, v2
	v_lshrrev_b16 v7, 8, v5
	v_lshrrev_b32_e32 v6, 16, v5
	v_sub_nc_u16 v161, v5, v2
	v_sub_nc_u16 v0, v0, v93
	v_add3_u32 v93, s23, v97, v98
	v_sub_nc_u16 v2, v7, v94
	v_lshrrev_b32_e32 v7, 24, v3
	v_sub_nc_u16 v170, v6, v92
	v_lshlrev_b16 v134, 8, v0
	v_ashrrev_i32_e32 v0, s22, v1
	v_lshlrev_b16 v2, 8, v2
	v_lshrrev_b32_e32 v92, 16, v3
	v_lshrrev_b16 v6, 8, v3
	v_bfe_i32 v170, v170, 0, 8
	v_and_b32_e32 v1, 0x3030303, v0
	v_bfe_u32 v0, v0, 24, 2
	v_bitop3_b16 v162, v161, v2, 0xff bitop3:0xec
	v_bfe_i32 v131, v134, 8, 8
	s_delay_alu instid0(VALU_DEP_4) | instskip(NEXT) | instid1(VALU_DEP_4)
	v_lshrrev_b32_e32 v5, 16, v1
	v_sub_nc_u16 v0, v0, v7
	v_lshrrev_b16 v2, 8, v1
	v_sub_nc_u16 v137, v1, v3
	s_delay_alu instid0(VALU_DEP_4) | instskip(NEXT) | instid1(VALU_DEP_4)
	v_sub_nc_u16 v135, v5, v92
	v_lshlrev_b16 v0, 8, v0
	s_delay_alu instid0(VALU_DEP_1) | instskip(SKIP_3) | instid1(VALU_DEP_1)
	v_bitop3_b16 v136, v135, v0, 0xff bitop3:0xec
	v_sub_nc_u16 v0, v2, v6
	ds_load_2addr_b32 v[2:3], v93 offset1:1
	v_lshlrev_b16 v0, 8, v0
	v_bitop3_b16 v138, v137, v0, 0xff bitop3:0xec
	v_add3_u32 v0, s25, v127, v96
	ds_load_b32 v92, v0
	v_add_nc_u32_e32 v0, 0x1080, v4
	s_wait_dscnt 0x1
	v_ashrrev_i32_e32 v2, s20, v2
	ds_load_2addr_b32 v[0:1], v0 offset1:1
	v_dual_ashrrev_i32 v3, s20, v3 :: v_dual_lshlrev_b32 v2, 2, v2
	s_delay_alu instid0(VALU_DEP_1) | instskip(NEXT) | instid1(VALU_DEP_2)
	v_lshlrev_b32_e32 v3, 2, v3
	v_and_b32_e32 v2, 0x4040404, v2
	s_delay_alu instid0(VALU_DEP_2) | instskip(NEXT) | instid1(VALU_DEP_2)
	v_and_b32_e32 v3, 0x4040404, v3
	v_dual_lshrrev_b32 v95, 24, v2 :: v_dual_lshrrev_b32 v128, 16, v2
	v_lshrrev_b16 v94, 8, v2
	s_wait_dscnt 0x0
	v_ashrrev_i32_e32 v0, s22, v0
	s_delay_alu instid0(VALU_DEP_1) | instskip(SKIP_1) | instid1(VALU_DEP_2)
	v_and_b32_e32 v5, 0x3030303, v0
	v_bfe_u32 v0, v0, 24, 2
	v_lshrrev_b32_e32 v7, 16, v5
	s_delay_alu instid0(VALU_DEP_2) | instskip(SKIP_2) | instid1(VALU_DEP_4)
	v_sub_nc_u16 v0, v0, v95
	v_lshrrev_b16 v6, 8, v5
	v_sub_nc_u16 v195, v5, v2
	v_sub_nc_u16 v187, v7, v128
	s_delay_alu instid0(VALU_DEP_4) | instskip(SKIP_1) | instid1(VALU_DEP_4)
	v_lshlrev_b16 v0, 8, v0
	v_lshrrev_b32_e32 v7, 24, v3
	v_bfe_i32 v195, v195, 0, 8
	s_delay_alu instid0(VALU_DEP_3) | instskip(SKIP_3) | instid1(VALU_DEP_4)
	v_bitop3_b16 v188, v187, v0, 0xff bitop3:0xec
	v_sub_nc_u16 v0, v6, v94
	v_lshrrev_b32_e32 v94, 16, v3
	v_lshrrev_b16 v6, 8, v3
	v_perm_b32 v187, v188, v187, 0xc0c0500
	s_delay_alu instid0(VALU_DEP_4) | instskip(SKIP_1) | instid1(VALU_DEP_2)
	v_lshlrev_b16 v192, 8, v0
	v_ashrrev_i32_e32 v0, s22, v1
	v_bfe_i32 v192, v192, 8, 8
	s_delay_alu instid0(VALU_DEP_2) | instskip(SKIP_1) | instid1(VALU_DEP_2)
	v_and_b32_e32 v1, 0x3030303, v0
	v_bfe_u32 v0, v0, 24, 2
	v_lshrrev_b32_e32 v5, 16, v1
	s_delay_alu instid0(VALU_DEP_2) | instskip(SKIP_2) | instid1(VALU_DEP_4)
	v_sub_nc_u16 v0, v0, v7
	v_lshrrev_b16 v2, 8, v1
	v_sub_nc_u16 v197, v1, v3
	v_sub_nc_u16 v191, v5, v94
	s_delay_alu instid0(VALU_DEP_4) | instskip(NEXT) | instid1(VALU_DEP_3)
	v_lshlrev_b16 v0, 8, v0
	v_bfe_i32 v197, v197, 0, 8
	s_delay_alu instid0(VALU_DEP_2) | instskip(SKIP_4) | instid1(VALU_DEP_2)
	v_bitop3_b16 v193, v191, v0, 0xff bitop3:0xec
	v_sub_nc_u16 v0, v2, v6
	ds_load_2addr_b32 v[2:3], v93 offset0:2 offset1:3
	v_lshlrev_b16 v194, 8, v0
	v_add_nc_u32_e32 v0, 0x1088, v4
	v_perm_b32 v164, v194, v194, 0xc0c0c01
	ds_load_2addr_b32 v[0:1], v0 offset1:1
	s_wait_dscnt 0x1
	v_dual_ashrrev_i32 v2, s20, v2 :: v_dual_ashrrev_i32 v3, s20, v3
	s_delay_alu instid0(VALU_DEP_1) | instskip(SKIP_2) | instid1(VALU_DEP_2)
	v_dual_lshlrev_b32 v2, 2, v2 :: v_dual_lshlrev_b32 v3, 2, v3
	s_wait_dscnt 0x0
	v_ashrrev_i32_e32 v0, s22, v0
	v_and_b32_e32 v2, 0x4040404, v2
	s_delay_alu instid0(VALU_DEP_3) | instskip(NEXT) | instid1(VALU_DEP_3)
	v_and_b32_e32 v3, 0x4040404, v3
	v_and_b32_e32 v5, 0x3030303, v0
	v_bfe_u32 v0, v0, 24, 2
	s_delay_alu instid0(VALU_DEP_4) | instskip(SKIP_1) | instid1(VALU_DEP_4)
	v_dual_lshrrev_b32 v94, 16, v2 :: v_dual_lshrrev_b32 v128, 24, v2
	v_lshrrev_b16 v95, 8, v2
	v_lshrrev_b32_e32 v6, 16, v5
	v_lshrrev_b16 v7, 8, v5
	v_sub_nc_u16 v199, v5, v2
	v_sub_nc_u16 v0, v0, v128
	s_delay_alu instid0(VALU_DEP_4) | instskip(SKIP_2) | instid1(VALU_DEP_4)
	v_sub_nc_u16 v200, v6, v94
	v_lshrrev_b32_e32 v94, 16, v3
	v_lshrrev_b16 v6, 8, v3
	v_lshlrev_b16 v140, 8, v0
	v_sub_nc_u16 v0, v7, v95
	v_lshrrev_b32_e32 v7, 24, v3
	v_bfe_i32 v200, v200, 0, 8
	v_bfe_i32 v199, v199, 0, 8
	;; [unrolled: 1-line block ×3, first 2 shown]
	v_lshlrev_b16 v198, 8, v0
	v_ashrrev_i32_e32 v0, s22, v1
	v_perm_b32 v174, v200, v174, 0x5040100
	s_delay_alu instid0(VALU_DEP_3) | instskip(NEXT) | instid1(VALU_DEP_3)
	v_bfe_i32 v198, v198, 8, 8
	v_and_b32_e32 v1, 0x3030303, v0
	v_bfe_u32 v0, v0, 24, 2
	s_delay_alu instid0(VALU_DEP_2) | instskip(NEXT) | instid1(VALU_DEP_2)
	v_lshrrev_b32_e32 v5, 16, v1
	v_sub_nc_u16 v0, v0, v7
	v_lshrrev_b16 v2, 8, v1
	v_sub_nc_u16 v144, v1, v3
	s_delay_alu instid0(VALU_DEP_4) | instskip(NEXT) | instid1(VALU_DEP_4)
	v_sub_nc_u16 v141, v5, v94
	v_lshlrev_b16 v0, 8, v0
	s_delay_alu instid0(VALU_DEP_3) | instskip(NEXT) | instid1(VALU_DEP_2)
	v_bfe_i32 v144, v144, 0, 8
	v_bitop3_b16 v142, v141, v0, 0xff bitop3:0xec
	v_sub_nc_u16 v0, v2, v6
	ds_load_2addr_b32 v[2:3], v93 offset0:4 offset1:5
	v_lshlrev_b16 v143, 8, v0
	v_add_nc_u32_e32 v0, 0x1090, v4
	ds_load_2addr_b32 v[0:1], v0 offset1:1
	s_wait_dscnt 0x1
	v_dual_ashrrev_i32 v2, s20, v2 :: v_dual_ashrrev_i32 v3, s20, v3
	s_delay_alu instid0(VALU_DEP_1) | instskip(SKIP_2) | instid1(VALU_DEP_2)
	v_dual_lshlrev_b32 v2, 2, v2 :: v_dual_lshlrev_b32 v3, 2, v3
	s_wait_dscnt 0x0
	v_ashrrev_i32_e32 v0, s22, v0
	v_and_b32_e32 v2, 0x4040404, v2
	s_delay_alu instid0(VALU_DEP_3) | instskip(NEXT) | instid1(VALU_DEP_3)
	v_and_b32_e32 v3, 0x4040404, v3
	v_and_b32_e32 v5, 0x3030303, v0
	v_bfe_u32 v0, v0, 24, 2
	s_delay_alu instid0(VALU_DEP_4) | instskip(SKIP_1) | instid1(VALU_DEP_4)
	v_dual_lshrrev_b32 v95, 24, v2 :: v_dual_lshrrev_b32 v128, 16, v2
	v_lshrrev_b16 v94, 8, v2
	v_lshrrev_b32_e32 v7, 16, v5
	v_lshrrev_b16 v6, 8, v5
	s_delay_alu instid0(VALU_DEP_4) | instskip(SKIP_1) | instid1(VALU_DEP_4)
	v_sub_nc_u16 v0, v0, v95
	v_sub_nc_u16 v185, v5, v2
	;; [unrolled: 1-line block ×3, first 2 shown]
	v_lshrrev_b32_e32 v7, 24, v3
	s_delay_alu instid0(VALU_DEP_4) | instskip(NEXT) | instid1(VALU_DEP_4)
	v_lshlrev_b16 v0, 8, v0
	v_bfe_i32 v185, v185, 0, 8
	s_delay_alu instid0(VALU_DEP_2) | instskip(SKIP_3) | instid1(VALU_DEP_4)
	v_bitop3_b16 v180, v179, v0, 0xff bitop3:0xec
	v_sub_nc_u16 v0, v6, v94
	v_lshrrev_b32_e32 v94, 16, v3
	v_lshrrev_b16 v6, 8, v3
	v_perm_b32 v179, v180, v179, 0xc0c0500
	s_delay_alu instid0(VALU_DEP_4) | instskip(SKIP_1) | instid1(VALU_DEP_2)
	v_lshlrev_b16 v182, 8, v0
	v_ashrrev_i32_e32 v0, s22, v1
	v_bfe_i32 v182, v182, 8, 8
	s_delay_alu instid0(VALU_DEP_2) | instskip(SKIP_1) | instid1(VALU_DEP_2)
	v_and_b32_e32 v1, 0x3030303, v0
	v_bfe_u32 v0, v0, 24, 2
	v_lshrrev_b32_e32 v5, 16, v1
	s_delay_alu instid0(VALU_DEP_2) | instskip(SKIP_2) | instid1(VALU_DEP_4)
	v_sub_nc_u16 v0, v0, v7
	v_lshrrev_b16 v2, 8, v1
	v_sub_nc_u16 v186, v1, v3
	v_sub_nc_u16 v181, v5, v94
	s_delay_alu instid0(VALU_DEP_4) | instskip(NEXT) | instid1(VALU_DEP_3)
	v_lshlrev_b16 v0, 8, v0
	v_bfe_i32 v186, v186, 0, 8
	s_delay_alu instid0(VALU_DEP_2)
	v_bitop3_b16 v183, v181, v0, 0xff bitop3:0xec
	v_sub_nc_u16 v0, v2, v6
	ds_load_2addr_b32 v[2:3], v93 offset0:6 offset1:7
	v_lshlrev_b16 v184, 8, v0
	v_add_nc_u32_e32 v0, 0x1098, v4
	ds_load_2addr_b32 v[0:1], v0 offset1:1
	s_wait_dscnt 0x1
	v_dual_ashrrev_i32 v2, s20, v2 :: v_dual_ashrrev_i32 v3, s20, v3
	s_delay_alu instid0(VALU_DEP_1) | instskip(SKIP_2) | instid1(VALU_DEP_2)
	v_dual_lshlrev_b32 v2, 2, v2 :: v_dual_lshlrev_b32 v3, 2, v3
	s_wait_dscnt 0x0
	v_ashrrev_i32_e32 v0, s22, v0
	v_and_b32_e32 v2, 0x4040404, v2
	s_delay_alu instid0(VALU_DEP_3) | instskip(NEXT) | instid1(VALU_DEP_3)
	v_and_b32_e32 v3, 0x4040404, v3
	v_and_b32_e32 v5, 0x3030303, v0
	v_bfe_u32 v0, v0, 24, 2
	s_delay_alu instid0(VALU_DEP_4) | instskip(SKIP_1) | instid1(VALU_DEP_4)
	v_dual_lshrrev_b32 v93, 16, v2 :: v_dual_lshrrev_b32 v95, 24, v2
	v_lshrrev_b16 v94, 8, v2
	v_lshrrev_b32_e32 v6, 16, v5
	v_lshrrev_b16 v7, 8, v5
	v_sub_nc_u16 v190, v5, v2
	v_sub_nc_u16 v0, v0, v95
	s_delay_alu instid0(VALU_DEP_4) | instskip(SKIP_2) | instid1(VALU_DEP_4)
	v_sub_nc_u16 v196, v6, v93
	v_lshrrev_b32_e32 v93, 16, v3
	v_lshrrev_b16 v6, 8, v3
	v_lshlrev_b16 v145, 8, v0
	v_sub_nc_u16 v0, v7, v94
	v_lshrrev_b32_e32 v7, 24, v3
	v_add3_u32 v94, s23, v101, v102
	v_bfe_i32 v196, v196, 0, 8
	v_bfe_i32 v190, v190, 0, 8
	v_lshlrev_b16 v189, 8, v0
	v_ashrrev_i32_e32 v0, s22, v1
	s_delay_alu instid0(VALU_DEP_4) | instskip(NEXT) | instid1(VALU_DEP_3)
	v_perm_b32 v170, v196, v170, 0x5040100
	v_bfe_i32 v189, v189, 8, 8
	s_delay_alu instid0(VALU_DEP_3) | instskip(SKIP_1) | instid1(VALU_DEP_2)
	v_and_b32_e32 v1, 0x3030303, v0
	v_bfe_u32 v0, v0, 24, 2
	v_lshrrev_b32_e32 v5, 16, v1
	s_delay_alu instid0(VALU_DEP_2) | instskip(SKIP_2) | instid1(VALU_DEP_4)
	v_sub_nc_u16 v0, v0, v7
	v_lshrrev_b16 v2, 8, v1
	v_sub_nc_u16 v149, v1, v3
	v_sub_nc_u16 v146, v5, v93
	s_delay_alu instid0(VALU_DEP_4) | instskip(NEXT) | instid1(VALU_DEP_3)
	v_lshlrev_b16 v0, 8, v0
	v_bfe_i32 v149, v149, 0, 8
	s_delay_alu instid0(VALU_DEP_2)
	v_bitop3_b16 v147, v146, v0, 0xff bitop3:0xec
	v_sub_nc_u16 v0, v2, v6
	ds_load_2addr_b32 v[2:3], v94 offset1:1
	v_lshlrev_b16 v148, 8, v0
	v_add3_u32 v0, s25, v99, v100
	ds_load_b32 v93, v0
	v_add_nc_u32_e32 v0, 0x2100, v4
	ds_load_2addr_b32 v[0:1], v0 offset1:1
	s_wait_dscnt 0x2
	v_dual_ashrrev_i32 v2, s20, v2 :: v_dual_ashrrev_i32 v3, s20, v3
	s_delay_alu instid0(VALU_DEP_1) | instskip(NEXT) | instid1(VALU_DEP_1)
	v_dual_lshlrev_b32 v2, 2, v2 :: v_dual_lshlrev_b32 v3, 2, v3
	v_and_b32_e32 v2, 0x4040404, v2
	s_delay_alu instid0(VALU_DEP_2) | instskip(NEXT) | instid1(VALU_DEP_2)
	v_and_b32_e32 v3, 0x4040404, v3
	v_dual_lshrrev_b32 v128, 24, v2 :: v_dual_lshrrev_b32 v155, 16, v2
	s_wait_dscnt 0x0
	v_ashrrev_i32_e32 v0, s22, v0
	v_lshrrev_b16 v95, 8, v2
	s_delay_alu instid0(VALU_DEP_2) | instskip(SKIP_1) | instid1(VALU_DEP_2)
	v_and_b32_e32 v5, 0x3030303, v0
	v_bfe_u32 v0, v0, 24, 2
	v_dual_add_nc_u32 v150, s24, v47 :: v_dual_lshrrev_b32 v7, 16, v5
	s_delay_alu instid0(VALU_DEP_2)
	v_sub_nc_u16 v0, v0, v128
	v_lshrrev_b16 v6, 8, v5
	v_lshrrev_b32_e32 v128, 24, v3
	v_sub_nc_u16 v5, v5, v2
	v_sub_nc_u16 v201, v7, v155
	v_lshlrev_b16 v0, 8, v0
	v_lshrrev_b32_e32 v155, 16, v3
	s_delay_alu instid0(VALU_DEP_4) | instskip(NEXT) | instid1(VALU_DEP_3)
	v_bfe_i32 v224, v5, 0, 8
	v_bitop3_b16 v202, v201, v0, 0xff bitop3:0xec
	v_sub_nc_u16 v0, v6, v95
	v_lshrrev_b16 v95, 8, v3
	s_delay_alu instid0(VALU_DEP_3) | instskip(NEXT) | instid1(VALU_DEP_3)
	v_perm_b32 v201, v202, v201, 0xc0c0500
	v_lshlrev_b16 v6, 8, v0
	v_ashrrev_i32_e32 v0, s22, v1
	s_delay_alu instid0(VALU_DEP_2) | instskip(NEXT) | instid1(VALU_DEP_2)
	v_bfe_i32 v225, v6, 8, 8
	v_and_b32_e32 v1, 0x3030303, v0
	v_bfe_u32 v0, v0, 24, 2
	s_delay_alu instid0(VALU_DEP_2) | instskip(NEXT) | instid1(VALU_DEP_2)
	v_lshrrev_b32_e32 v7, 16, v1
	v_sub_nc_u16 v0, v0, v128
	v_lshrrev_b16 v2, 8, v1
	s_delay_alu instid0(VALU_DEP_3) | instskip(NEXT) | instid1(VALU_DEP_3)
	v_sub_nc_u16 v203, v7, v155
	v_lshlrev_b16 v0, 8, v0
	v_sub_nc_u16 v7, v1, v3
	s_delay_alu instid0(VALU_DEP_2)
	v_bitop3_b16 v204, v203, v0, 0xff bitop3:0xec
	v_sub_nc_u16 v0, v2, v95
	ds_load_2addr_b32 v[2:3], v94 offset0:2 offset1:3
	v_bfe_i32 v226, v7, 0, 8
	v_perm_b32 v203, v204, v203, 0xc05000c
	v_lshlrev_b16 v205, 8, v0
	v_add_nc_u32_e32 v0, 0x2108, v4
	s_delay_alu instid0(VALU_DEP_2) | instskip(SKIP_3) | instid1(VALU_DEP_1)
	v_perm_b32 v204, v205, v205, 0xc0c0c01
	ds_load_2addr_b32 v[0:1], v0 offset1:1
	s_wait_dscnt 0x1
	v_dual_ashrrev_i32 v2, s20, v2 :: v_dual_bitop2_b32 v203, v203, v204 bitop3:0x54
	v_dual_ashrrev_i32 v3, s20, v3 :: v_dual_lshlrev_b32 v2, 2, v2
	s_wait_dscnt 0x0
	s_delay_alu instid0(VALU_DEP_1) | instskip(NEXT) | instid1(VALU_DEP_2)
	v_dual_lshlrev_b32 v3, 2, v3 :: v_dual_ashrrev_i32 v0, s22, v0
	v_and_b32_e32 v2, 0x4040404, v2
	s_delay_alu instid0(VALU_DEP_2) | instskip(NEXT) | instid1(VALU_DEP_3)
	v_and_b32_e32 v3, 0x4040404, v3
	v_and_b32_e32 v95, 0x3030303, v0
	v_bfe_u32 v0, v0, 24, 2
	s_delay_alu instid0(VALU_DEP_4) | instskip(SKIP_1) | instid1(VALU_DEP_4)
	v_dual_lshrrev_b32 v157, 24, v2 :: v_dual_lshrrev_b32 v173, 16, v2
	v_lshrrev_b16 v156, 8, v2
	v_lshrrev_b32_e32 v155, 16, v95
	v_lshrrev_b16 v128, 8, v95
	s_delay_alu instid0(VALU_DEP_4) | instskip(SKIP_1) | instid1(VALU_DEP_4)
	v_sub_nc_u16 v0, v0, v157
	v_sub_nc_u16 v209, v95, v2
	;; [unrolled: 1-line block ×3, first 2 shown]
	v_lshrrev_b32_e32 v155, 24, v3
	s_delay_alu instid0(VALU_DEP_4) | instskip(NEXT) | instid1(VALU_DEP_4)
	v_lshlrev_b16 v0, 8, v0
	v_bfe_i32 v200, v209, 0, 8
	v_bfe_i32 v209, v167, 8, 8
	;; [unrolled: 1-line block ×3, first 2 shown]
	s_delay_alu instid0(VALU_DEP_4) | instskip(SKIP_3) | instid1(VALU_DEP_3)
	v_bitop3_b16 v207, v206, v0, 0xff bitop3:0xec
	v_sub_nc_u16 v0, v128, v156
	v_lshrrev_b32_e32 v156, 16, v3
	v_lshrrev_b16 v128, 8, v3
	v_lshlrev_b16 v208, 8, v0
	v_ashrrev_i32_e32 v0, s22, v1
	s_delay_alu instid0(VALU_DEP_1) | instskip(NEXT) | instid1(VALU_DEP_1)
	v_and_b32_e32 v1, 0x3030303, v0
	v_lshrrev_b32_e32 v95, 16, v1
	v_bfe_u32 v0, v0, 24, 2
	v_lshrrev_b16 v2, 8, v1
	v_sub_nc_u16 v213, v1, v3
	s_delay_alu instid0(VALU_DEP_4) | instskip(NEXT) | instid1(VALU_DEP_4)
	v_sub_nc_u16 v210, v95, v156
	v_sub_nc_u16 v0, v0, v155
	s_delay_alu instid0(VALU_DEP_1) | instskip(NEXT) | instid1(VALU_DEP_1)
	v_lshlrev_b16 v0, 8, v0
	v_bitop3_b16 v211, v210, v0, 0xff bitop3:0xec
	v_sub_nc_u16 v0, v2, v128
	ds_load_2addr_b32 v[2:3], v94 offset0:4 offset1:5
	v_lshlrev_b16 v212, 8, v0
	v_add_nc_u32_e32 v0, 0x2110, v4
	s_delay_alu instid0(VALU_DEP_2) | instskip(SKIP_3) | instid1(VALU_DEP_1)
	v_perm_b32 v188, v212, v212, 0xc0c0c01
	ds_load_2addr_b32 v[0:1], v0 offset1:1
	s_wait_dscnt 0x1
	v_dual_ashrrev_i32 v2, s20, v2 :: v_dual_ashrrev_i32 v3, s20, v3
	v_dual_lshlrev_b32 v2, 2, v2 :: v_dual_lshlrev_b32 v3, 2, v3
	s_wait_dscnt 0x0
	v_ashrrev_i32_e32 v0, s22, v0
	s_delay_alu instid0(VALU_DEP_2) | instskip(NEXT) | instid1(VALU_DEP_3)
	v_and_b32_e32 v2, 0x4040404, v2
	v_and_b32_e32 v3, 0x4040404, v3
	s_delay_alu instid0(VALU_DEP_3) | instskip(SKIP_1) | instid1(VALU_DEP_4)
	v_and_b32_e32 v95, 0x3030303, v0
	v_bfe_u32 v0, v0, 24, 2
	v_dual_lshrrev_b32 v157, 24, v2 :: v_dual_lshrrev_b32 v173, 16, v2
	v_lshrrev_b16 v156, 8, v2
	s_delay_alu instid0(VALU_DEP_4) | instskip(SKIP_1) | instid1(VALU_DEP_4)
	v_lshrrev_b32_e32 v155, 16, v95
	v_lshrrev_b16 v128, 8, v95
	v_sub_nc_u16 v0, v0, v157
	v_lshrrev_b32_e32 v157, 24, v3
	v_sub_nc_u16 v95, v95, v2
	v_sub_nc_u16 v214, v155, v173
	v_lshrrev_b32_e32 v173, 16, v3
	v_lshlrev_b16 v0, 8, v0
	s_delay_alu instid0(VALU_DEP_4) | instskip(SKIP_1) | instid1(VALU_DEP_3)
	v_bfe_i32 v228, v95, 0, 8
	v_add3_u32 v95, s23, v105, v106
	v_bitop3_b16 v215, v214, v0, 0xff bitop3:0xec
	v_sub_nc_u16 v0, v128, v156
	v_lshrrev_b16 v156, 8, v3
	s_delay_alu instid0(VALU_DEP_2) | instskip(SKIP_1) | instid1(VALU_DEP_2)
	v_lshlrev_b16 v128, 8, v0
	v_ashrrev_i32_e32 v0, s22, v1
	v_bfe_i32 v229, v128, 8, 8
	s_delay_alu instid0(VALU_DEP_2) | instskip(NEXT) | instid1(VALU_DEP_1)
	v_and_b32_e32 v1, 0x3030303, v0
	v_lshrrev_b32_e32 v155, 16, v1
	v_bfe_u32 v0, v0, 24, 2
	v_lshrrev_b16 v2, 8, v1
	s_delay_alu instid0(VALU_DEP_3) | instskip(NEXT) | instid1(VALU_DEP_3)
	v_sub_nc_u16 v216, v155, v173
	v_sub_nc_u16 v0, v0, v157
	;; [unrolled: 1-line block ×3, first 2 shown]
	s_delay_alu instid0(VALU_DEP_2) | instskip(NEXT) | instid1(VALU_DEP_2)
	v_lshlrev_b16 v0, 8, v0
	v_bfe_i32 v230, v173, 0, 8
	s_delay_alu instid0(VALU_DEP_2)
	v_bitop3_b16 v217, v216, v0, 0xff bitop3:0xec
	v_sub_nc_u16 v0, v2, v156
	ds_load_2addr_b32 v[2:3], v94 offset0:6 offset1:7
	v_lshlrev_b16 v218, 8, v0
	v_add_nc_u32_e32 v0, 0x2118, v4
	ds_load_2addr_b32 v[0:1], v0 offset1:1
	s_wait_dscnt 0x1
	v_dual_ashrrev_i32 v2, s20, v2 :: v_dual_ashrrev_i32 v3, s20, v3
	s_delay_alu instid0(VALU_DEP_1) | instskip(SKIP_2) | instid1(VALU_DEP_2)
	v_dual_lshlrev_b32 v2, 2, v2 :: v_dual_lshlrev_b32 v3, 2, v3
	s_wait_dscnt 0x0
	v_ashrrev_i32_e32 v0, s22, v0
	v_and_b32_e32 v2, 0x4040404, v2
	s_delay_alu instid0(VALU_DEP_3) | instskip(NEXT) | instid1(VALU_DEP_3)
	v_and_b32_e32 v3, 0x4040404, v3
	v_and_b32_e32 v155, 0x3030303, v0
	v_bfe_u32 v0, v0, 24, 2
	s_delay_alu instid0(VALU_DEP_4) | instskip(SKIP_1) | instid1(VALU_DEP_4)
	v_dual_lshrrev_b32 v175, 24, v2 :: v_dual_lshrrev_b32 v176, 16, v2
	v_lshrrev_b16 v94, 8, v2
	v_lshrrev_b32_e32 v157, 16, v155
	v_lshrrev_b16 v156, 8, v155
	s_delay_alu instid0(VALU_DEP_4)
	v_sub_nc_u16 v0, v0, v175
	v_sub_nc_u16 v222, v155, v2
	v_lshrrev_b32_e32 v155, 16, v3
	v_sub_nc_u16 v219, v157, v176
	v_lshrrev_b16 v157, 8, v3
	v_lshlrev_b16 v0, 8, v0
	v_bfe_i32 v196, v222, 0, 8
	s_delay_alu instid0(VALU_DEP_2) | instskip(SKIP_2) | instid1(VALU_DEP_2)
	v_bitop3_b16 v220, v219, v0, 0xff bitop3:0xec
	v_sub_nc_u16 v0, v156, v94
	v_lshrrev_b32_e32 v156, 24, v3
	v_lshlrev_b16 v221, 8, v0
	v_ashrrev_i32_e32 v0, s22, v1
	s_delay_alu instid0(VALU_DEP_1) | instskip(NEXT) | instid1(VALU_DEP_1)
	v_and_b32_e32 v1, 0x3030303, v0
	v_lshrrev_b32_e32 v94, 16, v1
	v_bfe_u32 v0, v0, 24, 2
	v_lshrrev_b16 v2, 8, v1
	v_sub_nc_u16 v223, v1, v3
	v_add3_u32 v1, s25, v103, v104
	v_sub_nc_u16 v155, v94, v155
	v_sub_nc_u16 v0, v0, v156
	ds_load_b32 v94, v1
	v_lshlrev_b16 v0, 8, v0
	s_delay_alu instid0(VALU_DEP_1)
	v_bitop3_b16 v156, v155, v0, 0xff bitop3:0xec
	v_sub_nc_u16 v0, v2, v157
	ds_load_2addr_b32 v[2:3], v95 offset1:1
	v_lshlrev_b16 v157, 8, v0
	v_add_nc_u32_e32 v0, s24, v45
	ds_load_u16 v0, v0 offset:27378
	s_wait_dscnt 0x1
	v_dual_ashrrev_i32 v2, s20, v2 :: v_dual_ashrrev_i32 v3, s20, v3
	s_delay_alu instid0(VALU_DEP_1)
	v_lshlrev_b32_e32 v3, 2, v3
	s_wait_dscnt 0x0
	v_lshrrev_b16 v1, 8, v0
	v_bfe_i32 v227, v0, 0, 8
	v_add_nc_u32_e32 v0, 0x3180, v4
	v_and_b32_e32 v3, 0x4040404, v3
	s_delay_alu instid0(VALU_DEP_4) | instskip(SKIP_2) | instid1(VALU_DEP_1)
	v_bfe_i32 v128, v1, 0, 8
	ds_load_2addr_b32 v[0:1], v0 offset1:1
	v_lshlrev_b32_e32 v2, 2, v2
	v_and_b32_e32 v2, 0x4040404, v2
	s_delay_alu instid0(VALU_DEP_1) | instskip(SKIP_3) | instid1(VALU_DEP_1)
	v_dual_lshrrev_b32 v173, 16, v2 :: v_dual_lshrrev_b32 v175, 24, v2
	v_lshrrev_b16 v176, 8, v2
	s_wait_dscnt 0x0
	v_ashrrev_i32_e32 v0, s22, v0
	v_and_b32_e32 v5, 0x3030303, v0
	v_bfe_u32 v0, v0, 24, 2
	s_delay_alu instid0(VALU_DEP_2) | instskip(NEXT) | instid1(VALU_DEP_2)
	v_lshrrev_b32_e32 v6, 16, v5
	v_sub_nc_u16 v232, v0, v175
	v_ashrrev_i32_e32 v0, s22, v1
	v_sub_nc_u16 v234, v5, v2
	v_lshrrev_b16 v7, 8, v5
	v_sub_nc_u16 v233, v6, v173
	v_lshrrev_b32_e32 v6, 24, v3
	v_bfe_u32 v1, v0, 24, 2
	v_and_b32_e32 v0, 0x3030303, v0
	v_sub_nc_u16 v231, v7, v176
	v_lshrrev_b32_e32 v7, 16, v3
	v_lshrrev_b16 v173, 8, v3
	v_sub_nc_u16 v238, v1, v6
	v_lshrrev_b32_e32 v2, 16, v0
	v_lshrrev_b16 v5, 8, v0
	v_sub_nc_u16 v235, v0, v3
	v_add_nc_u32_e32 v0, 0x3188, v4
	v_bfe_i32 v232, v232, 0, 16
	v_sub_nc_u16 v237, v2, v7
	ds_load_2addr_b32 v[2:3], v95 offset0:2 offset1:3
	v_sub_nc_u16 v236, v5, v173
	ds_load_2addr_b32 v[0:1], v0 offset1:1
	v_bfe_i32 v231, v231, 0, 16
	v_bfe_i32 v205, v237, 0, 8
	;; [unrolled: 1-line block ×3, first 2 shown]
	s_wait_dscnt 0x1
	v_dual_ashrrev_i32 v2, s20, v2 :: v_dual_ashrrev_i32 v3, s20, v3
	s_wait_dscnt 0x0
	s_delay_alu instid0(VALU_DEP_1) | instskip(NEXT) | instid1(VALU_DEP_2)
	v_dual_ashrrev_i32 v0, s22, v0 :: v_dual_lshlrev_b32 v2, 2, v2
	v_lshlrev_b32_e32 v3, 2, v3
	s_delay_alu instid0(VALU_DEP_2) | instskip(SKIP_1) | instid1(VALU_DEP_4)
	v_bfe_u32 v5, v0, 24, 2
	v_and_b32_e32 v0, 0x3030303, v0
	v_and_b32_e32 v2, 0x4040404, v2
	s_delay_alu instid0(VALU_DEP_4) | instskip(NEXT) | instid1(VALU_DEP_3)
	v_and_b32_e32 v3, 0x4040404, v3
	v_lshrrev_b32_e32 v6, 16, v0
	v_lshrrev_b16 v7, 8, v0
	s_delay_alu instid0(VALU_DEP_4) | instskip(SKIP_3) | instid1(VALU_DEP_3)
	v_sub_nc_u16 v239, v0, v2
	v_dual_ashrrev_i32 v0, s22, v1 :: v_dual_lshrrev_b32 v173, 24, v2
	v_lshrrev_b32_e32 v175, 16, v2
	v_lshrrev_b16 v176, 8, v2
	v_bfe_u32 v1, v0, 24, 2
	v_and_b32_e32 v0, 0x3030303, v0
	s_delay_alu instid0(VALU_DEP_4)
	v_sub_nc_u16 v241, v6, v175
	v_sub_nc_u16 v242, v5, v173
	v_lshrrev_b32_e32 v6, 24, v3
	v_sub_nc_u16 v240, v7, v176
	v_lshrrev_b32_e32 v2, 16, v0
	v_lshrrev_b16 v5, 8, v0
	v_sub_nc_u16 v243, v0, v3
	v_add_nc_u32_e32 v0, 0x3190, v4
	v_lshrrev_b32_e32 v7, 16, v3
	v_sub_nc_u16 v246, v1, v6
	v_lshrrev_b16 v173, 8, v3
	ds_load_2addr_b32 v[0:1], v0 offset1:1
	v_sub_nc_u16 v245, v2, v7
	ds_load_2addr_b32 v[2:3], v95 offset0:4 offset1:5
	v_sub_nc_u16 v244, v5, v173
	s_wait_dscnt 0x0
	v_dual_ashrrev_i32 v0, s22, v0 :: v_dual_ashrrev_i32 v2, s20, v2
	v_ashrrev_i32_e32 v3, s20, v3
	s_delay_alu instid0(VALU_DEP_2) | instskip(SKIP_1) | instid1(VALU_DEP_3)
	v_and_b32_e32 v5, 0x3030303, v0
	v_bfe_u32 v0, v0, 24, 2
	v_dual_lshlrev_b32 v2, 2, v2 :: v_dual_lshlrev_b32 v3, 2, v3
	s_delay_alu instid0(VALU_DEP_3) | instskip(SKIP_1) | instid1(VALU_DEP_3)
	v_lshrrev_b32_e32 v6, 16, v5
	v_lshrrev_b16 v7, 8, v5
	v_and_b32_e32 v2, 0x4040404, v2
	s_delay_alu instid0(VALU_DEP_4) | instskip(NEXT) | instid1(VALU_DEP_2)
	v_and_b32_e32 v3, 0x4040404, v3
	v_dual_lshrrev_b32 v173, 16, v2 :: v_dual_lshrrev_b32 v175, 24, v2
	v_lshrrev_b16 v176, 8, v2
	v_sub_nc_u16 v250, v5, v2
	s_delay_alu instid0(VALU_DEP_3) | instskip(NEXT) | instid1(VALU_DEP_4)
	v_sub_nc_u16 v249, v6, v173
	v_sub_nc_u16 v248, v0, v175
	v_dual_ashrrev_i32 v0, s22, v1 :: v_dual_lshrrev_b32 v6, 24, v3
	v_sub_nc_u16 v247, v7, v176
	v_lshrrev_b32_e32 v7, 16, v3
	v_lshrrev_b16 v173, 8, v3
	s_delay_alu instid0(VALU_DEP_4) | instskip(SKIP_2) | instid1(VALU_DEP_3)
	v_bfe_u32 v1, v0, 24, 2
	v_and_b32_e32 v0, 0x3030303, v0
	v_bfe_i32 v194, v249, 0, 8
	v_sub_nc_u16 v254, v1, v6
	s_delay_alu instid0(VALU_DEP_3) | instskip(SKIP_3) | instid1(VALU_DEP_4)
	v_lshrrev_b32_e32 v2, 16, v0
	v_lshrrev_b16 v5, 8, v0
	v_sub_nc_u16 v251, v0, v3
	v_add_nc_u32_e32 v0, 0x3198, v4
	v_sub_nc_u16 v253, v2, v7
	ds_load_2addr_b32 v[2:3], v95 offset0:6 offset1:7
	v_sub_nc_u16 v252, v5, v173
	ds_load_2addr_b32 v[0:1], v0 offset1:1
	s_wait_dscnt 0x1
	v_dual_ashrrev_i32 v2, s20, v2 :: v_dual_ashrrev_i32 v3, s20, v3
	s_wait_dscnt 0x0
	v_ashrrev_i32_e32 v0, s22, v0
	s_add_co_i32 s20, s20, 1
	s_cmp_lt_u32 s21, 22
	v_dual_lshlrev_b32 v2, 2, v2 :: v_dual_lshlrev_b32 v3, 2, v3
	s_delay_alu instid0(VALU_DEP_2) | instskip(SKIP_1) | instid1(VALU_DEP_3)
	v_bfe_u32 v4, v0, 24, 2
	v_and_b32_e32 v0, 0x3030303, v0
	v_and_b32_e32 v2, 0x4040404, v2
	s_delay_alu instid0(VALU_DEP_4) | instskip(NEXT) | instid1(VALU_DEP_3)
	v_and_b32_e32 v3, 0x4040404, v3
	v_lshrrev_b32_e32 v5, 16, v0
	v_lshrrev_b16 v6, 8, v0
	s_delay_alu instid0(VALU_DEP_4) | instskip(SKIP_3) | instid1(VALU_DEP_3)
	v_sub_nc_u16 v255, v0, v2
	v_dual_ashrrev_i32 v0, s22, v1 :: v_dual_lshrrev_b32 v7, 24, v2
	v_lshrrev_b32_e32 v95, 16, v2
	v_lshrrev_b16 v173, 8, v2
	v_bfe_u32 v1, v0, 24, 2
	v_and_b32_e32 v0, 0x3030303, v0
	s_set_vgpr_msb 64                       ;  msbs: dst=1 src0=0 src1=0 src2=0
	v_sub_nc_u16 v1 /*v257*/, v5, v95
	v_sub_nc_u16 v0 /*v256*/, v6, v173
	;; [unrolled: 1-line block ×3, first 2 shown]
	s_set_vgpr_msb 0                        ;  msbs: dst=0 src0=0 src1=0 src2=0
	v_dual_lshrrev_b32 v5, 24, v3 :: v_dual_lshrrev_b32 v6, 16, v3
	v_lshrrev_b32_e32 v2, 16, v0
	v_lshrrev_b16 v4, 8, v0
	v_lshrrev_b16 v7, 8, v3
	v_sub_nc_u16 v175, v0, v3
	v_add3_u32 v0, s25, v107, v108
	v_sub_nc_u16 v177, v2, v6
	v_sub_nc_u16 v178, v1, v5
	;; [unrolled: 1-line block ×3, first 2 shown]
	ds_load_b32 v95, v0
	ds_load_b128 v[4:7], v89
	ds_load_b128 v[0:3], v89 offset:16
	v_dual_add_nc_u32 v173, s24, v43 :: v_dual_bitop2_b32 v165, v166, v165 bitop3:0x54
	v_perm_b32 v166, v208, v208, 0xc0c0c01
	v_add_nc_u32_e32 v89, 32, v89
	ds_load_u16 v139, v139 offset:25330
	ds_load_u16 v150, v150 offset:26354
	s_mov_b32 s24, s21
	s_wait_dscnt 0x3
	s_set_vgpr_msb 64                       ;  msbs: dst=1 src0=0 src1=0 src2=0
	v_lshrrev_b16 v3 /*v259*/, 8, v4
	v_bfe_i32 v9 /*v265*/, v4, 0, 8
	s_set_vgpr_msb 0                        ;  msbs: dst=0 src0=0 src1=0 src2=0
	v_perm_b32 v202, v4, v4, 0xc0c0302
	s_set_vgpr_msb 64                       ;  msbs: dst=1 src0=0 src1=0 src2=0
	v_bfe_i32 v10 /*v266*/, v5, 0, 8
	s_set_vgpr_msb 0                        ;  msbs: dst=0 src0=0 src1=0 src2=0
	v_perm_b32 v204, v5, v5, 0xc030201
	s_set_vgpr_msb 0x41                     ;  msbs: dst=1 src0=1 src1=0 src2=0
	v_bfe_i32 v3 /*v259*/, v3 /*v259*/, 0, 8
	s_set_vgpr_msb 1                        ;  msbs: dst=0 src0=1 src1=0 src2=0
	v_mul_i32_i24_e32 v224, v9 /*v265*/, v224
	s_set_vgpr_msb 64                       ;  msbs: dst=1 src0=0 src1=0 src2=0
	v_lshrrev_b16 v4 /*v260*/, 8, v5
	v_ashrrev_i32_e32 v7 /*v263*/, 24, v4
	v_bfe_i32 v8 /*v264*/, v4, 16, 8
	s_set_vgpr_msb 1                        ;  msbs: dst=0 src0=1 src1=0 src2=0
	v_mul_i32_i24_e32 v209, v3 /*v259*/, v209
	v_mad_i32_i24 v224, v3 /*v259*/, v225, v224
	s_set_vgpr_msb 0                        ;  msbs: dst=0 src0=0 src1=0 src2=0
	v_bfe_i32 v225, v233, 0, 8
	v_ashrrev_i32_e32 v233, 24, v5
	s_set_vgpr_msb 1                        ;  msbs: dst=0 src0=1 src1=0 src2=0
	v_mul_i32_i24_e32 v195, v9 /*v265*/, v195
	v_mad_i32_i24 v167, v9 /*v265*/, v167, v209
	s_set_vgpr_msb 0                        ;  msbs: dst=0 src0=0 src1=0 src2=0
	v_dot4_i32_iu8 v201, v202, v201, v224 neg_lo:[1,1,0]
	v_perm_b32 v4, v5, v4, 0x5040302
	v_bfe_i32 v224, v234, 0, 8
	s_set_vgpr_msb 1                        ;  msbs: dst=0 src0=1 src1=0 src2=0
	v_bfe_i32 v234, v4 /*v260*/, 0, 8
	s_set_vgpr_msb 64                       ;  msbs: dst=1 src0=0 src1=0 src2=0
	v_bfe_i32 v4 /*v260*/, v5, 16, 8
	s_set_vgpr_msb 1                        ;  msbs: dst=0 src0=1 src1=0 src2=0
	v_mad_i32_i24 v201, v10 /*v266*/, v226, v201
	v_mad_i32_i24 v192, v3 /*v259*/, v192, v195
	s_set_vgpr_msb 0                        ;  msbs: dst=0 src0=0 src1=0 src2=0
	v_perm_b32 v5, v6, v5, 0x5040302
	s_set_vgpr_msb 64                       ;  msbs: dst=1 src0=0 src1=0 src2=0
	v_lshrrev_b16 v5 /*v261*/, 8, v6
	s_set_vgpr_msb 0                        ;  msbs: dst=0 src0=0 src1=0 src2=0
	v_bfe_i32 v226, v236, 0, 16
	v_dot4_i32_iu8 v201, v204, v203, v201 neg_lo:[1,1,0]
	v_bfe_i32 v203, v238, 0, 16
	v_bfe_i32 v236, v6, 0, 8
	v_dot4_i32_iu8 v187, v202, v187, v192 neg_lo:[1,1,0]
	v_mul_i32_i24_e32 v226, v226, v234
	s_set_vgpr_msb 1                        ;  msbs: dst=0 src0=1 src1=0 src2=0
	v_bfe_i32 v234, v5 /*v261*/, 0, 8
	s_set_vgpr_msb 0                        ;  msbs: dst=0 src0=0 src1=0 src2=0
	v_mul_i32_i24_e32 v203, v203, v233
	v_ashrrev_i32_e32 v233, 24, v6
	v_bfe_i32 v237, v6, 16, 8
	s_set_vgpr_msb 1                        ;  msbs: dst=0 src0=1 src1=0 src2=0
	v_mad_i32_i24 v187, v10 /*v266*/, v197, v187
	s_set_vgpr_msb 0                        ;  msbs: dst=0 src0=0 src1=0 src2=0
	v_perm_b32 v6, v6, v6, 0xc030201
	v_bfe_i32 v172, v7, 0, 8
	s_set_vgpr_msb 64                       ;  msbs: dst=1 src0=0 src1=0 src2=0
	v_lshrrev_b16 v6 /*v262*/, 8, v7
	s_set_vgpr_msb 4                        ;  msbs: dst=0 src0=0 src1=1 src2=0
	v_mul_i32_i24_e32 v231, v231, v3 /*v259*/
	v_mul_i32_i24_e32 v235, v235, v10 /*v266*/
	;; [unrolled: 1-line block ×3, first 2 shown]
	v_bfe_i32 v171, v7, 16, 8
	s_set_vgpr_msb 1                        ;  msbs: dst=0 src0=1 src1=0 src2=0
	v_bfe_i32 v169, v6 /*v262*/, 0, 8
	s_set_vgpr_msb 0                        ;  msbs: dst=0 src0=0 src1=0 src2=0
	v_bfe_i32 v192, v244, 0, 16
	v_bfe_i32 v197, v247, 0, 16
	v_pk_mul_lo_u16 v174, v174, v237 op_sel_hi:[1,0]
	v_perm_b32 v202, v218, v218, 0xc0c0c01
	v_or_b32_e32 v151, v152, v151
	v_mul_i32_i24_e32 v169, v192, v169
	s_set_vgpr_msb 4                        ;  msbs: dst=0 src0=0 src1=1 src2=0
	v_mad_i32_i24 v192, v224, v9 /*v265*/, v235
	s_set_vgpr_msb 0                        ;  msbs: dst=0 src0=0 src1=0 src2=0
	v_perm_b32 v152, v184, v184, 0xc0c0c01
	s_wait_dscnt 0x2
	v_bfe_i32 v160, v3, 16, 8
	v_bfe_i32 v195, v248, 0, 16
	v_mul_i32_i24_e32 v144, v172, v144
	v_dot4_i32_iu8 v4, v4, v163, v167 neg_lo:[1,1,0]
	v_perm_b32 v163, v193, v191, 0xc05000c
	v_bfe_i32 v167, v239, 0, 8
	v_bfe_i32 v191, v245, 0, 8
	;; [unrolled: 1-line block ×3, first 2 shown]
	v_mul_i32_i24_e32 v129, v233, v129
	v_mul_i32_i24_e32 v140, v233, v140
	v_dot4_i32_iu8 v165, v5, v165, v4 neg_lo:[1,1,0]
	v_perm_b32 v5, v207, v206, 0xc05000c
	v_dual_ashrrev_i32 v168, 24, v7 :: v_dual_bitop2_b32 v163, v163, v164 bitop3:0x54
	v_mad_i32_i24 v4, v236, v200, v201
	v_mul_i32_i24_e32 v164, v234, v198
	v_mul_i32_i24_e32 v167, v167, v236
	;; [unrolled: 1-line block ×4, first 2 shown]
	s_set_vgpr_msb 4                        ;  msbs: dst=0 src0=0 src1=1 src2=0
	v_mad_i32_i24 v191, v225, v8 /*v264*/, v205
	v_bfe_i32 v206, v158, 8, 8
	v_bfe_i32 v158, v158, 0, 8
	;; [unrolled: 1-line block ×3, first 2 shown]
	s_set_vgpr_msb 0                        ;  msbs: dst=0 src0=0 src1=0 src2=0
	v_perm_b32 v201, v217, v216, 0xc05000c
	v_bfe_i32 v205, v251, 0, 8
	v_dual_ashrrev_i32 v198, 24, v1 :: v_dual_bitop2_b32 v5, v5, v166 bitop3:0x54
	v_dot4_i32_iu8 v163, v204, v163, v187 neg_lo:[1,1,0]
	v_bfe_i32 v187, v213, 0, 8
	v_bfe_i32 v166, v240, 0, 16
	v_add3_u32 v167, v192, v167, v193
	v_perm_b32 v192, v215, v214, 0xc0c0500
	v_perm_b32 v193, v0, v0, 0xc0c0302
	v_bfe_i32 v204, v252, 0, 16
	v_or_b32_e32 v201, v201, v202
	v_perm_b32 v202, v1, v1, 0xc030201
	v_mul_i32_i24_e32 v205, v205, v200
	v_dot4_i32_iu8 v4, v6, v5, v4 neg_lo:[1,1,0]
	v_bfe_i32 v5, v242, 0, 16
	v_bfe_i32 v6, v241, 0, 8
	v_mul_i32_i24_e32 v166, v166, v234
	v_mad_i32_i24 v163, v236, v199, v163
	v_bfe_i32 v199, v1, 16, 8
	v_mad_i32_i24 v4, v172, v187, v4
	v_perm_b32 v187, v211, v210, 0xc05000c
	v_mul_i32_i24_e32 v5, v5, v233
	v_mul_i32_i24_e32 v6, v6, v237
	v_add3_u32 v166, v231, v226, v166
	s_delay_alu instid0(VALU_DEP_4) | instskip(SKIP_1) | instid1(VALU_DEP_4)
	v_or_b32_e32 v187, v187, v188
	v_perm_b32 v188, v7, v7, 0xc030201
	v_add3_u32 v6, v191, v6, v171
	v_bfe_i32 v171, v0, 16, 8
	s_delay_alu instid0(VALU_DEP_3) | instskip(SKIP_1) | instid1(VALU_DEP_2)
	v_dot4_i32_iu8 v4, v188, v187, v4 neg_lo:[1,1,0]
	v_bfe_i32 v187, v246, 0, 16
	v_mul_lo_u32 v4, v4, v227
	s_delay_alu instid0(VALU_DEP_2) | instskip(SKIP_4) | instid1(VALU_DEP_2)
	v_mul_i32_i24_e32 v168, v187, v168
	s_set_vgpr_msb 4                        ;  msbs: dst=0 src0=0 src1=1 src2=0
	v_mad_i32_i24 v187, v232, v7 /*v263*/, v203
	v_bfe_i32 v203, v253, 0, 8
	s_set_vgpr_msb 0                        ;  msbs: dst=0 src0=0 src1=0 src2=0
	v_add3_u32 v5, v187, v5, v168
	v_bfe_i32 v187, v0, 0, 8
	s_delay_alu instid0(VALU_DEP_3)
	v_mul_i32_i24_e32 v199, v203, v199
	v_bfe_i32 v203, v2, 0, 8
	v_lshrrev_b16 v168, 8, v3
	v_add3_u32 v5, v166, v169, v5
	v_mul_i32_i24_e32 v191, v187, v228
	v_lshrrev_b16 v166, 8, v1
	v_mul_i32_i24_e32 v185, v187, v185
	v_ashrrev_i32_e32 v169, 24, v0
	v_bfe_i32 v159, v168, 0, 8
	v_mad_i32_i24 v134, v194, v171, v199
	v_add3_u32 v5, v167, v6, v5
	v_lshrrev_b16 v6, 8, v0
	v_bfe_i32 v166, v166, 0, 8
	v_perm_b32 v0, v1, v0, 0x5040302
	v_lshrrev_b16 v167, 8, v2
	v_perm_b32 v1, v2, v1, 0x5040302
	v_bfe_i32 v6, v6, 0, 8
	v_mul_i32_i24_e32 v166, v204, v166
	v_bfe_i32 v204, v2, 16, 8
	v_bfe_i32 v167, v167, 0, 8
	s_delay_alu instid0(VALU_DEP_4)
	v_mad_i32_i24 v191, v6, v229, v191
	v_mul_i32_i24_e32 v206, v6, v206
	v_mul_i32_i24_e32 v197, v197, v6
	v_mad_i32_i24 v6, v6, v182, v185
	v_pk_mul_lo_u16 v170, v170, v204 op_sel_hi:[1,0]
	v_dot4_i32_iu8 v191, v193, v192, v191 neg_lo:[1,1,0]
	v_mad_i32_i24 v158, v187, v158, v206
	v_bfe_i32 v192, v250, 0, 8
	v_dot4_i32_iu8 v6, v193, v179, v6 neg_lo:[1,1,0]
	v_bfe_i32 v179, v174, 0, 16
	v_ashrrev_i32_e32 v174, 16, v174
	v_bfe_i32 v132, v170, 0, 16
	v_mad_i32_i24 v191, v200, v230, v191
	v_dot4_i32_iu8 v0, v0, v151, v158 neg_lo:[1,1,0]
	v_perm_b32 v151, v183, v181, 0xc05000c
	v_mad_i32_i24 v6, v200, v186, v6
	v_ashrrev_i32_e32 v158, 24, v3
	v_add3_u32 v129, v165, v179, v129
	v_add3_u32 v163, v163, v164, v174
	v_dot4_i32_iu8 v191, v202, v201, v191 neg_lo:[1,1,0]
	v_bfe_i32 v201, v254, 0, 16
	v_dual_ashrrev_i32 v133, 16, v170 :: v_dual_bitop2_b32 v151, v151, v152 bitop3:0x54
	v_perm_b32 v152, v154, v153, 0xc0c0500
	v_perm_b32 v153, v162, v161, 0x5000c0c
	v_dot4_i32_iu8 v7, v7, v130, v129 neg_lo:[1,1,0]
	v_perm_b32 v129, v142, v141, 0xc05000c
	v_perm_b32 v130, v143, v143, 0xc0c0c01
	v_bfe_i32 v161, v3, 0, 8
	v_bfe_i32 v162, v223, 0, 8
	;; [unrolled: 1-line block ×3, first 2 shown]
	v_add3_u32 v140, v163, v140, v144
	v_mul_i32_i24_e32 v198, v201, v198
	v_ashrrev_i32_e32 v201, 24, v2
	v_dot4_i32_iu8 v6, v202, v151, v6 neg_lo:[1,1,0]
	v_or_b32_e32 v152, v153, v152
	v_mul_i32_i24_e32 v151, v167, v189
	v_or_b32_e32 v129, v129, v130
	v_bfe_i32 v130, v145, 8, 8
	v_perm_b32 v153, v221, v221, 0xc0c0c01
	v_perm_b32 v2, v2, v2, 0xc030201
	v_mul_i32_i24_e32 v154, v154, v203
	v_mad_i32_i24 v6, v203, v190, v6
	v_dot4_i32_iu8 v0, v1, v152, v0 neg_lo:[1,1,0]
	v_mul_i32_i24_e32 v131, v201, v131
	v_mul_i32_i24_e32 v130, v201, v130
	v_perm_b32 v152, v220, v219, 0xc05000c
	v_mad_i32_i24 v1, v203, v196, v191
	v_dot4_i32_iu8 v129, v188, v129, v140 neg_lo:[1,1,0]
	v_add3_u32 v6, v6, v151, v133
	v_add3_u32 v0, v0, v132, v131
	v_mul_i32_i24_e32 v131, v161, v149
	v_or_b32_e32 v152, v152, v153
	s_set_vgpr_msb 1                        ;  msbs: dst=0 src0=1 src1=0 src2=0
	v_bfe_i32 v153, v0 /*v256*/, 0, 16
	s_set_vgpr_msb 0                        ;  msbs: dst=0 src0=0 src1=0 src2=0
	v_bfe_i32 v132, v175, 0, 8
	v_mad_i32_i24 v133, v195, v169, v198
	v_add3_u32 v6, v6, v130, v131
	v_perm_b32 v130, v138, v137, 0xc0c0500
	v_perm_b32 v131, v136, v135, 0x5000c0c
	v_dot4_i32_iu8 v1, v2, v152, v1 neg_lo:[1,1,0]
	s_set_vgpr_msb 1                        ;  msbs: dst=0 src0=1 src1=0 src2=0
	v_bfe_i32 v2, v2 /*v258*/, 0, 16
	v_bfe_i32 v152, v1 /*v257*/, 0, 8
	s_set_vgpr_msb 0                        ;  msbs: dst=0 src0=0 src1=0 src2=0
	v_mul_i32_i24_e32 v153, v153, v167
	v_mul_i32_i24_e32 v132, v132, v161
	v_mad_i32_i24 v135, v192, v187, v205
	v_or_b32_e32 v130, v131, v130
	v_perm_b32 v131, v148, v148, 0xc0c0c01
	v_mul_i32_i24_e32 v2, v2, v201
	v_mul_i32_i24_e32 v152, v152, v204
	v_add3_u32 v136, v197, v166, v153
	v_add3_u32 v132, v135, v154, v132
	v_dot4_i32_iu8 v130, v3, v130, v0 neg_lo:[1,1,0]
	v_perm_b32 v0, v147, v146, 0xc05000c
	v_perm_b32 v3, v3, v3, 0xc030201
	s_delay_alu instid0(VALU_DEP_2) | instskip(SKIP_1) | instid1(VALU_DEP_2)
	v_or_b32_e32 v0, v0, v131
	v_perm_b32 v131, v157, v157, 0xc0c0c01
	v_dot4_i32_iu8 v6, v3, v0, v6 neg_lo:[1,1,0]
	v_mad_i32_i24 v0, v161, v162, v1
	v_perm_b32 v1, v156, v155, 0xc05000c
	s_delay_alu instid0(VALU_DEP_1) | instskip(NEXT) | instid1(VALU_DEP_1)
	v_or_b32_e32 v1, v1, v131
	v_dot4_i32_iu8 v131, v3, v1, v0 neg_lo:[1,1,0]
	v_bfe_i32 v0, v178, 0, 16
	v_bfe_i32 v1, v177, 0, 8
	;; [unrolled: 1-line block ×3, first 2 shown]
	s_delay_alu instid0(VALU_DEP_3) | instskip(NEXT) | instid1(VALU_DEP_3)
	v_mul_i32_i24_e32 v0, v0, v158
	v_mul_i32_i24_e32 v1, v1, v160
	s_delay_alu instid0(VALU_DEP_3) | instskip(NEXT) | instid1(VALU_DEP_3)
	v_mul_i32_i24_e32 v3, v3, v159
	v_add3_u32 v0, v133, v2, v0
	s_delay_alu instid0(VALU_DEP_3) | instskip(NEXT) | instid1(VALU_DEP_2)
	v_add3_u32 v1, v134, v152, v1
	v_add3_u32 v0, v136, v3, v0
	v_pk_mul_f32 v[2:3], v[90:91], v[94:95] op_sel_hi:[0,1]
	s_delay_alu instid0(VALU_DEP_2)
	v_add3_u32 v132, v132, v1, v0
	ds_load_u16 v0, v173 offset:28402
	s_wait_dscnt 0x2
	v_lshrrev_b16 v167, 8, v139
	s_wait_dscnt 0x1
	v_lshrrev_b16 v168, 8, v150
	v_bfe_i32 v150, v150, 0, 8
	v_bfe_i32 v139, v139, 0, 8
	;; [unrolled: 1-line block ×3, first 2 shown]
	s_delay_alu instid0(VALU_DEP_4) | instskip(NEXT) | instid1(VALU_DEP_4)
	v_bfe_i32 v168, v168, 0, 8
	v_mul_lo_u32 v129, v129, v150
	s_delay_alu instid0(VALU_DEP_4) | instskip(NEXT) | instid1(VALU_DEP_2)
	v_mul_lo_u32 v7, v7, v139
	v_mad_u32 v6, v6, v168, v129
	s_delay_alu instid0(VALU_DEP_2) | instskip(SKIP_3) | instid1(VALU_DEP_2)
	v_mad_u32 v7, v130, v167, v7
	s_wait_dscnt 0x0
	v_lshrrev_b16 v1, 8, v0
	v_bfe_i32 v0, v0, 0, 8
	v_bfe_i32 v133, v1, 0, 8
	s_delay_alu instid0(VALU_DEP_2)
	v_mul_lo_u32 v5, v5, v0
	v_pk_mul_f32 v[0:1], v[90:91], v[92:93] op_sel_hi:[0,1]
	v_mad_u32 v90, v131, v128, v4
	v_add_nc_u32_e32 v91, 4, v91
	v_cvt_f32_i32_e32 v4, v7
	v_mad_u32 v92, v132, v133, v5
	v_cvt_f32_i32_e32 v5, v6
	v_cvt_f32_i32_e32 v6, v90
	s_delay_alu instid0(VALU_DEP_2) | instskip(NEXT) | instid1(VALU_DEP_4)
	v_pk_fma_f32 v[18:19], v[0:1], v[4:5], v[18:19]
	v_cvt_f32_i32_e32 v7, v92
	s_delay_alu instid0(VALU_DEP_1)
	v_pk_fma_f32 v[20:21], v[2:3], v[6:7], v[20:21]
	s_cbranch_scc1 .LBB189_27
; %bb.28:                               ;   in Loop: Header=BB189_5 Depth=1
	s_or_b32 s1, s16, 0x180
	s_delay_alu instid0(SALU_CYCLE_1)
	s_cmp_ge_i32 s1, s11
	s_barrier_signal -1
	s_barrier_wait -1
	s_cbranch_scc1 .LBB189_4
; %bb.29:                               ;   in Loop: Header=BB189_5 Depth=1
	v_add_nc_u32_e32 v0, s17, v79
	s_delay_alu instid0(VALU_DEP_1) | instskip(SKIP_1) | instid1(SALU_CYCLE_1)
	v_cmp_gt_i32_e64 s1, s5, v0
	s_and_b32 s16, s0, s1
	s_and_saveexec_b32 s1, s16
	s_cbranch_execz .LBB189_31
; %bb.30:                               ;   in Loop: Header=BB189_5 Depth=1
	v_add_nc_u32_e32 v0, v22, v0
	s_delay_alu instid0(VALU_DEP_1)
	v_mad_nc_i64_i32 v[0:1], v0, 36, v[26:27]
	global_load_b32 v0, v[0:1], off offset:4
	s_wait_loadcnt 0x0
	ds_store_b32 v37, v0
.LBB189_31:                             ;   in Loop: Header=BB189_5 Depth=1
	s_or_b32 exec_lo, exec_lo, s1
	s_and_saveexec_b32 s16, vcc_lo
	s_cbranch_execz .LBB189_34
; %bb.32:                               ;   in Loop: Header=BB189_5 Depth=1
	v_or_b32_e32 v0, 12, v88
	s_delay_alu instid0(VALU_DEP_1) | instskip(SKIP_1) | instid1(SALU_CYCLE_1)
	v_cmp_gt_i32_e64 s1, s5, v0
	s_and_b32 s1, s0, s1
	s_and_b32 exec_lo, exec_lo, s1
	s_cbranch_execz .LBB189_34
; %bb.33:                               ;   in Loop: Header=BB189_5 Depth=1
	v_ashrrev_i32_e32 v89, 31, v88
	s_delay_alu instid0(VALU_DEP_1) | instskip(NEXT) | instid1(VALU_DEP_1)
	v_add_nc_u64_e32 v[0:1], v[22:23], v[88:89]
	v_mad_nc_u64_u32 v[2:3], v0, 36, s[2:3]
	s_delay_alu instid0(VALU_DEP_1)
	v_mad_i32_i24 v3, v1, 36, v3
	global_load_b32 v0, v[2:3], off offset:432
	s_wait_loadcnt 0x0
	v_cvt_f32_f16_e32 v0, v0
	ds_store_b32 v41, v0
.LBB189_34:                             ;   in Loop: Header=BB189_5 Depth=1
	s_or_b32 exec_lo, exec_lo, s16
	v_dual_mov_b32 v89, v35 :: v_dual_mov_b32 v94, v39
	s_mov_b32 s1, 24
	s_mov_b32 s22, 22
	;; [unrolled: 1-line block ×3, first 2 shown]
	s_wait_dscnt 0x0
	s_barrier_signal -1
	s_barrier_wait -1
.LBB189_35:                             ;   Parent Loop BB189_5 Depth=1
                                        ; =>  This Inner Loop Header: Depth=2
	s_add_co_i32 s17, s22, 2
	s_sub_co_i32 s20, s22, 22
	s_lshr_b32 s24, s17, 4
	s_and_b32 s21, s17, 0x3ffffff8
	s_and_b32 s23, s1, -16
	v_lshl_add_u32 v4, s21, 2, v81
	s_lshl_b32 s21, s24, 5
	s_add_co_i32 s22, s22, s23
	s_addk_co_i32 s21, 0x4200
	s_lshl_b32 s23, s24, 2
	v_add3_u32 v90, s21, v83, v85
	ds_load_2addr_b32 v[0:1], v4 offset1:1
	s_addk_co_i32 s23, 0x7380
	ds_load_b32 v88, v94
	s_add_co_i32 s1, s1, 2
	ds_load_2addr_b32 v[2:3], v90 offset1:1
	v_dual_add_nc_u32 v138, s22, v49 :: v_dual_add_nc_u32 v94, 4, v94
	s_wait_dscnt 0x0
	v_dual_ashrrev_i32 v0, s20, v0 :: v_dual_ashrrev_i32 v2, s16, v2
	s_delay_alu instid0(VALU_DEP_1) | instskip(NEXT) | instid1(VALU_DEP_2)
	v_and_b32_e32 v5, 0x3030303, v0
	v_dual_ashrrev_i32 v3, s16, v3 :: v_dual_lshlrev_b32 v2, 2, v2
	s_delay_alu instid0(VALU_DEP_2) | instskip(SKIP_2) | instid1(VALU_DEP_4)
	v_lshrrev_b32_e32 v7, 16, v5
	v_bfe_u32 v0, v0, 24, 2
	v_lshrrev_b16 v6, 8, v5
	v_lshlrev_b32_e32 v3, 2, v3
	v_and_b32_e32 v2, 0x4040404, v2
	s_delay_alu instid0(VALU_DEP_2) | instskip(NEXT) | instid1(VALU_DEP_2)
	v_and_b32_e32 v3, 0x4040404, v3
	v_dual_lshrrev_b32 v92, 24, v2 :: v_dual_lshrrev_b32 v93, 16, v2
	v_lshrrev_b16 v91, 8, v2
	s_delay_alu instid0(VALU_DEP_2) | instskip(NEXT) | instid1(VALU_DEP_3)
	v_sub_nc_u16 v0, v0, v92
	v_sub_nc_u16 v162, v7, v93
	v_lshrrev_b32_e32 v7, 24, v3
	s_delay_alu instid0(VALU_DEP_3) | instskip(NEXT) | instid1(VALU_DEP_1)
	v_lshlrev_b16 v0, 8, v0
	v_bitop3_b16 v163, v162, v0, 0xff bitop3:0xec
	v_sub_nc_u16 v0, v5, v2
	v_sub_nc_u16 v2, v6, v91
	v_lshrrev_b32_e32 v91, 16, v3
	v_lshrrev_b16 v6, 8, v3
	v_perm_b32 v162, v163, v162, 0xc0c0500
	s_delay_alu instid0(VALU_DEP_4) | instskip(NEXT) | instid1(VALU_DEP_1)
	v_lshlrev_b16 v2, 8, v2
	v_bitop3_b16 v0, v0, v2, 0xff bitop3:0xec
	s_delay_alu instid0(VALU_DEP_1) | instskip(SKIP_1) | instid1(VALU_DEP_1)
	v_and_b32_e32 v166, 0xffff, v0
	v_ashrrev_i32_e32 v0, s20, v1
	v_and_b32_e32 v1, 0x3030303, v0
	v_bfe_u32 v0, v0, 24, 2
	s_delay_alu instid0(VALU_DEP_2) | instskip(NEXT) | instid1(VALU_DEP_2)
	v_lshrrev_b32_e32 v5, 16, v1
	v_sub_nc_u16 v0, v0, v7
	v_lshrrev_b16 v2, 8, v1
	v_sub_nc_u16 v167, v1, v3
	s_delay_alu instid0(VALU_DEP_4) | instskip(NEXT) | instid1(VALU_DEP_4)
	v_sub_nc_u16 v164, v5, v91
	v_lshlrev_b16 v0, 8, v0
	s_delay_alu instid0(VALU_DEP_1) | instskip(SKIP_4) | instid1(VALU_DEP_1)
	v_bitop3_b16 v165, v164, v0, 0xff bitop3:0xec
	v_sub_nc_u16 v0, v2, v6
	ds_load_2addr_b32 v[2:3], v90 offset0:2 offset1:3
	v_perm_b32 v164, v165, v164, 0xc0c0500
	v_lshlrev_b16 v0, 8, v0
	v_bitop3_b16 v168, v167, v0, 0xff bitop3:0xec
	ds_load_2addr_b32 v[0:1], v4 offset0:2 offset1:3
	v_perm_b32 v163, v168, v167, 0x5000c0c
	s_wait_dscnt 0x1
	v_dual_ashrrev_i32 v2, s16, v2 :: v_dual_ashrrev_i32 v3, s16, v3
	s_delay_alu instid0(VALU_DEP_1) | instskip(SKIP_2) | instid1(VALU_DEP_2)
	v_dual_lshlrev_b32 v2, 2, v2 :: v_dual_lshlrev_b32 v3, 2, v3
	s_wait_dscnt 0x0
	v_ashrrev_i32_e32 v0, s20, v0
	v_and_b32_e32 v2, 0x4040404, v2
	s_delay_alu instid0(VALU_DEP_3) | instskip(NEXT) | instid1(VALU_DEP_3)
	v_and_b32_e32 v3, 0x4040404, v3
	v_and_b32_e32 v5, 0x3030303, v0
	v_bfe_u32 v0, v0, 24, 2
	s_delay_alu instid0(VALU_DEP_4) | instskip(SKIP_1) | instid1(VALU_DEP_4)
	v_dual_lshrrev_b32 v91, 16, v2 :: v_dual_lshrrev_b32 v92, 24, v2
	v_lshrrev_b16 v93, 8, v2
	v_lshrrev_b16 v7, 8, v5
	v_lshrrev_b32_e32 v6, 16, v5
	v_sub_nc_u16 v170, v5, v2
	v_sub_nc_u16 v0, v0, v92
	s_delay_alu instid0(VALU_DEP_4) | instskip(SKIP_2) | instid1(VALU_DEP_4)
	v_sub_nc_u16 v2, v7, v93
	v_lshrrev_b32_e32 v7, 24, v3
	v_sub_nc_u16 v173, v6, v91
	v_lshlrev_b16 v128, 8, v0
	v_ashrrev_i32_e32 v0, s20, v1
	v_lshlrev_b16 v2, 8, v2
	v_lshrrev_b32_e32 v91, 16, v3
	v_lshrrev_b16 v6, 8, v3
	v_bfe_i32 v173, v173, 0, 8
	v_and_b32_e32 v1, 0x3030303, v0
	v_bfe_u32 v0, v0, 24, 2
	v_bitop3_b16 v171, v170, v2, 0xff bitop3:0xec
	v_bfe_i32 v128, v128, 8, 8
	s_delay_alu instid0(VALU_DEP_4) | instskip(NEXT) | instid1(VALU_DEP_4)
	v_lshrrev_b32_e32 v5, 16, v1
	v_sub_nc_u16 v0, v0, v7
	v_lshrrev_b16 v2, 8, v1
	v_sub_nc_u16 v131, v1, v3
	v_perm_b32 v165, v171, v170, 0x5000c0c
	v_sub_nc_u16 v129, v5, v91
	v_lshlrev_b16 v0, 8, v0
	s_delay_alu instid0(VALU_DEP_1) | instskip(SKIP_4) | instid1(VALU_DEP_1)
	v_bitop3_b16 v130, v129, v0, 0xff bitop3:0xec
	v_sub_nc_u16 v0, v2, v6
	ds_load_2addr_b32 v[2:3], v90 offset0:4 offset1:5
	v_perm_b32 v129, v130, v129, 0x5000c0c
	v_lshlrev_b16 v0, 8, v0
	v_bitop3_b16 v132, v131, v0, 0xff bitop3:0xec
	ds_load_2addr_b32 v[0:1], v4 offset0:4 offset1:5
	v_perm_b32 v131, v132, v131, 0xc0c0500
	s_wait_dscnt 0x1
	s_delay_alu instid0(VALU_DEP_1) | instskip(NEXT) | instid1(VALU_DEP_1)
	v_dual_ashrrev_i32 v2, s16, v2 :: v_dual_bitop2_b32 v129, v129, v131 bitop3:0x54
	v_dual_ashrrev_i32 v3, s16, v3 :: v_dual_lshlrev_b32 v2, 2, v2
	s_wait_dscnt 0x0
	s_delay_alu instid0(VALU_DEP_1) | instskip(NEXT) | instid1(VALU_DEP_2)
	v_dual_lshlrev_b32 v3, 2, v3 :: v_dual_ashrrev_i32 v0, s20, v0
	v_and_b32_e32 v2, 0x4040404, v2
	s_delay_alu instid0(VALU_DEP_2) | instskip(NEXT) | instid1(VALU_DEP_3)
	v_and_b32_e32 v3, 0x4040404, v3
	v_and_b32_e32 v5, 0x3030303, v0
	v_bfe_u32 v0, v0, 24, 2
	s_delay_alu instid0(VALU_DEP_4) | instskip(SKIP_1) | instid1(VALU_DEP_4)
	v_dual_lshrrev_b32 v92, 24, v2 :: v_dual_lshrrev_b32 v93, 16, v2
	v_lshrrev_b16 v91, 8, v2
	v_lshrrev_b32_e32 v7, 16, v5
	v_lshrrev_b16 v6, 8, v5
	s_delay_alu instid0(VALU_DEP_4) | instskip(NEXT) | instid1(VALU_DEP_3)
	v_sub_nc_u16 v0, v0, v92
	v_sub_nc_u16 v150, v7, v93
	v_lshrrev_b32_e32 v7, 24, v3
	s_delay_alu instid0(VALU_DEP_3) | instskip(NEXT) | instid1(VALU_DEP_1)
	v_lshlrev_b16 v0, 8, v0
	v_bitop3_b16 v151, v150, v0, 0xff bitop3:0xec
	v_sub_nc_u16 v0, v5, v2
	v_sub_nc_u16 v2, v6, v91
	v_lshrrev_b32_e32 v91, 16, v3
	v_lshrrev_b16 v6, 8, v3
	v_perm_b32 v150, v151, v150, 0xc0c0500
	s_delay_alu instid0(VALU_DEP_4) | instskip(NEXT) | instid1(VALU_DEP_1)
	v_lshlrev_b16 v2, 8, v2
	v_bitop3_b16 v0, v0, v2, 0xff bitop3:0xec
	s_delay_alu instid0(VALU_DEP_1) | instskip(SKIP_1) | instid1(VALU_DEP_1)
	v_and_b32_e32 v157, 0xffff, v0
	v_ashrrev_i32_e32 v0, s20, v1
	v_and_b32_e32 v1, 0x3030303, v0
	v_bfe_u32 v0, v0, 24, 2
	s_delay_alu instid0(VALU_DEP_2) | instskip(NEXT) | instid1(VALU_DEP_2)
	v_lshrrev_b32_e32 v5, 16, v1
	v_sub_nc_u16 v0, v0, v7
	v_lshrrev_b16 v2, 8, v1
	v_sub_nc_u16 v158, v1, v3
	s_delay_alu instid0(VALU_DEP_4) | instskip(NEXT) | instid1(VALU_DEP_4)
	v_sub_nc_u16 v152, v5, v91
	v_lshlrev_b16 v0, 8, v0
	s_delay_alu instid0(VALU_DEP_1) | instskip(SKIP_3) | instid1(VALU_DEP_1)
	v_bitop3_b16 v153, v152, v0, 0xff bitop3:0xec
	v_sub_nc_u16 v0, v2, v6
	ds_load_2addr_b32 v[2:3], v90 offset0:6 offset1:7
	v_lshlrev_b16 v0, 8, v0
	v_bitop3_b16 v159, v158, v0, 0xff bitop3:0xec
	ds_load_2addr_b32 v[0:1], v4 offset0:6 offset1:7
	v_perm_b32 v151, v159, v158, 0x5000c0c
	s_wait_dscnt 0x1
	v_dual_ashrrev_i32 v2, s16, v2 :: v_dual_ashrrev_i32 v3, s16, v3
	s_delay_alu instid0(VALU_DEP_1) | instskip(SKIP_2) | instid1(VALU_DEP_2)
	v_dual_lshlrev_b32 v2, 2, v2 :: v_dual_lshlrev_b32 v3, 2, v3
	s_wait_dscnt 0x0
	v_ashrrev_i32_e32 v0, s20, v0
	v_and_b32_e32 v2, 0x4040404, v2
	s_delay_alu instid0(VALU_DEP_3) | instskip(NEXT) | instid1(VALU_DEP_3)
	v_and_b32_e32 v3, 0x4040404, v3
	v_and_b32_e32 v5, 0x3030303, v0
	v_bfe_u32 v0, v0, 24, 2
	s_delay_alu instid0(VALU_DEP_4) | instskip(SKIP_1) | instid1(VALU_DEP_4)
	v_dual_lshrrev_b32 v90, 16, v2 :: v_dual_lshrrev_b32 v91, 24, v2
	v_lshrrev_b16 v92, 8, v2
	v_lshrrev_b16 v7, 8, v5
	v_lshrrev_b32_e32 v6, 16, v5
	v_sub_nc_u16 v160, v5, v2
	v_sub_nc_u16 v0, v0, v91
	v_add3_u32 v91, s21, v97, v98
	v_sub_nc_u16 v2, v7, v92
	v_lshrrev_b32_e32 v7, 24, v3
	v_sub_nc_u16 v169, v6, v90
	v_lshlrev_b16 v133, 8, v0
	v_ashrrev_i32_e32 v0, s20, v1
	v_lshlrev_b16 v2, 8, v2
	v_lshrrev_b32_e32 v90, 16, v3
	v_lshrrev_b16 v6, 8, v3
	v_bfe_i32 v169, v169, 0, 8
	v_and_b32_e32 v1, 0x3030303, v0
	v_bfe_u32 v0, v0, 24, 2
	v_bitop3_b16 v161, v160, v2, 0xff bitop3:0xec
	v_bfe_i32 v130, v133, 8, 8
	s_delay_alu instid0(VALU_DEP_4) | instskip(NEXT) | instid1(VALU_DEP_4)
	v_lshrrev_b32_e32 v5, 16, v1
	v_sub_nc_u16 v0, v0, v7
	v_lshrrev_b16 v2, 8, v1
	v_sub_nc_u16 v136, v1, v3
	s_delay_alu instid0(VALU_DEP_4) | instskip(NEXT) | instid1(VALU_DEP_4)
	v_sub_nc_u16 v134, v5, v90
	v_lshlrev_b16 v0, 8, v0
	s_delay_alu instid0(VALU_DEP_1) | instskip(SKIP_3) | instid1(VALU_DEP_1)
	v_bitop3_b16 v135, v134, v0, 0xff bitop3:0xec
	v_sub_nc_u16 v0, v2, v6
	ds_load_2addr_b32 v[2:3], v91 offset1:1
	v_lshlrev_b16 v0, 8, v0
	v_bitop3_b16 v137, v136, v0, 0xff bitop3:0xec
	v_add3_u32 v0, s23, v127, v96
	ds_load_b32 v90, v0
	v_add_nc_u32_e32 v0, 0x1080, v4
	s_wait_dscnt 0x1
	v_ashrrev_i32_e32 v2, s16, v2
	ds_load_2addr_b32 v[0:1], v0 offset1:1
	v_dual_ashrrev_i32 v3, s16, v3 :: v_dual_lshlrev_b32 v2, 2, v2
	s_delay_alu instid0(VALU_DEP_1) | instskip(NEXT) | instid1(VALU_DEP_2)
	v_lshlrev_b32_e32 v3, 2, v3
	v_and_b32_e32 v2, 0x4040404, v2
	s_delay_alu instid0(VALU_DEP_2) | instskip(NEXT) | instid1(VALU_DEP_2)
	v_and_b32_e32 v3, 0x4040404, v3
	v_dual_lshrrev_b32 v93, 24, v2 :: v_dual_lshrrev_b32 v95, 16, v2
	v_lshrrev_b16 v92, 8, v2
	s_wait_dscnt 0x0
	v_ashrrev_i32_e32 v0, s20, v0
	s_delay_alu instid0(VALU_DEP_1) | instskip(SKIP_1) | instid1(VALU_DEP_2)
	v_and_b32_e32 v5, 0x3030303, v0
	v_bfe_u32 v0, v0, 24, 2
	v_lshrrev_b32_e32 v7, 16, v5
	s_delay_alu instid0(VALU_DEP_2) | instskip(SKIP_2) | instid1(VALU_DEP_4)
	v_sub_nc_u16 v0, v0, v93
	v_lshrrev_b16 v6, 8, v5
	v_sub_nc_u16 v194, v5, v2
	v_sub_nc_u16 v186, v7, v95
	s_delay_alu instid0(VALU_DEP_4) | instskip(SKIP_1) | instid1(VALU_DEP_4)
	v_lshlrev_b16 v0, 8, v0
	v_lshrrev_b32_e32 v7, 24, v3
	v_bfe_i32 v194, v194, 0, 8
	s_delay_alu instid0(VALU_DEP_3) | instskip(SKIP_3) | instid1(VALU_DEP_4)
	v_bitop3_b16 v187, v186, v0, 0xff bitop3:0xec
	v_sub_nc_u16 v0, v6, v92
	v_lshrrev_b32_e32 v92, 16, v3
	v_lshrrev_b16 v6, 8, v3
	v_perm_b32 v186, v187, v186, 0xc0c0500
	s_delay_alu instid0(VALU_DEP_4) | instskip(SKIP_1) | instid1(VALU_DEP_2)
	v_lshlrev_b16 v191, 8, v0
	v_ashrrev_i32_e32 v0, s20, v1
	v_bfe_i32 v191, v191, 8, 8
	s_delay_alu instid0(VALU_DEP_2) | instskip(SKIP_1) | instid1(VALU_DEP_2)
	v_and_b32_e32 v1, 0x3030303, v0
	v_bfe_u32 v0, v0, 24, 2
	v_lshrrev_b32_e32 v5, 16, v1
	s_delay_alu instid0(VALU_DEP_2) | instskip(SKIP_2) | instid1(VALU_DEP_4)
	v_sub_nc_u16 v0, v0, v7
	v_lshrrev_b16 v2, 8, v1
	v_sub_nc_u16 v196, v1, v3
	v_sub_nc_u16 v190, v5, v92
	s_delay_alu instid0(VALU_DEP_4) | instskip(NEXT) | instid1(VALU_DEP_3)
	v_lshlrev_b16 v0, 8, v0
	v_bfe_i32 v196, v196, 0, 8
	s_delay_alu instid0(VALU_DEP_2)
	v_bitop3_b16 v192, v190, v0, 0xff bitop3:0xec
	v_sub_nc_u16 v0, v2, v6
	ds_load_2addr_b32 v[2:3], v91 offset0:2 offset1:3
	v_lshlrev_b16 v193, 8, v0
	v_add_nc_u32_e32 v0, 0x1088, v4
	ds_load_2addr_b32 v[0:1], v0 offset1:1
	s_wait_dscnt 0x1
	v_dual_ashrrev_i32 v2, s16, v2 :: v_dual_ashrrev_i32 v3, s16, v3
	s_delay_alu instid0(VALU_DEP_1) | instskip(SKIP_2) | instid1(VALU_DEP_2)
	v_dual_lshlrev_b32 v2, 2, v2 :: v_dual_lshlrev_b32 v3, 2, v3
	s_wait_dscnt 0x0
	v_ashrrev_i32_e32 v0, s20, v0
	v_and_b32_e32 v2, 0x4040404, v2
	s_delay_alu instid0(VALU_DEP_3) | instskip(NEXT) | instid1(VALU_DEP_3)
	v_and_b32_e32 v3, 0x4040404, v3
	v_and_b32_e32 v5, 0x3030303, v0
	v_bfe_u32 v0, v0, 24, 2
	s_delay_alu instid0(VALU_DEP_4) | instskip(SKIP_1) | instid1(VALU_DEP_4)
	v_dual_lshrrev_b32 v92, 16, v2 :: v_dual_lshrrev_b32 v95, 24, v2
	v_lshrrev_b16 v93, 8, v2
	v_lshrrev_b32_e32 v6, 16, v5
	v_lshrrev_b16 v7, 8, v5
	v_sub_nc_u16 v198, v5, v2
	v_sub_nc_u16 v0, v0, v95
	s_delay_alu instid0(VALU_DEP_4) | instskip(SKIP_2) | instid1(VALU_DEP_4)
	v_sub_nc_u16 v199, v6, v92
	v_lshrrev_b32_e32 v92, 16, v3
	v_lshrrev_b16 v6, 8, v3
	v_lshlrev_b16 v139, 8, v0
	v_sub_nc_u16 v0, v7, v93
	v_lshrrev_b32_e32 v7, 24, v3
	v_bfe_i32 v199, v199, 0, 8
	v_bfe_i32 v198, v198, 0, 8
	;; [unrolled: 1-line block ×3, first 2 shown]
	v_lshlrev_b16 v197, 8, v0
	v_ashrrev_i32_e32 v0, s20, v1
	v_perm_b32 v173, v199, v173, 0x5040100
	s_delay_alu instid0(VALU_DEP_3) | instskip(NEXT) | instid1(VALU_DEP_3)
	v_bfe_i32 v197, v197, 8, 8
	v_and_b32_e32 v1, 0x3030303, v0
	v_bfe_u32 v0, v0, 24, 2
	s_delay_alu instid0(VALU_DEP_2) | instskip(NEXT) | instid1(VALU_DEP_2)
	v_lshrrev_b32_e32 v5, 16, v1
	v_sub_nc_u16 v0, v0, v7
	v_lshrrev_b16 v2, 8, v1
	v_sub_nc_u16 v143, v1, v3
	s_delay_alu instid0(VALU_DEP_4) | instskip(NEXT) | instid1(VALU_DEP_4)
	v_sub_nc_u16 v140, v5, v92
	v_lshlrev_b16 v0, 8, v0
	s_delay_alu instid0(VALU_DEP_3) | instskip(NEXT) | instid1(VALU_DEP_2)
	v_bfe_i32 v143, v143, 0, 8
	v_bitop3_b16 v141, v140, v0, 0xff bitop3:0xec
	v_sub_nc_u16 v0, v2, v6
	ds_load_2addr_b32 v[2:3], v91 offset0:4 offset1:5
	v_lshlrev_b16 v142, 8, v0
	v_add_nc_u32_e32 v0, 0x1090, v4
	ds_load_2addr_b32 v[0:1], v0 offset1:1
	s_wait_dscnt 0x1
	v_dual_ashrrev_i32 v2, s16, v2 :: v_dual_ashrrev_i32 v3, s16, v3
	s_delay_alu instid0(VALU_DEP_1) | instskip(SKIP_2) | instid1(VALU_DEP_2)
	v_dual_lshlrev_b32 v2, 2, v2 :: v_dual_lshlrev_b32 v3, 2, v3
	s_wait_dscnt 0x0
	v_ashrrev_i32_e32 v0, s20, v0
	v_and_b32_e32 v2, 0x4040404, v2
	s_delay_alu instid0(VALU_DEP_3) | instskip(NEXT) | instid1(VALU_DEP_3)
	v_and_b32_e32 v3, 0x4040404, v3
	v_and_b32_e32 v5, 0x3030303, v0
	v_bfe_u32 v0, v0, 24, 2
	s_delay_alu instid0(VALU_DEP_4) | instskip(SKIP_1) | instid1(VALU_DEP_4)
	v_dual_lshrrev_b32 v93, 24, v2 :: v_dual_lshrrev_b32 v95, 16, v2
	v_lshrrev_b16 v92, 8, v2
	v_lshrrev_b32_e32 v7, 16, v5
	v_lshrrev_b16 v6, 8, v5
	s_delay_alu instid0(VALU_DEP_4) | instskip(SKIP_1) | instid1(VALU_DEP_4)
	v_sub_nc_u16 v0, v0, v93
	v_sub_nc_u16 v184, v5, v2
	;; [unrolled: 1-line block ×3, first 2 shown]
	v_lshrrev_b32_e32 v7, 24, v3
	s_delay_alu instid0(VALU_DEP_4) | instskip(NEXT) | instid1(VALU_DEP_4)
	v_lshlrev_b16 v0, 8, v0
	v_bfe_i32 v184, v184, 0, 8
	s_delay_alu instid0(VALU_DEP_2) | instskip(SKIP_3) | instid1(VALU_DEP_4)
	v_bitop3_b16 v179, v178, v0, 0xff bitop3:0xec
	v_sub_nc_u16 v0, v6, v92
	v_lshrrev_b32_e32 v92, 16, v3
	v_lshrrev_b16 v6, 8, v3
	v_perm_b32 v178, v179, v178, 0xc0c0500
	s_delay_alu instid0(VALU_DEP_4) | instskip(SKIP_1) | instid1(VALU_DEP_2)
	v_lshlrev_b16 v181, 8, v0
	v_ashrrev_i32_e32 v0, s20, v1
	v_bfe_i32 v181, v181, 8, 8
	s_delay_alu instid0(VALU_DEP_2) | instskip(SKIP_1) | instid1(VALU_DEP_2)
	v_and_b32_e32 v1, 0x3030303, v0
	v_bfe_u32 v0, v0, 24, 2
	v_lshrrev_b32_e32 v5, 16, v1
	s_delay_alu instid0(VALU_DEP_2) | instskip(SKIP_2) | instid1(VALU_DEP_4)
	v_sub_nc_u16 v0, v0, v7
	v_lshrrev_b16 v2, 8, v1
	v_sub_nc_u16 v185, v1, v3
	v_sub_nc_u16 v180, v5, v92
	s_delay_alu instid0(VALU_DEP_4) | instskip(NEXT) | instid1(VALU_DEP_3)
	v_lshlrev_b16 v0, 8, v0
	v_bfe_i32 v185, v185, 0, 8
	s_delay_alu instid0(VALU_DEP_2)
	v_bitop3_b16 v182, v180, v0, 0xff bitop3:0xec
	v_sub_nc_u16 v0, v2, v6
	ds_load_2addr_b32 v[2:3], v91 offset0:6 offset1:7
	v_lshlrev_b16 v183, 8, v0
	v_add_nc_u32_e32 v0, 0x1098, v4
	ds_load_2addr_b32 v[0:1], v0 offset1:1
	s_wait_dscnt 0x1
	v_dual_ashrrev_i32 v2, s16, v2 :: v_dual_ashrrev_i32 v3, s16, v3
	s_delay_alu instid0(VALU_DEP_1) | instskip(SKIP_2) | instid1(VALU_DEP_2)
	v_dual_lshlrev_b32 v2, 2, v2 :: v_dual_lshlrev_b32 v3, 2, v3
	s_wait_dscnt 0x0
	v_ashrrev_i32_e32 v0, s20, v0
	v_and_b32_e32 v2, 0x4040404, v2
	s_delay_alu instid0(VALU_DEP_3) | instskip(NEXT) | instid1(VALU_DEP_3)
	v_and_b32_e32 v3, 0x4040404, v3
	v_and_b32_e32 v5, 0x3030303, v0
	v_bfe_u32 v0, v0, 24, 2
	s_delay_alu instid0(VALU_DEP_4) | instskip(SKIP_1) | instid1(VALU_DEP_4)
	v_dual_lshrrev_b32 v91, 16, v2 :: v_dual_lshrrev_b32 v93, 24, v2
	v_lshrrev_b16 v92, 8, v2
	v_lshrrev_b32_e32 v6, 16, v5
	v_lshrrev_b16 v7, 8, v5
	v_sub_nc_u16 v189, v5, v2
	v_sub_nc_u16 v0, v0, v93
	s_delay_alu instid0(VALU_DEP_4) | instskip(SKIP_2) | instid1(VALU_DEP_4)
	v_sub_nc_u16 v195, v6, v91
	v_lshrrev_b32_e32 v91, 16, v3
	v_lshrrev_b16 v6, 8, v3
	v_lshlrev_b16 v144, 8, v0
	v_sub_nc_u16 v0, v7, v92
	v_lshrrev_b32_e32 v7, 24, v3
	v_add3_u32 v92, s21, v101, v102
	v_bfe_i32 v195, v195, 0, 8
	v_bfe_i32 v189, v189, 0, 8
	v_lshlrev_b16 v188, 8, v0
	v_ashrrev_i32_e32 v0, s20, v1
	s_delay_alu instid0(VALU_DEP_4) | instskip(NEXT) | instid1(VALU_DEP_3)
	v_perm_b32 v169, v195, v169, 0x5040100
	v_bfe_i32 v188, v188, 8, 8
	s_delay_alu instid0(VALU_DEP_3) | instskip(SKIP_1) | instid1(VALU_DEP_2)
	v_and_b32_e32 v1, 0x3030303, v0
	v_bfe_u32 v0, v0, 24, 2
	v_lshrrev_b32_e32 v5, 16, v1
	s_delay_alu instid0(VALU_DEP_2) | instskip(SKIP_2) | instid1(VALU_DEP_4)
	v_sub_nc_u16 v0, v0, v7
	v_lshrrev_b16 v2, 8, v1
	v_sub_nc_u16 v148, v1, v3
	v_sub_nc_u16 v145, v5, v91
	s_delay_alu instid0(VALU_DEP_4) | instskip(NEXT) | instid1(VALU_DEP_3)
	v_lshlrev_b16 v0, 8, v0
	v_bfe_i32 v148, v148, 0, 8
	s_delay_alu instid0(VALU_DEP_2)
	v_bitop3_b16 v146, v145, v0, 0xff bitop3:0xec
	v_sub_nc_u16 v0, v2, v6
	ds_load_2addr_b32 v[2:3], v92 offset1:1
	v_lshlrev_b16 v147, 8, v0
	v_add3_u32 v0, s23, v99, v100
	ds_load_b32 v91, v0
	v_add_nc_u32_e32 v0, 0x2100, v4
	ds_load_2addr_b32 v[0:1], v0 offset1:1
	s_wait_dscnt 0x2
	v_dual_ashrrev_i32 v2, s16, v2 :: v_dual_ashrrev_i32 v3, s16, v3
	s_delay_alu instid0(VALU_DEP_1) | instskip(NEXT) | instid1(VALU_DEP_1)
	v_dual_lshlrev_b32 v2, 2, v2 :: v_dual_lshlrev_b32 v3, 2, v3
	v_and_b32_e32 v2, 0x4040404, v2
	s_delay_alu instid0(VALU_DEP_2) | instskip(NEXT) | instid1(VALU_DEP_2)
	v_and_b32_e32 v3, 0x4040404, v3
	v_dual_lshrrev_b32 v95, 24, v2 :: v_dual_lshrrev_b32 v154, 16, v2
	s_wait_dscnt 0x0
	v_ashrrev_i32_e32 v0, s20, v0
	v_lshrrev_b16 v93, 8, v2
	s_delay_alu instid0(VALU_DEP_2) | instskip(SKIP_1) | instid1(VALU_DEP_2)
	v_and_b32_e32 v5, 0x3030303, v0
	v_bfe_u32 v0, v0, 24, 2
	v_dual_add_nc_u32 v149, s22, v47 :: v_dual_lshrrev_b32 v7, 16, v5
	s_delay_alu instid0(VALU_DEP_2)
	v_sub_nc_u16 v0, v0, v95
	v_lshrrev_b16 v6, 8, v5
	v_lshrrev_b32_e32 v95, 24, v3
	v_sub_nc_u16 v5, v5, v2
	v_sub_nc_u16 v200, v7, v154
	v_lshlrev_b16 v0, 8, v0
	v_lshrrev_b32_e32 v154, 16, v3
	s_delay_alu instid0(VALU_DEP_4) | instskip(NEXT) | instid1(VALU_DEP_3)
	v_bfe_i32 v223, v5, 0, 8
	v_bitop3_b16 v201, v200, v0, 0xff bitop3:0xec
	v_sub_nc_u16 v0, v6, v93
	v_lshrrev_b16 v93, 8, v3
	s_delay_alu instid0(VALU_DEP_3) | instskip(NEXT) | instid1(VALU_DEP_3)
	v_perm_b32 v200, v201, v200, 0xc0c0500
	v_lshlrev_b16 v6, 8, v0
	v_ashrrev_i32_e32 v0, s20, v1
	s_delay_alu instid0(VALU_DEP_2) | instskip(NEXT) | instid1(VALU_DEP_2)
	v_bfe_i32 v224, v6, 8, 8
	v_and_b32_e32 v1, 0x3030303, v0
	v_bfe_u32 v0, v0, 24, 2
	s_delay_alu instid0(VALU_DEP_2) | instskip(NEXT) | instid1(VALU_DEP_2)
	v_lshrrev_b32_e32 v7, 16, v1
	v_sub_nc_u16 v0, v0, v95
	v_lshrrev_b16 v2, 8, v1
	s_delay_alu instid0(VALU_DEP_3) | instskip(NEXT) | instid1(VALU_DEP_3)
	v_sub_nc_u16 v202, v7, v154
	v_lshlrev_b16 v0, 8, v0
	v_sub_nc_u16 v7, v1, v3
	s_delay_alu instid0(VALU_DEP_2)
	v_bitop3_b16 v203, v202, v0, 0xff bitop3:0xec
	v_sub_nc_u16 v0, v2, v93
	ds_load_2addr_b32 v[2:3], v92 offset0:2 offset1:3
	v_bfe_i32 v225, v7, 0, 8
	v_perm_b32 v202, v203, v202, 0xc05000c
	v_lshlrev_b16 v204, 8, v0
	v_add_nc_u32_e32 v0, 0x2108, v4
	s_delay_alu instid0(VALU_DEP_2) | instskip(SKIP_3) | instid1(VALU_DEP_1)
	v_perm_b32 v203, v204, v204, 0xc0c0c01
	ds_load_2addr_b32 v[0:1], v0 offset1:1
	s_wait_dscnt 0x1
	v_dual_ashrrev_i32 v2, s16, v2 :: v_dual_ashrrev_i32 v3, s16, v3
	v_dual_lshlrev_b32 v2, 2, v2 :: v_dual_lshlrev_b32 v3, 2, v3
	s_wait_dscnt 0x0
	v_ashrrev_i32_e32 v0, s20, v0
	s_delay_alu instid0(VALU_DEP_2) | instskip(NEXT) | instid1(VALU_DEP_3)
	v_and_b32_e32 v2, 0x4040404, v2
	v_and_b32_e32 v3, 0x4040404, v3
	s_delay_alu instid0(VALU_DEP_3) | instskip(SKIP_1) | instid1(VALU_DEP_4)
	v_and_b32_e32 v93, 0x3030303, v0
	v_bfe_u32 v0, v0, 24, 2
	v_dual_lshrrev_b32 v156, 24, v2 :: v_dual_lshrrev_b32 v172, 16, v2
	v_lshrrev_b16 v155, 8, v2
	s_delay_alu instid0(VALU_DEP_4) | instskip(SKIP_1) | instid1(VALU_DEP_4)
	v_lshrrev_b32_e32 v154, 16, v93
	v_lshrrev_b16 v95, 8, v93
	v_sub_nc_u16 v0, v0, v156
	v_sub_nc_u16 v208, v93, v2
	s_delay_alu instid0(VALU_DEP_4) | instskip(SKIP_1) | instid1(VALU_DEP_4)
	v_sub_nc_u16 v205, v154, v172
	v_lshrrev_b32_e32 v154, 24, v3
	v_lshlrev_b16 v0, 8, v0
	s_delay_alu instid0(VALU_DEP_4) | instskip(SKIP_2) | instid1(VALU_DEP_4)
	v_bfe_i32 v199, v208, 0, 8
	v_bfe_i32 v208, v166, 8, 8
	;; [unrolled: 1-line block ×3, first 2 shown]
	v_bitop3_b16 v206, v205, v0, 0xff bitop3:0xec
	v_sub_nc_u16 v0, v95, v155
	v_lshrrev_b32_e32 v155, 16, v3
	v_lshrrev_b16 v95, 8, v3
	s_delay_alu instid0(VALU_DEP_3) | instskip(SKIP_1) | instid1(VALU_DEP_1)
	v_lshlrev_b16 v207, 8, v0
	v_ashrrev_i32_e32 v0, s20, v1
	v_and_b32_e32 v1, 0x3030303, v0
	v_bfe_u32 v0, v0, 24, 2
	s_delay_alu instid0(VALU_DEP_2) | instskip(NEXT) | instid1(VALU_DEP_2)
	v_lshrrev_b32_e32 v93, 16, v1
	v_sub_nc_u16 v0, v0, v154
	v_lshrrev_b16 v2, 8, v1
	v_sub_nc_u16 v212, v1, v3
	s_delay_alu instid0(VALU_DEP_4) | instskip(NEXT) | instid1(VALU_DEP_4)
	v_sub_nc_u16 v209, v93, v155
	v_lshlrev_b16 v0, 8, v0
	s_delay_alu instid0(VALU_DEP_1) | instskip(SKIP_4) | instid1(VALU_DEP_2)
	v_bitop3_b16 v210, v209, v0, 0xff bitop3:0xec
	v_sub_nc_u16 v0, v2, v95
	ds_load_2addr_b32 v[2:3], v92 offset0:4 offset1:5
	v_lshlrev_b16 v211, 8, v0
	v_add_nc_u32_e32 v0, 0x2110, v4
	v_perm_b32 v187, v211, v211, 0xc0c0c01
	ds_load_2addr_b32 v[0:1], v0 offset1:1
	s_wait_dscnt 0x1
	v_dual_ashrrev_i32 v2, s16, v2 :: v_dual_ashrrev_i32 v3, s16, v3
	s_delay_alu instid0(VALU_DEP_1) | instskip(SKIP_2) | instid1(VALU_DEP_2)
	v_dual_lshlrev_b32 v2, 2, v2 :: v_dual_lshlrev_b32 v3, 2, v3
	s_wait_dscnt 0x0
	v_ashrrev_i32_e32 v0, s20, v0
	v_and_b32_e32 v2, 0x4040404, v2
	s_delay_alu instid0(VALU_DEP_3) | instskip(NEXT) | instid1(VALU_DEP_3)
	v_and_b32_e32 v3, 0x4040404, v3
	v_and_b32_e32 v93, 0x3030303, v0
	v_bfe_u32 v0, v0, 24, 2
	s_delay_alu instid0(VALU_DEP_4) | instskip(SKIP_1) | instid1(VALU_DEP_4)
	v_dual_lshrrev_b32 v156, 24, v2 :: v_dual_lshrrev_b32 v172, 16, v2
	v_lshrrev_b16 v155, 8, v2
	v_lshrrev_b32_e32 v154, 16, v93
	v_lshrrev_b16 v95, 8, v93
	s_delay_alu instid0(VALU_DEP_4)
	v_sub_nc_u16 v0, v0, v156
	v_lshrrev_b32_e32 v156, 24, v3
	v_sub_nc_u16 v93, v93, v2
	v_sub_nc_u16 v213, v154, v172
	v_lshrrev_b32_e32 v172, 16, v3
	v_lshlrev_b16 v0, 8, v0
	s_delay_alu instid0(VALU_DEP_4) | instskip(SKIP_1) | instid1(VALU_DEP_3)
	v_bfe_i32 v227, v93, 0, 8
	v_add3_u32 v93, s21, v105, v106
	v_bitop3_b16 v214, v213, v0, 0xff bitop3:0xec
	v_sub_nc_u16 v0, v95, v155
	v_lshrrev_b16 v155, 8, v3
	s_delay_alu instid0(VALU_DEP_2) | instskip(SKIP_1) | instid1(VALU_DEP_2)
	v_lshlrev_b16 v95, 8, v0
	v_ashrrev_i32_e32 v0, s20, v1
	v_bfe_i32 v228, v95, 8, 8
	s_delay_alu instid0(VALU_DEP_2) | instskip(SKIP_1) | instid1(VALU_DEP_2)
	v_and_b32_e32 v1, 0x3030303, v0
	v_bfe_u32 v0, v0, 24, 2
	v_lshrrev_b32_e32 v154, 16, v1
	s_delay_alu instid0(VALU_DEP_2) | instskip(SKIP_1) | instid1(VALU_DEP_3)
	v_sub_nc_u16 v0, v0, v156
	v_lshrrev_b16 v2, 8, v1
	v_sub_nc_u16 v215, v154, v172
	s_delay_alu instid0(VALU_DEP_3) | instskip(SKIP_1) | instid1(VALU_DEP_2)
	v_lshlrev_b16 v0, 8, v0
	v_sub_nc_u16 v172, v1, v3
	v_bitop3_b16 v216, v215, v0, 0xff bitop3:0xec
	v_sub_nc_u16 v0, v2, v155
	ds_load_2addr_b32 v[2:3], v92 offset0:6 offset1:7
	v_bfe_i32 v229, v172, 0, 8
	v_lshlrev_b16 v217, 8, v0
	v_add_nc_u32_e32 v0, 0x2118, v4
	ds_load_2addr_b32 v[0:1], v0 offset1:1
	s_wait_dscnt 0x1
	v_dual_ashrrev_i32 v2, s16, v2 :: v_dual_ashrrev_i32 v3, s16, v3
	s_delay_alu instid0(VALU_DEP_1) | instskip(SKIP_2) | instid1(VALU_DEP_2)
	v_dual_lshlrev_b32 v2, 2, v2 :: v_dual_lshlrev_b32 v3, 2, v3
	s_wait_dscnt 0x0
	v_ashrrev_i32_e32 v0, s20, v0
	v_and_b32_e32 v2, 0x4040404, v2
	s_delay_alu instid0(VALU_DEP_3) | instskip(NEXT) | instid1(VALU_DEP_3)
	v_and_b32_e32 v3, 0x4040404, v3
	v_and_b32_e32 v154, 0x3030303, v0
	v_bfe_u32 v0, v0, 24, 2
	s_delay_alu instid0(VALU_DEP_4) | instskip(SKIP_1) | instid1(VALU_DEP_4)
	v_dual_lshrrev_b32 v174, 24, v2 :: v_dual_lshrrev_b32 v175, 16, v2
	v_lshrrev_b16 v92, 8, v2
	v_lshrrev_b32_e32 v156, 16, v154
	v_lshrrev_b16 v155, 8, v154
	s_delay_alu instid0(VALU_DEP_4)
	v_sub_nc_u16 v0, v0, v174
	v_sub_nc_u16 v221, v154, v2
	v_lshrrev_b32_e32 v154, 16, v3
	v_sub_nc_u16 v218, v156, v175
	v_lshrrev_b16 v156, 8, v3
	v_lshlrev_b16 v0, 8, v0
	v_bfe_i32 v195, v221, 0, 8
	s_delay_alu instid0(VALU_DEP_2) | instskip(SKIP_2) | instid1(VALU_DEP_2)
	v_bitop3_b16 v219, v218, v0, 0xff bitop3:0xec
	v_sub_nc_u16 v0, v155, v92
	v_lshrrev_b32_e32 v155, 24, v3
	v_lshlrev_b16 v220, 8, v0
	v_ashrrev_i32_e32 v0, s20, v1
	s_delay_alu instid0(VALU_DEP_1) | instskip(SKIP_1) | instid1(VALU_DEP_2)
	v_and_b32_e32 v1, 0x3030303, v0
	v_bfe_u32 v0, v0, 24, 2
	v_lshrrev_b32_e32 v92, 16, v1
	s_delay_alu instid0(VALU_DEP_2)
	v_sub_nc_u16 v0, v0, v155
	v_lshrrev_b16 v2, 8, v1
	v_sub_nc_u16 v222, v1, v3
	v_add3_u32 v1, s23, v103, v104
	v_sub_nc_u16 v154, v92, v154
	v_lshlrev_b16 v0, 8, v0
	ds_load_b32 v92, v1
	v_bitop3_b16 v155, v154, v0, 0xff bitop3:0xec
	v_sub_nc_u16 v0, v2, v156
	ds_load_2addr_b32 v[2:3], v93 offset1:1
	v_lshlrev_b16 v156, 8, v0
	v_add_nc_u32_e32 v0, s22, v45
	ds_load_u16 v0, v0 offset:27378
	s_wait_dscnt 0x1
	v_dual_ashrrev_i32 v2, s16, v2 :: v_dual_ashrrev_i32 v3, s16, v3
	s_delay_alu instid0(VALU_DEP_1)
	v_lshlrev_b32_e32 v3, 2, v3
	s_wait_dscnt 0x0
	v_lshrrev_b16 v1, 8, v0
	v_bfe_i32 v226, v0, 0, 8
	v_add_nc_u32_e32 v0, 0x3180, v4
	v_and_b32_e32 v3, 0x4040404, v3
	s_delay_alu instid0(VALU_DEP_4) | instskip(SKIP_2) | instid1(VALU_DEP_1)
	v_bfe_i32 v95, v1, 0, 8
	ds_load_2addr_b32 v[0:1], v0 offset1:1
	v_lshlrev_b32_e32 v2, 2, v2
	v_and_b32_e32 v2, 0x4040404, v2
	s_delay_alu instid0(VALU_DEP_1) | instskip(SKIP_3) | instid1(VALU_DEP_1)
	v_dual_lshrrev_b32 v172, 16, v2 :: v_dual_lshrrev_b32 v174, 24, v2
	v_lshrrev_b16 v175, 8, v2
	s_wait_dscnt 0x0
	v_ashrrev_i32_e32 v0, s20, v0
	v_and_b32_e32 v5, 0x3030303, v0
	v_bfe_u32 v0, v0, 24, 2
	s_delay_alu instid0(VALU_DEP_2) | instskip(NEXT) | instid1(VALU_DEP_2)
	v_lshrrev_b32_e32 v6, 16, v5
	v_sub_nc_u16 v231, v0, v174
	v_ashrrev_i32_e32 v0, s20, v1
	v_sub_nc_u16 v233, v5, v2
	v_lshrrev_b16 v7, 8, v5
	v_sub_nc_u16 v232, v6, v172
	v_lshrrev_b32_e32 v6, 24, v3
	v_bfe_u32 v1, v0, 24, 2
	v_and_b32_e32 v0, 0x3030303, v0
	v_sub_nc_u16 v230, v7, v175
	v_lshrrev_b32_e32 v7, 16, v3
	v_lshrrev_b16 v172, 8, v3
	v_sub_nc_u16 v237, v1, v6
	v_lshrrev_b32_e32 v2, 16, v0
	v_lshrrev_b16 v5, 8, v0
	v_sub_nc_u16 v234, v0, v3
	v_add_nc_u32_e32 v0, 0x3188, v4
	v_bfe_i32 v231, v231, 0, 16
	v_sub_nc_u16 v236, v2, v7
	ds_load_2addr_b32 v[2:3], v93 offset0:2 offset1:3
	v_sub_nc_u16 v235, v5, v172
	ds_load_2addr_b32 v[0:1], v0 offset1:1
	v_bfe_i32 v230, v230, 0, 16
	v_bfe_i32 v204, v236, 0, 8
	;; [unrolled: 1-line block ×3, first 2 shown]
	s_wait_dscnt 0x1
	v_dual_ashrrev_i32 v2, s16, v2 :: v_dual_ashrrev_i32 v3, s16, v3
	s_wait_dscnt 0x0
	s_delay_alu instid0(VALU_DEP_1) | instskip(NEXT) | instid1(VALU_DEP_2)
	v_dual_ashrrev_i32 v0, s20, v0 :: v_dual_lshlrev_b32 v2, 2, v2
	v_lshlrev_b32_e32 v3, 2, v3
	s_delay_alu instid0(VALU_DEP_2) | instskip(SKIP_1) | instid1(VALU_DEP_4)
	v_bfe_u32 v5, v0, 24, 2
	v_and_b32_e32 v0, 0x3030303, v0
	v_and_b32_e32 v2, 0x4040404, v2
	s_delay_alu instid0(VALU_DEP_4) | instskip(NEXT) | instid1(VALU_DEP_3)
	v_and_b32_e32 v3, 0x4040404, v3
	v_lshrrev_b32_e32 v6, 16, v0
	v_lshrrev_b16 v7, 8, v0
	s_delay_alu instid0(VALU_DEP_4) | instskip(SKIP_3) | instid1(VALU_DEP_3)
	v_sub_nc_u16 v238, v0, v2
	v_dual_ashrrev_i32 v0, s20, v1 :: v_dual_lshrrev_b32 v172, 24, v2
	v_lshrrev_b32_e32 v174, 16, v2
	v_lshrrev_b16 v175, 8, v2
	v_bfe_u32 v1, v0, 24, 2
	v_and_b32_e32 v0, 0x3030303, v0
	s_delay_alu instid0(VALU_DEP_4)
	v_sub_nc_u16 v240, v6, v174
	v_sub_nc_u16 v241, v5, v172
	v_lshrrev_b32_e32 v6, 24, v3
	v_sub_nc_u16 v239, v7, v175
	v_lshrrev_b32_e32 v2, 16, v0
	v_lshrrev_b16 v5, 8, v0
	v_sub_nc_u16 v242, v0, v3
	v_add_nc_u32_e32 v0, 0x3190, v4
	v_lshrrev_b32_e32 v7, 16, v3
	v_sub_nc_u16 v245, v1, v6
	v_lshrrev_b16 v172, 8, v3
	ds_load_2addr_b32 v[0:1], v0 offset1:1
	v_sub_nc_u16 v244, v2, v7
	ds_load_2addr_b32 v[2:3], v93 offset0:4 offset1:5
	v_sub_nc_u16 v243, v5, v172
	s_wait_dscnt 0x0
	v_dual_ashrrev_i32 v0, s20, v0 :: v_dual_ashrrev_i32 v2, s16, v2
	v_ashrrev_i32_e32 v3, s16, v3
	s_delay_alu instid0(VALU_DEP_2) | instskip(SKIP_1) | instid1(VALU_DEP_3)
	v_and_b32_e32 v5, 0x3030303, v0
	v_bfe_u32 v0, v0, 24, 2
	v_dual_lshlrev_b32 v2, 2, v2 :: v_dual_lshlrev_b32 v3, 2, v3
	s_delay_alu instid0(VALU_DEP_3) | instskip(SKIP_1) | instid1(VALU_DEP_3)
	v_lshrrev_b32_e32 v6, 16, v5
	v_lshrrev_b16 v7, 8, v5
	v_and_b32_e32 v2, 0x4040404, v2
	s_delay_alu instid0(VALU_DEP_4) | instskip(NEXT) | instid1(VALU_DEP_2)
	v_and_b32_e32 v3, 0x4040404, v3
	v_dual_lshrrev_b32 v172, 16, v2 :: v_dual_lshrrev_b32 v174, 24, v2
	v_lshrrev_b16 v175, 8, v2
	v_sub_nc_u16 v249, v5, v2
	s_delay_alu instid0(VALU_DEP_3) | instskip(NEXT) | instid1(VALU_DEP_4)
	v_sub_nc_u16 v248, v6, v172
	v_sub_nc_u16 v247, v0, v174
	v_dual_ashrrev_i32 v0, s20, v1 :: v_dual_lshrrev_b32 v6, 24, v3
	v_sub_nc_u16 v246, v7, v175
	v_lshrrev_b32_e32 v7, 16, v3
	v_lshrrev_b16 v172, 8, v3
	s_delay_alu instid0(VALU_DEP_4) | instskip(SKIP_1) | instid1(VALU_DEP_2)
	v_bfe_u32 v1, v0, 24, 2
	v_and_b32_e32 v0, 0x3030303, v0
	v_sub_nc_u16 v253, v1, v6
	s_delay_alu instid0(VALU_DEP_2) | instskip(SKIP_3) | instid1(VALU_DEP_4)
	v_lshrrev_b32_e32 v2, 16, v0
	v_lshrrev_b16 v5, 8, v0
	v_sub_nc_u16 v250, v0, v3
	v_add_nc_u32_e32 v0, 0x3198, v4
	v_sub_nc_u16 v252, v2, v7
	ds_load_2addr_b32 v[2:3], v93 offset0:6 offset1:7
	v_sub_nc_u16 v251, v5, v172
	ds_load_2addr_b32 v[0:1], v0 offset1:1
	s_wait_dscnt 0x1
	v_dual_ashrrev_i32 v2, s16, v2 :: v_dual_ashrrev_i32 v3, s16, v3
	s_wait_dscnt 0x0
	v_ashrrev_i32_e32 v0, s20, v0
	s_add_co_i32 s16, s16, 1
	s_cmp_lt_u32 s17, 30
	v_dual_lshlrev_b32 v2, 2, v2 :: v_dual_lshlrev_b32 v3, 2, v3
	s_delay_alu instid0(VALU_DEP_2) | instskip(SKIP_1) | instid1(VALU_DEP_3)
	v_bfe_u32 v4, v0, 24, 2
	v_and_b32_e32 v0, 0x3030303, v0
	v_and_b32_e32 v2, 0x4040404, v2
	s_delay_alu instid0(VALU_DEP_4) | instskip(NEXT) | instid1(VALU_DEP_3)
	v_and_b32_e32 v3, 0x4040404, v3
	v_lshrrev_b32_e32 v5, 16, v0
	v_lshrrev_b16 v6, 8, v0
	s_delay_alu instid0(VALU_DEP_4) | instskip(SKIP_3) | instid1(VALU_DEP_3)
	v_sub_nc_u16 v254, v0, v2
	v_dual_ashrrev_i32 v0, s20, v1 :: v_dual_lshrrev_b32 v7, 24, v2
	v_lshrrev_b32_e32 v93, 16, v2
	v_lshrrev_b16 v172, 8, v2
	v_bfe_u32 v1, v0, 24, 2
	v_and_b32_e32 v0, 0x3030303, v0
	s_set_vgpr_msb 64                       ;  msbs: dst=1 src0=0 src1=0 src2=0
	v_sub_nc_u16 v0 /*v256*/, v5, v93
	s_set_vgpr_msb 0                        ;  msbs: dst=0 src0=0 src1=0 src2=0
	v_sub_nc_u16 v255, v6, v172
	s_set_vgpr_msb 64                       ;  msbs: dst=1 src0=0 src1=0 src2=0
	v_sub_nc_u16 v1 /*v257*/, v4, v7
	s_set_vgpr_msb 0                        ;  msbs: dst=0 src0=0 src1=0 src2=0
	v_dual_lshrrev_b32 v5, 24, v3 :: v_dual_lshrrev_b32 v6, 16, v3
	v_lshrrev_b32_e32 v2, 16, v0
	v_lshrrev_b16 v4, 8, v0
	v_lshrrev_b16 v7, 8, v3
	v_sub_nc_u16 v174, v0, v3
	v_add3_u32 v0, s23, v107, v108
	v_sub_nc_u16 v176, v2, v6
	v_sub_nc_u16 v177, v1, v5
	;; [unrolled: 1-line block ×3, first 2 shown]
	ds_load_b32 v93, v0
	ds_load_b128 v[4:7], v89
	ds_load_b128 v[0:3], v89 offset:16
	v_or_b32_e32 v162, v163, v162
	v_or_b32_e32 v202, v202, v203
	;; [unrolled: 1-line block ×3, first 2 shown]
	v_perm_b32 v163, v193, v193, 0xc0c0c01
	v_perm_b32 v165, v207, v207, 0xc0c0c01
	v_add_nc_u32_e32 v172, s22, v43
	v_bfe_i32 v193, v248, 0, 8
	ds_load_u16 v138, v138 offset:25330
	ds_load_u16 v149, v149 offset:26354
	s_mov_b32 s22, s17
	s_wait_dscnt 0x3
	s_set_vgpr_msb 64                       ;  msbs: dst=1 src0=0 src1=0 src2=0
	v_lshrrev_b16 v2 /*v258*/, 8, v4
	v_bfe_i32 v8 /*v264*/, v4, 0, 8
	s_set_vgpr_msb 0                        ;  msbs: dst=0 src0=0 src1=0 src2=0
	v_perm_b32 v201, v4, v4, 0xc0c0302
	s_set_vgpr_msb 0x41                     ;  msbs: dst=1 src0=1 src1=0 src2=0
	v_lshrrev_b16 v3 /*v259*/, 8, v5
	v_ashrrev_i32_e32 v6 /*v262*/, 24, v4
	v_bfe_i32 v2 /*v258*/, v2 /*v258*/, 0, 8
	s_set_vgpr_msb 1                        ;  msbs: dst=0 src0=1 src1=0 src2=0
	v_mul_i32_i24_e32 v223, v8 /*v264*/, v223
	s_set_vgpr_msb 64                       ;  msbs: dst=1 src0=0 src1=0 src2=0
	v_bfe_i32 v7 /*v263*/, v4, 16, 8
	v_bfe_i32 v9 /*v265*/, v5, 0, 8
	s_set_vgpr_msb 1                        ;  msbs: dst=0 src0=1 src1=0 src2=0
	v_mul_i32_i24_e32 v194, v8 /*v264*/, v194
	v_mul_i32_i24_e32 v208, v2 /*v258*/, v208
	v_mad_i32_i24 v223, v2 /*v258*/, v224, v223
	s_set_vgpr_msb 0                        ;  msbs: dst=0 src0=0 src1=0 src2=0
	v_perm_b32 v4, v5, v4, 0x5040302
	v_bfe_i32 v224, v232, 0, 8
	v_ashrrev_i32_e32 v232, 24, v5
	s_set_vgpr_msb 1                        ;  msbs: dst=0 src0=1 src1=0 src2=0
	v_mad_i32_i24 v166, v8 /*v264*/, v166, v208
	s_set_vgpr_msb 0                        ;  msbs: dst=0 src0=0 src1=0 src2=0
	v_dot4_i32_iu8 v200, v201, v200, v223 neg_lo:[1,1,0]
	v_bfe_i32 v223, v233, 0, 8
	s_set_vgpr_msb 1                        ;  msbs: dst=0 src0=1 src1=0 src2=0
	v_bfe_i32 v233, v3 /*v259*/, 0, 8
	s_set_vgpr_msb 64                       ;  msbs: dst=1 src0=0 src1=0 src2=0
	v_bfe_i32 v3 /*v259*/, v5, 16, 8
	s_set_vgpr_msb 0                        ;  msbs: dst=0 src0=0 src1=0 src2=0
	v_perm_b32 v203, v5, v5, 0xc030201
	s_set_vgpr_msb 1                        ;  msbs: dst=0 src0=1 src1=0 src2=0
	v_mad_i32_i24 v200, v9 /*v265*/, v225, v200
	v_mad_i32_i24 v191, v2 /*v258*/, v191, v194
	s_set_vgpr_msb 0                        ;  msbs: dst=0 src0=0 src1=0 src2=0
	v_perm_b32 v5, v6, v5, 0x5040302
	v_ashrrev_i32_e32 v167, 24, v7
	v_dot4_i32_iu8 v4, v4, v162, v166 neg_lo:[1,1,0]
	s_set_vgpr_msb 64                       ;  msbs: dst=1 src0=0 src1=0 src2=0
	v_lshrrev_b16 v4 /*v260*/, 8, v6
	s_set_vgpr_msb 0                        ;  msbs: dst=0 src0=0 src1=0 src2=0
	v_dot4_i32_iu8 v200, v203, v202, v200 neg_lo:[1,1,0]
	v_bfe_i32 v202, v237, 0, 16
	v_bfe_i32 v225, v235, 0, 16
	;; [unrolled: 1-line block ×3, first 2 shown]
	v_dot4_i32_iu8 v186, v201, v186, v191 neg_lo:[1,1,0]
	v_perm_b32 v162, v192, v190, 0xc05000c
	v_dot4_i32_iu8 v164, v5, v164, v4 neg_lo:[1,1,0]
	v_perm_b32 v5, v206, v205, 0xc05000c
	v_mul_i32_i24_e32 v225, v225, v233
	v_mul_i32_i24_e32 v202, v202, v232
	v_ashrrev_i32_e32 v232, 24, v6
	s_set_vgpr_msb 1                        ;  msbs: dst=0 src0=1 src1=0 src2=0
	v_bfe_i32 v233, v4 /*v260*/, 0, 8
	s_set_vgpr_msb 0                        ;  msbs: dst=0 src0=0 src1=0 src2=0
	v_bfe_i32 v236, v6, 16, 8
	s_set_vgpr_msb 1                        ;  msbs: dst=0 src0=1 src1=0 src2=0
	v_mad_i32_i24 v186, v9 /*v265*/, v196, v186
	s_set_vgpr_msb 0                        ;  msbs: dst=0 src0=0 src1=0 src2=0
	v_or_b32_e32 v162, v162, v163
	v_mad_i32_i24 v4, v235, v199, v200
	v_or_b32_e32 v5, v5, v165
	v_perm_b32 v6, v6, v6, 0xc030201
	v_mul_i32_i24_e32 v163, v233, v197
	v_bfe_i32 v171, v7, 0, 8
	s_wait_dscnt 0x2
	v_ashrrev_i32_e32 v197, 24, v1
	v_dot4_i32_iu8 v162, v203, v162, v186 neg_lo:[1,1,0]
	v_dot4_i32_iu8 v4, v6, v5, v4 neg_lo:[1,1,0]
	v_bfe_i32 v186, v212, 0, 8
	v_pk_mul_lo_u16 v173, v173, v236 op_sel_hi:[1,0]
	s_set_vgpr_msb 64                       ;  msbs: dst=1 src0=0 src1=0 src2=0
	v_lshrrev_b16 v5 /*v261*/, 8, v7
	s_set_vgpr_msb 4                        ;  msbs: dst=0 src0=0 src1=1 src2=0
	v_bfe_i32 v5, v241, 0, 16
	v_bfe_i32 v165, v239, 0, 16
	v_mul_i32_i24_e32 v230, v230, v2 /*v258*/
	v_mul_i32_i24_e32 v234, v234, v9 /*v265*/
	;; [unrolled: 1-line block ×3, first 2 shown]
	v_bfe_i32 v6, v240, 0, 8
	v_bfe_i32 v166, v238, 0, 8
	s_set_vgpr_msb 0                        ;  msbs: dst=0 src0=0 src1=0 src2=0
	v_mul_i32_i24_e32 v165, v165, v233
	s_set_vgpr_msb 1                        ;  msbs: dst=0 src0=1 src1=0 src2=0
	v_bfe_i32 v168, v5 /*v261*/, 0, 8
	s_set_vgpr_msb 0                        ;  msbs: dst=0 src0=0 src1=0 src2=0
	v_bfe_i32 v170, v7, 16, 8
	v_bfe_i32 v190, v244, 0, 8
	v_bfe_i32 v191, v243, 0, 16
	v_bfe_i32 v192, v242, 0, 8
	v_mul_i32_i24_e32 v166, v166, v235
	v_bfe_i32 v203, v251, 0, 16
	v_mul_i32_i24_e32 v170, v190, v170
	v_mul_i32_i24_e32 v168, v191, v168
	;; [unrolled: 1-line block ×3, first 2 shown]
	s_set_vgpr_msb 4                        ;  msbs: dst=0 src0=0 src1=1 src2=0
	v_mad_i32_i24 v190, v224, v7 /*v263*/, v204
	v_mad_i32_i24 v191, v223, v8 /*v264*/, v234
	v_bfe_i32 v205, v157, 8, 8
	v_bfe_i32 v196, v246, 0, 16
	;; [unrolled: 1-line block ×4, first 2 shown]
	s_set_vgpr_msb 0                        ;  msbs: dst=0 src0=0 src1=0 src2=0
	v_add3_u32 v166, v191, v166, v192
	v_perm_b32 v191, v214, v213, 0xc0c0500
	v_perm_b32 v192, v0, v0, 0xc0c0302
	;; [unrolled: 1-line block ×4, first 2 shown]
	v_mul_i32_i24_e32 v128, v232, v128
	v_mad_i32_i24 v162, v235, v198, v162
	v_bfe_i32 v198, v1, 16, 8
	v_bfe_i32 v159, v3, 16, 8
	v_or_b32_e32 v200, v200, v201
	v_perm_b32 v201, v1, v1, 0xc030201
	v_bfe_i32 v194, v247, 0, 16
	v_bfe_i32 v204, v250, 0, 8
	v_mul_i32_i24_e32 v139, v232, v139
	v_mul_i32_i24_e32 v143, v171, v143
	v_mad_i32_i24 v4, v171, v186, v4
	v_perm_b32 v186, v210, v209, 0xc05000c
	v_mul_i32_i24_e32 v5, v5, v232
	v_mul_i32_i24_e32 v6, v6, v236
	v_add3_u32 v165, v230, v225, v165
	v_mul_i32_i24_e32 v204, v204, v199
	v_or_b32_e32 v186, v186, v187
	v_perm_b32 v187, v7, v7, 0xc030201
	v_add3_u32 v6, v190, v6, v170
	v_bfe_i32 v170, v0, 16, 8
	s_delay_alu instid0(VALU_DEP_3) | instskip(SKIP_1) | instid1(VALU_DEP_2)
	v_dot4_i32_iu8 v4, v187, v186, v4 neg_lo:[1,1,0]
	v_bfe_i32 v186, v245, 0, 16
	v_mul_lo_u32 v4, v4, v226
	s_delay_alu instid0(VALU_DEP_2) | instskip(SKIP_4) | instid1(VALU_DEP_2)
	v_mul_i32_i24_e32 v167, v186, v167
	s_set_vgpr_msb 4                        ;  msbs: dst=0 src0=0 src1=1 src2=0
	v_mad_i32_i24 v186, v231, v6 /*v262*/, v202
	v_bfe_i32 v202, v252, 0, 8
	s_set_vgpr_msb 0                        ;  msbs: dst=0 src0=0 src1=0 src2=0
	v_add3_u32 v5, v186, v5, v167
	v_bfe_i32 v186, v0, 0, 8
	s_delay_alu instid0(VALU_DEP_3)
	v_mul_i32_i24_e32 v198, v202, v198
	v_bfe_i32 v202, v2, 0, 8
	v_lshrrev_b16 v167, 8, v3
	v_add3_u32 v5, v165, v168, v5
	v_lshrrev_b16 v165, 8, v1
	v_mul_i32_i24_e32 v190, v186, v227
	v_mul_i32_i24_e32 v184, v186, v184
	v_ashrrev_i32_e32 v168, 24, v0
	v_bfe_i32 v158, v167, 0, 8
	v_mad_i32_i24 v133, v193, v170, v198
	v_add3_u32 v5, v166, v6, v5
	v_lshrrev_b16 v6, 8, v0
	v_bfe_i32 v165, v165, 0, 8
	v_perm_b32 v0, v1, v0, 0x5040302
	v_lshrrev_b16 v166, 8, v2
	v_perm_b32 v1, v2, v1, 0x5040302
	v_bfe_i32 v6, v6, 0, 8
	v_mul_i32_i24_e32 v165, v203, v165
	v_bfe_i32 v203, v2, 16, 8
	v_bfe_i32 v166, v166, 0, 8
	s_delay_alu instid0(VALU_DEP_4)
	v_mad_i32_i24 v190, v6, v228, v190
	v_mul_i32_i24_e32 v205, v6, v205
	v_mul_i32_i24_e32 v196, v196, v6
	v_pk_mul_lo_u16 v169, v169, v203 op_sel_hi:[1,0]
	v_mad_i32_i24 v6, v6, v181, v184
	v_or_b32_e32 v150, v151, v150
	v_perm_b32 v151, v183, v183, 0xc0c0c01
	v_dot4_i32_iu8 v190, v192, v191, v190 neg_lo:[1,1,0]
	v_mad_i32_i24 v157, v186, v157, v205
	v_dot4_i32_iu8 v6, v192, v178, v6 neg_lo:[1,1,0]
	v_bfe_i32 v178, v173, 0, 16
	v_ashrrev_i32_e32 v132, 16, v169
	v_bfe_i32 v131, v169, 0, 16
	v_bfe_i32 v191, v249, 0, 8
	v_ashrrev_i32_e32 v173, 16, v173
	v_mad_i32_i24 v190, v199, v229, v190
	v_dot4_i32_iu8 v0, v0, v150, v157 neg_lo:[1,1,0]
	v_perm_b32 v150, v182, v180, 0xc05000c
	v_mad_i32_i24 v6, v199, v185, v6
	v_add3_u32 v128, v164, v178, v128
	v_ashrrev_i32_e32 v157, 24, v3
	v_add3_u32 v162, v162, v163, v173
	v_dot4_i32_iu8 v190, v201, v200, v190 neg_lo:[1,1,0]
	v_bfe_i32 v200, v253, 0, 16
	v_or_b32_e32 v150, v150, v151
	v_perm_b32 v151, v153, v152, 0xc0c0500
	v_perm_b32 v152, v161, v160, 0x5000c0c
	v_dot4_i32_iu8 v7, v7, v129, v128 neg_lo:[1,1,0]
	v_perm_b32 v128, v141, v140, 0xc05000c
	v_perm_b32 v129, v142, v142, 0xc0c0c01
	v_bfe_i32 v160, v3, 0, 8
	v_bfe_i32 v161, v222, 0, 8
	;; [unrolled: 1-line block ×3, first 2 shown]
	v_add3_u32 v139, v162, v139, v143
	v_mul_i32_i24_e32 v197, v200, v197
	v_ashrrev_i32_e32 v200, 24, v2
	v_dot4_i32_iu8 v6, v201, v150, v6 neg_lo:[1,1,0]
	v_or_b32_e32 v151, v152, v151
	v_mul_i32_i24_e32 v150, v166, v188
	v_or_b32_e32 v128, v128, v129
	v_bfe_i32 v129, v144, 8, 8
	v_perm_b32 v152, v220, v220, 0xc0c0c01
	v_perm_b32 v2, v2, v2, 0xc030201
	v_mul_i32_i24_e32 v153, v153, v202
	v_mad_i32_i24 v6, v202, v189, v6
	v_dot4_i32_iu8 v0, v1, v151, v0 neg_lo:[1,1,0]
	v_mul_i32_i24_e32 v130, v200, v130
	v_mul_i32_i24_e32 v129, v200, v129
	v_perm_b32 v151, v219, v218, 0xc05000c
	v_mad_i32_i24 v1, v202, v195, v190
	v_dot4_i32_iu8 v128, v187, v128, v139 neg_lo:[1,1,0]
	v_add3_u32 v6, v6, v150, v132
	v_add3_u32 v0, v0, v131, v130
	v_mul_i32_i24_e32 v130, v160, v148
	v_or_b32_e32 v151, v151, v152
	v_bfe_i32 v152, v255, 0, 16
	v_bfe_i32 v131, v174, 0, 8
	v_mad_i32_i24 v132, v194, v168, v197
	v_add3_u32 v6, v6, v129, v130
	v_perm_b32 v129, v137, v136, 0xc0c0500
	v_perm_b32 v130, v135, v134, 0x5000c0c
	v_dot4_i32_iu8 v1, v2, v151, v1 neg_lo:[1,1,0]
	s_set_vgpr_msb 1                        ;  msbs: dst=0 src0=1 src1=0 src2=0
	v_bfe_i32 v2, v1 /*v257*/, 0, 16
	v_bfe_i32 v151, v0 /*v256*/, 0, 8
	s_set_vgpr_msb 0                        ;  msbs: dst=0 src0=0 src1=0 src2=0
	v_mul_i32_i24_e32 v152, v152, v166
	v_mul_i32_i24_e32 v131, v131, v160
	v_mad_i32_i24 v134, v191, v186, v204
	v_or_b32_e32 v129, v130, v129
	v_perm_b32 v130, v147, v147, 0xc0c0c01
	v_mul_i32_i24_e32 v2, v2, v200
	v_mul_i32_i24_e32 v151, v151, v203
	v_add3_u32 v135, v196, v165, v152
	v_add3_u32 v131, v134, v153, v131
	v_dot4_i32_iu8 v129, v3, v129, v0 neg_lo:[1,1,0]
	v_perm_b32 v0, v146, v145, 0xc05000c
	v_perm_b32 v3, v3, v3, 0xc030201
	s_delay_alu instid0(VALU_DEP_2) | instskip(SKIP_1) | instid1(VALU_DEP_2)
	v_or_b32_e32 v0, v0, v130
	v_perm_b32 v130, v156, v156, 0xc0c0c01
	v_dot4_i32_iu8 v6, v3, v0, v6 neg_lo:[1,1,0]
	v_mad_i32_i24 v0, v160, v161, v1
	v_perm_b32 v1, v155, v154, 0xc05000c
	s_delay_alu instid0(VALU_DEP_1) | instskip(NEXT) | instid1(VALU_DEP_1)
	v_or_b32_e32 v1, v1, v130
	v_dot4_i32_iu8 v130, v3, v1, v0 neg_lo:[1,1,0]
	v_bfe_i32 v0, v177, 0, 16
	v_bfe_i32 v1, v176, 0, 8
	;; [unrolled: 1-line block ×3, first 2 shown]
	s_delay_alu instid0(VALU_DEP_3) | instskip(NEXT) | instid1(VALU_DEP_3)
	v_mul_i32_i24_e32 v0, v0, v157
	v_mul_i32_i24_e32 v1, v1, v159
	s_delay_alu instid0(VALU_DEP_3) | instskip(NEXT) | instid1(VALU_DEP_3)
	v_mul_i32_i24_e32 v3, v3, v158
	v_add3_u32 v0, v132, v2, v0
	s_delay_alu instid0(VALU_DEP_3) | instskip(NEXT) | instid1(VALU_DEP_2)
	v_add3_u32 v1, v133, v151, v1
	v_add3_u32 v0, v135, v3, v0
	v_pk_mul_f32 v[2:3], v[88:89], v[92:93] op_sel_hi:[0,1]
	s_delay_alu instid0(VALU_DEP_2)
	v_add3_u32 v131, v131, v1, v0
	ds_load_u16 v0, v172 offset:28402
	s_wait_dscnt 0x2
	v_lshrrev_b16 v166, 8, v138
	s_wait_dscnt 0x1
	v_lshrrev_b16 v167, 8, v149
	v_bfe_i32 v149, v149, 0, 8
	v_bfe_i32 v138, v138, 0, 8
	;; [unrolled: 1-line block ×3, first 2 shown]
	s_delay_alu instid0(VALU_DEP_4) | instskip(NEXT) | instid1(VALU_DEP_4)
	v_bfe_i32 v167, v167, 0, 8
	v_mul_lo_u32 v128, v128, v149
	s_delay_alu instid0(VALU_DEP_4) | instskip(NEXT) | instid1(VALU_DEP_2)
	v_mul_lo_u32 v7, v7, v138
	v_mad_u32 v6, v6, v167, v128
	s_delay_alu instid0(VALU_DEP_2) | instskip(SKIP_3) | instid1(VALU_DEP_2)
	v_mad_u32 v7, v129, v166, v7
	s_wait_dscnt 0x0
	v_lshrrev_b16 v1, 8, v0
	v_bfe_i32 v0, v0, 0, 8
	v_bfe_i32 v132, v1, 0, 8
	s_delay_alu instid0(VALU_DEP_2)
	v_mul_lo_u32 v5, v5, v0
	v_pk_mul_f32 v[0:1], v[88:89], v[90:91] op_sel_hi:[0,1]
	v_mad_u32 v88, v130, v95, v4
	v_add_nc_u32_e32 v89, 32, v89
	v_cvt_f32_i32_e32 v4, v7
	v_mad_u32 v90, v131, v132, v5
	v_cvt_f32_i32_e32 v5, v6
	v_cvt_f32_i32_e32 v6, v88
	s_delay_alu instid0(VALU_DEP_2) | instskip(NEXT) | instid1(VALU_DEP_4)
	v_pk_fma_f32 v[18:19], v[0:1], v[4:5], v[18:19]
	v_cvt_f32_i32_e32 v7, v90
	s_delay_alu instid0(VALU_DEP_1)
	v_pk_fma_f32 v[20:21], v[2:3], v[6:7], v[20:21]
	s_cbranch_scc1 .LBB189_35
; %bb.36:                               ;   in Loop: Header=BB189_5 Depth=1
	s_barrier_signal -1
	s_barrier_wait -1
	s_branch .LBB189_4
.LBB189_37:
	v_mov_b32_e32 v18, 0
	s_delay_alu instid0(VALU_DEP_1)
	v_dual_mov_b32 v19, v18 :: v_dual_mov_b32 v20, v18
	v_mov_b32_e32 v21, v18
.LBB189_38:
	s_mul_i32 s0, s7, s4
	s_wait_loadcnt 0x0
	v_cmp_gt_i32_e32 vcc_lo, s0, v9
	s_and_saveexec_b32 s0, vcc_lo
	s_cbranch_execz .LBB189_47
; %bb.39:
	v_mul_lo_u32 v0, v9, s6
	v_add_nc_u32_e32 v1, s18, v11
	s_mov_b32 s0, exec_lo
	s_delay_alu instid0(VALU_DEP_1)
	v_cmpx_gt_u32_e64 s6, v1
	s_cbranch_execz .LBB189_41
; %bb.40:
	s_delay_alu instid0(VALU_DEP_3)
	v_add_nc_u32_e32 v2, v0, v1
	global_store_b32 v2, v18, s[8:9] scale_offset
.LBB189_41:
	s_wait_xcnt 0x0
	s_or_b32 exec_lo, exec_lo, s0
	v_add_nc_u32_e32 v2, 32, v1
	s_mov_b32 s0, exec_lo
	s_delay_alu instid0(VALU_DEP_1)
	v_cmpx_gt_u32_e64 s6, v2
	s_cbranch_execz .LBB189_43
; %bb.42:
	v_add_nc_u32_e32 v2, v0, v2
	global_store_b32 v2, v19, s[8:9] scale_offset
.LBB189_43:
	s_wait_xcnt 0x0
	s_or_b32 exec_lo, exec_lo, s0
	v_add_nc_u32_e32 v2, 64, v1
	s_mov_b32 s0, exec_lo
	s_delay_alu instid0(VALU_DEP_1)
	v_cmpx_gt_u32_e64 s6, v2
	s_cbranch_execz .LBB189_45
; %bb.44:
	v_add_nc_u32_e32 v2, v0, v2
	global_store_b32 v2, v20, s[8:9] scale_offset
.LBB189_45:
	s_wait_xcnt 0x0
	s_or_b32 exec_lo, exec_lo, s0
	v_add_nc_u32_e32 v1, 0x60, v1
	s_delay_alu instid0(VALU_DEP_1)
	v_cmp_gt_u32_e32 vcc_lo, s6, v1
	s_and_b32 exec_lo, exec_lo, vcc_lo
	s_cbranch_execz .LBB189_47
; %bb.46:
	v_add_nc_u32_e32 v0, v0, v1
	global_store_b32 v0, v21, s[8:9] scale_offset
.LBB189_47:
	s_sendmsg sendmsg(MSG_DEALLOC_VGPRS)
	s_endpgm
	.section	.rodata,"a",@progbits
	.p2align	6, 0x0
	.amdhsa_kernel _ZL8moe_q3_KIfLb0EEvPKvS1_PT_PKiS5_S5_iiiiiii
		.amdhsa_group_segment_fixed_size 31776
		.amdhsa_private_segment_fixed_size 0
		.amdhsa_kernarg_size 76
		.amdhsa_user_sgpr_count 2
		.amdhsa_user_sgpr_dispatch_ptr 0
		.amdhsa_user_sgpr_queue_ptr 0
		.amdhsa_user_sgpr_kernarg_segment_ptr 1
		.amdhsa_user_sgpr_dispatch_id 0
		.amdhsa_user_sgpr_kernarg_preload_length 0
		.amdhsa_user_sgpr_kernarg_preload_offset 0
		.amdhsa_user_sgpr_private_segment_size 0
		.amdhsa_wavefront_size32 1
		.amdhsa_uses_dynamic_stack 0
		.amdhsa_enable_private_segment 0
		.amdhsa_system_sgpr_workgroup_id_x 1
		.amdhsa_system_sgpr_workgroup_id_y 1
		.amdhsa_system_sgpr_workgroup_id_z 0
		.amdhsa_system_sgpr_workgroup_info 0
		.amdhsa_system_vgpr_workitem_id 1
		.amdhsa_next_free_vgpr 326
		.amdhsa_next_free_sgpr 27
		.amdhsa_named_barrier_count 0
		.amdhsa_reserve_vcc 1
		.amdhsa_float_round_mode_32 0
		.amdhsa_float_round_mode_16_64 0
		.amdhsa_float_denorm_mode_32 3
		.amdhsa_float_denorm_mode_16_64 3
		.amdhsa_fp16_overflow 0
		.amdhsa_memory_ordered 1
		.amdhsa_forward_progress 1
		.amdhsa_inst_pref_size 255
		.amdhsa_round_robin_scheduling 0
		.amdhsa_exception_fp_ieee_invalid_op 0
		.amdhsa_exception_fp_denorm_src 0
		.amdhsa_exception_fp_ieee_div_zero 0
		.amdhsa_exception_fp_ieee_overflow 0
		.amdhsa_exception_fp_ieee_underflow 0
		.amdhsa_exception_fp_ieee_inexact 0
		.amdhsa_exception_int_div_zero 0
	.end_amdhsa_kernel
	.section	.text._ZL8moe_q3_KIfLb0EEvPKvS1_PT_PKiS5_S5_iiiiiii,"axG",@progbits,_ZL8moe_q3_KIfLb0EEvPKvS1_PT_PKiS5_S5_iiiiiii,comdat
.Lfunc_end189:
	.size	_ZL8moe_q3_KIfLb0EEvPKvS1_PT_PKiS5_S5_iiiiiii, .Lfunc_end189-_ZL8moe_q3_KIfLb0EEvPKvS1_PT_PKiS5_S5_iiiiiii
                                        ; -- End function
	.set _ZL8moe_q3_KIfLb0EEvPKvS1_PT_PKiS5_S5_iiiiiii.num_vgpr, 326
	.set _ZL8moe_q3_KIfLb0EEvPKvS1_PT_PKiS5_S5_iiiiiii.num_agpr, 0
	.set _ZL8moe_q3_KIfLb0EEvPKvS1_PT_PKiS5_S5_iiiiiii.numbered_sgpr, 27
	.set _ZL8moe_q3_KIfLb0EEvPKvS1_PT_PKiS5_S5_iiiiiii.num_named_barrier, 0
	.set _ZL8moe_q3_KIfLb0EEvPKvS1_PT_PKiS5_S5_iiiiiii.private_seg_size, 0
	.set _ZL8moe_q3_KIfLb0EEvPKvS1_PT_PKiS5_S5_iiiiiii.uses_vcc, 1
	.set _ZL8moe_q3_KIfLb0EEvPKvS1_PT_PKiS5_S5_iiiiiii.uses_flat_scratch, 0
	.set _ZL8moe_q3_KIfLb0EEvPKvS1_PT_PKiS5_S5_iiiiiii.has_dyn_sized_stack, 0
	.set _ZL8moe_q3_KIfLb0EEvPKvS1_PT_PKiS5_S5_iiiiiii.has_recursion, 0
	.set _ZL8moe_q3_KIfLb0EEvPKvS1_PT_PKiS5_S5_iiiiiii.has_indirect_call, 0
	.section	.AMDGPU.csdata,"",@progbits
; Kernel info:
; codeLenInByte = 37204
; TotalNumSgprs: 29
; NumVgprs: 326
; ScratchSize: 0
; MemoryBound: 0
; FloatMode: 240
; IeeeMode: 1
; LDSByteSize: 31776 bytes/workgroup (compile time only)
; SGPRBlocks: 0
; VGPRBlocks: 20
; NumSGPRsForWavesPerEU: 29
; NumVGPRsForWavesPerEU: 326
; NamedBarCnt: 0
; Occupancy: 3
; WaveLimiterHint : 1
; COMPUTE_PGM_RSRC2:SCRATCH_EN: 0
; COMPUTE_PGM_RSRC2:USER_SGPR: 2
; COMPUTE_PGM_RSRC2:TRAP_HANDLER: 0
; COMPUTE_PGM_RSRC2:TGID_X_EN: 1
; COMPUTE_PGM_RSRC2:TGID_Y_EN: 1
; COMPUTE_PGM_RSRC2:TGID_Z_EN: 0
; COMPUTE_PGM_RSRC2:TIDIG_COMP_CNT: 1
	.section	.text._ZL8moe_q3_KIfLb1EEvPKvS1_PT_PKiS5_S5_iiiiiii,"axG",@progbits,_ZL8moe_q3_KIfLb1EEvPKvS1_PT_PKiS5_S5_iiiiiii,comdat
	.globl	_ZL8moe_q3_KIfLb1EEvPKvS1_PT_PKiS5_S5_iiiiiii ; -- Begin function _ZL8moe_q3_KIfLb1EEvPKvS1_PT_PKiS5_S5_iiiiiii
	.p2align	8
	.type	_ZL8moe_q3_KIfLb1EEvPKvS1_PT_PKiS5_S5_iiiiiii,@function
_ZL8moe_q3_KIfLb1EEvPKvS1_PT_PKiS5_S5_iiiiiii: ; @_ZL8moe_q3_KIfLb1EEvPKvS1_PT_PKiS5_S5_iiiiiii
; %bb.0:
	s_load_b128 s[4:7], s[0:1], 0x18
	s_bfe_u32 s2, ttmp6, 0x40010
	s_bfe_u32 s8, ttmp6, 0x40004
	s_add_co_i32 s2, s2, 1
	s_delay_alu instid0(SALU_CYCLE_1)
	s_mul_i32 s3, ttmp7, s2
	s_getreg_b32 s2, hwreg(HW_REG_IB_STS2, 6, 4)
	s_add_co_i32 s8, s8, s3
	s_cmp_eq_u32 s2, 0
	s_cselect_b32 s3, ttmp7, s8
	s_wait_kmcnt 0x0
	s_load_b32 s14, s[6:7], s3 offset:0x0 scale_offset
	s_wait_kmcnt 0x0
	s_cmp_gt_u32 s14, 0xff
	s_cbranch_scc1 .LBB190_47
; %bb.1:
	s_load_b64 s[6:7], s[0:1], 0x28
	s_lshl_b32 s3, s3, 3
	s_wait_kmcnt 0x0
	s_load_b32 s6, s[6:7], 0x0
	s_wait_kmcnt 0x0
	s_cmp_gt_u32 s3, s6
	s_cbranch_scc1 .LBB190_47
; %bb.2:
	v_bfe_u32 v1, v0, 10, 10
	s_and_b32 s11, ttmp6, 15
	v_and_b32_e32 v13, 0x3ff, v0
	s_mov_b32 s15, 0
	s_delay_alu instid0(VALU_DEP_2) | instskip(SKIP_1) | instid1(SALU_CYCLE_1)
	v_add_nc_u32_e32 v2, s3, v1
	s_bfe_u32 s3, ttmp6, 0x4000c
	s_add_co_i32 s3, s3, 1
	s_delay_alu instid0(SALU_CYCLE_1)
	s_mul_i32 s3, ttmp9, s3
	global_load_b32 v9, v2, s[4:5] scale_offset
	s_wait_xcnt 0x0
	s_clause 0x2
	s_load_b128 s[4:7], s[0:1], 0x30
	s_load_b64 s[12:13], s[0:1], 0x10
	s_load_b96 s[8:10], s[0:1], 0x40
	s_add_co_i32 s11, s11, s3
	s_cmp_eq_u32 s2, 0
	s_cselect_b32 s2, ttmp9, s11
	s_delay_alu instid0(SALU_CYCLE_1)
	s_lshl_b32 s11, s2, 7
	s_wait_kmcnt 0x0
	s_cmp_lt_i32 s5, 0x100
	s_cbranch_scc1 .LBB190_37
; %bb.3:
	v_dual_lshlrev_b32 v2, 4, v1 :: v_dual_bitop2_b32 v5, 15, v0 bitop3:0x40
	v_bfe_u32 v3, v0, 1, 9
	s_load_b128 s[0:3], s[0:1], 0x0
	s_mul_i32 s18, s14, s4
	v_mov_b32_e32 v11, 0
	s_not_b32 s4, s11
	v_add_nc_u32_e32 v4, v3, v2
	s_add_co_i32 s14, s6, s4
	v_bfe_u32 v8, v0, 4, 6
	s_abs_i32 s20, s10
	s_ashr_i32 s19, s18, 31
	v_and_b32_e32 v4, 0x7f, v4
	v_add_nc_u32_e32 v52, 0x60, v13
	v_lshl_add_u32 v15, v1, 1, v8
	v_lshlrev_b32_e32 v10, 2, v5
	v_dual_add_nc_u32 v54, 64, v13 :: v_dual_add_nc_u32 v56, 32, v13
	v_min_i32_e32 v4, s14, v4
	s_delay_alu instid0(VALU_DEP_4)
	v_add_min_i32_e64 v62, v15, 16, s14
	v_min_i32_e32 v7, s14, v1
	v_add_min_i32_e64 v68, v15, 64, s14
	v_add_min_i32_e64 v64, v15, 32, s14
	v_ashrrev_i32_e32 v6, 31, v4
	v_and_b32_e32 v12, 1, v0
	s_wait_kmcnt 0x0
	s_add_nc_u64 s[18:19], s[0:1], s[18:19]
	s_cvt_f32_u32 s0, s20
	s_sub_co_i32 s1, 0, s20
	v_lshrrev_b32_e32 v6, 28, v6
	v_add_min_i32_e64 v66, v15, 48, s14
	v_rcp_iflag_f32_e32 v17, s0
	v_lshlrev_b32_e32 v14, 2, v12
	v_add_min_i32_e64 v70, 0x50, v15, s14
	v_add_nc_u32_e32 v6, v4, v6
	v_add_min_i32_e64 v72, 0x60, v15, s14
	v_dual_lshlrev_b32 v40, 6, v64 :: v_dual_min_i32 v60, s14, v15
	s_delay_alu instid0(VALU_DEP_4) | instskip(NEXT) | instid1(VALU_DEP_4)
	v_lshrrev_b32_e32 v26, 31, v70
	v_ashrrev_i32_e32 v6, 4, v6
	v_readfirstlane_b32 s0, v17
	s_delay_alu instid0(VALU_DEP_4)
	v_lshrrev_b32_e32 v16, 31, v60
	v_add_min_i32_e64 v74, 0x70, v15, s14
	v_add_lshl_u32 v26, v70, v26, 1
	v_lshlrev_b32_e32 v6, 2, v6
	s_mul_f32 s0, s0, 0x4f7ffffe
	v_add_lshl_u32 v16, v60, v16, 1
	v_and_b32_e32 v86, 7, v0
	v_dual_lshlrev_b32 v44, 6, v68 :: v_dual_bitop2_b32 v26, -4, v26 bitop3:0x40
	s_cvt_u32_f32 s0, s0
	s_wait_loadcnt 0x0
	v_dual_sub_nc_u32 v21, 0, v9 :: v_dual_bitop2_b32 v16, -4, v16 bitop3:0x40
	v_add3_u32 v6, v6, v14, 0x7380
	s_mul_i32 s1, s1, s0
	v_lshrrev_b32_e32 v14, 31, v62
	s_mul_hi_u32 s1, s0, s1
	v_dual_lshrrev_b32 v25, 31, v68 :: v_dual_max_i32 v21, v9, v21
	s_add_co_i32 s0, s0, s1
	s_delay_alu instid0(VALU_DEP_2) | instskip(SKIP_1) | instid1(VALU_DEP_3)
	v_add_lshl_u32 v19, v62, v14, 1
	v_lshrrev_b32_e32 v20, 31, v64
	v_mul_hi_u32 v23, v21, s0
	v_lshrrev_b32_e32 v22, 31, v66
	v_add3_u32 v15, v26, v10, 0x4200
	v_dual_lshlrev_b32 v19, 6, v60 :: v_dual_bitop2_b32 v17, -4, v19 bitop3:0x40
	v_lshrrev_b32_e32 v29, 31, v72
	s_delay_alu instid0(VALU_DEP_4) | instskip(SKIP_2) | instid1(VALU_DEP_4)
	v_add_lshl_u32 v22, v66, v22, 1
	v_dual_lshlrev_b32 v18, 3, v4 :: v_dual_lshlrev_b32 v14, 2, v86
	v_add_lshl_u32 v20, v64, v20, 1
	v_add_lshl_u32 v29, v72, v29, 1
	v_mul_lo_u32 v27, v23, s20
	v_and_b32_e32 v22, -4, v22
	v_add_lshl_u32 v25, v68, v25, 1
	v_and_b32_e32 v37, 0xfc, v0
	v_add3_u32 v16, v16, v10, 0x4200
	v_add3_u32 v17, v17, v10, 0x4200
	v_dual_lshlrev_b32 v24, 6, v62 :: v_dual_bitop2_b32 v20, -4, v20 bitop3:0x40
	v_dual_lshlrev_b32 v42, 6, v66 :: v_dual_bitop2_b32 v25, -4, v25 bitop3:0x40
	v_dual_sub_nc_u32 v21, v21, v27 :: v_dual_bitop2_b32 v26, -4, v29 bitop3:0x40
	v_dual_add_nc_u32 v27, 1, v23 :: v_dual_lshrrev_b32 v29, 31, v74
	s_delay_alu instid0(VALU_DEP_4) | instskip(SKIP_1) | instid1(VALU_DEP_4)
	v_add3_u32 v20, v20, v10, 0x4200
	v_add3_u32 v22, v22, v10, 0x4200
	v_cmp_le_u32_e32 vcc_lo, s20, v21
	v_lshlrev_b32_e32 v46, 6, v70
	v_subrev_nc_u32_e32 v31, s20, v21
	v_add3_u32 v25, v25, v10, 0x4200
	v_add3_u32 v26, v26, v10, 0x4200
	v_cndmask_b32_e32 v23, v23, v27, vcc_lo
	v_add_lshl_u32 v27, v74, v29, 1
	v_dual_cndmask_b32 v21, v21, v31, vcc_lo :: v_dual_bitop2_b32 v29, s10, v9 bitop3:0x14
	s_ashr_i32 s17, s8, 31
	s_delay_alu instid0(VALU_DEP_3) | instskip(NEXT) | instid1(VALU_DEP_3)
	v_add_nc_u32_e32 v31, 1, v23
	v_and_b32_e32 v33, -4, v27
	v_bfe_u32 v27, v0, 3, 7
	v_cmp_le_u32_e32 vcc_lo, s20, v21
	v_dual_ashrrev_i32 v29, 31, v29 :: v_dual_lshlrev_b32 v50, 6, v74
	s_lshr_b32 s6, s17, 27
	s_delay_alu instid0(VALU_DEP_3) | instskip(SKIP_3) | instid1(VALU_DEP_4)
	v_lshl_add_u32 v45, v1, 2, v27
	v_dual_cndmask_b32 v21, v23, v31, vcc_lo :: v_dual_lshlrev_b32 v23, 6, v72
	v_add3_u32 v48, v33, v10, 0x4200
	v_and_b32_e32 v31, 0x1fc, v54
	v_min_i32_e32 v76, s14, v45
	v_lshlrev_b32_e32 v35, 5, v13
	v_and_b32_e32 v33, 0x1fc, v56
	v_add_nc_u32_e32 v39, v16, v19
	v_add_min_i32_e64 v80, v45, 64, s14
	v_dual_ashrrev_i32 v41, 31, v76 :: v_dual_bitop2_b32 v21, v21, v29 bitop3:0x14
	s_delay_alu instid0(VALU_DEP_4) | instskip(SKIP_1) | instid1(VALU_DEP_3)
	v_dual_add_nc_u32 v31, v35, v31 :: v_dual_add_nc_u32 v33, v35, v33
	v_add_min_i32_e64 v82, 0x60, v45, s14
	v_dual_lshrrev_b32 v16, 30, v41 :: v_dual_add_nc_u32 v41, v17, v24
	s_delay_alu instid0(VALU_DEP_4) | instskip(SKIP_4) | instid1(VALU_DEP_3)
	v_sub_nc_u32_e32 v21, v21, v29
	v_and_b32_e32 v29, 0x1fc, v52
	v_ashrrev_i32_e32 v19, 31, v80
	v_add_nc_u32_e32 v47, v25, v44
	s_add_co_i32 s6, s8, s6
	v_dual_add_nc_u32 v43, v20, v40 :: v_dual_add_nc_u32 v29, v35, v29
	v_dual_add_nc_u32 v35, v35, v37 :: v_dual_add_nc_u32 v37, v6, v18
	v_add_min_i32_e64 v6, v45, 32, s14
	v_add_nc_u32_e32 v45, v22, v42
	v_dual_ashrrev_i32 v20, 31, v82 :: v_dual_bitop2_b32 v18, 3, v0 bitop3:0x40
	v_dual_add_nc_u32 v51, v26, v23 :: v_dual_lshlrev_b32 v22, 5, v76
	s_delay_alu instid0(VALU_DEP_4) | instskip(NEXT) | instid1(VALU_DEP_3)
	v_dual_ashrrev_i32 v17, 31, v6 :: v_dual_add_nc_u32 v16, v76, v16
	v_dual_lshrrev_b32 v19, 30, v19 :: v_dual_lshrrev_b32 v20, 30, v20
	s_delay_alu instid0(VALU_DEP_4) | instskip(NEXT) | instid1(VALU_DEP_3)
	v_cmp_gt_u32_e32 vcc_lo, 2, v18
	v_dual_lshrrev_b32 v17, 30, v17 :: v_dual_add_nc_u32 v49, v15, v46
	s_delay_alu instid0(VALU_DEP_3) | instskip(NEXT) | instid1(VALU_DEP_4)
	v_dual_add_nc_u32 v19, v80, v19 :: v_dual_bitop2_b32 v16, -4, v16 bitop3:0x40
	v_add_nc_u32_e32 v20, v82, v20
	s_delay_alu instid0(VALU_DEP_3) | instskip(SKIP_1) | instid1(VALU_DEP_4)
	v_add_nc_u32_e32 v17, v6, v17
	v_add_nc_u16 v15, v18, -2
	v_add3_u32 v16, v16, v14, 0x6300
	v_dual_add_nc_u32 v53, v48, v50 :: v_dual_bitop2_b32 v19, -4, v19 bitop3:0x40
	s_delay_alu instid0(VALU_DEP_4) | instskip(SKIP_2) | instid1(VALU_DEP_4)
	v_and_b32_e32 v17, -4, v17
	v_dual_lshlrev_b32 v23, 5, v6 :: v_dual_bitop2_b32 v20, -4, v20 bitop3:0x40
	v_cndmask_b32_e32 v15, v15, v18, vcc_lo
	v_add3_u32 v19, v19, v14, 0x6300
	s_delay_alu instid0(VALU_DEP_4) | instskip(SKIP_3) | instid1(VALU_DEP_4)
	v_add3_u32 v17, v17, v14, 0x6300
	v_dual_add_nc_u32 v55, v16, v22 :: v_dual_lshlrev_b32 v16, 5, v80
	v_add3_u32 v20, v20, v14, 0x6300
	v_and_b32_e32 v22, 0xff, v15
	v_dual_add_nc_u32 v57, v17, v23 :: v_dual_lshlrev_b32 v17, 5, v82
	s_delay_alu instid0(VALU_DEP_4) | instskip(SKIP_1) | instid1(VALU_DEP_3)
	v_dual_add_nc_u32 v59, v19, v16 :: v_dual_lshlrev_b32 v63, 1, v18
	v_dual_lshlrev_b32 v19, 2, v13 :: v_dual_bitop2_b32 v18, 31, v0 bitop3:0x40
	v_dual_add_nc_u32 v61, v20, v17 :: v_dual_mov_b32 v17, v11
	s_ashr_i32 s6, s6, 5
	v_add_min_i32_e64 v28, v1, 8, s14
	v_add_min_i32_e64 v30, v1, 16, s14
	;; [unrolled: 1-line block ×7, first 2 shown]
	v_dual_mov_b32 v15, v11 :: v_dual_lshlrev_b32 v16, 2, v22
	v_add_min_i32_e64 v42, v1, 64, s14
	v_add_min_i32_e64 v44, 0x48, v1, s14
	;; [unrolled: 1-line block ×6, first 2 shown]
	v_lshl_add_u32 v65, v1, 7, 0x77a0
	v_add_min_i32_e64 v78, 0x70, v1, s14
	v_add_min_i32_e64 v84, 0x78, v1, s14
	v_dual_mov_b32 v1, v11 :: v_dual_bitop2_b32 v0, 28, v19 bitop3:0x40
	v_dual_mov_b32 v20, v11 :: v_dual_add_nc_u32 v69, 0x7ba0, v2
	v_mul_lo_u32 v22, v21, s6
	s_ashr_i32 s16, s5, 31
	v_lshl_add_u32 v67, v18, 2, v65
	s_lshr_b32 s4, s16, 24
	v_dual_add_nc_u32 v103, v69, v19 :: v_dual_lshlrev_b32 v2, 4, v56
	v_dual_lshrrev_b32 v26, 1, v56 :: v_dual_lshlrev_b32 v88, 1, v56
	v_dual_lshrrev_b32 v89, 4, v56 :: v_dual_lshrrev_b32 v104, 3, v56
	v_dual_lshlrev_b32 v56, 4, v54 :: v_dual_lshrrev_b32 v90, 1, v54
	v_dual_lshlrev_b32 v91, 1, v54 :: v_dual_lshrrev_b32 v92, 4, v54
	v_dual_lshrrev_b32 v105, 3, v54 :: v_dual_lshlrev_b32 v54, 4, v52
	v_mul_u32_u24_e32 v18, 33, v13
	v_add_nc_u64_e32 v[24:25], s[2:3], v[0:1]
	v_lshlrev_b32_e32 v1, 1, v13
	s_add_co_i32 s4, s5, s4
	v_cmp_lt_u32_e64 s1, 7, v5
	s_ashr_i32 s4, s4, 8
	v_mad_u32 v71, 0x84, v7, v19
	v_mad_u32 v73, 0x84, v28, v19
	;; [unrolled: 1-line block ×16, first 2 shown]
	v_dual_lshrrev_b32 v93, 1, v52 :: v_dual_lshlrev_b32 v94, 1, v52
	v_dual_lshrrev_b32 v95, 4, v52 :: v_dual_lshrrev_b32 v106, 3, v52
	v_dual_mov_b32 v18, v11 :: v_dual_lshlrev_b32 v107, 2, v18
	v_dual_lshlrev_b32 v111, 2, v1 :: v_dual_lshlrev_b32 v112, 2, v26
	v_dual_lshlrev_b32 v117, 2, v56 :: v_dual_lshlrev_b32 v119, 2, v91
	s_delay_alu instid0(VALU_DEP_4)
	v_dual_lshlrev_b32 v121, 2, v54 :: v_dual_lshlrev_b32 v122, 2, v95
	v_mul_lo_u32 v26, v7, s4
	v_mul_lo_u32 v28, v28, s4
	v_mul_lo_u32 v30, v30, s4
	v_mul_lo_u32 v32, v32, s4
	v_mul_lo_u32 v34, v34, s4
	v_mul_lo_u32 v36, v36, s4
	v_mul_lo_u32 v38, v38, s4
	v_mul_lo_u32 v40, v40, s4
	v_mul_lo_u32 v42, v42, s4
	v_mul_lo_u32 v44, v44, s4
	v_mul_lo_u32 v46, v46, s4
	v_mul_lo_u32 v48, v48, s4
	v_mul_lo_u32 v50, v50, s4
	v_mul_lo_u32 v52, v58, s4
	v_mul_lo_u32 v54, v78, s4
	v_mul_lo_u32 v56, v84, s4
	v_mul_lo_u32 v58, v4, s4
	v_mul_lo_u32 v60, v60, s4
	v_mul_lo_u32 v62, v62, s4
	v_mul_lo_u32 v64, v64, s4
	v_mul_lo_u32 v66, v66, s4
	v_mul_lo_u32 v68, v68, s4
	v_mul_lo_u32 v70, v70, s4
	v_mul_lo_u32 v72, v72, s4
	v_mul_lo_u32 v74, v74, s4
	v_mul_lo_u32 v76, v76, s4
	v_mul_lo_u32 v78, v6, s4
	v_mul_lo_u32 v80, v80, s4
	v_mul_lo_u32 v82, v82, s4
	v_dual_ashrrev_i32 v23, 31, v22 :: v_dual_lshlrev_b32 v0, 4, v13
	v_cndmask_b32_e64 v84, 0, 1, s1
	v_cmp_lt_u32_e64 s1, 3, v86
	s_mul_i32 s16, s4, s11
	v_cmp_gt_u32_e32 vcc_lo, 4, v13
	v_cmp_gt_i32_e64 s0, s7, v21
	s_ashr_i32 s17, s16, 31
	v_dual_mov_b32 v21, v11 :: v_dual_mov_b32 v19, v11
	v_dual_lshlrev_b32 v108, 2, v3 :: v_dual_lshlrev_b32 v109, 2, v0
	v_dual_lshlrev_b32 v113, 2, v2 :: v_dual_bitop2_b32 v110, 4, v1 bitop3:0x40
	v_dual_lshlrev_b32 v114, 2, v89 :: v_dual_lshlrev_b32 v115, 2, v88
	v_dual_lshlrev_b32 v116, 2, v90 :: v_dual_lshlrev_b32 v118, 2, v92
	v_dual_lshlrev_b32 v120, 2, v93 :: v_dual_lshlrev_b32 v123, 2, v94
	v_lshlrev_b32_e32 v127, 2, v8
	v_add_nc_u32_e32 v124, 0x6f00, v29
	v_add_nc_u32_e32 v125, 0x6700, v33
	;; [unrolled: 1-line block ×3, first 2 shown]
	v_cndmask_b32_e64 v86, 0, 1, s1
	s_mul_u64 s[16:17], s[16:17], 0x6e
	s_and_b32 s8, vcc_lo, s0
	s_add_nc_u64 s[16:17], s[18:19], s[16:17]
	s_mov_b32 s14, s15
	s_branch .LBB190_5
.LBB190_4:                              ;   in Loop: Header=BB190_5 Depth=1
	s_add_co_i32 s14, s14, 2
	s_delay_alu instid0(SALU_CYCLE_1)
	s_cmp_ge_i32 s14, s4
	s_cbranch_scc1 .LBB190_38
.LBB190_5:                              ; =>This Loop Header: Depth=1
                                        ;     Child Loop BB190_11 Depth 2
                                        ;     Child Loop BB190_19 Depth 2
	;; [unrolled: 1-line block ×4, first 2 shown]
	s_mul_u64 s[18:19], s[14:15], 0x6e
	s_delay_alu instid0(SALU_CYCLE_1) | instskip(NEXT) | instid1(SALU_CYCLE_1)
	s_add_nc_u64 s[18:19], s[16:17], s[18:19]
	v_mad_nc_u64_u32 v[0:1], 0x6e, v8, s[18:19]
	v_mad_nc_i64_i32 v[2:3], 0x6e, v58, s[18:19]
	v_mad_nc_u64_u32 v[4:5], 0x6e, v84, s[18:19]
	v_mad_nc_u64_u32 v[6:7], 0x6e, v86, s[18:19]
	s_lshl_b32 s18, s14, 8
	s_delay_alu instid0(SALU_CYCLE_1) | instskip(NEXT) | instid1(VALU_DEP_4)
	s_cmp_lt_i32 s18, s5
	v_mad_nc_i64_i32 v[88:89], 0x6e, v26, v[0:1]
	v_mad_nc_i64_i32 v[90:91], 0x6e, v28, v[0:1]
	;; [unrolled: 1-line block ×9, first 2 shown]
	v_mad_nc_u64_u32 v[2:3], 0x6e, v12, v[2:3]
	v_mad_nc_i64_i32 v[138:139], 0x6e, v44, v[0:1]
	v_add_nc_u64_e32 v[88:89], v[88:89], v[10:11]
	v_add_nc_u64_e32 v[90:91], v[90:91], v[10:11]
	;; [unrolled: 1-line block ×3, first 2 shown]
	v_mad_nc_i64_i32 v[140:141], 0x6e, v46, v[0:1]
	v_add_nc_u64_e32 v[94:95], v[94:95], v[10:11]
	v_mad_nc_i64_i32 v[142:143], 0x6e, v48, v[0:1]
	v_add_nc_u64_e32 v[128:129], v[128:129], v[10:11]
	v_add_nc_u64_e32 v[130:131], v[130:131], v[10:11]
	;; [unrolled: 1-line block ×5, first 2 shown]
	s_clause 0x7
	global_load_b32 v152, v[88:89], off offset:32
	global_load_b32 v153, v[90:91], off offset:32
	global_load_b32 v154, v[92:93], off offset:32
	global_load_b32 v155, v[94:95], off offset:32
	global_load_b32 v156, v[128:129], off offset:32
	global_load_b32 v157, v[130:131], off offset:32
	global_load_b32 v158, v[132:133], off offset:32
	global_load_b32 v159, v[134:135], off offset:32
	s_wait_xcnt 0x6
	v_mad_nc_i64_i32 v[90:91], 0x6e, v50, v[0:1]
	s_wait_xcnt 0x5
	v_mad_nc_i64_i32 v[92:93], 0x6e, v52, v[0:1]
	;; [unrolled: 2-line block ×3, first 2 shown]
	v_mad_nc_i64_i32 v[0:1], 0x6e, v56, v[0:1]
	s_wait_xcnt 0x0
	v_mad_nc_i64_i32 v[134:135], 0x6e, v80, v[6:7]
	v_mad_nc_i64_i32 v[148:149], 0x6e, v76, v[6:7]
	v_add_nc_u64_e32 v[88:89], v[136:137], v[10:11]
	v_mad_nc_i64_i32 v[136:137], 0x6e, v82, v[6:7]
	global_load_u16 v160, v[2:3], off offset:108
	s_wait_xcnt 0x0
	v_mad_nc_i64_i32 v[2:3], 0x6e, v60, v[4:5]
	v_add_nc_u64_e32 v[128:129], v[138:139], v[10:11]
	v_mad_nc_i64_i32 v[138:139], 0x6e, v62, v[4:5]
	v_mad_nc_i64_i32 v[6:7], 0x6e, v78, v[6:7]
	v_add_nc_u64_e32 v[130:131], v[140:141], v[10:11]
	v_mad_nc_i64_i32 v[140:141], 0x6e, v64, v[4:5]
	v_add_nc_u64_e32 v[132:133], v[142:143], v[10:11]
	v_mad_nc_i64_i32 v[142:143], 0x6e, v66, v[4:5]
	v_mad_nc_i64_i32 v[144:145], 0x6e, v68, v[4:5]
	;; [unrolled: 1-line block ×3, first 2 shown]
	v_add_nc_u64_e32 v[90:91], v[90:91], v[10:11]
	v_mad_nc_i64_i32 v[150:151], 0x6e, v72, v[4:5]
	v_add_nc_u64_e32 v[92:93], v[92:93], v[10:11]
	v_add_nc_u64_e32 v[94:95], v[94:95], v[10:11]
	;; [unrolled: 1-line block ×3, first 2 shown]
	s_clause 0x9
	global_load_b32 v161, v[134:135], off offset:104
	global_load_b32 v162, v[136:137], off offset:104
	;; [unrolled: 1-line block ×10, first 2 shown]
	s_wait_xcnt 0x0
	v_add_nc_u64_e32 v[0:1], v[148:149], v[16:17]
	v_add_nc_u64_e32 v[90:91], v[134:135], v[16:17]
	s_clause 0x6
	global_load_b32 v92, v[2:3], off
	global_load_b32 v93, v[138:139], off
	global_load_b32 v94, v[140:141], off
	global_load_b32 v95, v[142:143], off
	global_load_b32 v128, v[144:145], off
	global_load_b32 v129, v[146:147], off
	global_load_b32 v130, v[150:151], off
	s_wait_xcnt 0x6
	v_mad_nc_i64_i32 v[2:3], 0x6e, v74, v[4:5]
	v_add_nc_u64_e32 v[88:89], v[6:7], v[16:17]
	v_add_nc_u64_e32 v[4:5], v[136:137], v[16:17]
	s_clause 0x6
	global_load_b32 v131, v[0:1], off offset:96
	global_load_b32 v132, v[6:7], off offset:104
	;; [unrolled: 1-line block ×6, first 2 shown]
	global_load_b32 v137, v[2:3], off
	s_wait_loadcnt 0x20
	ds_store_b32 v71, v152
	s_wait_loadcnt 0x1f
	ds_store_b32 v73, v153
	;; [unrolled: 2-line block ×16, first 2 shown]
	s_wait_xcnt 0x0
	v_cvt_f32_f16_e64 v2, v160
	s_wait_loadcnt 0xd
	v_not_b32_e32 v3, v92
	s_wait_loadcnt 0x6
	v_ashrrev_i32_e32 v90, v110, v131
	v_not_b32_e32 v4, v93
	s_wait_loadcnt 0x3
	v_dual_ashrrev_i32 v93, v63, v132 :: v_dual_ashrrev_i32 v92, v110, v134
	s_wait_loadcnt 0x2
	v_dual_ashrrev_i32 v91, v63, v135 :: v_dual_ashrrev_i32 v0, v63, v161
	v_ashrrev_i32_e32 v1, v63, v162
	v_not_b32_e32 v5, v94
	v_ashrrev_i32_e32 v94, v110, v133
	v_not_b32_e32 v6, v95
	s_wait_loadcnt 0x1
	v_ashrrev_i32_e32 v95, v110, v136
	v_not_b32_e32 v7, v128
	ds_store_b32 v37, v2
	ds_store_b32 v39, v3
	;; [unrolled: 1-line block ×6, first 2 shown]
	v_and_b32_e32 v2, 0xf0f0f0f, v90
	v_dual_lshlrev_b32 v3, 4, v91 :: v_dual_lshlrev_b32 v5, 4, v93
	v_and_b32_e32 v4, 0xf0f0f0f, v92
	v_dual_lshlrev_b32 v0, 4, v0 :: v_dual_lshlrev_b32 v1, 4, v1
	v_and_b32_e32 v6, 0xf0f0f0f, v94
	v_and_b32_e32 v7, 0xf0f0f0f, v95
	v_and_or_b32 v2, 0x30303030, v3, v2
	v_and_or_b32 v3, 0x30303030, v5, v4
	v_not_b32_e32 v88, v129
	v_and_or_b32 v0, 0x30303030, v0, v6
	v_and_or_b32 v1, 0x30303030, v1, v7
	v_lshlrev_b16 v4, 8, v2
	v_dual_lshrrev_b32 v5, 16, v2 :: v_dual_lshrrev_b32 v7, 16, v3
	v_lshlrev_b16 v6, 8, v3
	ds_store_b32 v49, v88
	v_lshlrev_b16 v88, 8, v0
	v_dual_lshrrev_b32 v90, 16, v0 :: v_dual_lshrrev_b32 v92, 16, v1
	v_add_nc_u16 v4, 0xe000, v4
	v_lshlrev_b16 v93, 8, v5
	v_add_nc_u16 v6, 0xe000, v6
	v_lshlrev_b16 v94, 8, v7
	;; [unrolled: 2-line block ×3, first 2 shown]
	v_lshlrev_b16 v91, 8, v1
	v_lshlrev_b16 v129, 8, v92
	v_lshrrev_b16 v4, 8, v4
	v_add_nc_u16 v93, 0xe000, v93
	v_lshrrev_b16 v6, 8, v6
	v_add_nc_u16 v94, 0xe000, v94
	;; [unrolled: 2-line block ×3, first 2 shown]
	v_add_nc_u16 v91, 0xe000, v91
	v_add_nc_u16 v129, 0xe000, v129
	v_bitop3_b16 v2, v2, v4, 0x3f00 bitop3:0xec
	v_lshrrev_b16 v4, 8, v93
	v_bitop3_b16 v3, v3, v6, 0x3f00 bitop3:0xec
	v_lshrrev_b16 v6, 8, v94
	;; [unrolled: 2-line block ×3, first 2 shown]
	v_lshrrev_b16 v91, 8, v91
	v_lshrrev_b16 v93, 8, v129
	v_bitop3_b16 v4, v5, v4, 0x3f00 bitop3:0xec
	v_bitop3_b16 v5, v7, v6, 0x3f00 bitop3:0xec
	;; [unrolled: 1-line block ×5, first 2 shown]
	v_add_nc_u16 v2, 0xe000, v2
	v_add_nc_u16 v4, 0xe000, v4
	v_add_nc_u16 v3, 0xe000, v3
	v_add_nc_u16 v5, 0xe000, v5
	v_add_nc_u16 v0, 0xe000, v0
	v_add_nc_u16 v6, 0xe000, v6
	v_add_nc_u16 v1, 0xe000, v1
	v_add_nc_u16 v7, 0xe000, v7
	v_and_b32_e32 v2, 0xffff, v2
	v_dual_lshlrev_b32 v4, 16, v4 :: v_dual_lshlrev_b32 v5, 16, v5
	v_and_b32_e32 v3, 0xffff, v3
	v_and_b32_e32 v0, 0xffff, v0
	v_dual_lshlrev_b32 v6, 16, v6 :: v_dual_lshlrev_b32 v7, 16, v7
	v_and_b32_e32 v1, 0xffff, v1
	v_not_b32_e32 v89, v130
	s_wait_loadcnt 0x0
	v_not_b32_e32 v128, v137
	v_or_b32_e32 v2, v2, v4
	v_or_b32_e32 v3, v3, v5
	;; [unrolled: 1-line block ×4, first 2 shown]
	ds_store_b32 v51, v89
	ds_store_b32 v53, v128
	;; [unrolled: 1-line block ×6, first 2 shown]
	s_cbranch_scc0 .LBB190_4
; %bb.6:                                ;   in Loop: Header=BB190_5 Depth=1
	s_lshl_b32 s19, s14, 3
	s_delay_alu instid0(SALU_CYCLE_1) | instskip(NEXT) | instid1(VALU_DEP_1)
	v_add_nc_u32_e32 v0, s19, v27
	v_cmp_gt_i32_e64 s1, s6, v0
	s_and_b32 s20, s0, s1
	s_delay_alu instid0(SALU_CYCLE_1)
	s_and_saveexec_b32 s1, s20
	s_cbranch_execz .LBB190_8
; %bb.7:                                ;   in Loop: Header=BB190_5 Depth=1
	v_add_nc_u32_e32 v0, v22, v0
	s_delay_alu instid0(VALU_DEP_1)
	v_mad_nc_i64_i32 v[0:1], v0, 36, v[24:25]
	global_load_b32 v0, v[0:1], off offset:4
	s_wait_loadcnt 0x0
	ds_store_b32 v67, v0
.LBB190_8:                              ;   in Loop: Header=BB190_5 Depth=1
	s_or_b32 exec_lo, exec_lo, s1
	v_add_nc_u32_e32 v88, s19, v13
	s_delay_alu instid0(VALU_DEP_1) | instskip(SKIP_1) | instid1(SALU_CYCLE_1)
	v_cmp_gt_i32_e64 s1, s6, v88
	s_and_b32 s20, s8, s1
	s_and_saveexec_b32 s1, s20
	s_cbranch_execz .LBB190_10
; %bb.9:                                ;   in Loop: Header=BB190_5 Depth=1
	v_add_nc_u32_e32 v0, v22, v88
	s_delay_alu instid0(VALU_DEP_1)
	v_mad_nc_i64_i32 v[0:1], v0, 36, s[2:3]
	global_load_b32 v0, v[0:1], off
	s_wait_loadcnt 0x0
	v_cvt_f32_f16_e32 v0, v0
	ds_store_b32 v103, v0
.LBB190_10:                             ;   in Loop: Header=BB190_5 Depth=1
	s_or_b32 exec_lo, exec_lo, s1
	v_dual_mov_b32 v89, v69 :: v_dual_mov_b32 v91, v65
	s_mov_b32 s22, -2
	s_mov_b32 s1, 0
	s_mov_b32 s20, 0
	s_wait_dscnt 0x0
	s_barrier_signal -1
	s_barrier_wait -1
.LBB190_11:                             ;   Parent Loop BB190_5 Depth=1
                                        ; =>  This Inner Loop Header: Depth=2
	s_add_co_i32 s21, s22, 2
	s_and_b32 s23, s20, -16
	s_and_b32 s25, s21, 0x3ffffff8
	s_lshr_b32 s24, s21, 4
	s_add_co_i32 s22, s22, s23
	v_lshl_add_u32 v92, s25, 2, v107
	s_lshl_b32 s23, s24, 5
	v_dual_add_nc_u32 v93, s22, v125 :: v_dual_add_nc_u32 v94, s22, v124
	s_lshl_b32 s24, s24, 2
	v_dual_add_nc_u32 v95, s22, v31 :: v_dual_add_nc_u32 v128, s22, v126
	s_addk_co_i32 s23, 0x4200
	s_addk_co_i32 s24, 0x7380
	v_add3_u32 v129, s23, v108, v109
	v_add_nc_u32_e32 v194, 0x2118, v92
	v_add_nc_u32_e32 v196, 0x3180, v92
	;; [unrolled: 1-line block ×5, first 2 shown]
	ds_load_b128 v[4:7], v91
	ds_load_b128 v[0:3], v91 offset:16
	ds_load_b32 v90, v89
	v_add3_u32 v130, s24, v127, v111
	v_add3_u32 v131, s23, v112, v113
	;; [unrolled: 1-line block ×7, first 2 shown]
	ds_load_2addr_b32 v[144:145], v92 offset1:1
	ds_load_2addr_b32 v[146:147], v92 offset0:2 offset1:3
	ds_load_2addr_b32 v[148:149], v92 offset0:4 offset1:5
	;; [unrolled: 1-line block ×3, first 2 shown]
	v_add_nc_u32_e32 v137, 0x1080, v92
	v_add_nc_u32_e32 v138, 0x1088, v92
	;; [unrolled: 1-line block ×7, first 2 shown]
	ds_load_u16 v208, v93 offset:2
	ds_load_u16 v209, v94 offset:2
	;; [unrolled: 1-line block ×4, first 2 shown]
	ds_load_2addr_b32 v[152:153], v129 offset1:1
	ds_load_2addr_b32 v[154:155], v129 offset0:2 offset1:3
	ds_load_2addr_b32 v[156:157], v129 offset0:4 offset1:5
	;; [unrolled: 1-line block ×5, first 2 shown]
	ds_load_b32 v95, v132
	ds_load_b32 v92, v134
	ds_load_2addr_b32 v[164:165], v135 offset0:2 offset1:3
	ds_load_2addr_b32 v[166:167], v135 offset0:4 offset1:5
	ds_load_b32 v93, v136
	ds_load_b32 v94, v130
	ds_load_2addr_b32 v[168:169], v131 offset1:1
	ds_load_2addr_b32 v[170:171], v131 offset0:6 offset1:7
	ds_load_2addr_b32 v[172:173], v133 offset1:1
	ds_load_2addr_b32 v[174:175], v133 offset0:2 offset1:3
	ds_load_2addr_b32 v[176:177], v133 offset0:4 offset1:5
	;; [unrolled: 1-line block ×3, first 2 shown]
	ds_load_2addr_b32 v[180:181], v135 offset1:1
	ds_load_2addr_b32 v[182:183], v135 offset0:6 offset1:7
	ds_load_2addr_b32 v[184:185], v137 offset1:1
	ds_load_2addr_b32 v[186:187], v138 offset1:1
	;; [unrolled: 1-line block ×12, first 2 shown]
	s_wait_dscnt 0x16
	v_dual_ashrrev_i32 v166, s1, v166 :: v_dual_ashrrev_i32 v167, s1, v167
	v_dual_ashrrev_i32 v152, s1, v152 :: v_dual_ashrrev_i32 v153, s1, v153
	;; [unrolled: 1-line block ×3, first 2 shown]
	s_delay_alu instid0(VALU_DEP_3) | instskip(SKIP_3) | instid1(VALU_DEP_3)
	v_dual_lshlrev_b32 v166, 2, v166 :: v_dual_lshlrev_b32 v167, 2, v167
	s_wait_dscnt 0xd
	v_dual_ashrrev_i32 v180, s1, v180 :: v_dual_ashrrev_i32 v181, s1, v181
	v_dual_lshlrev_b32 v152, 2, v152 :: v_dual_lshlrev_b32 v153, 2, v153
	v_and_b32_e32 v167, 0x4040404, v167
	v_and_b32_e32 v166, 0x4040404, v166
	s_wait_dscnt 0x5
	v_dual_ashrrev_i32 v196, s21, v196 :: v_dual_ashrrev_i32 v197, s21, v197
	v_dual_lshlrev_b32 v180, 2, v180 :: v_dual_lshlrev_b32 v181, 2, v181
	s_wait_dscnt 0x1
	v_dual_ashrrev_i32 v204, s21, v204 :: v_dual_ashrrev_i32 v205, s21, v205
	s_set_vgpr_msb 64                       ;  msbs: dst=1 src0=0 src1=0 src2=0
	v_bfe_u32 v19 /*v275*/, v197, 24, 2
	s_set_vgpr_msb 0                        ;  msbs: dst=0 src0=0 src1=0 src2=0
	v_and_b32_e32 v197, 0x3030303, v197
	s_set_vgpr_msb 64                       ;  msbs: dst=1 src0=0 src1=0 src2=0
	v_lshrrev_b32_e32 v69 /*v325*/, 24, v167
	v_and_b32_e32 v15 /*v271*/, 0x3030303, v204
	v_bfe_u32 v16 /*v272*/, v205, 24, 2
	s_set_vgpr_msb 0                        ;  msbs: dst=0 src0=0 src1=0 src2=0
	v_and_b32_e32 v205, 0x3030303, v205
	v_bfe_u32 v204, v204, 24, 2
	s_set_vgpr_msb 64                       ;  msbs: dst=1 src0=0 src1=0 src2=0
	v_lshrrev_b32_e32 v33 /*v289*/, 16, v197
	s_set_vgpr_msb 0                        ;  msbs: dst=0 src0=0 src1=0 src2=0
	v_and_b32_e32 v152, 0x4040404, v152
	s_set_vgpr_msb 0x45                     ;  msbs: dst=1 src0=1 src1=1 src2=0
	v_sub_nc_u16 v16 /*v272*/, v16 /*v272*/, v69 /*v325*/
	s_set_vgpr_msb 64                       ;  msbs: dst=1 src0=0 src1=0 src2=0
	v_dual_lshrrev_b32 v31 /*v287*/, 16, v205 :: v_dual_lshrrev_b32 v69 /*v325*/, 24, v166
	s_set_vgpr_msb 0                        ;  msbs: dst=0 src0=0 src1=0 src2=0
	v_dual_ashrrev_i32 v156, s1, v156 :: v_dual_ashrrev_i32 v157, s1, v157
	v_dual_lshlrev_b32 v158, 2, v158 :: v_dual_lshlrev_b32 v159, 2, v159
	s_set_vgpr_msb 4                        ;  msbs: dst=0 src0=0 src1=1 src2=0
	v_sub_nc_u16 v204, v204, v69 /*v325*/
	s_set_vgpr_msb 64                       ;  msbs: dst=1 src0=0 src1=0 src2=0
	v_lshrrev_b32_e32 v69 /*v325*/, 16, v167
	v_and_b32_e32 v14 /*v270*/, 0x3030303, v196
	s_set_vgpr_msb 0                        ;  msbs: dst=0 src0=0 src1=0 src2=0
	v_and_b32_e32 v181, 0x4040404, v181
	s_set_vgpr_msb 0x44                     ;  msbs: dst=1 src0=0 src1=1 src2=0
	v_lshrrev_b32_e32 v30 /*v286*/, 16, v15 /*v271*/
	s_set_vgpr_msb 0                        ;  msbs: dst=0 src0=0 src1=0 src2=0
	v_dual_lshlrev_b32 v156, 2, v156 :: v_dual_lshlrev_b32 v157, 2, v157
	s_set_vgpr_msb 0x45                     ;  msbs: dst=1 src0=1 src1=1 src2=0
	v_sub_nc_u16 v31 /*v287*/, v31 /*v287*/, v69 /*v325*/
	s_set_vgpr_msb 64                       ;  msbs: dst=1 src0=0 src1=0 src2=0
	v_lshrrev_b32_e32 v69 /*v325*/, 16, v166
	s_set_vgpr_msb 0                        ;  msbs: dst=0 src0=0 src1=0 src2=0
	v_and_b32_e32 v180, 0x4040404, v180
	v_and_b32_e32 v158, 0x4040404, v158
	s_set_vgpr_msb 0x44                     ;  msbs: dst=1 src0=0 src1=1 src2=0
	v_lshrrev_b32_e32 v32 /*v288*/, 16, v14 /*v270*/
	s_set_vgpr_msb 0                        ;  msbs: dst=0 src0=0 src1=0 src2=0
	v_bfe_u32 v196, v196, 24, 2
	s_set_vgpr_msb 0x45                     ;  msbs: dst=1 src0=1 src1=1 src2=0
	v_sub_nc_u16 v30 /*v286*/, v30 /*v286*/, v69 /*v325*/
	s_set_vgpr_msb 64                       ;  msbs: dst=1 src0=0 src1=0 src2=0
	v_lshrrev_b32_e32 v69 /*v325*/, 24, v181
	s_set_vgpr_msb 0                        ;  msbs: dst=0 src0=0 src1=0 src2=0
	v_and_b32_e32 v157, 0x4040404, v157
	v_dual_ashrrev_i32 v144, s21, v144 :: v_dual_ashrrev_i32 v145, s21, v145
	v_and_b32_e32 v159, 0x4040404, v159
	s_set_vgpr_msb 0x45                     ;  msbs: dst=1 src0=1 src1=1 src2=0
	v_sub_nc_u16 v19 /*v275*/, v19 /*v275*/, v69 /*v325*/
	s_set_vgpr_msb 64                       ;  msbs: dst=1 src0=0 src1=0 src2=0
	v_lshrrev_b32_e32 v69 /*v325*/, 24, v180
	s_set_vgpr_msb 0                        ;  msbs: dst=0 src0=0 src1=0 src2=0
	v_and_b32_e32 v238, 0x3030303, v144
	s_set_vgpr_msb 0x44                     ;  msbs: dst=1 src0=0 src1=1 src2=0
	v_lshrrev_b16 v34 /*v290*/, 8, v14 /*v270*/
	s_set_vgpr_msb 0x41                     ;  msbs: dst=1 src0=1 src1=0 src2=0
	v_sub_nc_u16 v14 /*v270*/, v14 /*v270*/, v180
	s_set_vgpr_msb 0                        ;  msbs: dst=0 src0=0 src1=0 src2=0
	v_dual_ashrrev_i32 v148, s21, v148 :: v_dual_ashrrev_i32 v149, s21, v149
	s_set_vgpr_msb 4                        ;  msbs: dst=0 src0=0 src1=1 src2=0
	v_sub_nc_u16 v196, v196, v69 /*v325*/
	s_set_vgpr_msb 64                       ;  msbs: dst=1 src0=0 src1=0 src2=0
	v_lshrrev_b32_e32 v69 /*v325*/, 16, v181
	s_set_vgpr_msb 0                        ;  msbs: dst=0 src0=0 src1=0 src2=0
	v_and_b32_e32 v239, 0x3030303, v145
	v_lshrrev_b32_e32 v247, 16, v238
	v_dual_ashrrev_i32 v154, s1, v154 :: v_dual_ashrrev_i32 v155, s1, v155
	s_set_vgpr_msb 0x45                     ;  msbs: dst=1 src0=1 src1=1 src2=0
	v_sub_nc_u16 v33 /*v289*/, v33 /*v289*/, v69 /*v325*/
	s_set_vgpr_msb 64                       ;  msbs: dst=1 src0=0 src1=0 src2=0
	v_lshrrev_b32_e32 v69 /*v325*/, 16, v180
	s_set_vgpr_msb 1                        ;  msbs: dst=0 src0=1 src1=0 src2=0
	v_lshrrev_b16 v180, 8, v180
	v_and_b32_e32 v242, 0x3030303, v148
	v_lshrrev_b16 v246, 8, v238
	v_lshrrev_b32_e32 v249, 16, v239
	v_and_b32_e32 v153, 0x4040404, v153
	v_sub_nc_u16 v180, v34 /*v290*/, v180
	s_set_vgpr_msb 64                       ;  msbs: dst=1 src0=0 src1=0 src2=0
	v_lshrrev_b32_e32 v34 /*v290*/, 16, v152
	s_set_vgpr_msb 0                        ;  msbs: dst=0 src0=0 src1=0 src2=0
	v_sub_nc_u16 v238, v238, v152
	v_dual_ashrrev_i32 v146, s21, v146 :: v_dual_ashrrev_i32 v147, s21, v147
	v_dual_lshlrev_b32 v154, 2, v154 :: v_dual_lshlrev_b32 v155, 2, v155
	s_set_vgpr_msb 4                        ;  msbs: dst=0 src0=0 src1=1 src2=0
	v_sub_nc_u16 v247, v247, v34 /*v290*/
	s_set_vgpr_msb 64                       ;  msbs: dst=1 src0=0 src1=0 src2=0
	v_lshrrev_b32_e32 v34 /*v290*/, 24, v152
	s_set_vgpr_msb 0                        ;  msbs: dst=0 src0=0 src1=0 src2=0
	v_lshrrev_b16 v152, 8, v152
	v_lshrrev_b32_e32 v255, 16, v242
	v_and_b32_e32 v240, 0x3030303, v146
	v_lshrrev_b16 v248, 8, v239
	v_and_b32_e32 v154, 0x4040404, v154
	v_sub_nc_u16 v152, v246, v152
	v_lshrrev_b32_e32 v246, 16, v153
	v_sub_nc_u16 v239, v239, v153
	v_lshrrev_b16 v251, 8, v240
	v_and_b32_e32 v241, 0x3030303, v147
	v_lshrrev_b32_e32 v250, 16, v240
	v_sub_nc_u16 v246, v249, v246
	v_lshrrev_b32_e32 v249, 24, v153
	v_lshrrev_b16 v153, 8, v153
	v_and_b32_e32 v155, 0x4040404, v155
	v_sub_nc_u16 v240, v240, v154
	v_lshrrev_b32_e32 v253, 16, v241
	v_lshrrev_b16 v252, 8, v241
	v_sub_nc_u16 v153, v248, v153
	v_lshrrev_b16 v248, 8, v154
	v_and_b32_e32 v156, 0x4040404, v156
	v_sub_nc_u16 v241, v241, v155
	v_dual_ashrrev_i32 v150, s21, v150 :: v_dual_ashrrev_i32 v151, s21, v151
	s_delay_alu instid0(VALU_DEP_4)
	v_sub_nc_u16 v248, v251, v248
	v_dual_lshrrev_b32 v251, 24, v154 :: v_dual_lshrrev_b32 v154, 16, v154
	v_and_b32_e32 v243, 0x3030303, v149
	v_lshrrev_b16 v254, 8, v242
	v_sub_nc_u16 v242, v242, v156
	v_and_b32_e32 v244, 0x3030303, v150
	v_sub_nc_u16 v154, v250, v154
	v_lshrrev_b32_e32 v250, 16, v155
	s_set_vgpr_msb 64                       ;  msbs: dst=1 src0=0 src1=0 src2=0
	v_lshrrev_b32_e32 v1 /*v257*/, 16, v243
	s_set_vgpr_msb 0                        ;  msbs: dst=0 src0=0 src1=0 src2=0
	v_dual_ashrrev_i32 v160, s1, v160 :: v_dual_ashrrev_i32 v161, s1, v161
	s_set_vgpr_msb 64                       ;  msbs: dst=1 src0=0 src1=0 src2=0
	v_lshrrev_b16 v0 /*v256*/, 8, v243
	s_set_vgpr_msb 0                        ;  msbs: dst=0 src0=0 src1=0 src2=0
	v_sub_nc_u16 v250, v253, v250
	v_lshrrev_b32_e32 v253, 24, v155
	v_lshrrev_b16 v155, 8, v155
	s_set_vgpr_msb 64                       ;  msbs: dst=1 src0=0 src1=0 src2=0
	v_lshrrev_b32_e32 v2 /*v258*/, 16, v244
	s_set_vgpr_msb 0                        ;  msbs: dst=0 src0=0 src1=0 src2=0
	v_sub_nc_u16 v243, v243, v157
	v_dual_lshlrev_b32 v160, 2, v160 :: v_dual_lshlrev_b32 v161, 2, v161
	v_sub_nc_u16 v155, v252, v155
	v_lshrrev_b32_e32 v252, 16, v156
	s_set_vgpr_msb 64                       ;  msbs: dst=1 src0=0 src1=0 src2=0
	v_lshrrev_b16 v3 /*v259*/, 8, v244
	s_set_vgpr_msb 0                        ;  msbs: dst=0 src0=0 src1=0 src2=0
	v_and_b32_e32 v245, 0x3030303, v151
	v_dual_ashrrev_i32 v198, s21, v198 :: v_dual_ashrrev_i32 v199, s21, v199
	v_sub_nc_u16 v252, v255, v252
	v_lshrrev_b32_e32 v255, 24, v156
	v_lshrrev_b16 v156, 8, v156
	v_and_b32_e32 v160, 0x4040404, v160
	v_sub_nc_u16 v244, v244, v158
	v_dual_ashrrev_i32 v186, s21, v186 :: v_dual_ashrrev_i32 v187, s21, v187
	s_delay_alu instid0(VALU_DEP_4)
	v_sub_nc_u16 v156, v254, v156
	v_lshrrev_b32_e32 v254, 16, v157
	s_set_vgpr_msb 64                       ;  msbs: dst=1 src0=0 src1=0 src2=0
	v_bfe_u32 v24 /*v280*/, v199, 24, 2
	s_set_vgpr_msb 0                        ;  msbs: dst=0 src0=0 src1=0 src2=0
	v_and_b32_e32 v199, 0x3030303, v199
	s_set_vgpr_msb 64                       ;  msbs: dst=1 src0=0 src1=0 src2=0
	v_lshrrev_b32_e32 v5 /*v261*/, 16, v245
	s_set_vgpr_msb 1                        ;  msbs: dst=0 src0=1 src1=0 src2=0
	v_dual_ashrrev_i32 v162, s1, v162 :: v_dual_ashrrev_i32 v163, s1, v163
	v_sub_nc_u16 v254, v1 /*v257*/, v254
	s_set_vgpr_msb 64                       ;  msbs: dst=1 src0=0 src1=0 src2=0
	v_lshrrev_b32_e32 v1 /*v257*/, 24, v157
	s_set_vgpr_msb 0                        ;  msbs: dst=0 src0=0 src1=0 src2=0
	v_lshrrev_b16 v157, 8, v157
	v_bfe_u32 v151, v151, 24, 2
	v_dual_ashrrev_i32 v184, s21, v184 :: v_dual_ashrrev_i32 v185, s21, v185
	s_set_vgpr_msb 64                       ;  msbs: dst=1 src0=0 src1=0 src2=0
	v_lshrrev_b16 v4 /*v260*/, 8, v245
	s_set_vgpr_msb 1                        ;  msbs: dst=0 src0=1 src1=0 src2=0
	v_sub_nc_u16 v157, v0 /*v256*/, v157
	s_set_vgpr_msb 64                       ;  msbs: dst=1 src0=0 src1=0 src2=0
	v_lshrrev_b16 v0 /*v256*/, 8, v158
	v_and_b32_e32 v8 /*v264*/, 0x3030303, v186
	v_lshrrev_b32_e32 v49 /*v305*/, 16, v199
	s_set_vgpr_msb 0                        ;  msbs: dst=0 src0=0 src1=0 src2=0
	v_sub_nc_u16 v245, v245, v159
	v_dual_ashrrev_i32 v164, s1, v164 :: v_dual_ashrrev_i32 v165, s1, v165
	s_set_vgpr_msb 0x45                     ;  msbs: dst=1 src0=1 src1=1 src2=0
	v_sub_nc_u16 v0 /*v256*/, v3 /*v259*/, v0 /*v256*/
	s_set_vgpr_msb 64                       ;  msbs: dst=1 src0=0 src1=0 src2=0
	v_lshrrev_b32_e32 v3 /*v259*/, 24, v158
	s_set_vgpr_msb 1                        ;  msbs: dst=0 src0=1 src1=0 src2=0
	v_dual_lshrrev_b32 v158, 16, v158 :: v_dual_ashrrev_i32 v168, s1, v168
	v_dual_ashrrev_i32 v169, s1, v169 :: v_dual_ashrrev_i32 v200, s21, v200
	v_ashrrev_i32_e32 v201, s21, v201
	s_delay_alu instid0(VALU_DEP_3)
	v_sub_nc_u16 v158, v2 /*v258*/, v158
	s_set_vgpr_msb 64                       ;  msbs: dst=1 src0=0 src1=0 src2=0
	v_lshrrev_b32_e32 v2 /*v258*/, 16, v159
	s_set_vgpr_msb 0                        ;  msbs: dst=0 src0=0 src1=0 src2=0
	v_dual_lshlrev_b32 v162, 2, v162 :: v_dual_lshlrev_b32 v163, 2, v163
	s_set_vgpr_msb 64                       ;  msbs: dst=1 src0=0 src1=0 src2=0
	v_and_b32_e32 v6 /*v262*/, 0x3030303, v184
	s_set_vgpr_msb 0                        ;  msbs: dst=0 src0=0 src1=0 src2=0
	v_bfe_u32 v186, v186, 24, 2
	s_set_vgpr_msb 0x45                     ;  msbs: dst=1 src0=1 src1=1 src2=0
	v_sub_nc_u16 v2 /*v258*/, v5 /*v261*/, v2 /*v258*/
	s_set_vgpr_msb 64                       ;  msbs: dst=1 src0=0 src1=0 src2=0
	v_lshrrev_b32_e32 v5 /*v261*/, 24, v159
	s_set_vgpr_msb 0                        ;  msbs: dst=0 src0=0 src1=0 src2=0
	v_lshrrev_b16 v159, 8, v159
	s_set_vgpr_msb 64                       ;  msbs: dst=1 src0=0 src1=0 src2=0
	v_and_b32_e32 v9 /*v265*/, 0x3030303, v187
	s_set_vgpr_msb 0                        ;  msbs: dst=0 src0=0 src1=0 src2=0
	v_and_b32_e32 v161, 0x4040404, v161
	s_set_vgpr_msb 0x44                     ;  msbs: dst=1 src0=0 src1=1 src2=0
	v_lshrrev_b16 v41 /*v297*/, 8, v8 /*v264*/
	s_set_vgpr_msb 4                        ;  msbs: dst=0 src0=0 src1=1 src2=0
	v_sub_nc_u16 v151, v151, v5 /*v261*/
	s_set_vgpr_msb 64                       ;  msbs: dst=1 src0=0 src1=0 src2=0
	v_lshrrev_b32_e32 v5 /*v261*/, 24, v160
	s_set_vgpr_msb 1                        ;  msbs: dst=0 src0=1 src1=0 src2=0
	v_sub_nc_u16 v159, v4 /*v260*/, v159
	s_set_vgpr_msb 64                       ;  msbs: dst=1 src0=0 src1=0 src2=0
	v_lshrrev_b16 v4 /*v260*/, 8, v160
	s_set_vgpr_msb 0                        ;  msbs: dst=0 src0=0 src1=0 src2=0
	v_dual_ashrrev_i32 v170, s1, v170 :: v_dual_ashrrev_i32 v171, s1, v171
	v_dual_ashrrev_i32 v172, s1, v172 :: v_dual_ashrrev_i32 v173, s1, v173
	v_bfe_u32 v144, v144, 24, 2
	v_dual_lshlrev_b32 v164, 2, v164 :: v_dual_lshlrev_b32 v165, 2, v165
	v_dual_lshlrev_b32 v168, 2, v168 :: v_dual_lshlrev_b32 v169, 2, v169
	v_bfe_u32 v187, v187, 24, 2
	s_set_vgpr_msb 64                       ;  msbs: dst=1 src0=0 src1=0 src2=0
	v_and_b32_e32 v10 /*v266*/, 0x3030303, v200
	v_and_b32_e32 v11 /*v267*/, 0x3030303, v201
	s_set_vgpr_msb 0                        ;  msbs: dst=0 src0=0 src1=0 src2=0
	v_and_b32_e32 v162, 0x4040404, v162
	v_and_b32_e32 v163, 0x4040404, v163
	s_set_vgpr_msb 0x44                     ;  msbs: dst=1 src0=0 src1=1 src2=0
	v_dual_lshrrev_b32 v38 /*v294*/, 16, v6 /*v262*/ :: v_dual_lshrrev_b32 v40 /*v296*/, 16, v8 /*v264*/
	v_lshrrev_b16 v42 /*v298*/, 8, v9 /*v265*/
	v_dual_lshrrev_b32 v43 /*v299*/, 16, v9 /*v265*/ :: v_dual_lshrrev_b32 v45 /*v301*/, 16, v10 /*v266*/
	s_set_vgpr_msb 0x41                     ;  msbs: dst=1 src0=1 src1=0 src2=0
	v_sub_nc_u16 v8 /*v264*/, v8 /*v264*/, v160
	s_set_vgpr_msb 0                        ;  msbs: dst=0 src0=0 src1=0 src2=0
	v_lshrrev_b32_e32 v160, 16, v160
	s_set_vgpr_msb 0x45                     ;  msbs: dst=1 src0=1 src1=1 src2=0
	v_sub_nc_u16 v4 /*v260*/, v41 /*v297*/, v4 /*v260*/
	s_set_vgpr_msb 64                       ;  msbs: dst=1 src0=0 src1=0 src2=0
	v_lshrrev_b32_e32 v41 /*v297*/, 24, v161
	s_set_vgpr_msb 4                        ;  msbs: dst=0 src0=0 src1=1 src2=0
	v_sub_nc_u16 v186, v186, v5 /*v261*/
	s_set_vgpr_msb 0x41                     ;  msbs: dst=1 src0=1 src1=0 src2=0
	v_lshrrev_b32_e32 v5 /*v261*/, 16, v161
	v_sub_nc_u16 v9 /*v265*/, v9 /*v265*/, v161
	s_set_vgpr_msb 0                        ;  msbs: dst=0 src0=0 src1=0 src2=0
	v_lshrrev_b16 v161, 8, v161
	v_dual_ashrrev_i32 v174, s1, v174 :: v_dual_ashrrev_i32 v175, s1, v175
	v_dual_ashrrev_i32 v176, s1, v176 :: v_dual_ashrrev_i32 v177, s1, v177
	;; [unrolled: 1-line block ×6, first 2 shown]
	v_dual_lshlrev_b32 v170, 2, v170 :: v_dual_lshlrev_b32 v171, 2, v171
	v_dual_lshlrev_b32 v172, 2, v172 :: v_dual_lshlrev_b32 v173, 2, v173
	v_bfe_u32 v200, v200, 24, 2
	v_bfe_u32 v201, v201, 24, 2
	s_set_vgpr_msb 64                       ;  msbs: dst=1 src0=0 src1=0 src2=0
	v_and_b32_e32 v20 /*v276*/, 0x3030303, v198
	s_set_vgpr_msb 0                        ;  msbs: dst=0 src0=0 src1=0 src2=0
	v_and_b32_e32 v164, 0x4040404, v164
	v_and_b32_e32 v165, 0x4040404, v165
	;; [unrolled: 1-line block ×3, first 2 shown]
	s_set_vgpr_msb 0x44                     ;  msbs: dst=1 src0=0 src1=1 src2=0
	v_lshrrev_b16 v44 /*v300*/, 8, v10 /*v266*/
	v_dual_lshrrev_b32 v47 /*v303*/, 16, v11 /*v267*/ :: v_dual_lshrrev_b32 v48 /*v304*/, 16, v20 /*v276*/
	s_set_vgpr_msb 4                        ;  msbs: dst=0 src0=0 src1=1 src2=0
	v_sub_nc_u16 v144, v144, v34 /*v290*/
	s_set_vgpr_msb 1                        ;  msbs: dst=0 src0=1 src1=0 src2=0
	v_sub_nc_u16 v160, v40 /*v296*/, v160
	s_set_vgpr_msb 64                       ;  msbs: dst=1 src0=0 src1=0 src2=0
	v_lshrrev_b32_e32 v40 /*v296*/, 16, v162
	s_set_vgpr_msb 0x45                     ;  msbs: dst=1 src0=1 src1=1 src2=0
	v_sub_nc_u16 v5 /*v261*/, v43 /*v299*/, v5 /*v261*/
	s_set_vgpr_msb 0x41                     ;  msbs: dst=1 src0=1 src1=0 src2=0
	v_lshrrev_b32_e32 v43 /*v299*/, 24, v162
	v_sub_nc_u16 v10 /*v266*/, v10 /*v266*/, v162
	s_set_vgpr_msb 0                        ;  msbs: dst=0 src0=0 src1=0 src2=0
	v_lshrrev_b16 v162, 8, v162
	s_set_vgpr_msb 4                        ;  msbs: dst=0 src0=0 src1=1 src2=0
	v_sub_nc_u16 v187, v187, v41 /*v297*/
	s_set_vgpr_msb 64                       ;  msbs: dst=1 src0=0 src1=0 src2=0
	v_lshrrev_b32_e32 v41 /*v297*/, 16, v163
	s_set_vgpr_msb 1                        ;  msbs: dst=0 src0=1 src1=0 src2=0
	v_sub_nc_u16 v161, v42 /*v298*/, v161
	s_set_vgpr_msb 64                       ;  msbs: dst=1 src0=0 src1=0 src2=0
	v_lshrrev_b32_e32 v42 /*v298*/, 24, v163
	s_set_vgpr_msb 0                        ;  msbs: dst=0 src0=0 src1=0 src2=0
	v_dual_ashrrev_i32 v190, s21, v190 :: v_dual_ashrrev_i32 v191, s21, v191
	v_dual_ashrrev_i32 v192, s21, v192 :: v_dual_ashrrev_i32 v193, s21, v193
	;; [unrolled: 1-line block ×3, first 2 shown]
	s_wait_dscnt 0x0
	v_dual_ashrrev_i32 v206, s21, v206 :: v_dual_ashrrev_i32 v207, s21, v207
	v_dual_lshlrev_b32 v182, 2, v182 :: v_dual_lshlrev_b32 v183, 2, v183
	v_dual_lshlrev_b32 v174, 2, v174 :: v_dual_lshlrev_b32 v175, 2, v175
	;; [unrolled: 1-line block ×4, first 2 shown]
	v_bfe_u32 v184, v184, 24, 2
	s_set_vgpr_msb 64                       ;  msbs: dst=1 src0=0 src1=0 src2=0
	v_and_b32_e32 v7 /*v263*/, 0x3030303, v185
	v_and_b32_e32 v12 /*v268*/, 0x3030303, v202
	;; [unrolled: 1-line block ×5, first 2 shown]
	s_set_vgpr_msb 0                        ;  msbs: dst=0 src0=0 src1=0 src2=0
	v_bfe_u32 v198, v198, 24, 2
	v_and_b32_e32 v169, 0x4040404, v169
	v_and_b32_e32 v170, 0x4040404, v170
	;; [unrolled: 1-line block ×5, first 2 shown]
	s_set_vgpr_msb 0x44                     ;  msbs: dst=1 src0=0 src1=1 src2=0
	v_lshrrev_b16 v36 /*v292*/, 8, v20 /*v276*/
	v_lshrrev_b16 v46 /*v302*/, 8, v11 /*v267*/
	s_set_vgpr_msb 64                       ;  msbs: dst=1 src0=0 src1=0 src2=0
	v_lshrrev_b16 v50 /*v306*/, 8, v199
	s_set_vgpr_msb 0x44                     ;  msbs: dst=1 src0=0 src1=1 src2=0
	v_lshrrev_b16 v53 /*v309*/, 8, v15 /*v271*/
	s_set_vgpr_msb 64                       ;  msbs: dst=1 src0=0 src1=0 src2=0
	v_lshrrev_b16 v55 /*v311*/, 8, v205
	s_set_vgpr_msb 0x45                     ;  msbs: dst=1 src0=1 src1=1 src2=0
	v_sub_nc_u16 v32 /*v288*/, v32 /*v288*/, v69 /*v325*/
	s_set_vgpr_msb 64                       ;  msbs: dst=1 src0=0 src1=0 src2=0
	v_lshrrev_b16 v69 /*v325*/, 8, v164
	s_set_vgpr_msb 0                        ;  msbs: dst=0 src0=0 src1=0 src2=0
	v_sub_nc_u16 v205, v205, v167
	s_set_vgpr_msb 0x41                     ;  msbs: dst=1 src0=1 src1=0 src2=0
	v_sub_nc_u16 v15 /*v271*/, v15 /*v271*/, v166
	v_sub_nc_u16 v11 /*v267*/, v11 /*v267*/, v163
	s_set_vgpr_msb 0                        ;  msbs: dst=0 src0=0 src1=0 src2=0
	v_lshrrev_b16 v163, 8, v163
	s_set_vgpr_msb 0x45                     ;  msbs: dst=1 src0=1 src1=1 src2=0
	v_sub_nc_u16 v40 /*v296*/, v45 /*v301*/, v40 /*v296*/
	s_set_vgpr_msb 0x41                     ;  msbs: dst=1 src0=1 src1=0 src2=0
	v_lshrrev_b32_e32 v45 /*v301*/, 16, v164
	v_sub_nc_u16 v20 /*v276*/, v20 /*v276*/, v164
	s_set_vgpr_msb 0                        ;  msbs: dst=0 src0=0 src1=0 src2=0
	v_lshrrev_b32_e32 v164, 24, v164
	s_set_vgpr_msb 4                        ;  msbs: dst=0 src0=0 src1=1 src2=0
	v_sub_nc_u16 v200, v200, v43 /*v299*/
	s_set_vgpr_msb 64                       ;  msbs: dst=1 src0=0 src1=0 src2=0
	v_lshrrev_b16 v43 /*v299*/, 8, v165
	s_set_vgpr_msb 1                        ;  msbs: dst=0 src0=1 src1=0 src2=0
	v_sub_nc_u16 v162, v44 /*v300*/, v162
	s_set_vgpr_msb 64                       ;  msbs: dst=1 src0=0 src1=0 src2=0
	v_lshrrev_b32_e32 v44 /*v300*/, 16, v165
	s_set_vgpr_msb 0                        ;  msbs: dst=0 src0=0 src1=0 src2=0
	v_sub_nc_u16 v199, v199, v165
	v_lshrrev_b32_e32 v165, 24, v165
	v_lshrrev_b16 v166, 8, v166
	v_lshrrev_b16 v167, 8, v167
	s_set_vgpr_msb 0x45                     ;  msbs: dst=1 src0=1 src1=1 src2=0
	v_sub_nc_u16 v41 /*v297*/, v47 /*v303*/, v41 /*v297*/
	s_set_vgpr_msb 64                       ;  msbs: dst=1 src0=0 src1=0 src2=0
	v_lshrrev_b32_e32 v47 /*v303*/, 16, v168
	s_set_vgpr_msb 4                        ;  msbs: dst=0 src0=0 src1=1 src2=0
	v_sub_nc_u16 v201, v201, v42 /*v298*/
	s_set_vgpr_msb 64                       ;  msbs: dst=1 src0=0 src1=0 src2=0
	v_lshrrev_b32_e32 v42 /*v298*/, 24, v168
	s_set_vgpr_msb 0                        ;  msbs: dst=0 src0=0 src1=0 src2=0
	v_lshlrev_b16 v144, 8, v144
	v_lshlrev_b16 v153, 8, v153
	v_bfe_u32 v145, v145, 24, 2
	v_bfe_u32 v146, v146, 24, 2
	;; [unrolled: 1-line block ×7, first 2 shown]
	s_set_vgpr_msb 64                       ;  msbs: dst=1 src0=0 src1=0 src2=0
	v_and_b32_e32 v17 /*v273*/, 0x3030303, v206
	v_and_b32_e32 v18 /*v274*/, 0x3030303, v207
	s_set_vgpr_msb 0                        ;  msbs: dst=0 src0=0 src1=0 src2=0
	v_bfe_u32 v188, v188, 24, 2
	v_bfe_u32 v189, v189, 24, 2
	s_set_vgpr_msb 64                       ;  msbs: dst=1 src0=0 src1=0 src2=0
	v_and_b32_e32 v23 /*v279*/, 0x3030303, v190
	v_and_b32_e32 v25 /*v281*/, 0x3030303, v191
	;; [unrolled: 1-line block ×4, first 2 shown]
	s_set_vgpr_msb 0                        ;  msbs: dst=0 src0=0 src1=0 src2=0
	v_and_b32_e32 v182, 0x4040404, v182
	v_and_b32_e32 v183, 0x4040404, v183
	;; [unrolled: 1-line block ×6, first 2 shown]
	s_set_vgpr_msb 0x44                     ;  msbs: dst=1 src0=0 src1=1 src2=0
	v_lshrrev_b16 v37 /*v293*/, 8, v6 /*v262*/
	v_lshrrev_b16 v39 /*v295*/, 8, v7 /*v263*/
	v_dual_lshrrev_b32 v51 /*v307*/, 16, v7 /*v263*/ :: v_dual_lshrrev_b32 v52 /*v308*/, 16, v12 /*v268*/
	v_lshrrev_b16 v54 /*v310*/, 8, v12 /*v268*/
	v_dual_lshrrev_b32 v57 /*v313*/, 16, v13 /*v269*/ :: v_dual_lshrrev_b32 v60 /*v316*/, 16, v22 /*v278*/
	;; [unrolled: 2-line block ×3, first 2 shown]
	v_lshrrev_b16 v61 /*v317*/, 8, v22 /*v278*/
	s_set_vgpr_msb 0x41                     ;  msbs: dst=1 src0=1 src1=0 src2=0
	v_sub_nc_u16 v6 /*v262*/, v6 /*v262*/, v168
	s_set_vgpr_msb 1                        ;  msbs: dst=0 src0=1 src1=0 src2=0
	v_lshrrev_b16 v168, 8, v168
	v_sub_nc_u16 v163, v46 /*v302*/, v163
	s_set_vgpr_msb 64                       ;  msbs: dst=1 src0=0 src1=0 src2=0
	v_lshrrev_b32_e32 v46 /*v302*/, 16, v169
	s_set_vgpr_msb 0x45                     ;  msbs: dst=1 src0=1 src1=1 src2=0
	v_sub_nc_u16 v45 /*v301*/, v48 /*v304*/, v45 /*v301*/
	s_set_vgpr_msb 0x41                     ;  msbs: dst=1 src0=1 src1=0 src2=0
	v_lshrrev_b32_e32 v48 /*v304*/, 24, v169
	v_sub_nc_u16 v7 /*v263*/, v7 /*v263*/, v169
	s_set_vgpr_msb 0                        ;  msbs: dst=0 src0=0 src1=0 src2=0
	v_lshrrev_b16 v169, 8, v169
	v_sub_nc_u16 v164, v198, v164
	v_lshrrev_b32_e32 v198, 24, v170
	s_set_vgpr_msb 0x45                     ;  msbs: dst=1 src0=1 src1=1 src2=0
	v_sub_nc_u16 v43 /*v299*/, v50 /*v306*/, v43 /*v299*/
	s_set_vgpr_msb 64                       ;  msbs: dst=1 src0=0 src1=0 src2=0
	v_lshrrev_b16 v50 /*v306*/, 8, v170
	s_set_vgpr_msb 1                        ;  msbs: dst=0 src0=1 src1=0 src2=0
	v_sub_nc_u16 v165, v24 /*v280*/, v165
	s_set_vgpr_msb 64                       ;  msbs: dst=1 src0=0 src1=0 src2=0
	v_lshrrev_b32_e32 v24 /*v280*/, 24, v171
	s_set_vgpr_msb 1                        ;  msbs: dst=0 src0=1 src1=0 src2=0
	v_sub_nc_u16 v166, v53 /*v309*/, v166
	s_set_vgpr_msb 64                       ;  msbs: dst=1 src0=0 src1=0 src2=0
	v_lshrrev_b32_e32 v53 /*v309*/, 16, v172
	s_set_vgpr_msb 1                        ;  msbs: dst=0 src0=1 src1=0 src2=0
	v_sub_nc_u16 v167, v55 /*v311*/, v167
	s_set_vgpr_msb 0x41                     ;  msbs: dst=1 src0=1 src1=0 src2=0
	v_lshrrev_b32_e32 v55 /*v311*/, 24, v172
	v_sub_nc_u16 v21 /*v277*/, v21 /*v277*/, v172
	s_set_vgpr_msb 0                        ;  msbs: dst=0 src0=0 src1=0 src2=0
	v_lshrrev_b16 v172, 8, v172
	s_set_vgpr_msb 0x45                     ;  msbs: dst=1 src0=1 src1=1 src2=0
	v_sub_nc_u16 v38 /*v294*/, v38 /*v294*/, v47 /*v303*/
	s_set_vgpr_msb 64                       ;  msbs: dst=1 src0=0 src1=0 src2=0
	v_lshrrev_b32_e32 v47 /*v303*/, 16, v173
	s_set_vgpr_msb 4                        ;  msbs: dst=0 src0=0 src1=1 src2=0
	v_sub_nc_u16 v184, v184, v42 /*v298*/
	s_set_vgpr_msb 0x41                     ;  msbs: dst=1 src0=1 src1=0 src2=0
	v_lshrrev_b32_e32 v42 /*v298*/, 24, v173
	v_sub_nc_u16 v22 /*v278*/, v22 /*v278*/, v173
	s_set_vgpr_msb 0                        ;  msbs: dst=0 src0=0 src1=0 src2=0
	v_lshrrev_b16 v173, 8, v173
	v_bitop3_b16 v144, v247, v144, 0xff bitop3:0xec
	v_bitop3_b16 v153, v239, v153, 0xff bitop3:0xec
	v_bfe_u32 v185, v185, 24, 2
	v_bfe_u32 v192, v192, 24, 2
	;; [unrolled: 1-line block ×4, first 2 shown]
	v_and_b32_e32 v177, 0x4040404, v177
	s_set_vgpr_msb 0x44                     ;  msbs: dst=1 src0=0 src1=1 src2=0
	v_dual_lshrrev_b32 v64 /*v320*/, 16, v25 /*v281*/ :: v_dual_lshrrev_b32 v66 /*v322*/, 16, v26 /*v282*/
	v_lshrrev_b16 v67 /*v323*/, 8, v26 /*v282*/
	s_set_vgpr_msb 0                        ;  msbs: dst=0 src0=0 src1=0 src2=0
	v_sub_nc_u16 v145, v145, v249
	s_set_vgpr_msb 4                        ;  msbs: dst=0 src0=0 src1=1 src2=0
	v_lshrrev_b32_e32 v249, 16, v29 /*v285*/
	s_set_vgpr_msb 0                        ;  msbs: dst=0 src0=0 src1=0 src2=0
	v_sub_nc_u16 v146, v146, v251
	s_set_vgpr_msb 4                        ;  msbs: dst=0 src0=0 src1=1 src2=0
	v_lshrrev_b16 v251, 8, v29 /*v285*/
	s_set_vgpr_msb 0                        ;  msbs: dst=0 src0=0 src1=0 src2=0
	v_sub_nc_u16 v147, v147, v253
	s_set_vgpr_msb 4                        ;  msbs: dst=0 src0=0 src1=1 src2=0
	v_lshrrev_b16 v253, 8, v17 /*v273*/
	s_set_vgpr_msb 0                        ;  msbs: dst=0 src0=0 src1=0 src2=0
	v_sub_nc_u16 v148, v148, v255
	s_set_vgpr_msb 4                        ;  msbs: dst=0 src0=0 src1=1 src2=0
	v_lshrrev_b32_e32 v255, 16, v17 /*v273*/
	v_sub_nc_u16 v149, v149, v1 /*v257*/
	s_set_vgpr_msb 0x44                     ;  msbs: dst=1 src0=0 src1=1 src2=0
	v_lshrrev_b16 v1 /*v257*/, 8, v18 /*v274*/
	s_set_vgpr_msb 4                        ;  msbs: dst=0 src0=0 src1=1 src2=0
	v_sub_nc_u16 v150, v150, v3 /*v259*/
	s_set_vgpr_msb 0x44                     ;  msbs: dst=1 src0=0 src1=1 src2=0
	v_lshrrev_b32_e32 v3 /*v259*/, 16, v18 /*v274*/
	s_set_vgpr_msb 0x41                     ;  msbs: dst=1 src0=1 src1=0 src2=0
	v_sub_nc_u16 v17 /*v273*/, v17 /*v273*/, v182
	v_sub_nc_u16 v18 /*v274*/, v18 /*v274*/, v183
	;; [unrolled: 1-line block ×3, first 2 shown]
	s_set_vgpr_msb 0                        ;  msbs: dst=0 src0=0 src1=0 src2=0
	v_lshrrev_b32_e32 v170, 16, v170
	s_set_vgpr_msb 0x45                     ;  msbs: dst=1 src0=1 src1=1 src2=0
	v_sub_nc_u16 v44 /*v300*/, v49 /*v305*/, v44 /*v300*/
	s_set_vgpr_msb 64                       ;  msbs: dst=1 src0=0 src1=0 src2=0
	v_lshrrev_b32_e32 v49 /*v305*/, 16, v171
	s_set_vgpr_msb 1                        ;  msbs: dst=0 src0=1 src1=0 src2=0
	v_sub_nc_u16 v168, v37 /*v293*/, v168
	s_set_vgpr_msb 64                       ;  msbs: dst=1 src0=0 src1=0 src2=0
	v_lshrrev_b32_e32 v37 /*v293*/, 16, v174
	s_set_vgpr_msb 1                        ;  msbs: dst=0 src0=1 src1=0 src2=0
	v_sub_nc_u16 v169, v39 /*v295*/, v169
	s_set_vgpr_msb 64                       ;  msbs: dst=1 src0=0 src1=0 src2=0
	v_lshrrev_b32_e32 v39 /*v295*/, 24, v175
	s_set_vgpr_msb 0                        ;  msbs: dst=0 src0=0 src1=0 src2=0
	v_sub_nc_u16 v198, v202, v198
	v_lshrrev_b32_e32 v202, 16, v176
	s_set_vgpr_msb 0x45                     ;  msbs: dst=1 src0=1 src1=1 src2=0
	v_sub_nc_u16 v50 /*v306*/, v54 /*v310*/, v50 /*v306*/
	s_set_vgpr_msb 0x41                     ;  msbs: dst=1 src0=1 src1=0 src2=0
	v_lshrrev_b32_e32 v54 /*v310*/, 24, v176
	v_sub_nc_u16 v26 /*v282*/, v26 /*v282*/, v176
	s_set_vgpr_msb 0                        ;  msbs: dst=0 src0=0 src1=0 src2=0
	v_lshrrev_b16 v176, 8, v176
	s_set_vgpr_msb 0x45                     ;  msbs: dst=1 src0=1 src1=1 src2=0
	v_sub_nc_u16 v53 /*v309*/, v59 /*v315*/, v53 /*v309*/
	s_set_vgpr_msb 64                       ;  msbs: dst=1 src0=0 src1=0 src2=0
	v_lshrrev_b32_e32 v59 /*v315*/, 16, v179
	s_set_vgpr_msb 4                        ;  msbs: dst=0 src0=0 src1=1 src2=0
	v_sub_nc_u16 v188, v188, v55 /*v311*/
	s_set_vgpr_msb 0x41                     ;  msbs: dst=1 src0=1 src1=0 src2=0
	v_lshrrev_b32_e32 v55 /*v311*/, 24, v179
	v_sub_nc_u16 v29 /*v285*/, v29 /*v285*/, v179
	s_set_vgpr_msb 1                        ;  msbs: dst=0 src0=1 src1=0 src2=0
	v_lshrrev_b16 v179, 8, v179
	v_sub_nc_u16 v172, v58 /*v314*/, v172
	s_set_vgpr_msb 64                       ;  msbs: dst=1 src0=0 src1=0 src2=0
	v_lshrrev_b16 v58 /*v314*/, 8, v182
	s_set_vgpr_msb 0x45                     ;  msbs: dst=1 src0=1 src1=1 src2=0
	v_sub_nc_u16 v47 /*v303*/, v60 /*v316*/, v47 /*v303*/
	s_set_vgpr_msb 64                       ;  msbs: dst=1 src0=0 src1=0 src2=0
	v_lshrrev_b32_e32 v60 /*v316*/, 16, v182
	s_set_vgpr_msb 0                        ;  msbs: dst=0 src0=0 src1=0 src2=0
	v_lshrrev_b32_e32 v182, 24, v182
	s_set_vgpr_msb 4                        ;  msbs: dst=0 src0=0 src1=1 src2=0
	v_sub_nc_u16 v189, v189, v42 /*v298*/
	s_set_vgpr_msb 64                       ;  msbs: dst=1 src0=0 src1=0 src2=0
	v_lshrrev_b16 v42 /*v298*/, 8, v183
	s_set_vgpr_msb 1                        ;  msbs: dst=0 src0=1 src1=0 src2=0
	v_sub_nc_u16 v173, v61 /*v317*/, v173
	s_set_vgpr_msb 64                       ;  msbs: dst=1 src0=0 src1=0 src2=0
	v_lshrrev_b32_e32 v61 /*v317*/, 16, v183
	s_set_vgpr_msb 0                        ;  msbs: dst=0 src0=0 src1=0 src2=0
	v_perm_b32 v144, v144, v247, 0xc0c0500
	v_perm_b32 v153, v153, v239, 0x5000c0c
	v_lshrrev_b32_e32 v183, 24, v183
	v_lshrrev_b16 v141, 8, v4
	v_dual_ashrrev_i32 v217, 24, v0 :: v_dual_ashrrev_i32 v219, 24, v1
	v_lshrrev_b16 v224, 8, v1
	v_bfe_i32 v134, v4, 0, 8
	v_lshrrev_b16 v229, 8, v0
	v_lshrrev_b16 v231, 8, v2
	s_set_vgpr_msb 64                       ;  msbs: dst=1 src0=0 src1=0 src2=0
	v_and_b32_e32 v27 /*v283*/, 0x3030303, v193
	s_set_vgpr_msb 0                        ;  msbs: dst=0 src0=0 src1=0 src2=0
	v_bfe_u32 v193, v193, 24, 2
	s_set_vgpr_msb 64                       ;  msbs: dst=1 src0=0 src1=0 src2=0
	v_lshrrev_b16 v35 /*v291*/, 8, v197
	s_set_vgpr_msb 0                        ;  msbs: dst=0 src0=0 src1=0 src2=0
	v_sub_nc_u16 v197, v197, v181
	v_lshrrev_b16 v181, 8, v181
	s_set_vgpr_msb 4                        ;  msbs: dst=0 src0=0 src1=1 src2=0
	v_sub_nc_u16 v185, v185, v48 /*v304*/
	s_set_vgpr_msb 1                        ;  msbs: dst=0 src0=1 src1=0 src2=0
	v_sub_nc_u16 v170, v52 /*v308*/, v170
	s_set_vgpr_msb 64                       ;  msbs: dst=1 src0=0 src1=0 src2=0
	v_lshrrev_b32_e32 v52 /*v308*/, 16, v177
	s_set_vgpr_msb 0x45                     ;  msbs: dst=1 src0=1 src1=1 src2=0
	v_sub_nc_u16 v49 /*v305*/, v57 /*v313*/, v49 /*v305*/
	s_set_vgpr_msb 64                       ;  msbs: dst=1 src0=0 src1=0 src2=0
	v_lshrrev_b32_e32 v57 /*v313*/, 24, v177
	s_set_vgpr_msb 4                        ;  msbs: dst=0 src0=0 src1=1 src2=0
	v_sub_nc_u16 v192, v192, v54 /*v310*/
	s_set_vgpr_msb 1                        ;  msbs: dst=0 src0=1 src1=0 src2=0
	v_sub_nc_u16 v176, v67 /*v323*/, v176
	s_set_vgpr_msb 0                        ;  msbs: dst=0 src0=0 src1=0 src2=0
	v_sub_nc_u16 v179, v251, v179
	s_set_vgpr_msb 4                        ;  msbs: dst=0 src0=0 src1=1 src2=0
	v_sub_nc_u16 v251, v253, v58 /*v314*/
	s_set_vgpr_msb 0                        ;  msbs: dst=0 src0=0 src1=0 src2=0
	v_sub_nc_u16 v182, v206, v182
	s_set_vgpr_msb 5                        ;  msbs: dst=0 src0=1 src1=1 src2=0
	v_sub_nc_u16 v206, v1 /*v257*/, v42 /*v298*/
	s_set_vgpr_msb 0x41                     ;  msbs: dst=1 src0=1 src1=0 src2=0
	v_bfe_i32 v1 /*v257*/, v10 /*v266*/, 0, 8
	v_bfe_i32 v10 /*v266*/, v21 /*v277*/, 0, 8
	;; [unrolled: 1-line block ×4, first 2 shown]
	s_set_vgpr_msb 0                        ;  msbs: dst=0 src0=0 src1=0 src2=0
	v_lshlrev_b16 v152, 8, v152
	v_lshlrev_b16 v155, 8, v155
	;; [unrolled: 1-line block ×8, first 2 shown]
	v_or_b32_e32 v144, v153, v144
	v_sub_nc_u16 v183, v207, v183
	v_lshrrev_b16 v143, 8, v5
	v_lshrrev_b16 v212, 8, v6
	v_dual_ashrrev_i32 v213, 24, v4 :: v_dual_ashrrev_i32 v215, 24, v5
	v_bfe_i32 v131, v0, 0, 8
	v_lshrrev_b16 v225, 8, v3
	v_dual_ashrrev_i32 v227, 24, v3 :: v_dual_ashrrev_i32 v232, 24, v2
	v_bfe_i32 v234, v141, 0, 8
	v_bfe_i32 v224, v224, 0, 8
	;; [unrolled: 1-line block ×4, first 2 shown]
	v_bfe_u32 v190, v190, 24, 2
	v_bfe_u32 v191, v191, 24, 2
	s_set_vgpr_msb 64                       ;  msbs: dst=1 src0=0 src1=0 src2=0
	v_and_b32_e32 v28 /*v284*/, 0x3030303, v194
	s_set_vgpr_msb 0                        ;  msbs: dst=0 src0=0 src1=0 src2=0
	v_and_b32_e32 v178, 0x4040404, v178
	s_set_vgpr_msb 0x45                     ;  msbs: dst=1 src0=1 src1=1 src2=0
	v_lshrrev_b32_e32 v68 /*v324*/, 16, v27 /*v283*/
	v_sub_nc_u16 v36 /*v292*/, v36 /*v292*/, v69 /*v325*/
	v_lshrrev_b16 v69 /*v325*/, 8, v27 /*v283*/
	s_set_vgpr_msb 1                        ;  msbs: dst=0 src0=1 src1=0 src2=0
	v_sub_nc_u16 v181, v35 /*v291*/, v181
	s_set_vgpr_msb 0x45                     ;  msbs: dst=1 src0=1 src1=1 src2=0
	v_sub_nc_u16 v46 /*v302*/, v51 /*v307*/, v46 /*v302*/
	s_set_vgpr_msb 0x41                     ;  msbs: dst=1 src0=1 src1=0 src2=0
	v_dual_lshrrev_b32 v51 /*v307*/, 24, v174 :: v_dual_lshrrev_b32 v48 /*v304*/, 16, v175
	v_sub_nc_u16 v27 /*v283*/, v27 /*v283*/, v177
	s_set_vgpr_msb 1                        ;  msbs: dst=0 src0=1 src1=0 src2=0
	v_lshrrev_b16 v177, 8, v177
	v_sub_nc_u16 v202, v66 /*v322*/, v202
	s_set_vgpr_msb 4                        ;  msbs: dst=0 src0=0 src1=1 src2=0
	v_sub_nc_u16 v193, v193, v57 /*v313*/
	s_set_vgpr_msb 1                        ;  msbs: dst=0 src0=1 src1=0 src2=0
	v_bfe_i32 v207, v14 /*v270*/, 0, 8
	s_set_vgpr_msb 0x41                     ;  msbs: dst=1 src0=1 src1=0 src2=0
	v_bfe_i32 v14 /*v270*/, v26 /*v282*/, 0, 8
	s_set_vgpr_msb 0                        ;  msbs: dst=0 src0=0 src1=0 src2=0
	v_bfe_i32 v204, v204, 0, 16
	s_set_vgpr_msb 0x41                     ;  msbs: dst=1 src0=1 src1=0 src2=0
	v_bfe_i32 v19 /*v275*/, v19 /*v275*/, 0, 16
	s_set_vgpr_msb 0                        ;  msbs: dst=0 src0=0 src1=0 src2=0
	v_bfe_i32 v167, v167, 0, 16
	v_bfe_i32 v183, v183, 0, 16
	v_lshlrev_b16 v162, 8, v162
	v_lshlrev_b16 v200, 8, v200
	s_set_vgpr_msb 0x44                     ;  msbs: dst=1 src0=0 src1=1 src2=0
	v_mul_i32_i24_e32 v10 /*v266*/, v134, v10 /*v266*/
	s_set_vgpr_msb 0                        ;  msbs: dst=0 src0=0 src1=0 src2=0
	v_lshlrev_b16 v189, 8, v189
	s_set_vgpr_msb 0x44                     ;  msbs: dst=1 src0=0 src1=1 src2=0
	v_mul_i32_i24_e32 v6 /*v262*/, v134, v6 /*v262*/
	s_set_vgpr_msb 0                        ;  msbs: dst=0 src0=0 src1=0 src2=0
	v_lshlrev_b16 v185, 8, v185
	v_lshlrev_b16 v176, 8, v176
	;; [unrolled: 1-line block ×3, first 2 shown]
	v_bfe_i32 v251, v251, 0, 16
	v_lshlrev_b16 v161, 8, v161
	v_bfe_i32 v166, v166, 0, 16
	v_bfe_i32 v182, v182, 0, 16
	s_set_vgpr_msb 1                        ;  msbs: dst=0 src0=1 src1=0 src2=0
	v_mul_i32_i24_e32 v219, v16 /*v272*/, v219
	s_set_vgpr_msb 0                        ;  msbs: dst=0 src0=0 src1=0 src2=0
	v_bitop3_b16 v152, v238, v152, 0xff bitop3:0xec
	v_bitop3_b16 v155, v241, v155, 0xff bitop3:0xec
	;; [unrolled: 1-line block ×3, first 2 shown]
	s_set_vgpr_msb 1                        ;  msbs: dst=0 src0=1 src1=0 src2=0
	v_bitop3_b16 v187, v5 /*v261*/, v187, 0xff bitop3:0xec
	s_set_vgpr_msb 0                        ;  msbs: dst=0 src0=0 src1=0 src2=0
	v_bfe_i32 v172, v172, 8, 8
	s_set_vgpr_msb 1                        ;  msbs: dst=0 src0=1 src1=0 src2=0
	v_bitop3_b16 v188, v53 /*v309*/, v188, 0xff bitop3:0xec
	s_set_vgpr_msb 0                        ;  msbs: dst=0 src0=0 src1=0 src2=0
	v_bfe_i32 v168, v168, 8, 8
	s_set_vgpr_msb 1                        ;  msbs: dst=0 src0=1 src1=0 src2=0
	v_bitop3_b16 v184, v38 /*v294*/, v184, 0xff bitop3:0xec
	v_lshrrev_b16 v221, 8, v7
	v_dual_ashrrev_i32 v223, 24, v7 :: v_dual_ashrrev_i32 v230, 24, v6
	s_set_vgpr_msb 0                        ;  msbs: dst=0 src0=0 src1=0 src2=0
	v_perm_b32 v138, v4, v4, 0xc0c0302
	v_bfe_i32 v143, v143, 0, 8
	v_bfe_i32 v212, v212, 0, 8
	;; [unrolled: 1-line block ×3, first 2 shown]
	s_set_vgpr_msb 0x44                     ;  msbs: dst=1 src0=0 src1=1 src2=0
	v_lshrrev_b16 v63 /*v319*/, 8, v23 /*v279*/
	v_lshrrev_b16 v65 /*v321*/, 8, v25 /*v281*/
	v_lshrrev_b32_e32 v35 /*v291*/, 16, v28 /*v284*/
	v_lshrrev_b16 v34 /*v290*/, 8, v28 /*v284*/
	s_set_vgpr_msb 0x41                     ;  msbs: dst=1 src0=1 src1=0 src2=0
	v_sub_nc_u16 v23 /*v279*/, v23 /*v279*/, v174
	s_set_vgpr_msb 0                        ;  msbs: dst=0 src0=0 src1=0 src2=0
	v_lshrrev_b16 v174, 8, v174
	s_set_vgpr_msb 0x41                     ;  msbs: dst=1 src0=1 src1=0 src2=0
	v_sub_nc_u16 v25 /*v281*/, v25 /*v281*/, v175
	v_sub_nc_u16 v28 /*v284*/, v28 /*v284*/, v178
	s_set_vgpr_msb 4                        ;  msbs: dst=0 src0=0 src1=1 src2=0
	v_sub_nc_u16 v190, v190, v51 /*v307*/
	v_sub_nc_u16 v191, v191, v39 /*v295*/
	s_set_vgpr_msb 0x45                     ;  msbs: dst=1 src0=1 src1=1 src2=0
	v_sub_nc_u16 v39 /*v295*/, v68 /*v324*/, v52 /*v308*/
	s_set_vgpr_msb 1                        ;  msbs: dst=0 src0=1 src1=0 src2=0
	v_sub_nc_u16 v177, v69 /*v325*/, v177
	s_set_vgpr_msb 0x41                     ;  msbs: dst=1 src0=1 src1=0 src2=0
	v_bfe_i32 v21 /*v277*/, v27 /*v283*/, 0, 8
	v_bfe_i32 v27 /*v283*/, v31 /*v287*/, 0, 8
	s_set_vgpr_msb 0                        ;  msbs: dst=0 src0=0 src1=0 src2=0
	v_bfe_i32 v196, v196, 0, 16
	v_bfe_i32 v181, v181, 0, 16
	s_set_vgpr_msb 0x41                     ;  msbs: dst=1 src0=1 src1=0 src2=0
	v_bfe_i32 v31 /*v287*/, v36 /*v292*/, 0, 16
	s_set_vgpr_msb 0                        ;  msbs: dst=0 src0=0 src1=0 src2=0
	v_bfe_i32 v180, v180, 0, 16
	v_bfe_i32 v165, v165, 0, 16
	;; [unrolled: 1-line block ×5, first 2 shown]
	s_set_vgpr_msb 0x44                     ;  msbs: dst=1 src0=0 src1=1 src2=0
	v_mul_i32_i24_e32 v1 /*v257*/, v131, v1 /*v257*/
	s_set_vgpr_msb 0                        ;  msbs: dst=0 src0=0 src1=0 src2=0
	v_lshlrev_b16 v148, 8, v148
	v_lshlrev_b16 v157, 8, v157
	;; [unrolled: 1-line block ×3, first 2 shown]
	v_bfe_i32 v164, v164, 0, 16
	s_set_vgpr_msb 0x44                     ;  msbs: dst=1 src0=0 src1=1 src2=0
	v_mul_i32_i24_e32 v14 /*v270*/, v131, v14 /*v270*/
	s_set_vgpr_msb 1                        ;  msbs: dst=0 src0=1 src1=0 src2=0
	v_lshlrev_b16 v193, 8, v193
	v_lshlrev_b16 v169, 8, v169
	;; [unrolled: 1-line block ×3, first 2 shown]
	v_mul_i32_i24_e32 v215, v19 /*v275*/, v215
	s_set_vgpr_msb 0                        ;  msbs: dst=0 src0=0 src1=0 src2=0
	v_mul_i32_i24_e32 v167, v167, v224
	v_mul_i32_i24_e32 v183, v183, v227
	v_bfe_i32 v162, v162, 8, 8
	s_set_vgpr_msb 1                        ;  msbs: dst=0 src0=1 src1=0 src2=0
	v_bitop3_b16 v200, v40 /*v296*/, v200, 0xff bitop3:0xec
	v_bitop3_b16 v189, v47 /*v303*/, v189, 0xff bitop3:0xec
	;; [unrolled: 1-line block ×3, first 2 shown]
	s_set_vgpr_msb 0                        ;  msbs: dst=0 src0=0 src1=0 src2=0
	v_bfe_i32 v176, v176, 8, 8
	v_bitop3_b16 v192, v202, v192, 0xff bitop3:0xec
	v_mul_i32_i24_e32 v227, v251, v231
	v_mul_i32_i24_e32 v166, v166, v229
	v_perm_b32 v161, v161, v161, 0xc0c0c01
	v_mul_i32_i24_e32 v182, v182, v232
	v_mad_i32_i24 v204, v204, v217, v219
	v_perm_b32 v155, v155, v241, 0xc0c0500
	v_perm_b32 v147, v147, v250, 0x5000c0c
	s_set_vgpr_msb 4                        ;  msbs: dst=0 src0=0 src1=1 src2=0
	v_perm_b32 v187, v187, v5 /*v261*/, 0xc05000c
	s_set_vgpr_msb 16                       ;  msbs: dst=0 src0=0 src1=0 src2=1
	v_mad_i32_i24 v172, v234, v172, v10 /*v266*/
	s_set_vgpr_msb 4                        ;  msbs: dst=0 src0=0 src1=1 src2=0
	v_perm_b32 v188, v188, v53 /*v309*/, 0xc0c0500
	s_set_vgpr_msb 16                       ;  msbs: dst=0 src0=0 src1=0 src2=1
	v_mad_i32_i24 v168, v234, v168, v6 /*v262*/
	s_set_vgpr_msb 4                        ;  msbs: dst=0 src0=0 src1=1 src2=0
	v_perm_b32 v184, v184, v38 /*v294*/, 0xc0c0500
	s_set_vgpr_msb 0                        ;  msbs: dst=0 src0=0 src1=0 src2=0
	v_and_b32_e32 v152, 0xffff, v152
	v_bfe_u32 v203, v203, 24, 2
	s_set_vgpr_msb 0x44                     ;  msbs: dst=1 src0=0 src1=1 src2=0
	v_lshrrev_b16 v56 /*v312*/, 8, v13 /*v269*/
	s_set_vgpr_msb 0x41                     ;  msbs: dst=1 src0=1 src1=0 src2=0
	v_sub_nc_u16 v13 /*v269*/, v13 /*v269*/, v171
	s_set_vgpr_msb 0                        ;  msbs: dst=0 src0=0 src1=0 src2=0
	v_lshrrev_b16 v171, 8, v171
	v_lshlrev_b16 v156, 8, v156
	v_bfe_i32 v135, v5, 0, 8
	v_perm_b32 v142, v0, v0, 0xc0c0302
	v_bfe_i32 v221, v221, 0, 8
	s_set_vgpr_msb 0x45                     ;  msbs: dst=1 src0=1 src1=1 src2=0
	v_sub_nc_u16 v37 /*v293*/, v62 /*v318*/, v37 /*v293*/
	s_set_vgpr_msb 1                        ;  msbs: dst=0 src0=1 src1=0 src2=0
	v_sub_nc_u16 v174, v63 /*v319*/, v174
	s_set_vgpr_msb 4                        ;  msbs: dst=0 src0=0 src1=1 src2=0
	v_sub_nc_u16 v253, v255, v60 /*v316*/
	s_set_vgpr_msb 5                        ;  msbs: dst=0 src0=1 src1=1 src2=0
	v_sub_nc_u16 v255, v3 /*v259*/, v61 /*v317*/
	s_set_vgpr_msb 0                        ;  msbs: dst=0 src0=0 src1=0 src2=0
	v_bfe_i32 v197, v197, 0, 8
	s_set_vgpr_msb 0x41                     ;  msbs: dst=1 src0=1 src1=0 src2=0
	v_bfe_i32 v3 /*v259*/, v20 /*v276*/, 0, 8
	v_bfe_i32 v20 /*v276*/, v22 /*v278*/, 0, 8
	;; [unrolled: 1-line block ×8, first 2 shown]
	s_set_vgpr_msb 0                        ;  msbs: dst=0 src0=0 src1=0 src2=0
	v_bfe_i32 v154, v154, 0, 8
	v_bfe_i32 v160, v160, 0, 8
	s_set_vgpr_msb 0x41                     ;  msbs: dst=1 src0=1 src1=0 src2=0
	v_bfe_i32 v32 /*v288*/, v43 /*v299*/, 0, 16
	s_set_vgpr_msb 0                        ;  msbs: dst=0 src0=0 src1=0 src2=0
	v_lshlrev_b16 v145, 8, v145
	v_lshlrev_b16 v248, 8, v248
	;; [unrolled: 1-line block ×5, first 2 shown]
	v_mul_i32_i24_e32 v143, v181, v143
	s_set_vgpr_msb 1                        ;  msbs: dst=0 src0=1 src1=0 src2=0
	v_mul_i32_i24_e32 v181, v31 /*v287*/, v212
	s_set_vgpr_msb 0                        ;  msbs: dst=0 src0=0 src1=0 src2=0
	v_mul_i32_i24_e32 v180, v180, v234
	v_mul_i32_i24_e32 v165, v165, v223
	v_perm_b32 v158, v170, v158, 0x5040100
	v_mul_i32_i24_e32 v170, v206, v225
	v_bitop3_b16 v148, v252, v148, 0xff bitop3:0xec
	v_bitop3_b16 v157, v243, v157, 0xff bitop3:0xec
	s_set_vgpr_msb 1                        ;  msbs: dst=0 src0=1 src1=0 src2=0
	v_bitop3_b16 v201, v41 /*v297*/, v201, 0xff bitop3:0xec
	s_set_vgpr_msb 0                        ;  msbs: dst=0 src0=0 src1=0 src2=0
	v_mul_i32_i24_e32 v164, v164, v230
	s_set_vgpr_msb 1                        ;  msbs: dst=0 src0=1 src1=0 src2=0
	v_bitop3_b16 v193, v39 /*v295*/, v193, 0xff bitop3:0xec
	s_set_vgpr_msb 0                        ;  msbs: dst=0 src0=0 src1=0 src2=0
	v_perm_b32 v173, v173, v173, 0xc0c0c01
	v_perm_b32 v169, v169, v169, 0xc0c0c01
	v_mad_i32_i24 v196, v196, v213, v215
	s_set_vgpr_msb 16                       ;  msbs: dst=0 src0=0 src1=0 src2=1
	v_mad_i32_i24 v162, v229, v162, v1 /*v257*/
	s_set_vgpr_msb 4                        ;  msbs: dst=0 src0=0 src1=1 src2=0
	v_perm_b32 v200, v200, v40 /*v296*/, 0xc0c0500
	v_perm_b32 v189, v189, v47 /*v303*/, 0xc05000c
	;; [unrolled: 1-line block ×3, first 2 shown]
	s_set_vgpr_msb 16                       ;  msbs: dst=0 src0=0 src1=0 src2=1
	v_mad_i32_i24 v176, v229, v176, v14 /*v270*/
	v_perm_b32 v192, v192, v202, 0xc0c0500
	s_set_vgpr_msb 0                        ;  msbs: dst=0 src0=0 src1=0 src2=0
	v_add3_u32 v166, v166, v167, v227
	v_bfe_i32 v167, v152, 8, 8
	v_or_b32_e32 v147, v147, v155
	v_or_b32_e32 v155, v187, v161
	v_add3_u32 v161, v204, v182, v183
	v_dot4_i32_iu8 v172, v138, v188, v172 neg_lo:[1,1,0]
	v_dot4_i32_iu8 v138, v138, v184, v168 neg_lo:[1,1,0]
	v_bfe_u32 v194, v194, 24, 2
	s_set_vgpr_msb 4                        ;  msbs: dst=0 src0=0 src1=1 src2=0
	v_sub_nc_u16 v203, v203, v24 /*v280*/
	s_set_vgpr_msb 64                       ;  msbs: dst=1 src0=0 src1=0 src2=0
	v_lshrrev_b32_e32 v24 /*v280*/, 16, v178
	s_set_vgpr_msb 1                        ;  msbs: dst=0 src0=1 src1=0 src2=0
	v_sub_nc_u16 v171, v56 /*v312*/, v171
	s_set_vgpr_msb 64                       ;  msbs: dst=1 src0=0 src1=0 src2=0
	v_lshrrev_b32_e32 v56 /*v312*/, 24, v178
	s_set_vgpr_msb 0                        ;  msbs: dst=0 src0=0 src1=0 src2=0
	v_bitop3_b16 v156, v242, v156, 0xff bitop3:0xec
	v_bfe_i32 v132, v1, 0, 8
	v_bfe_i32 v222, v7, 16, 8
	;; [unrolled: 1-line block ×3, first 2 shown]
	v_perm_b32 v136, v5, v5, 0xc030201
	v_bfe_i32 v233, v2, 16, 8
	v_lshrrev_b16 v175, 8, v175
	v_bfe_i32 v205, v205, 0, 8
	s_set_vgpr_msb 0x41                     ;  msbs: dst=1 src0=1 src1=0 src2=0
	v_bfe_i32 v11 /*v267*/, v11 /*v267*/, 0, 8
	v_bfe_i32 v26 /*v282*/, v29 /*v285*/, 0, 8
	;; [unrolled: 1-line block ×4, first 2 shown]
	s_set_vgpr_msb 0                        ;  msbs: dst=0 src0=0 src1=0 src2=0
	v_mul_i32_i24_e32 v197, v197, v135
	s_set_vgpr_msb 0x44                     ;  msbs: dst=1 src0=0 src1=1 src2=0
	v_lshlrev_b16 v4 /*v260*/, 8, v4 /*v260*/
	s_set_vgpr_msb 0                        ;  msbs: dst=0 src0=0 src1=0 src2=0
	v_lshlrev_b16 v174, 8, v174
	v_perm_b32 v154, v160, v154, 0x5040100
	s_set_vgpr_msb 1                        ;  msbs: dst=0 src0=1 src1=0 src2=0
	v_mul_i32_i24_e32 v160, v32 /*v288*/, v221
	s_set_vgpr_msb 0                        ;  msbs: dst=0 src0=0 src1=0 src2=0
	v_bitop3_b16 v145, v246, v145, 0xff bitop3:0xec
	v_bitop3_b16 v223, v240, v248, 0xff bitop3:0xec
	s_set_vgpr_msb 1                        ;  msbs: dst=0 src0=1 src1=0 src2=0
	v_bitop3_b16 v190, v37 /*v293*/, v190, 0xff bitop3:0xec
	s_set_vgpr_msb 0                        ;  msbs: dst=0 src0=0 src1=0 src2=0
	v_perm_b32 v163, v163, v163, 0xc0c0c01
	v_perm_b32 v177, v177, v177, 0xc0c0c01
	v_add3_u32 v143, v180, v143, v181
	v_perm_b32 v148, v148, v252, 0xc0c0500
	v_perm_b32 v157, v157, v243, 0x5000c0c
	s_set_vgpr_msb 4                        ;  msbs: dst=0 src0=0 src1=1 src2=0
	v_perm_b32 v201, v201, v41 /*v297*/, 0xc05000c
	v_perm_b32 v193, v193, v39 /*v295*/, 0xc05000c
	v_bfe_i32 v152, v152, 0, 8
	s_set_vgpr_msb 0                        ;  msbs: dst=0 src0=0 src1=0 src2=0
	v_dot4_i32_iu8 v162, v142, v200, v162 neg_lo:[1,1,0]
	v_or_b32_e32 v173, v189, v173
	v_or_b32_e32 v168, v185, v169
	v_add3_u32 v164, v196, v164, v165
	v_dot4_i32_iu8 v142, v142, v192, v176 neg_lo:[1,1,0]
	v_mul_i32_i24_e32 v167, v234, v167
	v_add3_u32 v161, v166, v170, v161
	s_set_vgpr_msb 4                        ;  msbs: dst=0 src0=0 src1=1 src2=0
	v_mad_i32_i24 v166, v135, v20 /*v276*/, v172
	v_mad_i32_i24 v135, v135, v7 /*v263*/, v138
	s_set_vgpr_msb 0                        ;  msbs: dst=0 src0=0 src1=0 src2=0
	v_lshrrev_b16 v178, 8, v178
	s_set_vgpr_msb 4                        ;  msbs: dst=0 src0=0 src1=1 src2=0
	v_sub_nc_u16 v194, v194, v56 /*v312*/
	s_set_vgpr_msb 0                        ;  msbs: dst=0 src0=0 src1=0 src2=0
	v_and_b32_e32 v156, 0xffff, v156
	v_bfe_i32 v216, v5, 16, 8
	v_bfe_i32 v133, v6, 0, 8
	v_perm_b32 v137, v5, v4, 0x5040302
	v_perm_b32 v139, v1, v1, 0xc030201
	s_set_vgpr_msb 0x45                     ;  msbs: dst=1 src0=1 src1=1 src2=0
	v_sub_nc_u16 v48 /*v304*/, v64 /*v320*/, v48 /*v304*/
	s_set_vgpr_msb 1                        ;  msbs: dst=0 src0=1 src1=0 src2=0
	v_sub_nc_u16 v175, v65 /*v321*/, v175
	s_set_vgpr_msb 0x41                     ;  msbs: dst=1 src0=1 src1=0 src2=0
	v_bfe_i32 v8 /*v264*/, v8 /*v264*/, 0, 8
	s_set_vgpr_msb 0                        ;  msbs: dst=0 src0=0 src1=0 src2=0
	v_mul_i32_i24_e32 v205, v205, v132
	v_lshlrev_b16 v146, 8, v146
	v_lshlrev_b16 v186, 8, v186
	;; [unrolled: 1-line block ×3, first 2 shown]
	s_set_vgpr_msb 1                        ;  msbs: dst=0 src0=1 src1=0 src2=0
	v_mul_i32_i24_e32 v221, v33 /*v289*/, v222
	s_set_vgpr_msb 0                        ;  msbs: dst=0 src0=0 src1=0 src2=0
	v_mad_i32_i24 v197, v207, v134, v197
	s_set_vgpr_msb 1                        ;  msbs: dst=0 src0=1 src1=0 src2=0
	v_bfe_i32 v222, v4 /*v260*/, 8, 8
	s_set_vgpr_msb 0                        ;  msbs: dst=0 src0=0 src1=0 src2=0
	v_perm_b32 v174, v174, v174, 0xc0c0c01
	v_pk_mul_lo_u16 v154, v154, v228 op_sel_hi:[1,0]
	v_perm_b32 v145, v145, v246, 0xc0c0500
	v_perm_b32 v181, v223, v240, 0x5000c0c
	s_set_vgpr_msb 4                        ;  msbs: dst=0 src0=0 src1=1 src2=0
	v_perm_b32 v190, v190, v37 /*v293*/, 0xc05000c
	s_set_vgpr_msb 0                        ;  msbs: dst=0 src0=0 src1=0 src2=0
	v_pk_mul_lo_u16 v158, v158, v233 op_sel_hi:[1,0]
	v_or_b32_e32 v148, v157, v148
	v_dual_add_nc_u32 v89, 4, v89 :: v_dual_bitop2_b32 v157, v201, v163 bitop3:0x54
	v_or_b32_e32 v165, v193, v177
	s_set_vgpr_msb 4                        ;  msbs: dst=0 src0=0 src1=1 src2=0
	v_mad_i32_i24 v162, v132, v11 /*v267*/, v162
	s_set_vgpr_msb 0                        ;  msbs: dst=0 src0=0 src1=0 src2=0
	v_add3_u32 v138, v143, v160, v164
	s_set_vgpr_msb 4                        ;  msbs: dst=0 src0=0 src1=1 src2=0
	v_mad_i32_i24 v132, v132, v21 /*v277*/, v142
	s_set_vgpr_msb 0                        ;  msbs: dst=0 src0=0 src1=0 src2=0
	v_mad_i32_i24 v134, v134, v152, v167
	v_dot4_i32_iu8 v143, v136, v173, v166 neg_lo:[1,1,0]
	v_dot4_i32_iu8 v135, v136, v168, v135 neg_lo:[1,1,0]
	v_bfe_i32 v130, v7, 0, 8
	v_bfe_u32 v195, v195, 24, 2
	s_set_vgpr_msb 0x45                     ;  msbs: dst=1 src0=1 src1=1 src2=0
	v_sub_nc_u16 v24 /*v280*/, v35 /*v291*/, v24 /*v280*/
	s_set_vgpr_msb 1                        ;  msbs: dst=0 src0=1 src1=0 src2=0
	v_sub_nc_u16 v178, v34 /*v290*/, v178
	s_set_vgpr_msb 0                        ;  msbs: dst=0 src0=0 src1=0 src2=0
	v_bfe_i32 v199, v199, 0, 8
	v_lshlrev_b16 v149, 8, v149
	s_set_vgpr_msb 0x44                     ;  msbs: dst=1 src0=0 src1=1 src2=0
	v_lshlrev_b16 v0 /*v256*/, 8, v0 /*v256*/
	s_set_vgpr_msb 0                        ;  msbs: dst=0 src0=0 src1=0 src2=0
	v_lshlrev_b16 v194, 8, v194
	v_bfe_i32 v153, v156, 8, 8
	v_bfe_i32 v214, v4, 16, 8
	v_bfe_i32 v129, v2, 0, 8
	v_perm_b32 v5, v6, v5, 0x5040302
	v_perm_b32 v6, v6, v6, 0xc030201
	s_set_vgpr_msb 0x41                     ;  msbs: dst=1 src0=1 src1=0 src2=0
	v_bfe_i32 v17 /*v273*/, v17 /*v273*/, 0, 8
	v_bfe_i32 v9 /*v265*/, v9 /*v265*/, 0, 8
	;; [unrolled: 1-line block ×4, first 2 shown]
	v_mul_i32_i24_e32 v3 /*v259*/, v3 /*v259*/, v133
	s_set_vgpr_msb 1                        ;  msbs: dst=0 src0=1 src1=0 src2=0
	v_lshlrev_b16 v175, 8, v175
	v_mul_i32_i24_e32 v216, v29 /*v285*/, v216
	s_set_vgpr_msb 0                        ;  msbs: dst=0 src0=0 src1=0 src2=0
	v_bfe_i32 v146, v146, 8, 8
	v_bfe_i32 v186, v186, 8, 8
	s_set_vgpr_msb 1                        ;  msbs: dst=0 src0=1 src1=0 src2=0
	v_bitop3_b16 v191, v48 /*v304*/, v191, 0xff bitop3:0xec
	s_set_vgpr_msb 0                        ;  msbs: dst=0 src0=0 src1=0 src2=0
	v_mul_i32_i24_e32 v180, v212, v222
	v_or_b32_e32 v145, v181, v145
	v_bfe_i32 v163, v154, 0, 16
	v_ashrrev_i32_e32 v154, 16, v154
	v_or_b32_e32 v169, v190, v174
	v_dot4_i32_iu8 v142, v139, v157, v162 neg_lo:[1,1,0]
	v_dot4_i32_iu8 v132, v139, v165, v132 neg_lo:[1,1,0]
	;; [unrolled: 1-line block ×3, first 2 shown]
	s_set_vgpr_msb 4                        ;  msbs: dst=0 src0=0 src1=1 src2=0
	v_mad_i32_i24 v137, v133, v22 /*v278*/, v143
	v_mad_i32_i24 v133, v133, v8 /*v264*/, v135
	v_bfe_i32 v226, v3, 16, 8
	s_set_vgpr_msb 0x41                     ;  msbs: dst=1 src0=1 src1=0 src2=0
	v_bfe_i32 v15 /*v271*/, v15 /*v271*/, 0, 8
	s_set_vgpr_msb 4                        ;  msbs: dst=0 src0=0 src1=1 src2=0
	v_sub_nc_u16 v195, v195, v55 /*v311*/
	v_bfe_i32 v255, v255, 0, 8
	s_set_vgpr_msb 0                        ;  msbs: dst=0 src0=0 src1=0 src2=0
	v_mul_i32_i24_e32 v199, v199, v130
	s_set_vgpr_msb 0x44                     ;  msbs: dst=1 src0=0 src1=1 src2=0
	v_lshlrev_b16 v35 /*v291*/, 8, v50 /*v306*/
	s_set_vgpr_msb 0                        ;  msbs: dst=0 src0=0 src1=0 src2=0
	v_lshlrev_b16 v178, 8, v178
	v_bitop3_b16 v149, v254, v149, 0xff bitop3:0xec
	s_set_vgpr_msb 4                        ;  msbs: dst=0 src0=0 src1=1 src2=0
	v_bitop3_b16 v224, v244, v0 /*v256*/, 0xff bitop3:0xec
	s_set_vgpr_msb 1                        ;  msbs: dst=0 src0=1 src1=0 src2=0
	v_bitop3_b16 v194, v24 /*v280*/, v194, 0xff bitop3:0xec
	s_set_vgpr_msb 0                        ;  msbs: dst=0 src0=0 src1=0 src2=0
	v_bfe_i32 v156, v156, 0, 8
	v_mul_i32_i24_e32 v153, v229, v153
	s_set_vgpr_msb 0x41                     ;  msbs: dst=1 src0=1 src1=0 src2=0
	v_mul_i32_i24_e32 v17 /*v273*/, v17 /*v273*/, v129
	s_set_vgpr_msb 0x44                     ;  msbs: dst=1 src0=0 src1=1 src2=0
	v_mul_i32_i24_e32 v9 /*v265*/, v130, v9 /*v265*/
	s_set_vgpr_msb 1                        ;  msbs: dst=0 src0=1 src1=0 src2=0
	v_mul_i32_i24_e32 v207, v34 /*v290*/, v228
	s_set_vgpr_msb 0                        ;  msbs: dst=0 src0=0 src1=0 src2=0
	v_perm_b32 v175, v175, v175, 0xc0c0c01
	s_set_vgpr_msb 1                        ;  msbs: dst=0 src0=1 src1=0 src2=0
	v_mad_i32_i24 v213, v30 /*v286*/, v214, v216
	s_set_vgpr_msb 0                        ;  msbs: dst=0 src0=0 src1=0 src2=0
	v_mul_i32_i24_e32 v146, v230, v146
	v_mul_i32_i24_e32 v186, v230, v186
	s_set_vgpr_msb 4                        ;  msbs: dst=0 src0=0 src1=1 src2=0
	v_perm_b32 v191, v191, v48 /*v304*/, 0xc05000c
	v_mad_i32_i24 v135, v129, v12 /*v268*/, v142
	v_mad_i32_i24 v129, v129, v25 /*v281*/, v132
	s_set_vgpr_msb 0                        ;  msbs: dst=0 src0=0 src1=0 src2=0
	v_dot4_i32_iu8 v5, v5, v145, v134 neg_lo:[1,1,0]
	v_dot4_i32_iu8 v6, v6, v169, v137 neg_lo:[1,1,0]
	v_add3_u32 v132, v133, v180, v154
	v_bfe_i32 v220, v1, 16, 8
	v_perm_b32 v140, v1, v0, 0x5040302
	s_set_vgpr_msb 4                        ;  msbs: dst=0 src0=0 src1=1 src2=0
	v_sub_nc_u16 v249, v249, v59 /*v315*/
	s_set_vgpr_msb 1                        ;  msbs: dst=0 src0=1 src1=0 src2=0
	v_lshlrev_b16 v159, 8, v159
	v_lshlrev_b16 v151, 8, v151
	;; [unrolled: 1-line block ×6, first 2 shown]
	v_mad_i32_i24 v205, v15 /*v271*/, v131, v205
	s_set_vgpr_msb 0                        ;  msbs: dst=0 src0=0 src1=0 src2=0
	v_mul_i32_i24_e32 v206, v255, v226
	s_set_vgpr_msb 1                        ;  msbs: dst=0 src0=1 src1=0 src2=0
	v_bfe_i32 v226, v35 /*v291*/, 8, 8
	s_set_vgpr_msb 0                        ;  msbs: dst=0 src0=0 src1=0 src2=0
	v_perm_b32 v178, v178, v178, 0xc0c0c01
	s_set_vgpr_msb 4                        ;  msbs: dst=0 src0=0 src1=1 src2=0
	v_add3_u32 v197, v197, v3 /*v259*/, v199
	s_set_vgpr_msb 0                        ;  msbs: dst=0 src0=0 src1=0 src2=0
	v_perm_b32 v149, v149, v254, 0xc0c0500
	v_perm_b32 v199, v224, v244, 0x5000c0c
	s_set_vgpr_msb 4                        ;  msbs: dst=0 src0=0 src1=1 src2=0
	v_perm_b32 v194, v194, v24 /*v280*/, 0xc05000c
	s_set_vgpr_msb 0                        ;  msbs: dst=0 src0=0 src1=0 src2=0
	v_mad_i32_i24 v131, v131, v156, v153
	v_perm_b32 v4, v7, v7, 0xc030201
	v_or_b32_e32 v174, v191, v175
	v_add3_u32 v175, v213, v207, v221
	v_add3_u32 v5, v5, v163, v146
	s_set_vgpr_msb 4                        ;  msbs: dst=0 src0=0 src1=1 src2=0
	v_mad_i32_i24 v6, v130, v23 /*v279*/, v6
	s_set_vgpr_msb 16                       ;  msbs: dst=0 src0=0 src1=0 src2=1
	v_add3_u32 v130, v132, v186, v9 /*v265*/
	v_bfe_i32 v218, v0, 16, 8
	v_bfe_i32 v128, v3, 0, 8
	v_perm_b32 v1, v2, v1, 0x5040302
	v_perm_b32 v2, v2, v2, 0xc030201
	s_set_vgpr_msb 0x41                     ;  msbs: dst=1 src0=1 src1=0 src2=0
	v_bfe_i32 v18 /*v274*/, v18 /*v274*/, 0, 8
	v_bfe_i32 v13 /*v269*/, v13 /*v269*/, 0, 8
	s_set_vgpr_msb 0                        ;  msbs: dst=0 src0=0 src1=0 src2=0
	v_bfe_i32 v253, v253, 0, 8
	v_lshlrev_b16 v171, 8, v171
	v_lshlrev_b16 v179, 8, v179
	s_set_vgpr_msb 1                        ;  msbs: dst=0 src0=1 src1=0 src2=0
	v_mul_i32_i24_e32 v220, v27 /*v283*/, v220
	s_set_vgpr_msb 0                        ;  msbs: dst=0 src0=0 src1=0 src2=0
	v_bitop3_b16 v159, v245, v159, 0xff bitop3:0xec
	s_set_vgpr_msb 1                        ;  msbs: dst=0 src0=1 src1=0 src2=0
	v_bitop3_b16 v151, v2 /*v258*/, v151, 0xff bitop3:0xec
	s_set_vgpr_msb 0                        ;  msbs: dst=0 src0=0 src1=0 src2=0
	v_bfe_i32 v150, v150, 8, 8
	s_set_vgpr_msb 1                        ;  msbs: dst=0 src0=1 src1=0 src2=0
	v_bitop3_b16 v203, v49 /*v305*/, v203, 0xff bitop3:0xec
	s_set_vgpr_msb 0                        ;  msbs: dst=0 src0=0 src1=0 src2=0
	v_bitop3_b16 v195, v249, v195, 0xff bitop3:0xec
	v_bfe_i32 v198, v198, 8, 8
	v_mul_i32_i24_e32 v202, v231, v226
	v_or_b32_e32 v149, v199, v149
	v_or_b32_e32 v176, v194, v178
	v_bfe_i32 v177, v158, 0, 16
	v_ashrrev_i32_e32 v158, 16, v158
	v_dot4_i32_iu8 v131, v140, v148, v131 neg_lo:[1,1,0]
	v_lshrrev_b16 v235, 8, v210
	v_bfe_i32 v141, v210, 0, 8
	v_lshrrev_b16 v210, 8, v211
	v_lshrrev_b16 v236, 8, v208
	v_bfe_i32 v208, v208, 0, 8
	v_bfe_i32 v211, v211, 0, 8
	v_lshrrev_b16 v237, 8, v209
	v_bfe_i32 v209, v209, 0, 8
	v_add3_u32 v136, v197, v175, v138
	v_dot4_i32_iu8 v5, v7, v147, v5 neg_lo:[1,1,0]
	v_dot4_i32_iu8 v6, v4, v174, v6 neg_lo:[1,1,0]
	v_dot4_i32_iu8 v4, v4, v155, v130 neg_lo:[1,1,0]
	s_set_vgpr_msb 0x41                     ;  msbs: dst=1 src0=1 src1=0 src2=0
	v_mul_i32_i24_e32 v18 /*v274*/, v18 /*v274*/, v128
	s_set_vgpr_msb 0x44                     ;  msbs: dst=1 src0=0 src1=1 src2=0
	v_mul_i32_i24_e32 v13 /*v269*/, v128, v13 /*v269*/
	s_set_vgpr_msb 0                        ;  msbs: dst=0 src0=0 src1=0 src2=0
	v_mul_i32_i24_e32 v225, v253, v233
	v_perm_b32 v171, v171, v171, 0xc0c0c01
	v_perm_b32 v179, v179, v179, 0xc0c0c01
	s_set_vgpr_msb 1                        ;  msbs: dst=0 src0=1 src1=0 src2=0
	v_mad_i32_i24 v217, v28 /*v284*/, v218, v220
	s_set_vgpr_msb 0                        ;  msbs: dst=0 src0=0 src1=0 src2=0
	v_perm_b32 v159, v159, v245, 0xc0c0500
	s_set_vgpr_msb 4                        ;  msbs: dst=0 src0=0 src1=1 src2=0
	v_perm_b32 v151, v151, v2 /*v258*/, 0x5000c0c
	s_set_vgpr_msb 0                        ;  msbs: dst=0 src0=0 src1=0 src2=0
	v_mul_i32_i24_e32 v150, v232, v150
	v_mul_i32_i24_e32 v198, v232, v198
	s_set_vgpr_msb 4                        ;  msbs: dst=0 src0=0 src1=1 src2=0
	v_perm_b32 v203, v203, v49 /*v305*/, 0xc05000c
	s_set_vgpr_msb 0                        ;  msbs: dst=0 src0=0 src1=0 src2=0
	v_perm_b32 v195, v195, v249, 0xc05000c
	v_dot4_i32_iu8 v1, v1, v149, v131 neg_lo:[1,1,0]
	v_add3_u32 v131, v135, v202, v158
	v_dot4_i32_iu8 v2, v2, v176, v129 neg_lo:[1,1,0]
	v_mul_lo_u32 v133, v136, v209
	v_mul_lo_u32 v5, v5, v211
	;; [unrolled: 1-line block ×4, first 2 shown]
	v_perm_b32 v0, v3, v3, 0xc030201
	s_set_vgpr_msb 20                       ;  msbs: dst=0 src0=0 src1=1 src2=1
	v_add3_u32 v205, v205, v17 /*v273*/, v18 /*v274*/
	s_set_vgpr_msb 0                        ;  msbs: dst=0 src0=0 src1=0 src2=0
	v_or_b32_e32 v151, v151, v159
	v_add3_u32 v159, v217, v225, v206
	v_or_b32_e32 v171, v203, v171
	v_or_b32_e32 v178, v195, v179
	v_add3_u32 v1, v1, v177, v150
	s_set_vgpr_msb 4                        ;  msbs: dst=0 src0=0 src1=1 src2=0
	v_mad_i32_i24 v2, v128, v26 /*v282*/, v2
	s_set_vgpr_msb 16                       ;  msbs: dst=0 src0=0 src1=0 src2=1
	v_add3_u32 v7, v131, v198, v13 /*v269*/
	v_bfe_i32 v235, v235, 0, 8
	v_bfe_i32 v236, v236, 0, 8
	;; [unrolled: 1-line block ×4, first 2 shown]
	s_set_vgpr_msb 0                        ;  msbs: dst=0 src0=0 src1=0 src2=0
	v_add3_u32 v129, v205, v159, v161
	v_dot4_i32_iu8 v1, v3, v151, v1 neg_lo:[1,1,0]
	v_dot4_i32_iu8 v2, v0, v178, v2 neg_lo:[1,1,0]
	;; [unrolled: 1-line block ×3, first 2 shown]
	s_add_co_i32 s20, s20, 2
	v_mad_u32 v7, v129, v128, v133
	v_mad_u32 v128, v1, v210, v5
	;; [unrolled: 1-line block ×4, first 2 shown]
	v_pk_mul_f32 v[0:1], v[90:91], v[94:95] op_sel_hi:[0,1]
	v_pk_mul_f32 v[2:3], v[90:91], v[92:93] op_sel_hi:[0,1]
	v_add_nc_u32_e32 v91, 32, v91
	s_add_co_i32 s1, s1, 1
	s_cmp_lt_u32 s21, 6
	s_mov_b32 s22, s21
	v_cvt_f32_i32_e32 v5, v7
	v_cvt_f32_i32_e32 v6, v128
	;; [unrolled: 1-line block ×4, first 2 shown]
	s_delay_alu instid0(VALU_DEP_2) | instskip(NEXT) | instid1(VALU_DEP_2)
	v_pk_fma_f32 v[18:19], v[2:3], v[4:5], v[18:19]
	v_pk_fma_f32 v[20:21], v[0:1], v[6:7], v[20:21]
	s_cbranch_scc1 .LBB190_11
; %bb.12:                               ;   in Loop: Header=BB190_5 Depth=1
	s_or_b32 s1, s18, 0x80
	s_delay_alu instid0(SALU_CYCLE_1)
	s_cmp_ge_i32 s1, s5
	s_barrier_signal -1
	s_barrier_wait -1
	s_cbranch_scc1 .LBB190_4
; %bb.13:                               ;   in Loop: Header=BB190_5 Depth=1
	v_add_nc_u32_e32 v0, s19, v104
	s_delay_alu instid0(VALU_DEP_1) | instskip(SKIP_1) | instid1(SALU_CYCLE_1)
	v_cmp_gt_i32_e64 s1, s6, v0
	s_and_b32 s20, s0, s1
	s_and_saveexec_b32 s1, s20
	s_cbranch_execz .LBB190_15
; %bb.14:                               ;   in Loop: Header=BB190_5 Depth=1
	v_add_nc_u32_e32 v0, v22, v0
	s_delay_alu instid0(VALU_DEP_1)
	v_mad_nc_i64_i32 v[0:1], v0, 36, v[24:25]
	global_load_b32 v0, v[0:1], off offset:4
	s_wait_loadcnt 0x0
	ds_store_b32 v67, v0
.LBB190_15:                             ;   in Loop: Header=BB190_5 Depth=1
	s_or_b32 exec_lo, exec_lo, s1
	s_and_saveexec_b32 s20, vcc_lo
	s_cbranch_execz .LBB190_18
; %bb.16:                               ;   in Loop: Header=BB190_5 Depth=1
	v_or_b32_e32 v0, 4, v88
	s_delay_alu instid0(VALU_DEP_1) | instskip(SKIP_1) | instid1(SALU_CYCLE_1)
	v_cmp_gt_i32_e64 s1, s6, v0
	s_and_b32 s1, s0, s1
	s_and_b32 exec_lo, exec_lo, s1
	s_cbranch_execz .LBB190_18
; %bb.17:                               ;   in Loop: Header=BB190_5 Depth=1
	v_ashrrev_i32_e32 v89, 31, v88
	s_delay_alu instid0(VALU_DEP_1) | instskip(NEXT) | instid1(VALU_DEP_1)
	v_add_nc_u64_e32 v[0:1], v[22:23], v[88:89]
	v_mad_nc_u64_u32 v[2:3], v0, 36, s[2:3]
	s_delay_alu instid0(VALU_DEP_1)
	v_mad_i32_i24 v3, v1, 36, v3
	global_load_b32 v0, v[2:3], off offset:144
	s_wait_loadcnt 0x0
	v_cvt_f32_f16_e32 v0, v0
	ds_store_b32 v103, v0
.LBB190_18:                             ;   in Loop: Header=BB190_5 Depth=1
	s_or_b32 exec_lo, exec_lo, s20
	v_dual_mov_b32 v89, v65 :: v_dual_mov_b32 v91, v69
	s_mov_b32 s1, 8
	s_mov_b32 s24, 6
	;; [unrolled: 1-line block ×3, first 2 shown]
	s_wait_dscnt 0x0
	s_barrier_signal -1
	s_barrier_wait -1
.LBB190_19:                             ;   Parent Loop BB190_5 Depth=1
                                        ; =>  This Inner Loop Header: Depth=2
	s_add_co_i32 s21, s24, 2
	s_add_co_i32 s22, s24, -6
	s_lshr_b32 s26, s21, 4
	s_and_b32 s23, s21, 0x3ffffff8
	s_and_b32 s25, s1, -16
	v_lshl_add_u32 v4, s23, 2, v107
	s_lshl_b32 s23, s26, 5
	s_add_co_i32 s24, s24, s25
	s_addk_co_i32 s23, 0x4200
	s_lshl_b32 s25, s26, 2
	v_add3_u32 v92, s23, v108, v109
	ds_load_2addr_b32 v[0:1], v4 offset1:1
	s_addk_co_i32 s25, 0x7380
	ds_load_b32 v90, v91
	s_add_co_i32 s1, s1, 2
	ds_load_2addr_b32 v[2:3], v92 offset1:1
	s_wait_dscnt 0x2
	v_dual_add_nc_u32 v150, s24, v33 :: v_dual_ashrrev_i32 v0, s22, v0
	s_wait_dscnt 0x0
	v_ashrrev_i32_e32 v2, s20, v2
	s_delay_alu instid0(VALU_DEP_2) | instskip(NEXT) | instid1(VALU_DEP_2)
	v_and_b32_e32 v5, 0x3030303, v0
	v_dual_ashrrev_i32 v3, s20, v3 :: v_dual_lshlrev_b32 v2, 2, v2
	s_delay_alu instid0(VALU_DEP_2) | instskip(SKIP_2) | instid1(VALU_DEP_4)
	v_lshrrev_b32_e32 v7, 16, v5
	v_bfe_u32 v0, v0, 24, 2
	v_lshrrev_b16 v6, 8, v5
	v_lshlrev_b32_e32 v3, 2, v3
	v_and_b32_e32 v2, 0x4040404, v2
	s_delay_alu instid0(VALU_DEP_2) | instskip(NEXT) | instid1(VALU_DEP_2)
	v_and_b32_e32 v3, 0x4040404, v3
	v_dual_lshrrev_b32 v94, 24, v2 :: v_dual_lshrrev_b32 v95, 16, v2
	v_lshrrev_b16 v93, 8, v2
	s_delay_alu instid0(VALU_DEP_2) | instskip(NEXT) | instid1(VALU_DEP_3)
	v_sub_nc_u16 v0, v0, v94
	v_sub_nc_u16 v163, v7, v95
	v_lshrrev_b32_e32 v7, 24, v3
	s_delay_alu instid0(VALU_DEP_3) | instskip(NEXT) | instid1(VALU_DEP_1)
	v_lshlrev_b16 v0, 8, v0
	v_bitop3_b16 v164, v163, v0, 0xff bitop3:0xec
	v_sub_nc_u16 v0, v5, v2
	v_sub_nc_u16 v2, v6, v93
	v_lshrrev_b32_e32 v93, 16, v3
	v_lshrrev_b16 v6, 8, v3
	v_perm_b32 v163, v164, v163, 0xc0c0500
	s_delay_alu instid0(VALU_DEP_4) | instskip(NEXT) | instid1(VALU_DEP_1)
	v_lshlrev_b16 v2, 8, v2
	v_bitop3_b16 v0, v0, v2, 0xff bitop3:0xec
	s_delay_alu instid0(VALU_DEP_1) | instskip(SKIP_1) | instid1(VALU_DEP_1)
	v_and_b32_e32 v167, 0xffff, v0
	v_ashrrev_i32_e32 v0, s22, v1
	v_and_b32_e32 v1, 0x3030303, v0
	v_bfe_u32 v0, v0, 24, 2
	s_delay_alu instid0(VALU_DEP_2) | instskip(NEXT) | instid1(VALU_DEP_2)
	v_lshrrev_b32_e32 v5, 16, v1
	v_sub_nc_u16 v0, v0, v7
	v_lshrrev_b16 v2, 8, v1
	v_sub_nc_u16 v168, v1, v3
	s_delay_alu instid0(VALU_DEP_4) | instskip(NEXT) | instid1(VALU_DEP_4)
	v_sub_nc_u16 v165, v5, v93
	v_lshlrev_b16 v0, 8, v0
	s_delay_alu instid0(VALU_DEP_1) | instskip(SKIP_4) | instid1(VALU_DEP_1)
	v_bitop3_b16 v166, v165, v0, 0xff bitop3:0xec
	v_sub_nc_u16 v0, v2, v6
	ds_load_2addr_b32 v[2:3], v92 offset0:2 offset1:3
	v_perm_b32 v165, v166, v165, 0xc0c0500
	v_lshlrev_b16 v0, 8, v0
	v_bitop3_b16 v169, v168, v0, 0xff bitop3:0xec
	ds_load_2addr_b32 v[0:1], v4 offset0:2 offset1:3
	v_perm_b32 v164, v169, v168, 0x5000c0c
	s_wait_dscnt 0x1
	s_delay_alu instid0(VALU_DEP_1) | instskip(NEXT) | instid1(VALU_DEP_1)
	v_dual_ashrrev_i32 v2, s20, v2 :: v_dual_bitop2_b32 v163, v164, v163 bitop3:0x54
	v_dual_ashrrev_i32 v3, s20, v3 :: v_dual_lshlrev_b32 v2, 2, v2
	s_wait_dscnt 0x0
	s_delay_alu instid0(VALU_DEP_1) | instskip(NEXT) | instid1(VALU_DEP_2)
	v_dual_lshlrev_b32 v3, 2, v3 :: v_dual_ashrrev_i32 v0, s22, v0
	v_and_b32_e32 v2, 0x4040404, v2
	s_delay_alu instid0(VALU_DEP_2) | instskip(NEXT) | instid1(VALU_DEP_3)
	v_and_b32_e32 v3, 0x4040404, v3
	v_and_b32_e32 v5, 0x3030303, v0
	v_bfe_u32 v0, v0, 24, 2
	s_delay_alu instid0(VALU_DEP_4) | instskip(SKIP_1) | instid1(VALU_DEP_4)
	v_dual_lshrrev_b32 v93, 16, v2 :: v_dual_lshrrev_b32 v94, 24, v2
	v_lshrrev_b16 v95, 8, v2
	v_lshrrev_b16 v7, 8, v5
	v_lshrrev_b32_e32 v6, 16, v5
	v_sub_nc_u16 v171, v5, v2
	v_sub_nc_u16 v0, v0, v94
	s_delay_alu instid0(VALU_DEP_4) | instskip(SKIP_2) | instid1(VALU_DEP_4)
	v_sub_nc_u16 v2, v7, v95
	v_lshrrev_b32_e32 v7, 24, v3
	v_sub_nc_u16 v174, v6, v93
	v_lshlrev_b16 v129, 8, v0
	v_ashrrev_i32_e32 v0, s22, v1
	v_lshlrev_b16 v2, 8, v2
	v_lshrrev_b32_e32 v93, 16, v3
	v_lshrrev_b16 v6, 8, v3
	v_bfe_i32 v174, v174, 0, 8
	v_and_b32_e32 v1, 0x3030303, v0
	v_bfe_u32 v0, v0, 24, 2
	v_bitop3_b16 v172, v171, v2, 0xff bitop3:0xec
	v_bfe_i32 v129, v129, 8, 8
	s_delay_alu instid0(VALU_DEP_4) | instskip(NEXT) | instid1(VALU_DEP_4)
	v_lshrrev_b32_e32 v5, 16, v1
	v_sub_nc_u16 v0, v0, v7
	v_lshrrev_b16 v2, 8, v1
	v_sub_nc_u16 v132, v1, v3
	v_perm_b32 v166, v172, v171, 0x5000c0c
	v_sub_nc_u16 v130, v5, v93
	v_lshlrev_b16 v0, 8, v0
	s_delay_alu instid0(VALU_DEP_1) | instskip(SKIP_4) | instid1(VALU_DEP_1)
	v_bitop3_b16 v131, v130, v0, 0xff bitop3:0xec
	v_sub_nc_u16 v0, v2, v6
	ds_load_2addr_b32 v[2:3], v92 offset0:4 offset1:5
	v_perm_b32 v130, v131, v130, 0x5000c0c
	v_lshlrev_b16 v0, 8, v0
	v_bitop3_b16 v133, v132, v0, 0xff bitop3:0xec
	ds_load_2addr_b32 v[0:1], v4 offset0:4 offset1:5
	v_perm_b32 v132, v133, v132, 0xc0c0500
	s_wait_dscnt 0x1
	s_delay_alu instid0(VALU_DEP_1) | instskip(NEXT) | instid1(VALU_DEP_1)
	v_dual_ashrrev_i32 v2, s20, v2 :: v_dual_bitop2_b32 v130, v130, v132 bitop3:0x54
	v_dual_ashrrev_i32 v3, s20, v3 :: v_dual_lshlrev_b32 v2, 2, v2
	s_wait_dscnt 0x0
	s_delay_alu instid0(VALU_DEP_1) | instskip(NEXT) | instid1(VALU_DEP_2)
	v_dual_lshlrev_b32 v3, 2, v3 :: v_dual_ashrrev_i32 v0, s22, v0
	v_and_b32_e32 v2, 0x4040404, v2
	s_delay_alu instid0(VALU_DEP_2) | instskip(NEXT) | instid1(VALU_DEP_3)
	v_and_b32_e32 v3, 0x4040404, v3
	v_and_b32_e32 v5, 0x3030303, v0
	v_bfe_u32 v0, v0, 24, 2
	s_delay_alu instid0(VALU_DEP_4) | instskip(SKIP_1) | instid1(VALU_DEP_4)
	v_dual_lshrrev_b32 v94, 24, v2 :: v_dual_lshrrev_b32 v95, 16, v2
	v_lshrrev_b16 v93, 8, v2
	v_lshrrev_b32_e32 v7, 16, v5
	v_lshrrev_b16 v6, 8, v5
	s_delay_alu instid0(VALU_DEP_4) | instskip(NEXT) | instid1(VALU_DEP_3)
	v_sub_nc_u16 v0, v0, v94
	v_sub_nc_u16 v151, v7, v95
	v_lshrrev_b32_e32 v7, 24, v3
	s_delay_alu instid0(VALU_DEP_3) | instskip(NEXT) | instid1(VALU_DEP_1)
	v_lshlrev_b16 v0, 8, v0
	v_bitop3_b16 v152, v151, v0, 0xff bitop3:0xec
	v_sub_nc_u16 v0, v5, v2
	v_sub_nc_u16 v2, v6, v93
	v_lshrrev_b32_e32 v93, 16, v3
	v_lshrrev_b16 v6, 8, v3
	v_perm_b32 v151, v152, v151, 0xc0c0500
	s_delay_alu instid0(VALU_DEP_4) | instskip(NEXT) | instid1(VALU_DEP_1)
	v_lshlrev_b16 v2, 8, v2
	v_bitop3_b16 v0, v0, v2, 0xff bitop3:0xec
	s_delay_alu instid0(VALU_DEP_1) | instskip(SKIP_1) | instid1(VALU_DEP_1)
	v_and_b32_e32 v158, 0xffff, v0
	v_ashrrev_i32_e32 v0, s22, v1
	v_and_b32_e32 v1, 0x3030303, v0
	v_bfe_u32 v0, v0, 24, 2
	s_delay_alu instid0(VALU_DEP_2) | instskip(NEXT) | instid1(VALU_DEP_2)
	v_lshrrev_b32_e32 v5, 16, v1
	v_sub_nc_u16 v0, v0, v7
	v_lshrrev_b16 v2, 8, v1
	v_sub_nc_u16 v159, v1, v3
	s_delay_alu instid0(VALU_DEP_4) | instskip(NEXT) | instid1(VALU_DEP_4)
	v_sub_nc_u16 v153, v5, v93
	v_lshlrev_b16 v0, 8, v0
	s_delay_alu instid0(VALU_DEP_1) | instskip(SKIP_3) | instid1(VALU_DEP_1)
	v_bitop3_b16 v154, v153, v0, 0xff bitop3:0xec
	v_sub_nc_u16 v0, v2, v6
	ds_load_2addr_b32 v[2:3], v92 offset0:6 offset1:7
	v_lshlrev_b16 v0, 8, v0
	v_bitop3_b16 v160, v159, v0, 0xff bitop3:0xec
	ds_load_2addr_b32 v[0:1], v4 offset0:6 offset1:7
	v_perm_b32 v152, v160, v159, 0x5000c0c
	s_wait_dscnt 0x1
	v_dual_ashrrev_i32 v2, s20, v2 :: v_dual_ashrrev_i32 v3, s20, v3
	s_delay_alu instid0(VALU_DEP_1) | instskip(SKIP_2) | instid1(VALU_DEP_2)
	v_dual_lshlrev_b32 v2, 2, v2 :: v_dual_lshlrev_b32 v3, 2, v3
	s_wait_dscnt 0x0
	v_ashrrev_i32_e32 v0, s22, v0
	v_and_b32_e32 v2, 0x4040404, v2
	s_delay_alu instid0(VALU_DEP_3) | instskip(NEXT) | instid1(VALU_DEP_3)
	v_and_b32_e32 v3, 0x4040404, v3
	v_and_b32_e32 v5, 0x3030303, v0
	v_bfe_u32 v0, v0, 24, 2
	s_delay_alu instid0(VALU_DEP_4) | instskip(SKIP_1) | instid1(VALU_DEP_4)
	v_dual_lshrrev_b32 v92, 16, v2 :: v_dual_lshrrev_b32 v93, 24, v2
	v_lshrrev_b16 v94, 8, v2
	v_lshrrev_b16 v7, 8, v5
	v_lshrrev_b32_e32 v6, 16, v5
	v_sub_nc_u16 v161, v5, v2
	v_sub_nc_u16 v0, v0, v93
	v_add3_u32 v93, s23, v112, v113
	v_sub_nc_u16 v2, v7, v94
	v_lshrrev_b32_e32 v7, 24, v3
	v_sub_nc_u16 v170, v6, v92
	v_lshlrev_b16 v134, 8, v0
	v_ashrrev_i32_e32 v0, s22, v1
	v_lshlrev_b16 v2, 8, v2
	v_lshrrev_b32_e32 v92, 16, v3
	v_lshrrev_b16 v6, 8, v3
	v_bfe_i32 v170, v170, 0, 8
	v_and_b32_e32 v1, 0x3030303, v0
	v_bfe_u32 v0, v0, 24, 2
	v_bitop3_b16 v162, v161, v2, 0xff bitop3:0xec
	v_bfe_i32 v131, v134, 8, 8
	s_delay_alu instid0(VALU_DEP_4) | instskip(NEXT) | instid1(VALU_DEP_4)
	v_lshrrev_b32_e32 v5, 16, v1
	v_sub_nc_u16 v0, v0, v7
	v_lshrrev_b16 v2, 8, v1
	v_sub_nc_u16 v137, v1, v3
	s_delay_alu instid0(VALU_DEP_4) | instskip(NEXT) | instid1(VALU_DEP_4)
	v_sub_nc_u16 v135, v5, v92
	v_lshlrev_b16 v0, 8, v0
	s_delay_alu instid0(VALU_DEP_1) | instskip(SKIP_4) | instid1(VALU_DEP_1)
	v_bitop3_b16 v136, v135, v0, 0xff bitop3:0xec
	v_sub_nc_u16 v0, v2, v6
	ds_load_2addr_b32 v[2:3], v93 offset1:1
	v_add_nc_u32_e32 v139, s24, v35
	v_lshlrev_b16 v0, 8, v0
	v_bitop3_b16 v138, v137, v0, 0xff bitop3:0xec
	v_add3_u32 v0, s25, v127, v111
	ds_load_b32 v92, v0
	v_add_nc_u32_e32 v0, 0x1080, v4
	s_wait_dscnt 0x1
	v_ashrrev_i32_e32 v2, s20, v2
	ds_load_2addr_b32 v[0:1], v0 offset1:1
	v_dual_ashrrev_i32 v3, s20, v3 :: v_dual_lshlrev_b32 v2, 2, v2
	s_delay_alu instid0(VALU_DEP_1) | instskip(NEXT) | instid1(VALU_DEP_2)
	v_lshlrev_b32_e32 v3, 2, v3
	v_and_b32_e32 v2, 0x4040404, v2
	s_delay_alu instid0(VALU_DEP_2) | instskip(NEXT) | instid1(VALU_DEP_2)
	v_and_b32_e32 v3, 0x4040404, v3
	v_dual_lshrrev_b32 v95, 24, v2 :: v_dual_lshrrev_b32 v128, 16, v2
	v_lshrrev_b16 v94, 8, v2
	s_wait_dscnt 0x0
	v_ashrrev_i32_e32 v0, s22, v0
	s_delay_alu instid0(VALU_DEP_1) | instskip(SKIP_1) | instid1(VALU_DEP_2)
	v_and_b32_e32 v5, 0x3030303, v0
	v_bfe_u32 v0, v0, 24, 2
	v_lshrrev_b32_e32 v7, 16, v5
	s_delay_alu instid0(VALU_DEP_2) | instskip(SKIP_2) | instid1(VALU_DEP_4)
	v_sub_nc_u16 v0, v0, v95
	v_lshrrev_b16 v6, 8, v5
	v_sub_nc_u16 v195, v5, v2
	v_sub_nc_u16 v187, v7, v128
	s_delay_alu instid0(VALU_DEP_4) | instskip(SKIP_1) | instid1(VALU_DEP_4)
	v_lshlrev_b16 v0, 8, v0
	v_lshrrev_b32_e32 v7, 24, v3
	v_bfe_i32 v195, v195, 0, 8
	s_delay_alu instid0(VALU_DEP_3) | instskip(SKIP_3) | instid1(VALU_DEP_4)
	v_bitop3_b16 v188, v187, v0, 0xff bitop3:0xec
	v_sub_nc_u16 v0, v6, v94
	v_lshrrev_b32_e32 v94, 16, v3
	v_lshrrev_b16 v6, 8, v3
	v_perm_b32 v187, v188, v187, 0xc0c0500
	s_delay_alu instid0(VALU_DEP_4) | instskip(SKIP_1) | instid1(VALU_DEP_2)
	v_lshlrev_b16 v192, 8, v0
	v_ashrrev_i32_e32 v0, s22, v1
	v_bfe_i32 v192, v192, 8, 8
	s_delay_alu instid0(VALU_DEP_2) | instskip(SKIP_1) | instid1(VALU_DEP_2)
	v_and_b32_e32 v1, 0x3030303, v0
	v_bfe_u32 v0, v0, 24, 2
	v_lshrrev_b32_e32 v5, 16, v1
	s_delay_alu instid0(VALU_DEP_2) | instskip(SKIP_2) | instid1(VALU_DEP_4)
	v_sub_nc_u16 v0, v0, v7
	v_lshrrev_b16 v2, 8, v1
	v_sub_nc_u16 v197, v1, v3
	v_sub_nc_u16 v191, v5, v94
	s_delay_alu instid0(VALU_DEP_4) | instskip(NEXT) | instid1(VALU_DEP_3)
	v_lshlrev_b16 v0, 8, v0
	v_bfe_i32 v197, v197, 0, 8
	s_delay_alu instid0(VALU_DEP_2) | instskip(SKIP_4) | instid1(VALU_DEP_2)
	v_bitop3_b16 v193, v191, v0, 0xff bitop3:0xec
	v_sub_nc_u16 v0, v2, v6
	ds_load_2addr_b32 v[2:3], v93 offset0:2 offset1:3
	v_lshlrev_b16 v194, 8, v0
	v_add_nc_u32_e32 v0, 0x1088, v4
	v_perm_b32 v164, v194, v194, 0xc0c0c01
	ds_load_2addr_b32 v[0:1], v0 offset1:1
	s_wait_dscnt 0x1
	v_dual_ashrrev_i32 v2, s20, v2 :: v_dual_ashrrev_i32 v3, s20, v3
	s_delay_alu instid0(VALU_DEP_1) | instskip(SKIP_2) | instid1(VALU_DEP_2)
	v_dual_lshlrev_b32 v2, 2, v2 :: v_dual_lshlrev_b32 v3, 2, v3
	s_wait_dscnt 0x0
	v_ashrrev_i32_e32 v0, s22, v0
	v_and_b32_e32 v2, 0x4040404, v2
	s_delay_alu instid0(VALU_DEP_3) | instskip(NEXT) | instid1(VALU_DEP_3)
	v_and_b32_e32 v3, 0x4040404, v3
	v_and_b32_e32 v5, 0x3030303, v0
	v_bfe_u32 v0, v0, 24, 2
	s_delay_alu instid0(VALU_DEP_4) | instskip(SKIP_1) | instid1(VALU_DEP_4)
	v_dual_lshrrev_b32 v94, 16, v2 :: v_dual_lshrrev_b32 v128, 24, v2
	v_lshrrev_b16 v95, 8, v2
	v_lshrrev_b32_e32 v6, 16, v5
	v_lshrrev_b16 v7, 8, v5
	v_sub_nc_u16 v199, v5, v2
	v_sub_nc_u16 v0, v0, v128
	s_delay_alu instid0(VALU_DEP_4) | instskip(SKIP_2) | instid1(VALU_DEP_4)
	v_sub_nc_u16 v200, v6, v94
	v_lshrrev_b32_e32 v94, 16, v3
	v_lshrrev_b16 v6, 8, v3
	v_lshlrev_b16 v140, 8, v0
	v_sub_nc_u16 v0, v7, v95
	v_lshrrev_b32_e32 v7, 24, v3
	v_bfe_i32 v200, v200, 0, 8
	v_bfe_i32 v199, v199, 0, 8
	;; [unrolled: 1-line block ×3, first 2 shown]
	v_lshlrev_b16 v198, 8, v0
	v_ashrrev_i32_e32 v0, s22, v1
	v_perm_b32 v174, v200, v174, 0x5040100
	s_delay_alu instid0(VALU_DEP_3) | instskip(NEXT) | instid1(VALU_DEP_3)
	v_bfe_i32 v198, v198, 8, 8
	v_and_b32_e32 v1, 0x3030303, v0
	v_bfe_u32 v0, v0, 24, 2
	s_delay_alu instid0(VALU_DEP_2) | instskip(NEXT) | instid1(VALU_DEP_2)
	v_lshrrev_b32_e32 v5, 16, v1
	v_sub_nc_u16 v0, v0, v7
	v_lshrrev_b16 v2, 8, v1
	v_sub_nc_u16 v144, v1, v3
	s_delay_alu instid0(VALU_DEP_4) | instskip(NEXT) | instid1(VALU_DEP_4)
	v_sub_nc_u16 v141, v5, v94
	v_lshlrev_b16 v0, 8, v0
	s_delay_alu instid0(VALU_DEP_3) | instskip(NEXT) | instid1(VALU_DEP_2)
	v_bfe_i32 v144, v144, 0, 8
	v_bitop3_b16 v142, v141, v0, 0xff bitop3:0xec
	v_sub_nc_u16 v0, v2, v6
	ds_load_2addr_b32 v[2:3], v93 offset0:4 offset1:5
	v_lshlrev_b16 v143, 8, v0
	v_add_nc_u32_e32 v0, 0x1090, v4
	ds_load_2addr_b32 v[0:1], v0 offset1:1
	s_wait_dscnt 0x1
	v_dual_ashrrev_i32 v2, s20, v2 :: v_dual_ashrrev_i32 v3, s20, v3
	s_delay_alu instid0(VALU_DEP_1) | instskip(SKIP_2) | instid1(VALU_DEP_2)
	v_dual_lshlrev_b32 v2, 2, v2 :: v_dual_lshlrev_b32 v3, 2, v3
	s_wait_dscnt 0x0
	v_ashrrev_i32_e32 v0, s22, v0
	v_and_b32_e32 v2, 0x4040404, v2
	s_delay_alu instid0(VALU_DEP_3) | instskip(NEXT) | instid1(VALU_DEP_3)
	v_and_b32_e32 v3, 0x4040404, v3
	v_and_b32_e32 v5, 0x3030303, v0
	v_bfe_u32 v0, v0, 24, 2
	s_delay_alu instid0(VALU_DEP_4) | instskip(SKIP_1) | instid1(VALU_DEP_4)
	v_dual_lshrrev_b32 v95, 24, v2 :: v_dual_lshrrev_b32 v128, 16, v2
	v_lshrrev_b16 v94, 8, v2
	v_lshrrev_b32_e32 v7, 16, v5
	v_lshrrev_b16 v6, 8, v5
	s_delay_alu instid0(VALU_DEP_4) | instskip(SKIP_1) | instid1(VALU_DEP_4)
	v_sub_nc_u16 v0, v0, v95
	v_sub_nc_u16 v185, v5, v2
	;; [unrolled: 1-line block ×3, first 2 shown]
	v_lshrrev_b32_e32 v7, 24, v3
	s_delay_alu instid0(VALU_DEP_4) | instskip(NEXT) | instid1(VALU_DEP_4)
	v_lshlrev_b16 v0, 8, v0
	v_bfe_i32 v185, v185, 0, 8
	s_delay_alu instid0(VALU_DEP_2) | instskip(SKIP_3) | instid1(VALU_DEP_4)
	v_bitop3_b16 v180, v179, v0, 0xff bitop3:0xec
	v_sub_nc_u16 v0, v6, v94
	v_lshrrev_b32_e32 v94, 16, v3
	v_lshrrev_b16 v6, 8, v3
	v_perm_b32 v179, v180, v179, 0xc0c0500
	s_delay_alu instid0(VALU_DEP_4) | instskip(SKIP_1) | instid1(VALU_DEP_2)
	v_lshlrev_b16 v182, 8, v0
	v_ashrrev_i32_e32 v0, s22, v1
	v_bfe_i32 v182, v182, 8, 8
	s_delay_alu instid0(VALU_DEP_2) | instskip(SKIP_1) | instid1(VALU_DEP_2)
	v_and_b32_e32 v1, 0x3030303, v0
	v_bfe_u32 v0, v0, 24, 2
	v_lshrrev_b32_e32 v5, 16, v1
	s_delay_alu instid0(VALU_DEP_2) | instskip(SKIP_2) | instid1(VALU_DEP_4)
	v_sub_nc_u16 v0, v0, v7
	v_lshrrev_b16 v2, 8, v1
	v_sub_nc_u16 v186, v1, v3
	v_sub_nc_u16 v181, v5, v94
	s_delay_alu instid0(VALU_DEP_4) | instskip(NEXT) | instid1(VALU_DEP_3)
	v_lshlrev_b16 v0, 8, v0
	v_bfe_i32 v186, v186, 0, 8
	s_delay_alu instid0(VALU_DEP_2)
	v_bitop3_b16 v183, v181, v0, 0xff bitop3:0xec
	v_sub_nc_u16 v0, v2, v6
	ds_load_2addr_b32 v[2:3], v93 offset0:6 offset1:7
	v_lshlrev_b16 v184, 8, v0
	v_add_nc_u32_e32 v0, 0x1098, v4
	ds_load_2addr_b32 v[0:1], v0 offset1:1
	s_wait_dscnt 0x1
	v_dual_ashrrev_i32 v2, s20, v2 :: v_dual_ashrrev_i32 v3, s20, v3
	s_delay_alu instid0(VALU_DEP_1) | instskip(SKIP_2) | instid1(VALU_DEP_2)
	v_dual_lshlrev_b32 v2, 2, v2 :: v_dual_lshlrev_b32 v3, 2, v3
	s_wait_dscnt 0x0
	v_ashrrev_i32_e32 v0, s22, v0
	v_and_b32_e32 v2, 0x4040404, v2
	s_delay_alu instid0(VALU_DEP_3) | instskip(NEXT) | instid1(VALU_DEP_3)
	v_and_b32_e32 v3, 0x4040404, v3
	v_and_b32_e32 v5, 0x3030303, v0
	v_bfe_u32 v0, v0, 24, 2
	s_delay_alu instid0(VALU_DEP_4) | instskip(SKIP_1) | instid1(VALU_DEP_4)
	v_dual_lshrrev_b32 v93, 16, v2 :: v_dual_lshrrev_b32 v95, 24, v2
	v_lshrrev_b16 v94, 8, v2
	v_lshrrev_b32_e32 v6, 16, v5
	v_lshrrev_b16 v7, 8, v5
	v_sub_nc_u16 v190, v5, v2
	v_sub_nc_u16 v0, v0, v95
	s_delay_alu instid0(VALU_DEP_4) | instskip(SKIP_2) | instid1(VALU_DEP_4)
	v_sub_nc_u16 v196, v6, v93
	v_lshrrev_b32_e32 v93, 16, v3
	v_lshrrev_b16 v6, 8, v3
	v_lshlrev_b16 v145, 8, v0
	v_sub_nc_u16 v0, v7, v94
	v_lshrrev_b32_e32 v7, 24, v3
	v_add3_u32 v94, s23, v116, v117
	v_bfe_i32 v196, v196, 0, 8
	v_bfe_i32 v190, v190, 0, 8
	v_lshlrev_b16 v189, 8, v0
	v_ashrrev_i32_e32 v0, s22, v1
	s_delay_alu instid0(VALU_DEP_4) | instskip(NEXT) | instid1(VALU_DEP_3)
	v_perm_b32 v170, v196, v170, 0x5040100
	v_bfe_i32 v189, v189, 8, 8
	s_delay_alu instid0(VALU_DEP_3) | instskip(SKIP_1) | instid1(VALU_DEP_2)
	v_and_b32_e32 v1, 0x3030303, v0
	v_bfe_u32 v0, v0, 24, 2
	v_lshrrev_b32_e32 v5, 16, v1
	s_delay_alu instid0(VALU_DEP_2) | instskip(SKIP_2) | instid1(VALU_DEP_4)
	v_sub_nc_u16 v0, v0, v7
	v_lshrrev_b16 v2, 8, v1
	v_sub_nc_u16 v149, v1, v3
	v_sub_nc_u16 v146, v5, v93
	s_delay_alu instid0(VALU_DEP_4) | instskip(NEXT) | instid1(VALU_DEP_3)
	v_lshlrev_b16 v0, 8, v0
	v_bfe_i32 v149, v149, 0, 8
	s_delay_alu instid0(VALU_DEP_2)
	v_bitop3_b16 v147, v146, v0, 0xff bitop3:0xec
	v_sub_nc_u16 v0, v2, v6
	ds_load_2addr_b32 v[2:3], v94 offset1:1
	v_lshlrev_b16 v148, 8, v0
	v_add3_u32 v0, s25, v114, v115
	ds_load_b32 v93, v0
	v_add_nc_u32_e32 v0, 0x2100, v4
	ds_load_2addr_b32 v[0:1], v0 offset1:1
	s_wait_dscnt 0x2
	v_dual_ashrrev_i32 v2, s20, v2 :: v_dual_ashrrev_i32 v3, s20, v3
	s_delay_alu instid0(VALU_DEP_1) | instskip(NEXT) | instid1(VALU_DEP_1)
	v_dual_lshlrev_b32 v2, 2, v2 :: v_dual_lshlrev_b32 v3, 2, v3
	v_and_b32_e32 v2, 0x4040404, v2
	s_delay_alu instid0(VALU_DEP_2) | instskip(NEXT) | instid1(VALU_DEP_2)
	v_and_b32_e32 v3, 0x4040404, v3
	v_dual_lshrrev_b32 v128, 24, v2 :: v_dual_lshrrev_b32 v155, 16, v2
	s_wait_dscnt 0x0
	v_ashrrev_i32_e32 v0, s22, v0
	v_lshrrev_b16 v95, 8, v2
	s_delay_alu instid0(VALU_DEP_2) | instskip(NEXT) | instid1(VALU_DEP_1)
	v_and_b32_e32 v5, 0x3030303, v0
	v_lshrrev_b32_e32 v7, 16, v5
	v_bfe_u32 v0, v0, 24, 2
	v_lshrrev_b16 v6, 8, v5
	v_sub_nc_u16 v5, v5, v2
	s_delay_alu instid0(VALU_DEP_4) | instskip(NEXT) | instid1(VALU_DEP_4)
	v_sub_nc_u16 v201, v7, v155
	v_sub_nc_u16 v0, v0, v128
	v_dual_lshrrev_b32 v128, 24, v3 :: v_dual_lshrrev_b32 v155, 16, v3
	s_delay_alu instid0(VALU_DEP_4) | instskip(NEXT) | instid1(VALU_DEP_3)
	v_bfe_i32 v224, v5, 0, 8
	v_lshlrev_b16 v0, 8, v0
	s_delay_alu instid0(VALU_DEP_1) | instskip(SKIP_2) | instid1(VALU_DEP_3)
	v_bitop3_b16 v202, v201, v0, 0xff bitop3:0xec
	v_sub_nc_u16 v0, v6, v95
	v_lshrrev_b16 v95, 8, v3
	v_perm_b32 v201, v202, v201, 0xc0c0500
	s_delay_alu instid0(VALU_DEP_3) | instskip(SKIP_1) | instid1(VALU_DEP_2)
	v_lshlrev_b16 v6, 8, v0
	v_ashrrev_i32_e32 v0, s22, v1
	v_bfe_i32 v225, v6, 8, 8
	s_delay_alu instid0(VALU_DEP_2) | instskip(SKIP_1) | instid1(VALU_DEP_2)
	v_and_b32_e32 v1, 0x3030303, v0
	v_bfe_u32 v0, v0, 24, 2
	v_lshrrev_b32_e32 v7, 16, v1
	s_delay_alu instid0(VALU_DEP_2) | instskip(SKIP_1) | instid1(VALU_DEP_3)
	v_sub_nc_u16 v0, v0, v128
	v_lshrrev_b16 v2, 8, v1
	v_sub_nc_u16 v203, v7, v155
	s_delay_alu instid0(VALU_DEP_3) | instskip(SKIP_1) | instid1(VALU_DEP_2)
	v_lshlrev_b16 v0, 8, v0
	v_sub_nc_u16 v7, v1, v3
	v_bitop3_b16 v204, v203, v0, 0xff bitop3:0xec
	v_sub_nc_u16 v0, v2, v95
	ds_load_2addr_b32 v[2:3], v94 offset0:2 offset1:3
	v_bfe_i32 v226, v7, 0, 8
	v_perm_b32 v203, v204, v203, 0xc05000c
	v_lshlrev_b16 v205, 8, v0
	v_add_nc_u32_e32 v0, 0x2108, v4
	s_delay_alu instid0(VALU_DEP_2) | instskip(SKIP_3) | instid1(VALU_DEP_1)
	v_perm_b32 v204, v205, v205, 0xc0c0c01
	ds_load_2addr_b32 v[0:1], v0 offset1:1
	s_wait_dscnt 0x1
	v_dual_ashrrev_i32 v2, s20, v2 :: v_dual_bitop2_b32 v203, v203, v204 bitop3:0x54
	v_dual_ashrrev_i32 v3, s20, v3 :: v_dual_lshlrev_b32 v2, 2, v2
	s_wait_dscnt 0x0
	s_delay_alu instid0(VALU_DEP_1) | instskip(NEXT) | instid1(VALU_DEP_2)
	v_dual_lshlrev_b32 v3, 2, v3 :: v_dual_ashrrev_i32 v0, s22, v0
	v_and_b32_e32 v2, 0x4040404, v2
	s_delay_alu instid0(VALU_DEP_2) | instskip(NEXT) | instid1(VALU_DEP_3)
	v_and_b32_e32 v3, 0x4040404, v3
	v_and_b32_e32 v95, 0x3030303, v0
	v_bfe_u32 v0, v0, 24, 2
	s_delay_alu instid0(VALU_DEP_4) | instskip(SKIP_1) | instid1(VALU_DEP_4)
	v_dual_lshrrev_b32 v157, 24, v2 :: v_dual_lshrrev_b32 v173, 16, v2
	v_lshrrev_b16 v156, 8, v2
	v_lshrrev_b32_e32 v155, 16, v95
	v_lshrrev_b16 v128, 8, v95
	s_delay_alu instid0(VALU_DEP_4) | instskip(SKIP_1) | instid1(VALU_DEP_4)
	v_sub_nc_u16 v0, v0, v157
	v_sub_nc_u16 v209, v95, v2
	;; [unrolled: 1-line block ×3, first 2 shown]
	v_lshrrev_b32_e32 v155, 24, v3
	s_delay_alu instid0(VALU_DEP_4) | instskip(NEXT) | instid1(VALU_DEP_4)
	v_lshlrev_b16 v0, 8, v0
	v_bfe_i32 v200, v209, 0, 8
	v_bfe_i32 v209, v167, 8, 8
	;; [unrolled: 1-line block ×3, first 2 shown]
	s_delay_alu instid0(VALU_DEP_4) | instskip(SKIP_3) | instid1(VALU_DEP_3)
	v_bitop3_b16 v207, v206, v0, 0xff bitop3:0xec
	v_sub_nc_u16 v0, v128, v156
	v_lshrrev_b32_e32 v156, 16, v3
	v_lshrrev_b16 v128, 8, v3
	v_lshlrev_b16 v208, 8, v0
	v_ashrrev_i32_e32 v0, s22, v1
	s_delay_alu instid0(VALU_DEP_1) | instskip(NEXT) | instid1(VALU_DEP_1)
	v_and_b32_e32 v1, 0x3030303, v0
	v_lshrrev_b32_e32 v95, 16, v1
	v_bfe_u32 v0, v0, 24, 2
	v_lshrrev_b16 v2, 8, v1
	v_sub_nc_u16 v213, v1, v3
	s_delay_alu instid0(VALU_DEP_4) | instskip(NEXT) | instid1(VALU_DEP_4)
	v_sub_nc_u16 v210, v95, v156
	v_sub_nc_u16 v0, v0, v155
	s_delay_alu instid0(VALU_DEP_1) | instskip(NEXT) | instid1(VALU_DEP_1)
	v_lshlrev_b16 v0, 8, v0
	v_bitop3_b16 v211, v210, v0, 0xff bitop3:0xec
	v_sub_nc_u16 v0, v2, v128
	ds_load_2addr_b32 v[2:3], v94 offset0:4 offset1:5
	v_lshlrev_b16 v212, 8, v0
	v_add_nc_u32_e32 v0, 0x2110, v4
	s_delay_alu instid0(VALU_DEP_2) | instskip(SKIP_3) | instid1(VALU_DEP_1)
	v_perm_b32 v188, v212, v212, 0xc0c0c01
	ds_load_2addr_b32 v[0:1], v0 offset1:1
	s_wait_dscnt 0x1
	v_dual_ashrrev_i32 v2, s20, v2 :: v_dual_ashrrev_i32 v3, s20, v3
	v_dual_lshlrev_b32 v2, 2, v2 :: v_dual_lshlrev_b32 v3, 2, v3
	s_wait_dscnt 0x0
	v_ashrrev_i32_e32 v0, s22, v0
	s_delay_alu instid0(VALU_DEP_2) | instskip(NEXT) | instid1(VALU_DEP_3)
	v_and_b32_e32 v2, 0x4040404, v2
	v_and_b32_e32 v3, 0x4040404, v3
	s_delay_alu instid0(VALU_DEP_3) | instskip(SKIP_1) | instid1(VALU_DEP_4)
	v_and_b32_e32 v95, 0x3030303, v0
	v_bfe_u32 v0, v0, 24, 2
	v_dual_lshrrev_b32 v157, 24, v2 :: v_dual_lshrrev_b32 v173, 16, v2
	v_lshrrev_b16 v156, 8, v2
	s_delay_alu instid0(VALU_DEP_4) | instskip(SKIP_1) | instid1(VALU_DEP_4)
	v_lshrrev_b32_e32 v155, 16, v95
	v_lshrrev_b16 v128, 8, v95
	v_sub_nc_u16 v0, v0, v157
	v_lshrrev_b32_e32 v157, 24, v3
	v_sub_nc_u16 v95, v95, v2
	v_sub_nc_u16 v214, v155, v173
	v_lshrrev_b32_e32 v173, 16, v3
	v_lshlrev_b16 v0, 8, v0
	s_delay_alu instid0(VALU_DEP_4) | instskip(SKIP_1) | instid1(VALU_DEP_3)
	v_bfe_i32 v228, v95, 0, 8
	v_add3_u32 v95, s23, v120, v121
	v_bitop3_b16 v215, v214, v0, 0xff bitop3:0xec
	v_sub_nc_u16 v0, v128, v156
	v_lshrrev_b16 v156, 8, v3
	s_delay_alu instid0(VALU_DEP_2) | instskip(SKIP_1) | instid1(VALU_DEP_2)
	v_lshlrev_b16 v128, 8, v0
	v_ashrrev_i32_e32 v0, s22, v1
	v_bfe_i32 v229, v128, 8, 8
	s_delay_alu instid0(VALU_DEP_2) | instskip(NEXT) | instid1(VALU_DEP_1)
	v_and_b32_e32 v1, 0x3030303, v0
	v_lshrrev_b32_e32 v155, 16, v1
	v_bfe_u32 v0, v0, 24, 2
	v_lshrrev_b16 v2, 8, v1
	s_delay_alu instid0(VALU_DEP_3) | instskip(NEXT) | instid1(VALU_DEP_3)
	v_sub_nc_u16 v216, v155, v173
	v_sub_nc_u16 v0, v0, v157
	;; [unrolled: 1-line block ×3, first 2 shown]
	s_delay_alu instid0(VALU_DEP_2) | instskip(NEXT) | instid1(VALU_DEP_2)
	v_lshlrev_b16 v0, 8, v0
	v_bfe_i32 v230, v173, 0, 8
	s_delay_alu instid0(VALU_DEP_2)
	v_bitop3_b16 v217, v216, v0, 0xff bitop3:0xec
	v_sub_nc_u16 v0, v2, v156
	ds_load_2addr_b32 v[2:3], v94 offset0:6 offset1:7
	v_lshlrev_b16 v218, 8, v0
	v_add_nc_u32_e32 v0, 0x2118, v4
	ds_load_2addr_b32 v[0:1], v0 offset1:1
	s_wait_dscnt 0x1
	v_dual_ashrrev_i32 v2, s20, v2 :: v_dual_ashrrev_i32 v3, s20, v3
	s_delay_alu instid0(VALU_DEP_1) | instskip(SKIP_2) | instid1(VALU_DEP_2)
	v_dual_lshlrev_b32 v2, 2, v2 :: v_dual_lshlrev_b32 v3, 2, v3
	s_wait_dscnt 0x0
	v_ashrrev_i32_e32 v0, s22, v0
	v_and_b32_e32 v2, 0x4040404, v2
	s_delay_alu instid0(VALU_DEP_3) | instskip(NEXT) | instid1(VALU_DEP_3)
	v_and_b32_e32 v3, 0x4040404, v3
	v_and_b32_e32 v155, 0x3030303, v0
	v_bfe_u32 v0, v0, 24, 2
	s_delay_alu instid0(VALU_DEP_4) | instskip(SKIP_1) | instid1(VALU_DEP_4)
	v_dual_lshrrev_b32 v175, 24, v2 :: v_dual_lshrrev_b32 v176, 16, v2
	v_lshrrev_b16 v94, 8, v2
	v_lshrrev_b32_e32 v157, 16, v155
	v_lshrrev_b16 v156, 8, v155
	s_delay_alu instid0(VALU_DEP_4)
	v_sub_nc_u16 v0, v0, v175
	v_sub_nc_u16 v222, v155, v2
	v_lshrrev_b32_e32 v155, 16, v3
	v_sub_nc_u16 v219, v157, v176
	v_lshrrev_b16 v157, 8, v3
	v_lshlrev_b16 v0, 8, v0
	v_bfe_i32 v196, v222, 0, 8
	s_delay_alu instid0(VALU_DEP_2) | instskip(SKIP_2) | instid1(VALU_DEP_2)
	v_bitop3_b16 v220, v219, v0, 0xff bitop3:0xec
	v_sub_nc_u16 v0, v156, v94
	v_lshrrev_b32_e32 v156, 24, v3
	v_lshlrev_b16 v221, 8, v0
	v_ashrrev_i32_e32 v0, s22, v1
	s_delay_alu instid0(VALU_DEP_1) | instskip(NEXT) | instid1(VALU_DEP_1)
	v_and_b32_e32 v1, 0x3030303, v0
	v_lshrrev_b32_e32 v94, 16, v1
	v_bfe_u32 v0, v0, 24, 2
	v_lshrrev_b16 v2, 8, v1
	v_sub_nc_u16 v223, v1, v3
	v_add3_u32 v1, s25, v118, v119
	v_sub_nc_u16 v155, v94, v155
	v_sub_nc_u16 v0, v0, v156
	ds_load_b32 v94, v1
	v_lshlrev_b16 v0, 8, v0
	s_delay_alu instid0(VALU_DEP_1)
	v_bitop3_b16 v156, v155, v0, 0xff bitop3:0xec
	v_sub_nc_u16 v0, v2, v157
	ds_load_2addr_b32 v[2:3], v95 offset1:1
	v_lshlrev_b16 v157, 8, v0
	s_wait_dscnt 0x0
	v_dual_add_nc_u32 v0, s24, v31 :: v_dual_ashrrev_i32 v2, s20, v2
	ds_load_u16 v0, v0 offset:27394
	v_ashrrev_i32_e32 v3, s20, v3
	s_delay_alu instid0(VALU_DEP_1) | instskip(NEXT) | instid1(VALU_DEP_1)
	v_lshlrev_b32_e32 v3, 2, v3
	v_and_b32_e32 v3, 0x4040404, v3
	s_wait_dscnt 0x0
	v_lshrrev_b16 v1, 8, v0
	v_bfe_i32 v227, v0, 0, 8
	v_add_nc_u32_e32 v0, 0x3180, v4
	s_delay_alu instid0(VALU_DEP_3) | instskip(SKIP_2) | instid1(VALU_DEP_1)
	v_bfe_i32 v128, v1, 0, 8
	ds_load_2addr_b32 v[0:1], v0 offset1:1
	v_lshlrev_b32_e32 v2, 2, v2
	v_and_b32_e32 v2, 0x4040404, v2
	s_delay_alu instid0(VALU_DEP_1) | instskip(SKIP_3) | instid1(VALU_DEP_1)
	v_dual_lshrrev_b32 v173, 16, v2 :: v_dual_lshrrev_b32 v175, 24, v2
	v_lshrrev_b16 v176, 8, v2
	s_wait_dscnt 0x0
	v_ashrrev_i32_e32 v0, s22, v0
	v_and_b32_e32 v5, 0x3030303, v0
	v_bfe_u32 v0, v0, 24, 2
	s_delay_alu instid0(VALU_DEP_2) | instskip(NEXT) | instid1(VALU_DEP_2)
	v_sub_nc_u16 v234, v5, v2
	v_sub_nc_u16 v232, v0, v175
	v_ashrrev_i32_e32 v0, s22, v1
	v_lshrrev_b32_e32 v6, 16, v5
	v_lshrrev_b16 v7, 8, v5
	s_delay_alu instid0(VALU_DEP_4) | instskip(NEXT) | instid1(VALU_DEP_4)
	v_bfe_i32 v232, v232, 0, 16
	v_bfe_u32 v1, v0, 24, 2
	v_and_b32_e32 v0, 0x3030303, v0
	v_sub_nc_u16 v233, v6, v173
	v_lshrrev_b32_e32 v6, 24, v3
	v_sub_nc_u16 v231, v7, v176
	s_delay_alu instid0(VALU_DEP_4)
	v_dual_lshrrev_b32 v7, 16, v3 :: v_dual_lshrrev_b32 v2, 16, v0
	v_lshrrev_b16 v5, 8, v0
	v_sub_nc_u16 v235, v0, v3
	v_add_nc_u32_e32 v0, 0x3188, v4
	v_sub_nc_u16 v238, v1, v6
	v_lshrrev_b16 v173, 8, v3
	v_sub_nc_u16 v237, v2, v7
	ds_load_2addr_b32 v[2:3], v95 offset0:2 offset1:3
	ds_load_2addr_b32 v[0:1], v0 offset1:1
	v_bfe_i32 v231, v231, 0, 16
	v_sub_nc_u16 v236, v5, v173
	v_bfe_i32 v205, v237, 0, 8
	v_bfe_i32 v235, v235, 0, 8
	s_wait_dscnt 0x0
	v_dual_ashrrev_i32 v2, s20, v2 :: v_dual_ashrrev_i32 v0, s22, v0
	s_delay_alu instid0(VALU_DEP_1) | instskip(NEXT) | instid1(VALU_DEP_2)
	v_dual_ashrrev_i32 v3, s20, v3 :: v_dual_lshlrev_b32 v2, 2, v2
	v_bfe_u32 v5, v0, 24, 2
	v_and_b32_e32 v0, 0x3030303, v0
	s_delay_alu instid0(VALU_DEP_3) | instskip(NEXT) | instid1(VALU_DEP_4)
	v_lshlrev_b32_e32 v3, 2, v3
	v_and_b32_e32 v2, 0x4040404, v2
	s_delay_alu instid0(VALU_DEP_3) | instskip(SKIP_1) | instid1(VALU_DEP_4)
	v_lshrrev_b32_e32 v6, 16, v0
	v_lshrrev_b16 v7, 8, v0
	v_and_b32_e32 v3, 0x4040404, v3
	s_delay_alu instid0(VALU_DEP_4) | instskip(SKIP_3) | instid1(VALU_DEP_3)
	v_sub_nc_u16 v239, v0, v2
	v_dual_ashrrev_i32 v0, s22, v1 :: v_dual_lshrrev_b32 v173, 24, v2
	v_lshrrev_b32_e32 v175, 16, v2
	v_lshrrev_b16 v176, 8, v2
	v_bfe_u32 v1, v0, 24, 2
	v_and_b32_e32 v0, 0x3030303, v0
	s_delay_alu instid0(VALU_DEP_4)
	v_sub_nc_u16 v241, v6, v175
	v_sub_nc_u16 v242, v5, v173
	v_lshrrev_b32_e32 v6, 24, v3
	v_sub_nc_u16 v240, v7, v176
	v_lshrrev_b32_e32 v2, 16, v0
	v_lshrrev_b16 v5, 8, v0
	v_sub_nc_u16 v243, v0, v3
	v_add_nc_u32_e32 v0, 0x3190, v4
	v_lshrrev_b32_e32 v7, 16, v3
	v_sub_nc_u16 v246, v1, v6
	v_lshrrev_b16 v173, 8, v3
	ds_load_2addr_b32 v[0:1], v0 offset1:1
	v_sub_nc_u16 v245, v2, v7
	ds_load_2addr_b32 v[2:3], v95 offset0:4 offset1:5
	v_sub_nc_u16 v244, v5, v173
	s_wait_dscnt 0x0
	v_dual_ashrrev_i32 v0, s22, v0 :: v_dual_ashrrev_i32 v2, s20, v2
	v_ashrrev_i32_e32 v3, s20, v3
	s_delay_alu instid0(VALU_DEP_2) | instskip(SKIP_1) | instid1(VALU_DEP_3)
	v_and_b32_e32 v5, 0x3030303, v0
	v_bfe_u32 v0, v0, 24, 2
	v_dual_lshlrev_b32 v2, 2, v2 :: v_dual_lshlrev_b32 v3, 2, v3
	s_delay_alu instid0(VALU_DEP_3) | instskip(SKIP_1) | instid1(VALU_DEP_3)
	v_lshrrev_b32_e32 v6, 16, v5
	v_lshrrev_b16 v7, 8, v5
	v_and_b32_e32 v2, 0x4040404, v2
	s_delay_alu instid0(VALU_DEP_4) | instskip(NEXT) | instid1(VALU_DEP_2)
	v_and_b32_e32 v3, 0x4040404, v3
	v_dual_lshrrev_b32 v173, 16, v2 :: v_dual_lshrrev_b32 v175, 24, v2
	v_lshrrev_b16 v176, 8, v2
	v_sub_nc_u16 v250, v5, v2
	s_delay_alu instid0(VALU_DEP_3) | instskip(NEXT) | instid1(VALU_DEP_4)
	v_sub_nc_u16 v249, v6, v173
	v_sub_nc_u16 v248, v0, v175
	v_dual_ashrrev_i32 v0, s22, v1 :: v_dual_lshrrev_b32 v6, 24, v3
	v_sub_nc_u16 v247, v7, v176
	v_lshrrev_b32_e32 v7, 16, v3
	v_lshrrev_b16 v173, 8, v3
	s_delay_alu instid0(VALU_DEP_4) | instskip(SKIP_2) | instid1(VALU_DEP_3)
	v_bfe_u32 v1, v0, 24, 2
	v_and_b32_e32 v0, 0x3030303, v0
	v_bfe_i32 v194, v249, 0, 8
	v_sub_nc_u16 v254, v1, v6
	s_delay_alu instid0(VALU_DEP_3) | instskip(SKIP_3) | instid1(VALU_DEP_4)
	v_lshrrev_b32_e32 v2, 16, v0
	v_lshrrev_b16 v5, 8, v0
	v_sub_nc_u16 v251, v0, v3
	v_add_nc_u32_e32 v0, 0x3198, v4
	v_sub_nc_u16 v253, v2, v7
	ds_load_2addr_b32 v[2:3], v95 offset0:6 offset1:7
	v_sub_nc_u16 v252, v5, v173
	ds_load_2addr_b32 v[0:1], v0 offset1:1
	s_wait_dscnt 0x1
	v_dual_ashrrev_i32 v2, s20, v2 :: v_dual_ashrrev_i32 v3, s20, v3
	s_wait_dscnt 0x0
	v_ashrrev_i32_e32 v0, s22, v0
	s_add_co_i32 s20, s20, 1
	s_cmp_lt_u32 s21, 14
	v_dual_lshlrev_b32 v2, 2, v2 :: v_dual_lshlrev_b32 v3, 2, v3
	s_delay_alu instid0(VALU_DEP_2) | instskip(SKIP_1) | instid1(VALU_DEP_3)
	v_bfe_u32 v4, v0, 24, 2
	v_and_b32_e32 v0, 0x3030303, v0
	v_and_b32_e32 v2, 0x4040404, v2
	s_delay_alu instid0(VALU_DEP_2) | instskip(SKIP_1) | instid1(VALU_DEP_3)
	v_lshrrev_b32_e32 v5, 16, v0
	v_lshrrev_b16 v6, 8, v0
	v_sub_nc_u16 v255, v0, v2
	v_dual_ashrrev_i32 v0, s22, v1 :: v_dual_lshrrev_b32 v7, 24, v2
	v_lshrrev_b32_e32 v95, 16, v2
	v_lshrrev_b16 v173, 8, v2
	s_delay_alu instid0(VALU_DEP_3)
	v_bfe_u32 v1, v0, 24, 2
	v_and_b32_e32 v0, 0x3030303, v0
	s_set_vgpr_msb 64                       ;  msbs: dst=1 src0=0 src1=0 src2=0
	v_sub_nc_u16 v1 /*v257*/, v5, v95
	v_sub_nc_u16 v0 /*v256*/, v6, v173
	s_set_vgpr_msb 0                        ;  msbs: dst=0 src0=0 src1=0 src2=0
	v_add_nc_u32_e32 v173, s24, v29
	v_and_b32_e32 v3, 0x4040404, v3
	v_lshrrev_b32_e32 v2, 16, v0
	s_set_vgpr_msb 64                       ;  msbs: dst=1 src0=0 src1=0 src2=0
	v_sub_nc_u16 v2 /*v258*/, v4, v7
	s_set_vgpr_msb 0                        ;  msbs: dst=0 src0=0 src1=0 src2=0
	v_lshrrev_b16 v4, 8, v0
	s_mov_b32 s24, s21
	v_dual_lshrrev_b32 v5, 24, v3 :: v_dual_lshrrev_b32 v6, 16, v3
	v_lshrrev_b16 v7, 8, v3
	v_sub_nc_u16 v175, v0, v3
	v_add3_u32 v0, s25, v122, v123
	s_delay_alu instid0(VALU_DEP_4)
	v_sub_nc_u16 v178, v1, v5
	v_sub_nc_u16 v177, v2, v6
	;; [unrolled: 1-line block ×3, first 2 shown]
	ds_load_b32 v95, v0
	ds_load_b128 v[4:7], v89
	ds_load_b128 v[0:3], v89 offset:16
	v_or_b32_e32 v165, v166, v165
	v_perm_b32 v166, v208, v208, 0xc0c0c01
	v_add_nc_u32_e32 v89, 32, v89
	ds_load_u16 v139, v139 offset:25346
	ds_load_u16 v150, v150 offset:26370
	s_wait_dscnt 0x3
	s_set_vgpr_msb 64                       ;  msbs: dst=1 src0=0 src1=0 src2=0
	v_lshrrev_b16 v3 /*v259*/, 8, v4
	v_bfe_i32 v9 /*v265*/, v4, 0, 8
	s_set_vgpr_msb 0                        ;  msbs: dst=0 src0=0 src1=0 src2=0
	v_perm_b32 v202, v4, v4, 0xc0c0302
	s_set_vgpr_msb 64                       ;  msbs: dst=1 src0=0 src1=0 src2=0
	v_bfe_i32 v10 /*v266*/, v5, 0, 8
	s_set_vgpr_msb 0                        ;  msbs: dst=0 src0=0 src1=0 src2=0
	v_perm_b32 v204, v5, v5, 0xc030201
	s_set_vgpr_msb 0x41                     ;  msbs: dst=1 src0=1 src1=0 src2=0
	v_bfe_i32 v3 /*v259*/, v3 /*v259*/, 0, 8
	s_set_vgpr_msb 1                        ;  msbs: dst=0 src0=1 src1=0 src2=0
	v_mul_i32_i24_e32 v224, v9 /*v265*/, v224
	s_set_vgpr_msb 64                       ;  msbs: dst=1 src0=0 src1=0 src2=0
	v_lshrrev_b16 v4 /*v260*/, 8, v5
	v_ashrrev_i32_e32 v7 /*v263*/, 24, v4
	v_bfe_i32 v8 /*v264*/, v4, 16, 8
	s_set_vgpr_msb 1                        ;  msbs: dst=0 src0=1 src1=0 src2=0
	v_mul_i32_i24_e32 v209, v3 /*v259*/, v209
	v_mad_i32_i24 v224, v3 /*v259*/, v225, v224
	s_set_vgpr_msb 0                        ;  msbs: dst=0 src0=0 src1=0 src2=0
	v_bfe_i32 v225, v233, 0, 8
	v_ashrrev_i32_e32 v233, 24, v5
	s_set_vgpr_msb 1                        ;  msbs: dst=0 src0=1 src1=0 src2=0
	v_mul_i32_i24_e32 v195, v9 /*v265*/, v195
	v_mad_i32_i24 v167, v9 /*v265*/, v167, v209
	s_set_vgpr_msb 0                        ;  msbs: dst=0 src0=0 src1=0 src2=0
	v_dot4_i32_iu8 v201, v202, v201, v224 neg_lo:[1,1,0]
	v_perm_b32 v4, v5, v4, 0x5040302
	v_bfe_i32 v224, v234, 0, 8
	s_set_vgpr_msb 1                        ;  msbs: dst=0 src0=1 src1=0 src2=0
	v_bfe_i32 v234, v4 /*v260*/, 0, 8
	s_set_vgpr_msb 64                       ;  msbs: dst=1 src0=0 src1=0 src2=0
	v_bfe_i32 v4 /*v260*/, v5, 16, 8
	s_set_vgpr_msb 1                        ;  msbs: dst=0 src0=1 src1=0 src2=0
	v_mad_i32_i24 v201, v10 /*v266*/, v226, v201
	v_mad_i32_i24 v192, v3 /*v259*/, v192, v195
	s_set_vgpr_msb 0                        ;  msbs: dst=0 src0=0 src1=0 src2=0
	v_perm_b32 v5, v6, v5, 0x5040302
	s_set_vgpr_msb 64                       ;  msbs: dst=1 src0=0 src1=0 src2=0
	v_lshrrev_b16 v5 /*v261*/, 8, v6
	s_set_vgpr_msb 0                        ;  msbs: dst=0 src0=0 src1=0 src2=0
	v_bfe_i32 v226, v236, 0, 16
	v_dot4_i32_iu8 v201, v204, v203, v201 neg_lo:[1,1,0]
	v_bfe_i32 v203, v238, 0, 16
	v_bfe_i32 v236, v6, 0, 8
	v_dot4_i32_iu8 v187, v202, v187, v192 neg_lo:[1,1,0]
	v_mul_i32_i24_e32 v226, v226, v234
	s_set_vgpr_msb 1                        ;  msbs: dst=0 src0=1 src1=0 src2=0
	v_bfe_i32 v234, v5 /*v261*/, 0, 8
	s_set_vgpr_msb 0                        ;  msbs: dst=0 src0=0 src1=0 src2=0
	v_mul_i32_i24_e32 v203, v203, v233
	v_ashrrev_i32_e32 v233, 24, v6
	v_bfe_i32 v237, v6, 16, 8
	s_set_vgpr_msb 1                        ;  msbs: dst=0 src0=1 src1=0 src2=0
	v_mad_i32_i24 v187, v10 /*v266*/, v197, v187
	s_set_vgpr_msb 0                        ;  msbs: dst=0 src0=0 src1=0 src2=0
	v_perm_b32 v6, v6, v6, 0xc030201
	v_bfe_i32 v172, v7, 0, 8
	s_set_vgpr_msb 64                       ;  msbs: dst=1 src0=0 src1=0 src2=0
	v_lshrrev_b16 v6 /*v262*/, 8, v7
	s_set_vgpr_msb 4                        ;  msbs: dst=0 src0=0 src1=1 src2=0
	v_mul_i32_i24_e32 v231, v231, v3 /*v259*/
	v_mul_i32_i24_e32 v235, v235, v10 /*v266*/
	;; [unrolled: 1-line block ×3, first 2 shown]
	v_bfe_i32 v171, v7, 16, 8
	s_set_vgpr_msb 1                        ;  msbs: dst=0 src0=1 src1=0 src2=0
	v_bfe_i32 v169, v6 /*v262*/, 0, 8
	s_set_vgpr_msb 0                        ;  msbs: dst=0 src0=0 src1=0 src2=0
	v_bfe_i32 v192, v244, 0, 16
	v_bfe_i32 v197, v247, 0, 16
	v_pk_mul_lo_u16 v174, v174, v237 op_sel_hi:[1,0]
	v_perm_b32 v202, v218, v218, 0xc0c0c01
	v_or_b32_e32 v151, v152, v151
	v_mul_i32_i24_e32 v169, v192, v169
	s_set_vgpr_msb 4                        ;  msbs: dst=0 src0=0 src1=1 src2=0
	v_mad_i32_i24 v192, v224, v9 /*v265*/, v235
	s_set_vgpr_msb 0                        ;  msbs: dst=0 src0=0 src1=0 src2=0
	v_perm_b32 v152, v184, v184, 0xc0c0c01
	s_wait_dscnt 0x2
	v_bfe_i32 v160, v3, 16, 8
	v_bfe_i32 v195, v248, 0, 16
	v_mul_i32_i24_e32 v144, v172, v144
	v_dot4_i32_iu8 v4, v4, v163, v167 neg_lo:[1,1,0]
	v_perm_b32 v163, v193, v191, 0xc05000c
	v_bfe_i32 v167, v239, 0, 8
	v_bfe_i32 v191, v245, 0, 8
	v_bfe_i32 v193, v243, 0, 8
	v_mul_i32_i24_e32 v129, v233, v129
	v_mul_i32_i24_e32 v140, v233, v140
	v_dot4_i32_iu8 v165, v5, v165, v4 neg_lo:[1,1,0]
	v_perm_b32 v5, v207, v206, 0xc05000c
	v_dual_ashrrev_i32 v168, 24, v7 :: v_dual_bitop2_b32 v163, v163, v164 bitop3:0x54
	v_mad_i32_i24 v4, v236, v200, v201
	v_mul_i32_i24_e32 v164, v234, v198
	v_mul_i32_i24_e32 v167, v167, v236
	;; [unrolled: 1-line block ×4, first 2 shown]
	s_set_vgpr_msb 4                        ;  msbs: dst=0 src0=0 src1=1 src2=0
	v_mad_i32_i24 v191, v225, v8 /*v264*/, v205
	v_bfe_i32 v206, v158, 8, 8
	v_bfe_i32 v158, v158, 0, 8
	;; [unrolled: 1-line block ×3, first 2 shown]
	s_set_vgpr_msb 0                        ;  msbs: dst=0 src0=0 src1=0 src2=0
	v_perm_b32 v201, v217, v216, 0xc05000c
	v_bfe_i32 v205, v251, 0, 8
	v_dual_ashrrev_i32 v198, 24, v1 :: v_dual_bitop2_b32 v5, v5, v166 bitop3:0x54
	v_dot4_i32_iu8 v163, v204, v163, v187 neg_lo:[1,1,0]
	v_bfe_i32 v187, v213, 0, 8
	v_bfe_i32 v166, v240, 0, 16
	v_add3_u32 v167, v192, v167, v193
	v_perm_b32 v192, v215, v214, 0xc0c0500
	v_perm_b32 v193, v0, v0, 0xc0c0302
	v_bfe_i32 v204, v252, 0, 16
	v_or_b32_e32 v201, v201, v202
	v_perm_b32 v202, v1, v1, 0xc030201
	v_mul_i32_i24_e32 v205, v205, v200
	v_dot4_i32_iu8 v4, v6, v5, v4 neg_lo:[1,1,0]
	v_bfe_i32 v5, v242, 0, 16
	v_bfe_i32 v6, v241, 0, 8
	v_mul_i32_i24_e32 v166, v166, v234
	v_mad_i32_i24 v163, v236, v199, v163
	v_bfe_i32 v199, v1, 16, 8
	v_mad_i32_i24 v4, v172, v187, v4
	v_perm_b32 v187, v211, v210, 0xc05000c
	v_mul_i32_i24_e32 v5, v5, v233
	v_mul_i32_i24_e32 v6, v6, v237
	v_add3_u32 v166, v231, v226, v166
	s_delay_alu instid0(VALU_DEP_4) | instskip(SKIP_1) | instid1(VALU_DEP_4)
	v_or_b32_e32 v187, v187, v188
	v_perm_b32 v188, v7, v7, 0xc030201
	v_add3_u32 v6, v191, v6, v171
	v_bfe_i32 v171, v0, 16, 8
	s_delay_alu instid0(VALU_DEP_3) | instskip(SKIP_1) | instid1(VALU_DEP_2)
	v_dot4_i32_iu8 v4, v188, v187, v4 neg_lo:[1,1,0]
	v_bfe_i32 v187, v246, 0, 16
	v_mul_lo_u32 v4, v4, v227
	s_delay_alu instid0(VALU_DEP_2) | instskip(SKIP_4) | instid1(VALU_DEP_2)
	v_mul_i32_i24_e32 v168, v187, v168
	s_set_vgpr_msb 4                        ;  msbs: dst=0 src0=0 src1=1 src2=0
	v_mad_i32_i24 v187, v232, v7 /*v263*/, v203
	v_bfe_i32 v203, v253, 0, 8
	s_set_vgpr_msb 0                        ;  msbs: dst=0 src0=0 src1=0 src2=0
	v_add3_u32 v5, v187, v5, v168
	v_bfe_i32 v187, v0, 0, 8
	s_delay_alu instid0(VALU_DEP_3)
	v_mul_i32_i24_e32 v199, v203, v199
	v_bfe_i32 v203, v2, 0, 8
	v_lshrrev_b16 v168, 8, v3
	v_add3_u32 v5, v166, v169, v5
	v_mul_i32_i24_e32 v191, v187, v228
	v_lshrrev_b16 v166, 8, v1
	v_mul_i32_i24_e32 v185, v187, v185
	v_ashrrev_i32_e32 v169, 24, v0
	v_bfe_i32 v159, v168, 0, 8
	v_mad_i32_i24 v134, v194, v171, v199
	v_add3_u32 v5, v167, v6, v5
	v_lshrrev_b16 v6, 8, v0
	v_bfe_i32 v166, v166, 0, 8
	v_perm_b32 v0, v1, v0, 0x5040302
	v_lshrrev_b16 v167, 8, v2
	v_perm_b32 v1, v2, v1, 0x5040302
	v_bfe_i32 v6, v6, 0, 8
	v_mul_i32_i24_e32 v166, v204, v166
	v_bfe_i32 v204, v2, 16, 8
	v_bfe_i32 v167, v167, 0, 8
	s_delay_alu instid0(VALU_DEP_4)
	v_mad_i32_i24 v191, v6, v229, v191
	v_mul_i32_i24_e32 v206, v6, v206
	v_mul_i32_i24_e32 v197, v197, v6
	v_mad_i32_i24 v6, v6, v182, v185
	v_pk_mul_lo_u16 v170, v170, v204 op_sel_hi:[1,0]
	v_dot4_i32_iu8 v191, v193, v192, v191 neg_lo:[1,1,0]
	v_mad_i32_i24 v158, v187, v158, v206
	v_bfe_i32 v192, v250, 0, 8
	v_dot4_i32_iu8 v6, v193, v179, v6 neg_lo:[1,1,0]
	v_bfe_i32 v179, v174, 0, 16
	v_ashrrev_i32_e32 v174, 16, v174
	v_bfe_i32 v132, v170, 0, 16
	v_mad_i32_i24 v191, v200, v230, v191
	v_dot4_i32_iu8 v0, v0, v151, v158 neg_lo:[1,1,0]
	v_perm_b32 v151, v183, v181, 0xc05000c
	v_mad_i32_i24 v6, v200, v186, v6
	v_ashrrev_i32_e32 v158, 24, v3
	v_add3_u32 v129, v165, v179, v129
	v_add3_u32 v163, v163, v164, v174
	v_dot4_i32_iu8 v191, v202, v201, v191 neg_lo:[1,1,0]
	v_bfe_i32 v201, v254, 0, 16
	v_dual_ashrrev_i32 v133, 16, v170 :: v_dual_bitop2_b32 v151, v151, v152 bitop3:0x54
	v_perm_b32 v152, v154, v153, 0xc0c0500
	v_perm_b32 v153, v162, v161, 0x5000c0c
	v_dot4_i32_iu8 v7, v7, v130, v129 neg_lo:[1,1,0]
	v_perm_b32 v129, v142, v141, 0xc05000c
	v_perm_b32 v130, v143, v143, 0xc0c0c01
	v_bfe_i32 v161, v3, 0, 8
	v_bfe_i32 v162, v223, 0, 8
	;; [unrolled: 1-line block ×3, first 2 shown]
	v_add3_u32 v140, v163, v140, v144
	v_mul_i32_i24_e32 v198, v201, v198
	v_ashrrev_i32_e32 v201, 24, v2
	v_dot4_i32_iu8 v6, v202, v151, v6 neg_lo:[1,1,0]
	v_or_b32_e32 v152, v153, v152
	v_mul_i32_i24_e32 v151, v167, v189
	v_or_b32_e32 v129, v129, v130
	v_bfe_i32 v130, v145, 8, 8
	v_perm_b32 v153, v221, v221, 0xc0c0c01
	v_perm_b32 v2, v2, v2, 0xc030201
	v_mul_i32_i24_e32 v154, v154, v203
	v_mad_i32_i24 v6, v203, v190, v6
	v_dot4_i32_iu8 v0, v1, v152, v0 neg_lo:[1,1,0]
	v_mul_i32_i24_e32 v131, v201, v131
	v_mul_i32_i24_e32 v130, v201, v130
	v_perm_b32 v152, v220, v219, 0xc05000c
	v_mad_i32_i24 v1, v203, v196, v191
	v_dot4_i32_iu8 v129, v188, v129, v140 neg_lo:[1,1,0]
	v_add3_u32 v6, v6, v151, v133
	v_add3_u32 v0, v0, v132, v131
	v_mul_i32_i24_e32 v131, v161, v149
	v_or_b32_e32 v152, v152, v153
	s_set_vgpr_msb 1                        ;  msbs: dst=0 src0=1 src1=0 src2=0
	v_bfe_i32 v153, v0 /*v256*/, 0, 16
	s_set_vgpr_msb 0                        ;  msbs: dst=0 src0=0 src1=0 src2=0
	v_bfe_i32 v132, v175, 0, 8
	v_mad_i32_i24 v133, v195, v169, v198
	v_add3_u32 v6, v6, v130, v131
	v_perm_b32 v130, v138, v137, 0xc0c0500
	v_perm_b32 v131, v136, v135, 0x5000c0c
	v_dot4_i32_iu8 v1, v2, v152, v1 neg_lo:[1,1,0]
	s_set_vgpr_msb 1                        ;  msbs: dst=0 src0=1 src1=0 src2=0
	v_bfe_i32 v2, v2 /*v258*/, 0, 16
	v_bfe_i32 v152, v1 /*v257*/, 0, 8
	s_set_vgpr_msb 0                        ;  msbs: dst=0 src0=0 src1=0 src2=0
	v_mul_i32_i24_e32 v153, v153, v167
	v_mul_i32_i24_e32 v132, v132, v161
	v_mad_i32_i24 v135, v192, v187, v205
	v_or_b32_e32 v130, v131, v130
	v_perm_b32 v131, v148, v148, 0xc0c0c01
	v_mul_i32_i24_e32 v2, v2, v201
	v_mul_i32_i24_e32 v152, v152, v204
	v_add3_u32 v136, v197, v166, v153
	v_add3_u32 v132, v135, v154, v132
	v_dot4_i32_iu8 v130, v3, v130, v0 neg_lo:[1,1,0]
	v_perm_b32 v0, v147, v146, 0xc05000c
	v_perm_b32 v3, v3, v3, 0xc030201
	s_delay_alu instid0(VALU_DEP_2) | instskip(SKIP_1) | instid1(VALU_DEP_2)
	v_or_b32_e32 v0, v0, v131
	v_perm_b32 v131, v157, v157, 0xc0c0c01
	v_dot4_i32_iu8 v6, v3, v0, v6 neg_lo:[1,1,0]
	v_mad_i32_i24 v0, v161, v162, v1
	v_perm_b32 v1, v156, v155, 0xc05000c
	s_delay_alu instid0(VALU_DEP_1) | instskip(NEXT) | instid1(VALU_DEP_1)
	v_or_b32_e32 v1, v1, v131
	v_dot4_i32_iu8 v131, v3, v1, v0 neg_lo:[1,1,0]
	v_bfe_i32 v0, v178, 0, 16
	v_bfe_i32 v1, v177, 0, 8
	v_bfe_i32 v3, v176, 0, 16
	s_delay_alu instid0(VALU_DEP_3) | instskip(NEXT) | instid1(VALU_DEP_3)
	v_mul_i32_i24_e32 v0, v0, v158
	v_mul_i32_i24_e32 v1, v1, v160
	s_delay_alu instid0(VALU_DEP_3) | instskip(NEXT) | instid1(VALU_DEP_3)
	v_mul_i32_i24_e32 v3, v3, v159
	v_add3_u32 v0, v133, v2, v0
	s_delay_alu instid0(VALU_DEP_3) | instskip(NEXT) | instid1(VALU_DEP_2)
	v_add3_u32 v1, v134, v152, v1
	v_add3_u32 v0, v136, v3, v0
	v_pk_mul_f32 v[2:3], v[90:91], v[94:95] op_sel_hi:[0,1]
	s_delay_alu instid0(VALU_DEP_2)
	v_add3_u32 v132, v132, v1, v0
	ds_load_u16 v0, v173 offset:28418
	s_wait_dscnt 0x2
	v_lshrrev_b16 v167, 8, v139
	s_wait_dscnt 0x1
	v_lshrrev_b16 v168, 8, v150
	v_bfe_i32 v150, v150, 0, 8
	v_bfe_i32 v139, v139, 0, 8
	;; [unrolled: 1-line block ×3, first 2 shown]
	s_delay_alu instid0(VALU_DEP_4) | instskip(NEXT) | instid1(VALU_DEP_4)
	v_bfe_i32 v168, v168, 0, 8
	v_mul_lo_u32 v129, v129, v150
	s_delay_alu instid0(VALU_DEP_4) | instskip(NEXT) | instid1(VALU_DEP_2)
	v_mul_lo_u32 v7, v7, v139
	v_mad_u32 v6, v6, v168, v129
	s_delay_alu instid0(VALU_DEP_2) | instskip(SKIP_3) | instid1(VALU_DEP_2)
	v_mad_u32 v7, v130, v167, v7
	s_wait_dscnt 0x0
	v_lshrrev_b16 v1, 8, v0
	v_bfe_i32 v0, v0, 0, 8
	v_bfe_i32 v133, v1, 0, 8
	s_delay_alu instid0(VALU_DEP_2)
	v_mul_lo_u32 v5, v5, v0
	v_pk_mul_f32 v[0:1], v[90:91], v[92:93] op_sel_hi:[0,1]
	v_mad_u32 v90, v131, v128, v4
	v_add_nc_u32_e32 v91, 4, v91
	v_cvt_f32_i32_e32 v4, v7
	v_mad_u32 v92, v132, v133, v5
	v_cvt_f32_i32_e32 v5, v6
	v_cvt_f32_i32_e32 v6, v90
	s_delay_alu instid0(VALU_DEP_2) | instskip(NEXT) | instid1(VALU_DEP_4)
	v_pk_fma_f32 v[20:21], v[0:1], v[4:5], v[20:21]
	v_cvt_f32_i32_e32 v7, v92
	s_delay_alu instid0(VALU_DEP_1)
	v_pk_fma_f32 v[18:19], v[2:3], v[6:7], v[18:19]
	s_cbranch_scc1 .LBB190_19
; %bb.20:                               ;   in Loop: Header=BB190_5 Depth=1
	s_or_b32 s1, s18, 0x100
	s_delay_alu instid0(SALU_CYCLE_1)
	s_cmp_ge_i32 s1, s5
	s_barrier_signal -1
	s_barrier_wait -1
	s_cbranch_scc1 .LBB190_4
; %bb.21:                               ;   in Loop: Header=BB190_5 Depth=1
	v_add_nc_u32_e32 v0, s19, v105
	s_delay_alu instid0(VALU_DEP_1) | instskip(SKIP_1) | instid1(SALU_CYCLE_1)
	v_cmp_gt_i32_e64 s1, s6, v0
	s_and_b32 s20, s0, s1
	s_and_saveexec_b32 s1, s20
	s_cbranch_execz .LBB190_23
; %bb.22:                               ;   in Loop: Header=BB190_5 Depth=1
	v_add_nc_u32_e32 v0, v22, v0
	s_delay_alu instid0(VALU_DEP_1)
	v_mad_nc_i64_i32 v[0:1], v0, 36, v[24:25]
	global_load_b32 v0, v[0:1], off offset:4
	s_wait_loadcnt 0x0
	ds_store_b32 v67, v0
.LBB190_23:                             ;   in Loop: Header=BB190_5 Depth=1
	s_or_b32 exec_lo, exec_lo, s1
	s_and_saveexec_b32 s20, vcc_lo
	s_cbranch_execz .LBB190_26
; %bb.24:                               ;   in Loop: Header=BB190_5 Depth=1
	v_or_b32_e32 v0, 8, v88
	s_delay_alu instid0(VALU_DEP_1) | instskip(SKIP_1) | instid1(SALU_CYCLE_1)
	v_cmp_gt_i32_e64 s1, s6, v0
	s_and_b32 s1, s0, s1
	s_and_b32 exec_lo, exec_lo, s1
	s_cbranch_execz .LBB190_26
; %bb.25:                               ;   in Loop: Header=BB190_5 Depth=1
	v_ashrrev_i32_e32 v89, 31, v88
	s_delay_alu instid0(VALU_DEP_1) | instskip(NEXT) | instid1(VALU_DEP_1)
	v_add_nc_u64_e32 v[0:1], v[22:23], v[88:89]
	v_mad_nc_u64_u32 v[2:3], v0, 36, s[2:3]
	s_delay_alu instid0(VALU_DEP_1)
	v_mad_i32_i24 v3, v1, 36, v3
	global_load_b32 v0, v[2:3], off offset:288
	s_wait_loadcnt 0x0
	v_cvt_f32_f16_e32 v0, v0
	ds_store_b32 v103, v0
.LBB190_26:                             ;   in Loop: Header=BB190_5 Depth=1
	s_or_b32 exec_lo, exec_lo, s20
	v_dual_mov_b32 v89, v65 :: v_dual_mov_b32 v91, v69
	s_mov_b32 s1, 16
	s_mov_b32 s24, 14
	;; [unrolled: 1-line block ×3, first 2 shown]
	s_wait_dscnt 0x0
	s_barrier_signal -1
	s_barrier_wait -1
.LBB190_27:                             ;   Parent Loop BB190_5 Depth=1
                                        ; =>  This Inner Loop Header: Depth=2
	s_add_co_i32 s21, s24, 2
	s_add_co_i32 s22, s24, -14
	s_lshr_b32 s26, s21, 4
	s_and_b32 s23, s21, 0x3ffffff8
	s_and_b32 s25, s1, -16
	v_lshl_add_u32 v4, s23, 2, v107
	s_lshl_b32 s23, s26, 5
	s_add_co_i32 s24, s24, s25
	s_addk_co_i32 s23, 0x4200
	s_lshl_b32 s25, s26, 2
	v_add3_u32 v92, s23, v108, v109
	ds_load_2addr_b32 v[0:1], v4 offset1:1
	s_addk_co_i32 s25, 0x7380
	ds_load_b32 v90, v91
	s_add_co_i32 s1, s1, 2
	ds_load_2addr_b32 v[2:3], v92 offset1:1
	s_wait_dscnt 0x2
	v_dual_add_nc_u32 v150, s24, v33 :: v_dual_ashrrev_i32 v0, s22, v0
	s_wait_dscnt 0x0
	v_ashrrev_i32_e32 v2, s20, v2
	s_delay_alu instid0(VALU_DEP_2) | instskip(NEXT) | instid1(VALU_DEP_2)
	v_and_b32_e32 v5, 0x3030303, v0
	v_dual_ashrrev_i32 v3, s20, v3 :: v_dual_lshlrev_b32 v2, 2, v2
	s_delay_alu instid0(VALU_DEP_2) | instskip(SKIP_2) | instid1(VALU_DEP_4)
	v_lshrrev_b32_e32 v7, 16, v5
	v_bfe_u32 v0, v0, 24, 2
	v_lshrrev_b16 v6, 8, v5
	v_lshlrev_b32_e32 v3, 2, v3
	v_and_b32_e32 v2, 0x4040404, v2
	s_delay_alu instid0(VALU_DEP_2) | instskip(NEXT) | instid1(VALU_DEP_2)
	v_and_b32_e32 v3, 0x4040404, v3
	v_dual_lshrrev_b32 v94, 24, v2 :: v_dual_lshrrev_b32 v95, 16, v2
	v_lshrrev_b16 v93, 8, v2
	s_delay_alu instid0(VALU_DEP_2) | instskip(NEXT) | instid1(VALU_DEP_3)
	v_sub_nc_u16 v0, v0, v94
	v_sub_nc_u16 v163, v7, v95
	v_lshrrev_b32_e32 v7, 24, v3
	s_delay_alu instid0(VALU_DEP_3) | instskip(NEXT) | instid1(VALU_DEP_1)
	v_lshlrev_b16 v0, 8, v0
	v_bitop3_b16 v164, v163, v0, 0xff bitop3:0xec
	v_sub_nc_u16 v0, v5, v2
	v_sub_nc_u16 v2, v6, v93
	v_lshrrev_b32_e32 v93, 16, v3
	v_lshrrev_b16 v6, 8, v3
	v_perm_b32 v163, v164, v163, 0xc0c0500
	s_delay_alu instid0(VALU_DEP_4) | instskip(NEXT) | instid1(VALU_DEP_1)
	v_lshlrev_b16 v2, 8, v2
	v_bitop3_b16 v0, v0, v2, 0xff bitop3:0xec
	s_delay_alu instid0(VALU_DEP_1) | instskip(SKIP_1) | instid1(VALU_DEP_1)
	v_and_b32_e32 v167, 0xffff, v0
	v_ashrrev_i32_e32 v0, s22, v1
	v_and_b32_e32 v1, 0x3030303, v0
	v_bfe_u32 v0, v0, 24, 2
	s_delay_alu instid0(VALU_DEP_2) | instskip(NEXT) | instid1(VALU_DEP_2)
	v_lshrrev_b32_e32 v5, 16, v1
	v_sub_nc_u16 v0, v0, v7
	v_lshrrev_b16 v2, 8, v1
	v_sub_nc_u16 v168, v1, v3
	s_delay_alu instid0(VALU_DEP_4) | instskip(NEXT) | instid1(VALU_DEP_4)
	v_sub_nc_u16 v165, v5, v93
	v_lshlrev_b16 v0, 8, v0
	s_delay_alu instid0(VALU_DEP_1) | instskip(SKIP_4) | instid1(VALU_DEP_1)
	v_bitop3_b16 v166, v165, v0, 0xff bitop3:0xec
	v_sub_nc_u16 v0, v2, v6
	ds_load_2addr_b32 v[2:3], v92 offset0:2 offset1:3
	v_perm_b32 v165, v166, v165, 0xc0c0500
	v_lshlrev_b16 v0, 8, v0
	v_bitop3_b16 v169, v168, v0, 0xff bitop3:0xec
	ds_load_2addr_b32 v[0:1], v4 offset0:2 offset1:3
	v_perm_b32 v164, v169, v168, 0x5000c0c
	s_wait_dscnt 0x1
	s_delay_alu instid0(VALU_DEP_1) | instskip(NEXT) | instid1(VALU_DEP_1)
	v_dual_ashrrev_i32 v2, s20, v2 :: v_dual_bitop2_b32 v163, v164, v163 bitop3:0x54
	v_dual_ashrrev_i32 v3, s20, v3 :: v_dual_lshlrev_b32 v2, 2, v2
	s_wait_dscnt 0x0
	s_delay_alu instid0(VALU_DEP_1) | instskip(NEXT) | instid1(VALU_DEP_2)
	v_dual_lshlrev_b32 v3, 2, v3 :: v_dual_ashrrev_i32 v0, s22, v0
	v_and_b32_e32 v2, 0x4040404, v2
	s_delay_alu instid0(VALU_DEP_2) | instskip(NEXT) | instid1(VALU_DEP_3)
	v_and_b32_e32 v3, 0x4040404, v3
	v_and_b32_e32 v5, 0x3030303, v0
	v_bfe_u32 v0, v0, 24, 2
	s_delay_alu instid0(VALU_DEP_4) | instskip(SKIP_1) | instid1(VALU_DEP_4)
	v_dual_lshrrev_b32 v93, 16, v2 :: v_dual_lshrrev_b32 v94, 24, v2
	v_lshrrev_b16 v95, 8, v2
	v_lshrrev_b16 v7, 8, v5
	v_lshrrev_b32_e32 v6, 16, v5
	v_sub_nc_u16 v171, v5, v2
	v_sub_nc_u16 v0, v0, v94
	s_delay_alu instid0(VALU_DEP_4) | instskip(SKIP_2) | instid1(VALU_DEP_4)
	v_sub_nc_u16 v2, v7, v95
	v_lshrrev_b32_e32 v7, 24, v3
	v_sub_nc_u16 v174, v6, v93
	v_lshlrev_b16 v129, 8, v0
	v_ashrrev_i32_e32 v0, s22, v1
	v_lshlrev_b16 v2, 8, v2
	v_lshrrev_b32_e32 v93, 16, v3
	v_lshrrev_b16 v6, 8, v3
	v_bfe_i32 v174, v174, 0, 8
	v_and_b32_e32 v1, 0x3030303, v0
	v_bfe_u32 v0, v0, 24, 2
	v_bitop3_b16 v172, v171, v2, 0xff bitop3:0xec
	v_bfe_i32 v129, v129, 8, 8
	s_delay_alu instid0(VALU_DEP_4) | instskip(NEXT) | instid1(VALU_DEP_4)
	v_lshrrev_b32_e32 v5, 16, v1
	v_sub_nc_u16 v0, v0, v7
	v_lshrrev_b16 v2, 8, v1
	v_sub_nc_u16 v132, v1, v3
	v_perm_b32 v166, v172, v171, 0x5000c0c
	v_sub_nc_u16 v130, v5, v93
	v_lshlrev_b16 v0, 8, v0
	s_delay_alu instid0(VALU_DEP_1) | instskip(SKIP_4) | instid1(VALU_DEP_1)
	v_bitop3_b16 v131, v130, v0, 0xff bitop3:0xec
	v_sub_nc_u16 v0, v2, v6
	ds_load_2addr_b32 v[2:3], v92 offset0:4 offset1:5
	v_perm_b32 v130, v131, v130, 0x5000c0c
	v_lshlrev_b16 v0, 8, v0
	v_bitop3_b16 v133, v132, v0, 0xff bitop3:0xec
	ds_load_2addr_b32 v[0:1], v4 offset0:4 offset1:5
	v_perm_b32 v132, v133, v132, 0xc0c0500
	s_wait_dscnt 0x1
	s_delay_alu instid0(VALU_DEP_1) | instskip(NEXT) | instid1(VALU_DEP_1)
	v_dual_ashrrev_i32 v2, s20, v2 :: v_dual_bitop2_b32 v130, v130, v132 bitop3:0x54
	v_dual_ashrrev_i32 v3, s20, v3 :: v_dual_lshlrev_b32 v2, 2, v2
	s_wait_dscnt 0x0
	s_delay_alu instid0(VALU_DEP_1) | instskip(NEXT) | instid1(VALU_DEP_2)
	v_dual_lshlrev_b32 v3, 2, v3 :: v_dual_ashrrev_i32 v0, s22, v0
	v_and_b32_e32 v2, 0x4040404, v2
	s_delay_alu instid0(VALU_DEP_2) | instskip(NEXT) | instid1(VALU_DEP_3)
	v_and_b32_e32 v3, 0x4040404, v3
	v_and_b32_e32 v5, 0x3030303, v0
	v_bfe_u32 v0, v0, 24, 2
	s_delay_alu instid0(VALU_DEP_4) | instskip(SKIP_1) | instid1(VALU_DEP_4)
	v_dual_lshrrev_b32 v94, 24, v2 :: v_dual_lshrrev_b32 v95, 16, v2
	v_lshrrev_b16 v93, 8, v2
	v_lshrrev_b32_e32 v7, 16, v5
	v_lshrrev_b16 v6, 8, v5
	s_delay_alu instid0(VALU_DEP_4) | instskip(NEXT) | instid1(VALU_DEP_3)
	v_sub_nc_u16 v0, v0, v94
	v_sub_nc_u16 v151, v7, v95
	v_lshrrev_b32_e32 v7, 24, v3
	s_delay_alu instid0(VALU_DEP_3) | instskip(NEXT) | instid1(VALU_DEP_1)
	v_lshlrev_b16 v0, 8, v0
	v_bitop3_b16 v152, v151, v0, 0xff bitop3:0xec
	v_sub_nc_u16 v0, v5, v2
	v_sub_nc_u16 v2, v6, v93
	v_lshrrev_b32_e32 v93, 16, v3
	v_lshrrev_b16 v6, 8, v3
	v_perm_b32 v151, v152, v151, 0xc0c0500
	s_delay_alu instid0(VALU_DEP_4) | instskip(NEXT) | instid1(VALU_DEP_1)
	v_lshlrev_b16 v2, 8, v2
	v_bitop3_b16 v0, v0, v2, 0xff bitop3:0xec
	s_delay_alu instid0(VALU_DEP_1) | instskip(SKIP_1) | instid1(VALU_DEP_1)
	v_and_b32_e32 v158, 0xffff, v0
	v_ashrrev_i32_e32 v0, s22, v1
	v_and_b32_e32 v1, 0x3030303, v0
	v_bfe_u32 v0, v0, 24, 2
	s_delay_alu instid0(VALU_DEP_2) | instskip(NEXT) | instid1(VALU_DEP_2)
	v_lshrrev_b32_e32 v5, 16, v1
	v_sub_nc_u16 v0, v0, v7
	v_lshrrev_b16 v2, 8, v1
	v_sub_nc_u16 v159, v1, v3
	s_delay_alu instid0(VALU_DEP_4) | instskip(NEXT) | instid1(VALU_DEP_4)
	v_sub_nc_u16 v153, v5, v93
	v_lshlrev_b16 v0, 8, v0
	s_delay_alu instid0(VALU_DEP_1) | instskip(SKIP_3) | instid1(VALU_DEP_1)
	v_bitop3_b16 v154, v153, v0, 0xff bitop3:0xec
	v_sub_nc_u16 v0, v2, v6
	ds_load_2addr_b32 v[2:3], v92 offset0:6 offset1:7
	v_lshlrev_b16 v0, 8, v0
	v_bitop3_b16 v160, v159, v0, 0xff bitop3:0xec
	ds_load_2addr_b32 v[0:1], v4 offset0:6 offset1:7
	v_perm_b32 v152, v160, v159, 0x5000c0c
	s_wait_dscnt 0x1
	v_dual_ashrrev_i32 v2, s20, v2 :: v_dual_ashrrev_i32 v3, s20, v3
	s_delay_alu instid0(VALU_DEP_1) | instskip(SKIP_2) | instid1(VALU_DEP_2)
	v_dual_lshlrev_b32 v2, 2, v2 :: v_dual_lshlrev_b32 v3, 2, v3
	s_wait_dscnt 0x0
	v_ashrrev_i32_e32 v0, s22, v0
	v_and_b32_e32 v2, 0x4040404, v2
	s_delay_alu instid0(VALU_DEP_3) | instskip(NEXT) | instid1(VALU_DEP_3)
	v_and_b32_e32 v3, 0x4040404, v3
	v_and_b32_e32 v5, 0x3030303, v0
	v_bfe_u32 v0, v0, 24, 2
	s_delay_alu instid0(VALU_DEP_4) | instskip(SKIP_1) | instid1(VALU_DEP_4)
	v_dual_lshrrev_b32 v92, 16, v2 :: v_dual_lshrrev_b32 v93, 24, v2
	v_lshrrev_b16 v94, 8, v2
	v_lshrrev_b16 v7, 8, v5
	v_lshrrev_b32_e32 v6, 16, v5
	v_sub_nc_u16 v161, v5, v2
	v_sub_nc_u16 v0, v0, v93
	v_add3_u32 v93, s23, v112, v113
	v_sub_nc_u16 v2, v7, v94
	v_lshrrev_b32_e32 v7, 24, v3
	v_sub_nc_u16 v170, v6, v92
	v_lshlrev_b16 v134, 8, v0
	v_ashrrev_i32_e32 v0, s22, v1
	v_lshlrev_b16 v2, 8, v2
	v_lshrrev_b32_e32 v92, 16, v3
	v_lshrrev_b16 v6, 8, v3
	v_bfe_i32 v170, v170, 0, 8
	v_and_b32_e32 v1, 0x3030303, v0
	v_bfe_u32 v0, v0, 24, 2
	v_bitop3_b16 v162, v161, v2, 0xff bitop3:0xec
	v_bfe_i32 v131, v134, 8, 8
	s_delay_alu instid0(VALU_DEP_4) | instskip(NEXT) | instid1(VALU_DEP_4)
	v_lshrrev_b32_e32 v5, 16, v1
	v_sub_nc_u16 v0, v0, v7
	v_lshrrev_b16 v2, 8, v1
	v_sub_nc_u16 v137, v1, v3
	s_delay_alu instid0(VALU_DEP_4) | instskip(NEXT) | instid1(VALU_DEP_4)
	v_sub_nc_u16 v135, v5, v92
	v_lshlrev_b16 v0, 8, v0
	s_delay_alu instid0(VALU_DEP_1) | instskip(SKIP_4) | instid1(VALU_DEP_1)
	v_bitop3_b16 v136, v135, v0, 0xff bitop3:0xec
	v_sub_nc_u16 v0, v2, v6
	ds_load_2addr_b32 v[2:3], v93 offset1:1
	v_add_nc_u32_e32 v139, s24, v35
	v_lshlrev_b16 v0, 8, v0
	v_bitop3_b16 v138, v137, v0, 0xff bitop3:0xec
	v_add3_u32 v0, s25, v127, v111
	ds_load_b32 v92, v0
	v_add_nc_u32_e32 v0, 0x1080, v4
	s_wait_dscnt 0x1
	v_ashrrev_i32_e32 v2, s20, v2
	ds_load_2addr_b32 v[0:1], v0 offset1:1
	v_dual_ashrrev_i32 v3, s20, v3 :: v_dual_lshlrev_b32 v2, 2, v2
	s_delay_alu instid0(VALU_DEP_1) | instskip(NEXT) | instid1(VALU_DEP_2)
	v_lshlrev_b32_e32 v3, 2, v3
	v_and_b32_e32 v2, 0x4040404, v2
	s_delay_alu instid0(VALU_DEP_2) | instskip(NEXT) | instid1(VALU_DEP_2)
	v_and_b32_e32 v3, 0x4040404, v3
	v_dual_lshrrev_b32 v95, 24, v2 :: v_dual_lshrrev_b32 v128, 16, v2
	v_lshrrev_b16 v94, 8, v2
	s_wait_dscnt 0x0
	v_ashrrev_i32_e32 v0, s22, v0
	s_delay_alu instid0(VALU_DEP_1) | instskip(SKIP_1) | instid1(VALU_DEP_2)
	v_and_b32_e32 v5, 0x3030303, v0
	v_bfe_u32 v0, v0, 24, 2
	v_lshrrev_b32_e32 v7, 16, v5
	s_delay_alu instid0(VALU_DEP_2) | instskip(SKIP_2) | instid1(VALU_DEP_4)
	v_sub_nc_u16 v0, v0, v95
	v_lshrrev_b16 v6, 8, v5
	v_sub_nc_u16 v195, v5, v2
	v_sub_nc_u16 v187, v7, v128
	s_delay_alu instid0(VALU_DEP_4) | instskip(SKIP_1) | instid1(VALU_DEP_4)
	v_lshlrev_b16 v0, 8, v0
	v_lshrrev_b32_e32 v7, 24, v3
	v_bfe_i32 v195, v195, 0, 8
	s_delay_alu instid0(VALU_DEP_3) | instskip(SKIP_3) | instid1(VALU_DEP_4)
	v_bitop3_b16 v188, v187, v0, 0xff bitop3:0xec
	v_sub_nc_u16 v0, v6, v94
	v_lshrrev_b32_e32 v94, 16, v3
	v_lshrrev_b16 v6, 8, v3
	v_perm_b32 v187, v188, v187, 0xc0c0500
	s_delay_alu instid0(VALU_DEP_4) | instskip(SKIP_1) | instid1(VALU_DEP_2)
	v_lshlrev_b16 v192, 8, v0
	v_ashrrev_i32_e32 v0, s22, v1
	v_bfe_i32 v192, v192, 8, 8
	s_delay_alu instid0(VALU_DEP_2) | instskip(SKIP_1) | instid1(VALU_DEP_2)
	v_and_b32_e32 v1, 0x3030303, v0
	v_bfe_u32 v0, v0, 24, 2
	v_lshrrev_b32_e32 v5, 16, v1
	s_delay_alu instid0(VALU_DEP_2) | instskip(SKIP_2) | instid1(VALU_DEP_4)
	v_sub_nc_u16 v0, v0, v7
	v_lshrrev_b16 v2, 8, v1
	v_sub_nc_u16 v197, v1, v3
	v_sub_nc_u16 v191, v5, v94
	s_delay_alu instid0(VALU_DEP_4) | instskip(NEXT) | instid1(VALU_DEP_3)
	v_lshlrev_b16 v0, 8, v0
	v_bfe_i32 v197, v197, 0, 8
	s_delay_alu instid0(VALU_DEP_2) | instskip(SKIP_4) | instid1(VALU_DEP_2)
	v_bitop3_b16 v193, v191, v0, 0xff bitop3:0xec
	v_sub_nc_u16 v0, v2, v6
	ds_load_2addr_b32 v[2:3], v93 offset0:2 offset1:3
	v_lshlrev_b16 v194, 8, v0
	v_add_nc_u32_e32 v0, 0x1088, v4
	v_perm_b32 v164, v194, v194, 0xc0c0c01
	ds_load_2addr_b32 v[0:1], v0 offset1:1
	s_wait_dscnt 0x1
	v_dual_ashrrev_i32 v2, s20, v2 :: v_dual_ashrrev_i32 v3, s20, v3
	s_delay_alu instid0(VALU_DEP_1) | instskip(SKIP_2) | instid1(VALU_DEP_2)
	v_dual_lshlrev_b32 v2, 2, v2 :: v_dual_lshlrev_b32 v3, 2, v3
	s_wait_dscnt 0x0
	v_ashrrev_i32_e32 v0, s22, v0
	v_and_b32_e32 v2, 0x4040404, v2
	s_delay_alu instid0(VALU_DEP_3) | instskip(NEXT) | instid1(VALU_DEP_3)
	v_and_b32_e32 v3, 0x4040404, v3
	v_and_b32_e32 v5, 0x3030303, v0
	v_bfe_u32 v0, v0, 24, 2
	s_delay_alu instid0(VALU_DEP_4) | instskip(SKIP_1) | instid1(VALU_DEP_4)
	v_dual_lshrrev_b32 v94, 16, v2 :: v_dual_lshrrev_b32 v128, 24, v2
	v_lshrrev_b16 v95, 8, v2
	v_lshrrev_b32_e32 v6, 16, v5
	v_lshrrev_b16 v7, 8, v5
	v_sub_nc_u16 v199, v5, v2
	v_sub_nc_u16 v0, v0, v128
	s_delay_alu instid0(VALU_DEP_4) | instskip(SKIP_2) | instid1(VALU_DEP_4)
	v_sub_nc_u16 v200, v6, v94
	v_lshrrev_b32_e32 v94, 16, v3
	v_lshrrev_b16 v6, 8, v3
	v_lshlrev_b16 v140, 8, v0
	v_sub_nc_u16 v0, v7, v95
	v_lshrrev_b32_e32 v7, 24, v3
	v_bfe_i32 v200, v200, 0, 8
	v_bfe_i32 v199, v199, 0, 8
	;; [unrolled: 1-line block ×3, first 2 shown]
	v_lshlrev_b16 v198, 8, v0
	v_ashrrev_i32_e32 v0, s22, v1
	v_perm_b32 v174, v200, v174, 0x5040100
	s_delay_alu instid0(VALU_DEP_3) | instskip(NEXT) | instid1(VALU_DEP_3)
	v_bfe_i32 v198, v198, 8, 8
	v_and_b32_e32 v1, 0x3030303, v0
	v_bfe_u32 v0, v0, 24, 2
	s_delay_alu instid0(VALU_DEP_2) | instskip(NEXT) | instid1(VALU_DEP_2)
	v_lshrrev_b32_e32 v5, 16, v1
	v_sub_nc_u16 v0, v0, v7
	v_lshrrev_b16 v2, 8, v1
	v_sub_nc_u16 v144, v1, v3
	s_delay_alu instid0(VALU_DEP_4) | instskip(NEXT) | instid1(VALU_DEP_4)
	v_sub_nc_u16 v141, v5, v94
	v_lshlrev_b16 v0, 8, v0
	s_delay_alu instid0(VALU_DEP_3) | instskip(NEXT) | instid1(VALU_DEP_2)
	v_bfe_i32 v144, v144, 0, 8
	v_bitop3_b16 v142, v141, v0, 0xff bitop3:0xec
	v_sub_nc_u16 v0, v2, v6
	ds_load_2addr_b32 v[2:3], v93 offset0:4 offset1:5
	v_lshlrev_b16 v143, 8, v0
	v_add_nc_u32_e32 v0, 0x1090, v4
	ds_load_2addr_b32 v[0:1], v0 offset1:1
	s_wait_dscnt 0x1
	v_dual_ashrrev_i32 v2, s20, v2 :: v_dual_ashrrev_i32 v3, s20, v3
	s_delay_alu instid0(VALU_DEP_1) | instskip(SKIP_2) | instid1(VALU_DEP_2)
	v_dual_lshlrev_b32 v2, 2, v2 :: v_dual_lshlrev_b32 v3, 2, v3
	s_wait_dscnt 0x0
	v_ashrrev_i32_e32 v0, s22, v0
	v_and_b32_e32 v2, 0x4040404, v2
	s_delay_alu instid0(VALU_DEP_3) | instskip(NEXT) | instid1(VALU_DEP_3)
	v_and_b32_e32 v3, 0x4040404, v3
	v_and_b32_e32 v5, 0x3030303, v0
	v_bfe_u32 v0, v0, 24, 2
	s_delay_alu instid0(VALU_DEP_4) | instskip(SKIP_1) | instid1(VALU_DEP_4)
	v_dual_lshrrev_b32 v95, 24, v2 :: v_dual_lshrrev_b32 v128, 16, v2
	v_lshrrev_b16 v94, 8, v2
	v_lshrrev_b32_e32 v7, 16, v5
	v_lshrrev_b16 v6, 8, v5
	s_delay_alu instid0(VALU_DEP_4) | instskip(SKIP_1) | instid1(VALU_DEP_4)
	v_sub_nc_u16 v0, v0, v95
	v_sub_nc_u16 v185, v5, v2
	;; [unrolled: 1-line block ×3, first 2 shown]
	v_lshrrev_b32_e32 v7, 24, v3
	s_delay_alu instid0(VALU_DEP_4) | instskip(NEXT) | instid1(VALU_DEP_4)
	v_lshlrev_b16 v0, 8, v0
	v_bfe_i32 v185, v185, 0, 8
	s_delay_alu instid0(VALU_DEP_2) | instskip(SKIP_3) | instid1(VALU_DEP_4)
	v_bitop3_b16 v180, v179, v0, 0xff bitop3:0xec
	v_sub_nc_u16 v0, v6, v94
	v_lshrrev_b32_e32 v94, 16, v3
	v_lshrrev_b16 v6, 8, v3
	v_perm_b32 v179, v180, v179, 0xc0c0500
	s_delay_alu instid0(VALU_DEP_4) | instskip(SKIP_1) | instid1(VALU_DEP_2)
	v_lshlrev_b16 v182, 8, v0
	v_ashrrev_i32_e32 v0, s22, v1
	v_bfe_i32 v182, v182, 8, 8
	s_delay_alu instid0(VALU_DEP_2) | instskip(SKIP_1) | instid1(VALU_DEP_2)
	v_and_b32_e32 v1, 0x3030303, v0
	v_bfe_u32 v0, v0, 24, 2
	v_lshrrev_b32_e32 v5, 16, v1
	s_delay_alu instid0(VALU_DEP_2) | instskip(SKIP_2) | instid1(VALU_DEP_4)
	v_sub_nc_u16 v0, v0, v7
	v_lshrrev_b16 v2, 8, v1
	v_sub_nc_u16 v186, v1, v3
	v_sub_nc_u16 v181, v5, v94
	s_delay_alu instid0(VALU_DEP_4) | instskip(NEXT) | instid1(VALU_DEP_3)
	v_lshlrev_b16 v0, 8, v0
	v_bfe_i32 v186, v186, 0, 8
	s_delay_alu instid0(VALU_DEP_2)
	v_bitop3_b16 v183, v181, v0, 0xff bitop3:0xec
	v_sub_nc_u16 v0, v2, v6
	ds_load_2addr_b32 v[2:3], v93 offset0:6 offset1:7
	v_lshlrev_b16 v184, 8, v0
	v_add_nc_u32_e32 v0, 0x1098, v4
	ds_load_2addr_b32 v[0:1], v0 offset1:1
	s_wait_dscnt 0x1
	v_dual_ashrrev_i32 v2, s20, v2 :: v_dual_ashrrev_i32 v3, s20, v3
	s_delay_alu instid0(VALU_DEP_1) | instskip(SKIP_2) | instid1(VALU_DEP_2)
	v_dual_lshlrev_b32 v2, 2, v2 :: v_dual_lshlrev_b32 v3, 2, v3
	s_wait_dscnt 0x0
	v_ashrrev_i32_e32 v0, s22, v0
	v_and_b32_e32 v2, 0x4040404, v2
	s_delay_alu instid0(VALU_DEP_3) | instskip(NEXT) | instid1(VALU_DEP_3)
	v_and_b32_e32 v3, 0x4040404, v3
	v_and_b32_e32 v5, 0x3030303, v0
	v_bfe_u32 v0, v0, 24, 2
	s_delay_alu instid0(VALU_DEP_4) | instskip(SKIP_1) | instid1(VALU_DEP_4)
	v_dual_lshrrev_b32 v93, 16, v2 :: v_dual_lshrrev_b32 v95, 24, v2
	v_lshrrev_b16 v94, 8, v2
	v_lshrrev_b32_e32 v6, 16, v5
	v_lshrrev_b16 v7, 8, v5
	v_sub_nc_u16 v190, v5, v2
	v_sub_nc_u16 v0, v0, v95
	s_delay_alu instid0(VALU_DEP_4) | instskip(SKIP_2) | instid1(VALU_DEP_4)
	v_sub_nc_u16 v196, v6, v93
	v_lshrrev_b32_e32 v93, 16, v3
	v_lshrrev_b16 v6, 8, v3
	v_lshlrev_b16 v145, 8, v0
	v_sub_nc_u16 v0, v7, v94
	v_lshrrev_b32_e32 v7, 24, v3
	v_add3_u32 v94, s23, v116, v117
	v_bfe_i32 v196, v196, 0, 8
	v_bfe_i32 v190, v190, 0, 8
	v_lshlrev_b16 v189, 8, v0
	v_ashrrev_i32_e32 v0, s22, v1
	s_delay_alu instid0(VALU_DEP_4) | instskip(NEXT) | instid1(VALU_DEP_3)
	v_perm_b32 v170, v196, v170, 0x5040100
	v_bfe_i32 v189, v189, 8, 8
	s_delay_alu instid0(VALU_DEP_3) | instskip(SKIP_1) | instid1(VALU_DEP_2)
	v_and_b32_e32 v1, 0x3030303, v0
	v_bfe_u32 v0, v0, 24, 2
	v_lshrrev_b32_e32 v5, 16, v1
	s_delay_alu instid0(VALU_DEP_2) | instskip(SKIP_2) | instid1(VALU_DEP_4)
	v_sub_nc_u16 v0, v0, v7
	v_lshrrev_b16 v2, 8, v1
	v_sub_nc_u16 v149, v1, v3
	v_sub_nc_u16 v146, v5, v93
	s_delay_alu instid0(VALU_DEP_4) | instskip(NEXT) | instid1(VALU_DEP_3)
	v_lshlrev_b16 v0, 8, v0
	v_bfe_i32 v149, v149, 0, 8
	s_delay_alu instid0(VALU_DEP_2)
	v_bitop3_b16 v147, v146, v0, 0xff bitop3:0xec
	v_sub_nc_u16 v0, v2, v6
	ds_load_2addr_b32 v[2:3], v94 offset1:1
	v_lshlrev_b16 v148, 8, v0
	v_add3_u32 v0, s25, v114, v115
	ds_load_b32 v93, v0
	v_add_nc_u32_e32 v0, 0x2100, v4
	ds_load_2addr_b32 v[0:1], v0 offset1:1
	s_wait_dscnt 0x2
	v_dual_ashrrev_i32 v2, s20, v2 :: v_dual_ashrrev_i32 v3, s20, v3
	s_delay_alu instid0(VALU_DEP_1) | instskip(NEXT) | instid1(VALU_DEP_1)
	v_dual_lshlrev_b32 v2, 2, v2 :: v_dual_lshlrev_b32 v3, 2, v3
	v_and_b32_e32 v2, 0x4040404, v2
	s_delay_alu instid0(VALU_DEP_2) | instskip(NEXT) | instid1(VALU_DEP_2)
	v_and_b32_e32 v3, 0x4040404, v3
	v_dual_lshrrev_b32 v128, 24, v2 :: v_dual_lshrrev_b32 v155, 16, v2
	s_wait_dscnt 0x0
	v_ashrrev_i32_e32 v0, s22, v0
	v_lshrrev_b16 v95, 8, v2
	s_delay_alu instid0(VALU_DEP_2) | instskip(NEXT) | instid1(VALU_DEP_1)
	v_and_b32_e32 v5, 0x3030303, v0
	v_lshrrev_b32_e32 v7, 16, v5
	v_bfe_u32 v0, v0, 24, 2
	v_lshrrev_b16 v6, 8, v5
	v_sub_nc_u16 v5, v5, v2
	s_delay_alu instid0(VALU_DEP_4) | instskip(NEXT) | instid1(VALU_DEP_4)
	v_sub_nc_u16 v201, v7, v155
	v_sub_nc_u16 v0, v0, v128
	v_dual_lshrrev_b32 v128, 24, v3 :: v_dual_lshrrev_b32 v155, 16, v3
	s_delay_alu instid0(VALU_DEP_4) | instskip(NEXT) | instid1(VALU_DEP_3)
	v_bfe_i32 v224, v5, 0, 8
	v_lshlrev_b16 v0, 8, v0
	s_delay_alu instid0(VALU_DEP_1) | instskip(SKIP_2) | instid1(VALU_DEP_3)
	v_bitop3_b16 v202, v201, v0, 0xff bitop3:0xec
	v_sub_nc_u16 v0, v6, v95
	v_lshrrev_b16 v95, 8, v3
	v_perm_b32 v201, v202, v201, 0xc0c0500
	s_delay_alu instid0(VALU_DEP_3) | instskip(SKIP_1) | instid1(VALU_DEP_2)
	v_lshlrev_b16 v6, 8, v0
	v_ashrrev_i32_e32 v0, s22, v1
	v_bfe_i32 v225, v6, 8, 8
	s_delay_alu instid0(VALU_DEP_2) | instskip(SKIP_1) | instid1(VALU_DEP_2)
	v_and_b32_e32 v1, 0x3030303, v0
	v_bfe_u32 v0, v0, 24, 2
	v_lshrrev_b32_e32 v7, 16, v1
	s_delay_alu instid0(VALU_DEP_2) | instskip(SKIP_1) | instid1(VALU_DEP_3)
	v_sub_nc_u16 v0, v0, v128
	v_lshrrev_b16 v2, 8, v1
	v_sub_nc_u16 v203, v7, v155
	s_delay_alu instid0(VALU_DEP_3) | instskip(SKIP_1) | instid1(VALU_DEP_2)
	v_lshlrev_b16 v0, 8, v0
	v_sub_nc_u16 v7, v1, v3
	v_bitop3_b16 v204, v203, v0, 0xff bitop3:0xec
	v_sub_nc_u16 v0, v2, v95
	ds_load_2addr_b32 v[2:3], v94 offset0:2 offset1:3
	v_bfe_i32 v226, v7, 0, 8
	v_perm_b32 v203, v204, v203, 0xc05000c
	v_lshlrev_b16 v205, 8, v0
	v_add_nc_u32_e32 v0, 0x2108, v4
	s_delay_alu instid0(VALU_DEP_2) | instskip(SKIP_3) | instid1(VALU_DEP_1)
	v_perm_b32 v204, v205, v205, 0xc0c0c01
	ds_load_2addr_b32 v[0:1], v0 offset1:1
	s_wait_dscnt 0x1
	v_dual_ashrrev_i32 v2, s20, v2 :: v_dual_bitop2_b32 v203, v203, v204 bitop3:0x54
	v_dual_ashrrev_i32 v3, s20, v3 :: v_dual_lshlrev_b32 v2, 2, v2
	s_wait_dscnt 0x0
	s_delay_alu instid0(VALU_DEP_1) | instskip(NEXT) | instid1(VALU_DEP_2)
	v_dual_lshlrev_b32 v3, 2, v3 :: v_dual_ashrrev_i32 v0, s22, v0
	v_and_b32_e32 v2, 0x4040404, v2
	s_delay_alu instid0(VALU_DEP_2) | instskip(NEXT) | instid1(VALU_DEP_3)
	v_and_b32_e32 v3, 0x4040404, v3
	v_and_b32_e32 v95, 0x3030303, v0
	v_bfe_u32 v0, v0, 24, 2
	s_delay_alu instid0(VALU_DEP_4) | instskip(SKIP_1) | instid1(VALU_DEP_4)
	v_dual_lshrrev_b32 v157, 24, v2 :: v_dual_lshrrev_b32 v173, 16, v2
	v_lshrrev_b16 v156, 8, v2
	v_lshrrev_b32_e32 v155, 16, v95
	v_lshrrev_b16 v128, 8, v95
	s_delay_alu instid0(VALU_DEP_4) | instskip(SKIP_1) | instid1(VALU_DEP_4)
	v_sub_nc_u16 v0, v0, v157
	v_sub_nc_u16 v209, v95, v2
	;; [unrolled: 1-line block ×3, first 2 shown]
	v_lshrrev_b32_e32 v155, 24, v3
	s_delay_alu instid0(VALU_DEP_4) | instskip(NEXT) | instid1(VALU_DEP_4)
	v_lshlrev_b16 v0, 8, v0
	v_bfe_i32 v200, v209, 0, 8
	v_bfe_i32 v209, v167, 8, 8
	;; [unrolled: 1-line block ×3, first 2 shown]
	s_delay_alu instid0(VALU_DEP_4) | instskip(SKIP_3) | instid1(VALU_DEP_3)
	v_bitop3_b16 v207, v206, v0, 0xff bitop3:0xec
	v_sub_nc_u16 v0, v128, v156
	v_lshrrev_b32_e32 v156, 16, v3
	v_lshrrev_b16 v128, 8, v3
	v_lshlrev_b16 v208, 8, v0
	v_ashrrev_i32_e32 v0, s22, v1
	s_delay_alu instid0(VALU_DEP_1) | instskip(NEXT) | instid1(VALU_DEP_1)
	v_and_b32_e32 v1, 0x3030303, v0
	v_lshrrev_b32_e32 v95, 16, v1
	v_bfe_u32 v0, v0, 24, 2
	v_lshrrev_b16 v2, 8, v1
	v_sub_nc_u16 v213, v1, v3
	s_delay_alu instid0(VALU_DEP_4) | instskip(NEXT) | instid1(VALU_DEP_4)
	v_sub_nc_u16 v210, v95, v156
	v_sub_nc_u16 v0, v0, v155
	s_delay_alu instid0(VALU_DEP_1) | instskip(NEXT) | instid1(VALU_DEP_1)
	v_lshlrev_b16 v0, 8, v0
	v_bitop3_b16 v211, v210, v0, 0xff bitop3:0xec
	v_sub_nc_u16 v0, v2, v128
	ds_load_2addr_b32 v[2:3], v94 offset0:4 offset1:5
	v_lshlrev_b16 v212, 8, v0
	v_add_nc_u32_e32 v0, 0x2110, v4
	s_delay_alu instid0(VALU_DEP_2) | instskip(SKIP_3) | instid1(VALU_DEP_1)
	v_perm_b32 v188, v212, v212, 0xc0c0c01
	ds_load_2addr_b32 v[0:1], v0 offset1:1
	s_wait_dscnt 0x1
	v_dual_ashrrev_i32 v2, s20, v2 :: v_dual_ashrrev_i32 v3, s20, v3
	v_dual_lshlrev_b32 v2, 2, v2 :: v_dual_lshlrev_b32 v3, 2, v3
	s_wait_dscnt 0x0
	v_ashrrev_i32_e32 v0, s22, v0
	s_delay_alu instid0(VALU_DEP_2) | instskip(NEXT) | instid1(VALU_DEP_3)
	v_and_b32_e32 v2, 0x4040404, v2
	v_and_b32_e32 v3, 0x4040404, v3
	s_delay_alu instid0(VALU_DEP_3) | instskip(SKIP_1) | instid1(VALU_DEP_4)
	v_and_b32_e32 v95, 0x3030303, v0
	v_bfe_u32 v0, v0, 24, 2
	v_dual_lshrrev_b32 v157, 24, v2 :: v_dual_lshrrev_b32 v173, 16, v2
	v_lshrrev_b16 v156, 8, v2
	s_delay_alu instid0(VALU_DEP_4) | instskip(SKIP_1) | instid1(VALU_DEP_4)
	v_lshrrev_b32_e32 v155, 16, v95
	v_lshrrev_b16 v128, 8, v95
	v_sub_nc_u16 v0, v0, v157
	v_lshrrev_b32_e32 v157, 24, v3
	v_sub_nc_u16 v95, v95, v2
	v_sub_nc_u16 v214, v155, v173
	v_lshrrev_b32_e32 v173, 16, v3
	v_lshlrev_b16 v0, 8, v0
	s_delay_alu instid0(VALU_DEP_4) | instskip(SKIP_1) | instid1(VALU_DEP_3)
	v_bfe_i32 v228, v95, 0, 8
	v_add3_u32 v95, s23, v120, v121
	v_bitop3_b16 v215, v214, v0, 0xff bitop3:0xec
	v_sub_nc_u16 v0, v128, v156
	v_lshrrev_b16 v156, 8, v3
	s_delay_alu instid0(VALU_DEP_2) | instskip(SKIP_1) | instid1(VALU_DEP_2)
	v_lshlrev_b16 v128, 8, v0
	v_ashrrev_i32_e32 v0, s22, v1
	v_bfe_i32 v229, v128, 8, 8
	s_delay_alu instid0(VALU_DEP_2) | instskip(NEXT) | instid1(VALU_DEP_1)
	v_and_b32_e32 v1, 0x3030303, v0
	v_lshrrev_b32_e32 v155, 16, v1
	v_bfe_u32 v0, v0, 24, 2
	v_lshrrev_b16 v2, 8, v1
	s_delay_alu instid0(VALU_DEP_3) | instskip(NEXT) | instid1(VALU_DEP_3)
	v_sub_nc_u16 v216, v155, v173
	v_sub_nc_u16 v0, v0, v157
	;; [unrolled: 1-line block ×3, first 2 shown]
	s_delay_alu instid0(VALU_DEP_2) | instskip(NEXT) | instid1(VALU_DEP_2)
	v_lshlrev_b16 v0, 8, v0
	v_bfe_i32 v230, v173, 0, 8
	s_delay_alu instid0(VALU_DEP_2)
	v_bitop3_b16 v217, v216, v0, 0xff bitop3:0xec
	v_sub_nc_u16 v0, v2, v156
	ds_load_2addr_b32 v[2:3], v94 offset0:6 offset1:7
	v_lshlrev_b16 v218, 8, v0
	v_add_nc_u32_e32 v0, 0x2118, v4
	ds_load_2addr_b32 v[0:1], v0 offset1:1
	s_wait_dscnt 0x1
	v_dual_ashrrev_i32 v2, s20, v2 :: v_dual_ashrrev_i32 v3, s20, v3
	s_delay_alu instid0(VALU_DEP_1) | instskip(SKIP_2) | instid1(VALU_DEP_2)
	v_dual_lshlrev_b32 v2, 2, v2 :: v_dual_lshlrev_b32 v3, 2, v3
	s_wait_dscnt 0x0
	v_ashrrev_i32_e32 v0, s22, v0
	v_and_b32_e32 v2, 0x4040404, v2
	s_delay_alu instid0(VALU_DEP_3) | instskip(NEXT) | instid1(VALU_DEP_3)
	v_and_b32_e32 v3, 0x4040404, v3
	v_and_b32_e32 v155, 0x3030303, v0
	v_bfe_u32 v0, v0, 24, 2
	s_delay_alu instid0(VALU_DEP_4) | instskip(SKIP_1) | instid1(VALU_DEP_4)
	v_dual_lshrrev_b32 v175, 24, v2 :: v_dual_lshrrev_b32 v176, 16, v2
	v_lshrrev_b16 v94, 8, v2
	v_lshrrev_b32_e32 v157, 16, v155
	v_lshrrev_b16 v156, 8, v155
	s_delay_alu instid0(VALU_DEP_4)
	v_sub_nc_u16 v0, v0, v175
	v_sub_nc_u16 v222, v155, v2
	v_lshrrev_b32_e32 v155, 16, v3
	v_sub_nc_u16 v219, v157, v176
	v_lshrrev_b16 v157, 8, v3
	v_lshlrev_b16 v0, 8, v0
	v_bfe_i32 v196, v222, 0, 8
	s_delay_alu instid0(VALU_DEP_2) | instskip(SKIP_2) | instid1(VALU_DEP_2)
	v_bitop3_b16 v220, v219, v0, 0xff bitop3:0xec
	v_sub_nc_u16 v0, v156, v94
	v_lshrrev_b32_e32 v156, 24, v3
	v_lshlrev_b16 v221, 8, v0
	v_ashrrev_i32_e32 v0, s22, v1
	s_delay_alu instid0(VALU_DEP_1) | instskip(NEXT) | instid1(VALU_DEP_1)
	v_and_b32_e32 v1, 0x3030303, v0
	v_lshrrev_b32_e32 v94, 16, v1
	v_bfe_u32 v0, v0, 24, 2
	v_lshrrev_b16 v2, 8, v1
	v_sub_nc_u16 v223, v1, v3
	v_add3_u32 v1, s25, v118, v119
	v_sub_nc_u16 v155, v94, v155
	v_sub_nc_u16 v0, v0, v156
	ds_load_b32 v94, v1
	v_lshlrev_b16 v0, 8, v0
	s_delay_alu instid0(VALU_DEP_1)
	v_bitop3_b16 v156, v155, v0, 0xff bitop3:0xec
	v_sub_nc_u16 v0, v2, v157
	ds_load_2addr_b32 v[2:3], v95 offset1:1
	v_lshlrev_b16 v157, 8, v0
	s_wait_dscnt 0x0
	v_dual_add_nc_u32 v0, s24, v31 :: v_dual_ashrrev_i32 v2, s20, v2
	ds_load_u16 v0, v0 offset:27378
	v_ashrrev_i32_e32 v3, s20, v3
	s_delay_alu instid0(VALU_DEP_1) | instskip(NEXT) | instid1(VALU_DEP_1)
	v_lshlrev_b32_e32 v3, 2, v3
	v_and_b32_e32 v3, 0x4040404, v3
	s_wait_dscnt 0x0
	v_lshrrev_b16 v1, 8, v0
	v_bfe_i32 v227, v0, 0, 8
	v_add_nc_u32_e32 v0, 0x3180, v4
	s_delay_alu instid0(VALU_DEP_3) | instskip(SKIP_2) | instid1(VALU_DEP_1)
	v_bfe_i32 v128, v1, 0, 8
	ds_load_2addr_b32 v[0:1], v0 offset1:1
	v_lshlrev_b32_e32 v2, 2, v2
	v_and_b32_e32 v2, 0x4040404, v2
	s_delay_alu instid0(VALU_DEP_1) | instskip(SKIP_3) | instid1(VALU_DEP_1)
	v_dual_lshrrev_b32 v173, 16, v2 :: v_dual_lshrrev_b32 v175, 24, v2
	v_lshrrev_b16 v176, 8, v2
	s_wait_dscnt 0x0
	v_ashrrev_i32_e32 v0, s22, v0
	v_and_b32_e32 v5, 0x3030303, v0
	v_bfe_u32 v0, v0, 24, 2
	s_delay_alu instid0(VALU_DEP_2) | instskip(NEXT) | instid1(VALU_DEP_2)
	v_sub_nc_u16 v234, v5, v2
	v_sub_nc_u16 v232, v0, v175
	v_ashrrev_i32_e32 v0, s22, v1
	v_lshrrev_b32_e32 v6, 16, v5
	v_lshrrev_b16 v7, 8, v5
	s_delay_alu instid0(VALU_DEP_4) | instskip(NEXT) | instid1(VALU_DEP_4)
	v_bfe_i32 v232, v232, 0, 16
	v_bfe_u32 v1, v0, 24, 2
	v_and_b32_e32 v0, 0x3030303, v0
	v_sub_nc_u16 v233, v6, v173
	v_lshrrev_b32_e32 v6, 24, v3
	v_sub_nc_u16 v231, v7, v176
	s_delay_alu instid0(VALU_DEP_4)
	v_dual_lshrrev_b32 v7, 16, v3 :: v_dual_lshrrev_b32 v2, 16, v0
	v_lshrrev_b16 v5, 8, v0
	v_sub_nc_u16 v235, v0, v3
	v_add_nc_u32_e32 v0, 0x3188, v4
	v_sub_nc_u16 v238, v1, v6
	v_lshrrev_b16 v173, 8, v3
	v_sub_nc_u16 v237, v2, v7
	ds_load_2addr_b32 v[2:3], v95 offset0:2 offset1:3
	ds_load_2addr_b32 v[0:1], v0 offset1:1
	v_bfe_i32 v231, v231, 0, 16
	v_sub_nc_u16 v236, v5, v173
	v_bfe_i32 v205, v237, 0, 8
	v_bfe_i32 v235, v235, 0, 8
	s_wait_dscnt 0x0
	v_dual_ashrrev_i32 v2, s20, v2 :: v_dual_ashrrev_i32 v0, s22, v0
	s_delay_alu instid0(VALU_DEP_1) | instskip(NEXT) | instid1(VALU_DEP_2)
	v_dual_ashrrev_i32 v3, s20, v3 :: v_dual_lshlrev_b32 v2, 2, v2
	v_bfe_u32 v5, v0, 24, 2
	v_and_b32_e32 v0, 0x3030303, v0
	s_delay_alu instid0(VALU_DEP_3) | instskip(NEXT) | instid1(VALU_DEP_4)
	v_lshlrev_b32_e32 v3, 2, v3
	v_and_b32_e32 v2, 0x4040404, v2
	s_delay_alu instid0(VALU_DEP_3) | instskip(SKIP_1) | instid1(VALU_DEP_4)
	v_lshrrev_b32_e32 v6, 16, v0
	v_lshrrev_b16 v7, 8, v0
	v_and_b32_e32 v3, 0x4040404, v3
	s_delay_alu instid0(VALU_DEP_4) | instskip(SKIP_3) | instid1(VALU_DEP_3)
	v_sub_nc_u16 v239, v0, v2
	v_dual_ashrrev_i32 v0, s22, v1 :: v_dual_lshrrev_b32 v173, 24, v2
	v_lshrrev_b32_e32 v175, 16, v2
	v_lshrrev_b16 v176, 8, v2
	v_bfe_u32 v1, v0, 24, 2
	v_and_b32_e32 v0, 0x3030303, v0
	s_delay_alu instid0(VALU_DEP_4)
	v_sub_nc_u16 v241, v6, v175
	v_sub_nc_u16 v242, v5, v173
	v_lshrrev_b32_e32 v6, 24, v3
	v_sub_nc_u16 v240, v7, v176
	v_lshrrev_b32_e32 v2, 16, v0
	v_lshrrev_b16 v5, 8, v0
	v_sub_nc_u16 v243, v0, v3
	v_add_nc_u32_e32 v0, 0x3190, v4
	v_lshrrev_b32_e32 v7, 16, v3
	v_sub_nc_u16 v246, v1, v6
	v_lshrrev_b16 v173, 8, v3
	ds_load_2addr_b32 v[0:1], v0 offset1:1
	v_sub_nc_u16 v245, v2, v7
	ds_load_2addr_b32 v[2:3], v95 offset0:4 offset1:5
	v_sub_nc_u16 v244, v5, v173
	s_wait_dscnt 0x0
	v_dual_ashrrev_i32 v0, s22, v0 :: v_dual_ashrrev_i32 v2, s20, v2
	v_ashrrev_i32_e32 v3, s20, v3
	s_delay_alu instid0(VALU_DEP_2) | instskip(SKIP_1) | instid1(VALU_DEP_3)
	v_and_b32_e32 v5, 0x3030303, v0
	v_bfe_u32 v0, v0, 24, 2
	v_dual_lshlrev_b32 v2, 2, v2 :: v_dual_lshlrev_b32 v3, 2, v3
	s_delay_alu instid0(VALU_DEP_3) | instskip(SKIP_1) | instid1(VALU_DEP_3)
	v_lshrrev_b32_e32 v6, 16, v5
	v_lshrrev_b16 v7, 8, v5
	v_and_b32_e32 v2, 0x4040404, v2
	s_delay_alu instid0(VALU_DEP_4) | instskip(NEXT) | instid1(VALU_DEP_2)
	v_and_b32_e32 v3, 0x4040404, v3
	v_dual_lshrrev_b32 v173, 16, v2 :: v_dual_lshrrev_b32 v175, 24, v2
	v_lshrrev_b16 v176, 8, v2
	v_sub_nc_u16 v250, v5, v2
	s_delay_alu instid0(VALU_DEP_3) | instskip(NEXT) | instid1(VALU_DEP_4)
	v_sub_nc_u16 v249, v6, v173
	v_sub_nc_u16 v248, v0, v175
	v_dual_ashrrev_i32 v0, s22, v1 :: v_dual_lshrrev_b32 v6, 24, v3
	v_sub_nc_u16 v247, v7, v176
	v_lshrrev_b32_e32 v7, 16, v3
	v_lshrrev_b16 v173, 8, v3
	s_delay_alu instid0(VALU_DEP_4) | instskip(SKIP_2) | instid1(VALU_DEP_3)
	v_bfe_u32 v1, v0, 24, 2
	v_and_b32_e32 v0, 0x3030303, v0
	v_bfe_i32 v194, v249, 0, 8
	v_sub_nc_u16 v254, v1, v6
	s_delay_alu instid0(VALU_DEP_3) | instskip(SKIP_3) | instid1(VALU_DEP_4)
	v_lshrrev_b32_e32 v2, 16, v0
	v_lshrrev_b16 v5, 8, v0
	v_sub_nc_u16 v251, v0, v3
	v_add_nc_u32_e32 v0, 0x3198, v4
	v_sub_nc_u16 v253, v2, v7
	ds_load_2addr_b32 v[2:3], v95 offset0:6 offset1:7
	v_sub_nc_u16 v252, v5, v173
	ds_load_2addr_b32 v[0:1], v0 offset1:1
	s_wait_dscnt 0x1
	v_dual_ashrrev_i32 v2, s20, v2 :: v_dual_ashrrev_i32 v3, s20, v3
	s_wait_dscnt 0x0
	v_ashrrev_i32_e32 v0, s22, v0
	s_add_co_i32 s20, s20, 1
	s_cmp_lt_u32 s21, 22
	v_dual_lshlrev_b32 v2, 2, v2 :: v_dual_lshlrev_b32 v3, 2, v3
	s_delay_alu instid0(VALU_DEP_2) | instskip(SKIP_1) | instid1(VALU_DEP_3)
	v_bfe_u32 v4, v0, 24, 2
	v_and_b32_e32 v0, 0x3030303, v0
	v_and_b32_e32 v2, 0x4040404, v2
	s_delay_alu instid0(VALU_DEP_2) | instskip(SKIP_1) | instid1(VALU_DEP_3)
	v_lshrrev_b32_e32 v5, 16, v0
	v_lshrrev_b16 v6, 8, v0
	v_sub_nc_u16 v255, v0, v2
	v_dual_ashrrev_i32 v0, s22, v1 :: v_dual_lshrrev_b32 v7, 24, v2
	v_lshrrev_b32_e32 v95, 16, v2
	v_lshrrev_b16 v173, 8, v2
	s_delay_alu instid0(VALU_DEP_3)
	v_bfe_u32 v1, v0, 24, 2
	v_and_b32_e32 v0, 0x3030303, v0
	s_set_vgpr_msb 64                       ;  msbs: dst=1 src0=0 src1=0 src2=0
	v_sub_nc_u16 v1 /*v257*/, v5, v95
	v_sub_nc_u16 v0 /*v256*/, v6, v173
	s_set_vgpr_msb 0                        ;  msbs: dst=0 src0=0 src1=0 src2=0
	v_add_nc_u32_e32 v173, s24, v29
	v_and_b32_e32 v3, 0x4040404, v3
	v_lshrrev_b32_e32 v2, 16, v0
	s_set_vgpr_msb 64                       ;  msbs: dst=1 src0=0 src1=0 src2=0
	v_sub_nc_u16 v2 /*v258*/, v4, v7
	s_set_vgpr_msb 0                        ;  msbs: dst=0 src0=0 src1=0 src2=0
	v_lshrrev_b16 v4, 8, v0
	s_mov_b32 s24, s21
	v_dual_lshrrev_b32 v5, 24, v3 :: v_dual_lshrrev_b32 v6, 16, v3
	v_lshrrev_b16 v7, 8, v3
	v_sub_nc_u16 v175, v0, v3
	v_add3_u32 v0, s25, v122, v123
	s_delay_alu instid0(VALU_DEP_4)
	v_sub_nc_u16 v178, v1, v5
	v_sub_nc_u16 v177, v2, v6
	;; [unrolled: 1-line block ×3, first 2 shown]
	ds_load_b32 v95, v0
	ds_load_b128 v[4:7], v89
	ds_load_b128 v[0:3], v89 offset:16
	v_or_b32_e32 v165, v166, v165
	v_perm_b32 v166, v208, v208, 0xc0c0c01
	v_add_nc_u32_e32 v89, 32, v89
	ds_load_u16 v139, v139 offset:25330
	ds_load_u16 v150, v150 offset:26354
	s_wait_dscnt 0x3
	s_set_vgpr_msb 64                       ;  msbs: dst=1 src0=0 src1=0 src2=0
	v_lshrrev_b16 v3 /*v259*/, 8, v4
	v_bfe_i32 v9 /*v265*/, v4, 0, 8
	s_set_vgpr_msb 0                        ;  msbs: dst=0 src0=0 src1=0 src2=0
	v_perm_b32 v202, v4, v4, 0xc0c0302
	s_set_vgpr_msb 64                       ;  msbs: dst=1 src0=0 src1=0 src2=0
	v_bfe_i32 v10 /*v266*/, v5, 0, 8
	s_set_vgpr_msb 0                        ;  msbs: dst=0 src0=0 src1=0 src2=0
	v_perm_b32 v204, v5, v5, 0xc030201
	s_set_vgpr_msb 0x41                     ;  msbs: dst=1 src0=1 src1=0 src2=0
	v_bfe_i32 v3 /*v259*/, v3 /*v259*/, 0, 8
	s_set_vgpr_msb 1                        ;  msbs: dst=0 src0=1 src1=0 src2=0
	v_mul_i32_i24_e32 v224, v9 /*v265*/, v224
	s_set_vgpr_msb 64                       ;  msbs: dst=1 src0=0 src1=0 src2=0
	v_lshrrev_b16 v4 /*v260*/, 8, v5
	v_ashrrev_i32_e32 v7 /*v263*/, 24, v4
	v_bfe_i32 v8 /*v264*/, v4, 16, 8
	s_set_vgpr_msb 1                        ;  msbs: dst=0 src0=1 src1=0 src2=0
	v_mul_i32_i24_e32 v209, v3 /*v259*/, v209
	v_mad_i32_i24 v224, v3 /*v259*/, v225, v224
	s_set_vgpr_msb 0                        ;  msbs: dst=0 src0=0 src1=0 src2=0
	v_bfe_i32 v225, v233, 0, 8
	v_ashrrev_i32_e32 v233, 24, v5
	s_set_vgpr_msb 1                        ;  msbs: dst=0 src0=1 src1=0 src2=0
	v_mul_i32_i24_e32 v195, v9 /*v265*/, v195
	v_mad_i32_i24 v167, v9 /*v265*/, v167, v209
	s_set_vgpr_msb 0                        ;  msbs: dst=0 src0=0 src1=0 src2=0
	v_dot4_i32_iu8 v201, v202, v201, v224 neg_lo:[1,1,0]
	v_perm_b32 v4, v5, v4, 0x5040302
	v_bfe_i32 v224, v234, 0, 8
	s_set_vgpr_msb 1                        ;  msbs: dst=0 src0=1 src1=0 src2=0
	v_bfe_i32 v234, v4 /*v260*/, 0, 8
	s_set_vgpr_msb 64                       ;  msbs: dst=1 src0=0 src1=0 src2=0
	v_bfe_i32 v4 /*v260*/, v5, 16, 8
	s_set_vgpr_msb 1                        ;  msbs: dst=0 src0=1 src1=0 src2=0
	v_mad_i32_i24 v201, v10 /*v266*/, v226, v201
	v_mad_i32_i24 v192, v3 /*v259*/, v192, v195
	s_set_vgpr_msb 0                        ;  msbs: dst=0 src0=0 src1=0 src2=0
	v_perm_b32 v5, v6, v5, 0x5040302
	s_set_vgpr_msb 64                       ;  msbs: dst=1 src0=0 src1=0 src2=0
	v_lshrrev_b16 v5 /*v261*/, 8, v6
	s_set_vgpr_msb 0                        ;  msbs: dst=0 src0=0 src1=0 src2=0
	v_bfe_i32 v226, v236, 0, 16
	v_dot4_i32_iu8 v201, v204, v203, v201 neg_lo:[1,1,0]
	v_bfe_i32 v203, v238, 0, 16
	v_bfe_i32 v236, v6, 0, 8
	v_dot4_i32_iu8 v187, v202, v187, v192 neg_lo:[1,1,0]
	v_mul_i32_i24_e32 v226, v226, v234
	s_set_vgpr_msb 1                        ;  msbs: dst=0 src0=1 src1=0 src2=0
	v_bfe_i32 v234, v5 /*v261*/, 0, 8
	s_set_vgpr_msb 0                        ;  msbs: dst=0 src0=0 src1=0 src2=0
	v_mul_i32_i24_e32 v203, v203, v233
	v_ashrrev_i32_e32 v233, 24, v6
	v_bfe_i32 v237, v6, 16, 8
	s_set_vgpr_msb 1                        ;  msbs: dst=0 src0=1 src1=0 src2=0
	v_mad_i32_i24 v187, v10 /*v266*/, v197, v187
	s_set_vgpr_msb 0                        ;  msbs: dst=0 src0=0 src1=0 src2=0
	v_perm_b32 v6, v6, v6, 0xc030201
	v_bfe_i32 v172, v7, 0, 8
	s_set_vgpr_msb 64                       ;  msbs: dst=1 src0=0 src1=0 src2=0
	v_lshrrev_b16 v6 /*v262*/, 8, v7
	s_set_vgpr_msb 4                        ;  msbs: dst=0 src0=0 src1=1 src2=0
	v_mul_i32_i24_e32 v231, v231, v3 /*v259*/
	v_mul_i32_i24_e32 v235, v235, v10 /*v266*/
	;; [unrolled: 1-line block ×3, first 2 shown]
	v_bfe_i32 v171, v7, 16, 8
	s_set_vgpr_msb 1                        ;  msbs: dst=0 src0=1 src1=0 src2=0
	v_bfe_i32 v169, v6 /*v262*/, 0, 8
	s_set_vgpr_msb 0                        ;  msbs: dst=0 src0=0 src1=0 src2=0
	v_bfe_i32 v192, v244, 0, 16
	v_bfe_i32 v197, v247, 0, 16
	v_pk_mul_lo_u16 v174, v174, v237 op_sel_hi:[1,0]
	v_perm_b32 v202, v218, v218, 0xc0c0c01
	v_or_b32_e32 v151, v152, v151
	v_mul_i32_i24_e32 v169, v192, v169
	s_set_vgpr_msb 4                        ;  msbs: dst=0 src0=0 src1=1 src2=0
	v_mad_i32_i24 v192, v224, v9 /*v265*/, v235
	s_set_vgpr_msb 0                        ;  msbs: dst=0 src0=0 src1=0 src2=0
	v_perm_b32 v152, v184, v184, 0xc0c0c01
	s_wait_dscnt 0x2
	v_bfe_i32 v160, v3, 16, 8
	v_bfe_i32 v195, v248, 0, 16
	v_mul_i32_i24_e32 v144, v172, v144
	v_dot4_i32_iu8 v4, v4, v163, v167 neg_lo:[1,1,0]
	v_perm_b32 v163, v193, v191, 0xc05000c
	v_bfe_i32 v167, v239, 0, 8
	v_bfe_i32 v191, v245, 0, 8
	;; [unrolled: 1-line block ×3, first 2 shown]
	v_mul_i32_i24_e32 v129, v233, v129
	v_mul_i32_i24_e32 v140, v233, v140
	v_dot4_i32_iu8 v165, v5, v165, v4 neg_lo:[1,1,0]
	v_perm_b32 v5, v207, v206, 0xc05000c
	v_dual_ashrrev_i32 v168, 24, v7 :: v_dual_bitop2_b32 v163, v163, v164 bitop3:0x54
	v_mad_i32_i24 v4, v236, v200, v201
	v_mul_i32_i24_e32 v164, v234, v198
	v_mul_i32_i24_e32 v167, v167, v236
	;; [unrolled: 1-line block ×4, first 2 shown]
	s_set_vgpr_msb 4                        ;  msbs: dst=0 src0=0 src1=1 src2=0
	v_mad_i32_i24 v191, v225, v8 /*v264*/, v205
	v_bfe_i32 v206, v158, 8, 8
	v_bfe_i32 v158, v158, 0, 8
	;; [unrolled: 1-line block ×3, first 2 shown]
	s_set_vgpr_msb 0                        ;  msbs: dst=0 src0=0 src1=0 src2=0
	v_perm_b32 v201, v217, v216, 0xc05000c
	v_bfe_i32 v205, v251, 0, 8
	v_dual_ashrrev_i32 v198, 24, v1 :: v_dual_bitop2_b32 v5, v5, v166 bitop3:0x54
	v_dot4_i32_iu8 v163, v204, v163, v187 neg_lo:[1,1,0]
	v_bfe_i32 v187, v213, 0, 8
	v_bfe_i32 v166, v240, 0, 16
	v_add3_u32 v167, v192, v167, v193
	v_perm_b32 v192, v215, v214, 0xc0c0500
	v_perm_b32 v193, v0, v0, 0xc0c0302
	v_bfe_i32 v204, v252, 0, 16
	v_or_b32_e32 v201, v201, v202
	v_perm_b32 v202, v1, v1, 0xc030201
	v_mul_i32_i24_e32 v205, v205, v200
	v_dot4_i32_iu8 v4, v6, v5, v4 neg_lo:[1,1,0]
	v_bfe_i32 v5, v242, 0, 16
	v_bfe_i32 v6, v241, 0, 8
	v_mul_i32_i24_e32 v166, v166, v234
	v_mad_i32_i24 v163, v236, v199, v163
	v_bfe_i32 v199, v1, 16, 8
	v_mad_i32_i24 v4, v172, v187, v4
	v_perm_b32 v187, v211, v210, 0xc05000c
	v_mul_i32_i24_e32 v5, v5, v233
	v_mul_i32_i24_e32 v6, v6, v237
	v_add3_u32 v166, v231, v226, v166
	s_delay_alu instid0(VALU_DEP_4) | instskip(SKIP_1) | instid1(VALU_DEP_4)
	v_or_b32_e32 v187, v187, v188
	v_perm_b32 v188, v7, v7, 0xc030201
	v_add3_u32 v6, v191, v6, v171
	v_bfe_i32 v171, v0, 16, 8
	s_delay_alu instid0(VALU_DEP_3) | instskip(SKIP_1) | instid1(VALU_DEP_2)
	v_dot4_i32_iu8 v4, v188, v187, v4 neg_lo:[1,1,0]
	v_bfe_i32 v187, v246, 0, 16
	v_mul_lo_u32 v4, v4, v227
	s_delay_alu instid0(VALU_DEP_2) | instskip(SKIP_4) | instid1(VALU_DEP_2)
	v_mul_i32_i24_e32 v168, v187, v168
	s_set_vgpr_msb 4                        ;  msbs: dst=0 src0=0 src1=1 src2=0
	v_mad_i32_i24 v187, v232, v7 /*v263*/, v203
	v_bfe_i32 v203, v253, 0, 8
	s_set_vgpr_msb 0                        ;  msbs: dst=0 src0=0 src1=0 src2=0
	v_add3_u32 v5, v187, v5, v168
	v_bfe_i32 v187, v0, 0, 8
	s_delay_alu instid0(VALU_DEP_3)
	v_mul_i32_i24_e32 v199, v203, v199
	v_bfe_i32 v203, v2, 0, 8
	v_lshrrev_b16 v168, 8, v3
	v_add3_u32 v5, v166, v169, v5
	v_mul_i32_i24_e32 v191, v187, v228
	v_lshrrev_b16 v166, 8, v1
	v_mul_i32_i24_e32 v185, v187, v185
	v_ashrrev_i32_e32 v169, 24, v0
	v_bfe_i32 v159, v168, 0, 8
	v_mad_i32_i24 v134, v194, v171, v199
	v_add3_u32 v5, v167, v6, v5
	v_lshrrev_b16 v6, 8, v0
	v_bfe_i32 v166, v166, 0, 8
	v_perm_b32 v0, v1, v0, 0x5040302
	v_lshrrev_b16 v167, 8, v2
	v_perm_b32 v1, v2, v1, 0x5040302
	v_bfe_i32 v6, v6, 0, 8
	v_mul_i32_i24_e32 v166, v204, v166
	v_bfe_i32 v204, v2, 16, 8
	v_bfe_i32 v167, v167, 0, 8
	s_delay_alu instid0(VALU_DEP_4)
	v_mad_i32_i24 v191, v6, v229, v191
	v_mul_i32_i24_e32 v206, v6, v206
	v_mul_i32_i24_e32 v197, v197, v6
	v_mad_i32_i24 v6, v6, v182, v185
	v_pk_mul_lo_u16 v170, v170, v204 op_sel_hi:[1,0]
	v_dot4_i32_iu8 v191, v193, v192, v191 neg_lo:[1,1,0]
	v_mad_i32_i24 v158, v187, v158, v206
	v_bfe_i32 v192, v250, 0, 8
	v_dot4_i32_iu8 v6, v193, v179, v6 neg_lo:[1,1,0]
	v_bfe_i32 v179, v174, 0, 16
	v_ashrrev_i32_e32 v174, 16, v174
	v_bfe_i32 v132, v170, 0, 16
	v_mad_i32_i24 v191, v200, v230, v191
	v_dot4_i32_iu8 v0, v0, v151, v158 neg_lo:[1,1,0]
	v_perm_b32 v151, v183, v181, 0xc05000c
	v_mad_i32_i24 v6, v200, v186, v6
	v_ashrrev_i32_e32 v158, 24, v3
	v_add3_u32 v129, v165, v179, v129
	v_add3_u32 v163, v163, v164, v174
	v_dot4_i32_iu8 v191, v202, v201, v191 neg_lo:[1,1,0]
	v_bfe_i32 v201, v254, 0, 16
	v_dual_ashrrev_i32 v133, 16, v170 :: v_dual_bitop2_b32 v151, v151, v152 bitop3:0x54
	v_perm_b32 v152, v154, v153, 0xc0c0500
	v_perm_b32 v153, v162, v161, 0x5000c0c
	v_dot4_i32_iu8 v7, v7, v130, v129 neg_lo:[1,1,0]
	v_perm_b32 v129, v142, v141, 0xc05000c
	v_perm_b32 v130, v143, v143, 0xc0c0c01
	v_bfe_i32 v161, v3, 0, 8
	v_bfe_i32 v162, v223, 0, 8
	v_bfe_i32 v154, v255, 0, 8
	v_add3_u32 v140, v163, v140, v144
	v_mul_i32_i24_e32 v198, v201, v198
	v_ashrrev_i32_e32 v201, 24, v2
	v_dot4_i32_iu8 v6, v202, v151, v6 neg_lo:[1,1,0]
	v_or_b32_e32 v152, v153, v152
	v_mul_i32_i24_e32 v151, v167, v189
	v_or_b32_e32 v129, v129, v130
	v_bfe_i32 v130, v145, 8, 8
	v_perm_b32 v153, v221, v221, 0xc0c0c01
	v_perm_b32 v2, v2, v2, 0xc030201
	v_mul_i32_i24_e32 v154, v154, v203
	v_mad_i32_i24 v6, v203, v190, v6
	v_dot4_i32_iu8 v0, v1, v152, v0 neg_lo:[1,1,0]
	v_mul_i32_i24_e32 v131, v201, v131
	v_mul_i32_i24_e32 v130, v201, v130
	v_perm_b32 v152, v220, v219, 0xc05000c
	v_mad_i32_i24 v1, v203, v196, v191
	v_dot4_i32_iu8 v129, v188, v129, v140 neg_lo:[1,1,0]
	v_add3_u32 v6, v6, v151, v133
	v_add3_u32 v0, v0, v132, v131
	v_mul_i32_i24_e32 v131, v161, v149
	v_or_b32_e32 v152, v152, v153
	s_set_vgpr_msb 1                        ;  msbs: dst=0 src0=1 src1=0 src2=0
	v_bfe_i32 v153, v0 /*v256*/, 0, 16
	s_set_vgpr_msb 0                        ;  msbs: dst=0 src0=0 src1=0 src2=0
	v_bfe_i32 v132, v175, 0, 8
	v_mad_i32_i24 v133, v195, v169, v198
	v_add3_u32 v6, v6, v130, v131
	v_perm_b32 v130, v138, v137, 0xc0c0500
	v_perm_b32 v131, v136, v135, 0x5000c0c
	v_dot4_i32_iu8 v1, v2, v152, v1 neg_lo:[1,1,0]
	s_set_vgpr_msb 1                        ;  msbs: dst=0 src0=1 src1=0 src2=0
	v_bfe_i32 v2, v2 /*v258*/, 0, 16
	v_bfe_i32 v152, v1 /*v257*/, 0, 8
	s_set_vgpr_msb 0                        ;  msbs: dst=0 src0=0 src1=0 src2=0
	v_mul_i32_i24_e32 v153, v153, v167
	v_mul_i32_i24_e32 v132, v132, v161
	v_mad_i32_i24 v135, v192, v187, v205
	v_or_b32_e32 v130, v131, v130
	v_perm_b32 v131, v148, v148, 0xc0c0c01
	v_mul_i32_i24_e32 v2, v2, v201
	v_mul_i32_i24_e32 v152, v152, v204
	v_add3_u32 v136, v197, v166, v153
	v_add3_u32 v132, v135, v154, v132
	v_dot4_i32_iu8 v130, v3, v130, v0 neg_lo:[1,1,0]
	v_perm_b32 v0, v147, v146, 0xc05000c
	v_perm_b32 v3, v3, v3, 0xc030201
	s_delay_alu instid0(VALU_DEP_2) | instskip(SKIP_1) | instid1(VALU_DEP_2)
	v_or_b32_e32 v0, v0, v131
	v_perm_b32 v131, v157, v157, 0xc0c0c01
	v_dot4_i32_iu8 v6, v3, v0, v6 neg_lo:[1,1,0]
	v_mad_i32_i24 v0, v161, v162, v1
	v_perm_b32 v1, v156, v155, 0xc05000c
	s_delay_alu instid0(VALU_DEP_1) | instskip(NEXT) | instid1(VALU_DEP_1)
	v_or_b32_e32 v1, v1, v131
	v_dot4_i32_iu8 v131, v3, v1, v0 neg_lo:[1,1,0]
	v_bfe_i32 v0, v178, 0, 16
	v_bfe_i32 v1, v177, 0, 8
	;; [unrolled: 1-line block ×3, first 2 shown]
	s_delay_alu instid0(VALU_DEP_3) | instskip(NEXT) | instid1(VALU_DEP_3)
	v_mul_i32_i24_e32 v0, v0, v158
	v_mul_i32_i24_e32 v1, v1, v160
	s_delay_alu instid0(VALU_DEP_3) | instskip(NEXT) | instid1(VALU_DEP_3)
	v_mul_i32_i24_e32 v3, v3, v159
	v_add3_u32 v0, v133, v2, v0
	s_delay_alu instid0(VALU_DEP_3) | instskip(NEXT) | instid1(VALU_DEP_2)
	v_add3_u32 v1, v134, v152, v1
	v_add3_u32 v0, v136, v3, v0
	v_pk_mul_f32 v[2:3], v[90:91], v[94:95] op_sel_hi:[0,1]
	s_delay_alu instid0(VALU_DEP_2)
	v_add3_u32 v132, v132, v1, v0
	ds_load_u16 v0, v173 offset:28402
	s_wait_dscnt 0x2
	v_lshrrev_b16 v167, 8, v139
	s_wait_dscnt 0x1
	v_lshrrev_b16 v168, 8, v150
	v_bfe_i32 v150, v150, 0, 8
	v_bfe_i32 v139, v139, 0, 8
	;; [unrolled: 1-line block ×3, first 2 shown]
	s_delay_alu instid0(VALU_DEP_4) | instskip(NEXT) | instid1(VALU_DEP_4)
	v_bfe_i32 v168, v168, 0, 8
	v_mul_lo_u32 v129, v129, v150
	s_delay_alu instid0(VALU_DEP_4) | instskip(NEXT) | instid1(VALU_DEP_2)
	v_mul_lo_u32 v7, v7, v139
	v_mad_u32 v6, v6, v168, v129
	s_delay_alu instid0(VALU_DEP_2) | instskip(SKIP_3) | instid1(VALU_DEP_2)
	v_mad_u32 v7, v130, v167, v7
	s_wait_dscnt 0x0
	v_lshrrev_b16 v1, 8, v0
	v_bfe_i32 v0, v0, 0, 8
	v_bfe_i32 v133, v1, 0, 8
	s_delay_alu instid0(VALU_DEP_2)
	v_mul_lo_u32 v5, v5, v0
	v_pk_mul_f32 v[0:1], v[90:91], v[92:93] op_sel_hi:[0,1]
	v_mad_u32 v90, v131, v128, v4
	v_add_nc_u32_e32 v91, 4, v91
	v_cvt_f32_i32_e32 v4, v7
	v_mad_u32 v92, v132, v133, v5
	v_cvt_f32_i32_e32 v5, v6
	v_cvt_f32_i32_e32 v6, v90
	s_delay_alu instid0(VALU_DEP_2) | instskip(NEXT) | instid1(VALU_DEP_4)
	v_pk_fma_f32 v[20:21], v[0:1], v[4:5], v[20:21]
	v_cvt_f32_i32_e32 v7, v92
	s_delay_alu instid0(VALU_DEP_1)
	v_pk_fma_f32 v[18:19], v[2:3], v[6:7], v[18:19]
	s_cbranch_scc1 .LBB190_27
; %bb.28:                               ;   in Loop: Header=BB190_5 Depth=1
	s_or_b32 s1, s18, 0x180
	s_delay_alu instid0(SALU_CYCLE_1)
	s_cmp_ge_i32 s1, s5
	s_barrier_signal -1
	s_barrier_wait -1
	s_cbranch_scc1 .LBB190_4
; %bb.29:                               ;   in Loop: Header=BB190_5 Depth=1
	v_add_nc_u32_e32 v0, s19, v106
	s_delay_alu instid0(VALU_DEP_1) | instskip(SKIP_1) | instid1(SALU_CYCLE_1)
	v_cmp_gt_i32_e64 s1, s6, v0
	s_and_b32 s18, s0, s1
	s_and_saveexec_b32 s1, s18
	s_cbranch_execz .LBB190_31
; %bb.30:                               ;   in Loop: Header=BB190_5 Depth=1
	v_add_nc_u32_e32 v0, v22, v0
	s_delay_alu instid0(VALU_DEP_1)
	v_mad_nc_i64_i32 v[0:1], v0, 36, v[24:25]
	global_load_b32 v0, v[0:1], off offset:4
	s_wait_loadcnt 0x0
	ds_store_b32 v67, v0
.LBB190_31:                             ;   in Loop: Header=BB190_5 Depth=1
	s_or_b32 exec_lo, exec_lo, s1
	s_and_saveexec_b32 s18, vcc_lo
	s_cbranch_execz .LBB190_34
; %bb.32:                               ;   in Loop: Header=BB190_5 Depth=1
	v_or_b32_e32 v0, 12, v88
	s_delay_alu instid0(VALU_DEP_1) | instskip(SKIP_1) | instid1(SALU_CYCLE_1)
	v_cmp_gt_i32_e64 s1, s6, v0
	s_and_b32 s1, s0, s1
	s_and_b32 exec_lo, exec_lo, s1
	s_cbranch_execz .LBB190_34
; %bb.33:                               ;   in Loop: Header=BB190_5 Depth=1
	v_ashrrev_i32_e32 v89, 31, v88
	s_delay_alu instid0(VALU_DEP_1) | instskip(NEXT) | instid1(VALU_DEP_1)
	v_add_nc_u64_e32 v[0:1], v[22:23], v[88:89]
	v_mad_nc_u64_u32 v[2:3], v0, 36, s[2:3]
	s_delay_alu instid0(VALU_DEP_1)
	v_mad_i32_i24 v3, v1, 36, v3
	global_load_b32 v0, v[2:3], off offset:432
	s_wait_loadcnt 0x0
	v_cvt_f32_f16_e32 v0, v0
	ds_store_b32 v103, v0
.LBB190_34:                             ;   in Loop: Header=BB190_5 Depth=1
	s_or_b32 exec_lo, exec_lo, s18
	v_dual_mov_b32 v89, v65 :: v_dual_mov_b32 v94, v69
	s_mov_b32 s1, 24
	s_mov_b32 s22, 22
	;; [unrolled: 1-line block ×3, first 2 shown]
	s_wait_dscnt 0x0
	s_barrier_signal -1
	s_barrier_wait -1
.LBB190_35:                             ;   Parent Loop BB190_5 Depth=1
                                        ; =>  This Inner Loop Header: Depth=2
	s_add_co_i32 s19, s22, 2
	s_sub_co_i32 s20, s22, 22
	s_lshr_b32 s24, s19, 4
	s_and_b32 s21, s19, 0x3ffffff8
	s_and_b32 s23, s1, -16
	v_lshl_add_u32 v4, s21, 2, v107
	s_lshl_b32 s21, s24, 5
	s_add_co_i32 s22, s22, s23
	s_addk_co_i32 s21, 0x4200
	s_lshl_b32 s23, s24, 2
	v_add3_u32 v90, s21, v108, v109
	ds_load_2addr_b32 v[0:1], v4 offset1:1
	s_addk_co_i32 s23, 0x7380
	ds_load_b32 v88, v94
	s_add_co_i32 s1, s1, 2
	ds_load_2addr_b32 v[2:3], v90 offset1:1
	v_dual_add_nc_u32 v149, s22, v33 :: v_dual_add_nc_u32 v94, 4, v94
	s_wait_dscnt 0x0
	v_dual_ashrrev_i32 v0, s20, v0 :: v_dual_ashrrev_i32 v2, s18, v2
	s_delay_alu instid0(VALU_DEP_1) | instskip(NEXT) | instid1(VALU_DEP_2)
	v_and_b32_e32 v5, 0x3030303, v0
	v_dual_ashrrev_i32 v3, s18, v3 :: v_dual_lshlrev_b32 v2, 2, v2
	s_delay_alu instid0(VALU_DEP_2) | instskip(SKIP_2) | instid1(VALU_DEP_4)
	v_lshrrev_b32_e32 v7, 16, v5
	v_bfe_u32 v0, v0, 24, 2
	v_lshrrev_b16 v6, 8, v5
	v_lshlrev_b32_e32 v3, 2, v3
	v_and_b32_e32 v2, 0x4040404, v2
	s_delay_alu instid0(VALU_DEP_2) | instskip(NEXT) | instid1(VALU_DEP_2)
	v_and_b32_e32 v3, 0x4040404, v3
	v_dual_lshrrev_b32 v92, 24, v2 :: v_dual_lshrrev_b32 v93, 16, v2
	v_lshrrev_b16 v91, 8, v2
	s_delay_alu instid0(VALU_DEP_2) | instskip(NEXT) | instid1(VALU_DEP_3)
	v_sub_nc_u16 v0, v0, v92
	v_sub_nc_u16 v162, v7, v93
	v_lshrrev_b32_e32 v7, 24, v3
	s_delay_alu instid0(VALU_DEP_3) | instskip(NEXT) | instid1(VALU_DEP_1)
	v_lshlrev_b16 v0, 8, v0
	v_bitop3_b16 v163, v162, v0, 0xff bitop3:0xec
	v_sub_nc_u16 v0, v5, v2
	v_sub_nc_u16 v2, v6, v91
	v_lshrrev_b32_e32 v91, 16, v3
	v_lshrrev_b16 v6, 8, v3
	v_perm_b32 v162, v163, v162, 0xc0c0500
	s_delay_alu instid0(VALU_DEP_4) | instskip(NEXT) | instid1(VALU_DEP_1)
	v_lshlrev_b16 v2, 8, v2
	v_bitop3_b16 v0, v0, v2, 0xff bitop3:0xec
	s_delay_alu instid0(VALU_DEP_1) | instskip(SKIP_1) | instid1(VALU_DEP_1)
	v_and_b32_e32 v166, 0xffff, v0
	v_ashrrev_i32_e32 v0, s20, v1
	v_and_b32_e32 v1, 0x3030303, v0
	v_bfe_u32 v0, v0, 24, 2
	s_delay_alu instid0(VALU_DEP_2) | instskip(NEXT) | instid1(VALU_DEP_2)
	v_lshrrev_b32_e32 v5, 16, v1
	v_sub_nc_u16 v0, v0, v7
	v_lshrrev_b16 v2, 8, v1
	v_sub_nc_u16 v167, v1, v3
	s_delay_alu instid0(VALU_DEP_4) | instskip(NEXT) | instid1(VALU_DEP_4)
	v_sub_nc_u16 v164, v5, v91
	v_lshlrev_b16 v0, 8, v0
	s_delay_alu instid0(VALU_DEP_1) | instskip(SKIP_4) | instid1(VALU_DEP_1)
	v_bitop3_b16 v165, v164, v0, 0xff bitop3:0xec
	v_sub_nc_u16 v0, v2, v6
	ds_load_2addr_b32 v[2:3], v90 offset0:2 offset1:3
	v_perm_b32 v164, v165, v164, 0xc0c0500
	v_lshlrev_b16 v0, 8, v0
	v_bitop3_b16 v168, v167, v0, 0xff bitop3:0xec
	ds_load_2addr_b32 v[0:1], v4 offset0:2 offset1:3
	v_perm_b32 v163, v168, v167, 0x5000c0c
	s_wait_dscnt 0x1
	v_dual_ashrrev_i32 v2, s18, v2 :: v_dual_ashrrev_i32 v3, s18, v3
	s_delay_alu instid0(VALU_DEP_1) | instskip(SKIP_2) | instid1(VALU_DEP_2)
	v_dual_lshlrev_b32 v2, 2, v2 :: v_dual_lshlrev_b32 v3, 2, v3
	s_wait_dscnt 0x0
	v_ashrrev_i32_e32 v0, s20, v0
	v_and_b32_e32 v2, 0x4040404, v2
	s_delay_alu instid0(VALU_DEP_3) | instskip(NEXT) | instid1(VALU_DEP_3)
	v_and_b32_e32 v3, 0x4040404, v3
	v_and_b32_e32 v5, 0x3030303, v0
	v_bfe_u32 v0, v0, 24, 2
	s_delay_alu instid0(VALU_DEP_4) | instskip(SKIP_1) | instid1(VALU_DEP_4)
	v_dual_lshrrev_b32 v91, 16, v2 :: v_dual_lshrrev_b32 v92, 24, v2
	v_lshrrev_b16 v93, 8, v2
	v_lshrrev_b16 v7, 8, v5
	v_lshrrev_b32_e32 v6, 16, v5
	v_sub_nc_u16 v170, v5, v2
	v_sub_nc_u16 v0, v0, v92
	s_delay_alu instid0(VALU_DEP_4) | instskip(SKIP_2) | instid1(VALU_DEP_4)
	v_sub_nc_u16 v2, v7, v93
	v_lshrrev_b32_e32 v7, 24, v3
	v_sub_nc_u16 v173, v6, v91
	v_lshlrev_b16 v128, 8, v0
	v_ashrrev_i32_e32 v0, s20, v1
	v_lshlrev_b16 v2, 8, v2
	v_lshrrev_b32_e32 v91, 16, v3
	v_lshrrev_b16 v6, 8, v3
	v_bfe_i32 v173, v173, 0, 8
	v_and_b32_e32 v1, 0x3030303, v0
	v_bfe_u32 v0, v0, 24, 2
	v_bitop3_b16 v171, v170, v2, 0xff bitop3:0xec
	v_bfe_i32 v128, v128, 8, 8
	s_delay_alu instid0(VALU_DEP_4) | instskip(NEXT) | instid1(VALU_DEP_4)
	v_lshrrev_b32_e32 v5, 16, v1
	v_sub_nc_u16 v0, v0, v7
	v_lshrrev_b16 v2, 8, v1
	v_sub_nc_u16 v131, v1, v3
	v_perm_b32 v165, v171, v170, 0x5000c0c
	v_sub_nc_u16 v129, v5, v91
	v_lshlrev_b16 v0, 8, v0
	s_delay_alu instid0(VALU_DEP_1) | instskip(SKIP_4) | instid1(VALU_DEP_1)
	v_bitop3_b16 v130, v129, v0, 0xff bitop3:0xec
	v_sub_nc_u16 v0, v2, v6
	ds_load_2addr_b32 v[2:3], v90 offset0:4 offset1:5
	v_perm_b32 v129, v130, v129, 0x5000c0c
	v_lshlrev_b16 v0, 8, v0
	v_bitop3_b16 v132, v131, v0, 0xff bitop3:0xec
	ds_load_2addr_b32 v[0:1], v4 offset0:4 offset1:5
	v_perm_b32 v131, v132, v131, 0xc0c0500
	s_wait_dscnt 0x1
	s_delay_alu instid0(VALU_DEP_1) | instskip(NEXT) | instid1(VALU_DEP_1)
	v_dual_ashrrev_i32 v2, s18, v2 :: v_dual_bitop2_b32 v129, v129, v131 bitop3:0x54
	v_dual_ashrrev_i32 v3, s18, v3 :: v_dual_lshlrev_b32 v2, 2, v2
	s_wait_dscnt 0x0
	s_delay_alu instid0(VALU_DEP_1) | instskip(NEXT) | instid1(VALU_DEP_2)
	v_dual_lshlrev_b32 v3, 2, v3 :: v_dual_ashrrev_i32 v0, s20, v0
	v_and_b32_e32 v2, 0x4040404, v2
	s_delay_alu instid0(VALU_DEP_2) | instskip(NEXT) | instid1(VALU_DEP_3)
	v_and_b32_e32 v3, 0x4040404, v3
	v_and_b32_e32 v5, 0x3030303, v0
	v_bfe_u32 v0, v0, 24, 2
	s_delay_alu instid0(VALU_DEP_4) | instskip(SKIP_1) | instid1(VALU_DEP_4)
	v_dual_lshrrev_b32 v92, 24, v2 :: v_dual_lshrrev_b32 v93, 16, v2
	v_lshrrev_b16 v91, 8, v2
	v_lshrrev_b32_e32 v7, 16, v5
	v_lshrrev_b16 v6, 8, v5
	s_delay_alu instid0(VALU_DEP_4) | instskip(NEXT) | instid1(VALU_DEP_3)
	v_sub_nc_u16 v0, v0, v92
	v_sub_nc_u16 v150, v7, v93
	v_lshrrev_b32_e32 v7, 24, v3
	s_delay_alu instid0(VALU_DEP_3) | instskip(NEXT) | instid1(VALU_DEP_1)
	v_lshlrev_b16 v0, 8, v0
	v_bitop3_b16 v151, v150, v0, 0xff bitop3:0xec
	v_sub_nc_u16 v0, v5, v2
	v_sub_nc_u16 v2, v6, v91
	v_lshrrev_b32_e32 v91, 16, v3
	v_lshrrev_b16 v6, 8, v3
	v_perm_b32 v150, v151, v150, 0xc0c0500
	s_delay_alu instid0(VALU_DEP_4) | instskip(NEXT) | instid1(VALU_DEP_1)
	v_lshlrev_b16 v2, 8, v2
	v_bitop3_b16 v0, v0, v2, 0xff bitop3:0xec
	s_delay_alu instid0(VALU_DEP_1) | instskip(SKIP_1) | instid1(VALU_DEP_1)
	v_and_b32_e32 v157, 0xffff, v0
	v_ashrrev_i32_e32 v0, s20, v1
	v_and_b32_e32 v1, 0x3030303, v0
	v_bfe_u32 v0, v0, 24, 2
	s_delay_alu instid0(VALU_DEP_2) | instskip(NEXT) | instid1(VALU_DEP_2)
	v_lshrrev_b32_e32 v5, 16, v1
	v_sub_nc_u16 v0, v0, v7
	v_lshrrev_b16 v2, 8, v1
	v_sub_nc_u16 v158, v1, v3
	s_delay_alu instid0(VALU_DEP_4) | instskip(NEXT) | instid1(VALU_DEP_4)
	v_sub_nc_u16 v152, v5, v91
	v_lshlrev_b16 v0, 8, v0
	s_delay_alu instid0(VALU_DEP_1) | instskip(SKIP_3) | instid1(VALU_DEP_1)
	v_bitop3_b16 v153, v152, v0, 0xff bitop3:0xec
	v_sub_nc_u16 v0, v2, v6
	ds_load_2addr_b32 v[2:3], v90 offset0:6 offset1:7
	v_lshlrev_b16 v0, 8, v0
	v_bitop3_b16 v159, v158, v0, 0xff bitop3:0xec
	ds_load_2addr_b32 v[0:1], v4 offset0:6 offset1:7
	v_perm_b32 v151, v159, v158, 0x5000c0c
	s_wait_dscnt 0x1
	v_dual_ashrrev_i32 v2, s18, v2 :: v_dual_ashrrev_i32 v3, s18, v3
	s_delay_alu instid0(VALU_DEP_1) | instskip(SKIP_2) | instid1(VALU_DEP_2)
	v_dual_lshlrev_b32 v2, 2, v2 :: v_dual_lshlrev_b32 v3, 2, v3
	s_wait_dscnt 0x0
	v_ashrrev_i32_e32 v0, s20, v0
	v_and_b32_e32 v2, 0x4040404, v2
	s_delay_alu instid0(VALU_DEP_3) | instskip(NEXT) | instid1(VALU_DEP_3)
	v_and_b32_e32 v3, 0x4040404, v3
	v_and_b32_e32 v5, 0x3030303, v0
	v_bfe_u32 v0, v0, 24, 2
	s_delay_alu instid0(VALU_DEP_4) | instskip(SKIP_1) | instid1(VALU_DEP_4)
	v_dual_lshrrev_b32 v90, 16, v2 :: v_dual_lshrrev_b32 v91, 24, v2
	v_lshrrev_b16 v92, 8, v2
	v_lshrrev_b16 v7, 8, v5
	v_lshrrev_b32_e32 v6, 16, v5
	v_sub_nc_u16 v160, v5, v2
	v_sub_nc_u16 v0, v0, v91
	v_add3_u32 v91, s21, v112, v113
	v_sub_nc_u16 v2, v7, v92
	v_lshrrev_b32_e32 v7, 24, v3
	v_sub_nc_u16 v169, v6, v90
	v_lshlrev_b16 v133, 8, v0
	v_ashrrev_i32_e32 v0, s20, v1
	v_lshlrev_b16 v2, 8, v2
	v_lshrrev_b32_e32 v90, 16, v3
	v_lshrrev_b16 v6, 8, v3
	v_bfe_i32 v169, v169, 0, 8
	v_and_b32_e32 v1, 0x3030303, v0
	v_bfe_u32 v0, v0, 24, 2
	v_bitop3_b16 v161, v160, v2, 0xff bitop3:0xec
	v_bfe_i32 v130, v133, 8, 8
	s_delay_alu instid0(VALU_DEP_4) | instskip(NEXT) | instid1(VALU_DEP_4)
	v_lshrrev_b32_e32 v5, 16, v1
	v_sub_nc_u16 v0, v0, v7
	v_lshrrev_b16 v2, 8, v1
	v_sub_nc_u16 v136, v1, v3
	s_delay_alu instid0(VALU_DEP_4) | instskip(NEXT) | instid1(VALU_DEP_4)
	v_sub_nc_u16 v134, v5, v90
	v_lshlrev_b16 v0, 8, v0
	s_delay_alu instid0(VALU_DEP_1) | instskip(SKIP_4) | instid1(VALU_DEP_1)
	v_bitop3_b16 v135, v134, v0, 0xff bitop3:0xec
	v_sub_nc_u16 v0, v2, v6
	ds_load_2addr_b32 v[2:3], v91 offset1:1
	v_add_nc_u32_e32 v138, s22, v35
	v_lshlrev_b16 v0, 8, v0
	v_bitop3_b16 v137, v136, v0, 0xff bitop3:0xec
	v_add3_u32 v0, s23, v127, v111
	ds_load_b32 v90, v0
	v_add_nc_u32_e32 v0, 0x1080, v4
	s_wait_dscnt 0x1
	v_ashrrev_i32_e32 v2, s18, v2
	ds_load_2addr_b32 v[0:1], v0 offset1:1
	v_dual_ashrrev_i32 v3, s18, v3 :: v_dual_lshlrev_b32 v2, 2, v2
	s_delay_alu instid0(VALU_DEP_1) | instskip(NEXT) | instid1(VALU_DEP_2)
	v_lshlrev_b32_e32 v3, 2, v3
	v_and_b32_e32 v2, 0x4040404, v2
	s_delay_alu instid0(VALU_DEP_2) | instskip(NEXT) | instid1(VALU_DEP_2)
	v_and_b32_e32 v3, 0x4040404, v3
	v_dual_lshrrev_b32 v93, 24, v2 :: v_dual_lshrrev_b32 v95, 16, v2
	v_lshrrev_b16 v92, 8, v2
	s_wait_dscnt 0x0
	v_ashrrev_i32_e32 v0, s20, v0
	s_delay_alu instid0(VALU_DEP_1) | instskip(SKIP_1) | instid1(VALU_DEP_2)
	v_and_b32_e32 v5, 0x3030303, v0
	v_bfe_u32 v0, v0, 24, 2
	v_lshrrev_b32_e32 v7, 16, v5
	s_delay_alu instid0(VALU_DEP_2) | instskip(SKIP_2) | instid1(VALU_DEP_4)
	v_sub_nc_u16 v0, v0, v93
	v_lshrrev_b16 v6, 8, v5
	v_sub_nc_u16 v194, v5, v2
	v_sub_nc_u16 v186, v7, v95
	s_delay_alu instid0(VALU_DEP_4) | instskip(SKIP_1) | instid1(VALU_DEP_4)
	v_lshlrev_b16 v0, 8, v0
	v_lshrrev_b32_e32 v7, 24, v3
	v_bfe_i32 v194, v194, 0, 8
	s_delay_alu instid0(VALU_DEP_3) | instskip(SKIP_3) | instid1(VALU_DEP_4)
	v_bitop3_b16 v187, v186, v0, 0xff bitop3:0xec
	v_sub_nc_u16 v0, v6, v92
	v_lshrrev_b32_e32 v92, 16, v3
	v_lshrrev_b16 v6, 8, v3
	v_perm_b32 v186, v187, v186, 0xc0c0500
	s_delay_alu instid0(VALU_DEP_4) | instskip(SKIP_1) | instid1(VALU_DEP_2)
	v_lshlrev_b16 v191, 8, v0
	v_ashrrev_i32_e32 v0, s20, v1
	v_bfe_i32 v191, v191, 8, 8
	s_delay_alu instid0(VALU_DEP_2) | instskip(SKIP_1) | instid1(VALU_DEP_2)
	v_and_b32_e32 v1, 0x3030303, v0
	v_bfe_u32 v0, v0, 24, 2
	v_lshrrev_b32_e32 v5, 16, v1
	s_delay_alu instid0(VALU_DEP_2) | instskip(SKIP_2) | instid1(VALU_DEP_4)
	v_sub_nc_u16 v0, v0, v7
	v_lshrrev_b16 v2, 8, v1
	v_sub_nc_u16 v196, v1, v3
	v_sub_nc_u16 v190, v5, v92
	s_delay_alu instid0(VALU_DEP_4) | instskip(NEXT) | instid1(VALU_DEP_3)
	v_lshlrev_b16 v0, 8, v0
	v_bfe_i32 v196, v196, 0, 8
	s_delay_alu instid0(VALU_DEP_2)
	v_bitop3_b16 v192, v190, v0, 0xff bitop3:0xec
	v_sub_nc_u16 v0, v2, v6
	ds_load_2addr_b32 v[2:3], v91 offset0:2 offset1:3
	v_lshlrev_b16 v193, 8, v0
	v_add_nc_u32_e32 v0, 0x1088, v4
	ds_load_2addr_b32 v[0:1], v0 offset1:1
	s_wait_dscnt 0x1
	v_dual_ashrrev_i32 v2, s18, v2 :: v_dual_ashrrev_i32 v3, s18, v3
	s_delay_alu instid0(VALU_DEP_1) | instskip(SKIP_2) | instid1(VALU_DEP_2)
	v_dual_lshlrev_b32 v2, 2, v2 :: v_dual_lshlrev_b32 v3, 2, v3
	s_wait_dscnt 0x0
	v_ashrrev_i32_e32 v0, s20, v0
	v_and_b32_e32 v2, 0x4040404, v2
	s_delay_alu instid0(VALU_DEP_3) | instskip(NEXT) | instid1(VALU_DEP_3)
	v_and_b32_e32 v3, 0x4040404, v3
	v_and_b32_e32 v5, 0x3030303, v0
	v_bfe_u32 v0, v0, 24, 2
	s_delay_alu instid0(VALU_DEP_4) | instskip(SKIP_1) | instid1(VALU_DEP_4)
	v_dual_lshrrev_b32 v92, 16, v2 :: v_dual_lshrrev_b32 v95, 24, v2
	v_lshrrev_b16 v93, 8, v2
	v_lshrrev_b32_e32 v6, 16, v5
	v_lshrrev_b16 v7, 8, v5
	v_sub_nc_u16 v198, v5, v2
	v_sub_nc_u16 v0, v0, v95
	s_delay_alu instid0(VALU_DEP_4) | instskip(SKIP_2) | instid1(VALU_DEP_4)
	v_sub_nc_u16 v199, v6, v92
	v_lshrrev_b32_e32 v92, 16, v3
	v_lshrrev_b16 v6, 8, v3
	v_lshlrev_b16 v139, 8, v0
	v_sub_nc_u16 v0, v7, v93
	v_lshrrev_b32_e32 v7, 24, v3
	v_bfe_i32 v199, v199, 0, 8
	v_bfe_i32 v198, v198, 0, 8
	v_bfe_i32 v139, v139, 8, 8
	v_lshlrev_b16 v197, 8, v0
	v_ashrrev_i32_e32 v0, s20, v1
	v_perm_b32 v173, v199, v173, 0x5040100
	s_delay_alu instid0(VALU_DEP_3) | instskip(NEXT) | instid1(VALU_DEP_3)
	v_bfe_i32 v197, v197, 8, 8
	v_and_b32_e32 v1, 0x3030303, v0
	v_bfe_u32 v0, v0, 24, 2
	s_delay_alu instid0(VALU_DEP_2) | instskip(NEXT) | instid1(VALU_DEP_2)
	v_lshrrev_b32_e32 v5, 16, v1
	v_sub_nc_u16 v0, v0, v7
	v_lshrrev_b16 v2, 8, v1
	v_sub_nc_u16 v143, v1, v3
	s_delay_alu instid0(VALU_DEP_4) | instskip(NEXT) | instid1(VALU_DEP_4)
	v_sub_nc_u16 v140, v5, v92
	v_lshlrev_b16 v0, 8, v0
	s_delay_alu instid0(VALU_DEP_3) | instskip(NEXT) | instid1(VALU_DEP_2)
	v_bfe_i32 v143, v143, 0, 8
	v_bitop3_b16 v141, v140, v0, 0xff bitop3:0xec
	v_sub_nc_u16 v0, v2, v6
	ds_load_2addr_b32 v[2:3], v91 offset0:4 offset1:5
	v_lshlrev_b16 v142, 8, v0
	v_add_nc_u32_e32 v0, 0x1090, v4
	ds_load_2addr_b32 v[0:1], v0 offset1:1
	s_wait_dscnt 0x1
	v_dual_ashrrev_i32 v2, s18, v2 :: v_dual_ashrrev_i32 v3, s18, v3
	s_delay_alu instid0(VALU_DEP_1) | instskip(SKIP_2) | instid1(VALU_DEP_2)
	v_dual_lshlrev_b32 v2, 2, v2 :: v_dual_lshlrev_b32 v3, 2, v3
	s_wait_dscnt 0x0
	v_ashrrev_i32_e32 v0, s20, v0
	v_and_b32_e32 v2, 0x4040404, v2
	s_delay_alu instid0(VALU_DEP_3) | instskip(NEXT) | instid1(VALU_DEP_3)
	v_and_b32_e32 v3, 0x4040404, v3
	v_and_b32_e32 v5, 0x3030303, v0
	v_bfe_u32 v0, v0, 24, 2
	s_delay_alu instid0(VALU_DEP_4) | instskip(SKIP_1) | instid1(VALU_DEP_4)
	v_dual_lshrrev_b32 v93, 24, v2 :: v_dual_lshrrev_b32 v95, 16, v2
	v_lshrrev_b16 v92, 8, v2
	v_lshrrev_b32_e32 v7, 16, v5
	v_lshrrev_b16 v6, 8, v5
	s_delay_alu instid0(VALU_DEP_4) | instskip(SKIP_1) | instid1(VALU_DEP_4)
	v_sub_nc_u16 v0, v0, v93
	v_sub_nc_u16 v184, v5, v2
	v_sub_nc_u16 v178, v7, v95
	v_lshrrev_b32_e32 v7, 24, v3
	s_delay_alu instid0(VALU_DEP_4) | instskip(NEXT) | instid1(VALU_DEP_4)
	v_lshlrev_b16 v0, 8, v0
	v_bfe_i32 v184, v184, 0, 8
	s_delay_alu instid0(VALU_DEP_2) | instskip(SKIP_3) | instid1(VALU_DEP_4)
	v_bitop3_b16 v179, v178, v0, 0xff bitop3:0xec
	v_sub_nc_u16 v0, v6, v92
	v_lshrrev_b32_e32 v92, 16, v3
	v_lshrrev_b16 v6, 8, v3
	v_perm_b32 v178, v179, v178, 0xc0c0500
	s_delay_alu instid0(VALU_DEP_4) | instskip(SKIP_1) | instid1(VALU_DEP_2)
	v_lshlrev_b16 v181, 8, v0
	v_ashrrev_i32_e32 v0, s20, v1
	v_bfe_i32 v181, v181, 8, 8
	s_delay_alu instid0(VALU_DEP_2) | instskip(SKIP_1) | instid1(VALU_DEP_2)
	v_and_b32_e32 v1, 0x3030303, v0
	v_bfe_u32 v0, v0, 24, 2
	v_lshrrev_b32_e32 v5, 16, v1
	s_delay_alu instid0(VALU_DEP_2) | instskip(SKIP_2) | instid1(VALU_DEP_4)
	v_sub_nc_u16 v0, v0, v7
	v_lshrrev_b16 v2, 8, v1
	v_sub_nc_u16 v185, v1, v3
	v_sub_nc_u16 v180, v5, v92
	s_delay_alu instid0(VALU_DEP_4) | instskip(NEXT) | instid1(VALU_DEP_3)
	v_lshlrev_b16 v0, 8, v0
	v_bfe_i32 v185, v185, 0, 8
	s_delay_alu instid0(VALU_DEP_2)
	v_bitop3_b16 v182, v180, v0, 0xff bitop3:0xec
	v_sub_nc_u16 v0, v2, v6
	ds_load_2addr_b32 v[2:3], v91 offset0:6 offset1:7
	v_lshlrev_b16 v183, 8, v0
	v_add_nc_u32_e32 v0, 0x1098, v4
	ds_load_2addr_b32 v[0:1], v0 offset1:1
	s_wait_dscnt 0x1
	v_dual_ashrrev_i32 v2, s18, v2 :: v_dual_ashrrev_i32 v3, s18, v3
	s_delay_alu instid0(VALU_DEP_1) | instskip(SKIP_2) | instid1(VALU_DEP_2)
	v_dual_lshlrev_b32 v2, 2, v2 :: v_dual_lshlrev_b32 v3, 2, v3
	s_wait_dscnt 0x0
	v_ashrrev_i32_e32 v0, s20, v0
	v_and_b32_e32 v2, 0x4040404, v2
	s_delay_alu instid0(VALU_DEP_3) | instskip(NEXT) | instid1(VALU_DEP_3)
	v_and_b32_e32 v3, 0x4040404, v3
	v_and_b32_e32 v5, 0x3030303, v0
	v_bfe_u32 v0, v0, 24, 2
	s_delay_alu instid0(VALU_DEP_4) | instskip(SKIP_1) | instid1(VALU_DEP_4)
	v_dual_lshrrev_b32 v91, 16, v2 :: v_dual_lshrrev_b32 v93, 24, v2
	v_lshrrev_b16 v92, 8, v2
	v_lshrrev_b32_e32 v6, 16, v5
	v_lshrrev_b16 v7, 8, v5
	v_sub_nc_u16 v189, v5, v2
	v_sub_nc_u16 v0, v0, v93
	s_delay_alu instid0(VALU_DEP_4) | instskip(SKIP_2) | instid1(VALU_DEP_4)
	v_sub_nc_u16 v195, v6, v91
	v_lshrrev_b32_e32 v91, 16, v3
	v_lshrrev_b16 v6, 8, v3
	v_lshlrev_b16 v144, 8, v0
	v_sub_nc_u16 v0, v7, v92
	v_lshrrev_b32_e32 v7, 24, v3
	v_add3_u32 v92, s21, v116, v117
	v_bfe_i32 v195, v195, 0, 8
	v_bfe_i32 v189, v189, 0, 8
	v_lshlrev_b16 v188, 8, v0
	v_ashrrev_i32_e32 v0, s20, v1
	s_delay_alu instid0(VALU_DEP_4) | instskip(NEXT) | instid1(VALU_DEP_3)
	v_perm_b32 v169, v195, v169, 0x5040100
	v_bfe_i32 v188, v188, 8, 8
	s_delay_alu instid0(VALU_DEP_3) | instskip(SKIP_1) | instid1(VALU_DEP_2)
	v_and_b32_e32 v1, 0x3030303, v0
	v_bfe_u32 v0, v0, 24, 2
	v_lshrrev_b32_e32 v5, 16, v1
	s_delay_alu instid0(VALU_DEP_2) | instskip(SKIP_2) | instid1(VALU_DEP_4)
	v_sub_nc_u16 v0, v0, v7
	v_lshrrev_b16 v2, 8, v1
	v_sub_nc_u16 v148, v1, v3
	v_sub_nc_u16 v145, v5, v91
	s_delay_alu instid0(VALU_DEP_4) | instskip(NEXT) | instid1(VALU_DEP_3)
	v_lshlrev_b16 v0, 8, v0
	v_bfe_i32 v148, v148, 0, 8
	s_delay_alu instid0(VALU_DEP_2)
	v_bitop3_b16 v146, v145, v0, 0xff bitop3:0xec
	v_sub_nc_u16 v0, v2, v6
	ds_load_2addr_b32 v[2:3], v92 offset1:1
	v_lshlrev_b16 v147, 8, v0
	v_add3_u32 v0, s23, v114, v115
	ds_load_b32 v91, v0
	v_add_nc_u32_e32 v0, 0x2100, v4
	ds_load_2addr_b32 v[0:1], v0 offset1:1
	s_wait_dscnt 0x2
	v_dual_ashrrev_i32 v2, s18, v2 :: v_dual_ashrrev_i32 v3, s18, v3
	s_delay_alu instid0(VALU_DEP_1) | instskip(NEXT) | instid1(VALU_DEP_1)
	v_dual_lshlrev_b32 v2, 2, v2 :: v_dual_lshlrev_b32 v3, 2, v3
	v_and_b32_e32 v2, 0x4040404, v2
	s_delay_alu instid0(VALU_DEP_2) | instskip(NEXT) | instid1(VALU_DEP_2)
	v_and_b32_e32 v3, 0x4040404, v3
	v_dual_lshrrev_b32 v95, 24, v2 :: v_dual_lshrrev_b32 v154, 16, v2
	s_wait_dscnt 0x0
	v_ashrrev_i32_e32 v0, s20, v0
	v_lshrrev_b16 v93, 8, v2
	s_delay_alu instid0(VALU_DEP_2) | instskip(NEXT) | instid1(VALU_DEP_1)
	v_and_b32_e32 v5, 0x3030303, v0
	v_lshrrev_b32_e32 v7, 16, v5
	v_bfe_u32 v0, v0, 24, 2
	v_lshrrev_b16 v6, 8, v5
	v_sub_nc_u16 v5, v5, v2
	s_delay_alu instid0(VALU_DEP_4) | instskip(NEXT) | instid1(VALU_DEP_4)
	v_sub_nc_u16 v200, v7, v154
	v_sub_nc_u16 v0, v0, v95
	v_dual_lshrrev_b32 v95, 24, v3 :: v_dual_lshrrev_b32 v154, 16, v3
	s_delay_alu instid0(VALU_DEP_4) | instskip(NEXT) | instid1(VALU_DEP_3)
	v_bfe_i32 v223, v5, 0, 8
	v_lshlrev_b16 v0, 8, v0
	s_delay_alu instid0(VALU_DEP_1) | instskip(SKIP_2) | instid1(VALU_DEP_3)
	v_bitop3_b16 v201, v200, v0, 0xff bitop3:0xec
	v_sub_nc_u16 v0, v6, v93
	v_lshrrev_b16 v93, 8, v3
	v_perm_b32 v200, v201, v200, 0xc0c0500
	s_delay_alu instid0(VALU_DEP_3) | instskip(SKIP_1) | instid1(VALU_DEP_2)
	v_lshlrev_b16 v6, 8, v0
	v_ashrrev_i32_e32 v0, s20, v1
	v_bfe_i32 v224, v6, 8, 8
	s_delay_alu instid0(VALU_DEP_2) | instskip(SKIP_1) | instid1(VALU_DEP_2)
	v_and_b32_e32 v1, 0x3030303, v0
	v_bfe_u32 v0, v0, 24, 2
	v_lshrrev_b32_e32 v7, 16, v1
	s_delay_alu instid0(VALU_DEP_2) | instskip(SKIP_1) | instid1(VALU_DEP_3)
	v_sub_nc_u16 v0, v0, v95
	v_lshrrev_b16 v2, 8, v1
	v_sub_nc_u16 v202, v7, v154
	s_delay_alu instid0(VALU_DEP_3) | instskip(SKIP_1) | instid1(VALU_DEP_2)
	v_lshlrev_b16 v0, 8, v0
	v_sub_nc_u16 v7, v1, v3
	v_bitop3_b16 v203, v202, v0, 0xff bitop3:0xec
	v_sub_nc_u16 v0, v2, v93
	ds_load_2addr_b32 v[2:3], v92 offset0:2 offset1:3
	v_bfe_i32 v225, v7, 0, 8
	v_perm_b32 v202, v203, v202, 0xc05000c
	v_lshlrev_b16 v204, 8, v0
	v_add_nc_u32_e32 v0, 0x2108, v4
	s_delay_alu instid0(VALU_DEP_2) | instskip(SKIP_3) | instid1(VALU_DEP_1)
	v_perm_b32 v203, v204, v204, 0xc0c0c01
	ds_load_2addr_b32 v[0:1], v0 offset1:1
	s_wait_dscnt 0x1
	v_dual_ashrrev_i32 v2, s18, v2 :: v_dual_bitop2_b32 v202, v202, v203 bitop3:0x54
	v_dual_ashrrev_i32 v3, s18, v3 :: v_dual_lshlrev_b32 v2, 2, v2
	s_wait_dscnt 0x0
	s_delay_alu instid0(VALU_DEP_1) | instskip(NEXT) | instid1(VALU_DEP_2)
	v_dual_lshlrev_b32 v3, 2, v3 :: v_dual_ashrrev_i32 v0, s20, v0
	v_and_b32_e32 v2, 0x4040404, v2
	s_delay_alu instid0(VALU_DEP_2) | instskip(NEXT) | instid1(VALU_DEP_3)
	v_and_b32_e32 v3, 0x4040404, v3
	v_and_b32_e32 v93, 0x3030303, v0
	v_bfe_u32 v0, v0, 24, 2
	s_delay_alu instid0(VALU_DEP_4) | instskip(SKIP_1) | instid1(VALU_DEP_4)
	v_dual_lshrrev_b32 v156, 24, v2 :: v_dual_lshrrev_b32 v172, 16, v2
	v_lshrrev_b16 v155, 8, v2
	v_lshrrev_b32_e32 v154, 16, v93
	v_lshrrev_b16 v95, 8, v93
	s_delay_alu instid0(VALU_DEP_4) | instskip(SKIP_1) | instid1(VALU_DEP_4)
	v_sub_nc_u16 v0, v0, v156
	v_sub_nc_u16 v208, v93, v2
	v_sub_nc_u16 v205, v154, v172
	v_lshrrev_b32_e32 v154, 24, v3
	s_delay_alu instid0(VALU_DEP_4) | instskip(NEXT) | instid1(VALU_DEP_4)
	v_lshlrev_b16 v0, 8, v0
	v_bfe_i32 v199, v208, 0, 8
	v_bfe_i32 v208, v166, 8, 8
	;; [unrolled: 1-line block ×3, first 2 shown]
	s_delay_alu instid0(VALU_DEP_4) | instskip(SKIP_3) | instid1(VALU_DEP_3)
	v_bitop3_b16 v206, v205, v0, 0xff bitop3:0xec
	v_sub_nc_u16 v0, v95, v155
	v_lshrrev_b32_e32 v155, 16, v3
	v_lshrrev_b16 v95, 8, v3
	v_lshlrev_b16 v207, 8, v0
	v_ashrrev_i32_e32 v0, s20, v1
	s_delay_alu instid0(VALU_DEP_1) | instskip(SKIP_1) | instid1(VALU_DEP_2)
	v_and_b32_e32 v1, 0x3030303, v0
	v_bfe_u32 v0, v0, 24, 2
	v_lshrrev_b32_e32 v93, 16, v1
	s_delay_alu instid0(VALU_DEP_2) | instskip(SKIP_2) | instid1(VALU_DEP_4)
	v_sub_nc_u16 v0, v0, v154
	v_lshrrev_b16 v2, 8, v1
	v_sub_nc_u16 v212, v1, v3
	v_sub_nc_u16 v209, v93, v155
	s_delay_alu instid0(VALU_DEP_4) | instskip(NEXT) | instid1(VALU_DEP_1)
	v_lshlrev_b16 v0, 8, v0
	v_bitop3_b16 v210, v209, v0, 0xff bitop3:0xec
	v_sub_nc_u16 v0, v2, v95
	ds_load_2addr_b32 v[2:3], v92 offset0:4 offset1:5
	v_lshlrev_b16 v211, 8, v0
	v_add_nc_u32_e32 v0, 0x2110, v4
	s_delay_alu instid0(VALU_DEP_2) | instskip(SKIP_3) | instid1(VALU_DEP_1)
	v_perm_b32 v187, v211, v211, 0xc0c0c01
	ds_load_2addr_b32 v[0:1], v0 offset1:1
	s_wait_dscnt 0x1
	v_dual_ashrrev_i32 v2, s18, v2 :: v_dual_ashrrev_i32 v3, s18, v3
	v_dual_lshlrev_b32 v2, 2, v2 :: v_dual_lshlrev_b32 v3, 2, v3
	s_wait_dscnt 0x0
	v_ashrrev_i32_e32 v0, s20, v0
	s_delay_alu instid0(VALU_DEP_2) | instskip(NEXT) | instid1(VALU_DEP_3)
	v_and_b32_e32 v2, 0x4040404, v2
	v_and_b32_e32 v3, 0x4040404, v3
	s_delay_alu instid0(VALU_DEP_3) | instskip(SKIP_1) | instid1(VALU_DEP_4)
	v_and_b32_e32 v93, 0x3030303, v0
	v_bfe_u32 v0, v0, 24, 2
	v_dual_lshrrev_b32 v156, 24, v2 :: v_dual_lshrrev_b32 v172, 16, v2
	v_lshrrev_b16 v155, 8, v2
	s_delay_alu instid0(VALU_DEP_4) | instskip(SKIP_1) | instid1(VALU_DEP_4)
	v_lshrrev_b32_e32 v154, 16, v93
	v_lshrrev_b16 v95, 8, v93
	v_sub_nc_u16 v0, v0, v156
	v_lshrrev_b32_e32 v156, 24, v3
	v_sub_nc_u16 v93, v93, v2
	v_sub_nc_u16 v213, v154, v172
	v_lshrrev_b32_e32 v172, 16, v3
	v_lshlrev_b16 v0, 8, v0
	s_delay_alu instid0(VALU_DEP_4) | instskip(SKIP_1) | instid1(VALU_DEP_3)
	v_bfe_i32 v227, v93, 0, 8
	v_add3_u32 v93, s21, v120, v121
	v_bitop3_b16 v214, v213, v0, 0xff bitop3:0xec
	v_sub_nc_u16 v0, v95, v155
	v_lshrrev_b16 v155, 8, v3
	s_delay_alu instid0(VALU_DEP_2) | instskip(SKIP_1) | instid1(VALU_DEP_2)
	v_lshlrev_b16 v95, 8, v0
	v_ashrrev_i32_e32 v0, s20, v1
	v_bfe_i32 v228, v95, 8, 8
	s_delay_alu instid0(VALU_DEP_2) | instskip(SKIP_1) | instid1(VALU_DEP_2)
	v_and_b32_e32 v1, 0x3030303, v0
	v_bfe_u32 v0, v0, 24, 2
	v_lshrrev_b32_e32 v154, 16, v1
	s_delay_alu instid0(VALU_DEP_2) | instskip(SKIP_1) | instid1(VALU_DEP_3)
	v_sub_nc_u16 v0, v0, v156
	v_lshrrev_b16 v2, 8, v1
	v_sub_nc_u16 v215, v154, v172
	s_delay_alu instid0(VALU_DEP_3) | instskip(SKIP_1) | instid1(VALU_DEP_2)
	v_lshlrev_b16 v0, 8, v0
	v_sub_nc_u16 v172, v1, v3
	v_bitop3_b16 v216, v215, v0, 0xff bitop3:0xec
	v_sub_nc_u16 v0, v2, v155
	ds_load_2addr_b32 v[2:3], v92 offset0:6 offset1:7
	v_bfe_i32 v229, v172, 0, 8
	v_lshlrev_b16 v217, 8, v0
	v_add_nc_u32_e32 v0, 0x2118, v4
	ds_load_2addr_b32 v[0:1], v0 offset1:1
	s_wait_dscnt 0x1
	v_dual_ashrrev_i32 v2, s18, v2 :: v_dual_ashrrev_i32 v3, s18, v3
	s_delay_alu instid0(VALU_DEP_1) | instskip(SKIP_2) | instid1(VALU_DEP_2)
	v_dual_lshlrev_b32 v2, 2, v2 :: v_dual_lshlrev_b32 v3, 2, v3
	s_wait_dscnt 0x0
	v_ashrrev_i32_e32 v0, s20, v0
	v_and_b32_e32 v2, 0x4040404, v2
	s_delay_alu instid0(VALU_DEP_3) | instskip(NEXT) | instid1(VALU_DEP_3)
	v_and_b32_e32 v3, 0x4040404, v3
	v_and_b32_e32 v154, 0x3030303, v0
	v_bfe_u32 v0, v0, 24, 2
	s_delay_alu instid0(VALU_DEP_4) | instskip(SKIP_1) | instid1(VALU_DEP_4)
	v_dual_lshrrev_b32 v174, 24, v2 :: v_dual_lshrrev_b32 v175, 16, v2
	v_lshrrev_b16 v92, 8, v2
	v_lshrrev_b32_e32 v156, 16, v154
	v_lshrrev_b16 v155, 8, v154
	s_delay_alu instid0(VALU_DEP_4)
	v_sub_nc_u16 v0, v0, v174
	v_sub_nc_u16 v221, v154, v2
	v_lshrrev_b32_e32 v154, 16, v3
	v_sub_nc_u16 v218, v156, v175
	v_lshrrev_b16 v156, 8, v3
	v_lshlrev_b16 v0, 8, v0
	v_bfe_i32 v195, v221, 0, 8
	s_delay_alu instid0(VALU_DEP_2) | instskip(SKIP_2) | instid1(VALU_DEP_2)
	v_bitop3_b16 v219, v218, v0, 0xff bitop3:0xec
	v_sub_nc_u16 v0, v155, v92
	v_lshrrev_b32_e32 v155, 24, v3
	v_lshlrev_b16 v220, 8, v0
	v_ashrrev_i32_e32 v0, s20, v1
	s_delay_alu instid0(VALU_DEP_1) | instskip(SKIP_1) | instid1(VALU_DEP_2)
	v_and_b32_e32 v1, 0x3030303, v0
	v_bfe_u32 v0, v0, 24, 2
	v_lshrrev_b32_e32 v92, 16, v1
	s_delay_alu instid0(VALU_DEP_2)
	v_sub_nc_u16 v0, v0, v155
	v_lshrrev_b16 v2, 8, v1
	v_sub_nc_u16 v222, v1, v3
	v_add3_u32 v1, s23, v118, v119
	v_sub_nc_u16 v154, v92, v154
	v_lshlrev_b16 v0, 8, v0
	ds_load_b32 v92, v1
	v_bitop3_b16 v155, v154, v0, 0xff bitop3:0xec
	v_sub_nc_u16 v0, v2, v156
	ds_load_2addr_b32 v[2:3], v93 offset1:1
	v_lshlrev_b16 v156, 8, v0
	v_add_nc_u32_e32 v0, s22, v31
	ds_load_u16 v0, v0 offset:27378
	s_wait_dscnt 0x1
	v_dual_ashrrev_i32 v2, s18, v2 :: v_dual_ashrrev_i32 v3, s18, v3
	s_delay_alu instid0(VALU_DEP_1)
	v_lshlrev_b32_e32 v3, 2, v3
	s_wait_dscnt 0x0
	v_lshrrev_b16 v1, 8, v0
	v_bfe_i32 v226, v0, 0, 8
	v_add_nc_u32_e32 v0, 0x3180, v4
	v_and_b32_e32 v3, 0x4040404, v3
	s_delay_alu instid0(VALU_DEP_4) | instskip(SKIP_2) | instid1(VALU_DEP_1)
	v_bfe_i32 v95, v1, 0, 8
	ds_load_2addr_b32 v[0:1], v0 offset1:1
	v_lshlrev_b32_e32 v2, 2, v2
	v_and_b32_e32 v2, 0x4040404, v2
	s_delay_alu instid0(VALU_DEP_1) | instskip(SKIP_3) | instid1(VALU_DEP_1)
	v_dual_lshrrev_b32 v172, 16, v2 :: v_dual_lshrrev_b32 v174, 24, v2
	v_lshrrev_b16 v175, 8, v2
	s_wait_dscnt 0x0
	v_ashrrev_i32_e32 v0, s20, v0
	v_and_b32_e32 v5, 0x3030303, v0
	v_bfe_u32 v0, v0, 24, 2
	s_delay_alu instid0(VALU_DEP_2) | instskip(NEXT) | instid1(VALU_DEP_2)
	v_sub_nc_u16 v233, v5, v2
	v_sub_nc_u16 v231, v0, v174
	v_ashrrev_i32_e32 v0, s20, v1
	v_lshrrev_b32_e32 v6, 16, v5
	v_lshrrev_b16 v7, 8, v5
	s_delay_alu instid0(VALU_DEP_4) | instskip(NEXT) | instid1(VALU_DEP_4)
	v_bfe_i32 v231, v231, 0, 16
	v_bfe_u32 v1, v0, 24, 2
	v_and_b32_e32 v0, 0x3030303, v0
	v_sub_nc_u16 v232, v6, v172
	v_lshrrev_b32_e32 v6, 24, v3
	v_sub_nc_u16 v230, v7, v175
	s_delay_alu instid0(VALU_DEP_4)
	v_dual_lshrrev_b32 v7, 16, v3 :: v_dual_lshrrev_b32 v2, 16, v0
	v_lshrrev_b16 v5, 8, v0
	v_sub_nc_u16 v234, v0, v3
	v_add_nc_u32_e32 v0, 0x3188, v4
	v_sub_nc_u16 v237, v1, v6
	v_lshrrev_b16 v172, 8, v3
	v_sub_nc_u16 v236, v2, v7
	ds_load_2addr_b32 v[2:3], v93 offset0:2 offset1:3
	ds_load_2addr_b32 v[0:1], v0 offset1:1
	v_bfe_i32 v230, v230, 0, 16
	v_sub_nc_u16 v235, v5, v172
	v_bfe_i32 v204, v236, 0, 8
	v_bfe_i32 v234, v234, 0, 8
	s_wait_dscnt 0x0
	v_dual_ashrrev_i32 v2, s18, v2 :: v_dual_ashrrev_i32 v0, s20, v0
	s_delay_alu instid0(VALU_DEP_1) | instskip(NEXT) | instid1(VALU_DEP_2)
	v_dual_ashrrev_i32 v3, s18, v3 :: v_dual_lshlrev_b32 v2, 2, v2
	v_bfe_u32 v5, v0, 24, 2
	v_and_b32_e32 v0, 0x3030303, v0
	s_delay_alu instid0(VALU_DEP_3) | instskip(NEXT) | instid1(VALU_DEP_4)
	v_lshlrev_b32_e32 v3, 2, v3
	v_and_b32_e32 v2, 0x4040404, v2
	s_delay_alu instid0(VALU_DEP_3) | instskip(SKIP_1) | instid1(VALU_DEP_4)
	v_lshrrev_b32_e32 v6, 16, v0
	v_lshrrev_b16 v7, 8, v0
	v_and_b32_e32 v3, 0x4040404, v3
	s_delay_alu instid0(VALU_DEP_4) | instskip(SKIP_3) | instid1(VALU_DEP_3)
	v_sub_nc_u16 v238, v0, v2
	v_dual_ashrrev_i32 v0, s20, v1 :: v_dual_lshrrev_b32 v172, 24, v2
	v_lshrrev_b32_e32 v174, 16, v2
	v_lshrrev_b16 v175, 8, v2
	v_bfe_u32 v1, v0, 24, 2
	v_and_b32_e32 v0, 0x3030303, v0
	s_delay_alu instid0(VALU_DEP_4)
	v_sub_nc_u16 v240, v6, v174
	v_sub_nc_u16 v241, v5, v172
	v_lshrrev_b32_e32 v6, 24, v3
	v_sub_nc_u16 v239, v7, v175
	v_lshrrev_b32_e32 v2, 16, v0
	v_lshrrev_b16 v5, 8, v0
	v_sub_nc_u16 v242, v0, v3
	v_add_nc_u32_e32 v0, 0x3190, v4
	v_lshrrev_b32_e32 v7, 16, v3
	v_sub_nc_u16 v245, v1, v6
	v_lshrrev_b16 v172, 8, v3
	ds_load_2addr_b32 v[0:1], v0 offset1:1
	v_sub_nc_u16 v244, v2, v7
	ds_load_2addr_b32 v[2:3], v93 offset0:4 offset1:5
	v_sub_nc_u16 v243, v5, v172
	s_wait_dscnt 0x0
	v_dual_ashrrev_i32 v0, s20, v0 :: v_dual_ashrrev_i32 v2, s18, v2
	v_ashrrev_i32_e32 v3, s18, v3
	s_delay_alu instid0(VALU_DEP_2) | instskip(SKIP_1) | instid1(VALU_DEP_3)
	v_and_b32_e32 v5, 0x3030303, v0
	v_bfe_u32 v0, v0, 24, 2
	v_dual_lshlrev_b32 v2, 2, v2 :: v_dual_lshlrev_b32 v3, 2, v3
	s_delay_alu instid0(VALU_DEP_3) | instskip(SKIP_1) | instid1(VALU_DEP_3)
	v_lshrrev_b32_e32 v6, 16, v5
	v_lshrrev_b16 v7, 8, v5
	v_and_b32_e32 v2, 0x4040404, v2
	s_delay_alu instid0(VALU_DEP_4) | instskip(NEXT) | instid1(VALU_DEP_2)
	v_and_b32_e32 v3, 0x4040404, v3
	v_dual_lshrrev_b32 v172, 16, v2 :: v_dual_lshrrev_b32 v174, 24, v2
	v_lshrrev_b16 v175, 8, v2
	v_sub_nc_u16 v249, v5, v2
	s_delay_alu instid0(VALU_DEP_3) | instskip(NEXT) | instid1(VALU_DEP_4)
	v_sub_nc_u16 v248, v6, v172
	v_sub_nc_u16 v247, v0, v174
	v_dual_ashrrev_i32 v0, s20, v1 :: v_dual_lshrrev_b32 v6, 24, v3
	v_sub_nc_u16 v246, v7, v175
	v_lshrrev_b32_e32 v7, 16, v3
	v_lshrrev_b16 v172, 8, v3
	s_delay_alu instid0(VALU_DEP_4) | instskip(SKIP_1) | instid1(VALU_DEP_2)
	v_bfe_u32 v1, v0, 24, 2
	v_and_b32_e32 v0, 0x3030303, v0
	v_sub_nc_u16 v253, v1, v6
	s_delay_alu instid0(VALU_DEP_2) | instskip(SKIP_3) | instid1(VALU_DEP_4)
	v_lshrrev_b32_e32 v2, 16, v0
	v_lshrrev_b16 v5, 8, v0
	v_sub_nc_u16 v250, v0, v3
	v_add_nc_u32_e32 v0, 0x3198, v4
	v_sub_nc_u16 v252, v2, v7
	ds_load_2addr_b32 v[2:3], v93 offset0:6 offset1:7
	v_sub_nc_u16 v251, v5, v172
	ds_load_2addr_b32 v[0:1], v0 offset1:1
	s_wait_dscnt 0x1
	v_dual_ashrrev_i32 v2, s18, v2 :: v_dual_ashrrev_i32 v3, s18, v3
	s_wait_dscnt 0x0
	v_ashrrev_i32_e32 v0, s20, v0
	s_add_co_i32 s18, s18, 1
	s_cmp_lt_u32 s19, 30
	v_dual_lshlrev_b32 v2, 2, v2 :: v_dual_lshlrev_b32 v3, 2, v3
	s_delay_alu instid0(VALU_DEP_2) | instskip(SKIP_1) | instid1(VALU_DEP_3)
	v_bfe_u32 v4, v0, 24, 2
	v_and_b32_e32 v0, 0x3030303, v0
	v_and_b32_e32 v2, 0x4040404, v2
	s_delay_alu instid0(VALU_DEP_2) | instskip(SKIP_1) | instid1(VALU_DEP_3)
	v_lshrrev_b32_e32 v5, 16, v0
	v_lshrrev_b16 v6, 8, v0
	v_sub_nc_u16 v254, v0, v2
	v_dual_ashrrev_i32 v0, s20, v1 :: v_dual_lshrrev_b32 v7, 24, v2
	v_lshrrev_b32_e32 v93, 16, v2
	v_lshrrev_b16 v172, 8, v2
	s_delay_alu instid0(VALU_DEP_3)
	v_bfe_u32 v1, v0, 24, 2
	v_and_b32_e32 v0, 0x3030303, v0
	s_set_vgpr_msb 64                       ;  msbs: dst=1 src0=0 src1=0 src2=0
	v_sub_nc_u16 v0 /*v256*/, v5, v93
	s_set_vgpr_msb 0                        ;  msbs: dst=0 src0=0 src1=0 src2=0
	v_sub_nc_u16 v255, v6, v172
	v_add_nc_u32_e32 v172, s22, v29
	v_and_b32_e32 v3, 0x4040404, v3
	v_lshrrev_b32_e32 v2, 16, v0
	s_set_vgpr_msb 64                       ;  msbs: dst=1 src0=0 src1=0 src2=0
	v_sub_nc_u16 v1 /*v257*/, v4, v7
	s_set_vgpr_msb 0                        ;  msbs: dst=0 src0=0 src1=0 src2=0
	v_lshrrev_b16 v4, 8, v0
	s_mov_b32 s22, s19
	v_dual_lshrrev_b32 v5, 24, v3 :: v_dual_lshrrev_b32 v6, 16, v3
	v_lshrrev_b16 v7, 8, v3
	v_sub_nc_u16 v174, v0, v3
	v_add3_u32 v0, s23, v122, v123
	s_delay_alu instid0(VALU_DEP_4)
	v_sub_nc_u16 v177, v1, v5
	v_sub_nc_u16 v176, v2, v6
	;; [unrolled: 1-line block ×3, first 2 shown]
	ds_load_b32 v93, v0
	ds_load_b128 v[4:7], v89
	ds_load_b128 v[0:3], v89 offset:16
	v_or_b32_e32 v162, v163, v162
	v_perm_b32 v163, v193, v193, 0xc0c0c01
	v_or_b32_e32 v164, v165, v164
	v_perm_b32 v165, v207, v207, 0xc0c0c01
	v_bfe_i32 v193, v248, 0, 8
	ds_load_u16 v138, v138 offset:25330
	ds_load_u16 v149, v149 offset:26354
	s_wait_dscnt 0x3
	s_set_vgpr_msb 64                       ;  msbs: dst=1 src0=0 src1=0 src2=0
	v_lshrrev_b16 v2 /*v258*/, 8, v4
	v_bfe_i32 v8 /*v264*/, v4, 0, 8
	s_set_vgpr_msb 0                        ;  msbs: dst=0 src0=0 src1=0 src2=0
	v_perm_b32 v201, v4, v4, 0xc0c0302
	s_set_vgpr_msb 64                       ;  msbs: dst=1 src0=0 src1=0 src2=0
	v_lshrrev_b16 v3 /*v259*/, 8, v5
	v_bfe_i32 v9 /*v265*/, v5, 0, 8
	s_set_vgpr_msb 0x41                     ;  msbs: dst=1 src0=1 src1=0 src2=0
	v_bfe_i32 v2 /*v258*/, v2 /*v258*/, 0, 8
	s_set_vgpr_msb 1                        ;  msbs: dst=0 src0=1 src1=0 src2=0
	v_mul_i32_i24_e32 v223, v8 /*v264*/, v223
	s_set_vgpr_msb 64                       ;  msbs: dst=1 src0=0 src1=0 src2=0
	v_lshrrev_b16 v4 /*v260*/, 8, v6
	v_ashrrev_i32_e32 v6 /*v262*/, 24, v4
	v_bfe_i32 v7 /*v263*/, v4, 16, 8
	s_set_vgpr_msb 1                        ;  msbs: dst=0 src0=1 src1=0 src2=0
	v_mul_i32_i24_e32 v208, v2 /*v258*/, v208
	v_mad_i32_i24 v223, v2 /*v258*/, v224, v223
	s_set_vgpr_msb 0                        ;  msbs: dst=0 src0=0 src1=0 src2=0
	v_bfe_i32 v224, v232, 0, 8
	v_ashrrev_i32_e32 v232, 24, v5
	v_perm_b32 v203, v5, v5, 0xc030201
	s_set_vgpr_msb 1                        ;  msbs: dst=0 src0=1 src1=0 src2=0
	v_mul_i32_i24_e32 v194, v8 /*v264*/, v194
	s_set_vgpr_msb 0                        ;  msbs: dst=0 src0=0 src1=0 src2=0
	v_dot4_i32_iu8 v200, v201, v200, v223 neg_lo:[1,1,0]
	v_bfe_i32 v223, v233, 0, 8
	s_set_vgpr_msb 1                        ;  msbs: dst=0 src0=1 src1=0 src2=0
	v_bfe_i32 v233, v3 /*v259*/, 0, 8
	v_mad_i32_i24 v166, v8 /*v264*/, v166, v208
	s_set_vgpr_msb 0                        ;  msbs: dst=0 src0=0 src1=0 src2=0
	v_perm_b32 v4, v5, v4, 0x5040302
	s_set_vgpr_msb 1                        ;  msbs: dst=0 src0=1 src1=0 src2=0
	v_mad_i32_i24 v200, v9 /*v265*/, v225, v200
	s_set_vgpr_msb 0                        ;  msbs: dst=0 src0=0 src1=0 src2=0
	v_bfe_i32 v225, v235, 0, 16
	s_set_vgpr_msb 64                       ;  msbs: dst=1 src0=0 src1=0 src2=0
	v_bfe_i32 v3 /*v259*/, v5, 16, 8
	s_set_vgpr_msb 1                        ;  msbs: dst=0 src0=1 src1=0 src2=0
	v_mad_i32_i24 v191, v2 /*v258*/, v191, v194
	s_set_vgpr_msb 0                        ;  msbs: dst=0 src0=0 src1=0 src2=0
	v_perm_b32 v5, v6, v5, 0x5040302
	v_dot4_i32_iu8 v200, v203, v202, v200 neg_lo:[1,1,0]
	v_bfe_i32 v202, v237, 0, 16
	v_mul_i32_i24_e32 v225, v225, v233
	s_set_vgpr_msb 1                        ;  msbs: dst=0 src0=1 src1=0 src2=0
	v_bfe_i32 v233, v4 /*v260*/, 0, 8
	v_ashrrev_i32_e32 v167, 24, v7
	s_set_vgpr_msb 0                        ;  msbs: dst=0 src0=0 src1=0 src2=0
	v_dot4_i32_iu8 v4, v4, v162, v166 neg_lo:[1,1,0]
	v_perm_b32 v162, v192, v190, 0xc05000c
	v_mul_i32_i24_e32 v202, v202, v232
	v_ashrrev_i32_e32 v232, 24, v6
	v_bfe_i32 v235, v6, 0, 8
	v_dot4_i32_iu8 v186, v201, v186, v191 neg_lo:[1,1,0]
	v_or_b32_e32 v162, v162, v163
	v_mul_i32_i24_e32 v163, v233, v197
	s_wait_dscnt 0x2
	v_ashrrev_i32_e32 v197, 24, v1
	v_dot4_i32_iu8 v164, v5, v164, v4 neg_lo:[1,1,0]
	v_perm_b32 v5, v206, v205, 0xc05000c
	v_bfe_i32 v236, v6, 16, 8
	s_set_vgpr_msb 1                        ;  msbs: dst=0 src0=1 src1=0 src2=0
	v_mad_i32_i24 v186, v9 /*v265*/, v196, v186
	s_set_vgpr_msb 0                        ;  msbs: dst=0 src0=0 src1=0 src2=0
	v_mad_i32_i24 v4, v235, v199, v200
	v_perm_b32 v6, v6, v6, 0xc030201
	v_or_b32_e32 v5, v5, v165
	v_bfe_i32 v171, v7, 0, 8
	v_dot4_i32_iu8 v162, v203, v162, v186 neg_lo:[1,1,0]
	v_bfe_i32 v186, v212, 0, 8
	s_set_vgpr_msb 64                       ;  msbs: dst=1 src0=0 src1=0 src2=0
	v_lshrrev_b16 v5 /*v261*/, 8, v7
	s_set_vgpr_msb 0                        ;  msbs: dst=0 src0=0 src1=0 src2=0
	v_dot4_i32_iu8 v4, v6, v5, v4 neg_lo:[1,1,0]
	v_bfe_i32 v5, v241, 0, 16
	v_bfe_i32 v165, v239, 0, 16
	s_set_vgpr_msb 4                        ;  msbs: dst=0 src0=0 src1=1 src2=0
	v_mul_i32_i24_e32 v230, v230, v2 /*v258*/
	v_mul_i32_i24_e32 v234, v234, v9 /*v265*/
	s_set_vgpr_msb 0                        ;  msbs: dst=0 src0=0 src1=0 src2=0
	v_mad_i32_i24 v4, v171, v186, v4
	v_perm_b32 v186, v210, v209, 0xc05000c
	s_set_vgpr_msb 4                        ;  msbs: dst=0 src0=0 src1=1 src2=0
	v_mul_i32_i24_e32 v204, v204, v3 /*v259*/
	v_bfe_i32 v6, v240, 0, 8
	v_bfe_i32 v166, v238, 0, 8
	s_set_vgpr_msb 0                        ;  msbs: dst=0 src0=0 src1=0 src2=0
	v_mul_i32_i24_e32 v165, v165, v233
	v_or_b32_e32 v186, v186, v187
	v_perm_b32 v187, v7, v7, 0xc030201
	v_mul_i32_i24_e32 v5, v5, v232
	s_set_vgpr_msb 1                        ;  msbs: dst=0 src0=1 src1=0 src2=0
	v_bfe_i32 v168, v5 /*v261*/, 0, 8
	s_set_vgpr_msb 0                        ;  msbs: dst=0 src0=0 src1=0 src2=0
	v_bfe_i32 v170, v7, 16, 8
	v_bfe_i32 v190, v244, 0, 8
	v_dot4_i32_iu8 v4, v187, v186, v4 neg_lo:[1,1,0]
	v_bfe_i32 v186, v245, 0, 16
	v_bfe_i32 v191, v243, 0, 16
	;; [unrolled: 1-line block ×3, first 2 shown]
	v_mul_i32_i24_e32 v166, v166, v235
	v_mul_i32_i24_e32 v6, v6, v236
	;; [unrolled: 1-line block ×3, first 2 shown]
	s_set_vgpr_msb 4                        ;  msbs: dst=0 src0=0 src1=1 src2=0
	v_mad_i32_i24 v186, v231, v6 /*v262*/, v202
	s_set_vgpr_msb 0                        ;  msbs: dst=0 src0=0 src1=0 src2=0
	v_mul_i32_i24_e32 v192, v192, v171
	v_mul_i32_i24_e32 v168, v191, v168
	;; [unrolled: 1-line block ×3, first 2 shown]
	s_set_vgpr_msb 4                        ;  msbs: dst=0 src0=0 src1=1 src2=0
	v_mad_i32_i24 v190, v224, v7 /*v263*/, v204
	v_mad_i32_i24 v191, v223, v8 /*v264*/, v234
	s_set_vgpr_msb 0                        ;  msbs: dst=0 src0=0 src1=0 src2=0
	v_add3_u32 v165, v230, v225, v165
	v_add3_u32 v5, v186, v5, v167
	v_bfe_i32 v186, v0, 0, 8
	v_add3_u32 v6, v190, v6, v170
	v_add3_u32 v166, v191, v166, v192
	v_bfe_i32 v205, v157, 8, 8
	v_add3_u32 v5, v165, v168, v5
	v_mul_i32_i24_e32 v190, v186, v227
	v_lshrrev_b16 v165, 8, v1
	v_perm_b32 v191, v214, v213, 0xc0c0500
	v_perm_b32 v192, v0, v0, 0xc0c0302
	v_add3_u32 v5, v166, v6, v5
	v_lshrrev_b16 v6, 8, v0
	v_bfe_i32 v196, v246, 0, 16
	v_bfe_i32 v157, v157, 0, 8
	v_mul_i32_i24_e32 v184, v186, v184
	v_pk_mul_lo_u16 v173, v173, v236 op_sel_hi:[1,0]
	v_bfe_i32 v6, v6, 0, 8
	v_ashrrev_i32_e32 v168, 24, v0
	v_bfe_i32 v170, v0, 16, 8
	v_bfe_i32 v165, v165, 0, 8
	v_bfe_i32 v199, v1, 0, 8
	v_mad_i32_i24 v190, v6, v228, v190
	v_mul_i32_i24_e32 v205, v6, v205
	v_mul_i32_i24_e32 v196, v196, v6
	v_perm_b32 v200, v216, v215, 0xc05000c
	v_perm_b32 v201, v217, v217, 0xc0c0c01
	v_dot4_i32_iu8 v190, v192, v191, v190 neg_lo:[1,1,0]
	v_bfe_i32 v203, v251, 0, 16
	v_mad_i32_i24 v157, v186, v157, v205
	v_mad_i32_i24 v6, v6, v181, v184
	v_or_b32_e32 v150, v151, v150
	v_perm_b32 v0, v1, v0, 0x5040302
	v_mad_i32_i24 v190, v199, v229, v190
	v_or_b32_e32 v200, v200, v201
	v_perm_b32 v201, v1, v1, 0xc030201
	v_mul_i32_i24_e32 v165, v203, v165
	v_bfe_i32 v203, v2, 16, 8
	v_dot4_i32_iu8 v6, v192, v178, v6 neg_lo:[1,1,0]
	v_perm_b32 v151, v183, v183, 0xc0c0c01
	v_mul_i32_i24_e32 v128, v232, v128
	v_bfe_i32 v178, v173, 0, 16
	v_ashrrev_i32_e32 v173, 16, v173
	v_dot4_i32_iu8 v0, v0, v150, v157 neg_lo:[1,1,0]
	v_perm_b32 v150, v182, v180, 0xc05000c
	v_mad_i32_i24 v162, v235, v198, v162
	v_lshrrev_b16 v166, 8, v2
	v_bfe_i32 v198, v1, 16, 8
	v_bfe_i32 v202, v252, 0, 8
	v_pk_mul_lo_u16 v169, v169, v203 op_sel_hi:[1,0]
	v_mad_i32_i24 v6, v199, v185, v6
	v_or_b32_e32 v150, v150, v151
	v_perm_b32 v151, v153, v152, 0xc0c0500
	v_perm_b32 v152, v161, v160, 0x5000c0c
	v_ashrrev_i32_e32 v157, 24, v3
	v_dot4_i32_iu8 v190, v201, v200, v190 neg_lo:[1,1,0]
	v_bfe_i32 v200, v253, 0, 16
	v_add3_u32 v128, v164, v178, v128
	v_mul_i32_i24_e32 v198, v202, v198
	v_bfe_i32 v166, v166, 0, 8
	v_bfe_i32 v202, v2, 0, 8
	v_mul_i32_i24_e32 v197, v200, v197
	v_dual_ashrrev_i32 v200, 24, v2 :: v_dual_bitop2_b32 v151, v152, v151 bitop3:0x54
	v_perm_b32 v1, v2, v1, 0x5040302
	v_dot4_i32_iu8 v7, v7, v129, v128 neg_lo:[1,1,0]
	v_perm_b32 v128, v141, v140, 0xc05000c
	v_perm_b32 v129, v142, v142, 0xc0c0c01
	v_ashrrev_i32_e32 v132, 16, v169
	v_dot4_i32_iu8 v6, v201, v150, v6 neg_lo:[1,1,0]
	v_mul_i32_i24_e32 v150, v166, v188
	v_bfe_i32 v160, v3, 0, 8
	v_or_b32_e32 v128, v128, v129
	v_bfe_i32 v129, v144, 8, 8
	v_bfe_i32 v131, v169, 0, 16
	v_perm_b32 v152, v220, v220, 0xc0c0c01
	v_perm_b32 v2, v2, v2, 0xc030201
	v_lshrrev_b16 v167, 8, v3
	v_bfe_i32 v159, v3, 16, 8
	v_bfe_i32 v161, v222, 0, 8
	;; [unrolled: 1-line block ×7, first 2 shown]
	v_mad_i32_i24 v133, v193, v170, v198
	v_mul_i32_i24_e32 v204, v204, v199
	v_mul_i32_i24_e32 v139, v232, v139
	;; [unrolled: 1-line block ×3, first 2 shown]
	v_add3_u32 v162, v162, v163, v173
	v_mul_i32_i24_e32 v143, v171, v143
	v_mul_lo_u32 v4, v4, v226
	v_mad_i32_i24 v6, v202, v189, v6
	v_dot4_i32_iu8 v0, v1, v151, v0 neg_lo:[1,1,0]
	v_mul_i32_i24_e32 v130, v200, v130
	v_mul_i32_i24_e32 v129, v200, v129
	v_perm_b32 v151, v219, v218, 0xc05000c
	v_mad_i32_i24 v1, v202, v195, v190
	v_add3_u32 v139, v162, v139, v143
	v_add3_u32 v6, v6, v150, v132
	;; [unrolled: 1-line block ×3, first 2 shown]
	v_mul_i32_i24_e32 v130, v160, v148
	v_or_b32_e32 v151, v151, v152
	v_bfe_i32 v152, v255, 0, 16
	v_bfe_i32 v131, v174, 0, 8
	v_mad_i32_i24 v132, v194, v168, v197
	v_dot4_i32_iu8 v128, v187, v128, v139 neg_lo:[1,1,0]
	v_add3_u32 v6, v6, v129, v130
	v_perm_b32 v129, v137, v136, 0xc0c0500
	v_perm_b32 v130, v135, v134, 0x5000c0c
	v_dot4_i32_iu8 v1, v2, v151, v1 neg_lo:[1,1,0]
	s_set_vgpr_msb 1                        ;  msbs: dst=0 src0=1 src1=0 src2=0
	v_bfe_i32 v2, v1 /*v257*/, 0, 16
	v_bfe_i32 v151, v0 /*v256*/, 0, 8
	s_set_vgpr_msb 0                        ;  msbs: dst=0 src0=0 src1=0 src2=0
	v_mul_i32_i24_e32 v152, v152, v166
	v_mul_i32_i24_e32 v131, v131, v160
	v_mad_i32_i24 v134, v191, v186, v204
	v_or_b32_e32 v129, v130, v129
	v_perm_b32 v130, v147, v147, 0xc0c0c01
	v_mul_i32_i24_e32 v2, v2, v200
	v_mul_i32_i24_e32 v151, v151, v203
	v_add3_u32 v135, v196, v165, v152
	v_add3_u32 v131, v134, v153, v131
	v_dot4_i32_iu8 v129, v3, v129, v0 neg_lo:[1,1,0]
	v_perm_b32 v0, v146, v145, 0xc05000c
	v_perm_b32 v3, v3, v3, 0xc030201
	s_delay_alu instid0(VALU_DEP_2) | instskip(SKIP_1) | instid1(VALU_DEP_2)
	v_or_b32_e32 v0, v0, v130
	v_perm_b32 v130, v156, v156, 0xc0c0c01
	v_dot4_i32_iu8 v6, v3, v0, v6 neg_lo:[1,1,0]
	v_mad_i32_i24 v0, v160, v161, v1
	v_perm_b32 v1, v155, v154, 0xc05000c
	s_delay_alu instid0(VALU_DEP_1) | instskip(NEXT) | instid1(VALU_DEP_1)
	v_or_b32_e32 v1, v1, v130
	v_dot4_i32_iu8 v130, v3, v1, v0 neg_lo:[1,1,0]
	v_bfe_i32 v0, v177, 0, 16
	v_bfe_i32 v1, v176, 0, 8
	;; [unrolled: 1-line block ×3, first 2 shown]
	s_delay_alu instid0(VALU_DEP_3) | instskip(NEXT) | instid1(VALU_DEP_3)
	v_mul_i32_i24_e32 v0, v0, v157
	v_mul_i32_i24_e32 v1, v1, v159
	s_delay_alu instid0(VALU_DEP_3) | instskip(NEXT) | instid1(VALU_DEP_3)
	v_mul_i32_i24_e32 v3, v3, v158
	v_add3_u32 v0, v132, v2, v0
	s_delay_alu instid0(VALU_DEP_3) | instskip(NEXT) | instid1(VALU_DEP_2)
	v_add3_u32 v1, v133, v151, v1
	v_add3_u32 v0, v135, v3, v0
	v_pk_mul_f32 v[2:3], v[88:89], v[92:93] op_sel_hi:[0,1]
	s_delay_alu instid0(VALU_DEP_2)
	v_add3_u32 v131, v131, v1, v0
	ds_load_u16 v0, v172 offset:28402
	s_wait_dscnt 0x2
	v_lshrrev_b16 v166, 8, v138
	s_wait_dscnt 0x1
	v_lshrrev_b16 v167, 8, v149
	v_bfe_i32 v149, v149, 0, 8
	v_bfe_i32 v138, v138, 0, 8
	;; [unrolled: 1-line block ×3, first 2 shown]
	s_delay_alu instid0(VALU_DEP_4) | instskip(NEXT) | instid1(VALU_DEP_4)
	v_bfe_i32 v167, v167, 0, 8
	v_mul_lo_u32 v128, v128, v149
	s_delay_alu instid0(VALU_DEP_4) | instskip(NEXT) | instid1(VALU_DEP_2)
	v_mul_lo_u32 v7, v7, v138
	v_mad_u32 v6, v6, v167, v128
	s_delay_alu instid0(VALU_DEP_2) | instskip(SKIP_3) | instid1(VALU_DEP_2)
	v_mad_u32 v7, v129, v166, v7
	s_wait_dscnt 0x0
	v_lshrrev_b16 v1, 8, v0
	v_bfe_i32 v0, v0, 0, 8
	v_bfe_i32 v132, v1, 0, 8
	s_delay_alu instid0(VALU_DEP_2)
	v_mul_lo_u32 v5, v5, v0
	v_pk_mul_f32 v[0:1], v[88:89], v[90:91] op_sel_hi:[0,1]
	v_mad_u32 v88, v130, v95, v4
	v_add_nc_u32_e32 v89, 32, v89
	v_cvt_f32_i32_e32 v4, v7
	v_mad_u32 v90, v131, v132, v5
	v_cvt_f32_i32_e32 v5, v6
	v_cvt_f32_i32_e32 v6, v88
	s_delay_alu instid0(VALU_DEP_2) | instskip(NEXT) | instid1(VALU_DEP_4)
	v_pk_fma_f32 v[20:21], v[0:1], v[4:5], v[20:21]
	v_cvt_f32_i32_e32 v7, v90
	s_delay_alu instid0(VALU_DEP_1)
	v_pk_fma_f32 v[18:19], v[2:3], v[6:7], v[18:19]
	s_cbranch_scc1 .LBB190_35
; %bb.36:                               ;   in Loop: Header=BB190_5 Depth=1
	s_barrier_signal -1
	s_barrier_wait -1
	s_branch .LBB190_4
.LBB190_37:
	v_mov_b32_e32 v20, 0
	s_delay_alu instid0(VALU_DEP_1)
	v_dual_mov_b32 v21, v20 :: v_dual_mov_b32 v18, v20
	v_mov_b32_e32 v19, v20
.LBB190_38:
	s_mul_i32 s0, s10, s7
	s_wait_loadcnt 0x0
	v_cmp_gt_i32_e32 vcc_lo, s0, v9
	s_and_saveexec_b32 s0, vcc_lo
	s_cbranch_execz .LBB190_47
; %bb.39:
	v_mul_lo_u32 v0, v9, s9
	v_add_nc_u32_e32 v1, s11, v13
	s_mov_b32 s0, exec_lo
	s_delay_alu instid0(VALU_DEP_1)
	v_cmpx_gt_u32_e64 s9, v1
	s_cbranch_execz .LBB190_41
; %bb.40:
	s_delay_alu instid0(VALU_DEP_3)
	v_add_nc_u32_e32 v2, v0, v1
	global_store_b32 v2, v20, s[12:13] scale_offset
.LBB190_41:
	s_wait_xcnt 0x0
	s_or_b32 exec_lo, exec_lo, s0
	v_add_nc_u32_e32 v2, 32, v1
	s_mov_b32 s0, exec_lo
	s_delay_alu instid0(VALU_DEP_1)
	v_cmpx_gt_u32_e64 s9, v2
	s_cbranch_execz .LBB190_43
; %bb.42:
	v_add_nc_u32_e32 v2, v0, v2
	global_store_b32 v2, v21, s[12:13] scale_offset
.LBB190_43:
	s_wait_xcnt 0x0
	s_or_b32 exec_lo, exec_lo, s0
	v_add_nc_u32_e32 v2, 64, v1
	s_mov_b32 s0, exec_lo
	s_delay_alu instid0(VALU_DEP_1)
	v_cmpx_gt_u32_e64 s9, v2
	s_cbranch_execz .LBB190_45
; %bb.44:
	v_add_nc_u32_e32 v2, v0, v2
	global_store_b32 v2, v18, s[12:13] scale_offset
.LBB190_45:
	s_wait_xcnt 0x0
	s_or_b32 exec_lo, exec_lo, s0
	v_add_nc_u32_e32 v1, 0x60, v1
	s_delay_alu instid0(VALU_DEP_1)
	v_cmp_gt_u32_e32 vcc_lo, s9, v1
	s_and_b32 exec_lo, exec_lo, vcc_lo
	s_cbranch_execz .LBB190_47
; %bb.46:
	v_add_nc_u32_e32 v0, v0, v1
	global_store_b32 v0, v19, s[12:13] scale_offset
.LBB190_47:
	s_sendmsg sendmsg(MSG_DEALLOC_VGPRS)
	s_endpgm
	.section	.rodata,"a",@progbits
	.p2align	6, 0x0
	.amdhsa_kernel _ZL8moe_q3_KIfLb1EEvPKvS1_PT_PKiS5_S5_iiiiiii
		.amdhsa_group_segment_fixed_size 31776
		.amdhsa_private_segment_fixed_size 0
		.amdhsa_kernarg_size 76
		.amdhsa_user_sgpr_count 2
		.amdhsa_user_sgpr_dispatch_ptr 0
		.amdhsa_user_sgpr_queue_ptr 0
		.amdhsa_user_sgpr_kernarg_segment_ptr 1
		.amdhsa_user_sgpr_dispatch_id 0
		.amdhsa_user_sgpr_kernarg_preload_length 0
		.amdhsa_user_sgpr_kernarg_preload_offset 0
		.amdhsa_user_sgpr_private_segment_size 0
		.amdhsa_wavefront_size32 1
		.amdhsa_uses_dynamic_stack 0
		.amdhsa_enable_private_segment 0
		.amdhsa_system_sgpr_workgroup_id_x 1
		.amdhsa_system_sgpr_workgroup_id_y 1
		.amdhsa_system_sgpr_workgroup_id_z 0
		.amdhsa_system_sgpr_workgroup_info 0
		.amdhsa_system_vgpr_workitem_id 1
		.amdhsa_next_free_vgpr 326
		.amdhsa_next_free_sgpr 27
		.amdhsa_named_barrier_count 0
		.amdhsa_reserve_vcc 1
		.amdhsa_float_round_mode_32 0
		.amdhsa_float_round_mode_16_64 0
		.amdhsa_float_denorm_mode_32 3
		.amdhsa_float_denorm_mode_16_64 3
		.amdhsa_fp16_overflow 0
		.amdhsa_memory_ordered 1
		.amdhsa_forward_progress 1
		.amdhsa_inst_pref_size 255
		.amdhsa_round_robin_scheduling 0
		.amdhsa_exception_fp_ieee_invalid_op 0
		.amdhsa_exception_fp_denorm_src 0
		.amdhsa_exception_fp_ieee_div_zero 0
		.amdhsa_exception_fp_ieee_overflow 0
		.amdhsa_exception_fp_ieee_underflow 0
		.amdhsa_exception_fp_ieee_inexact 0
		.amdhsa_exception_int_div_zero 0
	.end_amdhsa_kernel
	.section	.text._ZL8moe_q3_KIfLb1EEvPKvS1_PT_PKiS5_S5_iiiiiii,"axG",@progbits,_ZL8moe_q3_KIfLb1EEvPKvS1_PT_PKiS5_S5_iiiiiii,comdat
.Lfunc_end190:
	.size	_ZL8moe_q3_KIfLb1EEvPKvS1_PT_PKiS5_S5_iiiiiii, .Lfunc_end190-_ZL8moe_q3_KIfLb1EEvPKvS1_PT_PKiS5_S5_iiiiiii
                                        ; -- End function
	.set _ZL8moe_q3_KIfLb1EEvPKvS1_PT_PKiS5_S5_iiiiiii.num_vgpr, 326
	.set _ZL8moe_q3_KIfLb1EEvPKvS1_PT_PKiS5_S5_iiiiiii.num_agpr, 0
	.set _ZL8moe_q3_KIfLb1EEvPKvS1_PT_PKiS5_S5_iiiiiii.numbered_sgpr, 27
	.set _ZL8moe_q3_KIfLb1EEvPKvS1_PT_PKiS5_S5_iiiiiii.num_named_barrier, 0
	.set _ZL8moe_q3_KIfLb1EEvPKvS1_PT_PKiS5_S5_iiiiiii.private_seg_size, 0
	.set _ZL8moe_q3_KIfLb1EEvPKvS1_PT_PKiS5_S5_iiiiiii.uses_vcc, 1
	.set _ZL8moe_q3_KIfLb1EEvPKvS1_PT_PKiS5_S5_iiiiiii.uses_flat_scratch, 0
	.set _ZL8moe_q3_KIfLb1EEvPKvS1_PT_PKiS5_S5_iiiiiii.has_dyn_sized_stack, 0
	.set _ZL8moe_q3_KIfLb1EEvPKvS1_PT_PKiS5_S5_iiiiiii.has_recursion, 0
	.set _ZL8moe_q3_KIfLb1EEvPKvS1_PT_PKiS5_S5_iiiiiii.has_indirect_call, 0
	.section	.AMDGPU.csdata,"",@progbits
; Kernel info:
; codeLenInByte = 37708
; TotalNumSgprs: 29
; NumVgprs: 326
; ScratchSize: 0
; MemoryBound: 0
; FloatMode: 240
; IeeeMode: 1
; LDSByteSize: 31776 bytes/workgroup (compile time only)
; SGPRBlocks: 0
; VGPRBlocks: 20
; NumSGPRsForWavesPerEU: 29
; NumVGPRsForWavesPerEU: 326
; NamedBarCnt: 0
; Occupancy: 3
; WaveLimiterHint : 1
; COMPUTE_PGM_RSRC2:SCRATCH_EN: 0
; COMPUTE_PGM_RSRC2:USER_SGPR: 2
; COMPUTE_PGM_RSRC2:TRAP_HANDLER: 0
; COMPUTE_PGM_RSRC2:TGID_X_EN: 1
; COMPUTE_PGM_RSRC2:TGID_Y_EN: 1
; COMPUTE_PGM_RSRC2:TGID_Z_EN: 0
; COMPUTE_PGM_RSRC2:TIDIG_COMP_CNT: 1
	.section	.text._ZL8moe_q4_KIfLb0EEvPKvS1_PT_PKiS5_S5_iiiiiii,"axG",@progbits,_ZL8moe_q4_KIfLb0EEvPKvS1_PT_PKiS5_S5_iiiiiii,comdat
	.globl	_ZL8moe_q4_KIfLb0EEvPKvS1_PT_PKiS5_S5_iiiiiii ; -- Begin function _ZL8moe_q4_KIfLb0EEvPKvS1_PT_PKiS5_S5_iiiiiii
	.p2align	8
	.type	_ZL8moe_q4_KIfLb0EEvPKvS1_PT_PKiS5_S5_iiiiiii,@function
_ZL8moe_q4_KIfLb0EEvPKvS1_PT_PKiS5_S5_iiiiiii: ; @_ZL8moe_q4_KIfLb0EEvPKvS1_PT_PKiS5_S5_iiiiiii
; %bb.0:
	s_load_b128 s[4:7], s[0:1], 0x18
	s_bfe_u32 s2, ttmp6, 0x40010
	s_bfe_u32 s8, ttmp6, 0x40004
	s_add_co_i32 s2, s2, 1
	s_delay_alu instid0(SALU_CYCLE_1)
	s_mul_i32 s3, ttmp7, s2
	s_getreg_b32 s2, hwreg(HW_REG_IB_STS2, 6, 4)
	s_add_co_i32 s8, s8, s3
	s_cmp_eq_u32 s2, 0
	s_cselect_b32 s3, ttmp7, s8
	s_wait_kmcnt 0x0
	s_load_b32 s12, s[6:7], s3 offset:0x0 scale_offset
	s_wait_kmcnt 0x0
	s_cmp_gt_u32 s12, 0xff
	s_cbranch_scc1 .LBB191_31
; %bb.1:
	s_load_b64 s[6:7], s[0:1], 0x28
	s_lshl_b32 s3, s3, 3
	s_wait_kmcnt 0x0
	s_load_b32 s6, s[6:7], 0x0
	s_wait_kmcnt 0x0
	s_cmp_gt_u32 s3, s6
	s_cbranch_scc1 .LBB191_31
; %bb.2:
	v_bfe_u32 v1, v0, 10, 10
	s_and_b32 s13, ttmp6, 15
	v_and_b32_e32 v17, 0x3ff, v0
	s_delay_alu instid0(VALU_DEP_2) | instskip(SKIP_1) | instid1(SALU_CYCLE_1)
	v_add_nc_u32_e32 v2, s3, v1
	s_bfe_u32 s3, ttmp6, 0x4000c
	s_add_co_i32 s3, s3, 1
	s_delay_alu instid0(SALU_CYCLE_1)
	s_mul_i32 s3, ttmp9, s3
	global_load_b32 v13, v2, s[4:5] scale_offset
	s_clause 0x2
	s_load_b64 s[10:11], s[0:1], 0x30
	s_load_b64 s[8:9], s[0:1], 0x10
	s_load_b128 s[4:7], s[0:1], 0x3c
	s_add_co_i32 s13, s13, s3
	s_cmp_eq_u32 s2, 0
	s_cselect_b32 s2, ttmp9, s13
	s_mov_b32 s13, 0
	s_lshl_b32 s18, s2, 7
	s_wait_kmcnt 0x0
	s_cmp_lt_i32 s11, 0x100
	s_cbranch_scc1 .LBB191_21
; %bb.3:
	s_load_b128 s[0:3], s[0:1], 0x0
	s_mul_i32 s16, s12, s10
	v_lshlrev_b32_e32 v33, 5, v1
	s_ashr_i32 s17, s16, 31
	v_dual_mov_b32 v15, 0 :: v_dual_lshlrev_b32 v3, 2, v17
	v_bfe_u32 v7, v0, 2, 8
	s_delay_alu instid0(VALU_DEP_3)
	v_add_nc_u32_e32 v2, v33, v17
	s_ashr_i32 s14, s11, 31
	s_ashr_i32 s15, s5, 31
	s_lshr_b32 s10, s14, 24
	s_lshr_b32 s12, s15, 27
	v_lshrrev_b32_e32 v4, 3, v2
	v_and_b32_e32 v8, 0x7f, v2
	s_add_co_i32 s10, s11, s10
	v_lshl_add_u32 v89, v1, 7, 0x4a40
	s_add_co_i32 s12, s5, s12
	v_and_b32_e32 v2, 12, v4
	v_lshlrev_b32_e32 v4, 2, v8
	s_ashr_i32 s5, s10, 8
	s_wait_kmcnt 0x0
	s_add_nc_u64 s[16:17], s[0:1], s[16:17]
	s_abs_i32 s1, s7
	s_ashr_i32 s10, s12, 5
	s_cvt_f32_u32 s0, s1
	v_add3_u32 v59, v4, v2, 0x4e40
	v_lshlrev_b32_e32 v4, 3, v1
	s_sub_co_i32 s22, 0, s1
	v_rcp_iflag_f32_e32 v5, s0
	s_lshl_b32 s12, s5, 3
	v_bfe_u32 v12, v0, 5, 5
	v_add_nc_u32_e32 v10, v7, v4
	v_add_nc_u16 v4, v7, v4
	s_wait_loadcnt 0x0
	v_dual_sub_nc_u32 v6, 0, v13 :: v_dual_bitop2_b32 v7, 4, v3 bitop3:0x40
	v_readfirstlane_b32 s0, v5
	v_and_b32_e32 v5, 3, v0
	v_bitop3_b32 v58, v10, 64, 0x7f bitop3:0x6c
	v_and_b32_e32 v10, 0x7f, v10
	v_lshrrev_b16 v4, 1, v4
	s_mul_f32 s0, s0, 0x4f7ffffe
	v_add_nc_u32_e32 v2, 0xfe, v5
	v_cmp_gt_u32_e32 vcc_lo, 2, v5
	v_dual_lshlrev_b32 v20, 2, v5 :: v_dual_lshrrev_b32 v21, 1, v58
	s_cvt_u32_f32 s0, s0
	s_delay_alu instid0(VALU_DEP_3)
	v_and_b32_e32 v2, 0xff, v2
	v_max_i32_e32 v6, v13, v6
	v_mad_i32_i24 v18, s5, v1, s12
	s_mul_i32 s22, s22, s0
	v_mad_u32_u24 v19, 0x84, v1, v3
	s_mul_hi_u32 s22, s0, s22
	v_cndmask_b32_e32 v9, v2, v5, vcc_lo
	s_add_co_i32 s0, s0, s22
	v_cmp_ne_u32_e32 vcc_lo, 0, v5
	v_mul_hi_u32 v11, v6, s0
	s_delay_alu instid0(VALU_DEP_3)
	v_dual_lshlrev_b32 v63, 1, v9 :: v_dual_bitop2_b32 v23, 60, v4 bitop3:0x40
	v_mul_i32_i24_e32 v16, s5, v1
	v_add_co_ci_u32_e64 v2, null, 0, v9, vcc_lo
	v_cmp_lt_u32_e32 vcc_lo, 1, v5
	v_lshl_or_b32 v5, v10, 4, v20
	v_lshl_or_b32 v20, v58, 4, v20
	v_lshlrev_b32_e32 v1, 4, v1
	v_bfe_u32 v91, v0, 3, 7
	v_mul_lo_u32 v22, v11, s1
	v_and_b32_e32 v21, 60, v21
	v_add3_u32 v65, v5, v23, 0x4200
	v_cndmask_b32_e32 v61, 0, v7, vcc_lo
	v_cndmask_b32_e64 v4, 0, 1, vcc_lo
	v_add_nc_u32_e32 v7, 1, v11
	v_add_nc_u32_e32 v9, 0x5050, v3
	s_mul_i32 s14, s5, s18
	s_movk_i32 s19, 0x1080
	s_movk_i32 s20, 0x2100
	;; [unrolled: 1-line block ×3, first 2 shown]
	v_sub_nc_u32_e32 v5, v6, v22
	v_add3_u32 v88, v20, v21, 0x4200
	v_and_b32_e32 v20, 31, v0
	v_dual_lshlrev_b32 v0, 2, v12 :: v_dual_bitop2_b32 v6, 28, v3 bitop3:0x40
	s_delay_alu instid0(VALU_DEP_4) | instskip(SKIP_1) | instid1(VALU_DEP_4)
	v_subrev_nc_u32_e32 v21, s1, v5
	v_cmp_le_u32_e32 vcc_lo, s1, v5
	v_lshl_add_u32 v90, v20, 2, v89
	v_xor_b32_e32 v22, s7, v13
	v_add3_u32 v93, v0, v3, 0x4e40
	v_cmp_gt_u32_e64 s0, 4, v17
	v_dual_cndmask_b32 v11, v11, v7, vcc_lo :: v_dual_cndmask_b32 v5, v5, v21, vcc_lo
	v_mov_b32_e32 v7, v15
	s_ashr_i32 s15, s14, 31
	v_and_b32_e32 v14, 0x7c, v3
	s_delay_alu instid0(VALU_DEP_3)
	v_add_nc_u32_e32 v21, 1, v11
	v_cmp_le_u32_e32 vcc_lo, s1, v5
	v_ashrrev_i32_e32 v20, 31, v22
	v_add_nc_u32_e32 v24, s12, v18
	v_add_nc_u32_e32 v22, 0x60, v17
	v_add_nc_u64_e32 v[36:37], s[2:3], v[6:7]
	v_cndmask_b32_e32 v5, v11, v21, vcc_lo
	v_dual_add_nc_u32 v11, 32, v17 :: v_dual_add_nc_u32 v21, 64, v17
	s_delay_alu instid0(VALU_DEP_4) | instskip(NEXT) | instid1(VALU_DEP_2)
	v_dual_add_nc_u32 v26, s12, v24 :: v_dual_lshrrev_b32 v23, 3, v22
	v_dual_lshrrev_b32 v92, 3, v11 :: v_dual_bitop2_b32 v5, v5, v20 bitop3:0x14
	s_delay_alu instid0(VALU_DEP_2) | instskip(SKIP_1) | instid1(VALU_DEP_3)
	v_dual_lshlrev_b32 v11, 2, v11 :: v_dual_add_nc_u32 v28, s12, v26
	v_add_nc_u32_e32 v25, 0x420, v19
	v_dual_sub_nc_u32 v0, v5, v20 :: v_dual_lshrrev_b32 v5, 3, v21
	s_delay_alu instid0(VALU_DEP_4) | instskip(NEXT) | instid1(VALU_DEP_4)
	v_and_b32_e32 v20, 60, v92
	v_dual_add_nc_u32 v32, s12, v28 :: v_dual_lshlrev_b32 v50, 2, v21
	s_delay_alu instid0(VALU_DEP_3) | instskip(NEXT) | instid1(VALU_DEP_4)
	v_mul_lo_u32 v30, v0, s10
	v_and_b32_e32 v31, 60, v5
	s_delay_alu instid0(VALU_DEP_4)
	v_add3_u32 v94, v3, v20, 0x4e40
	v_and_b32_e32 v20, 60, v23
	v_cmp_gt_i32_e64 s1, s4, v0
	v_dual_lshlrev_b32 v102, 2, v11 :: v_dual_lshlrev_b32 v103, 2, v50
	v_add3_u32 v95, v3, v31, 0x4e40
	v_dual_mov_b32 v23, v15 :: v_dual_lshlrev_b32 v98, 2, v23
	v_dual_add_nc_u32 v34, s12, v32 :: v_dual_lshlrev_b32 v0, 2, v22
	v_dual_ashrrev_i32 v31, 31, v30 :: v_dual_lshlrev_b32 v99, 2, v5
	v_add_nc_u32_e32 v27, 0x840, v19
	s_delay_alu instid0(VALU_DEP_3)
	v_add_nc_u32_e32 v38, s12, v34
	v_add_nc_u32_e32 v29, 0xc60, v19
	v_add_nc_u32_e32 v100, v9, v1
	v_add_nc_u32_e32 v35, 0x1080, v19
	v_add_nc_u32_e32 v39, 0x14a0, v19
	v_add_nc_u32_e32 v40, s12, v38
	v_add_nc_u32_e32 v41, 0x18c0, v19
	v_mov_b32_e32 v21, v15
	v_add_nc_u32_e32 v43, 0x1ce0, v19
	v_add_nc_u32_e32 v49, 0x2100, v19
	;; [unrolled: 1-line block ×3, first 2 shown]
	v_lshlrev_b32_e32 v46, 2, v4
	v_add_nc_u32_e32 v51, 0x2520, v19
	v_add_nc_u32_e32 v53, 0x2940, v19
	;; [unrolled: 1-line block ×5, first 2 shown]
	v_lshlrev_b32_e32 v113, 4, v17
	v_add3_u32 v96, v3, v20, 0x4e40
	v_add_nc_u32_e32 v97, 0x5050, v1
	v_add_nc_u32_e32 v50, s12, v48
	v_dual_lshlrev_b32 v104, 2, v0 :: v_dual_mov_b32 v22, v15
	v_dual_mov_b32 v20, v15 :: v_dual_lshlrev_b32 v44, 2, v2
	s_delay_alu instid0(VALU_DEP_3) | instskip(SKIP_3) | instid1(VALU_DEP_4)
	v_dual_mov_b32 v45, v15 :: v_dual_add_nc_u32 v52, s12, v50
	v_dual_mov_b32 v47, v15 :: v_dual_lshlrev_b32 v116, 2, v91
	v_lshlrev_b32_e32 v101, 2, v3
	v_add_nc_u32_e32 v105, 0x35a0, v19
	v_add_nc_u32_e32 v60, s12, v52
	;; [unrolled: 1-line block ×4, first 2 shown]
	v_mul_i32_i24_e32 v54, s5, v8
	v_mul_i32_i24_e32 v56, s5, v10
	v_add_nc_u32_e32 v62, s12, v60
	v_mul_i32_i24_e32 v58, s5, v58
	v_mul_u32_u24_e32 v108, 0x84, v17
	v_mad_u32_u24 v109, 0x84, v17, s19
	v_mad_u32_u24 v110, 0x84, v17, s20
	;; [unrolled: 1-line block ×4, first 2 shown]
	v_dual_lshlrev_b32 v114, 2, v92 :: v_dual_add_nc_u32 v64, s12, v62
	v_lshl_or_b32 v115, v91, 2, 0x4200
	s_mul_u64 s[14:15], s[14:15], 0x90
	s_and_b32 s19, s0, s1
	s_add_nc_u64 s[14:15], s[16:17], s[14:15]
	s_mov_b32 s12, s13
	s_branch .LBB191_5
.LBB191_4:                              ;   in Loop: Header=BB191_5 Depth=1
	s_add_co_i32 s12, s12, 1
	s_delay_alu instid0(SALU_CYCLE_1)
	s_cmp_eq_u32 s12, s5
	s_cbranch_scc1 .LBB191_22
.LBB191_5:                              ; =>This Loop Header: Depth=1
                                        ;     Child Loop BB191_11 Depth 2
                                        ;     Child Loop BB191_19 Depth 2
	s_mul_u64 s[16:17], s[12:13], 0x90
	s_delay_alu instid0(SALU_CYCLE_1) | instskip(NEXT) | instid1(SALU_CYCLE_1)
	s_add_nc_u64 s[16:17], s[14:15], s[16:17]
	v_mad_nc_u64_u32 v[0:1], 0x90, v12, s[16:17]
	v_mad_nc_u64_u32 v[2:3], 0x90, v56, s[16:17]
	;; [unrolled: 1-line block ×3, first 2 shown]
	s_delay_alu instid0(VALU_DEP_3)
	v_mad_nc_u64_u32 v[6:7], 0x90, v16, v[0:1]
	v_mad_nc_u64_u32 v[8:9], 0x90, v18, v[0:1]
	;; [unrolled: 1-line block ×4, first 2 shown]
	s_wait_xcnt 0x0
	v_mad_nc_u64_u32 v[68:69], 0x90, v28, v[0:1]
	v_add_nc_u64_e32 v[82:83], v[2:3], v[44:45]
	v_mad_nc_u64_u32 v[70:71], 0x90, v32, v[0:1]
	v_add_nc_u64_e32 v[84:85], v[4:5], v[44:45]
	v_mad_nc_u64_u32 v[72:73], 0x90, v34, v[0:1]
	v_mad_nc_u64_u32 v[76:77], 0x90, v40, v[0:1]
	v_add_nc_u64_e32 v[4:5], v[4:5], v[46:47]
	v_mad_nc_u64_u32 v[74:75], 0x90, v38, v[0:1]
	v_mad_nc_u64_u32 v[78:79], 0x90, v42, v[0:1]
	v_add_nc_u64_e32 v[2:3], v[2:3], v[46:47]
	v_mad_nc_u64_u32 v[80:81], 0x90, v48, v[0:1]
	v_mad_nc_u64_u32 v[86:87], 0x90, v50, v[0:1]
	v_mad_nc_u64_u32 v[118:119], 0x90, v52, v[0:1]
	v_add_nc_u64_e32 v[6:7], v[6:7], v[14:15]
	s_clause 0x3
	global_load_b32 v117, v[82:83], off offset:4
	global_load_b32 v120, v[84:85], off offset:4
	global_load_b32 v121, v[4:5], off offset:4
	global_load_b32 v122, v[2:3], off offset:4
	s_wait_xcnt 0x0
	v_mad_nc_u64_u32 v[2:3], 0x90, v60, v[0:1]
	v_add_nc_u64_e32 v[8:9], v[8:9], v[14:15]
	v_mad_nc_u64_u32 v[4:5], 0x90, v62, v[0:1]
	v_add_nc_u64_e32 v[10:11], v[10:11], v[14:15]
	;; [unrolled: 2-line block ×3, first 2 shown]
	v_add_nc_u64_e32 v[68:69], v[68:69], v[14:15]
	v_add_nc_u64_e32 v[70:71], v[70:71], v[14:15]
	;; [unrolled: 1-line block ×5, first 2 shown]
	s_clause 0x7
	global_load_b32 v82, v[6:7], off offset:16
	global_load_b32 v83, v[8:9], off offset:16
	;; [unrolled: 1-line block ×8, first 2 shown]
	s_wait_xcnt 0x7
	v_add_nc_u64_e32 v[6:7], v[78:79], v[14:15]
	s_wait_xcnt 0x6
	v_add_nc_u64_e32 v[8:9], v[80:81], v[14:15]
	s_wait_xcnt 0x5
	v_add_nc_u64_e32 v[10:11], v[86:87], v[14:15]
	s_wait_xcnt 0x4
	v_add_nc_u64_e32 v[66:67], v[118:119], v[14:15]
	s_wait_xcnt 0x3
	v_mad_nc_u64_u32 v[68:69], 0x90, v54, s[16:17]
	v_add_nc_u64_e32 v[2:3], v[2:3], v[14:15]
	v_add_nc_u64_e32 v[4:5], v[4:5], v[14:15]
	;; [unrolled: 1-line block ×3, first 2 shown]
	s_clause 0x8
	global_load_b32 v70, v[76:77], off offset:16
	global_load_b32 v71, v[6:7], off offset:16
	;; [unrolled: 1-line block ×8, first 2 shown]
	global_load_b32 v80, v[68:69], off
	s_lshl_b32 s16, s12, 8
	s_delay_alu instid0(SALU_CYCLE_1)
	s_cmp_lt_i32 s16, s11
	s_wait_loadcnt 0x13
	s_wait_xcnt 0x1
	v_dual_ashrrev_i32 v0, v61, v117 :: v_dual_ashrrev_i32 v1, v61, v120
	s_wait_loadcnt 0x11
	v_dual_ashrrev_i32 v3, v63, v121 :: v_dual_ashrrev_i32 v2, v63, v122
	s_delay_alu instid0(VALU_DEP_2) | instskip(NEXT) | instid1(VALU_DEP_3)
	v_and_b32_e32 v0, 0xf0f0f0f, v0
	v_and_b32_e32 v1, 0xf0f0f0f, v1
	s_delay_alu instid0(VALU_DEP_2) | instskip(NEXT) | instid1(VALU_DEP_2)
	v_and_or_b32 v0, 0x30303030, v2, v0
	v_and_or_b32 v1, 0x30303030, v3, v1
	s_wait_loadcnt 0x10
	ds_store_b32 v19, v82
	s_wait_loadcnt 0xf
	ds_store_b32 v25, v83
	;; [unrolled: 2-line block ×17, first 2 shown]
	ds_store_b32 v65, v0
	ds_store_b32 v88, v1
	s_cbranch_scc0 .LBB191_4
; %bb.6:                                ;   in Loop: Header=BB191_5 Depth=1
	s_lshl_b32 s17, s12, 3
	s_delay_alu instid0(SALU_CYCLE_1) | instskip(NEXT) | instid1(VALU_DEP_1)
	v_add_nc_u32_e32 v0, s17, v91
	v_cmp_gt_i32_e32 vcc_lo, s10, v0
	s_and_b32 s21, s1, vcc_lo
	s_wait_xcnt 0x0
	s_and_saveexec_b32 s20, s21
	s_cbranch_execz .LBB191_8
; %bb.7:                                ;   in Loop: Header=BB191_5 Depth=1
	v_add_nc_u32_e32 v0, v30, v0
	s_delay_alu instid0(VALU_DEP_1)
	v_mad_nc_i64_i32 v[0:1], v0, 36, v[36:37]
	global_load_b32 v0, v[0:1], off offset:4
	s_wait_loadcnt 0x0
	ds_store_b32 v90, v0
.LBB191_8:                              ;   in Loop: Header=BB191_5 Depth=1
	s_or_b32 exec_lo, exec_lo, s20
	v_add_nc_u32_e32 v0, s17, v17
	s_delay_alu instid0(VALU_DEP_1) | instskip(SKIP_1) | instid1(SALU_CYCLE_1)
	v_cmp_gt_i32_e32 vcc_lo, s10, v0
	s_and_b32 s21, s19, vcc_lo
	s_and_saveexec_b32 s20, s21
	s_cbranch_execz .LBB191_10
; %bb.9:                                ;   in Loop: Header=BB191_5 Depth=1
	v_add_nc_u32_e32 v1, v30, v0
	s_delay_alu instid0(VALU_DEP_1)
	v_mad_nc_i64_i32 v[2:3], v1, 36, s[2:3]
	global_load_b32 v1, v[2:3], off
	s_wait_loadcnt 0x0
	ds_store_b32 v100, v1
.LBB191_10:                             ;   in Loop: Header=BB191_5 Depth=1
	s_or_b32 exec_lo, exec_lo, s20
	s_wait_dscnt 0x0
	s_barrier_signal -1
	s_barrier_wait -1
	ds_load_b32 v1, v94 offset:128
	ds_load_b32 v2, v93
	ds_load_b32 v4, v95 offset:256
	ds_load_b32 v6, v96 offset:384
	s_mov_b32 s21, 0
	s_mov_b32 s20, -1
	s_wait_dscnt 0x2
	v_dual_lshrrev_b32 v5, 16, v1 :: v_dual_lshrrev_b32 v7, 16, v2
	s_wait_dscnt 0x0
	v_dual_lshrrev_b32 v8, 16, v4 :: v_dual_lshrrev_b32 v9, 16, v6
	v_cvt_f32_f16_e32 v3, v1
	v_cvt_f32_f16_e32 v2, v2
	;; [unrolled: 1-line block ×8, first 2 shown]
.LBB191_11:                             ;   Parent Loop BB191_5 Depth=1
                                        ; =>  This Inner Loop Header: Depth=2
	s_lshr_b32 s23, s21, 2
	v_lshl_or_b32 v8, s21, 1, v33
	s_lshl_b32 s22, s21, 2
	s_add_co_i32 s21, s23, 0x4200
	v_dual_add_nc_u32 v80, s22, v108 :: v_dual_add_nc_u32 v141, s22, v109
	v_add3_u32 v81, s21, v114, v102
	v_dual_lshlrev_b32 v9, 2, v8 :: v_dual_lshrrev_b32 v8, 1, v8
	v_add3_u32 v10, s21, v116, v101
	ds_load_2addr_b32 v[72:73], v141 offset0:2 offset1:3
	ds_load_2addr_b32 v[70:71], v141 offset0:4 offset1:5
	ds_load_u16 v11, v81 offset:8
	ds_load_b128 v[66:69], v9 offset:19008
	ds_load_b128 v[74:77], v9 offset:19024
	;; [unrolled: 1-line block ×4, first 2 shown]
	ds_load_b64 v[8:9], v8 offset:20560
	ds_load_u16 v83, v10
	ds_load_u16 v10, v10 offset:8
	v_add3_u32 v186, s21, v98, v104
	v_add3_u32 v189, s21, v99, v103
	s_mov_b32 s21, 8
	s_and_b32 vcc_lo, exec_lo, s20
	s_mov_b32 s20, 0
	v_dual_add_nc_u32 v185, s22, v111 :: v_dual_add_nc_u32 v188, s22, v110
	s_wait_dscnt 0x7
	v_cvt_f32_ubyte0_e32 v79, v11
	v_cvt_f32_ubyte1_e32 v173, v11
	s_wait_dscnt 0x5
	v_lshrrev_b16 v162, 8, v74
	v_lshrrev_b16 v154, 8, v75
	v_dual_ashrrev_i32 v129, 24, v74 :: v_dual_ashrrev_i32 v117, 24, v75
	v_bfe_i32 v130, v74, 16, 8
	v_bfe_i32 v133, v74, 0, 8
	;; [unrolled: 1-line block ×4, first 2 shown]
	ds_load_2addr_b32 v[74:75], v80 offset1:1
	s_wait_dscnt 0x3
	v_lshrrev_b32_e32 v11, 16, v8
	v_lshrrev_b16 v167, 8, v67
	v_lshrrev_b16 v168, 8, v68
	v_dual_ashrrev_i32 v175, 24, v66 :: v_dual_ashrrev_i32 v159, 24, v67
	v_bfe_i32 v160, v67, 16, 8
	v_bfe_i32 v164, v67, 0, 8
	v_dual_ashrrev_i32 v142, 24, v68 :: v_dual_ashrrev_i32 v135, 24, v69
	v_bfe_i32 v143, v68, 16, 8
	v_bfe_i32 v149, v68, 0, 8
	v_lshrrev_b32_e32 v68, 16, v9
	v_cvt_f32_f16_e32 v67, v11
	v_lshrrev_b16 v177, 8, v120
	v_dual_ashrrev_i32 v169, 24, v120 :: v_dual_ashrrev_i32 v153, 24, v121
	v_bfe_i32 v171, v120, 16, 8
	v_bfe_i32 v174, v120, 0, 8
	v_ashrrev_i32_e32 v120, 24, v180
	s_wait_dscnt 0x1
	v_cvt_f32_ubyte0_e32 v78, v10
	v_cvt_f32_ubyte1_e32 v172, v10
	v_cvt_f32_f16_e32 v11, v68
	v_mov_b32_e32 v10, v67
	v_lshrrev_b16 v147, 8, v66
	v_lshrrev_b16 v161, 8, v69
	v_bfe_i32 v184, v66, 0, 8
	v_bfe_i32 v137, v69, 16, 8
	;; [unrolled: 1-line block ×3, first 2 shown]
	v_lshrrev_b16 v155, 8, v76
	v_dual_ashrrev_i32 v86, 24, v76 :: v_dual_ashrrev_i32 v84, 24, v77
	v_bfe_i32 v87, v76, 16, 8
	v_bfe_i32 v118, v76, 0, 8
	v_pk_fma_f32 v[68:69], v[10:11], v[78:79], 0 op_sel_hi:[0,1,0]
	s_wait_dscnt 0x0
	v_dual_mov_b32 v10, v11 :: v_dual_bitop2_b32 v76, 15, v74 bitop3:0x40
	v_bfe_i32 v176, v66, 16, 8
	v_lshrrev_b16 v148, 8, v77
	v_bfe_i32 v85, v77, 16, 8
	v_bfe_i32 v66, v77, 0, 8
	v_lshrrev_b16 v166, 8, v121
	v_bfe_i32 v158, v121, 16, 8
	v_bfe_i32 v165, v121, 0, 8
	v_ashrrev_i32_e32 v121, 24, v181
	v_pk_fma_f32 v[68:69], v[10:11], v[172:173], v[68:69] op_sel_hi:[0,1,1]
	v_bfe_i32 v173, v147, 0, 8
	v_mul_i32_i24_e32 v76, v184, v76
	v_bfe_u32 v77, v74, 8, 4
	v_bfe_u32 v78, v74, 24, 4
	v_lshrrev_b16 v163, 8, v122
	v_lshrrev_b16 v156, 8, v123
	v_dual_ashrrev_i32 v144, 24, v122 :: v_dual_ashrrev_i32 v136, 24, v123
	v_mad_i32_i24 v76, v173, v77, v76
	v_bfe_u32 v77, v74, 16, 4
	v_mul_i32_i24_e32 v78, v175, v78
	v_bfe_i32 v145, v122, 16, 8
	v_bfe_i32 v152, v122, 0, 8
	;; [unrolled: 1-line block ×3, first 2 shown]
	v_mul_i32_i24_e32 v77, v176, v77
	v_bfe_i32 v140, v123, 0, 8
	v_lshrrev_b16 v157, 8, v178
	v_lshrrev_b16 v150, 8, v179
	;; [unrolled: 1-line block ×3, first 2 shown]
	v_add3_u32 v170, v76, v77, v78
	ds_load_2addr_b32 v[76:77], v141 offset1:1
	v_lshrrev_b16 v146, 8, v181
	v_dual_ashrrev_i32 v131, 24, v178 :: v_dual_ashrrev_i32 v123, 24, v179
	v_bfe_i32 v132, v178, 16, 8
	v_bfe_i32 v134, v178, 0, 8
	;; [unrolled: 1-line block ×16, first 2 shown]
	s_wait_dscnt 0x0
	v_and_b32_e32 v78, 15, v76
	v_bfe_u32 v79, v76, 8, 4
	v_bfe_u32 v147, v76, 24, 4
	v_bfe_i32 v148, v148, 0, 8
	v_pk_mul_f32 v[68:69], v[68:69], v[4:5]
	v_mul_i32_i24_e32 v78, v184, v78
	s_delay_alu instid0(VALU_DEP_4) | instskip(NEXT) | instid1(VALU_DEP_2)
	v_mul_i32_i24_e32 v147, v175, v147
	v_mad_i32_i24 v78, v173, v79, v78
	v_bfe_u32 v79, v76, 16, 4
	s_delay_alu instid0(VALU_DEP_1) | instskip(NEXT) | instid1(VALU_DEP_1)
	v_mul_i32_i24_e32 v79, v176, v79
	v_add3_u32 v172, v78, v79, v147
	ds_load_2addr_b32 v[178:179], v185 offset0:2 offset1:3
	ds_load_2addr_b32 v[78:79], v185 offset0:4 offset1:5
	ds_load_u16 v147, v186 offset:8
	ds_load_2addr_b32 v[180:181], v185 offset1:1
	s_wait_dscnt 0x0
	v_and_b32_e32 v182, 15, v181
	v_and_b32_e32 v183, 15, v180
	v_bfe_u32 v192, v180, 16, 4
	v_bfe_u32 v193, v180, 24, 4
	v_lshrrev_b32_e32 v194, 28, v180
	v_mul_i32_i24_e32 v182, v182, v164
	s_delay_alu instid0(VALU_DEP_1) | instskip(SKIP_4) | instid1(VALU_DEP_1)
	v_mad_i32_i24 v187, v183, v184, v182
	ds_load_u16 v190, v189 offset:8
	ds_load_2addr_b32 v[182:183], v188 offset1:1
	s_wait_dscnt 0x0
	v_and_b32_e32 v191, 15, v182
	v_mul_i32_i24_e32 v184, v184, v191
	v_bfe_u32 v191, v181, 16, 4
	s_delay_alu instid0(VALU_DEP_1) | instskip(NEXT) | instid1(VALU_DEP_1)
	v_mul_i32_i24_e32 v191, v191, v160
	v_mad_i32_i24 v191, v192, v176, v191
	v_bfe_u32 v192, v182, 16, 4
	s_delay_alu instid0(VALU_DEP_1) | instskip(SKIP_1) | instid1(VALU_DEP_1)
	v_mul_i32_i24_e32 v176, v176, v192
	v_bfe_u32 v192, v181, 24, 4
	v_mul_i32_i24_e32 v192, v192, v159
	s_delay_alu instid0(VALU_DEP_1) | instskip(SKIP_1) | instid1(VALU_DEP_1)
	v_mad_i32_i24 v192, v193, v175, v192
	v_bfe_u32 v193, v182, 24, 4
	v_mul_i32_i24_e32 v175, v175, v193
	v_bfe_u32 v193, v182, 8, 4
	s_delay_alu instid0(VALU_DEP_1) | instskip(SKIP_2) | instid1(VALU_DEP_3)
	v_mad_i32_i24 v184, v173, v193, v184
	v_bfe_i32 v193, v177, 0, 8
	v_bfe_u32 v177, v180, 20, 4
	v_add3_u32 v184, v184, v176, v175
	v_bfe_u32 v175, v178, 16, 4
	v_bfe_u32 v176, v179, 16, 4
	s_delay_alu instid0(VALU_DEP_2) | instskip(NEXT) | instid1(VALU_DEP_2)
	v_mul_i32_i24_e32 v175, v175, v143
	v_mul_i32_i24_e32 v176, v176, v137
	s_delay_alu instid0(VALU_DEP_1) | instskip(SKIP_2) | instid1(VALU_DEP_2)
	v_add3_u32 v191, v191, v175, v176
	v_and_b32_e32 v175, 15, v178
	v_and_b32_e32 v176, 15, v179
	v_mul_i32_i24_e32 v175, v175, v149
	s_delay_alu instid0(VALU_DEP_2) | instskip(NEXT) | instid1(VALU_DEP_1)
	v_mul_i32_i24_e32 v176, v176, v139
	v_add3_u32 v187, v187, v175, v176
	v_bfe_u32 v175, v178, 24, 4
	v_bfe_u32 v176, v179, 24, 4
	s_delay_alu instid0(VALU_DEP_2) | instskip(NEXT) | instid1(VALU_DEP_2)
	v_mul_i32_i24_e32 v175, v175, v142
	v_mul_i32_i24_e32 v176, v176, v135
	s_delay_alu instid0(VALU_DEP_1) | instskip(SKIP_2) | instid1(VALU_DEP_2)
	v_add3_u32 v192, v192, v175, v176
	v_bfe_u32 v175, v74, 4, 4
	v_bfe_u32 v176, v74, 12, 4
	v_mul_i32_i24_e32 v175, v174, v175
	s_delay_alu instid0(VALU_DEP_1) | instskip(SKIP_2) | instid1(VALU_DEP_2)
	v_mad_i32_i24 v175, v193, v176, v175
	v_bfe_u32 v176, v74, 20, 4
	v_lshrrev_b32_e32 v74, 28, v74
	v_mul_i32_i24_e32 v176, v171, v176
	s_delay_alu instid0(VALU_DEP_2) | instskip(NEXT) | instid1(VALU_DEP_1)
	v_mul_i32_i24_e32 v74, v169, v74
	v_add3_u32 v74, v175, v176, v74
	v_bfe_u32 v175, v76, 4, 4
	v_bfe_u32 v176, v76, 12, 4
	s_delay_alu instid0(VALU_DEP_2) | instskip(NEXT) | instid1(VALU_DEP_1)
	v_mul_i32_i24_e32 v175, v174, v175
	v_mad_i32_i24 v175, v193, v176, v175
	v_bfe_u32 v176, v76, 20, 4
	v_lshrrev_b32_e32 v76, 28, v76
	s_delay_alu instid0(VALU_DEP_2) | instskip(NEXT) | instid1(VALU_DEP_2)
	v_mul_i32_i24_e32 v176, v171, v176
	v_mul_i32_i24_e32 v76, v169, v76
	s_delay_alu instid0(VALU_DEP_1) | instskip(SKIP_2) | instid1(VALU_DEP_2)
	v_add3_u32 v76, v175, v176, v76
	v_bfe_u32 v175, v181, 4, 4
	v_bfe_u32 v176, v180, 4, 4
	v_mul_i32_i24_e32 v175, v175, v165
	s_delay_alu instid0(VALU_DEP_1) | instskip(SKIP_1) | instid1(VALU_DEP_1)
	v_mad_i32_i24 v175, v176, v174, v175
	v_bfe_u32 v176, v182, 4, 4
	v_mul_i32_i24_e32 v174, v174, v176
	v_bfe_u32 v176, v181, 20, 4
	s_delay_alu instid0(VALU_DEP_1) | instskip(NEXT) | instid1(VALU_DEP_1)
	v_mul_i32_i24_e32 v176, v176, v158
	v_mad_i32_i24 v176, v177, v171, v176
	v_bfe_u32 v177, v182, 20, 4
	s_delay_alu instid0(VALU_DEP_1) | instskip(SKIP_1) | instid1(VALU_DEP_1)
	v_mul_i32_i24_e32 v171, v171, v177
	v_lshrrev_b32_e32 v177, 28, v181
	v_mul_i32_i24_e32 v177, v177, v153
	s_delay_alu instid0(VALU_DEP_1) | instskip(SKIP_2) | instid1(VALU_DEP_2)
	v_mad_i32_i24 v177, v194, v169, v177
	v_lshrrev_b32_e32 v194, 28, v182
	v_bfe_u32 v182, v182, 12, 4
	v_mul_i32_i24_e32 v169, v169, v194
	s_delay_alu instid0(VALU_DEP_2) | instskip(NEXT) | instid1(VALU_DEP_1)
	v_mad_i32_i24 v174, v193, v182, v174
	v_add3_u32 v169, v174, v171, v169
	v_bfe_u32 v171, v178, 20, 4
	v_bfe_u32 v174, v179, 20, 4
	s_delay_alu instid0(VALU_DEP_2) | instskip(NEXT) | instid1(VALU_DEP_2)
	v_mul_i32_i24_e32 v171, v171, v145
	v_mul_i32_i24_e32 v174, v174, v138
	s_delay_alu instid0(VALU_DEP_1) | instskip(SKIP_2) | instid1(VALU_DEP_2)
	v_add3_u32 v171, v176, v171, v174
	v_bfe_u32 v174, v178, 4, 4
	v_bfe_u32 v176, v179, 4, 4
	v_mul_i32_i24_e32 v174, v174, v152
	s_delay_alu instid0(VALU_DEP_2) | instskip(NEXT) | instid1(VALU_DEP_1)
	v_mul_i32_i24_e32 v176, v176, v140
	v_add3_u32 v182, v175, v174, v176
	v_dual_lshrrev_b32 v174, 28, v178 :: v_dual_lshrrev_b32 v175, 28, v179
	v_mov_b32_e32 v176, v67
	s_delay_alu instid0(VALU_DEP_2) | instskip(NEXT) | instid1(VALU_DEP_3)
	v_mul_i32_i24_e32 v174, v174, v144
	v_mul_i32_i24_e32 v175, v175, v136
	s_delay_alu instid0(VALU_DEP_1) | instskip(SKIP_4) | instid1(VALU_DEP_2)
	v_add3_u32 v194, v177, v174, v175
	v_cvt_f32_ubyte0_e32 v174, v190
	v_cvt_f32_ubyte1_e32 v175, v190
	v_mov_b32_e32 v177, v11
	v_bfe_i32 v190, v161, 0, 8
	v_pk_mul_f32 v[174:175], v[176:177], v[174:175]
	v_and_b32_e32 v176, 0xf0f0f0f, v180
	v_and_b32_e32 v177, 0xf0f0f0f, v178
	v_lshrrev_b32_e32 v178, 4, v178
	s_delay_alu instid0(VALU_DEP_3) | instskip(NEXT) | instid1(VALU_DEP_3)
	v_lshrrev_b16 v176, 8, v176
	v_lshrrev_b16 v177, 8, v177
	s_delay_alu instid0(VALU_DEP_3) | instskip(NEXT) | instid1(VALU_DEP_3)
	v_lshrrev_b16 v178, 8, v178
	v_and_b32_e32 v176, 0xffff, v176
	s_delay_alu instid0(VALU_DEP_3) | instskip(NEXT) | instid1(VALU_DEP_3)
	v_and_b32_e32 v177, 0xffff, v177
	v_and_b32_e32 v178, 15, v178
	s_delay_alu instid0(VALU_DEP_3) | instskip(SKIP_1) | instid1(VALU_DEP_4)
	v_mul_i32_i24_e32 v173, v176, v173
	v_and_b32_e32 v176, 0xf0f0f0f, v181
	v_mul_i32_i24_e32 v177, v177, v168
	s_delay_alu instid0(VALU_DEP_4) | instskip(NEXT) | instid1(VALU_DEP_3)
	v_and_b32_e32 v178, 0xffff, v178
	v_lshrrev_b16 v176, 8, v176
	s_delay_alu instid0(VALU_DEP_2) | instskip(NEXT) | instid1(VALU_DEP_2)
	v_mul_i32_i24_e32 v178, v178, v163
	v_and_b32_e32 v176, 0xffff, v176
	s_delay_alu instid0(VALU_DEP_1) | instskip(NEXT) | instid1(VALU_DEP_1)
	v_mul_i32_i24_e32 v176, v176, v167
	v_add3_u32 v173, v173, v176, v177
	v_and_b32_e32 v176, 15, v75
	v_bfe_u32 v177, v75, 8, 4
	s_delay_alu instid0(VALU_DEP_2) | instskip(NEXT) | instid1(VALU_DEP_2)
	v_mul_i32_i24_e32 v176, v164, v176
	v_mul_i32_i24_e32 v177, v167, v177
	s_delay_alu instid0(VALU_DEP_1) | instskip(SKIP_2) | instid1(VALU_DEP_2)
	v_add3_u32 v170, v170, v177, v176
	v_and_b32_e32 v176, 15, v77
	v_bfe_u32 v177, v77, 8, 4
	v_mul_i32_i24_e32 v176, v164, v176
	s_delay_alu instid0(VALU_DEP_2) | instskip(NEXT) | instid1(VALU_DEP_1)
	v_mul_i32_i24_e32 v177, v167, v177
	v_add3_u32 v172, v172, v177, v176
	v_and_b32_e32 v176, 15, v183
	v_and_b32_e32 v177, 15, v79
	s_delay_alu instid0(VALU_DEP_2) | instskip(SKIP_1) | instid1(VALU_DEP_3)
	v_mul_i32_i24_e32 v164, v164, v176
	v_bfe_u32 v176, v183, 8, 4
	v_mul_i32_i24_e32 v177, v177, v128
	s_delay_alu instid0(VALU_DEP_2) | instskip(SKIP_1) | instid1(VALU_DEP_2)
	v_mul_i32_i24_e32 v167, v167, v176
	v_bfe_u32 v176, v79, 24, 4
	v_add3_u32 v164, v184, v167, v164
	v_bfe_u32 v167, v78, 24, 4
	s_delay_alu instid0(VALU_DEP_3) | instskip(SKIP_1) | instid1(VALU_DEP_3)
	v_mul_i32_i24_e32 v176, v176, v117
	v_bfe_u32 v184, v79, 16, 4
	v_mul_i32_i24_e32 v167, v167, v129
	s_delay_alu instid0(VALU_DEP_2) | instskip(NEXT) | instid1(VALU_DEP_2)
	v_mul_i32_i24_e32 v184, v184, v119
	v_add3_u32 v167, v192, v167, v176
	v_and_b32_e32 v176, 15, v78
	s_delay_alu instid0(VALU_DEP_1) | instskip(NEXT) | instid1(VALU_DEP_1)
	v_mul_i32_i24_e32 v176, v176, v133
	v_add3_u32 v176, v187, v176, v177
	v_bfe_u32 v177, v78, 16, 4
	v_bfe_u32 v187, v75, 12, 4
	s_delay_alu instid0(VALU_DEP_2) | instskip(NEXT) | instid1(VALU_DEP_2)
	v_mul_i32_i24_e32 v177, v177, v130
	v_mul_i32_i24_e32 v187, v166, v187
	s_delay_alu instid0(VALU_DEP_2) | instskip(SKIP_1) | instid1(VALU_DEP_1)
	v_add3_u32 v177, v191, v177, v184
	v_bfe_u32 v184, v75, 4, 4
	v_mul_i32_i24_e32 v184, v165, v184
	s_delay_alu instid0(VALU_DEP_1) | instskip(SKIP_2) | instid1(VALU_DEP_2)
	v_add3_u32 v74, v74, v184, v187
	v_bfe_u32 v184, v77, 4, 4
	v_bfe_u32 v187, v77, 12, 4
	v_mul_i32_i24_e32 v184, v165, v184
	s_delay_alu instid0(VALU_DEP_2) | instskip(NEXT) | instid1(VALU_DEP_1)
	v_mul_i32_i24_e32 v187, v166, v187
	v_add3_u32 v76, v76, v184, v187
	v_bfe_u32 v184, v183, 4, 4
	v_bfe_u32 v187, v79, 4, 4
	s_delay_alu instid0(VALU_DEP_2) | instskip(SKIP_1) | instid1(VALU_DEP_3)
	v_mul_i32_i24_e32 v165, v165, v184
	v_bfe_u32 v184, v183, 12, 4
	v_mul_i32_i24_e32 v187, v187, v127
	s_delay_alu instid0(VALU_DEP_2) | instskip(NEXT) | instid1(VALU_DEP_1)
	v_mul_i32_i24_e32 v184, v166, v184
	v_add3_u32 v165, v169, v165, v184
	v_dual_lshrrev_b32 v169, 28, v78 :: v_dual_lshrrev_b32 v184, 28, v79
	s_delay_alu instid0(VALU_DEP_1) | instskip(NEXT) | instid1(VALU_DEP_2)
	v_mul_i32_i24_e32 v169, v169, v131
	v_mul_i32_i24_e32 v184, v184, v123
	s_delay_alu instid0(VALU_DEP_1) | instskip(SKIP_1) | instid1(VALU_DEP_1)
	v_add3_u32 v169, v194, v169, v184
	v_bfe_u32 v184, v78, 4, 4
	v_mul_i32_i24_e32 v184, v184, v134
	s_delay_alu instid0(VALU_DEP_1) | instskip(SKIP_2) | instid1(VALU_DEP_2)
	v_add3_u32 v182, v182, v184, v187
	v_bfe_u32 v184, v78, 20, 4
	v_bfe_u32 v187, v79, 20, 4
	v_mul_i32_i24_e32 v184, v184, v132
	s_delay_alu instid0(VALU_DEP_2) | instskip(NEXT) | instid1(VALU_DEP_1)
	v_mul_i32_i24_e32 v187, v187, v124
	v_add3_u32 v171, v171, v184, v187
	v_and_b32_e32 v184, 0xf0f0f0f, v179
	v_and_b32_e32 v187, 0xf0f0f0f, v78
	s_delay_alu instid0(VALU_DEP_2) | instskip(NEXT) | instid1(VALU_DEP_2)
	v_lshrrev_b16 v184, 8, v184
	v_lshrrev_b16 v187, 8, v187
	s_delay_alu instid0(VALU_DEP_2) | instskip(NEXT) | instid1(VALU_DEP_2)
	v_and_b32_e32 v161, 0xffff, v184
	v_and_b32_e32 v184, 0xffff, v187
	s_delay_alu instid0(VALU_DEP_2) | instskip(NEXT) | instid1(VALU_DEP_2)
	v_mul_i32_i24_e32 v161, v161, v190
	v_mul_i32_i24_e32 v184, v184, v162
	s_delay_alu instid0(VALU_DEP_1) | instskip(SKIP_1) | instid1(VALU_DEP_1)
	v_add3_u32 v173, v173, v161, v184
	v_dual_lshrrev_b32 v161, 4, v180 :: v_dual_lshrrev_b32 v180, 4, v181
	v_lshrrev_b16 v161, 8, v161
	s_delay_alu instid0(VALU_DEP_2) | instskip(NEXT) | instid1(VALU_DEP_2)
	v_lshrrev_b16 v180, 8, v180
	v_and_b32_e32 v161, 15, v161
	s_delay_alu instid0(VALU_DEP_2) | instskip(NEXT) | instid1(VALU_DEP_2)
	v_and_b32_e32 v180, 15, v180
	v_and_b32_e32 v161, 0xffff, v161
	s_delay_alu instid0(VALU_DEP_2) | instskip(NEXT) | instid1(VALU_DEP_2)
	v_and_b32_e32 v180, 0xffff, v180
	v_mul_i32_i24_e32 v161, v161, v193
	s_delay_alu instid0(VALU_DEP_2) | instskip(NEXT) | instid1(VALU_DEP_1)
	v_mul_i32_i24_e32 v166, v180, v166
	v_add3_u32 v166, v161, v166, v178
	v_bfe_u32 v161, v75, 16, 4
	v_bfe_u32 v178, v75, 24, 4
	s_delay_alu instid0(VALU_DEP_2) | instskip(NEXT) | instid1(VALU_DEP_2)
	v_mul_i32_i24_e32 v161, v160, v161
	v_mul_i32_i24_e32 v178, v159, v178
	s_delay_alu instid0(VALU_DEP_1) | instskip(SKIP_2) | instid1(VALU_DEP_2)
	v_add3_u32 v170, v170, v161, v178
	v_bfe_u32 v161, v77, 16, 4
	v_bfe_u32 v178, v77, 24, 4
	v_mul_i32_i24_e32 v161, v160, v161
	s_delay_alu instid0(VALU_DEP_2) | instskip(NEXT) | instid1(VALU_DEP_1)
	v_mul_i32_i24_e32 v178, v159, v178
	v_add3_u32 v172, v172, v161, v178
	v_bfe_u32 v161, v183, 16, 4
	s_delay_alu instid0(VALU_DEP_1) | instskip(SKIP_1) | instid1(VALU_DEP_1)
	v_mul_i32_i24_e32 v160, v160, v161
	v_bfe_u32 v161, v183, 24, 4
	v_mul_i32_i24_e32 v159, v159, v161
	s_delay_alu instid0(VALU_DEP_1) | instskip(SKIP_4) | instid1(VALU_DEP_2)
	v_add3_u32 v164, v164, v160, v159
	ds_load_2addr_b32 v[160:161], v185 offset0:6 offset1:7
	s_wait_dscnt 0x0
	v_bfe_u32 v159, v160, 16, 4
	v_bfe_u32 v178, v161, 16, 4
	v_mul_i32_i24_e32 v159, v159, v87
	s_delay_alu instid0(VALU_DEP_2) | instskip(NEXT) | instid1(VALU_DEP_1)
	v_mul_i32_i24_e32 v178, v178, v85
	v_add3_u32 v177, v177, v159, v178
	v_and_b32_e32 v159, 15, v160
	v_and_b32_e32 v178, 15, v161
	s_delay_alu instid0(VALU_DEP_2) | instskip(NEXT) | instid1(VALU_DEP_2)
	v_mul_i32_i24_e32 v159, v159, v118
	v_mul_i32_i24_e32 v178, v178, v66
	s_delay_alu instid0(VALU_DEP_1) | instskip(SKIP_2) | instid1(VALU_DEP_2)
	v_add3_u32 v176, v176, v159, v178
	v_bfe_u32 v159, v160, 24, 4
	v_bfe_u32 v178, v161, 24, 4
	v_mul_i32_i24_e32 v159, v159, v86
	s_delay_alu instid0(VALU_DEP_2) | instskip(NEXT) | instid1(VALU_DEP_1)
	v_mul_i32_i24_e32 v178, v178, v84
	v_add3_u32 v167, v167, v159, v178
	v_bfe_u32 v159, v75, 20, 4
	v_lshrrev_b32_e32 v75, 28, v75
	s_delay_alu instid0(VALU_DEP_2) | instskip(NEXT) | instid1(VALU_DEP_2)
	v_mul_i32_i24_e32 v159, v158, v159
	v_mul_i32_i24_e32 v75, v153, v75
	s_delay_alu instid0(VALU_DEP_1) | instskip(SKIP_2) | instid1(VALU_DEP_2)
	v_add3_u32 v178, v74, v159, v75
	v_bfe_u32 v74, v77, 20, 4
	v_lshrrev_b32_e32 v75, 28, v77
	v_mul_i32_i24_e32 v74, v158, v74
	s_delay_alu instid0(VALU_DEP_2) | instskip(NEXT) | instid1(VALU_DEP_1)
	v_mul_i32_i24_e32 v75, v153, v75
	v_add3_u32 v180, v76, v74, v75
	v_bfe_u32 v74, v183, 20, 4
	v_lshrrev_b32_e32 v75, 28, v183
	s_delay_alu instid0(VALU_DEP_2) | instskip(NEXT) | instid1(VALU_DEP_2)
	v_mul_i32_i24_e32 v74, v158, v74
	v_mul_i32_i24_e32 v75, v153, v75
	s_delay_alu instid0(VALU_DEP_1) | instskip(SKIP_2) | instid1(VALU_DEP_2)
	v_add3_u32 v165, v165, v74, v75
	v_bfe_u32 v74, v160, 20, 4
	v_bfe_u32 v75, v161, 20, 4
	v_mul_i32_i24_e32 v74, v74, v125
	s_delay_alu instid0(VALU_DEP_2) | instskip(NEXT) | instid1(VALU_DEP_1)
	v_mul_i32_i24_e32 v75, v75, v122
	v_add3_u32 v171, v171, v74, v75
	v_bfe_u32 v74, v160, 4, 4
	v_bfe_u32 v75, v161, 4, 4
	s_delay_alu instid0(VALU_DEP_2) | instskip(NEXT) | instid1(VALU_DEP_2)
	v_mul_i32_i24_e32 v74, v74, v126
	v_mul_i32_i24_e32 v75, v75, v10
	s_delay_alu instid0(VALU_DEP_1) | instskip(SKIP_2) | instid1(VALU_DEP_2)
	v_add3_u32 v181, v182, v74, v75
	v_dual_lshrrev_b32 v74, 28, v160 :: v_dual_lshrrev_b32 v75, 28, v161
	v_bfe_i32 v182, v157, 0, 8
	v_mul_i32_i24_e32 v74, v74, v120
	s_delay_alu instid0(VALU_DEP_3) | instskip(NEXT) | instid1(VALU_DEP_1)
	v_mul_i32_i24_e32 v75, v75, v121
	v_add3_u32 v169, v169, v74, v75
	v_add_f32_e32 v74, 0, v174
	v_and_b32_e32 v75, 0xf0f0f0f, v160
	v_bfe_i32 v174, v154, 0, 8
	s_delay_alu instid0(VALU_DEP_3) | instskip(SKIP_1) | instid1(VALU_DEP_4)
	v_add_f32_e32 v153, v74, v175
	v_and_b32_e32 v74, 0xf0f0f0f, v79
	v_lshrrev_b16 v75, 8, v75
	v_bfe_i32 v175, v155, 0, 8
	v_lshrrev_b32_e32 v79, 4, v79
	s_delay_alu instid0(VALU_DEP_4) | instskip(NEXT) | instid1(VALU_DEP_4)
	v_lshrrev_b16 v74, 8, v74
	v_and_b32_e32 v75, 0xffff, v75
	s_delay_alu instid0(VALU_DEP_3) | instskip(SKIP_1) | instid1(VALU_DEP_4)
	v_lshrrev_b16 v79, 8, v79
	v_lshrrev_b32_e32 v160, 4, v160
	v_and_b32_e32 v74, 0xffff, v74
	s_delay_alu instid0(VALU_DEP_4) | instskip(NEXT) | instid1(VALU_DEP_4)
	v_mul_i32_i24_e32 v75, v75, v175
	v_and_b32_e32 v79, 15, v79
	s_delay_alu instid0(VALU_DEP_4) | instskip(NEXT) | instid1(VALU_DEP_4)
	v_lshrrev_b16 v160, 8, v160
	v_mul_i32_i24_e32 v74, v74, v174
	s_delay_alu instid0(VALU_DEP_3) | instskip(NEXT) | instid1(VALU_DEP_3)
	v_and_b32_e32 v79, 0xffff, v79
	v_and_b32_e32 v160, 15, v160
	s_delay_alu instid0(VALU_DEP_3) | instskip(SKIP_2) | instid1(VALU_DEP_4)
	v_add3_u32 v173, v173, v74, v75
	v_dual_lshrrev_b32 v74, 4, v179 :: v_dual_lshrrev_b32 v75, 4, v78
	v_bfe_i32 v179, v156, 0, 8
	v_and_b32_e32 v160, 0xffff, v160
	v_mul_i32_i24_e32 v79, v79, v150
	s_delay_alu instid0(VALU_DEP_4) | instskip(SKIP_1) | instid1(VALU_DEP_4)
	v_lshrrev_b16 v74, 8, v74
	v_lshrrev_b16 v75, 8, v75
	v_mul_i32_i24_e32 v160, v160, v151
	s_delay_alu instid0(VALU_DEP_3) | instskip(NEXT) | instid1(VALU_DEP_3)
	v_and_b32_e32 v74, 15, v74
	v_and_b32_e32 v75, 15, v75
	s_delay_alu instid0(VALU_DEP_2) | instskip(NEXT) | instid1(VALU_DEP_2)
	v_and_b32_e32 v74, 0xffff, v74
	v_and_b32_e32 v75, 0xffff, v75
	s_delay_alu instid0(VALU_DEP_2) | instskip(NEXT) | instid1(VALU_DEP_2)
	v_mul_i32_i24_e32 v74, v74, v179
	v_mul_i32_i24_e32 v75, v75, v182
	s_delay_alu instid0(VALU_DEP_1)
	v_add3_u32 v166, v166, v74, v75
	ds_load_u16 v78, v81
	ds_load_2addr_b32 v[154:155], v80 offset0:2 offset1:3
	ds_load_2addr_b32 v[76:77], v80 offset0:4 offset1:5
	;; [unrolled: 1-line block ×3, first 2 shown]
	v_add3_u32 v79, v166, v79, v160
	v_bfe_u32 v166, v72, 24, 4
	s_delay_alu instid0(VALU_DEP_1)
	v_mul_i32_i24_e32 v166, v142, v166
	s_wait_dscnt 0x2
	v_and_b32_e32 v80, 15, v154
	v_bfe_u32 v81, v154, 8, 4
	v_bfe_u32 v160, v154, 16, 4
	s_wait_dscnt 0x0
	v_and_b32_e32 v185, 15, v75
	v_bfe_u32 v187, v74, 12, 4
	v_mul_i32_i24_e32 v80, v149, v80
	v_mul_i32_i24_e32 v81, v168, v81
	;; [unrolled: 1-line block ×3, first 2 shown]
	v_bfe_u32 v191, v75, 20, 4
	s_delay_alu instid0(VALU_DEP_3) | instskip(SKIP_2) | instid1(VALU_DEP_2)
	v_add3_u32 v170, v170, v81, v80
	v_and_b32_e32 v80, 15, v72
	v_bfe_u32 v81, v72, 8, 4
	v_mul_i32_i24_e32 v80, v149, v80
	s_delay_alu instid0(VALU_DEP_2) | instskip(NEXT) | instid1(VALU_DEP_1)
	v_mul_i32_i24_e32 v81, v168, v81
	v_add3_u32 v172, v172, v81, v80
	ds_load_u16 v183, v186
	ds_load_2addr_b32 v[156:157], v188 offset0:2 offset1:3
	ds_load_2addr_b32 v[158:159], v188 offset0:4 offset1:5
	;; [unrolled: 1-line block ×3, first 2 shown]
	v_bfe_u32 v186, v74, 4, 4
	s_wait_dscnt 0x2
	v_dual_lshrrev_b32 v188, 28, v74 :: v_dual_bitop2_b32 v184, 15, v156 bitop3:0x40
	s_delay_alu instid0(VALU_DEP_1) | instskip(SKIP_1) | instid1(VALU_DEP_1)
	v_mul_i32_i24_e32 v149, v149, v184
	v_bfe_u32 v184, v156, 8, 4
	v_mul_i32_i24_e32 v168, v168, v184
	v_lshrrev_b32_e32 v184, 4, v75
	s_delay_alu instid0(VALU_DEP_2) | instskip(SKIP_2) | instid1(VALU_DEP_2)
	v_add3_u32 v149, v164, v168, v149
	v_bfe_u32 v164, v154, 4, 4
	v_bfe_u32 v168, v154, 12, 4
	v_mul_i32_i24_e32 v164, v152, v164
	s_delay_alu instid0(VALU_DEP_2) | instskip(NEXT) | instid1(VALU_DEP_1)
	v_mul_i32_i24_e32 v168, v163, v168
	v_add3_u32 v164, v178, v164, v168
	v_bfe_u32 v168, v72, 4, 4
	v_bfe_u32 v178, v72, 12, 4
	s_delay_alu instid0(VALU_DEP_2) | instskip(NEXT) | instid1(VALU_DEP_2)
	v_mul_i32_i24_e32 v168, v152, v168
	v_mul_i32_i24_e32 v178, v163, v178
	s_delay_alu instid0(VALU_DEP_1) | instskip(SKIP_2) | instid1(VALU_DEP_2)
	v_add3_u32 v168, v180, v168, v178
	v_bfe_u32 v178, v156, 4, 4
	v_bfe_u32 v180, v74, 24, 4
	v_mul_i32_i24_e32 v152, v152, v178
	v_bfe_u32 v178, v156, 12, 4
	s_delay_alu instid0(VALU_DEP_1) | instskip(SKIP_1) | instid1(VALU_DEP_2)
	v_mul_i32_i24_e32 v163, v163, v178
	v_bfe_u32 v178, v74, 8, 4
	v_add3_u32 v152, v165, v152, v163
	v_bfe_u32 v165, v154, 24, 4
	v_and_b32_e32 v163, 0xf0f0f0f, v161
	s_delay_alu instid0(VALU_DEP_2) | instskip(NEXT) | instid1(VALU_DEP_2)
	v_mul_i32_i24_e32 v165, v142, v165
	v_lshrrev_b16 v163, 8, v163
	s_delay_alu instid0(VALU_DEP_2) | instskip(SKIP_1) | instid1(VALU_DEP_3)
	v_add3_u32 v160, v170, v160, v165
	v_bfe_u32 v165, v72, 16, 4
	v_and_b32_e32 v163, 0xffff, v163
	s_delay_alu instid0(VALU_DEP_2) | instskip(NEXT) | instid1(VALU_DEP_2)
	v_mul_i32_i24_e32 v165, v143, v165
	v_mul_i32_i24_e32 v163, v163, v148
	s_delay_alu instid0(VALU_DEP_2) | instskip(SKIP_1) | instid1(VALU_DEP_3)
	v_add3_u32 v165, v172, v165, v166
	v_bfe_u32 v166, v156, 16, 4
	v_add3_u32 v163, v173, v163, v167
	v_bfe_u32 v167, v157, 20, 4
	s_delay_alu instid0(VALU_DEP_3) | instskip(SKIP_1) | instid1(VALU_DEP_1)
	v_mul_i32_i24_e32 v143, v143, v166
	v_bfe_u32 v166, v156, 24, 4
	v_mul_i32_i24_e32 v142, v142, v166
	v_and_b32_e32 v166, 15, v77
	s_delay_alu instid0(VALU_DEP_2) | instskip(SKIP_2) | instid1(VALU_DEP_2)
	v_add3_u32 v149, v149, v143, v142
	v_bfe_u32 v142, v154, 20, 4
	v_lshrrev_b32_e32 v143, 28, v154
	v_mul_i32_i24_e32 v142, v145, v142
	s_delay_alu instid0(VALU_DEP_2) | instskip(NEXT) | instid1(VALU_DEP_1)
	v_mul_i32_i24_e32 v143, v144, v143
	v_add3_u32 v154, v164, v142, v143
	v_bfe_u32 v142, v72, 20, 4
	v_lshrrev_b32_e32 v72, 28, v72
	v_lshrrev_b32_e32 v143, 28, v156
	v_bfe_u32 v164, v73, 16, 4
	s_delay_alu instid0(VALU_DEP_4) | instskip(NEXT) | instid1(VALU_DEP_4)
	v_mul_i32_i24_e32 v142, v145, v142
	v_mul_i32_i24_e32 v72, v144, v72
	s_delay_alu instid0(VALU_DEP_4) | instskip(NEXT) | instid1(VALU_DEP_4)
	v_mul_i32_i24_e32 v143, v144, v143
	v_mul_i32_i24_e32 v164, v137, v164
	s_delay_alu instid0(VALU_DEP_3) | instskip(SKIP_2) | instid1(VALU_DEP_2)
	v_add3_u32 v72, v168, v142, v72
	v_bfe_u32 v142, v156, 20, 4
	v_bfe_u32 v168, v76, 12, 4
	v_mul_i32_i24_e32 v142, v145, v142
	v_add3_u32 v145, v176, v177, v163
	v_and_b32_e32 v163, 15, v76
	s_delay_alu instid0(VALU_DEP_4)
	v_mul_i32_i24_e32 v168, v182, v168
	v_and_b32_e32 v177, 15, v74
	v_add3_u32 v144, v152, v142, v143
	v_lshrrev_b32_e32 v142, 4, v161
	v_bfe_u32 v143, v155, 8, 4
	v_bfe_u32 v161, v155, 4, 4
	v_mul_i32_i24_e32 v163, v133, v163
	s_delay_alu instid0(VALU_DEP_4) | instskip(NEXT) | instid1(VALU_DEP_4)
	v_lshrrev_b16 v142, 8, v142
	v_mul_i32_i24_e32 v143, v190, v143
	s_delay_alu instid0(VALU_DEP_4) | instskip(NEXT) | instid1(VALU_DEP_3)
	v_mul_i32_i24_e32 v161, v140, v161
	v_and_b32_e32 v142, 15, v142
	s_delay_alu instid0(VALU_DEP_1) | instskip(NEXT) | instid1(VALU_DEP_1)
	v_and_b32_e32 v142, 0xffff, v142
	v_mul_i32_i24_e32 v142, v142, v146
	s_delay_alu instid0(VALU_DEP_1) | instskip(SKIP_3) | instid1(VALU_DEP_3)
	v_add3_u32 v79, v79, v142, v169
	v_and_b32_e32 v142, 15, v155
	s_wait_dscnt 0x1
	v_bfe_u32 v169, v158, 16, 4
	v_add3_u32 v79, v181, v171, v79
	s_delay_alu instid0(VALU_DEP_3) | instskip(SKIP_1) | instid1(VALU_DEP_2)
	v_mul_i32_i24_e32 v142, v139, v142
	v_bfe_u32 v181, v75, 8, 4
	v_add3_u32 v152, v160, v143, v142
	v_and_b32_e32 v142, 15, v73
	v_and_b32_e32 v160, 15, v157
	v_bfe_u32 v143, v73, 8, 4
	s_delay_alu instid0(VALU_DEP_3) | instskip(NEXT) | instid1(VALU_DEP_3)
	v_mul_i32_i24_e32 v142, v139, v142
	v_mul_i32_i24_e32 v139, v139, v160
	v_bfe_u32 v160, v157, 8, 4
	s_delay_alu instid0(VALU_DEP_4) | instskip(NEXT) | instid1(VALU_DEP_2)
	v_mul_i32_i24_e32 v143, v190, v143
	v_mul_i32_i24_e32 v160, v190, v160
	s_delay_alu instid0(VALU_DEP_2)
	v_add3_u32 v156, v165, v143, v142
	v_bfe_u32 v165, v73, 24, 4
	ds_load_2addr_b32 v[142:143], v141 offset0:6 offset1:7
	ds_load_u16 v141, v189
	v_bfe_u32 v189, v75, 24, 4
	v_add3_u32 v139, v149, v160, v139
	v_bfe_u32 v149, v155, 12, 4
	v_bfe_u32 v160, v73, 4, 4
	v_mul_i32_i24_e32 v165, v135, v165
	v_lshrrev_b32_e32 v190, 28, v75
	s_delay_alu instid0(VALU_DEP_4) | instskip(NEXT) | instid1(VALU_DEP_4)
	v_mul_i32_i24_e32 v149, v179, v149
	v_mul_i32_i24_e32 v160, v140, v160
	s_delay_alu instid0(VALU_DEP_4)
	v_add3_u32 v156, v156, v164, v165
	v_bfe_u32 v164, v155, 20, 4
	v_bfe_u32 v165, v157, 24, 4
	v_add3_u32 v149, v154, v161, v149
	v_bfe_u32 v154, v73, 12, 4
	v_bfe_u32 v161, v157, 4, 4
	v_mul_i32_i24_e32 v164, v138, v164
	s_delay_alu instid0(VALU_DEP_3) | instskip(NEXT) | instid1(VALU_DEP_3)
	v_mul_i32_i24_e32 v154, v179, v154
	v_mul_i32_i24_e32 v140, v140, v161
	v_bfe_u32 v161, v155, 24, 4
	s_wait_dscnt 0x1
	v_lshrrev_b32_e32 v172, 28, v142
	v_bfe_u32 v170, v142, 4, 4
	v_add3_u32 v72, v72, v160, v154
	v_bfe_u32 v154, v157, 12, 4
	v_bfe_u32 v160, v155, 16, 4
	v_lshrrev_b32_e32 v155, 28, v155
	v_mul_i32_i24_e32 v161, v135, v161
	v_mul_i32_i24_e32 v135, v135, v165
	;; [unrolled: 1-line block ×5, first 2 shown]
	v_bfe_u32 v165, v77, 16, 4
	v_bfe_u32 v179, v74, 16, 4
	v_add3_u32 v140, v144, v140, v154
	v_bfe_u32 v144, v76, 8, 4
	v_add3_u32 v149, v149, v164, v155
	v_bfe_u32 v164, v73, 20, 4
	v_lshrrev_b32_e32 v73, 28, v73
	v_add3_u32 v152, v152, v160, v161
	v_bfe_u32 v161, v157, 16, 4
	v_mul_i32_i24_e32 v144, v162, v144
	v_mul_i32_i24_e32 v164, v138, v164
	;; [unrolled: 1-line block ×3, first 2 shown]
	v_lshrrev_b32_e32 v157, 28, v157
	v_mul_i32_i24_e32 v137, v137, v161
	v_add3_u32 v144, v152, v144, v163
	v_and_b32_e32 v152, 15, v158
	v_add3_u32 v72, v72, v164, v73
	v_and_b32_e32 v73, 15, v70
	v_bfe_u32 v164, v70, 8, 4
	v_bfe_u32 v163, v158, 8, 4
	;; [unrolled: 1-line block ×4, first 2 shown]
	v_add3_u32 v135, v139, v137, v135
	v_bfe_u32 v139, v76, 20, 4
	v_bfe_u32 v155, v76, 4, 4
	v_mul_i32_i24_e32 v138, v138, v167
	v_mul_i32_i24_e32 v136, v136, v157
	;; [unrolled: 1-line block ×4, first 2 shown]
	v_bfe_u32 v163, v158, 12, 4
	v_lshrrev_b32_e32 v76, 28, v76
	v_mul_i32_i24_e32 v73, v133, v73
	v_mul_i32_i24_e32 v133, v133, v152
	v_bfe_u32 v152, v158, 4, 4
	v_add3_u32 v136, v140, v138, v136
	v_mul_i32_i24_e32 v163, v182, v163
	v_mul_i32_i24_e32 v155, v134, v155
	v_bfe_u32 v167, v70, 16, 4
	v_mul_i32_i24_e32 v152, v134, v152
	v_bfe_u32 v157, v70, 24, 4
	v_add3_u32 v133, v135, v162, v133
	v_mul_i32_i24_e32 v154, v130, v154
	v_mul_i32_i24_e32 v160, v129, v160
	v_add3_u32 v136, v136, v152, v163
	v_bfe_u32 v152, v70, 4, 4
	v_bfe_u32 v163, v70, 12, 4
	v_mul_i32_i24_e32 v167, v130, v167
	v_mul_i32_i24_e32 v157, v129, v157
	;; [unrolled: 1-line block ×5, first 2 shown]
	v_bfe_u32 v169, v158, 20, 4
	v_bfe_u32 v161, v77, 8, 4
	v_and_b32_e32 v138, 15, v71
	v_bfe_u32 v152, v70, 20, 4
	v_add3_u32 v72, v72, v134, v163
	v_bfe_u32 v134, v158, 24, 4
	v_and_b32_e32 v163, 15, v159
	v_add3_u32 v144, v144, v154, v160
	v_bfe_u32 v154, v159, 8, 4
	v_lshrrev_b32_e32 v70, 28, v70
	v_mul_i32_i24_e32 v129, v129, v134
	v_lshrrev_b32_e32 v134, 28, v158
	v_mul_i32_i24_e32 v158, v174, v161
	v_mul_i32_i24_e32 v138, v128, v138
	v_mul_i32_i24_e32 v154, v174, v154
	v_add3_u32 v129, v133, v130, v129
	v_mul_i32_i24_e32 v133, v132, v169
	v_mul_i32_i24_e32 v134, v131, v134
	v_lshrrev_b32_e32 v169, 28, v77
	v_add3_u32 v149, v149, v155, v168
	v_mul_i32_i24_e32 v76, v131, v76
	v_mul_i32_i24_e32 v70, v131, v70
	v_add3_u32 v133, v136, v133, v134
	v_mul_i32_i24_e32 v136, v152, v132
	v_mul_i32_i24_e32 v152, v128, v166
	;; [unrolled: 1-line block ×4, first 2 shown]
	v_bfe_u32 v140, v71, 8, 4
	v_add3_u32 v70, v72, v136, v70
	v_add3_u32 v144, v144, v158, v152
	v_bfe_u32 v152, v159, 4, 4
	v_bfe_u32 v158, v159, 12, 4
	v_add3_u32 v128, v129, v154, v128
	v_bfe_u32 v129, v77, 4, 4
	v_bfe_u32 v154, v77, 12, 4
	v_add3_u32 v76, v149, v132, v76
	v_mul_i32_i24_e32 v152, v127, v152
	v_mul_i32_i24_e32 v158, v150, v158
	;; [unrolled: 1-line block ×4, first 2 shown]
	v_add3_u32 v73, v156, v164, v73
	v_bfe_u32 v137, v77, 24, 4
	v_add3_u32 v133, v133, v152, v158
	v_bfe_u32 v158, v71, 4, 4
	;; [unrolled: 2-line block ×3, first 2 shown]
	v_bfe_u32 v156, v71, 16, 4
	v_bfe_u32 v164, v71, 24, 4
	v_mul_i32_i24_e32 v127, v127, v158
	v_and_b32_e32 v135, 15, v142
	v_mul_i32_i24_e32 v150, v150, v154
	v_bfe_u32 v155, v142, 16, 4
	v_bfe_u32 v168, v142, 24, 4
	;; [unrolled: 1-line block ×3, first 2 shown]
	v_add3_u32 v73, v73, v167, v157
	v_add3_u32 v127, v70, v127, v150
	v_and_b32_e32 v70, 15, v143
	v_bfe_u32 v157, v159, 24, 4
	v_dual_lshrrev_b32 v154, 4, v143 :: v_dual_bitop2_b32 v167, 15, v80 bitop3:0x40
	v_bfe_u32 v134, v80, 16, 4
	v_bfe_u32 v72, v80, 24, 4
	v_dual_lshrrev_b32 v150, 28, v71 :: v_dual_bitop2_b32 v136, 15, v81 bitop3:0x40
	v_mul_i32_i24_e32 v140, v174, v140
	v_lshrrev_b32_e32 v174, 28, v143
	v_perm_b32 v70, v70, v185, 0x5040100
	v_bfe_u32 v139, v81, 8, 4
	v_bfe_u32 v131, v81, 16, 4
	;; [unrolled: 1-line block ×4, first 2 shown]
	v_lshrrev_b32_e32 v159, 28, v159
	v_add3_u32 v138, v73, v140, v138
	v_bfe_u32 v73, v80, 4, 4
	v_bfe_u32 v140, v80, 12, 4
	;; [unrolled: 1-line block ×5, first 2 shown]
	v_lshrrev_b32_e32 v81, 28, v81
	v_bfe_u32 v166, v143, 8, 4
	v_bfe_u32 v158, v143, 16, 4
	;; [unrolled: 1-line block ×8, first 2 shown]
	v_mul_i32_i24_e32 v165, v119, v165
	v_mul_i32_i24_e32 v156, v119, v156
	;; [unrolled: 1-line block ×16, first 2 shown]
	v_pk_mul_lo_u16 v72, v70, v66 op_sel_hi:[1,0]
	v_and_b32_e32 v66, 15, v184
	v_and_b32_e32 v70, 15, v154
	v_mul_i32_i24_e32 v159, v123, v159
	v_mul_i32_i24_e32 v168, v123, v169
	;; [unrolled: 1-line block ×15, first 2 shown]
	v_perm_b32 v66, v70, v66, 0x5040100
	v_mul_i32_i24_e32 v174, v148, v181
	v_mul_i32_i24_e32 v166, v148, v166
	;; [unrolled: 1-line block ×9, first 2 shown]
	v_lshrrev_b16 v146, 8, v183
	v_and_b32_e32 v171, 0xff, v183
	v_add3_u32 v137, v144, v165, v137
	v_mul_i32_i24_e32 v144, v10, v152
	v_pk_mul_lo_u16 v152, v66, v10 op_sel_hi:[1,0]
	v_and_b32_e32 v10, 0xffff, v146
	v_mul_lo_u32 v145, v145, v171
	v_bfe_u32 v130, v80, 8, 4
	v_bfe_u32 v77, v77, 20, 4
	;; [unrolled: 1-line block ×3, first 2 shown]
	v_mul_lo_u32 v79, v79, v10
	v_bfe_u32 v71, v71, 20, 4
	v_mul_i32_i24_e32 v149, v124, v149
	v_mul_i32_i24_e32 v77, v124, v77
	;; [unrolled: 1-line block ×3, first 2 shown]
	s_wait_dscnt 0x0
	v_lshrrev_b16 v70, 8, v141
	v_add3_u32 v117, v128, v119, v117
	v_bfe_u32 v161, v80, 20, 4
	v_lshrrev_b32_e32 v80, 28, v80
	v_bfe_u32 v142, v142, 20, 4
	v_bfe_u32 v74, v74, 20, 4
	v_mul_i32_i24_e32 v124, v124, v71
	v_mul_i32_i24_e32 v154, v175, v178
	;; [unrolled: 1-line block ×3, first 2 shown]
	v_cvt_f32_ubyte0_e32 v71, v147
	v_cvt_f32_f16_e32 v66, v8
	v_and_b32_e32 v165, 0xffff, v70
	v_cvt_f32_i32_e32 v70, v145
	v_add3_u32 v138, v138, v156, v160
	v_add3_u32 v119, v133, v149, v159
	;; [unrolled: 1-line block ×4, first 2 shown]
	v_mul_i32_i24_e32 v161, v125, v161
	v_mul_i32_i24_e32 v74, v125, v74
	;; [unrolled: 1-line block ×5, first 2 shown]
	v_cvt_f32_ubyte1_e32 v73, v147
	v_cvt_f32_f16_e32 v10, v9
	v_ashrrev_i32_e32 v145, 16, v72
	v_bfe_i32 v171, v72, 0, 16
	v_cvt_f32_i32_e32 v72, v79
	v_add3_u32 v123, v127, v124, v123
	v_add3_u32 v77, v137, v154, v157
	;; [unrolled: 1-line block ×6, first 2 shown]
	v_pk_fma_f32 v[70:71], v[70:71], v[66:67], 0 op_sel_hi:[1,1,0]
	v_mul_i32_i24_e32 v120, v120, v172
	v_add3_u32 v119, v123, v126, v151
	v_add3_u32 v77, v77, v164, v134
	;; [unrolled: 1-line block ×6, first 2 shown]
	v_pk_fma_f32 v[70:71], v[72:73], v[10:11], v[70:71]
	v_mul_i32_i24_e32 v163, v122, v163
	v_and_b32_e32 v141, 0xff, v141
	v_add3_u32 v117, v119, v125, v120
	v_add3_u32 v80, v80, v144, v129
	;; [unrolled: 1-line block ×5, first 2 shown]
	v_pk_mul_f32 v[70:71], v[70:71], v[6:7]
	v_ashrrev_i32_e32 v79, 16, v152
	v_bfe_i32 v152, v152, 0, 16
	v_mul_i32_i24_e32 v172, v122, v191
	v_mul_i32_i24_e32 v122, v122, v176
	v_lshrrev_b16 v147, 8, v78
	v_and_b32_e32 v78, 0xff, v78
	v_lshrrev_b16 v146, 8, v83
	v_and_b32_e32 v83, 0xff, v83
	v_add3_u32 v74, v74, v152, v75
	v_add3_u32 v75, v117, v79, v143
	;; [unrolled: 1-line block ×5, first 2 shown]
	v_mul_lo_u32 v76, v76, v141
	v_and_b32_e32 v147, 0xffff, v147
	v_and_b32_e32 v146, 0xffff, v146
	v_add3_u32 v75, v75, v122, v121
	v_add3_u32 v74, v74, v172, v173
	v_mul_lo_u32 v79, v79, v165
	v_mul_lo_u32 v78, v80, v78
	;; [unrolled: 1-line block ×5, first 2 shown]
	v_cvt_f32_i32_e32 v75, v76
	v_cvt_f32_i32_e32 v76, v79
	;; [unrolled: 1-line block ×4, first 2 shown]
	s_delay_alu instid0(VALU_DEP_4) | instskip(SKIP_2) | instid1(VALU_DEP_4)
	v_fma_mix_f32 v8, v8, v75, 0 op_sel_hi:[1,0,0]
	v_cvt_f32_i32_e32 v75, v67
	v_cvt_f32_i32_e32 v74, v74
	v_pk_fma_f32 v[66:67], v[66:67], v[72:73], 0 op_sel_hi:[0,1,0]
	s_delay_alu instid0(VALU_DEP_4) | instskip(SKIP_2) | instid1(VALU_DEP_4)
	v_fma_mix_f32 v72, v9, v76, v8 op_sel_hi:[1,0,0]
	v_dual_mul_f32 v8, v153, v82 :: v_dual_mov_b32 v73, v70
	v_mov_b32_e32 v9, v71
	v_pk_fma_f32 v[10:11], v[10:11], v[74:75], v[66:67] op_sel_hi:[0,1,1]
	s_delay_alu instid0(VALU_DEP_4) | instskip(NEXT) | instid1(VALU_DEP_2)
	v_mul_f32_e32 v72, v72, v1
	v_pk_fma_f32 v[10:11], v[10:11], v[2:3], v[68:69] neg_lo:[0,0,1] neg_hi:[0,0,1]
	s_delay_alu instid0(VALU_DEP_2) | instskip(NEXT) | instid1(VALU_DEP_2)
	v_pk_add_f32 v[8:9], v[72:73], v[8:9] neg_lo:[0,1] neg_hi:[0,1]
	v_pk_add_f32 v[22:23], v[22:23], v[10:11]
	s_delay_alu instid0(VALU_DEP_2)
	v_pk_add_f32 v[20:21], v[20:21], v[8:9]
	s_cbranch_vccnz .LBB191_11
; %bb.12:                               ;   in Loop: Header=BB191_5 Depth=1
	s_bitset1_b32 s16, 7
	s_delay_alu instid0(SALU_CYCLE_1)
	s_cmp_ge_i32 s16, s11
	s_barrier_signal -1
	s_barrier_wait -1
	s_cbranch_scc1 .LBB191_4
; %bb.13:                               ;   in Loop: Header=BB191_5 Depth=1
	v_add_nc_u32_e32 v1, s17, v92
	s_delay_alu instid0(VALU_DEP_1) | instskip(SKIP_1) | instid1(SALU_CYCLE_1)
	v_cmp_gt_i32_e32 vcc_lo, s10, v1
	s_and_b32 s17, s1, vcc_lo
	s_and_saveexec_b32 s16, s17
	s_cbranch_execz .LBB191_15
; %bb.14:                               ;   in Loop: Header=BB191_5 Depth=1
	v_add_nc_u32_e32 v1, v30, v1
	s_delay_alu instid0(VALU_DEP_1)
	v_mad_nc_i64_i32 v[2:3], v1, 36, v[36:37]
	global_load_b32 v1, v[2:3], off offset:4
	s_wait_loadcnt 0x0
	ds_store_b32 v90, v1
.LBB191_15:                             ;   in Loop: Header=BB191_5 Depth=1
	s_or_b32 exec_lo, exec_lo, s16
	s_and_saveexec_b32 s16, s0
	s_cbranch_execz .LBB191_18
; %bb.16:                               ;   in Loop: Header=BB191_5 Depth=1
	v_or_b32_e32 v1, 4, v0
	s_delay_alu instid0(VALU_DEP_1) | instskip(SKIP_1) | instid1(SALU_CYCLE_1)
	v_cmp_gt_i32_e32 vcc_lo, s10, v1
	s_and_b32 s17, s1, vcc_lo
	s_and_b32 exec_lo, exec_lo, s17
	s_cbranch_execz .LBB191_18
; %bb.17:                               ;   in Loop: Header=BB191_5 Depth=1
	v_ashrrev_i32_e32 v1, 31, v0
	s_delay_alu instid0(VALU_DEP_1) | instskip(NEXT) | instid1(VALU_DEP_1)
	v_add_nc_u64_e32 v[0:1], v[30:31], v[0:1]
	v_mad_nc_u64_u32 v[2:3], v0, 36, s[2:3]
	s_delay_alu instid0(VALU_DEP_1)
	v_mad_i32_i24 v3, v1, 36, v3
	global_load_b32 v0, v[2:3], off offset:144
	s_wait_loadcnt 0x0
	ds_store_b32 v100, v0
.LBB191_18:                             ;   in Loop: Header=BB191_5 Depth=1
	s_or_b32 exec_lo, exec_lo, s16
	s_wait_dscnt 0x0
	s_barrier_signal -1
	s_barrier_wait -1
	ds_load_b32 v0, v94 offset:128
	ds_load_b32 v1, v93
	ds_load_b32 v2, v95 offset:256
	ds_load_b32 v3, v96 offset:384
	v_dual_mov_b32 v117, v89 :: v_dual_mov_b32 v118, v97
	v_mov_b32_e32 v121, v112
	s_mov_b32 s16, 16
	s_mov_b32 s17, 0
	s_wait_dscnt 0x2
	v_dual_lshrrev_b32 v4, 16, v0 :: v_dual_lshrrev_b32 v5, 16, v1
	v_cvt_f32_f16_e32 v67, v0
	v_cvt_f32_f16_e32 v66, v1
	s_wait_dscnt 0x0
	v_dual_lshrrev_b32 v0, 16, v2 :: v_dual_lshrrev_b32 v1, 16, v3
	v_cvt_f32_f16_e32 v119, v2
	v_cvt_f32_f16_e32 v68, v3
	v_cvt_f32_f16_e32 v71, v4
	v_cvt_f32_f16_e32 v70, v5
	v_cvt_f32_f16_e32 v120, v0
	v_cvt_f32_f16_e32 v69, v1
.LBB191_19:                             ;   Parent Loop BB191_5 Depth=1
                                        ; =>  This Inner Loop Header: Depth=2
	ds_load_2addr_b32 v[0:1], v121 offset1:1
	ds_load_2addr_b32 v[2:3], v121 offset0:2 offset1:3
	v_add_nc_u32_e32 v8, s17, v113
	ds_load_2addr_b32 v[78:79], v121 offset0:4 offset1:5
	v_add_nc_u32_e32 v4, 0x1090, v121
	v_add_nc_u32_e32 v6, 0x2118, v121
	s_lshr_b32 s21, s16, 2
	ds_load_2addr_b32 v[72:73], v121 offset0:6 offset1:7
	s_and_b32 s21, s21, 0x3ffffffc
	s_add_co_i32 s16, s16, 8
	s_add_co_i32 s17, s17, 2
	ds_load_2addr_b32 v[82:83], v4 offset1:1
	ds_load_2addr_b32 v[6:7], v6 offset1:1
	v_add_nc_u32_e32 v4, 0x1098, v121
	ds_load_2addr_b32 v[74:75], v4 offset1:1
	s_wait_dscnt 0x6
	v_and_b32_e32 v86, 15, v0
	v_bfe_u32 v87, v0, 8, 4
	v_bfe_u32 v207, v0, 16, 4
	v_bfe_u32 v212, v0, 24, 4
	v_dual_lshrrev_b32 v154, 28, v0 :: v_dual_bitop2_b32 v213, 15, v1 bitop3:0x40
	s_wait_dscnt 0x5
	v_dual_lshrrev_b32 v148, 28, v1 :: v_dual_bitop2_b32 v217, 15, v2 bitop3:0x40
	v_bfe_u32 v218, v2, 8, 4
	v_bfe_u32 v219, v2, 16, 4
	;; [unrolled: 1-line block ×3, first 2 shown]
	v_dual_lshrrev_b32 v143, 28, v2 :: v_dual_bitop2_b32 v199, 15, v3 bitop3:0x40
	v_bfe_u32 v151, v0, 20, 4
	v_bfe_u32 v153, v0, 4, 4
	;; [unrolled: 1-line block ×6, first 2 shown]
	v_add_nc_u32_e32 v0, 0x1080, v121
	v_add_nc_u32_e32 v2, 0x1088, v121
	v_bfe_u32 v214, v1, 8, 4
	v_bfe_u32 v215, v1, 16, 4
	;; [unrolled: 1-line block ×12, first 2 shown]
	ds_load_2addr_b32 v[0:1], v0 offset1:1
	v_lshrrev_b32_e32 v139, 28, v3
	ds_load_2addr_b32 v[2:3], v2 offset1:1
	s_wait_dscnt 0x6
	v_and_b32_e32 v129, 15, v79
	v_add3_u32 v9, v99, s21, v8
	v_add3_u32 v124, v115, s21, v8
	;; [unrolled: 1-line block ×3, first 2 shown]
	s_wait_dscnt 0x3
	s_set_vgpr_msb 64                       ;  msbs: dst=1 src0=0 src1=0 src2=0
	v_and_b32_e32 v13 /*v269*/, 15, v6
	v_bfe_u32 v14 /*v270*/, v6, 8, 4
	v_bfe_u32 v15 /*v271*/, v6, 16, 4
	;; [unrolled: 1-line block ×3, first 2 shown]
	v_and_b32_e32 v17 /*v273*/, 15, v7
	v_bfe_u32 v18 /*v274*/, v7, 8, 4
	v_bfe_u32 v19 /*v275*/, v7, 16, 4
	v_bfe_u32 v20 /*v276*/, v7, 24, 4
	s_set_vgpr_msb 0                        ;  msbs: dst=0 src0=0 src1=0 src2=0
	v_bfe_u32 v187, v6, 20, 4
	v_bfe_u32 v189, v6, 4, 4
	;; [unrolled: 1-line block ×3, first 2 shown]
	v_lshrrev_b32_e32 v188, 28, v6
	v_bfe_u32 v177, v7, 20, 4
	s_wait_dscnt 0x1
	v_and_b32_e32 v221, 15, v0
	v_bfe_u32 v222, v0, 8, 4
	v_bfe_u32 v223, v0, 16, 4
	;; [unrolled: 1-line block ×3, first 2 shown]
	s_wait_dscnt 0x0
	v_dual_lshrrev_b32 v166, 28, v2 :: v_dual_bitop2_b32 v229, 15, v2 bitop3:0x40
	v_bfe_u32 v230, v2, 8, 4
	v_bfe_u32 v231, v2, 16, 4
	;; [unrolled: 1-line block ×6, first 2 shown]
	v_lshrrev_b32_e32 v176, 28, v0
	v_bfe_u32 v165, v2, 20, 4
	v_bfe_u32 v167, v2, 4, 4
	;; [unrolled: 1-line block ×3, first 2 shown]
	v_add_nc_u32_e32 v0, 0x2100, v121
	v_add_nc_u32_e32 v2, 0x2108, v121
	v_dual_lshrrev_b32 v170, 28, v1 :: v_dual_bitop2_b32 v225, 15, v1 bitop3:0x40
	v_bfe_u32 v226, v1, 8, 4
	v_bfe_u32 v227, v1, 16, 4
	;; [unrolled: 1-line block ×3, first 2 shown]
	v_dual_lshrrev_b32 v159, 28, v3 :: v_dual_bitop2_b32 v233, 15, v3 bitop3:0x40
	v_bfe_u32 v234, v3, 8, 4
	v_bfe_u32 v235, v3, 16, 4
	;; [unrolled: 1-line block ×9, first 2 shown]
	ds_load_2addr_b32 v[0:1], v0 offset1:1
	ds_load_2addr_b32 v[2:3], v2 offset1:1
	v_add_nc_u32_e32 v4, 0x2110, v121
	v_and_b32_e32 v237, 15, v82
	v_bfe_u32 v180, v7, 4, 4
	v_bfe_u32 v181, v7, 12, 4
	v_lshrrev_b32_e32 v179, 28, v7
	ds_load_2addr_b32 v[4:5], v4 offset1:1
	ds_load_u16 v10, v9 offset:17920
	ds_load_u16 v9, v9 offset:17928
	v_and_b32_e32 v241, 15, v83
	v_and_b32_e32 v183, 15, v74
	s_set_vgpr_msb 64                       ;  msbs: dst=1 src0=0 src1=0 src2=0
	v_add3_u32 v34 /*v290*/, v98, s21, v8
	s_set_vgpr_msb 0                        ;  msbs: dst=0 src0=0 src1=0 src2=0
	v_dual_lshrrev_b32 v134, 4, v73 :: v_dual_bitop2_b32 v133, 15, v78 bitop3:0x40
	v_bfe_u32 v162, v78, 8, 4
	v_bfe_u32 v163, v78, 16, 4
	;; [unrolled: 1-line block ×6, first 2 shown]
	s_wait_dscnt 0x4
	v_and_b32_e32 v245, 15, v0
	v_bfe_u32 v246, v0, 8, 4
	v_bfe_u32 v247, v0, 16, 4
	;; [unrolled: 1-line block ×3, first 2 shown]
	s_wait_dscnt 0x3
	s_set_vgpr_msb 64                       ;  msbs: dst=1 src0=0 src1=0 src2=0
	v_dual_lshrrev_b32 v25 /*v281*/, 28, v0 :: v_dual_bitop2_b32 v1 /*v257*/, 15, v3 bitop3:0x40
	v_bfe_u32 v22 /*v278*/, v0, 20, 4
	v_bfe_u32 v23 /*v279*/, v0, 4, 4
	;; [unrolled: 1-line block ×3, first 2 shown]
	s_set_vgpr_msb 0                        ;  msbs: dst=0 src0=0 src1=0 src2=0
	v_add_nc_u32_e32 v0, 0x3180, v121
	s_wait_dscnt 0x1
	v_lshrrev_b16 v11, 8, v10
	v_and_b32_e32 v249, 15, v1
	v_bfe_u32 v250, v1, 8, 4
	v_bfe_u32 v251, v1, 16, 4
	ds_load_2addr_b32 v[84:85], v0 offset1:1
	v_bfe_u32 v252, v1, 24, 4
	v_and_b32_e32 v253, 15, v2
	v_bfe_u32 v254, v2, 8, 4
	v_bfe_u32 v255, v2, 16, 4
	s_set_vgpr_msb 64                       ;  msbs: dst=1 src0=0 src1=0 src2=0
	v_bfe_u32 v0 /*v256*/, v2, 24, 4
	v_bfe_u32 v2 /*v258*/, v3, 8, 4
	;; [unrolled: 1-line block ×4, first 2 shown]
	v_dual_lshrrev_b32 v29 /*v285*/, 28, v1 :: v_dual_bitop2_b32 v5 /*v261*/, 15, v4 bitop3:0x40
	v_bfe_u32 v6 /*v262*/, v4, 8, 4
	v_bfe_u32 v7 /*v263*/, v4, 16, 4
	;; [unrolled: 1-line block ×3, first 2 shown]
	v_dual_lshrrev_b32 v33 /*v289*/, 28, v2 :: v_dual_bitop2_b32 v9 /*v265*/, 15, v5 bitop3:0x40
	v_bfe_u32 v10 /*v266*/, v5, 8, 4
	v_bfe_u32 v11 /*v267*/, v5, 16, 4
	;; [unrolled: 1-line block ×3, first 2 shown]
	v_and_b32_e32 v21 /*v277*/, 0xff, v10
	s_wait_dscnt 0x0
	s_set_vgpr_msb 0                        ;  msbs: dst=0 src0=0 src1=0 src2=0
	v_and_b32_e32 v0, 0xf0f0f0f, v84
	v_cvt_f32_ubyte0_e32 v76, v9
	s_set_vgpr_msb 64                       ;  msbs: dst=1 src0=0 src1=0 src2=0
	v_bfe_u32 v26 /*v282*/, v1, 20, 4
	v_bfe_u32 v27 /*v283*/, v1, 4, 4
	;; [unrolled: 1-line block ×6, first 2 shown]
	s_set_vgpr_msb 0                        ;  msbs: dst=0 src0=0 src1=0 src2=0
	v_bfe_u32 v203, v3, 20, 4
	v_bfe_u32 v205, v3, 4, 4
	v_bfe_u32 v206, v3, 12, 4
	v_lshrrev_b32_e32 v204, 28, v3
	v_bfe_u32 v195, v4, 20, 4
	v_bfe_u32 v197, v4, 4, 4
	v_bfe_u32 v198, v4, 12, 4
	v_lshrrev_b32_e32 v196, 28, v4
	;; [unrolled: 4-line block ×3, first 2 shown]
	v_and_b32_e32 v178, 0xffff, v11
	v_cvt_f32_ubyte1_e32 v77, v9
	s_set_vgpr_msb 64                       ;  msbs: dst=1 src0=0 src1=0 src2=0
	v_lshrrev_b16 v36 /*v292*/, 8, v0
	s_set_vgpr_msb 0                        ;  msbs: dst=0 src0=0 src1=0 src2=0
	ds_load_b128 v[208:211], v117
	ds_load_b128 v[8:11], v117 offset:16
	ds_load_b128 v[4:7], v117 offset:32
	;; [unrolled: 1-line block ×3, first 2 shown]
	v_bfe_u32 v240, v82, 24, 4
	v_bfe_u32 v131, v79, 16, 4
	;; [unrolled: 1-line block ×6, first 2 shown]
	v_dual_lshrrev_b32 v146, 4, v75 :: v_dual_bitop2_b32 v81, 15, v72 bitop3:0x40
	v_bfe_u32 v126, v72, 8, 4
	v_bfe_u32 v127, v72, 16, 4
	v_bfe_u32 v128, v72, 24, 4
	v_bfe_u32 v184, v74, 8, 4
	v_bfe_u32 v185, v74, 16, 4
	v_bfe_u32 v186, v74, 24, 4
	v_bfe_u32 v80, v73, 8, 4
	v_bfe_u32 v182, v75, 8, 4
	s_wait_dscnt 0x3
	s_set_vgpr_msb 64                       ;  msbs: dst=1 src0=0 src1=0 src2=0
	v_lshrrev_b16 v37 /*v293*/, 8, v208
	v_ashrrev_i32_e32 v41 /*v297*/, 24, v208
	v_bfe_i32 v42 /*v298*/, v208, 16, 8
	s_set_vgpr_msb 0                        ;  msbs: dst=0 src0=0 src1=0 src2=0
	v_bfe_i32 v208, v208, 0, 8
	s_set_vgpr_msb 0x41                     ;  msbs: dst=1 src0=1 src1=0 src2=0
	v_lshrrev_b16 v38 /*v294*/, 8, v209
	v_bfe_i32 v37 /*v293*/, v37 /*v293*/, 0, 8
	s_set_vgpr_msb 1                        ;  msbs: dst=0 src0=1 src1=0 src2=0
	v_mul_i32_i24_e32 v212, v41 /*v297*/, v212
	v_mul_i32_i24_e32 v207, v42 /*v298*/, v207
	s_set_vgpr_msb 0                        ;  msbs: dst=0 src0=0 src1=0 src2=0
	v_mul_i32_i24_e32 v86, v208, v86
	s_set_vgpr_msb 64                       ;  msbs: dst=1 src0=0 src1=0 src2=0
	v_lshrrev_b16 v39 /*v295*/, 8, v210
	v_lshrrev_b16 v40 /*v296*/, 8, v211
	v_bfe_u32 v35 /*v291*/, v84, 24, 4
	s_set_vgpr_msb 0                        ;  msbs: dst=0 src0=0 src1=0 src2=0
	v_bfe_u32 v136, v78, 4, 4
	s_set_vgpr_msb 1                        ;  msbs: dst=0 src0=1 src1=0 src2=0
	v_mad_i32_i24 v86, v37 /*v293*/, v87, v86
	s_set_vgpr_msb 0                        ;  msbs: dst=0 src0=0 src1=0 src2=0
	v_mul_i32_i24_e32 v87, v208, v221
	s_set_vgpr_msb 1                        ;  msbs: dst=0 src0=1 src1=0 src2=0
	v_mul_i32_i24_e32 v221, v41 /*v297*/, v248
	s_set_vgpr_msb 0                        ;  msbs: dst=0 src0=0 src1=0 src2=0
	v_bfe_u32 v156, v82, 4, 4
	v_bfe_u32 v137, v78, 12, 4
	v_add3_u32 v86, v86, v207, v212
	s_set_vgpr_msb 1                        ;  msbs: dst=0 src0=1 src1=0 src2=0
	v_mul_i32_i24_e32 v207, v42 /*v298*/, v223
	v_mul_i32_i24_e32 v212, v41 /*v297*/, v224
	v_mad_i32_i24 v87, v37 /*v293*/, v222, v87
	v_and_b32_e32 v224, 0xf0f0f0f, v85
	s_set_vgpr_msb 4                        ;  msbs: dst=0 src0=0 src1=1 src2=0
	v_bfe_u32 v223, v85, 24, 4
	v_and_b32_e32 v222, 0xffff, v36 /*v292*/
	v_bfe_u32 v157, v82, 12, 4
	s_set_vgpr_msb 0                        ;  msbs: dst=0 src0=0 src1=0 src2=0
	v_add3_u32 v87, v87, v207, v212
	v_mul_i32_i24_e32 v207, v208, v245
	s_set_vgpr_msb 1                        ;  msbs: dst=0 src0=1 src1=0 src2=0
	v_mul_i32_i24_e32 v212, v42 /*v298*/, v247
	v_ashrrev_i32_e32 v245, 24, v209
	s_set_vgpr_msb 0                        ;  msbs: dst=0 src0=0 src1=0 src2=0
	v_bfe_i32 v247, v209, 16, 8
	v_bfe_i32 v209, v209, 0, 8
	s_set_vgpr_msb 1                        ;  msbs: dst=0 src0=1 src1=0 src2=0
	v_mad_i32_i24 v207, v37 /*v293*/, v246, v207
	v_bfe_i32 v246, v38 /*v294*/, 0, 8
	s_set_vgpr_msb 0                        ;  msbs: dst=0 src0=0 src1=0 src2=0
	v_mul_i32_i24_e32 v216, v245, v216
	v_mul_i32_i24_e32 v215, v247, v215
	;; [unrolled: 1-line block ×6, first 2 shown]
	v_add3_u32 v207, v207, v212, v221
	v_mul_i32_i24_e32 v227, v247, v227
	v_mul_i32_i24_e32 v228, v245, v228
	v_add3_u32 v86, v86, v214, v213
	v_mul_i32_i24_e32 v248, v209, v249
	v_mul_i32_i24_e32 v249, v246, v250
	;; [unrolled: 1-line block ×4, first 2 shown]
	v_add3_u32 v213, v86, v215, v216
	v_add3_u32 v86, v87, v226, v225
	v_lshrrev_b16 v224, 8, v224
	v_and_b32_e32 v215, 15, v85
	v_dual_ashrrev_i32 v226, 24, v210 :: v_dual_bitop2_b32 v221, 15, v84 bitop3:0x40
	s_delay_alu instid0(VALU_DEP_4)
	v_add3_u32 v214, v86, v227, v228
	v_add3_u32 v86, v207, v249, v248
	v_and_b32_e32 v87, 0xffff, v224
	v_mul_i32_i24_e32 v209, v215, v209
	s_set_vgpr_msb 1                        ;  msbs: dst=0 src0=1 src1=0 src2=0
	v_bfe_i32 v227, v39 /*v295*/, 0, 8
	s_set_vgpr_msb 0                        ;  msbs: dst=0 src0=0 src1=0 src2=0
	v_bfe_i32 v228, v210, 16, 8
	v_add3_u32 v207, v86, v250, v251
	v_bfe_u32 v86, v85, 16, 4
	v_mul_i32_i24_e32 v215, v87, v246
	v_bfe_i32 v210, v210, 0, 8
	v_mul_i32_i24_e32 v218, v227, v218
	v_mul_i32_i24_e32 v219, v228, v219
	;; [unrolled: 1-line block ×3, first 2 shown]
	v_add_nc_u32_e32 v86, 0x3188, v121
	v_mul_i32_i24_e32 v217, v210, v217
	v_mul_i32_i24_e32 v220, v226, v220
	;; [unrolled: 1-line block ×4, first 2 shown]
	ds_load_2addr_b32 v[86:87], v86 offset1:1
	v_add3_u32 v213, v213, v218, v217
	v_mul_i32_i24_e32 v223, v223, v245
	v_mul_i32_i24_e32 v231, v228, v231
	;; [unrolled: 1-line block ×4, first 2 shown]
	v_add3_u32 v213, v213, v219, v220
	v_mul_i32_i24_e32 v246, v227, v254
	s_set_vgpr_msb 4                        ;  msbs: dst=0 src0=0 src1=1 src2=0
	v_mul_i32_i24_e32 v248, v226, v0 /*v256*/
	s_set_vgpr_msb 0                        ;  msbs: dst=0 src0=0 src1=0 src2=0
	v_add3_u32 v214, v214, v230, v229
	v_mul_i32_i24_e32 v247, v228, v255
	v_bfe_u32 v212, v84, 16, 4
	v_add3_u32 v207, v207, v246, v245
	s_set_vgpr_msb 4                        ;  msbs: dst=0 src0=0 src1=1 src2=0
	v_mul_i32_i24_e32 v222, v222, v37 /*v293*/
	s_set_vgpr_msb 0                        ;  msbs: dst=0 src0=0 src1=0 src2=0
	v_add3_u32 v214, v214, v231, v232
	v_bfe_u32 v135, v78, 20, 4
	v_bfe_u32 v155, v82, 20, 4
	v_add3_u32 v207, v207, v247, v248
	v_lshrrev_b32_e32 v82, 28, v82
	v_lshrrev_b32_e32 v78, 28, v78
	s_wait_dscnt 0x0
	v_and_b32_e32 v225, 0xf0f0f0f, v86
	v_bfe_u32 v224, v86, 24, 4
	v_and_b32_e32 v219, 15, v86
	v_bfe_u32 v217, v86, 16, 4
	v_bfe_u32 v220, v87, 24, 4
	v_lshrrev_b16 v225, 8, v225
	v_bfe_u32 v122, v73, 16, 4
	v_mul_i32_i24_e32 v210, v219, v210
	v_mul_i32_i24_e32 v219, v224, v226
	s_set_vgpr_msb 1                        ;  msbs: dst=0 src0=1 src1=0 src2=0
	v_bfe_i32 v226, v40 /*v296*/, 0, 8
	v_and_b32_e32 v218, 0xffff, v225
	v_ashrrev_i32_e32 v225, 24, v211
	s_set_vgpr_msb 0                        ;  msbs: dst=0 src0=0 src1=0 src2=0
	v_mul_i32_i24_e32 v217, v217, v228
	v_and_b32_e32 v224, 0xf0f0f0f, v87
	v_mul_i32_i24_e32 v200, v226, v200
	v_mul_i32_i24_e32 v218, v218, v227
	v_bfe_i32 v227, v211, 16, 8
	v_bfe_i32 v211, v211, 0, 8
	v_mul_i32_i24_e32 v229, v226, v234
	v_mul_i32_i24_e32 v202, v225, v202
	;; [unrolled: 1-line block ×7, first 2 shown]
	s_set_vgpr_msb 4                        ;  msbs: dst=0 src0=0 src1=1 src2=0
	v_mul_i32_i24_e32 v232, v211, v1 /*v257*/
	v_mul_i32_i24_e32 v233, v226, v2 /*v258*/
	s_set_vgpr_msb 0                        ;  msbs: dst=0 src0=0 src1=0 src2=0
	v_add3_u32 v199, v213, v200, v199
	v_add3_u32 v200, v214, v229, v228
	s_set_vgpr_msb 4                        ;  msbs: dst=0 src0=0 src1=1 src2=0
	v_mul_i32_i24_e32 v234, v227, v3 /*v259*/
	v_mul_i32_i24_e32 v235, v225, v4 /*v260*/
	s_set_vgpr_msb 0                        ;  msbs: dst=0 src0=0 src1=0 src2=0
	v_lshrrev_b16 v224, 8, v224
	v_add3_u32 v199, v199, v201, v202
	v_add3_u32 v202, v200, v230, v231
	;; [unrolled: 1-line block ×3, first 2 shown]
	v_and_b32_e32 v213, 15, v87
	v_and_b32_e32 v201, 0xffff, v224
	v_mul_i32_i24_e32 v220, v220, v225
	v_ashrrev_i32_e32 v230, 24, v8
	v_add3_u32 v207, v200, v234, v235
	v_bfe_u32 v200, v87, 16, 4
	v_mul_i32_i24_e32 v211, v213, v211
	v_mul_i32_i24_e32 v213, v201, v226
	v_lshrrev_b16 v226, 8, v8
	v_bfe_i32 v231, v8, 16, 8
	v_mul_i32_i24_e32 v214, v200, v227
	v_add_nc_u32_e32 v200, 0x3190, v121
	v_bfe_i32 v8, v8, 0, 8
	v_bfe_i32 v226, v226, 0, 8
	v_lshrrev_b16 v227, 8, v9
	v_mul_i32_i24_e32 v163, v231, v163
	ds_load_2addr_b32 v[200:201], v200 offset1:1
	v_mul_i32_i24_e32 v133, v8, v133
	v_mul_i32_i24_e32 v162, v226, v162
	;; [unrolled: 1-line block ×4, first 2 shown]
	s_set_vgpr_msb 4                        ;  msbs: dst=0 src0=0 src1=1 src2=0
	v_mul_i32_i24_e32 v236, v8, v5 /*v261*/
	v_mul_i32_i24_e32 v237, v226, v6 /*v262*/
	s_set_vgpr_msb 0                        ;  msbs: dst=0 src0=0 src1=0 src2=0
	v_add3_u32 v133, v199, v162, v133
	v_mul_i32_i24_e32 v233, v226, v238
	v_mul_i32_i24_e32 v234, v231, v239
	;; [unrolled: 1-line block ×3, first 2 shown]
	s_set_vgpr_msb 4                        ;  msbs: dst=0 src0=0 src1=1 src2=0
	v_mul_i32_i24_e32 v238, v231, v7 /*v263*/
	s_set_vgpr_msb 0                        ;  msbs: dst=0 src0=0 src1=0 src2=0
	v_add3_u32 v133, v133, v163, v164
	v_add3_u32 v163, v207, v237, v236
	s_set_vgpr_msb 4                        ;  msbs: dst=0 src0=0 src1=1 src2=0
	v_mul_i32_i24_e32 v239, v230, v8 /*v264*/
	s_set_vgpr_msb 0                        ;  msbs: dst=0 src0=0 src1=0 src2=0
	v_add3_u32 v162, v202, v233, v232
	v_lshrrev_b16 v228, 8, v10
	v_lshrrev_b16 v229, 8, v11
	v_bfe_u32 v123, v75, 16, 4
	v_add3_u32 v163, v163, v238, v239
	s_wait_dscnt 0x0
	v_and_b32_e32 v225, 0xf0f0f0f, v200
	v_bfe_u32 v224, v200, 24, 4
	v_add3_u32 v162, v162, v234, v235
	v_bfe_u32 v164, v200, 16, 4
	v_and_b32_e32 v202, 15, v200
	v_lshrrev_b16 v225, 8, v225
	v_mul_i32_i24_e32 v207, v224, v230
	v_and_b32_e32 v224, 0xf0f0f0f, v201
	v_mul_i32_i24_e32 v164, v164, v231
	s_add_co_i32 s21, s20, 8
	v_and_b32_e32 v199, 0xffff, v225
	v_ashrrev_i32_e32 v225, 24, v9
	v_lshrrev_b16 v224, 8, v224
	s_add_co_i32 s20, s20, 16
	v_add_nc_u32_e32 v117, 64, v117
	v_mul_i32_i24_e32 v199, v199, v226
	v_bfe_i32 v226, v227, 0, 8
	v_bfe_i32 v227, v9, 16, 8
	;; [unrolled: 1-line block ×3, first 2 shown]
	v_mul_i32_i24_e32 v132, v225, v132
	v_mul_i32_i24_e32 v233, v225, v244
	v_mul_i32_i24_e32 v130, v226, v130
	v_mul_i32_i24_e32 v131, v227, v131
	v_mul_i32_i24_e32 v129, v9, v129
	s_set_vgpr_msb 4                        ;  msbs: dst=0 src0=0 src1=1 src2=0
	v_mul_i32_i24_e32 v234, v9, v9 /*v265*/
	v_mul_i32_i24_e32 v235, v226, v10 /*v266*/
	s_set_vgpr_msb 0                        ;  msbs: dst=0 src0=0 src1=0 src2=0
	v_mul_i32_i24_e32 v230, v9, v241
	v_mul_i32_i24_e32 v231, v226, v242
	v_add3_u32 v129, v133, v130, v129
	v_and_b32_e32 v133, 0xffff, v224
	s_set_vgpr_msb 4                        ;  msbs: dst=0 src0=0 src1=1 src2=0
	v_mul_i32_i24_e32 v237, v225, v12 /*v268*/
	s_set_vgpr_msb 0                        ;  msbs: dst=0 src0=0 src1=0 src2=0
	v_mul_i32_i24_e32 v232, v227, v243
	v_add3_u32 v130, v162, v231, v230
	v_add3_u32 v129, v129, v131, v132
	;; [unrolled: 1-line block ×3, first 2 shown]
	v_mul_i32_i24_e32 v163, v133, v226
	v_ashrrev_i32_e32 v226, 24, v10
	v_mul_i32_i24_e32 v202, v202, v8
	v_bfe_u32 v8, v201, 24, 4
	v_and_b32_e32 v162, 15, v201
	v_bfe_u32 v132, v201, 16, 4
	s_set_vgpr_msb 4                        ;  msbs: dst=0 src0=0 src1=1 src2=0
	v_mul_i32_i24_e32 v236, v227, v11 /*v267*/
	s_set_vgpr_msb 0                        ;  msbs: dst=0 src0=0 src1=0 src2=0
	v_add3_u32 v130, v130, v232, v233
	v_mul_i32_i24_e32 v225, v8, v225
	v_add_nc_u32_e32 v8, 0x3198, v121
	v_mul_i32_i24_e32 v162, v162, v9
	v_mul_i32_i24_e32 v224, v132, v227
	v_bfe_i32 v227, v228, 0, 8
	v_bfe_i32 v228, v10, 16, 8
	ds_load_2addr_b32 v[8:9], v8 offset1:1
	v_bfe_i32 v10, v10, 0, 8
	v_mul_i32_i24_e32 v128, v226, v128
	v_mul_i32_i24_e32 v126, v227, v126
	;; [unrolled: 1-line block ×6, first 2 shown]
	v_add3_u32 v131, v131, v236, v237
	v_mul_i32_i24_e32 v185, v228, v185
	v_mul_i32_i24_e32 v186, v226, v186
	v_add3_u32 v81, v129, v126, v81
	s_set_vgpr_msb 4                        ;  msbs: dst=0 src0=0 src1=1 src2=0
	v_mul_i32_i24_e32 v230, v10, v13 /*v269*/
	v_mul_i32_i24_e32 v231, v227, v14 /*v270*/
	;; [unrolled: 1-line block ×4, first 2 shown]
	s_set_vgpr_msb 0                        ;  msbs: dst=0 src0=0 src1=0 src2=0
	v_add3_u32 v126, v81, v127, v128
	v_add3_u32 v81, v130, v184, v183
	s_cmp_lt_u32 s20, 24
	s_mov_b32 s20, s21
	s_wait_dscnt 0x0
	v_and_b32_e32 v133, 0xf0f0f0f, v8
	v_bfe_u32 v128, v8, 16, 4
	v_bfe_u32 v132, v8, 24, 4
	v_add3_u32 v127, v81, v185, v186
	v_add3_u32 v81, v131, v231, v230
	v_lshrrev_b16 v133, 8, v133
	v_and_b32_e32 v130, 15, v8
	v_mul_i32_i24_e32 v184, v128, v228
	v_and_b32_e32 v128, 0xf0f0f0f, v9
	v_and_b32_e32 v131, 15, v75
	v_and_b32_e32 v129, 0xffff, v133
	v_mul_i32_i24_e32 v10, v130, v10
	v_mul_i32_i24_e32 v185, v132, v226
	v_lshrrev_b16 v226, 8, v128
	v_ashrrev_i32_e32 v128, 24, v11
	v_mul_i32_i24_e32 v183, v129, v227
	v_bfe_i32 v227, v229, 0, 8
	v_bfe_i32 v130, v11, 16, 8
	;; [unrolled: 1-line block ×3, first 2 shown]
	v_add3_u32 v81, v81, v232, v233
	s_set_vgpr_msb 4                        ;  msbs: dst=0 src0=0 src1=1 src2=0
	v_mul_i32_i24_e32 v228, v128, v20 /*v276*/
	s_set_vgpr_msb 0                        ;  msbs: dst=0 src0=0 src1=0 src2=0
	v_mul_i32_i24_e32 v129, v227, v80
	v_and_b32_e32 v80, 15, v73
	s_set_vgpr_msb 4                        ;  msbs: dst=0 src0=0 src1=1 src2=0
	v_mul_i32_i24_e32 v133, v227, v18 /*v274*/
	v_bfe_u32 v186, v9, 24, 4
	s_set_vgpr_msb 0                        ;  msbs: dst=0 src0=0 src1=0 src2=0
	v_add_nc_u32_e32 v121, 32, v121
	v_perm_b32 v80, v131, v80, 0x5040100
	v_mul_i32_i24_e32 v131, v227, v182
	s_set_vgpr_msb 4                        ;  msbs: dst=0 src0=0 src1=1 src2=0
	v_mul_i32_i24_e32 v182, v130, v19 /*v275*/
	s_set_vgpr_msb 0                        ;  msbs: dst=0 src0=0 src1=0 src2=0
	v_pk_mul_lo_u16 v132, v80, v11 op_sel_hi:[1,0]
	s_set_vgpr_msb 4                        ;  msbs: dst=0 src0=0 src1=1 src2=0
	v_mul_i32_i24_e32 v80, v11, v17 /*v273*/
	s_set_vgpr_msb 0                        ;  msbs: dst=0 src0=0 src1=0 src2=0
	s_delay_alu instid0(VALU_DEP_1) | instskip(SKIP_1) | instid1(VALU_DEP_2)
	v_add3_u32 v80, v81, v133, v80
	v_and_b32_e32 v81, 0xffff, v226
	v_add3_u32 v80, v80, v182, v228
	v_and_b32_e32 v182, 15, v9
	s_delay_alu instid0(VALU_DEP_3) | instskip(SKIP_1) | instid1(VALU_DEP_3)
	v_mul_i32_i24_e32 v81, v81, v227
	s_set_vgpr_msb 4                        ;  msbs: dst=0 src0=0 src1=1 src2=0
	v_mul_lo_u32 v80, v80, v21 /*v277*/
	s_set_vgpr_msb 0                        ;  msbs: dst=0 src0=0 src1=0 src2=0
	v_mul_i32_i24_e32 v11, v182, v11
	v_mul_i32_i24_e32 v182, v186, v128
	v_mad_i32_i24 v186, v221, v208, v209
	s_set_vgpr_msb 5                        ;  msbs: dst=0 src0=1 src1=1 src2=0
	v_mad_i32_i24 v209, v35 /*v291*/, v41 /*v297*/, v223
	s_set_vgpr_msb 4                        ;  msbs: dst=0 src0=0 src1=1 src2=0
	v_mad_i32_i24 v208, v212, v42 /*v298*/, v216
	s_set_vgpr_msb 0                        ;  msbs: dst=0 src0=0 src1=0 src2=0
	v_add3_u32 v212, v222, v215, v218
	v_add3_u32 v186, v186, v210, v211
	;; [unrolled: 1-line block ×4, first 2 shown]
	v_cvt_f32_i32_e32 v133, v80
	v_bfe_u32 v80, v9, 16, 4
	v_add3_u32 v199, v212, v213, v199
	v_add3_u32 v207, v209, v207, v225
	;; [unrolled: 1-line block ×4, first 2 shown]
	v_mul_i32_i24_e32 v80, v80, v130
	v_add3_u32 v163, v199, v163, v183
	v_add3_u32 v182, v207, v185, v182
	;; [unrolled: 1-line block ×3, first 2 shown]
	v_ashrrev_i32_e32 v185, 24, v4
	v_add3_u32 v80, v164, v184, v80
	v_lshrrev_b16 v164, 8, v4
	v_add3_u32 v11, v163, v81, v182
	v_bfe_i32 v186, v4, 16, 8
	v_bfe_i32 v4, v4, 0, 8
	v_mul_i32_i24_e32 v154, v185, v154
	v_bfe_i32 v164, v164, 0, 8
	v_add3_u32 v10, v10, v80, v11
	s_set_vgpr_msb 1                        ;  msbs: dst=0 src0=1 src1=0 src2=0
	ds_load_u16 v11, v34 /*v290*/ offset:18432
	ds_load_u16 v162, v34 /*v290*/ offset:18440
	s_set_vgpr_msb 0                        ;  msbs: dst=0 src0=0 src1=0 src2=0
	v_mul_i32_i24_e32 v153, v4, v153
	v_mul_i32_i24_e32 v151, v186, v151
	v_lshrrev_b16 v182, 8, v5
	v_lshrrev_b16 v183, 8, v6
	;; [unrolled: 1-line block ×3, first 2 shown]
	v_mad_i32_i24 v152, v164, v152, v153
	v_mul_i32_i24_e32 v153, v186, v173
	s_set_vgpr_msb 4                        ;  msbs: dst=0 src0=0 src1=1 src2=0
	v_mul_i32_i24_e32 v173, v185, v25 /*v281*/
	s_set_vgpr_msb 0                        ;  msbs: dst=0 src0=0 src1=0 src2=0
	v_add3_u32 v151, v152, v151, v154
	v_mul_i32_i24_e32 v152, v4, v175
	v_mul_i32_i24_e32 v154, v185, v176
	v_bfe_i32 v175, v182, 0, 8
	v_bfe_i32 v176, v5, 16, 8
	s_delay_alu instid0(VALU_DEP_4)
	v_mad_i32_i24 v152, v164, v174, v152
	v_ashrrev_i32_e32 v174, 24, v5
	s_wait_dscnt 0x1
	v_lshrrev_b16 v163, 8, v11
	v_and_b32_e32 v11, 0xff, v11
	v_bfe_i32 v5, v5, 0, 8
	v_add3_u32 v152, v152, v153, v154
	s_set_vgpr_msb 4                        ;  msbs: dst=0 src0=0 src1=1 src2=0
	v_mul_i32_i24_e32 v153, v4, v23 /*v279*/
	v_mul_i32_i24_e32 v154, v186, v22 /*v278*/
	s_set_vgpr_msb 0                        ;  msbs: dst=0 src0=0 src1=0 src2=0
	v_mul_lo_u32 v10, v10, v11
	v_lshrrev_b32_e32 v11, 28, v84
	v_mul_i32_i24_e32 v149, v5, v149
	s_set_vgpr_msb 4                        ;  msbs: dst=0 src0=0 src1=1 src2=0
	v_mad_i32_i24 v153, v164, v24 /*v280*/, v153
	s_set_vgpr_msb 0                        ;  msbs: dst=0 src0=0 src1=0 src2=0
	v_mul_i32_i24_e32 v150, v175, v150
	v_mul_i32_i24_e32 v147, v176, v147
	;; [unrolled: 1-line block ×4, first 2 shown]
	v_add3_u32 v153, v153, v154, v173
	v_bfe_u32 v154, v84, 20, 4
	v_bfe_u32 v173, v84, 4, 4
	v_cvt_f32_i32_e32 v80, v10
	v_dual_lshrrev_b32 v10, 4, v84 :: v_dual_lshrrev_b32 v84, 4, v85
	v_mul_i32_i24_e32 v172, v175, v172
	v_add3_u32 v149, v151, v149, v150
	v_bfe_u32 v150, v85, 20, 4
	s_delay_alu instid0(VALU_DEP_4)
	v_lshrrev_b16 v10, 8, v10
	v_lshrrev_b16 v84, 8, v84
	v_mul_i32_i24_e32 v169, v176, v169
	v_mul_i32_i24_e32 v170, v174, v170
	s_set_vgpr_msb 4                        ;  msbs: dst=0 src0=0 src1=1 src2=0
	v_mul_i32_i24_e32 v182, v5, v27 /*v283*/
	s_set_vgpr_msb 0                        ;  msbs: dst=0 src0=0 src1=0 src2=0
	v_and_b32_e32 v10, 15, v10
	v_and_b32_e32 v84, 15, v84
	s_set_vgpr_msb 4                        ;  msbs: dst=0 src0=0 src1=1 src2=0
	v_mul_i32_i24_e32 v199, v175, v28 /*v284*/
	s_set_vgpr_msb 0                        ;  msbs: dst=0 src0=0 src1=0 src2=0
	v_add3_u32 v147, v149, v147, v148
	v_add3_u32 v148, v152, v171, v172
	v_and_b32_e32 v10, 0xffff, v10
	v_and_b32_e32 v84, 0xffff, v84
	v_add3_u32 v149, v153, v182, v199
	v_ashrrev_i32_e32 v153, 24, v6
	v_add3_u32 v148, v148, v169, v170
	v_mul_i32_i24_e32 v10, v10, v164
	v_lshrrev_b32_e32 v164, 28, v85
	v_bfe_u32 v85, v85, 4, 4
	v_mul_i32_i24_e32 v151, v84, v175
	v_lshrrev_b32_e32 v84, 4, v86
	v_bfe_i32 v169, v6, 16, 8
	v_mul_i32_i24_e32 v152, v164, v174
	v_mul_i32_i24_e32 v5, v85, v5
	v_lshrrev_b32_e32 v85, 28, v86
	v_lshrrev_b16 v84, 8, v84
	v_bfe_i32 v164, v183, 0, 8
	v_bfe_i32 v6, v6, 0, 8
	s_set_vgpr_msb 4                        ;  msbs: dst=0 src0=0 src1=1 src2=0
	v_mul_i32_i24_e32 v202, v176, v26 /*v282*/
	v_mul_i32_i24_e32 v207, v174, v29 /*v285*/
	s_set_vgpr_msb 0                        ;  msbs: dst=0 src0=0 src1=0 src2=0
	v_and_b32_e32 v84, 15, v84
	v_mul_i32_i24_e32 v145, v164, v145
	v_mul_i32_i24_e32 v144, v6, v144
	;; [unrolled: 1-line block ×3, first 2 shown]
	s_set_vgpr_msb 4                        ;  msbs: dst=0 src0=0 src1=1 src2=0
	v_mul_i32_i24_e32 v170, v6, v31 /*v287*/
	s_set_vgpr_msb 0                        ;  msbs: dst=0 src0=0 src1=0 src2=0
	v_and_b32_e32 v84, 0xffff, v84
	v_add3_u32 v149, v149, v202, v207
	v_add3_u32 v144, v147, v144, v145
	v_bfe_u32 v145, v86, 20, 4
	v_bfe_u32 v86, v86, 4, 4
	v_mul_i32_i24_e32 v142, v169, v142
	v_mul_i32_i24_e32 v143, v153, v143
	v_mul_i32_i24_e32 v168, v164, v168
	s_set_vgpr_msb 4                        ;  msbs: dst=0 src0=0 src1=1 src2=0
	v_mul_i32_i24_e32 v171, v164, v32 /*v288*/
	s_set_vgpr_msb 0                        ;  msbs: dst=0 src0=0 src1=0 src2=0
	v_mul_i32_i24_e32 v6, v86, v6
	v_mul_i32_i24_e32 v86, v84, v164
	v_lshrrev_b32_e32 v84, 4, v87
	v_mul_i32_i24_e32 v147, v85, v153
	v_lshrrev_b32_e32 v85, 28, v87
	v_mul_i32_i24_e32 v166, v153, v166
	s_set_vgpr_msb 4                        ;  msbs: dst=0 src0=0 src1=1 src2=0
	v_mul_i32_i24_e32 v174, v153, v33 /*v289*/
	s_set_vgpr_msb 0                        ;  msbs: dst=0 src0=0 src1=0 src2=0
	v_lshrrev_b16 v84, 8, v84
	v_add3_u32 v142, v144, v142, v143
	v_add3_u32 v143, v148, v167, v168
	;; [unrolled: 1-line block ×3, first 2 shown]
	s_delay_alu instid0(VALU_DEP_4)
	v_dual_ashrrev_i32 v148, 24, v7 :: v_dual_bitop2_b32 v84, 15, v84 bitop3:0x40
	v_bfe_i32 v149, v184, 0, 8
	v_bfe_i32 v153, v7, 16, 8
	;; [unrolled: 1-line block ×3, first 2 shown]
	v_mul_i32_i24_e32 v165, v169, v165
	s_set_vgpr_msb 4                        ;  msbs: dst=0 src0=0 src1=1 src2=0
	v_mul_i32_i24_e32 v172, v169, v30 /*v286*/
	s_set_vgpr_msb 0                        ;  msbs: dst=0 src0=0 src1=0 src2=0
	v_mul_i32_i24_e32 v141, v149, v141
	v_mul_i32_i24_e32 v138, v153, v138
	;; [unrolled: 1-line block ×3, first 2 shown]
	v_add3_u32 v143, v143, v165, v166
	v_mul_i32_i24_e32 v139, v148, v139
	v_mul_i32_i24_e32 v160, v7, v160
	;; [unrolled: 1-line block ×3, first 2 shown]
	v_add3_u32 v140, v142, v140, v141
	v_add3_u32 v144, v144, v172, v174
	v_mul_i32_i24_e32 v158, v153, v158
	v_mul_i32_i24_e32 v159, v148, v159
	;; [unrolled: 1-line block ×4, first 2 shown]
	v_add3_u32 v138, v140, v138, v139
	v_add3_u32 v139, v143, v160, v161
	v_bfe_u32 v141, v87, 20, 4
	v_and_b32_e32 v84, 0xffff, v84
	v_bfe_u32 v87, v87, 4, 4
	v_lshrrev_b16 v143, 8, v0
	v_mul_i32_i24_e32 v166, v153, v203
	v_mul_i32_i24_e32 v167, v148, v204
	v_add3_u32 v139, v139, v158, v159
	v_add3_u32 v140, v144, v164, v165
	v_mul_i32_i24_e32 v7, v87, v7
	v_mul_i32_i24_e32 v87, v84, v149
	;; [unrolled: 1-line block ×3, first 2 shown]
	v_lshrrev_b32_e32 v84, 4, v200
	v_ashrrev_i32_e32 v153, 24, v0
	v_bfe_i32 v143, v143, 0, 8
	v_bfe_i32 v158, v0, 16, 8
	;; [unrolled: 1-line block ×3, first 2 shown]
	v_add3_u32 v140, v140, v166, v167
	v_mul_i32_i24_e32 v142, v85, v148
	v_lshrrev_b32_e32 v85, 28, v200
	v_lshrrev_b16 v84, 8, v84
	v_mul_i32_i24_e32 v159, v0, v197
	v_mul_i32_i24_e32 v160, v143, v198
	;; [unrolled: 1-line block ×4, first 2 shown]
	v_and_b32_e32 v84, 15, v84
	v_mul_i32_i24_e32 v137, v143, v137
	v_add3_u32 v140, v140, v159, v160
	v_bfe_u32 v160, v200, 4, 4
	v_mul_i32_i24_e32 v157, v143, v157
	v_lshrrev_b16 v144, 8, v1
	v_mul_i32_i24_e32 v161, v158, v195
	v_mul_i32_i24_e32 v145, v145, v169
	;; [unrolled: 1-line block ×4, first 2 shown]
	v_lshrrev_b32_e32 v85, 28, v201
	v_and_b32_e32 v84, 0xffff, v84
	v_bfe_i32 v144, v144, 0, 8
	v_ashrrev_i32_e32 v169, 24, v2
	v_bfe_i32 v170, v2, 16, 8
	v_mul_i32_i24_e32 v150, v150, v176
	v_mul_i32_i24_e32 v143, v84, v143
	v_lshrrev_b32_e32 v84, 4, v201
	v_mul_i32_i24_e32 v164, v153, v196
	v_mul_i32_i24_e32 v166, v144, v194
	;; [unrolled: 1-line block ×4, first 2 shown]
	v_lshrrev_b16 v84, 8, v84
	v_add3_u32 v140, v140, v161, v164
	v_ashrrev_i32_e32 v161, 24, v1
	v_bfe_i32 v164, v1, 16, 8
	v_bfe_i32 v1, v1, 0, 8
	v_and_b32_e32 v84, 15, v84
	v_bfe_u32 v176, v83, 4, 4
	v_mul_i32_i24_e32 v168, v161, v192
	v_mul_i32_i24_e32 v167, v164, v191
	;; [unrolled: 1-line block ×3, first 2 shown]
	v_and_b32_e32 v84, 0xffff, v84
	v_bfe_u32 v182, v79, 4, 4
	v_bfe_u32 v183, v83, 12, 4
	v_lshrrev_b32_e32 v187, 28, v83
	v_add3_u32 v140, v140, v165, v166
	v_bfe_u32 v166, v201, 4, 4
	v_lshrrev_b32_e32 v188, 28, v79
	v_mul_i32_i24_e32 v135, v135, v158
	v_mul_i32_i24_e32 v155, v155, v158
	v_add3_u32 v140, v140, v167, v168
	v_mul_i32_i24_e32 v167, v84, v144
	v_lshrrev_b32_e32 v84, 4, v8
	v_mul_i32_i24_e32 v168, v85, v161
	v_lshrrev_b32_e32 v85, 28, v8
	v_mul_i32_i24_e32 v78, v153, v78
	v_mul_i32_i24_e32 v82, v153, v82
	v_lshrrev_b16 v84, 8, v84
	v_add3_u32 v136, v138, v136, v137
	v_add3_u32 v137, v139, v156, v157
	v_lshrrev_b16 v148, 8, v2
	v_mul_i32_i24_e32 v166, v166, v1
	v_and_b32_e32 v84, 15, v84
	v_bfe_i32 v2, v2, 0, 8
	v_bfe_u32 v184, v79, 12, 4
	v_bfe_u32 v83, v83, 20, 4
	v_add3_u32 v82, v137, v155, v82
	v_add3_u32 v78, v136, v135, v78
	v_mul_i32_i24_e32 v135, v1, v182
	v_mul_i32_i24_e32 v1, v1, v176
	;; [unrolled: 1-line block ×3, first 2 shown]
	v_bfe_i32 v148, v148, 0, 8
	v_mul_i32_i24_e32 v171, v2, v189
	v_bfe_u32 v79, v79, 20, 4
	v_bfe_u32 v189, v74, 4, 4
	;; [unrolled: 1-line block ×3, first 2 shown]
	v_mul_i32_i24_e32 v136, v144, v184
	v_mul_i32_i24_e32 v83, v164, v83
	;; [unrolled: 1-line block ×3, first 2 shown]
	v_add3_u32 v1, v82, v1, v137
	v_mul_i32_i24_e32 v172, v148, v190
	v_bfe_u32 v190, v72, 4, 4
	v_bfe_u32 v192, v72, 12, 4
	v_mul_i32_i24_e32 v79, v164, v79
	v_mul_i32_i24_e32 v138, v161, v188
	v_add3_u32 v78, v78, v135, v136
	v_add3_u32 v1, v1, v83, v139
	v_mul_i32_i24_e32 v82, v2, v189
	v_mul_i32_i24_e32 v135, v148, v191
	v_dual_lshrrev_b32 v193, 28, v74 :: v_dual_lshrrev_b32 v194, 28, v72
	v_bfe_u32 v74, v74, 20, 4
	v_bfe_u32 v72, v72, 20, 4
	v_add3_u32 v78, v78, v79, v138
	v_mul_i32_i24_e32 v79, v2, v190
	v_mul_i32_i24_e32 v83, v148, v192
	v_add3_u32 v1, v1, v82, v135
	v_dual_lshrrev_b32 v82, 4, v9 :: v_dual_lshrrev_b32 v135, 28, v9
	v_mul_i32_i24_e32 v136, v170, v72
	v_mul_i32_i24_e32 v72, v170, v74
	;; [unrolled: 1-line block ×4, first 2 shown]
	v_add3_u32 v78, v78, v79, v83
	v_lshrrev_b16 v82, 8, v82
	v_lshrrev_b16 v149, 8, v3
	v_and_b32_e32 v79, 0xffff, v84
	v_add3_u32 v72, v1, v72, v137
	v_add3_u32 v74, v78, v136, v74
	v_bfe_u32 v78, v8, 20, 4
	v_bfe_u32 v8, v8, 4, 4
	v_dual_ashrrev_i32 v82, 24, v3 :: v_dual_bitop2_b32 v136, 15, v82 bitop3:0x40
	v_bfe_i32 v84, v3, 16, 8
	v_bfe_i32 v137, v3, 0, 8
	v_and_b32_e32 v3, 15, v134
	v_and_b32_e32 v83, 15, v146
	v_add3_u32 v1, v140, v171, v172
	v_mul_i32_i24_e32 v2, v8, v2
	v_mul_i32_i24_e32 v8, v79, v148
	;; [unrolled: 1-line block ×3, first 2 shown]
	v_bfe_i32 v85, v149, 0, 8
	v_perm_b32 v3, v83, v3, 0x5040100
	v_add3_u32 v1, v1, v174, v175
	v_mul_i32_i24_e32 v138, v84, v177
	v_mul_i32_i24_e32 v139, v82, v179
	;; [unrolled: 1-line block ×3, first 2 shown]
	v_pk_mul_lo_u16 v83, v3, v137 op_sel_hi:[1,0]
	v_mul_i32_i24_e32 v3, v137, v180
	v_mad_i32_i24 v4, v173, v4, v5
	v_bfe_u32 v159, v200, 20, 4
	v_bfe_u32 v165, v201, 20, 4
	v_mad_i32_i24 v5, v154, v186, v150
	v_add3_u32 v1, v1, v3, v134
	v_add3_u32 v10, v10, v151, v86
	;; [unrolled: 1-line block ×3, first 2 shown]
	v_mul_i32_i24_e32 v159, v159, v158
	v_mul_i32_i24_e32 v165, v165, v164
	v_add3_u32 v1, v1, v138, v139
	v_mad_i32_i24 v11, v11, v185, v152
	v_add3_u32 v5, v5, v145, v141
	v_add3_u32 v6, v10, v87, v143
	;; [unrolled: 1-line block ×3, first 2 shown]
	v_mul_lo_u32 v1, v1, v178
	v_add3_u32 v11, v11, v147, v142
	v_add3_u32 v4, v5, v159, v165
	;; [unrolled: 1-line block ×3, first 2 shown]
	v_and_b32_e32 v134, 0xffff, v136
	v_mul_i32_i24_e32 v135, v135, v82
	v_add3_u32 v7, v11, v160, v168
	v_mul_i32_i24_e32 v78, v78, v170
	s_wait_dscnt 0x0
	v_cvt_f32_ubyte0_e32 v81, v162
	v_mul_i32_i24_e32 v134, v134, v85
	v_bfe_u32 v86, v75, 24, 4
	v_cvt_f32_i32_e32 v3, v1
	v_bfe_u32 v1, v9, 20, 4
	v_bfe_u32 v9, v9, 4, 4
	v_add3_u32 v6, v7, v79, v135
	v_bfe_u32 v87, v73, 24, 4
	v_mul_i32_i24_e32 v86, v128, v86
	v_mul_i32_i24_e32 v1, v1, v84
	;; [unrolled: 1-line block ×3, first 2 shown]
	v_bfe_u32 v135, v75, 20, 4
	v_mul_i32_i24_e32 v87, v128, v87
	v_bfe_i32 v128, v132, 0, 16
	v_add3_u32 v1, v4, v78, v1
	v_add3_u32 v0, v0, v2, v9
	ds_load_b64 v[8:9], v118
	v_add3_u32 v2, v5, v134, v6
	v_add3_u32 v126, v126, v129, v128
	v_lshrrev_b32_e32 v134, 28, v73
	v_bfe_u32 v136, v73, 20, 4
	v_bfe_u32 v73, v73, 12, 4
	v_add3_u32 v0, v0, v1, v2
	v_and_b32_e32 v1, 0xffff, v163
	v_add_nc_u32_e32 v118, 8, v118
	s_delay_alu instid0(VALU_DEP_4) | instskip(NEXT) | instid1(VALU_DEP_3)
	v_mul_i32_i24_e32 v73, v85, v73
	v_mul_lo_u32 v0, v0, v1
	v_cvt_f32_ubyte1_e32 v1, v162
	s_wait_dscnt 0x0
	v_lshrrev_b32_e32 v2, 16, v8
	v_cvt_f32_f16_e32 v10, v8
	v_fma_mix_f32 v8, v8, v133, 0 op_sel_hi:[1,0,0]
	v_lshrrev_b32_e32 v133, 28, v75
	v_bfe_u32 v75, v75, 12, 4
	v_cvt_f32_f16_e32 v11, v2
	v_lshrrev_b32_e32 v2, 16, v9
	v_cvt_f32_i32_e32 v0, v0
	v_cvt_f32_f16_e32 v4, v9
	v_mul_i32_i24_e32 v75, v85, v75
	v_mov_b32_e32 v6, v11
	v_cvt_f32_f16_e32 v5, v2
	v_mul_i32_i24_e32 v85, v84, v136
	v_mul_i32_i24_e32 v84, v84, v135
	v_fma_mix_f32 v3, v9, v3, v8 op_sel_hi:[1,0,0]
	s_delay_alu instid0(VALU_DEP_1) | instskip(NEXT) | instid1(VALU_DEP_1)
	v_dual_mov_b32 v7, v5 :: v_dual_mul_f32 v8, v3, v119
	v_pk_mul_f32 v[6:7], v[6:7], v[76:77]
	ds_load_u16 v76, v124
	ds_load_u16 v77, v124 offset:8
	v_add_f32_e32 v2, 0, v6
	s_delay_alu instid0(VALU_DEP_1)
	v_add_f32_e32 v2, v2, v7
	v_pk_fma_f32 v[6:7], v[80:81], v[10:11], 0 op_sel_hi:[1,1,0]
	ds_load_u16 v78, v125 offset:17408
	ds_load_u16 v81, v125 offset:17416
	v_mul_f32_e32 v2, v2, v120
	v_pk_fma_f32 v[0:1], v[0:1], v[4:5], v[6:7]
	s_wait_dscnt 0x3
	v_lshrrev_b16 v80, 8, v76
	v_and_b32_e32 v76, 0xff, v76
	s_delay_alu instid0(VALU_DEP_3) | instskip(NEXT) | instid1(VALU_DEP_3)
	v_pk_mul_f32 v[0:1], v[0:1], v[68:69]
	v_and_b32_e32 v137, 0xffff, v80
	s_wait_dscnt 0x2
	v_cvt_f32_ubyte1_e32 v80, v77
	s_delay_alu instid0(VALU_DEP_3)
	v_dual_mov_b32 v9, v0 :: v_dual_mov_b32 v3, v1
	s_wait_dscnt 0x1
	v_lshrrev_b16 v124, 8, v78
	v_and_b32_e32 v125, 0xff, v78
	v_cvt_f32_ubyte0_e32 v78, v77
	v_mul_i32_i24_e32 v77, v122, v130
	v_mul_i32_i24_e32 v122, v123, v130
	v_ashrrev_i32_e32 v123, 16, v132
	v_and_b32_e32 v124, 0xffff, v124
	s_wait_dscnt 0x0
	v_cvt_f32_ubyte0_e32 v79, v81
	v_add3_u32 v77, v126, v77, v87
	v_ashrrev_i32_e32 v87, 16, v83
	v_add3_u32 v123, v127, v131, v123
	v_bfe_i32 v83, v83, 0, 16
	v_cvt_f32_ubyte1_e32 v81, v81
	v_mul_lo_u32 v76, v77, v76
	v_add3_u32 v72, v72, v87, v75
	v_add3_u32 v86, v123, v122, v86
	;; [unrolled: 1-line block ×3, first 2 shown]
	v_pk_add_f32 v[2:3], v[8:9], v[2:3] neg_lo:[0,1] neg_hi:[0,1]
	s_delay_alu instid0(VALU_DEP_3) | instskip(SKIP_2) | instid1(VALU_DEP_4)
	v_mul_lo_u32 v77, v86, v125
	v_mul_i32_i24_e32 v86, v82, v134
	v_mul_i32_i24_e32 v82, v82, v133
	v_pk_add_f32 v[20:21], v[20:21], v[2:3]
	v_cvt_f32_i32_e32 v76, v76
	s_delay_alu instid0(VALU_DEP_4) | instskip(NEXT) | instid1(VALU_DEP_4)
	v_add3_u32 v73, v73, v85, v86
	v_add3_u32 v72, v72, v84, v82
	s_delay_alu instid0(VALU_DEP_2) | instskip(NEXT) | instid1(VALU_DEP_2)
	v_mul_lo_u32 v74, v73, v137
	v_mul_lo_u32 v72, v72, v124
	v_cvt_f32_i32_e32 v77, v77
	s_delay_alu instid0(VALU_DEP_2) | instskip(NEXT) | instid1(VALU_DEP_4)
	v_cvt_f32_i32_e32 v73, v72
	v_cvt_f32_i32_e32 v72, v74
	v_mov_b32_e32 v74, v11
	s_delay_alu instid0(VALU_DEP_4) | instskip(NEXT) | instid1(VALU_DEP_2)
	v_pk_fma_f32 v[10:11], v[10:11], v[76:77], 0 op_sel_hi:[0,1,0]
	v_pk_fma_f32 v[74:75], v[74:75], v[78:79], 0 op_sel_hi:[0,1,0]
	v_mov_b32_e32 v78, v5
	s_delay_alu instid0(VALU_DEP_3) | instskip(NEXT) | instid1(VALU_DEP_2)
	v_pk_fma_f32 v[10:11], v[4:5], v[72:73], v[10:11] op_sel_hi:[0,1,1]
	v_pk_fma_f32 v[74:75], v[78:79], v[80:81], v[74:75] op_sel_hi:[0,1,1]
	s_delay_alu instid0(VALU_DEP_1) | instskip(NEXT) | instid1(VALU_DEP_1)
	v_pk_mul_f32 v[74:75], v[74:75], v[70:71]
	v_pk_fma_f32 v[0:1], v[10:11], v[66:67], v[74:75] neg_lo:[0,0,1] neg_hi:[0,0,1]
	s_delay_alu instid0(VALU_DEP_1)
	v_pk_add_f32 v[22:23], v[22:23], v[0:1]
	s_cbranch_scc1 .LBB191_19
; %bb.20:                               ;   in Loop: Header=BB191_5 Depth=1
	s_barrier_signal -1
	s_barrier_wait -1
	s_branch .LBB191_4
.LBB191_21:
	v_mov_b32_e32 v22, 0
	s_delay_alu instid0(VALU_DEP_1)
	v_dual_mov_b32 v23, v22 :: v_dual_mov_b32 v20, v22
	v_mov_b32_e32 v21, v22
.LBB191_22:
	s_mul_i32 s0, s7, s4
	s_wait_loadcnt 0x0
	v_cmp_gt_i32_e32 vcc_lo, s0, v13
	s_wait_xcnt 0x0
	s_and_saveexec_b32 s0, vcc_lo
	s_cbranch_execz .LBB191_31
; %bb.23:
	v_mul_lo_u32 v0, v13, s6
	v_add_nc_u32_e32 v1, s18, v17
	s_mov_b32 s0, exec_lo
	s_delay_alu instid0(VALU_DEP_1)
	v_cmpx_gt_u32_e64 s6, v1
	s_cbranch_execz .LBB191_25
; %bb.24:
	s_delay_alu instid0(VALU_DEP_3)
	v_add_nc_u32_e32 v2, v0, v1
	global_store_b32 v2, v22, s[8:9] scale_offset
.LBB191_25:
	s_wait_xcnt 0x0
	s_or_b32 exec_lo, exec_lo, s0
	v_add_nc_u32_e32 v2, 32, v1
	s_mov_b32 s0, exec_lo
	s_delay_alu instid0(VALU_DEP_1)
	v_cmpx_gt_u32_e64 s6, v2
	s_cbranch_execz .LBB191_27
; %bb.26:
	v_add_nc_u32_e32 v2, v0, v2
	global_store_b32 v2, v23, s[8:9] scale_offset
.LBB191_27:
	s_wait_xcnt 0x0
	s_or_b32 exec_lo, exec_lo, s0
	v_add_nc_u32_e32 v2, 64, v1
	s_mov_b32 s0, exec_lo
	s_delay_alu instid0(VALU_DEP_1)
	v_cmpx_gt_u32_e64 s6, v2
	s_cbranch_execz .LBB191_29
; %bb.28:
	v_add_nc_u32_e32 v2, v0, v2
	global_store_b32 v2, v20, s[8:9] scale_offset
.LBB191_29:
	s_wait_xcnt 0x0
	s_or_b32 exec_lo, exec_lo, s0
	v_add_nc_u32_e32 v1, 0x60, v1
	s_delay_alu instid0(VALU_DEP_1)
	v_cmp_gt_u32_e32 vcc_lo, s6, v1
	s_and_b32 exec_lo, exec_lo, vcc_lo
	s_cbranch_execz .LBB191_31
; %bb.30:
	v_add_nc_u32_e32 v0, v0, v1
	global_store_b32 v0, v21, s[8:9] scale_offset
.LBB191_31:
	s_sendmsg sendmsg(MSG_DEALLOC_VGPRS)
	s_endpgm
	.section	.rodata,"a",@progbits
	.p2align	6, 0x0
	.amdhsa_kernel _ZL8moe_q4_KIfLb0EEvPKvS1_PT_PKiS5_S5_iiiiiii
		.amdhsa_group_segment_fixed_size 20688
		.amdhsa_private_segment_fixed_size 0
		.amdhsa_kernarg_size 76
		.amdhsa_user_sgpr_count 2
		.amdhsa_user_sgpr_dispatch_ptr 0
		.amdhsa_user_sgpr_queue_ptr 0
		.amdhsa_user_sgpr_kernarg_segment_ptr 1
		.amdhsa_user_sgpr_dispatch_id 0
		.amdhsa_user_sgpr_kernarg_preload_length 0
		.amdhsa_user_sgpr_kernarg_preload_offset 0
		.amdhsa_user_sgpr_private_segment_size 0
		.amdhsa_wavefront_size32 1
		.amdhsa_uses_dynamic_stack 0
		.amdhsa_enable_private_segment 0
		.amdhsa_system_sgpr_workgroup_id_x 1
		.amdhsa_system_sgpr_workgroup_id_y 1
		.amdhsa_system_sgpr_workgroup_id_z 0
		.amdhsa_system_sgpr_workgroup_info 0
		.amdhsa_system_vgpr_workitem_id 1
		.amdhsa_next_free_vgpr 299
		.amdhsa_next_free_sgpr 24
		.amdhsa_named_barrier_count 0
		.amdhsa_reserve_vcc 1
		.amdhsa_float_round_mode_32 0
		.amdhsa_float_round_mode_16_64 0
		.amdhsa_float_denorm_mode_32 3
		.amdhsa_float_denorm_mode_16_64 3
		.amdhsa_fp16_overflow 0
		.amdhsa_memory_ordered 1
		.amdhsa_forward_progress 1
		.amdhsa_inst_pref_size 120
		.amdhsa_round_robin_scheduling 0
		.amdhsa_exception_fp_ieee_invalid_op 0
		.amdhsa_exception_fp_denorm_src 0
		.amdhsa_exception_fp_ieee_div_zero 0
		.amdhsa_exception_fp_ieee_overflow 0
		.amdhsa_exception_fp_ieee_underflow 0
		.amdhsa_exception_fp_ieee_inexact 0
		.amdhsa_exception_int_div_zero 0
	.end_amdhsa_kernel
	.section	.text._ZL8moe_q4_KIfLb0EEvPKvS1_PT_PKiS5_S5_iiiiiii,"axG",@progbits,_ZL8moe_q4_KIfLb0EEvPKvS1_PT_PKiS5_S5_iiiiiii,comdat
.Lfunc_end191:
	.size	_ZL8moe_q4_KIfLb0EEvPKvS1_PT_PKiS5_S5_iiiiiii, .Lfunc_end191-_ZL8moe_q4_KIfLb0EEvPKvS1_PT_PKiS5_S5_iiiiiii
                                        ; -- End function
	.set _ZL8moe_q4_KIfLb0EEvPKvS1_PT_PKiS5_S5_iiiiiii.num_vgpr, 299
	.set _ZL8moe_q4_KIfLb0EEvPKvS1_PT_PKiS5_S5_iiiiiii.num_agpr, 0
	.set _ZL8moe_q4_KIfLb0EEvPKvS1_PT_PKiS5_S5_iiiiiii.numbered_sgpr, 24
	.set _ZL8moe_q4_KIfLb0EEvPKvS1_PT_PKiS5_S5_iiiiiii.num_named_barrier, 0
	.set _ZL8moe_q4_KIfLb0EEvPKvS1_PT_PKiS5_S5_iiiiiii.private_seg_size, 0
	.set _ZL8moe_q4_KIfLb0EEvPKvS1_PT_PKiS5_S5_iiiiiii.uses_vcc, 1
	.set _ZL8moe_q4_KIfLb0EEvPKvS1_PT_PKiS5_S5_iiiiiii.uses_flat_scratch, 0
	.set _ZL8moe_q4_KIfLb0EEvPKvS1_PT_PKiS5_S5_iiiiiii.has_dyn_sized_stack, 0
	.set _ZL8moe_q4_KIfLb0EEvPKvS1_PT_PKiS5_S5_iiiiiii.has_recursion, 0
	.set _ZL8moe_q4_KIfLb0EEvPKvS1_PT_PKiS5_S5_iiiiiii.has_indirect_call, 0
	.section	.AMDGPU.csdata,"",@progbits
; Kernel info:
; codeLenInByte = 15344
; TotalNumSgprs: 26
; NumVgprs: 299
; ScratchSize: 0
; MemoryBound: 0
; FloatMode: 240
; IeeeMode: 1
; LDSByteSize: 20688 bytes/workgroup (compile time only)
; SGPRBlocks: 0
; VGPRBlocks: 18
; NumSGPRsForWavesPerEU: 26
; NumVGPRsForWavesPerEU: 299
; NamedBarCnt: 0
; Occupancy: 3
; WaveLimiterHint : 1
; COMPUTE_PGM_RSRC2:SCRATCH_EN: 0
; COMPUTE_PGM_RSRC2:USER_SGPR: 2
; COMPUTE_PGM_RSRC2:TRAP_HANDLER: 0
; COMPUTE_PGM_RSRC2:TGID_X_EN: 1
; COMPUTE_PGM_RSRC2:TGID_Y_EN: 1
; COMPUTE_PGM_RSRC2:TGID_Z_EN: 0
; COMPUTE_PGM_RSRC2:TIDIG_COMP_CNT: 1
	.section	.text._ZL8moe_q4_KIfLb1EEvPKvS1_PT_PKiS5_S5_iiiiiii,"axG",@progbits,_ZL8moe_q4_KIfLb1EEvPKvS1_PT_PKiS5_S5_iiiiiii,comdat
	.globl	_ZL8moe_q4_KIfLb1EEvPKvS1_PT_PKiS5_S5_iiiiiii ; -- Begin function _ZL8moe_q4_KIfLb1EEvPKvS1_PT_PKiS5_S5_iiiiiii
	.p2align	8
	.type	_ZL8moe_q4_KIfLb1EEvPKvS1_PT_PKiS5_S5_iiiiiii,@function
_ZL8moe_q4_KIfLb1EEvPKvS1_PT_PKiS5_S5_iiiiiii: ; @_ZL8moe_q4_KIfLb1EEvPKvS1_PT_PKiS5_S5_iiiiiii
; %bb.0:
	s_load_b128 s[4:7], s[0:1], 0x18
	s_bfe_u32 s2, ttmp6, 0x40010
	s_bfe_u32 s8, ttmp6, 0x40004
	s_add_co_i32 s2, s2, 1
	s_delay_alu instid0(SALU_CYCLE_1)
	s_mul_i32 s3, ttmp7, s2
	s_getreg_b32 s2, hwreg(HW_REG_IB_STS2, 6, 4)
	s_add_co_i32 s8, s8, s3
	s_cmp_eq_u32 s2, 0
	s_cselect_b32 s3, ttmp7, s8
	s_wait_kmcnt 0x0
	s_load_b32 s14, s[6:7], s3 offset:0x0 scale_offset
	s_wait_kmcnt 0x0
	s_cmp_gt_u32 s14, 0xff
	s_cbranch_scc1 .LBB192_31
; %bb.1:
	s_load_b64 s[6:7], s[0:1], 0x28
	s_lshl_b32 s3, s3, 3
	s_wait_kmcnt 0x0
	s_load_b32 s6, s[6:7], 0x0
	s_wait_kmcnt 0x0
	s_cmp_gt_u32 s3, s6
	s_cbranch_scc1 .LBB192_31
; %bb.2:
	v_bfe_u32 v1, v0, 10, 10
	s_and_b32 s11, ttmp6, 15
	v_and_b32_e32 v29, 0x3ff, v0
	s_mov_b32 s15, 0
	s_delay_alu instid0(VALU_DEP_2) | instskip(SKIP_1) | instid1(SALU_CYCLE_1)
	v_add_nc_u32_e32 v2, s3, v1
	s_bfe_u32 s3, ttmp6, 0x4000c
	s_add_co_i32 s3, s3, 1
	s_delay_alu instid0(SALU_CYCLE_1)
	s_mul_i32 s3, ttmp9, s3
	global_load_b32 v13, v2, s[4:5] scale_offset
	s_wait_xcnt 0x0
	s_clause 0x2
	s_load_b128 s[4:7], s[0:1], 0x30
	s_load_b64 s[12:13], s[0:1], 0x10
	s_load_b96 s[8:10], s[0:1], 0x40
	s_add_co_i32 s11, s11, s3
	s_cmp_eq_u32 s2, 0
	s_cselect_b32 s2, ttmp9, s11
	s_delay_alu instid0(SALU_CYCLE_1)
	s_lshl_b32 s11, s2, 7
	s_wait_kmcnt 0x0
	s_cmp_lt_i32 s5, 0x100
	s_cbranch_scc1 .LBB192_21
; %bb.3:
	s_load_b128 s[0:3], s[0:1], 0x0
	s_mul_i32 s18, s14, s4
	s_not_b32 s4, s11
	v_bfe_u32 v4, v0, 2, 8
	s_add_co_i32 s20, s6, s4
	s_delay_alu instid0(SALU_CYCLE_1) | instskip(SKIP_3) | instid1(VALU_DEP_3)
	v_dual_lshlrev_b32 v31, 5, v1 :: v_dual_min_i32 v5, s20, v1
	v_lshlrev_b32_e32 v3, 2, v29
	s_ashr_i32 s19, s18, 31
	v_lshl_add_u32 v4, v1, 3, v4
	v_add_nc_u32_e32 v2, v31, v29
	s_ashr_i32 s16, s5, 31
	s_ashr_i32 s17, s8, 31
	s_lshr_b32 s14, s16, 24
	v_and_b32_e32 v7, 0x7f, v4
	v_and_b32_e32 v2, 0x7f, v2
	v_mov_b32_e32 v15, 0
	v_bitop3_b32 v4, v4, 64, 0x7f bitop3:0x6c
	s_lshr_b32 s16, s17, 27
	v_lshl_add_u32 v41, v1, 7, 0x4a40
	v_min_i32_e32 v10, s20, v2
	s_wait_kmcnt 0x0
	s_add_nc_u64 s[18:19], s[0:1], s[18:19]
	s_abs_i32 s1, s10
	v_and_b32_e32 v16, 3, v0
	s_cvt_f32_u32 s0, s1
	v_ashrrev_i32_e32 v2, 31, v10
	s_add_co_i32 s6, s8, s16
	v_min_i32_e32 v62, s20, v7
	v_rcp_iflag_f32_e32 v6, s0
	v_cmp_gt_u32_e32 vcc_lo, 2, v16
	v_lshrrev_b32_e32 v2, 27, v2
	s_sub_co_i32 s8, 0, s1
	v_min_i32_e32 v64, s20, v4
	v_bfe_u32 v12, v0, 5, 5
	v_add_min_i32_e64 v8, v1, 8, s20
	v_add_nc_u32_e32 v2, v10, v2
	v_readfirstlane_b32 s0, v6
	v_add_nc_u32_e32 v6, 0xfe, v16
	v_add_min_i32_e64 v9, v1, 16, s20
	v_add_min_i32_e64 v11, v1, 24, s20
	v_ashrrev_i32_e32 v2, 5, v2
	s_mul_f32 s0, s0, 0x4f7ffffe
	v_and_b32_e32 v4, 0xff, v6
	s_wait_loadcnt 0x0
	v_dual_ashrrev_i32 v6, 31, v64 :: v_dual_sub_nc_u32 v7, 0, v13
	v_lshlrev_b32_e32 v2, 2, v2
	s_cvt_u32_f32 s0, s0
	v_lshlrev_b32_e32 v17, 2, v10
	s_delay_alu instid0(VALU_DEP_3) | instskip(NEXT) | instid1(SALU_CYCLE_1)
	v_dual_lshrrev_b32 v6, 29, v6 :: v_dual_max_i32 v7, v13, v7
	s_mul_i32 s8, s8, s0
	v_add_min_i32_e64 v36, v1, 32, s20
	s_mul_hi_u32 s8, s0, s8
	v_add3_u32 v35, v2, v17, 0x4e40
	v_ashrrev_i32_e32 v2, 31, v62
	s_add_co_i32 s0, s0, s8
	v_cndmask_b32_e32 v17, v4, v16, vcc_lo
	v_mul_hi_u32 v18, v7, s0
	s_delay_alu instid0(VALU_DEP_3)
	v_dual_lshrrev_b32 v2, 29, v2 :: v_dual_bitop2_b32 v4, 4, v3 bitop3:0x40
	v_cmp_ne_u32_e32 vcc_lo, 0, v16
	v_add_min_i32_e64 v38, v1, 40, s20
	v_lshlrev_b32_e32 v39, 1, v17
	v_add_min_i32_e64 v40, v1, 48, s20
	v_add_nc_u32_e32 v2, v62, v2
	v_add_min_i32_e64 v42, v1, 56, s20
	v_add_min_i32_e64 v44, v1, 64, s20
	v_and_b32_e32 v21, 31, v0
	v_mul_lo_u32 v20, v18, s1
	v_dual_ashrrev_i32 v19, 3, v2 :: v_dual_lshlrev_b32 v24, 4, v64
	v_add_co_ci_u32_e64 v2, null, 0, v17, vcc_lo
	v_cmp_lt_u32_e32 vcc_lo, 1, v16
	v_dual_lshlrev_b32 v16, 2, v16 :: v_dual_add_nc_u32 v6, v64, v6
	v_add_nc_u32_e32 v22, 1, v18
	v_lshl_add_u32 v43, v21, 2, v41
	v_cndmask_b32_e32 v37, 0, v4, vcc_lo
	s_delay_alu instid0(VALU_DEP_4) | instskip(SKIP_3) | instid1(VALU_DEP_4)
	v_dual_sub_nc_u32 v20, v7, v20 :: v_dual_ashrrev_i32 v6, 3, v6
	v_cndmask_b32_e64 v4, 0, 1, vcc_lo
	v_mov_b32_e32 v7, v15
	v_add_min_i32_e64 v46, 0x48, v1, s20
	v_subrev_nc_u32_e32 v23, s1, v20
	v_lshlrev_b32_e32 v6, 2, v6
	v_cmp_le_u32_e32 vcc_lo, s1, v20
	v_add_nc_u32_e32 v25, 0x5050, v3
	v_xor_b32_e32 v21, s10, v13
	v_add_min_i32_e64 v48, 0x50, v1, s20
	v_add_min_i32_e64 v50, 0x58, v1, s20
	v_dual_cndmask_b32 v18, v18, v22, vcc_lo :: v_dual_cndmask_b32 v20, v20, v23, vcc_lo
	v_add_min_i32_e64 v52, 0x60, v1, s20
	v_add_min_i32_e64 v54, 0x68, v1, s20
	;; [unrolled: 1-line block ×3, first 2 shown]
	s_delay_alu instid0(VALU_DEP_4)
	v_add_nc_u32_e32 v22, 1, v18
	v_cmp_le_u32_e32 vcc_lo, s1, v20
	v_add_min_i32_e64 v58, 0x78, v1, s20
	v_lshlrev_b32_e32 v1, 4, v1
	v_bfe_u32 v45, v0, 3, 7
	v_dual_ashrrev_i32 v0, 31, v21 :: v_dual_cndmask_b32 v18, v18, v22, vcc_lo
	v_dual_add_nc_u32 v20, 32, v29 :: v_dual_lshlrev_b32 v21, 2, v12
	v_add_nc_u32_e32 v22, 64, v29
	v_add_nc_u32_e32 v23, 0x60, v29
	s_delay_alu instid0(VALU_DEP_4) | instskip(NEXT) | instid1(VALU_DEP_4)
	v_xor_b32_e32 v18, v18, v0
	v_lshrrev_b32_e32 v47, 3, v20
	s_ashr_i32 s6, s6, 5
	v_dual_lshrrev_b32 v26, 3, v22 :: v_dual_lshlrev_b32 v19, 2, v19
	s_delay_alu instid0(VALU_DEP_2) | instskip(SKIP_2) | instid1(VALU_DEP_3)
	v_dual_sub_nc_u32 v0, v18, v0 :: v_dual_bitop2_b32 v18, 60, v47 bitop3:0x40
	v_add3_u32 v49, v21, v3, 0x4e40
	v_dual_lshlrev_b32 v28, 2, v20 :: v_dual_lshlrev_b32 v32, 2, v22
	v_mul_lo_u32 v20, v0, s6
	s_delay_alu instid0(VALU_DEP_4) | instskip(SKIP_4) | instid1(VALU_DEP_3)
	v_add3_u32 v51, v3, v18, 0x4e40
	v_dual_mov_b32 v18, v15 :: v_dual_lshrrev_b32 v27, 3, v23
	v_dual_lshlrev_b32 v34, 2, v23 :: v_dual_bitop2_b32 v21, 60, v26 bitop3:0x40
	s_add_co_i32 s14, s5, s14
	v_add3_u32 v17, v19, v16, 0x4200
	v_and_b32_e32 v30, 60, v27
	s_ashr_i32 s4, s14, 8
	v_lshlrev_b32_e32 v19, 4, v62
	v_add3_u32 v16, v6, v16, 0x4200
	v_and_b32_e32 v6, 28, v3
	v_mad_u32 v33, 0x84, v5, v3
	v_add3_u32 v55, v3, v30, 0x4e40
	v_mad_u32 v89, 0x84, v8, v3
	v_mad_u32 v90, 0x84, v9, v3
	;; [unrolled: 1-line block ×15, first 2 shown]
	v_dual_lshlrev_b32 v104, 2, v3 :: v_dual_lshlrev_b32 v105, 2, v28
	v_dual_lshlrev_b32 v106, 2, v32 :: v_dual_lshlrev_b32 v107, 2, v34
	v_mul_lo_u32 v28, v5, s4
	v_mul_lo_u32 v30, v8, s4
	;; [unrolled: 1-line block ×19, first 2 shown]
	s_mul_i32 s16, s4, s11
	v_cmp_gt_u32_e64 s0, 4, v29
	v_cmp_gt_i32_e64 s1, s7, v0
	s_movk_i32 s8, 0x1080
	s_movk_i32 s14, 0x2100
	s_movk_i32 s20, 0x3180
	v_add_nc_u64_e32 v[22:23], s[2:3], v[6:7]
	s_ashr_i32 s17, s16, 31
	v_and_b32_e32 v14, 0x7c, v3
	v_add3_u32 v53, v3, v21, 0x4e40
	v_dual_ashrrev_i32 v21, 31, v20 :: v_dual_lshlrev_b32 v59, 2, v27
	v_add_nc_u32_e32 v57, 0x5050, v1
	v_dual_lshlrev_b32 v61, 2, v26 :: v_dual_add_nc_u32 v63, v17, v19
	v_dual_mov_b32 v19, v15 :: v_dual_add_nc_u32 v65, v16, v24
	v_dual_mov_b32 v17, v15 :: v_dual_add_nc_u32 v88, v25, v1
	v_dual_mov_b32 v16, v15 :: v_dual_lshlrev_b32 v24, 2, v2
	v_dual_mov_b32 v25, v15 :: v_dual_lshlrev_b32 v26, 2, v4
	v_mov_b32_e32 v27, v15
	v_mul_u32_u24_e32 v108, 0x84, v29
	v_mad_u32_u24 v109, 0x84, v29, s8
	v_mad_u32_u24 v110, 0x84, v29, s14
	;; [unrolled: 1-line block ×4, first 2 shown]
	v_dual_lshlrev_b32 v113, 4, v29 :: v_dual_lshlrev_b32 v114, 2, v47
	v_lshl_or_b32 v115, v45, 2, 0x4200
	v_lshlrev_b32_e32 v116, 2, v45
	s_mul_u64 s[16:17], s[16:17], 0x90
	s_and_b32 s8, s0, s1
	s_add_nc_u64 s[16:17], s[18:19], s[16:17]
	s_mov_b32 s14, s15
	s_branch .LBB192_5
.LBB192_4:                              ;   in Loop: Header=BB192_5 Depth=1
	s_add_co_i32 s14, s14, 1
	s_delay_alu instid0(SALU_CYCLE_1)
	s_cmp_eq_u32 s14, s4
	s_cbranch_scc1 .LBB192_22
.LBB192_5:                              ; =>This Loop Header: Depth=1
                                        ;     Child Loop BB192_11 Depth 2
                                        ;     Child Loop BB192_19 Depth 2
	s_mul_u64 s[18:19], s[14:15], 0x90
	s_delay_alu instid0(SALU_CYCLE_1) | instskip(NEXT) | instid1(SALU_CYCLE_1)
	s_add_nc_u64 s[18:19], s[16:17], s[18:19]
	v_mad_nc_u64_u32 v[0:1], 0x90, v12, s[18:19]
	v_mad_nc_i64_i32 v[2:3], 0x90, v62, s[18:19]
	v_mad_nc_i64_i32 v[4:5], 0x90, v64, s[18:19]
	s_delay_alu instid0(VALU_DEP_3)
	v_mad_nc_i64_i32 v[6:7], 0x90, v28, v[0:1]
	v_mad_nc_i64_i32 v[8:9], 0x90, v30, v[0:1]
	;; [unrolled: 1-line block ×4, first 2 shown]
	s_wait_xcnt 0x0
	v_mad_nc_i64_i32 v[68:69], 0x90, v36, v[0:1]
	v_add_nc_u64_e32 v[82:83], v[2:3], v[24:25]
	v_mad_nc_i64_i32 v[70:71], 0x90, v38, v[0:1]
	v_add_nc_u64_e32 v[84:85], v[4:5], v[24:25]
	v_mad_nc_i64_i32 v[72:73], 0x90, v40, v[0:1]
	v_mad_nc_i64_i32 v[76:77], 0x90, v44, v[0:1]
	v_add_nc_u64_e32 v[4:5], v[4:5], v[26:27]
	v_mad_nc_i64_i32 v[74:75], 0x90, v42, v[0:1]
	;; [unrolled: 3-line block ×3, first 2 shown]
	v_mad_nc_i64_i32 v[86:87], 0x90, v50, v[0:1]
	v_mad_nc_i64_i32 v[118:119], 0x90, v52, v[0:1]
	v_add_nc_u64_e32 v[6:7], v[6:7], v[14:15]
	s_clause 0x3
	global_load_b32 v117, v[82:83], off offset:4
	global_load_b32 v120, v[84:85], off offset:4
	;; [unrolled: 1-line block ×4, first 2 shown]
	s_wait_xcnt 0x0
	v_mad_nc_i64_i32 v[2:3], 0x90, v54, v[0:1]
	v_add_nc_u64_e32 v[8:9], v[8:9], v[14:15]
	v_mad_nc_i64_i32 v[4:5], 0x90, v56, v[0:1]
	v_add_nc_u64_e32 v[10:11], v[10:11], v[14:15]
	;; [unrolled: 2-line block ×3, first 2 shown]
	v_add_nc_u64_e32 v[68:69], v[68:69], v[14:15]
	v_add_nc_u64_e32 v[70:71], v[70:71], v[14:15]
	;; [unrolled: 1-line block ×5, first 2 shown]
	s_clause 0x7
	global_load_b32 v82, v[6:7], off offset:16
	global_load_b32 v83, v[8:9], off offset:16
	;; [unrolled: 1-line block ×8, first 2 shown]
	s_wait_xcnt 0x7
	v_add_nc_u64_e32 v[6:7], v[78:79], v[14:15]
	s_wait_xcnt 0x6
	v_add_nc_u64_e32 v[8:9], v[80:81], v[14:15]
	;; [unrolled: 2-line block ×4, first 2 shown]
	s_wait_xcnt 0x3
	v_mad_nc_i64_i32 v[68:69], 0x90, v60, s[18:19]
	v_add_nc_u64_e32 v[2:3], v[2:3], v[14:15]
	v_add_nc_u64_e32 v[4:5], v[4:5], v[14:15]
	;; [unrolled: 1-line block ×3, first 2 shown]
	s_clause 0x8
	global_load_b32 v70, v[76:77], off offset:16
	global_load_b32 v71, v[6:7], off offset:16
	;; [unrolled: 1-line block ×8, first 2 shown]
	global_load_b32 v80, v[68:69], off
	s_lshl_b32 s18, s14, 8
	s_delay_alu instid0(SALU_CYCLE_1)
	s_cmp_lt_i32 s18, s5
	s_wait_loadcnt 0x13
	s_wait_xcnt 0x1
	v_dual_ashrrev_i32 v0, v37, v117 :: v_dual_ashrrev_i32 v1, v37, v120
	s_wait_loadcnt 0x11
	v_dual_ashrrev_i32 v3, v39, v121 :: v_dual_ashrrev_i32 v2, v39, v122
	s_delay_alu instid0(VALU_DEP_2) | instskip(NEXT) | instid1(VALU_DEP_3)
	v_and_b32_e32 v0, 0xf0f0f0f, v0
	v_and_b32_e32 v1, 0xf0f0f0f, v1
	s_delay_alu instid0(VALU_DEP_2) | instskip(NEXT) | instid1(VALU_DEP_2)
	v_and_or_b32 v0, 0x30303030, v2, v0
	v_and_or_b32 v1, 0x30303030, v3, v1
	s_wait_loadcnt 0x10
	ds_store_b32 v33, v82
	s_wait_loadcnt 0xf
	ds_store_b32 v89, v83
	;; [unrolled: 2-line block ×17, first 2 shown]
	ds_store_b32 v63, v0
	ds_store_b32 v65, v1
	s_cbranch_scc0 .LBB192_4
; %bb.6:                                ;   in Loop: Header=BB192_5 Depth=1
	s_lshl_b32 s19, s14, 3
	s_delay_alu instid0(SALU_CYCLE_1) | instskip(NEXT) | instid1(VALU_DEP_1)
	v_add_nc_u32_e32 v0, s19, v45
	v_cmp_gt_i32_e32 vcc_lo, s6, v0
	s_and_b32 s21, s1, vcc_lo
	s_wait_xcnt 0x0
	s_and_saveexec_b32 s20, s21
	s_cbranch_execz .LBB192_8
; %bb.7:                                ;   in Loop: Header=BB192_5 Depth=1
	v_add_nc_u32_e32 v0, v20, v0
	s_delay_alu instid0(VALU_DEP_1)
	v_mad_nc_i64_i32 v[0:1], v0, 36, v[22:23]
	global_load_b32 v0, v[0:1], off offset:4
	s_wait_loadcnt 0x0
	ds_store_b32 v43, v0
.LBB192_8:                              ;   in Loop: Header=BB192_5 Depth=1
	s_or_b32 exec_lo, exec_lo, s20
	v_add_nc_u32_e32 v0, s19, v29
	s_delay_alu instid0(VALU_DEP_1) | instskip(SKIP_1) | instid1(SALU_CYCLE_1)
	v_cmp_gt_i32_e32 vcc_lo, s6, v0
	s_and_b32 s21, s8, vcc_lo
	s_and_saveexec_b32 s20, s21
	s_cbranch_execz .LBB192_10
; %bb.9:                                ;   in Loop: Header=BB192_5 Depth=1
	v_add_nc_u32_e32 v1, v20, v0
	s_delay_alu instid0(VALU_DEP_1)
	v_mad_nc_i64_i32 v[2:3], v1, 36, s[2:3]
	global_load_b32 v1, v[2:3], off
	s_wait_loadcnt 0x0
	ds_store_b32 v88, v1
.LBB192_10:                             ;   in Loop: Header=BB192_5 Depth=1
	s_or_b32 exec_lo, exec_lo, s20
	s_wait_dscnt 0x0
	s_barrier_signal -1
	s_barrier_wait -1
	ds_load_b32 v1, v51 offset:128
	ds_load_b32 v2, v49
	ds_load_b32 v4, v53 offset:256
	ds_load_b32 v6, v55 offset:384
	s_mov_b32 s21, 0
	s_mov_b32 s20, -1
	s_wait_dscnt 0x2
	v_dual_lshrrev_b32 v5, 16, v1 :: v_dual_lshrrev_b32 v7, 16, v2
	s_wait_dscnt 0x0
	v_dual_lshrrev_b32 v8, 16, v4 :: v_dual_lshrrev_b32 v9, 16, v6
	v_cvt_f32_f16_e32 v3, v1
	v_cvt_f32_f16_e32 v2, v2
	;; [unrolled: 1-line block ×8, first 2 shown]
.LBB192_11:                             ;   Parent Loop BB192_5 Depth=1
                                        ; =>  This Inner Loop Header: Depth=2
	s_lshr_b32 s23, s21, 2
	v_lshl_or_b32 v8, s21, 1, v31
	s_lshl_b32 s22, s21, 2
	s_add_co_i32 s21, s23, 0x4200
	v_dual_add_nc_u32 v80, s22, v108 :: v_dual_add_nc_u32 v141, s22, v109
	v_add3_u32 v81, s21, v114, v105
	v_dual_lshlrev_b32 v9, 2, v8 :: v_dual_lshrrev_b32 v8, 1, v8
	v_add3_u32 v10, s21, v116, v104
	ds_load_2addr_b32 v[72:73], v141 offset0:2 offset1:3
	ds_load_2addr_b32 v[70:71], v141 offset0:4 offset1:5
	ds_load_u16 v11, v81 offset:8
	ds_load_b128 v[66:69], v9 offset:19008
	ds_load_b128 v[74:77], v9 offset:19024
	;; [unrolled: 1-line block ×4, first 2 shown]
	ds_load_b64 v[8:9], v8 offset:20560
	ds_load_u16 v83, v10
	ds_load_u16 v10, v10 offset:8
	v_add3_u32 v186, s21, v59, v107
	v_add3_u32 v189, s21, v61, v106
	s_mov_b32 s21, 8
	s_and_b32 vcc_lo, exec_lo, s20
	s_mov_b32 s20, 0
	v_dual_add_nc_u32 v185, s22, v111 :: v_dual_add_nc_u32 v188, s22, v110
	s_wait_dscnt 0x7
	v_cvt_f32_ubyte0_e32 v79, v11
	v_cvt_f32_ubyte1_e32 v173, v11
	s_wait_dscnt 0x5
	v_lshrrev_b16 v162, 8, v74
	v_lshrrev_b16 v154, 8, v75
	v_dual_ashrrev_i32 v129, 24, v74 :: v_dual_ashrrev_i32 v117, 24, v75
	v_bfe_i32 v130, v74, 16, 8
	v_bfe_i32 v133, v74, 0, 8
	;; [unrolled: 1-line block ×4, first 2 shown]
	ds_load_2addr_b32 v[74:75], v80 offset1:1
	s_wait_dscnt 0x3
	v_lshrrev_b32_e32 v11, 16, v8
	v_lshrrev_b16 v167, 8, v67
	v_lshrrev_b16 v168, 8, v68
	v_dual_ashrrev_i32 v175, 24, v66 :: v_dual_ashrrev_i32 v159, 24, v67
	v_bfe_i32 v160, v67, 16, 8
	v_bfe_i32 v164, v67, 0, 8
	v_dual_ashrrev_i32 v142, 24, v68 :: v_dual_ashrrev_i32 v135, 24, v69
	v_bfe_i32 v143, v68, 16, 8
	v_bfe_i32 v149, v68, 0, 8
	v_lshrrev_b32_e32 v68, 16, v9
	v_cvt_f32_f16_e32 v67, v11
	v_lshrrev_b16 v177, 8, v120
	v_dual_ashrrev_i32 v169, 24, v120 :: v_dual_ashrrev_i32 v153, 24, v121
	v_bfe_i32 v171, v120, 16, 8
	v_bfe_i32 v174, v120, 0, 8
	v_ashrrev_i32_e32 v120, 24, v180
	s_wait_dscnt 0x1
	v_cvt_f32_ubyte0_e32 v78, v10
	v_cvt_f32_ubyte1_e32 v172, v10
	v_cvt_f32_f16_e32 v11, v68
	v_mov_b32_e32 v10, v67
	v_lshrrev_b16 v147, 8, v66
	v_lshrrev_b16 v161, 8, v69
	v_bfe_i32 v184, v66, 0, 8
	v_bfe_i32 v137, v69, 16, 8
	;; [unrolled: 1-line block ×3, first 2 shown]
	v_lshrrev_b16 v155, 8, v76
	v_dual_ashrrev_i32 v86, 24, v76 :: v_dual_ashrrev_i32 v84, 24, v77
	v_bfe_i32 v87, v76, 16, 8
	v_bfe_i32 v118, v76, 0, 8
	v_pk_fma_f32 v[68:69], v[10:11], v[78:79], 0 op_sel_hi:[0,1,0]
	s_wait_dscnt 0x0
	v_dual_mov_b32 v10, v11 :: v_dual_bitop2_b32 v76, 15, v74 bitop3:0x40
	v_bfe_i32 v176, v66, 16, 8
	v_lshrrev_b16 v148, 8, v77
	v_bfe_i32 v85, v77, 16, 8
	v_bfe_i32 v66, v77, 0, 8
	v_lshrrev_b16 v166, 8, v121
	v_bfe_i32 v158, v121, 16, 8
	v_bfe_i32 v165, v121, 0, 8
	v_ashrrev_i32_e32 v121, 24, v181
	v_pk_fma_f32 v[68:69], v[10:11], v[172:173], v[68:69] op_sel_hi:[0,1,1]
	v_bfe_i32 v173, v147, 0, 8
	v_mul_i32_i24_e32 v76, v184, v76
	v_bfe_u32 v77, v74, 8, 4
	v_bfe_u32 v78, v74, 24, 4
	v_lshrrev_b16 v163, 8, v122
	v_lshrrev_b16 v156, 8, v123
	v_dual_ashrrev_i32 v144, 24, v122 :: v_dual_ashrrev_i32 v136, 24, v123
	v_mad_i32_i24 v76, v173, v77, v76
	v_bfe_u32 v77, v74, 16, 4
	v_mul_i32_i24_e32 v78, v175, v78
	v_bfe_i32 v145, v122, 16, 8
	v_bfe_i32 v152, v122, 0, 8
	;; [unrolled: 1-line block ×3, first 2 shown]
	v_mul_i32_i24_e32 v77, v176, v77
	v_bfe_i32 v140, v123, 0, 8
	v_lshrrev_b16 v157, 8, v178
	v_lshrrev_b16 v150, 8, v179
	;; [unrolled: 1-line block ×3, first 2 shown]
	v_add3_u32 v170, v76, v77, v78
	ds_load_2addr_b32 v[76:77], v141 offset1:1
	v_lshrrev_b16 v146, 8, v181
	v_dual_ashrrev_i32 v131, 24, v178 :: v_dual_ashrrev_i32 v123, 24, v179
	v_bfe_i32 v132, v178, 16, 8
	v_bfe_i32 v134, v178, 0, 8
	;; [unrolled: 1-line block ×16, first 2 shown]
	s_wait_dscnt 0x0
	v_and_b32_e32 v78, 15, v76
	v_bfe_u32 v79, v76, 8, 4
	v_bfe_u32 v147, v76, 24, 4
	v_bfe_i32 v148, v148, 0, 8
	v_pk_mul_f32 v[68:69], v[68:69], v[4:5]
	v_mul_i32_i24_e32 v78, v184, v78
	s_delay_alu instid0(VALU_DEP_4) | instskip(NEXT) | instid1(VALU_DEP_2)
	v_mul_i32_i24_e32 v147, v175, v147
	v_mad_i32_i24 v78, v173, v79, v78
	v_bfe_u32 v79, v76, 16, 4
	s_delay_alu instid0(VALU_DEP_1) | instskip(NEXT) | instid1(VALU_DEP_1)
	v_mul_i32_i24_e32 v79, v176, v79
	v_add3_u32 v172, v78, v79, v147
	ds_load_2addr_b32 v[178:179], v185 offset0:2 offset1:3
	ds_load_2addr_b32 v[78:79], v185 offset0:4 offset1:5
	ds_load_u16 v147, v186 offset:8
	ds_load_2addr_b32 v[180:181], v185 offset1:1
	s_wait_dscnt 0x0
	v_and_b32_e32 v182, 15, v181
	v_and_b32_e32 v183, 15, v180
	v_bfe_u32 v192, v180, 16, 4
	v_bfe_u32 v193, v180, 24, 4
	v_lshrrev_b32_e32 v194, 28, v180
	v_mul_i32_i24_e32 v182, v182, v164
	s_delay_alu instid0(VALU_DEP_1) | instskip(SKIP_4) | instid1(VALU_DEP_1)
	v_mad_i32_i24 v187, v183, v184, v182
	ds_load_u16 v190, v189 offset:8
	ds_load_2addr_b32 v[182:183], v188 offset1:1
	s_wait_dscnt 0x0
	v_and_b32_e32 v191, 15, v182
	v_mul_i32_i24_e32 v184, v184, v191
	v_bfe_u32 v191, v181, 16, 4
	s_delay_alu instid0(VALU_DEP_1) | instskip(NEXT) | instid1(VALU_DEP_1)
	v_mul_i32_i24_e32 v191, v191, v160
	v_mad_i32_i24 v191, v192, v176, v191
	v_bfe_u32 v192, v182, 16, 4
	s_delay_alu instid0(VALU_DEP_1) | instskip(SKIP_1) | instid1(VALU_DEP_1)
	v_mul_i32_i24_e32 v176, v176, v192
	v_bfe_u32 v192, v181, 24, 4
	v_mul_i32_i24_e32 v192, v192, v159
	s_delay_alu instid0(VALU_DEP_1) | instskip(SKIP_1) | instid1(VALU_DEP_1)
	v_mad_i32_i24 v192, v193, v175, v192
	v_bfe_u32 v193, v182, 24, 4
	v_mul_i32_i24_e32 v175, v175, v193
	v_bfe_u32 v193, v182, 8, 4
	s_delay_alu instid0(VALU_DEP_1) | instskip(SKIP_2) | instid1(VALU_DEP_3)
	v_mad_i32_i24 v184, v173, v193, v184
	v_bfe_i32 v193, v177, 0, 8
	v_bfe_u32 v177, v180, 20, 4
	v_add3_u32 v184, v184, v176, v175
	v_bfe_u32 v175, v178, 16, 4
	v_bfe_u32 v176, v179, 16, 4
	s_delay_alu instid0(VALU_DEP_2) | instskip(NEXT) | instid1(VALU_DEP_2)
	v_mul_i32_i24_e32 v175, v175, v143
	v_mul_i32_i24_e32 v176, v176, v137
	s_delay_alu instid0(VALU_DEP_1) | instskip(SKIP_2) | instid1(VALU_DEP_2)
	v_add3_u32 v191, v191, v175, v176
	v_and_b32_e32 v175, 15, v178
	v_and_b32_e32 v176, 15, v179
	v_mul_i32_i24_e32 v175, v175, v149
	s_delay_alu instid0(VALU_DEP_2) | instskip(NEXT) | instid1(VALU_DEP_1)
	v_mul_i32_i24_e32 v176, v176, v139
	v_add3_u32 v187, v187, v175, v176
	v_bfe_u32 v175, v178, 24, 4
	v_bfe_u32 v176, v179, 24, 4
	s_delay_alu instid0(VALU_DEP_2) | instskip(NEXT) | instid1(VALU_DEP_2)
	v_mul_i32_i24_e32 v175, v175, v142
	v_mul_i32_i24_e32 v176, v176, v135
	s_delay_alu instid0(VALU_DEP_1) | instskip(SKIP_2) | instid1(VALU_DEP_2)
	v_add3_u32 v192, v192, v175, v176
	v_bfe_u32 v175, v74, 4, 4
	v_bfe_u32 v176, v74, 12, 4
	v_mul_i32_i24_e32 v175, v174, v175
	s_delay_alu instid0(VALU_DEP_1) | instskip(SKIP_2) | instid1(VALU_DEP_2)
	v_mad_i32_i24 v175, v193, v176, v175
	v_bfe_u32 v176, v74, 20, 4
	v_lshrrev_b32_e32 v74, 28, v74
	v_mul_i32_i24_e32 v176, v171, v176
	s_delay_alu instid0(VALU_DEP_2) | instskip(NEXT) | instid1(VALU_DEP_1)
	v_mul_i32_i24_e32 v74, v169, v74
	v_add3_u32 v74, v175, v176, v74
	v_bfe_u32 v175, v76, 4, 4
	v_bfe_u32 v176, v76, 12, 4
	s_delay_alu instid0(VALU_DEP_2) | instskip(NEXT) | instid1(VALU_DEP_1)
	v_mul_i32_i24_e32 v175, v174, v175
	v_mad_i32_i24 v175, v193, v176, v175
	v_bfe_u32 v176, v76, 20, 4
	v_lshrrev_b32_e32 v76, 28, v76
	s_delay_alu instid0(VALU_DEP_2) | instskip(NEXT) | instid1(VALU_DEP_2)
	v_mul_i32_i24_e32 v176, v171, v176
	v_mul_i32_i24_e32 v76, v169, v76
	s_delay_alu instid0(VALU_DEP_1) | instskip(SKIP_2) | instid1(VALU_DEP_2)
	v_add3_u32 v76, v175, v176, v76
	v_bfe_u32 v175, v181, 4, 4
	v_bfe_u32 v176, v180, 4, 4
	v_mul_i32_i24_e32 v175, v175, v165
	s_delay_alu instid0(VALU_DEP_1) | instskip(SKIP_1) | instid1(VALU_DEP_1)
	v_mad_i32_i24 v175, v176, v174, v175
	v_bfe_u32 v176, v182, 4, 4
	v_mul_i32_i24_e32 v174, v174, v176
	v_bfe_u32 v176, v181, 20, 4
	s_delay_alu instid0(VALU_DEP_1) | instskip(NEXT) | instid1(VALU_DEP_1)
	v_mul_i32_i24_e32 v176, v176, v158
	v_mad_i32_i24 v176, v177, v171, v176
	v_bfe_u32 v177, v182, 20, 4
	s_delay_alu instid0(VALU_DEP_1) | instskip(SKIP_1) | instid1(VALU_DEP_1)
	v_mul_i32_i24_e32 v171, v171, v177
	v_lshrrev_b32_e32 v177, 28, v181
	v_mul_i32_i24_e32 v177, v177, v153
	s_delay_alu instid0(VALU_DEP_1) | instskip(SKIP_2) | instid1(VALU_DEP_2)
	v_mad_i32_i24 v177, v194, v169, v177
	v_lshrrev_b32_e32 v194, 28, v182
	v_bfe_u32 v182, v182, 12, 4
	v_mul_i32_i24_e32 v169, v169, v194
	s_delay_alu instid0(VALU_DEP_2) | instskip(NEXT) | instid1(VALU_DEP_1)
	v_mad_i32_i24 v174, v193, v182, v174
	v_add3_u32 v169, v174, v171, v169
	v_bfe_u32 v171, v178, 20, 4
	v_bfe_u32 v174, v179, 20, 4
	s_delay_alu instid0(VALU_DEP_2) | instskip(NEXT) | instid1(VALU_DEP_2)
	v_mul_i32_i24_e32 v171, v171, v145
	v_mul_i32_i24_e32 v174, v174, v138
	s_delay_alu instid0(VALU_DEP_1) | instskip(SKIP_2) | instid1(VALU_DEP_2)
	v_add3_u32 v171, v176, v171, v174
	v_bfe_u32 v174, v178, 4, 4
	v_bfe_u32 v176, v179, 4, 4
	v_mul_i32_i24_e32 v174, v174, v152
	s_delay_alu instid0(VALU_DEP_2) | instskip(NEXT) | instid1(VALU_DEP_1)
	v_mul_i32_i24_e32 v176, v176, v140
	v_add3_u32 v182, v175, v174, v176
	v_dual_lshrrev_b32 v174, 28, v178 :: v_dual_lshrrev_b32 v175, 28, v179
	v_mov_b32_e32 v176, v67
	s_delay_alu instid0(VALU_DEP_2) | instskip(NEXT) | instid1(VALU_DEP_3)
	v_mul_i32_i24_e32 v174, v174, v144
	v_mul_i32_i24_e32 v175, v175, v136
	s_delay_alu instid0(VALU_DEP_1) | instskip(SKIP_4) | instid1(VALU_DEP_2)
	v_add3_u32 v194, v177, v174, v175
	v_cvt_f32_ubyte0_e32 v174, v190
	v_cvt_f32_ubyte1_e32 v175, v190
	v_mov_b32_e32 v177, v11
	v_bfe_i32 v190, v161, 0, 8
	v_pk_mul_f32 v[174:175], v[176:177], v[174:175]
	v_and_b32_e32 v176, 0xf0f0f0f, v180
	v_and_b32_e32 v177, 0xf0f0f0f, v178
	v_lshrrev_b32_e32 v178, 4, v178
	s_delay_alu instid0(VALU_DEP_3) | instskip(NEXT) | instid1(VALU_DEP_3)
	v_lshrrev_b16 v176, 8, v176
	v_lshrrev_b16 v177, 8, v177
	s_delay_alu instid0(VALU_DEP_3) | instskip(NEXT) | instid1(VALU_DEP_3)
	v_lshrrev_b16 v178, 8, v178
	v_and_b32_e32 v176, 0xffff, v176
	s_delay_alu instid0(VALU_DEP_3) | instskip(NEXT) | instid1(VALU_DEP_3)
	v_and_b32_e32 v177, 0xffff, v177
	v_and_b32_e32 v178, 15, v178
	s_delay_alu instid0(VALU_DEP_3) | instskip(SKIP_1) | instid1(VALU_DEP_4)
	v_mul_i32_i24_e32 v173, v176, v173
	v_and_b32_e32 v176, 0xf0f0f0f, v181
	v_mul_i32_i24_e32 v177, v177, v168
	s_delay_alu instid0(VALU_DEP_4) | instskip(NEXT) | instid1(VALU_DEP_3)
	v_and_b32_e32 v178, 0xffff, v178
	v_lshrrev_b16 v176, 8, v176
	s_delay_alu instid0(VALU_DEP_2) | instskip(NEXT) | instid1(VALU_DEP_2)
	v_mul_i32_i24_e32 v178, v178, v163
	v_and_b32_e32 v176, 0xffff, v176
	s_delay_alu instid0(VALU_DEP_1) | instskip(NEXT) | instid1(VALU_DEP_1)
	v_mul_i32_i24_e32 v176, v176, v167
	v_add3_u32 v173, v173, v176, v177
	v_and_b32_e32 v176, 15, v75
	v_bfe_u32 v177, v75, 8, 4
	s_delay_alu instid0(VALU_DEP_2) | instskip(NEXT) | instid1(VALU_DEP_2)
	v_mul_i32_i24_e32 v176, v164, v176
	v_mul_i32_i24_e32 v177, v167, v177
	s_delay_alu instid0(VALU_DEP_1) | instskip(SKIP_2) | instid1(VALU_DEP_2)
	v_add3_u32 v170, v170, v177, v176
	v_and_b32_e32 v176, 15, v77
	v_bfe_u32 v177, v77, 8, 4
	v_mul_i32_i24_e32 v176, v164, v176
	s_delay_alu instid0(VALU_DEP_2) | instskip(NEXT) | instid1(VALU_DEP_1)
	v_mul_i32_i24_e32 v177, v167, v177
	v_add3_u32 v172, v172, v177, v176
	v_and_b32_e32 v176, 15, v183
	v_and_b32_e32 v177, 15, v79
	s_delay_alu instid0(VALU_DEP_2) | instskip(SKIP_1) | instid1(VALU_DEP_3)
	v_mul_i32_i24_e32 v164, v164, v176
	v_bfe_u32 v176, v183, 8, 4
	v_mul_i32_i24_e32 v177, v177, v128
	s_delay_alu instid0(VALU_DEP_2) | instskip(SKIP_1) | instid1(VALU_DEP_2)
	v_mul_i32_i24_e32 v167, v167, v176
	v_bfe_u32 v176, v79, 24, 4
	v_add3_u32 v164, v184, v167, v164
	v_bfe_u32 v167, v78, 24, 4
	s_delay_alu instid0(VALU_DEP_3) | instskip(SKIP_1) | instid1(VALU_DEP_3)
	v_mul_i32_i24_e32 v176, v176, v117
	v_bfe_u32 v184, v79, 16, 4
	v_mul_i32_i24_e32 v167, v167, v129
	s_delay_alu instid0(VALU_DEP_2) | instskip(NEXT) | instid1(VALU_DEP_2)
	v_mul_i32_i24_e32 v184, v184, v119
	v_add3_u32 v167, v192, v167, v176
	v_and_b32_e32 v176, 15, v78
	s_delay_alu instid0(VALU_DEP_1) | instskip(NEXT) | instid1(VALU_DEP_1)
	v_mul_i32_i24_e32 v176, v176, v133
	v_add3_u32 v176, v187, v176, v177
	v_bfe_u32 v177, v78, 16, 4
	v_bfe_u32 v187, v75, 12, 4
	s_delay_alu instid0(VALU_DEP_2) | instskip(NEXT) | instid1(VALU_DEP_2)
	v_mul_i32_i24_e32 v177, v177, v130
	v_mul_i32_i24_e32 v187, v166, v187
	s_delay_alu instid0(VALU_DEP_2) | instskip(SKIP_1) | instid1(VALU_DEP_1)
	v_add3_u32 v177, v191, v177, v184
	v_bfe_u32 v184, v75, 4, 4
	v_mul_i32_i24_e32 v184, v165, v184
	s_delay_alu instid0(VALU_DEP_1) | instskip(SKIP_2) | instid1(VALU_DEP_2)
	v_add3_u32 v74, v74, v184, v187
	v_bfe_u32 v184, v77, 4, 4
	v_bfe_u32 v187, v77, 12, 4
	v_mul_i32_i24_e32 v184, v165, v184
	s_delay_alu instid0(VALU_DEP_2) | instskip(NEXT) | instid1(VALU_DEP_1)
	v_mul_i32_i24_e32 v187, v166, v187
	v_add3_u32 v76, v76, v184, v187
	v_bfe_u32 v184, v183, 4, 4
	v_bfe_u32 v187, v79, 4, 4
	s_delay_alu instid0(VALU_DEP_2) | instskip(SKIP_1) | instid1(VALU_DEP_3)
	v_mul_i32_i24_e32 v165, v165, v184
	v_bfe_u32 v184, v183, 12, 4
	v_mul_i32_i24_e32 v187, v187, v127
	s_delay_alu instid0(VALU_DEP_2) | instskip(NEXT) | instid1(VALU_DEP_1)
	v_mul_i32_i24_e32 v184, v166, v184
	v_add3_u32 v165, v169, v165, v184
	v_dual_lshrrev_b32 v169, 28, v78 :: v_dual_lshrrev_b32 v184, 28, v79
	s_delay_alu instid0(VALU_DEP_1) | instskip(NEXT) | instid1(VALU_DEP_2)
	v_mul_i32_i24_e32 v169, v169, v131
	v_mul_i32_i24_e32 v184, v184, v123
	s_delay_alu instid0(VALU_DEP_1) | instskip(SKIP_1) | instid1(VALU_DEP_1)
	v_add3_u32 v169, v194, v169, v184
	v_bfe_u32 v184, v78, 4, 4
	v_mul_i32_i24_e32 v184, v184, v134
	s_delay_alu instid0(VALU_DEP_1) | instskip(SKIP_2) | instid1(VALU_DEP_2)
	v_add3_u32 v182, v182, v184, v187
	v_bfe_u32 v184, v78, 20, 4
	v_bfe_u32 v187, v79, 20, 4
	v_mul_i32_i24_e32 v184, v184, v132
	s_delay_alu instid0(VALU_DEP_2) | instskip(NEXT) | instid1(VALU_DEP_1)
	v_mul_i32_i24_e32 v187, v187, v124
	v_add3_u32 v171, v171, v184, v187
	v_and_b32_e32 v184, 0xf0f0f0f, v179
	v_and_b32_e32 v187, 0xf0f0f0f, v78
	s_delay_alu instid0(VALU_DEP_2) | instskip(NEXT) | instid1(VALU_DEP_2)
	v_lshrrev_b16 v184, 8, v184
	v_lshrrev_b16 v187, 8, v187
	s_delay_alu instid0(VALU_DEP_2) | instskip(NEXT) | instid1(VALU_DEP_2)
	v_and_b32_e32 v161, 0xffff, v184
	v_and_b32_e32 v184, 0xffff, v187
	s_delay_alu instid0(VALU_DEP_2) | instskip(NEXT) | instid1(VALU_DEP_2)
	v_mul_i32_i24_e32 v161, v161, v190
	v_mul_i32_i24_e32 v184, v184, v162
	s_delay_alu instid0(VALU_DEP_1) | instskip(SKIP_1) | instid1(VALU_DEP_1)
	v_add3_u32 v173, v173, v161, v184
	v_dual_lshrrev_b32 v161, 4, v180 :: v_dual_lshrrev_b32 v180, 4, v181
	v_lshrrev_b16 v161, 8, v161
	s_delay_alu instid0(VALU_DEP_2) | instskip(NEXT) | instid1(VALU_DEP_2)
	v_lshrrev_b16 v180, 8, v180
	v_and_b32_e32 v161, 15, v161
	s_delay_alu instid0(VALU_DEP_2) | instskip(NEXT) | instid1(VALU_DEP_2)
	v_and_b32_e32 v180, 15, v180
	v_and_b32_e32 v161, 0xffff, v161
	s_delay_alu instid0(VALU_DEP_2) | instskip(NEXT) | instid1(VALU_DEP_2)
	v_and_b32_e32 v180, 0xffff, v180
	v_mul_i32_i24_e32 v161, v161, v193
	s_delay_alu instid0(VALU_DEP_2) | instskip(NEXT) | instid1(VALU_DEP_1)
	v_mul_i32_i24_e32 v166, v180, v166
	v_add3_u32 v166, v161, v166, v178
	v_bfe_u32 v161, v75, 16, 4
	v_bfe_u32 v178, v75, 24, 4
	s_delay_alu instid0(VALU_DEP_2) | instskip(NEXT) | instid1(VALU_DEP_2)
	v_mul_i32_i24_e32 v161, v160, v161
	v_mul_i32_i24_e32 v178, v159, v178
	s_delay_alu instid0(VALU_DEP_1) | instskip(SKIP_2) | instid1(VALU_DEP_2)
	v_add3_u32 v170, v170, v161, v178
	v_bfe_u32 v161, v77, 16, 4
	v_bfe_u32 v178, v77, 24, 4
	v_mul_i32_i24_e32 v161, v160, v161
	s_delay_alu instid0(VALU_DEP_2) | instskip(NEXT) | instid1(VALU_DEP_1)
	v_mul_i32_i24_e32 v178, v159, v178
	v_add3_u32 v172, v172, v161, v178
	v_bfe_u32 v161, v183, 16, 4
	s_delay_alu instid0(VALU_DEP_1) | instskip(SKIP_1) | instid1(VALU_DEP_1)
	v_mul_i32_i24_e32 v160, v160, v161
	v_bfe_u32 v161, v183, 24, 4
	v_mul_i32_i24_e32 v159, v159, v161
	s_delay_alu instid0(VALU_DEP_1) | instskip(SKIP_4) | instid1(VALU_DEP_2)
	v_add3_u32 v164, v164, v160, v159
	ds_load_2addr_b32 v[160:161], v185 offset0:6 offset1:7
	s_wait_dscnt 0x0
	v_bfe_u32 v159, v160, 16, 4
	v_bfe_u32 v178, v161, 16, 4
	v_mul_i32_i24_e32 v159, v159, v87
	s_delay_alu instid0(VALU_DEP_2) | instskip(NEXT) | instid1(VALU_DEP_1)
	v_mul_i32_i24_e32 v178, v178, v85
	v_add3_u32 v177, v177, v159, v178
	v_and_b32_e32 v159, 15, v160
	v_and_b32_e32 v178, 15, v161
	s_delay_alu instid0(VALU_DEP_2) | instskip(NEXT) | instid1(VALU_DEP_2)
	v_mul_i32_i24_e32 v159, v159, v118
	v_mul_i32_i24_e32 v178, v178, v66
	s_delay_alu instid0(VALU_DEP_1) | instskip(SKIP_2) | instid1(VALU_DEP_2)
	v_add3_u32 v176, v176, v159, v178
	v_bfe_u32 v159, v160, 24, 4
	v_bfe_u32 v178, v161, 24, 4
	v_mul_i32_i24_e32 v159, v159, v86
	s_delay_alu instid0(VALU_DEP_2) | instskip(NEXT) | instid1(VALU_DEP_1)
	v_mul_i32_i24_e32 v178, v178, v84
	v_add3_u32 v167, v167, v159, v178
	v_bfe_u32 v159, v75, 20, 4
	v_lshrrev_b32_e32 v75, 28, v75
	s_delay_alu instid0(VALU_DEP_2) | instskip(NEXT) | instid1(VALU_DEP_2)
	v_mul_i32_i24_e32 v159, v158, v159
	v_mul_i32_i24_e32 v75, v153, v75
	s_delay_alu instid0(VALU_DEP_1) | instskip(SKIP_2) | instid1(VALU_DEP_2)
	v_add3_u32 v178, v74, v159, v75
	v_bfe_u32 v74, v77, 20, 4
	v_lshrrev_b32_e32 v75, 28, v77
	v_mul_i32_i24_e32 v74, v158, v74
	s_delay_alu instid0(VALU_DEP_2) | instskip(NEXT) | instid1(VALU_DEP_1)
	v_mul_i32_i24_e32 v75, v153, v75
	v_add3_u32 v180, v76, v74, v75
	v_bfe_u32 v74, v183, 20, 4
	v_lshrrev_b32_e32 v75, 28, v183
	s_delay_alu instid0(VALU_DEP_2) | instskip(NEXT) | instid1(VALU_DEP_2)
	v_mul_i32_i24_e32 v74, v158, v74
	v_mul_i32_i24_e32 v75, v153, v75
	s_delay_alu instid0(VALU_DEP_1) | instskip(SKIP_2) | instid1(VALU_DEP_2)
	v_add3_u32 v165, v165, v74, v75
	v_bfe_u32 v74, v160, 20, 4
	v_bfe_u32 v75, v161, 20, 4
	v_mul_i32_i24_e32 v74, v74, v125
	s_delay_alu instid0(VALU_DEP_2) | instskip(NEXT) | instid1(VALU_DEP_1)
	v_mul_i32_i24_e32 v75, v75, v122
	v_add3_u32 v171, v171, v74, v75
	v_bfe_u32 v74, v160, 4, 4
	v_bfe_u32 v75, v161, 4, 4
	s_delay_alu instid0(VALU_DEP_2) | instskip(NEXT) | instid1(VALU_DEP_2)
	v_mul_i32_i24_e32 v74, v74, v126
	v_mul_i32_i24_e32 v75, v75, v10
	s_delay_alu instid0(VALU_DEP_1) | instskip(SKIP_2) | instid1(VALU_DEP_2)
	v_add3_u32 v181, v182, v74, v75
	v_dual_lshrrev_b32 v74, 28, v160 :: v_dual_lshrrev_b32 v75, 28, v161
	v_bfe_i32 v182, v157, 0, 8
	v_mul_i32_i24_e32 v74, v74, v120
	s_delay_alu instid0(VALU_DEP_3) | instskip(NEXT) | instid1(VALU_DEP_1)
	v_mul_i32_i24_e32 v75, v75, v121
	v_add3_u32 v169, v169, v74, v75
	v_add_f32_e32 v74, 0, v174
	v_and_b32_e32 v75, 0xf0f0f0f, v160
	v_bfe_i32 v174, v154, 0, 8
	s_delay_alu instid0(VALU_DEP_3) | instskip(SKIP_1) | instid1(VALU_DEP_4)
	v_add_f32_e32 v153, v74, v175
	v_and_b32_e32 v74, 0xf0f0f0f, v79
	v_lshrrev_b16 v75, 8, v75
	v_bfe_i32 v175, v155, 0, 8
	v_lshrrev_b32_e32 v79, 4, v79
	s_delay_alu instid0(VALU_DEP_4) | instskip(NEXT) | instid1(VALU_DEP_4)
	v_lshrrev_b16 v74, 8, v74
	v_and_b32_e32 v75, 0xffff, v75
	s_delay_alu instid0(VALU_DEP_3) | instskip(SKIP_1) | instid1(VALU_DEP_4)
	v_lshrrev_b16 v79, 8, v79
	v_lshrrev_b32_e32 v160, 4, v160
	v_and_b32_e32 v74, 0xffff, v74
	s_delay_alu instid0(VALU_DEP_4) | instskip(NEXT) | instid1(VALU_DEP_4)
	v_mul_i32_i24_e32 v75, v75, v175
	v_and_b32_e32 v79, 15, v79
	s_delay_alu instid0(VALU_DEP_4) | instskip(NEXT) | instid1(VALU_DEP_4)
	v_lshrrev_b16 v160, 8, v160
	v_mul_i32_i24_e32 v74, v74, v174
	s_delay_alu instid0(VALU_DEP_3) | instskip(NEXT) | instid1(VALU_DEP_3)
	v_and_b32_e32 v79, 0xffff, v79
	v_and_b32_e32 v160, 15, v160
	s_delay_alu instid0(VALU_DEP_3) | instskip(SKIP_2) | instid1(VALU_DEP_4)
	v_add3_u32 v173, v173, v74, v75
	v_dual_lshrrev_b32 v74, 4, v179 :: v_dual_lshrrev_b32 v75, 4, v78
	v_bfe_i32 v179, v156, 0, 8
	v_and_b32_e32 v160, 0xffff, v160
	v_mul_i32_i24_e32 v79, v79, v150
	s_delay_alu instid0(VALU_DEP_4) | instskip(SKIP_1) | instid1(VALU_DEP_4)
	v_lshrrev_b16 v74, 8, v74
	v_lshrrev_b16 v75, 8, v75
	v_mul_i32_i24_e32 v160, v160, v151
	s_delay_alu instid0(VALU_DEP_3) | instskip(NEXT) | instid1(VALU_DEP_3)
	v_and_b32_e32 v74, 15, v74
	v_and_b32_e32 v75, 15, v75
	s_delay_alu instid0(VALU_DEP_2) | instskip(NEXT) | instid1(VALU_DEP_2)
	v_and_b32_e32 v74, 0xffff, v74
	v_and_b32_e32 v75, 0xffff, v75
	s_delay_alu instid0(VALU_DEP_2) | instskip(NEXT) | instid1(VALU_DEP_2)
	v_mul_i32_i24_e32 v74, v74, v179
	v_mul_i32_i24_e32 v75, v75, v182
	s_delay_alu instid0(VALU_DEP_1)
	v_add3_u32 v166, v166, v74, v75
	ds_load_u16 v78, v81
	ds_load_2addr_b32 v[154:155], v80 offset0:2 offset1:3
	ds_load_2addr_b32 v[76:77], v80 offset0:4 offset1:5
	ds_load_2addr_b32 v[74:75], v80 offset0:6 offset1:7
	v_add3_u32 v79, v166, v79, v160
	v_bfe_u32 v166, v72, 24, 4
	s_delay_alu instid0(VALU_DEP_1)
	v_mul_i32_i24_e32 v166, v142, v166
	s_wait_dscnt 0x2
	v_and_b32_e32 v80, 15, v154
	v_bfe_u32 v81, v154, 8, 4
	v_bfe_u32 v160, v154, 16, 4
	s_wait_dscnt 0x0
	v_and_b32_e32 v185, 15, v75
	v_bfe_u32 v187, v74, 12, 4
	v_mul_i32_i24_e32 v80, v149, v80
	v_mul_i32_i24_e32 v81, v168, v81
	;; [unrolled: 1-line block ×3, first 2 shown]
	v_bfe_u32 v191, v75, 20, 4
	s_delay_alu instid0(VALU_DEP_3) | instskip(SKIP_2) | instid1(VALU_DEP_2)
	v_add3_u32 v170, v170, v81, v80
	v_and_b32_e32 v80, 15, v72
	v_bfe_u32 v81, v72, 8, 4
	v_mul_i32_i24_e32 v80, v149, v80
	s_delay_alu instid0(VALU_DEP_2) | instskip(NEXT) | instid1(VALU_DEP_1)
	v_mul_i32_i24_e32 v81, v168, v81
	v_add3_u32 v172, v172, v81, v80
	ds_load_u16 v183, v186
	ds_load_2addr_b32 v[156:157], v188 offset0:2 offset1:3
	ds_load_2addr_b32 v[158:159], v188 offset0:4 offset1:5
	;; [unrolled: 1-line block ×3, first 2 shown]
	v_bfe_u32 v186, v74, 4, 4
	s_wait_dscnt 0x2
	v_dual_lshrrev_b32 v188, 28, v74 :: v_dual_bitop2_b32 v184, 15, v156 bitop3:0x40
	s_delay_alu instid0(VALU_DEP_1) | instskip(SKIP_1) | instid1(VALU_DEP_1)
	v_mul_i32_i24_e32 v149, v149, v184
	v_bfe_u32 v184, v156, 8, 4
	v_mul_i32_i24_e32 v168, v168, v184
	v_lshrrev_b32_e32 v184, 4, v75
	s_delay_alu instid0(VALU_DEP_2) | instskip(SKIP_2) | instid1(VALU_DEP_2)
	v_add3_u32 v149, v164, v168, v149
	v_bfe_u32 v164, v154, 4, 4
	v_bfe_u32 v168, v154, 12, 4
	v_mul_i32_i24_e32 v164, v152, v164
	s_delay_alu instid0(VALU_DEP_2) | instskip(NEXT) | instid1(VALU_DEP_1)
	v_mul_i32_i24_e32 v168, v163, v168
	v_add3_u32 v164, v178, v164, v168
	v_bfe_u32 v168, v72, 4, 4
	v_bfe_u32 v178, v72, 12, 4
	s_delay_alu instid0(VALU_DEP_2) | instskip(NEXT) | instid1(VALU_DEP_2)
	v_mul_i32_i24_e32 v168, v152, v168
	v_mul_i32_i24_e32 v178, v163, v178
	s_delay_alu instid0(VALU_DEP_1) | instskip(SKIP_2) | instid1(VALU_DEP_2)
	v_add3_u32 v168, v180, v168, v178
	v_bfe_u32 v178, v156, 4, 4
	v_bfe_u32 v180, v74, 24, 4
	v_mul_i32_i24_e32 v152, v152, v178
	v_bfe_u32 v178, v156, 12, 4
	s_delay_alu instid0(VALU_DEP_1) | instskip(SKIP_1) | instid1(VALU_DEP_2)
	v_mul_i32_i24_e32 v163, v163, v178
	v_bfe_u32 v178, v74, 8, 4
	v_add3_u32 v152, v165, v152, v163
	v_bfe_u32 v165, v154, 24, 4
	v_and_b32_e32 v163, 0xf0f0f0f, v161
	s_delay_alu instid0(VALU_DEP_2) | instskip(NEXT) | instid1(VALU_DEP_2)
	v_mul_i32_i24_e32 v165, v142, v165
	v_lshrrev_b16 v163, 8, v163
	s_delay_alu instid0(VALU_DEP_2) | instskip(SKIP_1) | instid1(VALU_DEP_3)
	v_add3_u32 v160, v170, v160, v165
	v_bfe_u32 v165, v72, 16, 4
	v_and_b32_e32 v163, 0xffff, v163
	s_delay_alu instid0(VALU_DEP_2) | instskip(NEXT) | instid1(VALU_DEP_2)
	v_mul_i32_i24_e32 v165, v143, v165
	v_mul_i32_i24_e32 v163, v163, v148
	s_delay_alu instid0(VALU_DEP_2) | instskip(SKIP_1) | instid1(VALU_DEP_3)
	v_add3_u32 v165, v172, v165, v166
	v_bfe_u32 v166, v156, 16, 4
	v_add3_u32 v163, v173, v163, v167
	v_bfe_u32 v167, v157, 20, 4
	s_delay_alu instid0(VALU_DEP_3) | instskip(SKIP_1) | instid1(VALU_DEP_1)
	v_mul_i32_i24_e32 v143, v143, v166
	v_bfe_u32 v166, v156, 24, 4
	v_mul_i32_i24_e32 v142, v142, v166
	v_and_b32_e32 v166, 15, v77
	s_delay_alu instid0(VALU_DEP_2) | instskip(SKIP_2) | instid1(VALU_DEP_2)
	v_add3_u32 v149, v149, v143, v142
	v_bfe_u32 v142, v154, 20, 4
	v_lshrrev_b32_e32 v143, 28, v154
	v_mul_i32_i24_e32 v142, v145, v142
	s_delay_alu instid0(VALU_DEP_2) | instskip(NEXT) | instid1(VALU_DEP_1)
	v_mul_i32_i24_e32 v143, v144, v143
	v_add3_u32 v154, v164, v142, v143
	v_bfe_u32 v142, v72, 20, 4
	v_lshrrev_b32_e32 v72, 28, v72
	v_lshrrev_b32_e32 v143, 28, v156
	v_bfe_u32 v164, v73, 16, 4
	s_delay_alu instid0(VALU_DEP_4) | instskip(NEXT) | instid1(VALU_DEP_4)
	v_mul_i32_i24_e32 v142, v145, v142
	v_mul_i32_i24_e32 v72, v144, v72
	s_delay_alu instid0(VALU_DEP_4) | instskip(NEXT) | instid1(VALU_DEP_4)
	v_mul_i32_i24_e32 v143, v144, v143
	v_mul_i32_i24_e32 v164, v137, v164
	s_delay_alu instid0(VALU_DEP_3) | instskip(SKIP_2) | instid1(VALU_DEP_2)
	v_add3_u32 v72, v168, v142, v72
	v_bfe_u32 v142, v156, 20, 4
	v_bfe_u32 v168, v76, 12, 4
	v_mul_i32_i24_e32 v142, v145, v142
	v_add3_u32 v145, v176, v177, v163
	v_and_b32_e32 v163, 15, v76
	s_delay_alu instid0(VALU_DEP_4)
	v_mul_i32_i24_e32 v168, v182, v168
	v_and_b32_e32 v177, 15, v74
	v_add3_u32 v144, v152, v142, v143
	v_lshrrev_b32_e32 v142, 4, v161
	v_bfe_u32 v143, v155, 8, 4
	v_bfe_u32 v161, v155, 4, 4
	v_mul_i32_i24_e32 v163, v133, v163
	s_delay_alu instid0(VALU_DEP_4) | instskip(NEXT) | instid1(VALU_DEP_4)
	v_lshrrev_b16 v142, 8, v142
	v_mul_i32_i24_e32 v143, v190, v143
	s_delay_alu instid0(VALU_DEP_4) | instskip(NEXT) | instid1(VALU_DEP_3)
	v_mul_i32_i24_e32 v161, v140, v161
	v_and_b32_e32 v142, 15, v142
	s_delay_alu instid0(VALU_DEP_1) | instskip(NEXT) | instid1(VALU_DEP_1)
	v_and_b32_e32 v142, 0xffff, v142
	v_mul_i32_i24_e32 v142, v142, v146
	s_delay_alu instid0(VALU_DEP_1) | instskip(SKIP_3) | instid1(VALU_DEP_3)
	v_add3_u32 v79, v79, v142, v169
	v_and_b32_e32 v142, 15, v155
	s_wait_dscnt 0x1
	v_bfe_u32 v169, v158, 16, 4
	v_add3_u32 v79, v181, v171, v79
	s_delay_alu instid0(VALU_DEP_3) | instskip(SKIP_1) | instid1(VALU_DEP_2)
	v_mul_i32_i24_e32 v142, v139, v142
	v_bfe_u32 v181, v75, 8, 4
	v_add3_u32 v152, v160, v143, v142
	v_and_b32_e32 v142, 15, v73
	v_and_b32_e32 v160, 15, v157
	v_bfe_u32 v143, v73, 8, 4
	s_delay_alu instid0(VALU_DEP_3) | instskip(NEXT) | instid1(VALU_DEP_3)
	v_mul_i32_i24_e32 v142, v139, v142
	v_mul_i32_i24_e32 v139, v139, v160
	v_bfe_u32 v160, v157, 8, 4
	s_delay_alu instid0(VALU_DEP_4) | instskip(NEXT) | instid1(VALU_DEP_2)
	v_mul_i32_i24_e32 v143, v190, v143
	v_mul_i32_i24_e32 v160, v190, v160
	s_delay_alu instid0(VALU_DEP_2)
	v_add3_u32 v156, v165, v143, v142
	v_bfe_u32 v165, v73, 24, 4
	ds_load_2addr_b32 v[142:143], v141 offset0:6 offset1:7
	ds_load_u16 v141, v189
	v_bfe_u32 v189, v75, 24, 4
	v_add3_u32 v139, v149, v160, v139
	v_bfe_u32 v149, v155, 12, 4
	v_bfe_u32 v160, v73, 4, 4
	v_mul_i32_i24_e32 v165, v135, v165
	v_lshrrev_b32_e32 v190, 28, v75
	s_delay_alu instid0(VALU_DEP_4) | instskip(NEXT) | instid1(VALU_DEP_4)
	v_mul_i32_i24_e32 v149, v179, v149
	v_mul_i32_i24_e32 v160, v140, v160
	s_delay_alu instid0(VALU_DEP_4)
	v_add3_u32 v156, v156, v164, v165
	v_bfe_u32 v164, v155, 20, 4
	v_bfe_u32 v165, v157, 24, 4
	v_add3_u32 v149, v154, v161, v149
	v_bfe_u32 v154, v73, 12, 4
	v_bfe_u32 v161, v157, 4, 4
	v_mul_i32_i24_e32 v164, v138, v164
	s_delay_alu instid0(VALU_DEP_3) | instskip(NEXT) | instid1(VALU_DEP_3)
	v_mul_i32_i24_e32 v154, v179, v154
	v_mul_i32_i24_e32 v140, v140, v161
	v_bfe_u32 v161, v155, 24, 4
	s_wait_dscnt 0x1
	v_lshrrev_b32_e32 v172, 28, v142
	v_bfe_u32 v170, v142, 4, 4
	v_add3_u32 v72, v72, v160, v154
	v_bfe_u32 v154, v157, 12, 4
	v_bfe_u32 v160, v155, 16, 4
	v_lshrrev_b32_e32 v155, 28, v155
	v_mul_i32_i24_e32 v161, v135, v161
	v_mul_i32_i24_e32 v135, v135, v165
	;; [unrolled: 1-line block ×5, first 2 shown]
	v_bfe_u32 v165, v77, 16, 4
	v_bfe_u32 v179, v74, 16, 4
	v_add3_u32 v140, v144, v140, v154
	v_bfe_u32 v144, v76, 8, 4
	v_add3_u32 v149, v149, v164, v155
	v_bfe_u32 v164, v73, 20, 4
	v_lshrrev_b32_e32 v73, 28, v73
	v_add3_u32 v152, v152, v160, v161
	v_bfe_u32 v161, v157, 16, 4
	v_mul_i32_i24_e32 v144, v162, v144
	v_mul_i32_i24_e32 v164, v138, v164
	;; [unrolled: 1-line block ×3, first 2 shown]
	v_lshrrev_b32_e32 v157, 28, v157
	v_mul_i32_i24_e32 v137, v137, v161
	v_add3_u32 v144, v152, v144, v163
	v_and_b32_e32 v152, 15, v158
	v_add3_u32 v72, v72, v164, v73
	v_and_b32_e32 v73, 15, v70
	v_bfe_u32 v164, v70, 8, 4
	v_bfe_u32 v163, v158, 8, 4
	;; [unrolled: 1-line block ×4, first 2 shown]
	v_add3_u32 v135, v139, v137, v135
	v_bfe_u32 v139, v76, 20, 4
	v_bfe_u32 v155, v76, 4, 4
	v_mul_i32_i24_e32 v138, v138, v167
	v_mul_i32_i24_e32 v136, v136, v157
	;; [unrolled: 1-line block ×4, first 2 shown]
	v_bfe_u32 v163, v158, 12, 4
	v_lshrrev_b32_e32 v76, 28, v76
	v_mul_i32_i24_e32 v73, v133, v73
	v_mul_i32_i24_e32 v133, v133, v152
	v_bfe_u32 v152, v158, 4, 4
	v_add3_u32 v136, v140, v138, v136
	v_mul_i32_i24_e32 v163, v182, v163
	v_mul_i32_i24_e32 v155, v134, v155
	v_bfe_u32 v167, v70, 16, 4
	v_mul_i32_i24_e32 v152, v134, v152
	v_bfe_u32 v157, v70, 24, 4
	v_add3_u32 v133, v135, v162, v133
	v_mul_i32_i24_e32 v154, v130, v154
	v_mul_i32_i24_e32 v160, v129, v160
	v_add3_u32 v136, v136, v152, v163
	v_bfe_u32 v152, v70, 4, 4
	v_bfe_u32 v163, v70, 12, 4
	v_mul_i32_i24_e32 v167, v130, v167
	v_mul_i32_i24_e32 v157, v129, v157
	;; [unrolled: 1-line block ×5, first 2 shown]
	v_bfe_u32 v169, v158, 20, 4
	v_bfe_u32 v161, v77, 8, 4
	v_and_b32_e32 v138, 15, v71
	v_bfe_u32 v152, v70, 20, 4
	v_add3_u32 v72, v72, v134, v163
	v_bfe_u32 v134, v158, 24, 4
	v_and_b32_e32 v163, 15, v159
	v_add3_u32 v144, v144, v154, v160
	v_bfe_u32 v154, v159, 8, 4
	v_lshrrev_b32_e32 v70, 28, v70
	v_mul_i32_i24_e32 v129, v129, v134
	v_lshrrev_b32_e32 v134, 28, v158
	v_mul_i32_i24_e32 v158, v174, v161
	v_mul_i32_i24_e32 v138, v128, v138
	;; [unrolled: 1-line block ×3, first 2 shown]
	v_add3_u32 v129, v133, v130, v129
	v_mul_i32_i24_e32 v133, v132, v169
	v_mul_i32_i24_e32 v134, v131, v134
	v_lshrrev_b32_e32 v169, 28, v77
	v_add3_u32 v149, v149, v155, v168
	v_mul_i32_i24_e32 v76, v131, v76
	v_mul_i32_i24_e32 v70, v131, v70
	v_add3_u32 v133, v136, v133, v134
	v_mul_i32_i24_e32 v136, v152, v132
	v_mul_i32_i24_e32 v152, v128, v166
	;; [unrolled: 1-line block ×4, first 2 shown]
	v_bfe_u32 v140, v71, 8, 4
	v_add3_u32 v70, v72, v136, v70
	v_add3_u32 v144, v144, v158, v152
	v_bfe_u32 v152, v159, 4, 4
	v_bfe_u32 v158, v159, 12, 4
	v_add3_u32 v128, v129, v154, v128
	v_bfe_u32 v129, v77, 4, 4
	v_bfe_u32 v154, v77, 12, 4
	v_add3_u32 v76, v149, v132, v76
	v_mul_i32_i24_e32 v152, v127, v152
	v_mul_i32_i24_e32 v158, v150, v158
	v_mul_i32_i24_e32 v129, v127, v129
	v_mul_i32_i24_e32 v154, v150, v154
	v_add3_u32 v73, v156, v164, v73
	v_bfe_u32 v137, v77, 24, 4
	v_add3_u32 v133, v133, v152, v158
	v_bfe_u32 v158, v71, 4, 4
	;; [unrolled: 2-line block ×3, first 2 shown]
	v_bfe_u32 v156, v71, 16, 4
	v_bfe_u32 v164, v71, 24, 4
	v_mul_i32_i24_e32 v127, v127, v158
	v_and_b32_e32 v135, 15, v142
	v_mul_i32_i24_e32 v150, v150, v154
	v_bfe_u32 v155, v142, 16, 4
	v_bfe_u32 v168, v142, 24, 4
	;; [unrolled: 1-line block ×3, first 2 shown]
	v_add3_u32 v73, v73, v167, v157
	v_add3_u32 v127, v70, v127, v150
	v_and_b32_e32 v70, 15, v143
	v_bfe_u32 v157, v159, 24, 4
	v_dual_lshrrev_b32 v154, 4, v143 :: v_dual_bitop2_b32 v167, 15, v80 bitop3:0x40
	v_bfe_u32 v134, v80, 16, 4
	v_bfe_u32 v72, v80, 24, 4
	v_dual_lshrrev_b32 v150, 28, v71 :: v_dual_bitop2_b32 v136, 15, v81 bitop3:0x40
	v_mul_i32_i24_e32 v140, v174, v140
	v_lshrrev_b32_e32 v174, 28, v143
	v_perm_b32 v70, v70, v185, 0x5040100
	v_bfe_u32 v139, v81, 8, 4
	v_bfe_u32 v131, v81, 16, 4
	;; [unrolled: 1-line block ×4, first 2 shown]
	v_lshrrev_b32_e32 v159, 28, v159
	v_add3_u32 v138, v73, v140, v138
	v_bfe_u32 v73, v80, 4, 4
	v_bfe_u32 v140, v80, 12, 4
	;; [unrolled: 1-line block ×5, first 2 shown]
	v_lshrrev_b32_e32 v81, 28, v81
	v_bfe_u32 v166, v143, 8, 4
	v_bfe_u32 v158, v143, 16, 4
	v_bfe_u32 v171, v142, 12, 4
	v_bfe_u32 v173, v143, 24, 4
	v_bfe_u32 v176, v143, 20, 4
	v_bfe_u32 v143, v143, 12, 4
	v_bfe_u32 v182, v75, 16, 4
	v_bfe_u32 v75, v75, 12, 4
	v_mul_i32_i24_e32 v165, v119, v165
	v_mul_i32_i24_e32 v156, v119, v156
	;; [unrolled: 1-line block ×16, first 2 shown]
	v_pk_mul_lo_u16 v72, v70, v66 op_sel_hi:[1,0]
	v_and_b32_e32 v66, 15, v184
	v_and_b32_e32 v70, 15, v154
	v_mul_i32_i24_e32 v159, v123, v159
	v_mul_i32_i24_e32 v168, v123, v169
	;; [unrolled: 1-line block ×15, first 2 shown]
	v_perm_b32 v66, v70, v66, 0x5040100
	v_mul_i32_i24_e32 v174, v148, v181
	v_mul_i32_i24_e32 v166, v148, v166
	;; [unrolled: 1-line block ×9, first 2 shown]
	v_lshrrev_b16 v146, 8, v183
	v_and_b32_e32 v171, 0xff, v183
	v_add3_u32 v137, v144, v165, v137
	v_mul_i32_i24_e32 v144, v10, v152
	v_pk_mul_lo_u16 v152, v66, v10 op_sel_hi:[1,0]
	v_and_b32_e32 v10, 0xffff, v146
	v_mul_lo_u32 v145, v145, v171
	v_bfe_u32 v130, v80, 8, 4
	v_bfe_u32 v77, v77, 20, 4
	;; [unrolled: 1-line block ×3, first 2 shown]
	v_mul_lo_u32 v79, v79, v10
	v_bfe_u32 v71, v71, 20, 4
	v_mul_i32_i24_e32 v149, v124, v149
	v_mul_i32_i24_e32 v77, v124, v77
	;; [unrolled: 1-line block ×3, first 2 shown]
	s_wait_dscnt 0x0
	v_lshrrev_b16 v70, 8, v141
	v_add3_u32 v117, v128, v119, v117
	v_bfe_u32 v161, v80, 20, 4
	v_lshrrev_b32_e32 v80, 28, v80
	v_bfe_u32 v142, v142, 20, 4
	v_bfe_u32 v74, v74, 20, 4
	v_mul_i32_i24_e32 v124, v124, v71
	v_mul_i32_i24_e32 v154, v175, v178
	;; [unrolled: 1-line block ×3, first 2 shown]
	v_cvt_f32_ubyte0_e32 v71, v147
	v_cvt_f32_f16_e32 v66, v8
	v_and_b32_e32 v165, 0xffff, v70
	v_cvt_f32_i32_e32 v70, v145
	v_add3_u32 v138, v138, v156, v160
	v_add3_u32 v119, v133, v149, v159
	;; [unrolled: 1-line block ×4, first 2 shown]
	v_mul_i32_i24_e32 v161, v125, v161
	v_mul_i32_i24_e32 v74, v125, v74
	;; [unrolled: 1-line block ×5, first 2 shown]
	v_cvt_f32_ubyte1_e32 v73, v147
	v_cvt_f32_f16_e32 v10, v9
	v_ashrrev_i32_e32 v145, 16, v72
	v_bfe_i32 v171, v72, 0, 16
	v_cvt_f32_i32_e32 v72, v79
	v_add3_u32 v123, v127, v124, v123
	v_add3_u32 v77, v137, v154, v157
	;; [unrolled: 1-line block ×6, first 2 shown]
	v_pk_fma_f32 v[70:71], v[70:71], v[66:67], 0 op_sel_hi:[1,1,0]
	v_mul_i32_i24_e32 v120, v120, v172
	v_add3_u32 v119, v123, v126, v151
	v_add3_u32 v77, v77, v164, v134
	;; [unrolled: 1-line block ×6, first 2 shown]
	v_pk_fma_f32 v[70:71], v[72:73], v[10:11], v[70:71]
	v_mul_i32_i24_e32 v163, v122, v163
	v_and_b32_e32 v141, 0xff, v141
	v_add3_u32 v117, v119, v125, v120
	v_add3_u32 v80, v80, v144, v129
	;; [unrolled: 1-line block ×5, first 2 shown]
	v_pk_mul_f32 v[70:71], v[70:71], v[6:7]
	v_ashrrev_i32_e32 v79, 16, v152
	v_bfe_i32 v152, v152, 0, 16
	v_mul_i32_i24_e32 v172, v122, v191
	v_mul_i32_i24_e32 v122, v122, v176
	v_lshrrev_b16 v147, 8, v78
	v_and_b32_e32 v78, 0xff, v78
	v_lshrrev_b16 v146, 8, v83
	v_and_b32_e32 v83, 0xff, v83
	v_add3_u32 v74, v74, v152, v75
	v_add3_u32 v75, v117, v79, v143
	;; [unrolled: 1-line block ×5, first 2 shown]
	v_mul_lo_u32 v76, v76, v141
	v_and_b32_e32 v147, 0xffff, v147
	v_and_b32_e32 v146, 0xffff, v146
	v_add3_u32 v75, v75, v122, v121
	v_add3_u32 v74, v74, v172, v173
	v_mul_lo_u32 v79, v79, v165
	v_mul_lo_u32 v78, v80, v78
	;; [unrolled: 1-line block ×5, first 2 shown]
	v_cvt_f32_i32_e32 v75, v76
	v_cvt_f32_i32_e32 v76, v79
	;; [unrolled: 1-line block ×4, first 2 shown]
	s_delay_alu instid0(VALU_DEP_4) | instskip(SKIP_2) | instid1(VALU_DEP_4)
	v_fma_mix_f32 v8, v8, v75, 0 op_sel_hi:[1,0,0]
	v_cvt_f32_i32_e32 v75, v67
	v_cvt_f32_i32_e32 v74, v74
	v_pk_fma_f32 v[66:67], v[66:67], v[72:73], 0 op_sel_hi:[0,1,0]
	s_delay_alu instid0(VALU_DEP_4) | instskip(SKIP_2) | instid1(VALU_DEP_4)
	v_fma_mix_f32 v72, v9, v76, v8 op_sel_hi:[1,0,0]
	v_dual_mul_f32 v8, v153, v82 :: v_dual_mov_b32 v73, v70
	v_mov_b32_e32 v9, v71
	v_pk_fma_f32 v[10:11], v[10:11], v[74:75], v[66:67] op_sel_hi:[0,1,1]
	s_delay_alu instid0(VALU_DEP_4) | instskip(NEXT) | instid1(VALU_DEP_2)
	v_mul_f32_e32 v72, v72, v1
	v_pk_fma_f32 v[10:11], v[10:11], v[2:3], v[68:69] neg_lo:[0,0,1] neg_hi:[0,0,1]
	s_delay_alu instid0(VALU_DEP_2) | instskip(NEXT) | instid1(VALU_DEP_2)
	v_pk_add_f32 v[8:9], v[72:73], v[8:9] neg_lo:[0,1] neg_hi:[0,1]
	v_pk_add_f32 v[18:19], v[18:19], v[10:11]
	s_delay_alu instid0(VALU_DEP_2)
	v_pk_add_f32 v[16:17], v[16:17], v[8:9]
	s_cbranch_vccnz .LBB192_11
; %bb.12:                               ;   in Loop: Header=BB192_5 Depth=1
	s_bitset1_b32 s18, 7
	s_delay_alu instid0(SALU_CYCLE_1)
	s_cmp_ge_i32 s18, s5
	s_barrier_signal -1
	s_barrier_wait -1
	s_cbranch_scc1 .LBB192_4
; %bb.13:                               ;   in Loop: Header=BB192_5 Depth=1
	v_add_nc_u32_e32 v1, s19, v47
	s_delay_alu instid0(VALU_DEP_1) | instskip(SKIP_1) | instid1(SALU_CYCLE_1)
	v_cmp_gt_i32_e32 vcc_lo, s6, v1
	s_and_b32 s19, s1, vcc_lo
	s_and_saveexec_b32 s18, s19
	s_cbranch_execz .LBB192_15
; %bb.14:                               ;   in Loop: Header=BB192_5 Depth=1
	v_add_nc_u32_e32 v1, v20, v1
	s_delay_alu instid0(VALU_DEP_1)
	v_mad_nc_i64_i32 v[2:3], v1, 36, v[22:23]
	global_load_b32 v1, v[2:3], off offset:4
	s_wait_loadcnt 0x0
	ds_store_b32 v43, v1
.LBB192_15:                             ;   in Loop: Header=BB192_5 Depth=1
	s_or_b32 exec_lo, exec_lo, s18
	s_and_saveexec_b32 s18, s0
	s_cbranch_execz .LBB192_18
; %bb.16:                               ;   in Loop: Header=BB192_5 Depth=1
	v_or_b32_e32 v1, 4, v0
	s_delay_alu instid0(VALU_DEP_1) | instskip(SKIP_1) | instid1(SALU_CYCLE_1)
	v_cmp_gt_i32_e32 vcc_lo, s6, v1
	s_and_b32 s19, s1, vcc_lo
	s_and_b32 exec_lo, exec_lo, s19
	s_cbranch_execz .LBB192_18
; %bb.17:                               ;   in Loop: Header=BB192_5 Depth=1
	v_ashrrev_i32_e32 v1, 31, v0
	s_delay_alu instid0(VALU_DEP_1) | instskip(NEXT) | instid1(VALU_DEP_1)
	v_add_nc_u64_e32 v[0:1], v[20:21], v[0:1]
	v_mad_nc_u64_u32 v[2:3], v0, 36, s[2:3]
	s_delay_alu instid0(VALU_DEP_1)
	v_mad_i32_i24 v3, v1, 36, v3
	global_load_b32 v0, v[2:3], off offset:144
	s_wait_loadcnt 0x0
	ds_store_b32 v88, v0
.LBB192_18:                             ;   in Loop: Header=BB192_5 Depth=1
	s_or_b32 exec_lo, exec_lo, s18
	s_wait_dscnt 0x0
	s_barrier_signal -1
	s_barrier_wait -1
	ds_load_b32 v0, v51 offset:128
	ds_load_b32 v1, v49
	ds_load_b32 v2, v53 offset:256
	ds_load_b32 v3, v55 offset:384
	v_dual_mov_b32 v117, v41 :: v_dual_mov_b32 v118, v57
	v_mov_b32_e32 v121, v112
	s_mov_b32 s18, 16
	s_mov_b32 s19, 0
	s_wait_dscnt 0x2
	v_dual_lshrrev_b32 v4, 16, v0 :: v_dual_lshrrev_b32 v5, 16, v1
	v_cvt_f32_f16_e32 v67, v0
	v_cvt_f32_f16_e32 v66, v1
	s_wait_dscnt 0x0
	v_dual_lshrrev_b32 v0, 16, v2 :: v_dual_lshrrev_b32 v1, 16, v3
	v_cvt_f32_f16_e32 v119, v2
	v_cvt_f32_f16_e32 v68, v3
	;; [unrolled: 1-line block ×6, first 2 shown]
.LBB192_19:                             ;   Parent Loop BB192_5 Depth=1
                                        ; =>  This Inner Loop Header: Depth=2
	ds_load_2addr_b32 v[0:1], v121 offset1:1
	ds_load_2addr_b32 v[2:3], v121 offset0:2 offset1:3
	v_add_nc_u32_e32 v8, s19, v113
	ds_load_2addr_b32 v[78:79], v121 offset0:4 offset1:5
	v_add_nc_u32_e32 v4, 0x1090, v121
	v_add_nc_u32_e32 v6, 0x2118, v121
	s_lshr_b32 s21, s18, 2
	ds_load_2addr_b32 v[72:73], v121 offset0:6 offset1:7
	s_and_b32 s21, s21, 0x3ffffffc
	s_add_co_i32 s18, s18, 8
	s_add_co_i32 s19, s19, 2
	ds_load_2addr_b32 v[82:83], v4 offset1:1
	ds_load_2addr_b32 v[6:7], v6 offset1:1
	v_add_nc_u32_e32 v4, 0x1098, v121
	ds_load_2addr_b32 v[74:75], v4 offset1:1
	s_wait_dscnt 0x6
	v_and_b32_e32 v86, 15, v0
	v_bfe_u32 v87, v0, 8, 4
	v_bfe_u32 v207, v0, 16, 4
	;; [unrolled: 1-line block ×3, first 2 shown]
	v_dual_lshrrev_b32 v154, 28, v0 :: v_dual_bitop2_b32 v213, 15, v1 bitop3:0x40
	s_wait_dscnt 0x5
	v_dual_lshrrev_b32 v148, 28, v1 :: v_dual_bitop2_b32 v217, 15, v2 bitop3:0x40
	v_bfe_u32 v218, v2, 8, 4
	v_bfe_u32 v219, v2, 16, 4
	;; [unrolled: 1-line block ×3, first 2 shown]
	v_dual_lshrrev_b32 v143, 28, v2 :: v_dual_bitop2_b32 v199, 15, v3 bitop3:0x40
	v_bfe_u32 v151, v0, 20, 4
	v_bfe_u32 v153, v0, 4, 4
	;; [unrolled: 1-line block ×6, first 2 shown]
	v_add_nc_u32_e32 v0, 0x1080, v121
	v_add_nc_u32_e32 v2, 0x1088, v121
	v_bfe_u32 v214, v1, 8, 4
	v_bfe_u32 v215, v1, 16, 4
	;; [unrolled: 1-line block ×12, first 2 shown]
	ds_load_2addr_b32 v[0:1], v0 offset1:1
	v_lshrrev_b32_e32 v139, 28, v3
	ds_load_2addr_b32 v[2:3], v2 offset1:1
	s_wait_dscnt 0x6
	v_and_b32_e32 v129, 15, v79
	v_add3_u32 v9, v61, s21, v8
	v_add3_u32 v124, v115, s21, v8
	;; [unrolled: 1-line block ×3, first 2 shown]
	s_wait_dscnt 0x3
	s_set_vgpr_msb 64                       ;  msbs: dst=1 src0=0 src1=0 src2=0
	v_and_b32_e32 v13 /*v269*/, 15, v6
	v_bfe_u32 v14 /*v270*/, v6, 8, 4
	v_bfe_u32 v15 /*v271*/, v6, 16, 4
	;; [unrolled: 1-line block ×3, first 2 shown]
	v_and_b32_e32 v17 /*v273*/, 15, v7
	v_bfe_u32 v18 /*v274*/, v7, 8, 4
	v_bfe_u32 v19 /*v275*/, v7, 16, 4
	;; [unrolled: 1-line block ×3, first 2 shown]
	s_set_vgpr_msb 0                        ;  msbs: dst=0 src0=0 src1=0 src2=0
	v_bfe_u32 v187, v6, 20, 4
	v_bfe_u32 v189, v6, 4, 4
	;; [unrolled: 1-line block ×3, first 2 shown]
	v_lshrrev_b32_e32 v188, 28, v6
	v_bfe_u32 v177, v7, 20, 4
	s_wait_dscnt 0x1
	v_and_b32_e32 v221, 15, v0
	v_bfe_u32 v222, v0, 8, 4
	v_bfe_u32 v223, v0, 16, 4
	;; [unrolled: 1-line block ×3, first 2 shown]
	s_wait_dscnt 0x0
	v_dual_lshrrev_b32 v166, 28, v2 :: v_dual_bitop2_b32 v229, 15, v2 bitop3:0x40
	v_bfe_u32 v230, v2, 8, 4
	v_bfe_u32 v231, v2, 16, 4
	;; [unrolled: 1-line block ×6, first 2 shown]
	v_lshrrev_b32_e32 v176, 28, v0
	v_bfe_u32 v165, v2, 20, 4
	v_bfe_u32 v167, v2, 4, 4
	;; [unrolled: 1-line block ×3, first 2 shown]
	v_add_nc_u32_e32 v0, 0x2100, v121
	v_add_nc_u32_e32 v2, 0x2108, v121
	v_dual_lshrrev_b32 v170, 28, v1 :: v_dual_bitop2_b32 v225, 15, v1 bitop3:0x40
	v_bfe_u32 v226, v1, 8, 4
	v_bfe_u32 v227, v1, 16, 4
	;; [unrolled: 1-line block ×3, first 2 shown]
	v_dual_lshrrev_b32 v159, 28, v3 :: v_dual_bitop2_b32 v233, 15, v3 bitop3:0x40
	v_bfe_u32 v234, v3, 8, 4
	v_bfe_u32 v235, v3, 16, 4
	v_bfe_u32 v236, v3, 24, 4
	v_bfe_u32 v169, v1, 20, 4
	v_bfe_u32 v171, v1, 4, 4
	v_bfe_u32 v172, v1, 12, 4
	v_bfe_u32 v158, v3, 20, 4
	v_bfe_u32 v160, v3, 4, 4
	v_bfe_u32 v161, v3, 12, 4
	ds_load_2addr_b32 v[0:1], v0 offset1:1
	ds_load_2addr_b32 v[2:3], v2 offset1:1
	v_add_nc_u32_e32 v4, 0x2110, v121
	v_and_b32_e32 v237, 15, v82
	v_bfe_u32 v180, v7, 4, 4
	v_bfe_u32 v181, v7, 12, 4
	v_lshrrev_b32_e32 v179, 28, v7
	ds_load_2addr_b32 v[4:5], v4 offset1:1
	ds_load_u16 v10, v9 offset:17920
	ds_load_u16 v9, v9 offset:17928
	v_and_b32_e32 v241, 15, v83
	v_and_b32_e32 v183, 15, v74
	s_set_vgpr_msb 64                       ;  msbs: dst=1 src0=0 src1=0 src2=0
	v_add3_u32 v34 /*v290*/, v59, s21, v8
	s_set_vgpr_msb 0                        ;  msbs: dst=0 src0=0 src1=0 src2=0
	v_dual_lshrrev_b32 v134, 4, v73 :: v_dual_bitop2_b32 v133, 15, v78 bitop3:0x40
	v_bfe_u32 v162, v78, 8, 4
	v_bfe_u32 v163, v78, 16, 4
	;; [unrolled: 1-line block ×6, first 2 shown]
	s_wait_dscnt 0x4
	v_and_b32_e32 v245, 15, v0
	v_bfe_u32 v246, v0, 8, 4
	v_bfe_u32 v247, v0, 16, 4
	;; [unrolled: 1-line block ×3, first 2 shown]
	s_wait_dscnt 0x3
	s_set_vgpr_msb 64                       ;  msbs: dst=1 src0=0 src1=0 src2=0
	v_dual_lshrrev_b32 v25 /*v281*/, 28, v0 :: v_dual_bitop2_b32 v1 /*v257*/, 15, v3 bitop3:0x40
	v_bfe_u32 v22 /*v278*/, v0, 20, 4
	v_bfe_u32 v23 /*v279*/, v0, 4, 4
	;; [unrolled: 1-line block ×3, first 2 shown]
	s_set_vgpr_msb 0                        ;  msbs: dst=0 src0=0 src1=0 src2=0
	v_add_nc_u32_e32 v0, 0x3180, v121
	s_wait_dscnt 0x1
	v_lshrrev_b16 v11, 8, v10
	v_and_b32_e32 v249, 15, v1
	v_bfe_u32 v250, v1, 8, 4
	v_bfe_u32 v251, v1, 16, 4
	ds_load_2addr_b32 v[84:85], v0 offset1:1
	v_bfe_u32 v252, v1, 24, 4
	v_and_b32_e32 v253, 15, v2
	v_bfe_u32 v254, v2, 8, 4
	v_bfe_u32 v255, v2, 16, 4
	s_set_vgpr_msb 64                       ;  msbs: dst=1 src0=0 src1=0 src2=0
	v_bfe_u32 v0 /*v256*/, v2, 24, 4
	v_bfe_u32 v2 /*v258*/, v3, 8, 4
	;; [unrolled: 1-line block ×4, first 2 shown]
	v_dual_lshrrev_b32 v29 /*v285*/, 28, v1 :: v_dual_bitop2_b32 v5 /*v261*/, 15, v4 bitop3:0x40
	v_bfe_u32 v6 /*v262*/, v4, 8, 4
	v_bfe_u32 v7 /*v263*/, v4, 16, 4
	;; [unrolled: 1-line block ×3, first 2 shown]
	v_dual_lshrrev_b32 v33 /*v289*/, 28, v2 :: v_dual_bitop2_b32 v9 /*v265*/, 15, v5 bitop3:0x40
	v_bfe_u32 v10 /*v266*/, v5, 8, 4
	v_bfe_u32 v11 /*v267*/, v5, 16, 4
	;; [unrolled: 1-line block ×3, first 2 shown]
	v_and_b32_e32 v21 /*v277*/, 0xff, v10
	s_wait_dscnt 0x0
	s_set_vgpr_msb 0                        ;  msbs: dst=0 src0=0 src1=0 src2=0
	v_and_b32_e32 v0, 0xf0f0f0f, v84
	v_cvt_f32_ubyte0_e32 v76, v9
	s_set_vgpr_msb 64                       ;  msbs: dst=1 src0=0 src1=0 src2=0
	v_bfe_u32 v26 /*v282*/, v1, 20, 4
	v_bfe_u32 v27 /*v283*/, v1, 4, 4
	;; [unrolled: 1-line block ×6, first 2 shown]
	s_set_vgpr_msb 0                        ;  msbs: dst=0 src0=0 src1=0 src2=0
	v_bfe_u32 v203, v3, 20, 4
	v_bfe_u32 v205, v3, 4, 4
	v_bfe_u32 v206, v3, 12, 4
	v_lshrrev_b32_e32 v204, 28, v3
	v_bfe_u32 v195, v4, 20, 4
	v_bfe_u32 v197, v4, 4, 4
	v_bfe_u32 v198, v4, 12, 4
	v_lshrrev_b32_e32 v196, 28, v4
	;; [unrolled: 4-line block ×3, first 2 shown]
	v_and_b32_e32 v178, 0xffff, v11
	v_cvt_f32_ubyte1_e32 v77, v9
	s_set_vgpr_msb 64                       ;  msbs: dst=1 src0=0 src1=0 src2=0
	v_lshrrev_b16 v36 /*v292*/, 8, v0
	s_set_vgpr_msb 0                        ;  msbs: dst=0 src0=0 src1=0 src2=0
	ds_load_b128 v[208:211], v117
	ds_load_b128 v[8:11], v117 offset:16
	ds_load_b128 v[4:7], v117 offset:32
	;; [unrolled: 1-line block ×3, first 2 shown]
	v_bfe_u32 v240, v82, 24, 4
	v_bfe_u32 v131, v79, 16, 4
	;; [unrolled: 1-line block ×6, first 2 shown]
	v_dual_lshrrev_b32 v146, 4, v75 :: v_dual_bitop2_b32 v81, 15, v72 bitop3:0x40
	v_bfe_u32 v126, v72, 8, 4
	v_bfe_u32 v127, v72, 16, 4
	;; [unrolled: 1-line block ×8, first 2 shown]
	s_wait_dscnt 0x3
	s_set_vgpr_msb 64                       ;  msbs: dst=1 src0=0 src1=0 src2=0
	v_lshrrev_b16 v37 /*v293*/, 8, v208
	v_ashrrev_i32_e32 v41 /*v297*/, 24, v208
	v_bfe_i32 v42 /*v298*/, v208, 16, 8
	s_set_vgpr_msb 0                        ;  msbs: dst=0 src0=0 src1=0 src2=0
	v_bfe_i32 v208, v208, 0, 8
	s_set_vgpr_msb 0x41                     ;  msbs: dst=1 src0=1 src1=0 src2=0
	v_lshrrev_b16 v38 /*v294*/, 8, v209
	v_bfe_i32 v37 /*v293*/, v37 /*v293*/, 0, 8
	s_set_vgpr_msb 1                        ;  msbs: dst=0 src0=1 src1=0 src2=0
	v_mul_i32_i24_e32 v212, v41 /*v297*/, v212
	v_mul_i32_i24_e32 v207, v42 /*v298*/, v207
	s_set_vgpr_msb 0                        ;  msbs: dst=0 src0=0 src1=0 src2=0
	v_mul_i32_i24_e32 v86, v208, v86
	s_set_vgpr_msb 64                       ;  msbs: dst=1 src0=0 src1=0 src2=0
	v_lshrrev_b16 v39 /*v295*/, 8, v210
	v_lshrrev_b16 v40 /*v296*/, 8, v211
	v_bfe_u32 v35 /*v291*/, v84, 24, 4
	s_set_vgpr_msb 0                        ;  msbs: dst=0 src0=0 src1=0 src2=0
	v_bfe_u32 v136, v78, 4, 4
	s_set_vgpr_msb 1                        ;  msbs: dst=0 src0=1 src1=0 src2=0
	v_mad_i32_i24 v86, v37 /*v293*/, v87, v86
	s_set_vgpr_msb 0                        ;  msbs: dst=0 src0=0 src1=0 src2=0
	v_mul_i32_i24_e32 v87, v208, v221
	s_set_vgpr_msb 1                        ;  msbs: dst=0 src0=1 src1=0 src2=0
	v_mul_i32_i24_e32 v221, v41 /*v297*/, v248
	s_set_vgpr_msb 0                        ;  msbs: dst=0 src0=0 src1=0 src2=0
	v_bfe_u32 v156, v82, 4, 4
	v_bfe_u32 v137, v78, 12, 4
	v_add3_u32 v86, v86, v207, v212
	s_set_vgpr_msb 1                        ;  msbs: dst=0 src0=1 src1=0 src2=0
	v_mul_i32_i24_e32 v207, v42 /*v298*/, v223
	v_mul_i32_i24_e32 v212, v41 /*v297*/, v224
	v_mad_i32_i24 v87, v37 /*v293*/, v222, v87
	v_and_b32_e32 v224, 0xf0f0f0f, v85
	s_set_vgpr_msb 4                        ;  msbs: dst=0 src0=0 src1=1 src2=0
	v_bfe_u32 v223, v85, 24, 4
	v_and_b32_e32 v222, 0xffff, v36 /*v292*/
	v_bfe_u32 v157, v82, 12, 4
	s_set_vgpr_msb 0                        ;  msbs: dst=0 src0=0 src1=0 src2=0
	v_add3_u32 v87, v87, v207, v212
	v_mul_i32_i24_e32 v207, v208, v245
	s_set_vgpr_msb 1                        ;  msbs: dst=0 src0=1 src1=0 src2=0
	v_mul_i32_i24_e32 v212, v42 /*v298*/, v247
	v_ashrrev_i32_e32 v245, 24, v209
	s_set_vgpr_msb 0                        ;  msbs: dst=0 src0=0 src1=0 src2=0
	v_bfe_i32 v247, v209, 16, 8
	v_bfe_i32 v209, v209, 0, 8
	s_set_vgpr_msb 1                        ;  msbs: dst=0 src0=1 src1=0 src2=0
	v_mad_i32_i24 v207, v37 /*v293*/, v246, v207
	v_bfe_i32 v246, v38 /*v294*/, 0, 8
	s_set_vgpr_msb 0                        ;  msbs: dst=0 src0=0 src1=0 src2=0
	v_mul_i32_i24_e32 v216, v245, v216
	v_mul_i32_i24_e32 v215, v247, v215
	;; [unrolled: 1-line block ×6, first 2 shown]
	v_add3_u32 v207, v207, v212, v221
	v_mul_i32_i24_e32 v227, v247, v227
	v_mul_i32_i24_e32 v228, v245, v228
	v_add3_u32 v86, v86, v214, v213
	v_mul_i32_i24_e32 v248, v209, v249
	v_mul_i32_i24_e32 v249, v246, v250
	;; [unrolled: 1-line block ×4, first 2 shown]
	v_add3_u32 v213, v86, v215, v216
	v_add3_u32 v86, v87, v226, v225
	v_lshrrev_b16 v224, 8, v224
	v_and_b32_e32 v215, 15, v85
	v_dual_ashrrev_i32 v226, 24, v210 :: v_dual_bitop2_b32 v221, 15, v84 bitop3:0x40
	s_delay_alu instid0(VALU_DEP_4)
	v_add3_u32 v214, v86, v227, v228
	v_add3_u32 v86, v207, v249, v248
	v_and_b32_e32 v87, 0xffff, v224
	v_mul_i32_i24_e32 v209, v215, v209
	s_set_vgpr_msb 1                        ;  msbs: dst=0 src0=1 src1=0 src2=0
	v_bfe_i32 v227, v39 /*v295*/, 0, 8
	s_set_vgpr_msb 0                        ;  msbs: dst=0 src0=0 src1=0 src2=0
	v_bfe_i32 v228, v210, 16, 8
	v_add3_u32 v207, v86, v250, v251
	v_bfe_u32 v86, v85, 16, 4
	v_mul_i32_i24_e32 v215, v87, v246
	v_bfe_i32 v210, v210, 0, 8
	v_mul_i32_i24_e32 v218, v227, v218
	v_mul_i32_i24_e32 v219, v228, v219
	;; [unrolled: 1-line block ×3, first 2 shown]
	v_add_nc_u32_e32 v86, 0x3188, v121
	v_mul_i32_i24_e32 v217, v210, v217
	v_mul_i32_i24_e32 v220, v226, v220
	;; [unrolled: 1-line block ×4, first 2 shown]
	ds_load_2addr_b32 v[86:87], v86 offset1:1
	v_add3_u32 v213, v213, v218, v217
	v_mul_i32_i24_e32 v223, v223, v245
	v_mul_i32_i24_e32 v231, v228, v231
	;; [unrolled: 1-line block ×4, first 2 shown]
	v_add3_u32 v213, v213, v219, v220
	v_mul_i32_i24_e32 v246, v227, v254
	s_set_vgpr_msb 4                        ;  msbs: dst=0 src0=0 src1=1 src2=0
	v_mul_i32_i24_e32 v248, v226, v0 /*v256*/
	s_set_vgpr_msb 0                        ;  msbs: dst=0 src0=0 src1=0 src2=0
	v_add3_u32 v214, v214, v230, v229
	v_mul_i32_i24_e32 v247, v228, v255
	v_bfe_u32 v212, v84, 16, 4
	v_add3_u32 v207, v207, v246, v245
	s_set_vgpr_msb 4                        ;  msbs: dst=0 src0=0 src1=1 src2=0
	v_mul_i32_i24_e32 v222, v222, v37 /*v293*/
	s_set_vgpr_msb 0                        ;  msbs: dst=0 src0=0 src1=0 src2=0
	v_add3_u32 v214, v214, v231, v232
	v_bfe_u32 v135, v78, 20, 4
	v_bfe_u32 v155, v82, 20, 4
	v_add3_u32 v207, v207, v247, v248
	v_lshrrev_b32_e32 v82, 28, v82
	v_lshrrev_b32_e32 v78, 28, v78
	s_wait_dscnt 0x0
	v_and_b32_e32 v225, 0xf0f0f0f, v86
	v_bfe_u32 v224, v86, 24, 4
	v_and_b32_e32 v219, 15, v86
	v_bfe_u32 v217, v86, 16, 4
	v_bfe_u32 v220, v87, 24, 4
	v_lshrrev_b16 v225, 8, v225
	v_bfe_u32 v122, v73, 16, 4
	v_mul_i32_i24_e32 v210, v219, v210
	v_mul_i32_i24_e32 v219, v224, v226
	s_set_vgpr_msb 1                        ;  msbs: dst=0 src0=1 src1=0 src2=0
	v_bfe_i32 v226, v40 /*v296*/, 0, 8
	v_and_b32_e32 v218, 0xffff, v225
	v_ashrrev_i32_e32 v225, 24, v211
	s_set_vgpr_msb 0                        ;  msbs: dst=0 src0=0 src1=0 src2=0
	v_mul_i32_i24_e32 v217, v217, v228
	v_and_b32_e32 v224, 0xf0f0f0f, v87
	v_mul_i32_i24_e32 v200, v226, v200
	v_mul_i32_i24_e32 v218, v218, v227
	v_bfe_i32 v227, v211, 16, 8
	v_bfe_i32 v211, v211, 0, 8
	v_mul_i32_i24_e32 v229, v226, v234
	v_mul_i32_i24_e32 v202, v225, v202
	;; [unrolled: 1-line block ×7, first 2 shown]
	s_set_vgpr_msb 4                        ;  msbs: dst=0 src0=0 src1=1 src2=0
	v_mul_i32_i24_e32 v232, v211, v1 /*v257*/
	v_mul_i32_i24_e32 v233, v226, v2 /*v258*/
	s_set_vgpr_msb 0                        ;  msbs: dst=0 src0=0 src1=0 src2=0
	v_add3_u32 v199, v213, v200, v199
	v_add3_u32 v200, v214, v229, v228
	s_set_vgpr_msb 4                        ;  msbs: dst=0 src0=0 src1=1 src2=0
	v_mul_i32_i24_e32 v234, v227, v3 /*v259*/
	v_mul_i32_i24_e32 v235, v225, v4 /*v260*/
	s_set_vgpr_msb 0                        ;  msbs: dst=0 src0=0 src1=0 src2=0
	v_lshrrev_b16 v224, 8, v224
	v_add3_u32 v199, v199, v201, v202
	v_add3_u32 v202, v200, v230, v231
	;; [unrolled: 1-line block ×3, first 2 shown]
	v_and_b32_e32 v213, 15, v87
	v_and_b32_e32 v201, 0xffff, v224
	v_mul_i32_i24_e32 v220, v220, v225
	v_ashrrev_i32_e32 v230, 24, v8
	v_add3_u32 v207, v200, v234, v235
	v_bfe_u32 v200, v87, 16, 4
	v_mul_i32_i24_e32 v211, v213, v211
	v_mul_i32_i24_e32 v213, v201, v226
	v_lshrrev_b16 v226, 8, v8
	v_bfe_i32 v231, v8, 16, 8
	v_mul_i32_i24_e32 v214, v200, v227
	v_add_nc_u32_e32 v200, 0x3190, v121
	v_bfe_i32 v8, v8, 0, 8
	v_bfe_i32 v226, v226, 0, 8
	v_lshrrev_b16 v227, 8, v9
	v_mul_i32_i24_e32 v163, v231, v163
	ds_load_2addr_b32 v[200:201], v200 offset1:1
	v_mul_i32_i24_e32 v133, v8, v133
	v_mul_i32_i24_e32 v162, v226, v162
	;; [unrolled: 1-line block ×4, first 2 shown]
	s_set_vgpr_msb 4                        ;  msbs: dst=0 src0=0 src1=1 src2=0
	v_mul_i32_i24_e32 v236, v8, v5 /*v261*/
	v_mul_i32_i24_e32 v237, v226, v6 /*v262*/
	s_set_vgpr_msb 0                        ;  msbs: dst=0 src0=0 src1=0 src2=0
	v_add3_u32 v133, v199, v162, v133
	v_mul_i32_i24_e32 v233, v226, v238
	v_mul_i32_i24_e32 v234, v231, v239
	;; [unrolled: 1-line block ×3, first 2 shown]
	s_set_vgpr_msb 4                        ;  msbs: dst=0 src0=0 src1=1 src2=0
	v_mul_i32_i24_e32 v238, v231, v7 /*v263*/
	s_set_vgpr_msb 0                        ;  msbs: dst=0 src0=0 src1=0 src2=0
	v_add3_u32 v133, v133, v163, v164
	v_add3_u32 v163, v207, v237, v236
	s_set_vgpr_msb 4                        ;  msbs: dst=0 src0=0 src1=1 src2=0
	v_mul_i32_i24_e32 v239, v230, v8 /*v264*/
	s_set_vgpr_msb 0                        ;  msbs: dst=0 src0=0 src1=0 src2=0
	v_add3_u32 v162, v202, v233, v232
	v_lshrrev_b16 v228, 8, v10
	v_lshrrev_b16 v229, 8, v11
	v_bfe_u32 v123, v75, 16, 4
	v_add3_u32 v163, v163, v238, v239
	s_wait_dscnt 0x0
	v_and_b32_e32 v225, 0xf0f0f0f, v200
	v_bfe_u32 v224, v200, 24, 4
	v_add3_u32 v162, v162, v234, v235
	v_bfe_u32 v164, v200, 16, 4
	v_and_b32_e32 v202, 15, v200
	v_lshrrev_b16 v225, 8, v225
	v_mul_i32_i24_e32 v207, v224, v230
	v_and_b32_e32 v224, 0xf0f0f0f, v201
	v_mul_i32_i24_e32 v164, v164, v231
	s_add_co_i32 s21, s20, 8
	v_and_b32_e32 v199, 0xffff, v225
	v_ashrrev_i32_e32 v225, 24, v9
	v_lshrrev_b16 v224, 8, v224
	s_add_co_i32 s20, s20, 16
	v_add_nc_u32_e32 v117, 64, v117
	v_mul_i32_i24_e32 v199, v199, v226
	v_bfe_i32 v226, v227, 0, 8
	v_bfe_i32 v227, v9, 16, 8
	;; [unrolled: 1-line block ×3, first 2 shown]
	v_mul_i32_i24_e32 v132, v225, v132
	v_mul_i32_i24_e32 v233, v225, v244
	;; [unrolled: 1-line block ×5, first 2 shown]
	s_set_vgpr_msb 4                        ;  msbs: dst=0 src0=0 src1=1 src2=0
	v_mul_i32_i24_e32 v234, v9, v9 /*v265*/
	v_mul_i32_i24_e32 v235, v226, v10 /*v266*/
	s_set_vgpr_msb 0                        ;  msbs: dst=0 src0=0 src1=0 src2=0
	v_mul_i32_i24_e32 v230, v9, v241
	v_mul_i32_i24_e32 v231, v226, v242
	v_add3_u32 v129, v133, v130, v129
	v_and_b32_e32 v133, 0xffff, v224
	s_set_vgpr_msb 4                        ;  msbs: dst=0 src0=0 src1=1 src2=0
	v_mul_i32_i24_e32 v237, v225, v12 /*v268*/
	s_set_vgpr_msb 0                        ;  msbs: dst=0 src0=0 src1=0 src2=0
	v_mul_i32_i24_e32 v232, v227, v243
	v_add3_u32 v130, v162, v231, v230
	v_add3_u32 v129, v129, v131, v132
	;; [unrolled: 1-line block ×3, first 2 shown]
	v_mul_i32_i24_e32 v163, v133, v226
	v_ashrrev_i32_e32 v226, 24, v10
	v_mul_i32_i24_e32 v202, v202, v8
	v_bfe_u32 v8, v201, 24, 4
	v_and_b32_e32 v162, 15, v201
	v_bfe_u32 v132, v201, 16, 4
	s_set_vgpr_msb 4                        ;  msbs: dst=0 src0=0 src1=1 src2=0
	v_mul_i32_i24_e32 v236, v227, v11 /*v267*/
	s_set_vgpr_msb 0                        ;  msbs: dst=0 src0=0 src1=0 src2=0
	v_add3_u32 v130, v130, v232, v233
	v_mul_i32_i24_e32 v225, v8, v225
	v_add_nc_u32_e32 v8, 0x3198, v121
	v_mul_i32_i24_e32 v162, v162, v9
	v_mul_i32_i24_e32 v224, v132, v227
	v_bfe_i32 v227, v228, 0, 8
	v_bfe_i32 v228, v10, 16, 8
	ds_load_2addr_b32 v[8:9], v8 offset1:1
	v_bfe_i32 v10, v10, 0, 8
	v_mul_i32_i24_e32 v128, v226, v128
	v_mul_i32_i24_e32 v126, v227, v126
	;; [unrolled: 1-line block ×6, first 2 shown]
	v_add3_u32 v131, v131, v236, v237
	v_mul_i32_i24_e32 v185, v228, v185
	v_mul_i32_i24_e32 v186, v226, v186
	v_add3_u32 v81, v129, v126, v81
	s_set_vgpr_msb 4                        ;  msbs: dst=0 src0=0 src1=1 src2=0
	v_mul_i32_i24_e32 v230, v10, v13 /*v269*/
	v_mul_i32_i24_e32 v231, v227, v14 /*v270*/
	;; [unrolled: 1-line block ×4, first 2 shown]
	s_set_vgpr_msb 0                        ;  msbs: dst=0 src0=0 src1=0 src2=0
	v_add3_u32 v126, v81, v127, v128
	v_add3_u32 v81, v130, v184, v183
	s_cmp_lt_u32 s20, 24
	s_mov_b32 s20, s21
	s_wait_dscnt 0x0
	v_and_b32_e32 v133, 0xf0f0f0f, v8
	v_bfe_u32 v128, v8, 16, 4
	v_bfe_u32 v132, v8, 24, 4
	v_add3_u32 v127, v81, v185, v186
	v_add3_u32 v81, v131, v231, v230
	v_lshrrev_b16 v133, 8, v133
	v_and_b32_e32 v130, 15, v8
	v_mul_i32_i24_e32 v184, v128, v228
	v_and_b32_e32 v128, 0xf0f0f0f, v9
	v_and_b32_e32 v131, 15, v75
	;; [unrolled: 1-line block ×3, first 2 shown]
	v_mul_i32_i24_e32 v10, v130, v10
	v_mul_i32_i24_e32 v185, v132, v226
	v_lshrrev_b16 v226, 8, v128
	v_ashrrev_i32_e32 v128, 24, v11
	v_mul_i32_i24_e32 v183, v129, v227
	v_bfe_i32 v227, v229, 0, 8
	v_bfe_i32 v130, v11, 16, 8
	;; [unrolled: 1-line block ×3, first 2 shown]
	v_add3_u32 v81, v81, v232, v233
	s_set_vgpr_msb 4                        ;  msbs: dst=0 src0=0 src1=1 src2=0
	v_mul_i32_i24_e32 v228, v128, v20 /*v276*/
	s_set_vgpr_msb 0                        ;  msbs: dst=0 src0=0 src1=0 src2=0
	v_mul_i32_i24_e32 v129, v227, v80
	v_and_b32_e32 v80, 15, v73
	s_set_vgpr_msb 4                        ;  msbs: dst=0 src0=0 src1=1 src2=0
	v_mul_i32_i24_e32 v133, v227, v18 /*v274*/
	v_bfe_u32 v186, v9, 24, 4
	s_set_vgpr_msb 0                        ;  msbs: dst=0 src0=0 src1=0 src2=0
	v_add_nc_u32_e32 v121, 32, v121
	v_perm_b32 v80, v131, v80, 0x5040100
	v_mul_i32_i24_e32 v131, v227, v182
	s_set_vgpr_msb 4                        ;  msbs: dst=0 src0=0 src1=1 src2=0
	v_mul_i32_i24_e32 v182, v130, v19 /*v275*/
	s_set_vgpr_msb 0                        ;  msbs: dst=0 src0=0 src1=0 src2=0
	v_pk_mul_lo_u16 v132, v80, v11 op_sel_hi:[1,0]
	s_set_vgpr_msb 4                        ;  msbs: dst=0 src0=0 src1=1 src2=0
	v_mul_i32_i24_e32 v80, v11, v17 /*v273*/
	s_set_vgpr_msb 0                        ;  msbs: dst=0 src0=0 src1=0 src2=0
	s_delay_alu instid0(VALU_DEP_1) | instskip(SKIP_1) | instid1(VALU_DEP_2)
	v_add3_u32 v80, v81, v133, v80
	v_and_b32_e32 v81, 0xffff, v226
	v_add3_u32 v80, v80, v182, v228
	v_and_b32_e32 v182, 15, v9
	s_delay_alu instid0(VALU_DEP_3) | instskip(SKIP_1) | instid1(VALU_DEP_3)
	v_mul_i32_i24_e32 v81, v81, v227
	s_set_vgpr_msb 4                        ;  msbs: dst=0 src0=0 src1=1 src2=0
	v_mul_lo_u32 v80, v80, v21 /*v277*/
	s_set_vgpr_msb 0                        ;  msbs: dst=0 src0=0 src1=0 src2=0
	v_mul_i32_i24_e32 v11, v182, v11
	v_mul_i32_i24_e32 v182, v186, v128
	v_mad_i32_i24 v186, v221, v208, v209
	s_set_vgpr_msb 5                        ;  msbs: dst=0 src0=1 src1=1 src2=0
	v_mad_i32_i24 v209, v35 /*v291*/, v41 /*v297*/, v223
	s_set_vgpr_msb 4                        ;  msbs: dst=0 src0=0 src1=1 src2=0
	v_mad_i32_i24 v208, v212, v42 /*v298*/, v216
	s_set_vgpr_msb 0                        ;  msbs: dst=0 src0=0 src1=0 src2=0
	v_add3_u32 v212, v222, v215, v218
	v_add3_u32 v186, v186, v210, v211
	v_add3_u32 v209, v209, v219, v220
	v_add3_u32 v208, v208, v217, v214
	v_cvt_f32_i32_e32 v133, v80
	v_bfe_u32 v80, v9, 16, 4
	v_add3_u32 v199, v212, v213, v199
	v_add3_u32 v207, v209, v207, v225
	;; [unrolled: 1-line block ×4, first 2 shown]
	v_mul_i32_i24_e32 v80, v80, v130
	v_add3_u32 v163, v199, v163, v183
	v_add3_u32 v182, v207, v185, v182
	v_add3_u32 v10, v162, v10, v11
	v_ashrrev_i32_e32 v185, 24, v4
	v_add3_u32 v80, v164, v184, v80
	v_lshrrev_b16 v164, 8, v4
	v_add3_u32 v11, v163, v81, v182
	v_bfe_i32 v186, v4, 16, 8
	v_bfe_i32 v4, v4, 0, 8
	v_mul_i32_i24_e32 v154, v185, v154
	v_bfe_i32 v164, v164, 0, 8
	v_add3_u32 v10, v10, v80, v11
	s_set_vgpr_msb 1                        ;  msbs: dst=0 src0=1 src1=0 src2=0
	ds_load_u16 v11, v34 /*v290*/ offset:18432
	ds_load_u16 v162, v34 /*v290*/ offset:18440
	s_set_vgpr_msb 0                        ;  msbs: dst=0 src0=0 src1=0 src2=0
	v_mul_i32_i24_e32 v153, v4, v153
	v_mul_i32_i24_e32 v151, v186, v151
	v_lshrrev_b16 v182, 8, v5
	v_lshrrev_b16 v183, 8, v6
	;; [unrolled: 1-line block ×3, first 2 shown]
	v_mad_i32_i24 v152, v164, v152, v153
	v_mul_i32_i24_e32 v153, v186, v173
	s_set_vgpr_msb 4                        ;  msbs: dst=0 src0=0 src1=1 src2=0
	v_mul_i32_i24_e32 v173, v185, v25 /*v281*/
	s_set_vgpr_msb 0                        ;  msbs: dst=0 src0=0 src1=0 src2=0
	v_add3_u32 v151, v152, v151, v154
	v_mul_i32_i24_e32 v152, v4, v175
	v_mul_i32_i24_e32 v154, v185, v176
	v_bfe_i32 v175, v182, 0, 8
	v_bfe_i32 v176, v5, 16, 8
	s_delay_alu instid0(VALU_DEP_4)
	v_mad_i32_i24 v152, v164, v174, v152
	v_ashrrev_i32_e32 v174, 24, v5
	s_wait_dscnt 0x1
	v_lshrrev_b16 v163, 8, v11
	v_and_b32_e32 v11, 0xff, v11
	v_bfe_i32 v5, v5, 0, 8
	v_add3_u32 v152, v152, v153, v154
	s_set_vgpr_msb 4                        ;  msbs: dst=0 src0=0 src1=1 src2=0
	v_mul_i32_i24_e32 v153, v4, v23 /*v279*/
	v_mul_i32_i24_e32 v154, v186, v22 /*v278*/
	s_set_vgpr_msb 0                        ;  msbs: dst=0 src0=0 src1=0 src2=0
	v_mul_lo_u32 v10, v10, v11
	v_lshrrev_b32_e32 v11, 28, v84
	v_mul_i32_i24_e32 v149, v5, v149
	s_set_vgpr_msb 4                        ;  msbs: dst=0 src0=0 src1=1 src2=0
	v_mad_i32_i24 v153, v164, v24 /*v280*/, v153
	s_set_vgpr_msb 0                        ;  msbs: dst=0 src0=0 src1=0 src2=0
	v_mul_i32_i24_e32 v150, v175, v150
	v_mul_i32_i24_e32 v147, v176, v147
	;; [unrolled: 1-line block ×4, first 2 shown]
	v_add3_u32 v153, v153, v154, v173
	v_bfe_u32 v154, v84, 20, 4
	v_bfe_u32 v173, v84, 4, 4
	v_cvt_f32_i32_e32 v80, v10
	v_dual_lshrrev_b32 v10, 4, v84 :: v_dual_lshrrev_b32 v84, 4, v85
	v_mul_i32_i24_e32 v172, v175, v172
	v_add3_u32 v149, v151, v149, v150
	v_bfe_u32 v150, v85, 20, 4
	s_delay_alu instid0(VALU_DEP_4)
	v_lshrrev_b16 v10, 8, v10
	v_lshrrev_b16 v84, 8, v84
	v_mul_i32_i24_e32 v169, v176, v169
	v_mul_i32_i24_e32 v170, v174, v170
	s_set_vgpr_msb 4                        ;  msbs: dst=0 src0=0 src1=1 src2=0
	v_mul_i32_i24_e32 v182, v5, v27 /*v283*/
	s_set_vgpr_msb 0                        ;  msbs: dst=0 src0=0 src1=0 src2=0
	v_and_b32_e32 v10, 15, v10
	v_and_b32_e32 v84, 15, v84
	s_set_vgpr_msb 4                        ;  msbs: dst=0 src0=0 src1=1 src2=0
	v_mul_i32_i24_e32 v199, v175, v28 /*v284*/
	s_set_vgpr_msb 0                        ;  msbs: dst=0 src0=0 src1=0 src2=0
	v_add3_u32 v147, v149, v147, v148
	v_add3_u32 v148, v152, v171, v172
	v_and_b32_e32 v10, 0xffff, v10
	v_and_b32_e32 v84, 0xffff, v84
	v_add3_u32 v149, v153, v182, v199
	v_ashrrev_i32_e32 v153, 24, v6
	v_add3_u32 v148, v148, v169, v170
	v_mul_i32_i24_e32 v10, v10, v164
	v_lshrrev_b32_e32 v164, 28, v85
	v_bfe_u32 v85, v85, 4, 4
	v_mul_i32_i24_e32 v151, v84, v175
	v_lshrrev_b32_e32 v84, 4, v86
	v_bfe_i32 v169, v6, 16, 8
	v_mul_i32_i24_e32 v152, v164, v174
	v_mul_i32_i24_e32 v5, v85, v5
	v_lshrrev_b32_e32 v85, 28, v86
	v_lshrrev_b16 v84, 8, v84
	v_bfe_i32 v164, v183, 0, 8
	v_bfe_i32 v6, v6, 0, 8
	s_set_vgpr_msb 4                        ;  msbs: dst=0 src0=0 src1=1 src2=0
	v_mul_i32_i24_e32 v202, v176, v26 /*v282*/
	v_mul_i32_i24_e32 v207, v174, v29 /*v285*/
	s_set_vgpr_msb 0                        ;  msbs: dst=0 src0=0 src1=0 src2=0
	v_and_b32_e32 v84, 15, v84
	v_mul_i32_i24_e32 v145, v164, v145
	v_mul_i32_i24_e32 v144, v6, v144
	;; [unrolled: 1-line block ×3, first 2 shown]
	s_set_vgpr_msb 4                        ;  msbs: dst=0 src0=0 src1=1 src2=0
	v_mul_i32_i24_e32 v170, v6, v31 /*v287*/
	s_set_vgpr_msb 0                        ;  msbs: dst=0 src0=0 src1=0 src2=0
	v_and_b32_e32 v84, 0xffff, v84
	v_add3_u32 v149, v149, v202, v207
	v_add3_u32 v144, v147, v144, v145
	v_bfe_u32 v145, v86, 20, 4
	v_bfe_u32 v86, v86, 4, 4
	v_mul_i32_i24_e32 v142, v169, v142
	v_mul_i32_i24_e32 v143, v153, v143
	;; [unrolled: 1-line block ×3, first 2 shown]
	s_set_vgpr_msb 4                        ;  msbs: dst=0 src0=0 src1=1 src2=0
	v_mul_i32_i24_e32 v171, v164, v32 /*v288*/
	s_set_vgpr_msb 0                        ;  msbs: dst=0 src0=0 src1=0 src2=0
	v_mul_i32_i24_e32 v6, v86, v6
	v_mul_i32_i24_e32 v86, v84, v164
	v_lshrrev_b32_e32 v84, 4, v87
	v_mul_i32_i24_e32 v147, v85, v153
	v_lshrrev_b32_e32 v85, 28, v87
	v_mul_i32_i24_e32 v166, v153, v166
	s_set_vgpr_msb 4                        ;  msbs: dst=0 src0=0 src1=1 src2=0
	v_mul_i32_i24_e32 v174, v153, v33 /*v289*/
	s_set_vgpr_msb 0                        ;  msbs: dst=0 src0=0 src1=0 src2=0
	v_lshrrev_b16 v84, 8, v84
	v_add3_u32 v142, v144, v142, v143
	v_add3_u32 v143, v148, v167, v168
	;; [unrolled: 1-line block ×3, first 2 shown]
	s_delay_alu instid0(VALU_DEP_4)
	v_dual_ashrrev_i32 v148, 24, v7 :: v_dual_bitop2_b32 v84, 15, v84 bitop3:0x40
	v_bfe_i32 v149, v184, 0, 8
	v_bfe_i32 v153, v7, 16, 8
	;; [unrolled: 1-line block ×3, first 2 shown]
	v_mul_i32_i24_e32 v165, v169, v165
	s_set_vgpr_msb 4                        ;  msbs: dst=0 src0=0 src1=1 src2=0
	v_mul_i32_i24_e32 v172, v169, v30 /*v286*/
	s_set_vgpr_msb 0                        ;  msbs: dst=0 src0=0 src1=0 src2=0
	v_mul_i32_i24_e32 v141, v149, v141
	v_mul_i32_i24_e32 v138, v153, v138
	;; [unrolled: 1-line block ×3, first 2 shown]
	v_add3_u32 v143, v143, v165, v166
	v_mul_i32_i24_e32 v139, v148, v139
	v_mul_i32_i24_e32 v160, v7, v160
	v_mul_i32_i24_e32 v161, v149, v161
	v_add3_u32 v140, v142, v140, v141
	v_add3_u32 v144, v144, v172, v174
	v_mul_i32_i24_e32 v158, v153, v158
	v_mul_i32_i24_e32 v159, v148, v159
	;; [unrolled: 1-line block ×4, first 2 shown]
	v_add3_u32 v138, v140, v138, v139
	v_add3_u32 v139, v143, v160, v161
	v_bfe_u32 v141, v87, 20, 4
	v_and_b32_e32 v84, 0xffff, v84
	v_bfe_u32 v87, v87, 4, 4
	v_lshrrev_b16 v143, 8, v0
	v_mul_i32_i24_e32 v166, v153, v203
	v_mul_i32_i24_e32 v167, v148, v204
	v_add3_u32 v139, v139, v158, v159
	v_add3_u32 v140, v144, v164, v165
	v_mul_i32_i24_e32 v7, v87, v7
	v_mul_i32_i24_e32 v87, v84, v149
	;; [unrolled: 1-line block ×3, first 2 shown]
	v_lshrrev_b32_e32 v84, 4, v200
	v_ashrrev_i32_e32 v153, 24, v0
	v_bfe_i32 v143, v143, 0, 8
	v_bfe_i32 v158, v0, 16, 8
	;; [unrolled: 1-line block ×3, first 2 shown]
	v_add3_u32 v140, v140, v166, v167
	v_mul_i32_i24_e32 v142, v85, v148
	v_lshrrev_b32_e32 v85, 28, v200
	v_lshrrev_b16 v84, 8, v84
	v_mul_i32_i24_e32 v159, v0, v197
	v_mul_i32_i24_e32 v160, v143, v198
	;; [unrolled: 1-line block ×4, first 2 shown]
	v_and_b32_e32 v84, 15, v84
	v_mul_i32_i24_e32 v137, v143, v137
	v_add3_u32 v140, v140, v159, v160
	v_bfe_u32 v160, v200, 4, 4
	v_mul_i32_i24_e32 v157, v143, v157
	v_lshrrev_b16 v144, 8, v1
	v_mul_i32_i24_e32 v161, v158, v195
	v_mul_i32_i24_e32 v145, v145, v169
	;; [unrolled: 1-line block ×4, first 2 shown]
	v_lshrrev_b32_e32 v85, 28, v201
	v_and_b32_e32 v84, 0xffff, v84
	v_bfe_i32 v144, v144, 0, 8
	v_ashrrev_i32_e32 v169, 24, v2
	v_bfe_i32 v170, v2, 16, 8
	v_mul_i32_i24_e32 v150, v150, v176
	v_mul_i32_i24_e32 v143, v84, v143
	v_lshrrev_b32_e32 v84, 4, v201
	v_mul_i32_i24_e32 v164, v153, v196
	v_mul_i32_i24_e32 v166, v144, v194
	;; [unrolled: 1-line block ×4, first 2 shown]
	v_lshrrev_b16 v84, 8, v84
	v_add3_u32 v140, v140, v161, v164
	v_ashrrev_i32_e32 v161, 24, v1
	v_bfe_i32 v164, v1, 16, 8
	v_bfe_i32 v1, v1, 0, 8
	v_and_b32_e32 v84, 15, v84
	v_bfe_u32 v176, v83, 4, 4
	v_mul_i32_i24_e32 v168, v161, v192
	v_mul_i32_i24_e32 v167, v164, v191
	;; [unrolled: 1-line block ×3, first 2 shown]
	v_and_b32_e32 v84, 0xffff, v84
	v_bfe_u32 v182, v79, 4, 4
	v_bfe_u32 v183, v83, 12, 4
	v_lshrrev_b32_e32 v187, 28, v83
	v_add3_u32 v140, v140, v165, v166
	v_bfe_u32 v166, v201, 4, 4
	v_lshrrev_b32_e32 v188, 28, v79
	v_mul_i32_i24_e32 v135, v135, v158
	v_mul_i32_i24_e32 v155, v155, v158
	v_add3_u32 v140, v140, v167, v168
	v_mul_i32_i24_e32 v167, v84, v144
	v_lshrrev_b32_e32 v84, 4, v8
	v_mul_i32_i24_e32 v168, v85, v161
	v_lshrrev_b32_e32 v85, 28, v8
	v_mul_i32_i24_e32 v78, v153, v78
	v_mul_i32_i24_e32 v82, v153, v82
	v_lshrrev_b16 v84, 8, v84
	v_add3_u32 v136, v138, v136, v137
	v_add3_u32 v137, v139, v156, v157
	v_lshrrev_b16 v148, 8, v2
	v_mul_i32_i24_e32 v166, v166, v1
	v_and_b32_e32 v84, 15, v84
	v_bfe_i32 v2, v2, 0, 8
	v_bfe_u32 v184, v79, 12, 4
	v_bfe_u32 v83, v83, 20, 4
	v_add3_u32 v82, v137, v155, v82
	v_add3_u32 v78, v136, v135, v78
	v_mul_i32_i24_e32 v135, v1, v182
	v_mul_i32_i24_e32 v1, v1, v176
	;; [unrolled: 1-line block ×3, first 2 shown]
	v_bfe_i32 v148, v148, 0, 8
	v_mul_i32_i24_e32 v171, v2, v189
	v_bfe_u32 v79, v79, 20, 4
	v_bfe_u32 v189, v74, 4, 4
	;; [unrolled: 1-line block ×3, first 2 shown]
	v_mul_i32_i24_e32 v136, v144, v184
	v_mul_i32_i24_e32 v83, v164, v83
	;; [unrolled: 1-line block ×3, first 2 shown]
	v_add3_u32 v1, v82, v1, v137
	v_mul_i32_i24_e32 v172, v148, v190
	v_bfe_u32 v190, v72, 4, 4
	v_bfe_u32 v192, v72, 12, 4
	v_mul_i32_i24_e32 v79, v164, v79
	v_mul_i32_i24_e32 v138, v161, v188
	v_add3_u32 v78, v78, v135, v136
	v_add3_u32 v1, v1, v83, v139
	v_mul_i32_i24_e32 v82, v2, v189
	v_mul_i32_i24_e32 v135, v148, v191
	v_dual_lshrrev_b32 v193, 28, v74 :: v_dual_lshrrev_b32 v194, 28, v72
	v_bfe_u32 v74, v74, 20, 4
	v_bfe_u32 v72, v72, 20, 4
	v_add3_u32 v78, v78, v79, v138
	v_mul_i32_i24_e32 v79, v2, v190
	v_mul_i32_i24_e32 v83, v148, v192
	v_add3_u32 v1, v1, v82, v135
	v_dual_lshrrev_b32 v82, 4, v9 :: v_dual_lshrrev_b32 v135, 28, v9
	v_mul_i32_i24_e32 v136, v170, v72
	v_mul_i32_i24_e32 v72, v170, v74
	;; [unrolled: 1-line block ×4, first 2 shown]
	v_add3_u32 v78, v78, v79, v83
	v_lshrrev_b16 v82, 8, v82
	v_lshrrev_b16 v149, 8, v3
	v_and_b32_e32 v79, 0xffff, v84
	v_add3_u32 v72, v1, v72, v137
	v_add3_u32 v74, v78, v136, v74
	v_bfe_u32 v78, v8, 20, 4
	v_bfe_u32 v8, v8, 4, 4
	v_dual_ashrrev_i32 v82, 24, v3 :: v_dual_bitop2_b32 v136, 15, v82 bitop3:0x40
	v_bfe_i32 v84, v3, 16, 8
	v_bfe_i32 v137, v3, 0, 8
	v_and_b32_e32 v3, 15, v134
	v_and_b32_e32 v83, 15, v146
	v_add3_u32 v1, v140, v171, v172
	v_mul_i32_i24_e32 v2, v8, v2
	v_mul_i32_i24_e32 v8, v79, v148
	v_mul_i32_i24_e32 v79, v85, v169
	v_bfe_i32 v85, v149, 0, 8
	v_perm_b32 v3, v83, v3, 0x5040100
	v_add3_u32 v1, v1, v174, v175
	v_mul_i32_i24_e32 v138, v84, v177
	v_mul_i32_i24_e32 v139, v82, v179
	v_mul_i32_i24_e32 v134, v85, v181
	v_pk_mul_lo_u16 v83, v3, v137 op_sel_hi:[1,0]
	v_mul_i32_i24_e32 v3, v137, v180
	v_mad_i32_i24 v4, v173, v4, v5
	v_bfe_u32 v159, v200, 20, 4
	v_bfe_u32 v165, v201, 20, 4
	v_mad_i32_i24 v5, v154, v186, v150
	v_add3_u32 v1, v1, v3, v134
	v_add3_u32 v10, v10, v151, v86
	;; [unrolled: 1-line block ×3, first 2 shown]
	v_mul_i32_i24_e32 v159, v159, v158
	v_mul_i32_i24_e32 v165, v165, v164
	v_add3_u32 v1, v1, v138, v139
	v_mad_i32_i24 v11, v11, v185, v152
	v_add3_u32 v5, v5, v145, v141
	v_add3_u32 v6, v10, v87, v143
	;; [unrolled: 1-line block ×3, first 2 shown]
	v_mul_lo_u32 v1, v1, v178
	v_add3_u32 v11, v11, v147, v142
	v_add3_u32 v4, v5, v159, v165
	;; [unrolled: 1-line block ×3, first 2 shown]
	v_and_b32_e32 v134, 0xffff, v136
	v_mul_i32_i24_e32 v135, v135, v82
	v_add3_u32 v7, v11, v160, v168
	v_mul_i32_i24_e32 v78, v78, v170
	s_wait_dscnt 0x0
	v_cvt_f32_ubyte0_e32 v81, v162
	v_mul_i32_i24_e32 v134, v134, v85
	v_bfe_u32 v86, v75, 24, 4
	v_cvt_f32_i32_e32 v3, v1
	v_bfe_u32 v1, v9, 20, 4
	v_bfe_u32 v9, v9, 4, 4
	v_add3_u32 v6, v7, v79, v135
	v_bfe_u32 v87, v73, 24, 4
	v_mul_i32_i24_e32 v86, v128, v86
	v_mul_i32_i24_e32 v1, v1, v84
	;; [unrolled: 1-line block ×3, first 2 shown]
	v_bfe_u32 v135, v75, 20, 4
	v_mul_i32_i24_e32 v87, v128, v87
	v_bfe_i32 v128, v132, 0, 16
	v_add3_u32 v1, v4, v78, v1
	v_add3_u32 v0, v0, v2, v9
	ds_load_b64 v[8:9], v118
	v_add3_u32 v2, v5, v134, v6
	v_add3_u32 v126, v126, v129, v128
	v_lshrrev_b32_e32 v134, 28, v73
	v_bfe_u32 v136, v73, 20, 4
	v_bfe_u32 v73, v73, 12, 4
	v_add3_u32 v0, v0, v1, v2
	v_and_b32_e32 v1, 0xffff, v163
	v_add_nc_u32_e32 v118, 8, v118
	s_delay_alu instid0(VALU_DEP_4) | instskip(NEXT) | instid1(VALU_DEP_3)
	v_mul_i32_i24_e32 v73, v85, v73
	v_mul_lo_u32 v0, v0, v1
	v_cvt_f32_ubyte1_e32 v1, v162
	s_wait_dscnt 0x0
	v_lshrrev_b32_e32 v2, 16, v8
	v_cvt_f32_f16_e32 v10, v8
	v_fma_mix_f32 v8, v8, v133, 0 op_sel_hi:[1,0,0]
	v_lshrrev_b32_e32 v133, 28, v75
	v_bfe_u32 v75, v75, 12, 4
	v_cvt_f32_f16_e32 v11, v2
	v_lshrrev_b32_e32 v2, 16, v9
	v_cvt_f32_i32_e32 v0, v0
	v_cvt_f32_f16_e32 v4, v9
	v_mul_i32_i24_e32 v75, v85, v75
	v_mov_b32_e32 v6, v11
	v_cvt_f32_f16_e32 v5, v2
	v_mul_i32_i24_e32 v85, v84, v136
	v_mul_i32_i24_e32 v84, v84, v135
	v_fma_mix_f32 v3, v9, v3, v8 op_sel_hi:[1,0,0]
	s_delay_alu instid0(VALU_DEP_1) | instskip(NEXT) | instid1(VALU_DEP_1)
	v_dual_mov_b32 v7, v5 :: v_dual_mul_f32 v8, v3, v119
	v_pk_mul_f32 v[6:7], v[6:7], v[76:77]
	ds_load_u16 v76, v124
	ds_load_u16 v77, v124 offset:8
	v_add_f32_e32 v2, 0, v6
	s_delay_alu instid0(VALU_DEP_1)
	v_add_f32_e32 v2, v2, v7
	v_pk_fma_f32 v[6:7], v[80:81], v[10:11], 0 op_sel_hi:[1,1,0]
	ds_load_u16 v78, v125 offset:17408
	ds_load_u16 v81, v125 offset:17416
	v_mul_f32_e32 v2, v2, v120
	v_pk_fma_f32 v[0:1], v[0:1], v[4:5], v[6:7]
	s_wait_dscnt 0x3
	v_lshrrev_b16 v80, 8, v76
	v_and_b32_e32 v76, 0xff, v76
	s_delay_alu instid0(VALU_DEP_3) | instskip(NEXT) | instid1(VALU_DEP_3)
	v_pk_mul_f32 v[0:1], v[0:1], v[68:69]
	v_and_b32_e32 v137, 0xffff, v80
	s_wait_dscnt 0x2
	v_cvt_f32_ubyte1_e32 v80, v77
	s_delay_alu instid0(VALU_DEP_3)
	v_dual_mov_b32 v9, v0 :: v_dual_mov_b32 v3, v1
	s_wait_dscnt 0x1
	v_lshrrev_b16 v124, 8, v78
	v_and_b32_e32 v125, 0xff, v78
	v_cvt_f32_ubyte0_e32 v78, v77
	v_mul_i32_i24_e32 v77, v122, v130
	v_mul_i32_i24_e32 v122, v123, v130
	v_ashrrev_i32_e32 v123, 16, v132
	v_and_b32_e32 v124, 0xffff, v124
	s_wait_dscnt 0x0
	v_cvt_f32_ubyte0_e32 v79, v81
	v_add3_u32 v77, v126, v77, v87
	v_ashrrev_i32_e32 v87, 16, v83
	v_add3_u32 v123, v127, v131, v123
	v_bfe_i32 v83, v83, 0, 16
	v_cvt_f32_ubyte1_e32 v81, v81
	v_mul_lo_u32 v76, v77, v76
	v_add3_u32 v72, v72, v87, v75
	v_add3_u32 v86, v123, v122, v86
	;; [unrolled: 1-line block ×3, first 2 shown]
	v_pk_add_f32 v[2:3], v[8:9], v[2:3] neg_lo:[0,1] neg_hi:[0,1]
	s_delay_alu instid0(VALU_DEP_3) | instskip(SKIP_2) | instid1(VALU_DEP_4)
	v_mul_lo_u32 v77, v86, v125
	v_mul_i32_i24_e32 v86, v82, v134
	v_mul_i32_i24_e32 v82, v82, v133
	v_pk_add_f32 v[16:17], v[16:17], v[2:3]
	v_cvt_f32_i32_e32 v76, v76
	s_delay_alu instid0(VALU_DEP_4) | instskip(NEXT) | instid1(VALU_DEP_4)
	v_add3_u32 v73, v73, v85, v86
	v_add3_u32 v72, v72, v84, v82
	s_delay_alu instid0(VALU_DEP_2) | instskip(NEXT) | instid1(VALU_DEP_2)
	v_mul_lo_u32 v74, v73, v137
	v_mul_lo_u32 v72, v72, v124
	v_cvt_f32_i32_e32 v77, v77
	s_delay_alu instid0(VALU_DEP_2) | instskip(NEXT) | instid1(VALU_DEP_4)
	v_cvt_f32_i32_e32 v73, v72
	v_cvt_f32_i32_e32 v72, v74
	v_mov_b32_e32 v74, v11
	s_delay_alu instid0(VALU_DEP_4) | instskip(NEXT) | instid1(VALU_DEP_2)
	v_pk_fma_f32 v[10:11], v[10:11], v[76:77], 0 op_sel_hi:[0,1,0]
	v_pk_fma_f32 v[74:75], v[74:75], v[78:79], 0 op_sel_hi:[0,1,0]
	v_mov_b32_e32 v78, v5
	s_delay_alu instid0(VALU_DEP_3) | instskip(NEXT) | instid1(VALU_DEP_2)
	v_pk_fma_f32 v[10:11], v[4:5], v[72:73], v[10:11] op_sel_hi:[0,1,1]
	v_pk_fma_f32 v[74:75], v[78:79], v[80:81], v[74:75] op_sel_hi:[0,1,1]
	s_delay_alu instid0(VALU_DEP_1) | instskip(NEXT) | instid1(VALU_DEP_1)
	v_pk_mul_f32 v[74:75], v[74:75], v[70:71]
	v_pk_fma_f32 v[0:1], v[10:11], v[66:67], v[74:75] neg_lo:[0,0,1] neg_hi:[0,0,1]
	s_delay_alu instid0(VALU_DEP_1)
	v_pk_add_f32 v[18:19], v[18:19], v[0:1]
	s_cbranch_scc1 .LBB192_19
; %bb.20:                               ;   in Loop: Header=BB192_5 Depth=1
	s_barrier_signal -1
	s_barrier_wait -1
	s_branch .LBB192_4
.LBB192_21:
	v_mov_b32_e32 v18, 0
	s_delay_alu instid0(VALU_DEP_1)
	v_dual_mov_b32 v19, v18 :: v_dual_mov_b32 v16, v18
	v_mov_b32_e32 v17, v18
.LBB192_22:
	s_mul_i32 s0, s10, s7
	s_wait_loadcnt 0x0
	v_cmp_gt_i32_e32 vcc_lo, s0, v13
	s_wait_xcnt 0x0
	s_and_saveexec_b32 s0, vcc_lo
	s_cbranch_execz .LBB192_31
; %bb.23:
	v_mul_lo_u32 v0, v13, s9
	v_add_nc_u32_e32 v1, s11, v29
	s_mov_b32 s0, exec_lo
	s_delay_alu instid0(VALU_DEP_1)
	v_cmpx_gt_u32_e64 s9, v1
	s_cbranch_execz .LBB192_25
; %bb.24:
	s_delay_alu instid0(VALU_DEP_3)
	v_add_nc_u32_e32 v2, v0, v1
	global_store_b32 v2, v18, s[12:13] scale_offset
.LBB192_25:
	s_wait_xcnt 0x0
	s_or_b32 exec_lo, exec_lo, s0
	v_add_nc_u32_e32 v2, 32, v1
	s_mov_b32 s0, exec_lo
	s_delay_alu instid0(VALU_DEP_1)
	v_cmpx_gt_u32_e64 s9, v2
	s_cbranch_execz .LBB192_27
; %bb.26:
	v_add_nc_u32_e32 v2, v0, v2
	global_store_b32 v2, v19, s[12:13] scale_offset
.LBB192_27:
	s_wait_xcnt 0x0
	s_or_b32 exec_lo, exec_lo, s0
	v_add_nc_u32_e32 v2, 64, v1
	s_mov_b32 s0, exec_lo
	s_delay_alu instid0(VALU_DEP_1)
	v_cmpx_gt_u32_e64 s9, v2
	s_cbranch_execz .LBB192_29
; %bb.28:
	v_add_nc_u32_e32 v2, v0, v2
	global_store_b32 v2, v16, s[12:13] scale_offset
.LBB192_29:
	s_wait_xcnt 0x0
	s_or_b32 exec_lo, exec_lo, s0
	v_add_nc_u32_e32 v1, 0x60, v1
	s_delay_alu instid0(VALU_DEP_1)
	v_cmp_gt_u32_e32 vcc_lo, s9, v1
	s_and_b32 exec_lo, exec_lo, vcc_lo
	s_cbranch_execz .LBB192_31
; %bb.30:
	v_add_nc_u32_e32 v0, v0, v1
	global_store_b32 v0, v17, s[12:13] scale_offset
.LBB192_31:
	s_sendmsg sendmsg(MSG_DEALLOC_VGPRS)
	s_endpgm
	.section	.rodata,"a",@progbits
	.p2align	6, 0x0
	.amdhsa_kernel _ZL8moe_q4_KIfLb1EEvPKvS1_PT_PKiS5_S5_iiiiiii
		.amdhsa_group_segment_fixed_size 20688
		.amdhsa_private_segment_fixed_size 0
		.amdhsa_kernarg_size 76
		.amdhsa_user_sgpr_count 2
		.amdhsa_user_sgpr_dispatch_ptr 0
		.amdhsa_user_sgpr_queue_ptr 0
		.amdhsa_user_sgpr_kernarg_segment_ptr 1
		.amdhsa_user_sgpr_dispatch_id 0
		.amdhsa_user_sgpr_kernarg_preload_length 0
		.amdhsa_user_sgpr_kernarg_preload_offset 0
		.amdhsa_user_sgpr_private_segment_size 0
		.amdhsa_wavefront_size32 1
		.amdhsa_uses_dynamic_stack 0
		.amdhsa_enable_private_segment 0
		.amdhsa_system_sgpr_workgroup_id_x 1
		.amdhsa_system_sgpr_workgroup_id_y 1
		.amdhsa_system_sgpr_workgroup_id_z 0
		.amdhsa_system_sgpr_workgroup_info 0
		.amdhsa_system_vgpr_workitem_id 1
		.amdhsa_next_free_vgpr 299
		.amdhsa_next_free_sgpr 24
		.amdhsa_named_barrier_count 0
		.amdhsa_reserve_vcc 1
		.amdhsa_float_round_mode_32 0
		.amdhsa_float_round_mode_16_64 0
		.amdhsa_float_denorm_mode_32 3
		.amdhsa_float_denorm_mode_16_64 3
		.amdhsa_fp16_overflow 0
		.amdhsa_memory_ordered 1
		.amdhsa_forward_progress 1
		.amdhsa_inst_pref_size 123
		.amdhsa_round_robin_scheduling 0
		.amdhsa_exception_fp_ieee_invalid_op 0
		.amdhsa_exception_fp_denorm_src 0
		.amdhsa_exception_fp_ieee_div_zero 0
		.amdhsa_exception_fp_ieee_overflow 0
		.amdhsa_exception_fp_ieee_underflow 0
		.amdhsa_exception_fp_ieee_inexact 0
		.amdhsa_exception_int_div_zero 0
	.end_amdhsa_kernel
	.section	.text._ZL8moe_q4_KIfLb1EEvPKvS1_PT_PKiS5_S5_iiiiiii,"axG",@progbits,_ZL8moe_q4_KIfLb1EEvPKvS1_PT_PKiS5_S5_iiiiiii,comdat
.Lfunc_end192:
	.size	_ZL8moe_q4_KIfLb1EEvPKvS1_PT_PKiS5_S5_iiiiiii, .Lfunc_end192-_ZL8moe_q4_KIfLb1EEvPKvS1_PT_PKiS5_S5_iiiiiii
                                        ; -- End function
	.set _ZL8moe_q4_KIfLb1EEvPKvS1_PT_PKiS5_S5_iiiiiii.num_vgpr, 299
	.set _ZL8moe_q4_KIfLb1EEvPKvS1_PT_PKiS5_S5_iiiiiii.num_agpr, 0
	.set _ZL8moe_q4_KIfLb1EEvPKvS1_PT_PKiS5_S5_iiiiiii.numbered_sgpr, 24
	.set _ZL8moe_q4_KIfLb1EEvPKvS1_PT_PKiS5_S5_iiiiiii.num_named_barrier, 0
	.set _ZL8moe_q4_KIfLb1EEvPKvS1_PT_PKiS5_S5_iiiiiii.private_seg_size, 0
	.set _ZL8moe_q4_KIfLb1EEvPKvS1_PT_PKiS5_S5_iiiiiii.uses_vcc, 1
	.set _ZL8moe_q4_KIfLb1EEvPKvS1_PT_PKiS5_S5_iiiiiii.uses_flat_scratch, 0
	.set _ZL8moe_q4_KIfLb1EEvPKvS1_PT_PKiS5_S5_iiiiiii.has_dyn_sized_stack, 0
	.set _ZL8moe_q4_KIfLb1EEvPKvS1_PT_PKiS5_S5_iiiiiii.has_recursion, 0
	.set _ZL8moe_q4_KIfLb1EEvPKvS1_PT_PKiS5_S5_iiiiiii.has_indirect_call, 0
	.section	.AMDGPU.csdata,"",@progbits
; Kernel info:
; codeLenInByte = 15672
; TotalNumSgprs: 26
; NumVgprs: 299
; ScratchSize: 0
; MemoryBound: 0
; FloatMode: 240
; IeeeMode: 1
; LDSByteSize: 20688 bytes/workgroup (compile time only)
; SGPRBlocks: 0
; VGPRBlocks: 18
; NumSGPRsForWavesPerEU: 26
; NumVGPRsForWavesPerEU: 299
; NamedBarCnt: 0
; Occupancy: 3
; WaveLimiterHint : 1
; COMPUTE_PGM_RSRC2:SCRATCH_EN: 0
; COMPUTE_PGM_RSRC2:USER_SGPR: 2
; COMPUTE_PGM_RSRC2:TRAP_HANDLER: 0
; COMPUTE_PGM_RSRC2:TGID_X_EN: 1
; COMPUTE_PGM_RSRC2:TGID_Y_EN: 1
; COMPUTE_PGM_RSRC2:TGID_Z_EN: 0
; COMPUTE_PGM_RSRC2:TIDIG_COMP_CNT: 1
	.section	.text._ZL8moe_q5_KIfLb0EEvPKvS1_PT_PKiS5_S5_iiiiiii,"axG",@progbits,_ZL8moe_q5_KIfLb0EEvPKvS1_PT_PKiS5_S5_iiiiiii,comdat
	.globl	_ZL8moe_q5_KIfLb0EEvPKvS1_PT_PKiS5_S5_iiiiiii ; -- Begin function _ZL8moe_q5_KIfLb0EEvPKvS1_PT_PKiS5_S5_iiiiiii
	.p2align	8
	.type	_ZL8moe_q5_KIfLb0EEvPKvS1_PT_PKiS5_S5_iiiiiii,@function
_ZL8moe_q5_KIfLb0EEvPKvS1_PT_PKiS5_S5_iiiiiii: ; @_ZL8moe_q5_KIfLb0EEvPKvS1_PT_PKiS5_S5_iiiiiii
; %bb.0:
	s_load_b128 s[4:7], s[0:1], 0x18
	s_bfe_u32 s2, ttmp6, 0x40010
	s_bfe_u32 s8, ttmp6, 0x40004
	s_add_co_i32 s2, s2, 1
	s_delay_alu instid0(SALU_CYCLE_1)
	s_mul_i32 s3, ttmp7, s2
	s_getreg_b32 s2, hwreg(HW_REG_IB_STS2, 6, 4)
	s_add_co_i32 s8, s8, s3
	s_cmp_eq_u32 s2, 0
	s_cselect_b32 s3, ttmp7, s8
	s_wait_kmcnt 0x0
	s_load_b32 s12, s[6:7], s3 offset:0x0 scale_offset
	s_wait_kmcnt 0x0
	s_cmp_gt_u32 s12, 0xff
	s_cbranch_scc1 .LBB193_30
; %bb.1:
	s_load_b64 s[6:7], s[0:1], 0x28
	s_lshl_b32 s3, s3, 3
	s_wait_kmcnt 0x0
	s_load_b32 s6, s[6:7], 0x0
	s_wait_kmcnt 0x0
	s_cmp_gt_u32 s3, s6
	s_cbranch_scc1 .LBB193_30
; %bb.2:
	v_bfe_u32 v20, v0, 10, 10
	s_and_b32 s13, ttmp6, 15
	v_and_b32_e32 v3, 0x3ff, v0
	v_dual_mov_b32 v45, 0 :: v_dual_mov_b32 v19, 0
	s_delay_alu instid0(VALU_DEP_3) | instskip(SKIP_1) | instid1(SALU_CYCLE_1)
	v_dual_add_nc_u32 v1, s3, v20 :: v_dual_mov_b32 v43, 0
	s_bfe_u32 s3, ttmp6, 0x4000c
	s_add_co_i32 s3, s3, 1
	global_load_b32 v1, v1, s[4:5] scale_offset
	s_clause 0x2
	s_load_b64 s[10:11], s[0:1], 0x30
	s_load_b64 s[8:9], s[0:1], 0x10
	s_load_b128 s[4:7], s[0:1], 0x3c
	s_mul_i32 s3, ttmp9, s3
	v_mov_b32_e32 v18, v43
	s_add_co_i32 s13, s13, s3
	s_cmp_eq_u32 s2, 0
	s_cselect_b32 s2, ttmp9, s13
	s_mov_b32 s13, 0
	s_lshl_b32 s18, s2, 7
	s_wait_kmcnt 0x0
	s_cmp_lt_i32 s11, 0x100
	s_cbranch_scc1 .LBB193_21
; %bb.3:
	s_load_b128 s[0:3], s[0:1], 0x0
	v_dual_lshlrev_b32 v7, 3, v3 :: v_dual_bitop2_b32 v4, 7, v0 bitop3:0x40
	s_mul_i32 s16, s12, s10
	v_dual_mov_b32 v5, 0 :: v_dual_lshlrev_b32 v19, 2, v3
	v_bfe_u32 v14, v0, 2, 8
	s_delay_alu instid0(VALU_DEP_3)
	v_lshlrev_b32_e32 v8, 2, v4
	s_ashr_i32 s17, s16, 31
	v_mul_u32_u24_e32 v10, 0x41, v20
	v_and_b32_e32 v6, 28, v19
	v_dual_lshlrev_b32 v11, 5, v20 :: v_dual_bitop2_b32 v9, 6, v14 bitop3:0x40
	v_and_or_b32 v12, 0xc0, v7, v8
	v_dual_lshlrev_b32 v24, 3, v20 :: v_dual_bitop2_b32 v25, 4, v19 bitop3:0x40
	v_and_b32_e32 v16, 3, v0
	s_ashr_i32 s14, s11, 31
	s_delay_alu instid0(VALU_DEP_3)
	v_lshl_add_u32 v15, v10, 2, v12
	v_add_nc_u32_e32 v10, v11, v3
	s_wait_kmcnt 0x0
	s_add_nc_u64 s[16:17], s[0:1], s[16:17]
	s_abs_i32 s1, s7
	v_add_nc_u32_e32 v18, 0xfe, v16
	s_cvt_f32_u32 s0, s1
	v_and_b32_e32 v17, 0x7f, v10
	v_lshrrev_b32_e32 v12, 3, v10
	s_lshr_b32 s10, s14, 24
	v_rcp_iflag_f32_e32 v21, s0
	v_and_b32_e32 v18, 0xff, v18
	s_delay_alu instid0(VALU_DEP_2) | instskip(SKIP_3) | instid1(TRANS32_DEP_1)
	v_dual_lshlrev_b32 v23, 2, v17 :: v_dual_bitop2_b32 v22, 12, v12 bitop3:0x40
	v_cmp_gt_u32_e32 vcc_lo, 2, v16
	s_add_co_i32 s10, s11, s10
	s_sub_co_i32 s19, 0, s1
	v_readfirstlane_b32 s0, v21
	s_ashr_i32 s10, s10, 8
	s_wait_loadcnt 0x0
	v_sub_nc_u32_e32 v21, 0, v1
	v_mul_i32_i24_e32 v12, s10, v17
	v_add3_u32 v17, v23, v22, 0x8e40
	s_mul_f32 s0, s0, 0x4f7ffffe
	s_delay_alu instid0(VALU_DEP_3) | instskip(SKIP_1) | instid1(SALU_CYCLE_1)
	v_dual_cndmask_b32 v22, v18, v16, vcc_lo :: v_dual_max_i32 v26, v1, v21
	v_cmp_ne_u32_e32 vcc_lo, 0, v16
	s_cvt_u32_f32 s0, s0
	v_add_nc_u32_e32 v23, v14, v24
	v_add_nc_u16 v14, v14, v24
	s_ashr_i32 s15, s5, 31
	s_mul_i32 s19, s19, s0
	v_add_co_ci_u32_e64 v18, null, 0, v22, vcc_lo
	v_cmp_lt_u32_e32 vcc_lo, 1, v16
	s_mul_hi_u32 s19, s0, s19
	v_bitop3_b32 v24, v23, 64, 0x7f bitop3:0x6c
	s_add_co_i32 s0, s0, s19
	v_dual_cndmask_b32 v21, 0, v25 :: v_dual_lshlrev_b32 v16, 2, v16
	v_mul_hi_u32 v25, v26, s0
	v_lshrrev_b16 v14, 1, v14
	v_lshrrev_b32_e32 v29, 1, v24
	v_and_b32_e32 v27, 0x7f, v23
	v_lshlrev_b32_e32 v23, 1, v22
	v_lshl_or_b32 v32, v24, 4, v16
	v_and_b32_e32 v31, 60, v14
	v_bfe_u32 v2, v0, 5, 5
	v_lshl_or_b32 v22, v27, 4, v16
	v_mul_i32_i24_e32 v14, s10, v27
	v_mul_i32_i24_e32 v16, s10, v24
	v_mul_lo_u32 v30, v25, s1
	v_dual_add_nc_u32 v24, 1, v25 :: v_dual_bitop2_b32 v28, 31, v0 bitop3:0x40
	v_add3_u32 v27, v22, v31, 0x8200
	v_cndmask_b32_e64 v34, 0, 1, vcc_lo
	v_bfe_u32 v37, v0, 3, 7
	s_lshr_b32 s12, s15, 27
	v_mul_i32_i24_e32 v8, s10, v20
	s_add_co_i32 s5, s5, s12
	s_lshl_b32 s12, s10, 3
	v_dual_sub_nc_u32 v22, v26, v30 :: v_dual_bitop2_b32 v29, 60, v29 bitop3:0x40
	v_lshlrev_b32_e32 v28, 2, v28
	v_mad_i32_i24 v10, s10, v20, s12
	v_lshlrev_b32_e32 v38, 4, v20
	s_ashr_i32 s5, s5, 5
	v_subrev_nc_u32_e32 v0, s1, v22
	v_cmp_le_u32_e32 vcc_lo, s1, v22
	v_lshl_or_b32 v28, v20, 7, v28
	v_xor_b32_e32 v26, s7, v1
	v_add3_u32 v29, v32, v29, 0x8200
	v_dual_mov_b32 v31, v5 :: v_dual_add_nc_u32 v36, 0x9050, v19
	v_dual_cndmask_b32 v20, v25, v24 :: v_dual_lshlrev_b32 v25, 2, v2
	v_dual_cndmask_b32 v0, v22, v0, vcc_lo :: v_dual_add_nc_u32 v24, 32, v3
	s_delay_alu instid0(VALU_DEP_2) | instskip(NEXT) | instid1(VALU_DEP_3)
	v_dual_ashrrev_i32 v26, 31, v26 :: v_dual_add_nc_u32 v22, 1, v20
	v_add3_u32 v41, v25, v19, 0x8e40
	s_delay_alu instid0(VALU_DEP_3) | instskip(SKIP_4) | instid1(VALU_DEP_3)
	v_cmp_le_u32_e32 vcc_lo, s1, v0
	v_add_nc_u32_e32 v33, 0x8a40, v28
	v_dual_lshrrev_b32 v39, 3, v24 :: v_dual_add_nc_u32 v28, 64, v3
	v_dual_cndmask_b32 v0, v20, v22 :: v_dual_lshlrev_b32 v43, 2, v24
	v_dual_mov_b32 v35, v5 :: v_dual_add_nc_u32 v22, 0x60, v3
	v_dual_lshrrev_b32 v40, 3, v28 :: v_dual_bitop2_b32 v20, 60, v39 bitop3:0x40
	s_delay_alu instid0(VALU_DEP_3) | instskip(SKIP_1) | instid1(VALU_DEP_3)
	v_xor_b32_e32 v25, v0, v26
	v_dual_add_nc_u32 v0, s12, v10 :: v_dual_lshlrev_b32 v44, 2, v28
	v_dual_lshrrev_b32 v42, 3, v22 :: v_dual_bitop2_b32 v24, 60, v40 bitop3:0x40
	s_delay_alu instid0(VALU_DEP_4) | instskip(NEXT) | instid1(VALU_DEP_3)
	v_add3_u32 v47, v19, v20, 0x8e40
	v_dual_sub_nc_u32 v25, v25, v26 :: v_dual_add_nc_u32 v20, s12, v0
	s_delay_alu instid0(VALU_DEP_3) | instskip(SKIP_2) | instid1(VALU_DEP_4)
	v_and_b32_e32 v26, 60, v42
	v_lshlrev_b32_e32 v45, 2, v22
	v_add3_u32 v49, v19, v24, 0x8e40
	v_mul_lo_u32 v24, v25, s5
	v_add_nc_u32_e32 v22, s12, v20
	v_add3_u32 v53, v19, v26, 0x8e40
	s_movk_i32 s1, 0x2080
	v_dual_add_nc_u32 v90, v36, v38 :: v_dual_lshlrev_b32 v91, 2, v37
	s_delay_alu instid0(VALU_DEP_3) | instskip(SKIP_3) | instid1(VALU_DEP_4)
	v_add_nc_u32_e32 v26, s12, v22
	v_mad_u32_u24 v87, 0x104, v3, s1
	v_cmp_gt_i32_e64 s1, s4, v25
	v_dual_lshlrev_b32 v93, 2, v39 :: v_dual_lshlrev_b32 v95, 2, v40
	v_dual_add_nc_u32 v28, s12, v26 :: v_dual_ashrrev_i32 v25, 31, v24
	v_lshlrev_b32_e32 v30, 2, v18
	v_dual_lshlrev_b32 v97, 2, v42 :: v_dual_lshlrev_b32 v98, 2, v45
	s_delay_alu instid0(VALU_DEP_3) | instskip(SKIP_2) | instid1(VALU_DEP_3)
	v_dual_add_nc_u32 v32, s12, v28 :: v_dual_lshlrev_b32 v34, 2, v34
	v_dual_lshlrev_b32 v94, 2, v43 :: v_dual_lshlrev_b32 v96, 2, v44
	v_dual_mov_b32 v7, v5 :: v_dual_bitop2_b32 v13, 1, v9 bitop3:0x54
	v_dual_add_nc_u32 v36, s12, v32 :: v_dual_lshlrev_b32 v92, 2, v19
	v_mov_b32_e32 v18, v5
	s_mul_i32 s14, s10, s18
	v_cmp_gt_u32_e64 s0, 4, v3
	s_delay_alu instid0(VALU_DEP_3)
	v_add_nc_u32_e32 v38, s12, v36
	s_movk_i32 s19, 0x4100
	s_movk_i32 s20, 0x6180
	v_add_nc_u64_e32 v[50:51], s[2:3], v[6:7]
	s_ashr_i32 s15, s14, 31
	v_add_nc_u32_e32 v40, s12, v38
	v_and_b32_e32 v4, 0x7c, v19
	v_mul_u32_u24_e32 v86, 0x104, v3
	v_mad_u32_u24 v88, 0x104, v3, s19
	v_mad_u32_u24 v89, 0x104, v3, s20
	v_add_nc_u32_e32 v42, s12, v40
	v_add_nc_u32_e32 v99, 0x800, v15
	v_dual_mov_b32 v19, v5 :: v_dual_add_nc_u32 v100, 0x1000, v15
	v_add_nc_u32_e32 v101, 0x1800, v15
	s_delay_alu instid0(VALU_DEP_4) | instskip(SKIP_3) | instid1(VALU_DEP_4)
	v_add_nc_u32_e32 v44, s12, v42
	v_dual_mov_b32 v45, v5 :: v_dual_add_nc_u32 v102, 0x2000, v15
	v_add_nc_u32_e32 v103, 0x2800, v15
	v_dual_mov_b32 v43, v5 :: v_dual_add_nc_u32 v104, 0x3000, v15
	v_add_nc_u32_e32 v46, s12, v44
	v_add_nc_u32_e32 v105, 0x3800, v15
	;; [unrolled: 1-line block ×12, first 2 shown]
	s_mul_u64 s[14:15], s[14:15], 0xb0
	s_and_b32 s19, s0, s1
	s_add_nc_u64 s[14:15], s[16:17], s[14:15]
	s_mov_b32 s12, s13
	s_branch .LBB193_5
.LBB193_4:                              ;   in Loop: Header=BB193_5 Depth=1
	s_add_co_i32 s12, s12, 1
	s_delay_alu instid0(SALU_CYCLE_1)
	s_cmp_eq_u32 s12, s10
	s_cbranch_scc1 .LBB193_21
.LBB193_5:                              ; =>This Loop Header: Depth=1
                                        ;     Child Loop BB193_11 Depth 2
                                        ;     Child Loop BB193_19 Depth 2
	s_mul_u64 s[16:17], s[12:13], 0xb0
	s_delay_alu instid0(SALU_CYCLE_1) | instskip(NEXT) | instid1(SALU_CYCLE_1)
	s_add_nc_u64 s[16:17], s[14:15], s[16:17]
	v_mad_nc_u64_u32 v[54:55], 0xb0, v2, s[16:17]
	v_mad_nc_u64_u32 v[56:57], 0xb0, v14, s[16:17]
	;; [unrolled: 1-line block ×3, first 2 shown]
	s_delay_alu instid0(VALU_DEP_3)
	v_mad_nc_u64_u32 v[60:61], 0xb0, v8, v[54:55]
	v_mad_nc_u64_u32 v[62:63], 0xb0, v10, v[54:55]
	;; [unrolled: 1-line block ×4, first 2 shown]
	v_add_nc_u64_e32 v[70:71], v[56:57], v[30:31]
	v_add_nc_u64_e32 v[56:57], v[56:57], v[34:35]
	;; [unrolled: 1-line block ×3, first 2 shown]
	v_mad_nc_u64_u32 v[68:69], 0xb0, v22, v[54:55]
	v_add_nc_u64_e32 v[58:59], v[58:59], v[34:35]
	v_mad_nc_u64_u32 v[74:75], 0xb0, v26, v[54:55]
	v_mad_nc_u64_u32 v[76:77], 0xb0, v28, v[54:55]
	;; [unrolled: 1-line block ×3, first 2 shown]
	s_clause 0x3
	global_load_b32 v80, v[70:71], off offset:4
	global_load_b32 v81, v[56:57], off offset:4
	;; [unrolled: 1-line block ×4, first 2 shown]
	s_wait_xcnt 0x2
	v_add_nc_u64_e32 v[56:57], v[60:61], v[6:7]
	s_wait_xcnt 0x0
	v_add_nc_u64_e32 v[58:59], v[60:61], v[4:5]
	v_add_nc_u64_e32 v[60:61], v[62:63], v[6:7]
	v_add_nc_u64_e32 v[70:71], v[64:65], v[6:7]
	v_add_nc_u64_e32 v[72:73], v[66:67], v[6:7]
	v_add_nc_u64_e32 v[66:67], v[66:67], v[4:5]
	v_add_nc_u64_e32 v[64:65], v[64:65], v[4:5]
	v_add_nc_u64_e32 v[62:63], v[62:63], v[4:5]
	s_clause 0x7
	global_load_b32 v84, v[56:57], off offset:16
	global_load_b32 v85, v[60:61], off offset:16
	;; [unrolled: 1-line block ×8, first 2 shown]
	s_wait_xcnt 0x7
	v_add_nc_u64_e32 v[56:57], v[68:69], v[6:7]
	s_wait_xcnt 0x5
	v_mad_nc_u64_u32 v[70:71], 0xb0, v36, v[54:55]
	v_add_nc_u64_e32 v[60:61], v[74:75], v[6:7]
	s_wait_xcnt 0x1
	v_add_nc_u64_e32 v[62:63], v[74:75], v[4:5]
	v_add_nc_u64_e32 v[64:65], v[76:77], v[6:7]
	v_mad_nc_u64_u32 v[74:75], 0xb0, v38, v[54:55]
	v_add_nc_u64_e32 v[66:67], v[78:79], v[4:5]
	s_wait_xcnt 0x0
	v_add_nc_u64_e32 v[58:59], v[68:69], v[4:5]
	v_add_nc_u64_e32 v[68:69], v[78:79], v[6:7]
	;; [unrolled: 1-line block ×3, first 2 shown]
	s_clause 0x7
	global_load_b32 v78, v[56:57], off offset:16
	global_load_b32 v79, v[60:61], off offset:16
	;; [unrolled: 1-line block ×8, first 2 shown]
	s_wait_xcnt 0x1
	v_mad_nc_u64_u32 v[62:63], 0xb0, v40, v[54:55]
	v_mad_nc_u64_u32 v[66:67], 0xb0, v42, v[54:55]
	v_add_nc_u64_e32 v[56:57], v[70:71], v[4:5]
	v_mad_nc_u64_u32 v[68:69], 0xb0, v44, v[54:55]
	s_wait_xcnt 0x0
	v_add_nc_u64_e32 v[58:59], v[70:71], v[6:7]
	v_mad_nc_u64_u32 v[70:71], 0xb0, v46, v[54:55]
	v_add_nc_u64_e32 v[60:61], v[74:75], v[4:5]
	v_add_nc_u64_e32 v[64:65], v[74:75], v[6:7]
	v_mad_nc_u64_u32 v[72:73], 0xb0, v48, v[54:55]
	v_mad_nc_u64_u32 v[54:55], 0xb0, v52, v[54:55]
	s_clause 0x3
	global_load_b32 v126, v[56:57], off offset:48
	global_load_b32 v127, v[58:59], off offset:16
	;; [unrolled: 1-line block ×4, first 2 shown]
	s_wait_xcnt 0x3
	v_add_nc_u64_e32 v[56:57], v[62:63], v[4:5]
	s_wait_xcnt 0x2
	v_add_nc_u64_e32 v[58:59], v[62:63], v[6:7]
	;; [unrolled: 2-line block ×3, first 2 shown]
	v_add_nc_u64_e32 v[62:63], v[66:67], v[6:7]
	s_wait_xcnt 0x0
	v_add_nc_u64_e32 v[64:65], v[68:69], v[6:7]
	v_add_nc_u64_e32 v[66:67], v[68:69], v[4:5]
	;; [unrolled: 1-line block ×6, first 2 shown]
	s_clause 0x9
	global_load_b32 v130, v[56:57], off offset:48
	global_load_b32 v131, v[58:59], off offset:16
	;; [unrolled: 1-line block ×10, first 2 shown]
	s_wait_xcnt 0x9
	v_add_nc_u64_e32 v[56:57], v[72:73], v[6:7]
	v_add_nc_u64_e32 v[54:55], v[54:55], v[6:7]
	s_clause 0x1
	global_load_b32 v58, v[56:57], off offset:16
	global_load_b32 v59, v[54:55], off offset:16
	s_wait_xcnt 0x0
	v_mad_nc_u64_u32 v[54:55], 0xb0, v12, s[16:17]
	s_lshl_b32 s16, s12, 8
	s_delay_alu instid0(SALU_CYCLE_1)
	s_cmp_lt_i32 s16, s11
	global_load_b32 v54, v[54:55], off
	s_wait_loadcnt 0x23
	s_wait_xcnt 0x0
	v_dual_ashrrev_i32 v55, v21, v80 :: v_dual_ashrrev_i32 v57, v23, v81
	s_wait_loadcnt 0x21
	v_dual_ashrrev_i32 v56, v21, v82 :: v_dual_ashrrev_i32 v60, v23, v83
	s_delay_alu instid0(VALU_DEP_2) | instskip(SKIP_2) | instid1(VALU_DEP_3)
	v_and_b32_e32 v55, 0xf0f0f0f, v55
	s_wait_loadcnt 0x20
	v_ashrrev_i32_e32 v62, v13, v84
	v_and_b32_e32 v56, 0xf0f0f0f, v56
	s_wait_loadcnt 0x1e
	v_dual_ashrrev_i32 v63, v9, v85 :: v_dual_ashrrev_i32 v67, v9, v114
	v_and_or_b32 v55, 0x30303030, v57, v55
	s_wait_loadcnt 0x19
	v_dual_ashrrev_i32 v57, v9, v84 :: v_dual_lshrrev_b32 v61, 4, v119
	v_dual_lshrrev_b32 v65, 4, v118 :: v_dual_ashrrev_i32 v66, v13, v85
	v_dual_ashrrev_i32 v70, v13, v114 :: v_dual_lshrrev_b32 v69, 4, v117
	v_dual_ashrrev_i32 v71, v9, v115 :: v_dual_lshrrev_b32 v73, 4, v116
	v_ashrrev_i32_e32 v74, v13, v115
	s_wait_loadcnt 0x18
	v_ashrrev_i32_e32 v75, v9, v78
	v_ashrrev_i32_e32 v78, v13, v78
	v_and_or_b32 v56, 0x30303030, v60, v56
	v_and_b32_e32 v60, 0xf0f0f0f, v119
	s_wait_loadcnt 0x11
	v_lshrrev_b32_e32 v77, 4, v125
	v_and_b32_e32 v64, 0xf0f0f0f, v118
	v_and_b32_e32 v68, 0xf0f0f0f, v117
	;; [unrolled: 1-line block ×4, first 2 shown]
	v_dual_ashrrev_i32 v80, v9, v79 :: v_dual_ashrrev_i32 v83, v9, v120
	v_and_b32_e32 v81, 0xf0f0f0f, v124
	v_dual_lshrrev_b32 v82, 4, v124 :: v_dual_ashrrev_i32 v79, v13, v79
	v_ashrrev_i32_e32 v114, v13, v120
	v_and_b32_e32 v84, 0xf0f0f0f, v123
	v_dual_lshrrev_b32 v85, 4, v123 :: v_dual_ashrrev_i32 v115, v9, v122
	v_and_b32_e32 v116, 0xf0f0f0f, v121
	v_dual_lshrrev_b32 v117, 4, v121 :: v_dual_ashrrev_i32 v118, v13, v122
	s_wait_loadcnt 0xf
	v_dual_ashrrev_i32 v119, v9, v127 :: v_dual_lshrrev_b32 v121, 4, v126
	v_and_b32_e32 v120, 0xf0f0f0f, v126
	s_wait_loadcnt 0xe
	v_dual_ashrrev_i32 v122, v13, v127 :: v_dual_lshrrev_b32 v125, 4, v128
	s_wait_loadcnt 0xb
	v_dual_ashrrev_i32 v123, v9, v129 :: v_dual_ashrrev_i32 v127, v9, v131
	v_and_b32_e32 v124, 0xf0f0f0f, v128
	v_dual_ashrrev_i32 v126, v13, v129 :: v_dual_lshrrev_b32 v129, 4, v130
	v_and_b32_e32 v128, 0xf0f0f0f, v130
	v_ashrrev_i32_e32 v130, v13, v131
	s_wait_loadcnt 0x8
	v_dual_ashrrev_i32 v131, v9, v133 :: v_dual_ashrrev_i32 v141, v9, v134
	v_and_b32_e32 v140, 0xf0f0f0f, v132
	v_dual_lshrrev_b32 v132, 4, v132 :: v_dual_ashrrev_i32 v133, v13, v133
	s_wait_loadcnt 0x3
	v_and_b32_e32 v142, 0xf0f0f0f, v139
	v_dual_lshrrev_b32 v139, 4, v139 :: v_dual_ashrrev_i32 v134, v13, v134
	s_wait_loadcnt 0x2
	v_dual_ashrrev_i32 v143, v9, v136 :: v_dual_ashrrev_i32 v145, v9, v58
	v_and_b32_e32 v144, 0xf0f0f0f, v135
	v_dual_lshrrev_b32 v135, 4, v135 :: v_dual_ashrrev_i32 v136, v13, v136
	v_and_b32_e32 v146, 0xf0f0f0f, v138
	v_lshrrev_b32_e32 v138, 4, v138
	v_ashrrev_i32_e32 v58, v13, v58
	s_wait_loadcnt 0x1
	v_dual_ashrrev_i32 v147, v9, v59 :: v_dual_lshlrev_b32 v57, 4, v57
	v_and_b32_e32 v148, 0xf0f0f0f, v137
	v_dual_lshrrev_b32 v137, 4, v137 :: v_dual_ashrrev_i32 v59, v13, v59
	v_lshlrev_b32_e32 v62, 4, v62
	v_and_b32_e32 v61, 0xf0f0f0f, v61
	v_dual_lshlrev_b32 v63, 4, v63 :: v_dual_lshlrev_b32 v66, 4, v66
	v_and_b32_e32 v65, 0xf0f0f0f, v65
	v_dual_lshlrev_b32 v67, 4, v67 :: v_dual_lshlrev_b32 v70, 4, v70
	;; [unrolled: 2-line block ×14, first 2 shown]
	v_and_b32_e32 v138, 0xf0f0f0f, v138
	v_lshlrev_b32_e32 v147, 4, v147
	v_and_b32_e32 v137, 0xf0f0f0f, v137
	v_lshlrev_b32_e32 v59, 4, v59
	v_and_or_b32 v57, 0x10101010, v57, v60
	v_and_or_b32 v60, 0x10101010, v62, v61
	;; [unrolled: 1-line block ×32, first 2 shown]
	ds_store_2addr_b32 v15, v57, v60 offset1:8
	ds_store_2addr_b32 v99, v61, v62 offset0:8 offset1:16
	ds_store_2addr_b32 v100, v63, v64 offset0:16 offset1:24
	;; [unrolled: 1-line block ×15, first 2 shown]
	s_wait_loadcnt 0x0
	ds_store_b32 v17, v54
	ds_store_b32 v27, v55
	;; [unrolled: 1-line block ×3, first 2 shown]
	s_cbranch_scc0 .LBB193_4
; %bb.6:                                ;   in Loop: Header=BB193_5 Depth=1
	s_lshl_b32 s17, s12, 3
	s_delay_alu instid0(SALU_CYCLE_1) | instskip(NEXT) | instid1(VALU_DEP_1)
	v_add_nc_u32_e32 v54, s17, v37
	v_cmp_gt_i32_e32 vcc_lo, s5, v54
	s_and_b32 s21, s1, vcc_lo
	s_delay_alu instid0(SALU_CYCLE_1)
	s_and_saveexec_b32 s20, s21
	s_cbranch_execz .LBB193_8
; %bb.7:                                ;   in Loop: Header=BB193_5 Depth=1
	v_add_nc_u32_e32 v54, v24, v54
	s_delay_alu instid0(VALU_DEP_1)
	v_mad_nc_i64_i32 v[54:55], v54, 36, v[50:51]
	global_load_b32 v54, v[54:55], off offset:4
	s_wait_loadcnt 0x0
	ds_store_b32 v33, v54
.LBB193_8:                              ;   in Loop: Header=BB193_5 Depth=1
	s_or_b32 exec_lo, exec_lo, s20
	v_add_nc_u32_e32 v54, s17, v3
	s_delay_alu instid0(VALU_DEP_1) | instskip(SKIP_1) | instid1(SALU_CYCLE_1)
	v_cmp_gt_i32_e32 vcc_lo, s5, v54
	s_and_b32 s21, s19, vcc_lo
	s_and_saveexec_b32 s20, s21
	s_cbranch_execz .LBB193_10
; %bb.9:                                ;   in Loop: Header=BB193_5 Depth=1
	v_add_nc_u32_e32 v55, v24, v54
	s_delay_alu instid0(VALU_DEP_1)
	v_mad_nc_i64_i32 v[56:57], v55, 36, s[2:3]
	global_load_b32 v55, v[56:57], off
	s_wait_loadcnt 0x0
	ds_store_b32 v90, v55
.LBB193_10:                             ;   in Loop: Header=BB193_5 Depth=1
	s_or_b32 exec_lo, exec_lo, s20
	s_wait_dscnt 0x0
	s_barrier_signal -1
	s_barrier_wait -1
	ds_load_b32 v55, v47 offset:128
	ds_load_b32 v56, v41
	ds_load_b32 v58, v49 offset:256
	ds_load_b32 v62, v53 offset:384
	s_mov_b32 s21, 0
	s_mov_b32 s20, -1
	s_wait_dscnt 0x2
	v_dual_lshrrev_b32 v59, 16, v55 :: v_dual_lshrrev_b32 v60, 16, v56
	v_cvt_f32_f16_e32 v57, v55
	s_wait_dscnt 0x1
	v_lshrrev_b32_e32 v55, 16, v58
	s_wait_dscnt 0x0
	v_lshrrev_b32_e32 v63, 16, v62
	v_cvt_f32_f16_e32 v56, v56
	v_cvt_f32_f16_e32 v58, v58
	;; [unrolled: 1-line block ×7, first 2 shown]
.LBB193_11:                             ;   Parent Loop BB193_5 Depth=1
                                        ; =>  This Inner Loop Header: Depth=2
	s_lshr_b32 s22, s21, 2
	v_lshl_or_b32 v55, s21, 1, v11
	s_lshl_b32 s21, s21, 3
	s_add_co_i32 s22, s22, 0x8200
	v_dual_add_nc_u32 v114, s21, v86 :: v_dual_add_nc_u32 v115, s21, v87
	v_dual_add_nc_u32 v116, s21, v88 :: v_dual_add_nc_u32 v117, s21, v89
	v_add3_u32 v122, s22, v91, v92
	v_add3_u32 v118, s22, v93, v94
	;; [unrolled: 1-line block ×4, first 2 shown]
	v_dual_lshlrev_b32 v126, 2, v55 :: v_dual_lshrrev_b32 v55, 1, v55
	ds_load_2addr_b32 v[74:75], v114 offset1:1
	ds_load_2addr_b32 v[70:71], v114 offset0:2 offset1:3
	ds_load_2addr_b32 v[66:67], v114 offset0:4 offset1:5
	;; [unrolled: 1-line block ×4, first 2 shown]
	ds_load_2addr_b32 v[78:79], v115 offset1:1
	ds_load_2addr_b32 v[72:73], v115 offset0:2 offset1:3
	ds_load_2addr_b32 v[68:69], v115 offset0:4 offset1:5
	;; [unrolled: 1-line block ×9, first 2 shown]
	ds_load_2addr_b32 v[138:139], v117 offset1:1
	ds_load_2addr_b32 v[140:141], v117 offset0:2 offset1:3
	ds_load_2addr_b32 v[142:143], v117 offset0:4 offset1:5
	;; [unrolled: 1-line block ×7, first 2 shown]
	ds_load_2addr_b32 v[154:155], v116 offset1:1
	ds_load_2addr_b32 v[156:157], v115 offset0:14 offset1:15
	ds_load_2addr_b32 v[158:159], v115 offset0:8 offset1:9
	;; [unrolled: 1-line block ×8, first 2 shown]
	ds_load_u16 v174, v118
	ds_load_u16 v175, v118 offset:8
	ds_load_u16 v176, v120
	ds_load_u16 v177, v120 offset:8
	ds_load_u16 v178, v119 offset:8
	ds_load_u16 v179, v119
	ds_load_b128 v[114:117], v126 offset:35392
	ds_load_b128 v[118:121], v126 offset:35408
	ds_load_b64 v[172:173], v55 offset:36944
	ds_load_u16 v55, v122
	ds_load_u16 v180, v122 offset:8
	ds_load_b128 v[122:125], v126 offset:35424
	ds_load_b128 v[126:129], v126 offset:35440
	s_wait_dscnt 0x1b
	v_perm_b32 v189, v143, v142, 0xc0c0602
	s_wait_dscnt 0x1a
	v_perm_b32 v190, v145, v144, 0x6020c0c
	v_perm_b32 v191, v143, v142, 0xc0c0400
	;; [unrolled: 1-line block ×9, first 2 shown]
	s_wait_dscnt 0x9
	v_cvt_f32_ubyte0_e32 v143, v177
	v_cvt_f32_ubyte1_e32 v145, v177
	v_perm_b32 v195, v146, v147, 0xc0c0501
	s_wait_dscnt 0x6
	v_dot4_i32_iu8 v177, v114, v74, 0 neg_lo:[1,1,0]
	v_dot4_i32_iu8 v78, v114, v78, 0 neg_lo:[1,1,0]
	;; [unrolled: 1-line block ×3, first 2 shown]
	v_perm_b32 v206, v114, v115, 0xc0c0501
	v_perm_b32 v208, v114, v115, 0xc0c0703
	s_wait_dscnt 0x1
	v_dot4_i32_iu8 v213, v122, v76, 0 neg_lo:[1,1,0]
	v_perm_b32 v210, v114, v115, 0xc0c0400
	v_perm_b32 v114, v114, v115, 0xc0c0602
	v_dual_lshrrev_b32 v221, 16, v172 :: v_dual_lshrrev_b32 v225, 16, v173
	v_dot4_i32_iu8 v177, v115, v75, v177 neg_lo:[1,1,0]
	v_dot4_i32_iu8 v78, v115, v79, v78 neg_lo:[1,1,0]
	;; [unrolled: 1-line block ×4, first 2 shown]
	v_perm_b32 v196, v146, v147, 0xc0c0703
	v_perm_b32 v197, v146, v147, 0xc0c0400
	;; [unrolled: 1-line block ×7, first 2 shown]
	v_dot4_i32_iu8 v158, v122, v158, 0 neg_lo:[1,1,0]
	v_dot4_i32_iu8 v132, v122, v132, 0 neg_lo:[1,1,0]
	v_perm_b32 v214, v122, v123, 0xc0c0501
	v_perm_b32 v216, v122, v123, 0xc0c0703
	;; [unrolled: 1-line block ×5, first 2 shown]
	v_cvt_f32_f16_e64 v75, v221
	v_dot4_i32_iu8 v78, v116, v72, v78 neg_lo:[1,1,0]
	v_dot4_i32_iu8 v79, v116, v130, v79 neg_lo:[1,1,0]
	;; [unrolled: 1-line block ×3, first 2 shown]
	v_perm_b32 v181, v138, v139, 0xc0c0501
	v_perm_b32 v182, v141, v140, 0x5010c0c
	;; [unrolled: 1-line block ×6, first 2 shown]
	v_cvt_f32_ubyte0_e32 v139, v175
	v_perm_b32 v207, v117, v116, 0x5010c0c
	v_perm_b32 v209, v117, v116, 0x7030c0c
	;; [unrolled: 1-line block ×3, first 2 shown]
	v_cvt_f32_ubyte0_e32 v138, v180
	v_or_b32_e32 v186, v188, v186
	v_or_b32_e32 v146, v148, v146
	v_dot4_i32_iu8 v154, v123, v159, v158 neg_lo:[1,1,0]
	v_dot4_i32_iu8 v123, v123, v133, v132 neg_lo:[1,1,0]
	v_cvt_f32_f16_e64 v77, v225
	v_or_b32_e32 v122, v220, v122
	v_dot4_i32_iu8 v177, v116, v70, v177 neg_lo:[1,1,0]
	v_mov_b32_e32 v70, v75
	v_dot4_i32_iu8 v73, v117, v73, v78 neg_lo:[1,1,0]
	v_dot4_i32_iu8 v78, v117, v131, v79 neg_lo:[1,1,0]
	;; [unrolled: 1-line block ×3, first 2 shown]
	v_cvt_f32_ubyte1_e32 v141, v175
	v_perm_b32 v212, v117, v116, 0x6020c0c
	v_perm_b32 v215, v125, v124, 0x5010c0c
	;; [unrolled: 1-line block ×3, first 2 shown]
	v_cvt_f32_ubyte1_e32 v140, v180
	v_perm_b32 v180, v119, v118, 0xc0c0400
	v_perm_b32 v224, v121, v120, 0x4000c0c
	v_cvt_f32_f16_e64 v74, v172
	v_cvt_f32_f16_e64 v76, v173
	v_perm_b32 v172, v119, v118, 0xc0c0703
	v_perm_b32 v173, v121, v120, 0x7030c0c
	;; [unrolled: 1-line block ×4, first 2 shown]
	v_dual_mov_b32 v72, v77 :: v_dual_bitop2_b32 v188, v190, v189 bitop3:0x54
	v_or_b32_e32 v181, v182, v181
	v_or_b32_e32 v182, v184, v183
	;; [unrolled: 1-line block ×6, first 2 shown]
	v_dot4_i32_iu8 v116, v124, v160, v154 neg_lo:[1,1,0]
	v_dot4_i32_iu8 v123, v124, v134, v123 neg_lo:[1,1,0]
	;; [unrolled: 1-line block ×4, first 2 shown]
	v_pk_fma_f32 v[70:71], v[70:71], v[138:139], 0 op_sel_hi:[0,1,0]
	v_dot4_i32_iu8 v68, v118, v68, v73 neg_lo:[1,1,0]
	s_wait_dscnt 0x0
	v_dot4_i32_iu8 v73, v126, v168, v79 neg_lo:[1,1,0]
	v_perm_b32 v149, v151, v150, 0xc0c0602
	v_perm_b32 v200, v151, v150, 0xc0c0400
	;; [unrolled: 1-line block ×18, first 2 shown]
	v_or_b32_e32 v184, v193, v191
	v_or_b32_e32 v185, v194, v192
	;; [unrolled: 1-line block ×11, first 2 shown]
	v_dot4_i32_iu8 v124, v183, v133, 0 neg_lo:[1,1,0]
	v_dot4_i32_iu8 v130, v182, v159, 0 neg_lo:[1,1,0]
	;; [unrolled: 1-line block ×6, first 2 shown]
	v_pk_fma_f32 v[70:71], v[72:73], v[140:141], v[70:71] op_sel_hi:[0,1,1]
	v_dot4_i32_iu8 v72, v118, v82, v78 neg_lo:[1,1,0]
	v_perm_b32 v204, v137, v137, 0x7060100
	v_perm_b32 v228, v127, v126, 0xc0c0602
	;; [unrolled: 1-line block ×5, first 2 shown]
	v_or_b32_e32 v187, v199, v197
	v_or_b32_e32 v148, v151, v149
	v_or_b32_e32 v151, v203, v201
	v_or_b32_e32 v150, v152, v150
	v_or_b32_e32 v132, v223, v222
	v_or_b32_e32 v190, v219, v218
	v_or_b32_e32 v193, v233, v232
	v_or_b32_e32 v194, v235, v234
	v_dot4_i32_iu8 v114, v186, v114, 0 neg_lo:[1,1,0]
	v_dot4_i32_iu8 v134, v147, v189, 0 neg_lo:[1,1,0]
	v_dot4_i32_iu8 v144, v144, v180, 0 neg_lo:[1,1,0]
	v_dot4_i32_iu8 v117, v184, v155, v124 neg_lo:[1,1,0]
	v_dot4_i32_iu8 v123, v185, v172, v130 neg_lo:[1,1,0]
	v_dot4_i32_iu8 v124, v142, v173, v133 neg_lo:[1,1,0]
	v_dot4_i32_iu8 v78, v126, v136, v116 neg_lo:[1,1,0]
	v_dot4_i32_iu8 v66, v119, v67, v66 neg_lo:[1,1,0]
	v_dot4_i32_iu8 v67, v119, v69, v68 neg_lo:[1,1,0]
	v_dot4_i32_iu8 v68, v127, v169, v73 neg_lo:[1,1,0]
	v_dot4_i32_iu8 v72, v119, v171, v72 neg_lo:[1,1,0]
	v_or_b32_e32 v149, v202, v200
	v_or_b32_e32 v191, v229, v228
	;; [unrolled: 1-line block ×3, first 2 shown]
	v_dot4_i32_iu8 v147, v187, v190, 0 neg_lo:[1,1,0]
	v_dot4_i32_iu8 v114, v188, v132, v114 neg_lo:[1,1,0]
	;; [unrolled: 1-line block ×5, first 2 shown]
	v_add_nc_u32_e32 v82, v124, v123
	v_dot4_i32_iu8 v73, v127, v204, v78 neg_lo:[1,1,0]
	v_dot4_i32_iu8 v64, v120, v64, v66 neg_lo:[1,1,0]
	;; [unrolled: 1-line block ×5, first 2 shown]
	v_lshrrev_b16 v175, 8, v174
	v_lshrrev_b16 v205, 8, v179
	v_and_b32_e32 v179, 0xff, v179
	v_cvt_f32_ubyte0_e32 v83, v178
	v_cvt_f32_ubyte1_e32 v137, v178
	v_lshrrev_b16 v178, 8, v176
	v_and_b32_e32 v176, 0xff, v176
	v_dot4_i32_iu8 v122, v148, v191, v122 neg_lo:[1,1,0]
	v_dot4_i32_iu8 v125, v149, v192, v147 neg_lo:[1,1,0]
	v_add_nc_u32_e32 v115, v131, v130
	v_dot4_i32_iu8 v69, v127, v163, v79 neg_lo:[1,1,0]
	v_add3_u32 v78, v117, v114, v82
	v_dot4_i32_iu8 v72, v128, v84, v73 neg_lo:[1,1,0]
	v_dot4_i32_iu8 v68, v121, v81, v68 neg_lo:[1,1,0]
	v_and_b32_e32 v174, 0xff, v174
	v_lshrrev_b16 v236, 8, v55
	v_and_b32_e32 v55, 0xff, v55
	v_and_b32_e32 v152, 0xffff, v175
	;; [unrolled: 1-line block ×4, first 2 shown]
	v_add3_u32 v79, v125, v122, v115
	v_dot4_i32_iu8 v69, v128, v156, v69 neg_lo:[1,1,0]
	v_mul_lo_u32 v73, v78, v176
	v_dot4_i32_iu8 v66, v121, v165, v66 neg_lo:[1,1,0]
	v_dot4_i32_iu8 v64, v121, v65, v64 neg_lo:[1,1,0]
	;; [unrolled: 1-line block ×4, first 2 shown]
	v_mul_lo_u32 v68, v68, v179
	v_and_b32_e32 v195, 0xffff, v236
	v_mul_lo_u32 v78, v79, v178
	v_dot4_i32_iu8 v69, v129, v153, v69 neg_lo:[1,1,0]
	v_mul_lo_u32 v66, v66, v174
	v_mul_lo_u32 v55, v64, v55
	;; [unrolled: 1-line block ×5, first 2 shown]
	v_cvt_f32_i32_e32 v142, v73
	v_pk_mul_f32 v[70:71], v[70:71], v[60:61]
	v_cvt_f32_i32_e32 v82, v68
	s_mov_b32 s21, 8
	v_cvt_f32_i32_e32 v144, v78
	v_pk_fma_f32 v[64:65], v[142:143], v[74:75], 0 op_sel_hi:[1,1,0]
	v_cvt_f32_i32_e32 v67, v66
	v_cvt_f32_i32_e32 v66, v55
	;; [unrolled: 1-line block ×3, first 2 shown]
	v_pk_fma_f32 v[68:69], v[82:83], v[74:75], 0 op_sel_hi:[1,1,0]
	v_cvt_f32_i32_e32 v73, v80
	v_cvt_f32_i32_e32 v72, v79
	v_pk_fma_f32 v[64:65], v[144:145], v[76:77], v[64:65]
	v_pk_fma_f32 v[66:67], v[74:75], v[66:67], 0 op_sel_hi:[0,1,0]
	v_pk_fma_f32 v[68:69], v[136:137], v[76:77], v[68:69]
	s_and_b32 vcc_lo, exec_lo, s20
	s_mov_b32 s20, 0
	v_pk_mul_f32 v[64:65], v[64:65], v[62:63]
	v_pk_fma_f32 v[66:67], v[76:77], v[72:73], v[66:67] op_sel_hi:[0,1,1]
	v_pk_mul_f32 v[68:69], v[68:69], v[58:59]
	s_delay_alu instid0(VALU_DEP_3) | instskip(NEXT) | instid1(VALU_DEP_3)
	v_sub_f32_e32 v55, v64, v65
	v_pk_fma_f32 v[64:65], v[66:67], v[56:57], v[70:71] neg_lo:[0,0,1] neg_hi:[0,0,1]
	s_delay_alu instid0(VALU_DEP_2) | instskip(NEXT) | instid1(VALU_DEP_2)
	v_dual_sub_f32 v66, v68, v69 :: v_dual_add_f32 v43, v43, v55
	v_pk_add_f32 v[18:19], v[18:19], v[64:65]
	s_delay_alu instid0(VALU_DEP_2)
	v_add_f32_e32 v45, v45, v66
	s_cbranch_vccnz .LBB193_11
; %bb.12:                               ;   in Loop: Header=BB193_5 Depth=1
	s_bitset1_b32 s16, 7
	s_delay_alu instid0(SALU_CYCLE_1)
	s_cmp_ge_i32 s16, s11
	s_barrier_signal -1
	s_barrier_wait -1
	s_cbranch_scc1 .LBB193_4
; %bb.13:                               ;   in Loop: Header=BB193_5 Depth=1
	v_add_nc_u32_e32 v55, s17, v39
	s_delay_alu instid0(VALU_DEP_1) | instskip(SKIP_1) | instid1(SALU_CYCLE_1)
	v_cmp_gt_i32_e32 vcc_lo, s5, v55
	s_and_b32 s17, s1, vcc_lo
	s_and_saveexec_b32 s16, s17
	s_cbranch_execz .LBB193_15
; %bb.14:                               ;   in Loop: Header=BB193_5 Depth=1
	v_add_nc_u32_e32 v55, v24, v55
	s_delay_alu instid0(VALU_DEP_1)
	v_mad_nc_i64_i32 v[56:57], v55, 36, v[50:51]
	global_load_b32 v55, v[56:57], off offset:4
	s_wait_loadcnt 0x0
	ds_store_b32 v33, v55
.LBB193_15:                             ;   in Loop: Header=BB193_5 Depth=1
	s_or_b32 exec_lo, exec_lo, s16
	s_and_saveexec_b32 s16, s0
	s_cbranch_execz .LBB193_18
; %bb.16:                               ;   in Loop: Header=BB193_5 Depth=1
	v_or_b32_e32 v55, 4, v54
	s_delay_alu instid0(VALU_DEP_1) | instskip(SKIP_1) | instid1(SALU_CYCLE_1)
	v_cmp_gt_i32_e32 vcc_lo, s5, v55
	s_and_b32 s17, s1, vcc_lo
	s_and_b32 exec_lo, exec_lo, s17
	s_cbranch_execz .LBB193_18
; %bb.17:                               ;   in Loop: Header=BB193_5 Depth=1
	v_ashrrev_i32_e32 v55, 31, v54
	s_delay_alu instid0(VALU_DEP_1) | instskip(NEXT) | instid1(VALU_DEP_1)
	v_add_nc_u64_e32 v[54:55], v[24:25], v[54:55]
	v_mad_nc_u64_u32 v[56:57], v54, 36, s[2:3]
	s_delay_alu instid0(VALU_DEP_1)
	v_mad_i32_i24 v57, v55, 36, v57
	global_load_b32 v54, v[56:57], off offset:144
	s_wait_loadcnt 0x0
	ds_store_b32 v90, v54
.LBB193_18:                             ;   in Loop: Header=BB193_5 Depth=1
	s_or_b32 exec_lo, exec_lo, s16
	s_wait_dscnt 0x0
	s_barrier_signal -1
	s_barrier_wait -1
	ds_load_b32 v54, v47 offset:128
	ds_load_b32 v56, v41
	ds_load_b32 v57, v49 offset:256
	ds_load_b32 v60, v53 offset:384
	s_mov_b32 s16, 16
	s_wait_dscnt 0x2
	v_dual_lshrrev_b32 v58, 16, v54 :: v_dual_lshrrev_b32 v61, 16, v56
	s_wait_dscnt 0x0
	v_dual_lshrrev_b32 v62, 16, v57 :: v_dual_lshrrev_b32 v63, 16, v60
	v_cvt_f32_f16_e32 v55, v54
	v_cvt_f32_f16_e32 v54, v56
	;; [unrolled: 1-line block ×8, first 2 shown]
.LBB193_19:                             ;   Parent Loop BB193_5 Depth=1
                                        ; =>  This Inner Loop Header: Depth=2
	s_lshl_b32 s20, s16, 1
	s_lshr_b32 s17, s16, 2
	s_lshl_b32 s21, s16, 3
	v_and_or_b32 v62, s20, 16, v11
	s_and_b32 s17, s17, 0x3ffffffe
	v_dual_add_nc_u32 v63, s21, v86 :: v_dual_add_nc_u32 v64, s21, v87
	s_add_co_i32 s17, s17, 0x8200
	v_dual_add_nc_u32 v65, s21, v88 :: v_dual_add_nc_u32 v66, s21, v89
	v_add3_u32 v67, s17, v91, v92
	v_add3_u32 v68, s17, v93, v94
	;; [unrolled: 1-line block ×4, first 2 shown]
	v_dual_lshlrev_b32 v74, 2, v62 :: v_dual_lshrrev_b32 v170, 1, v62
	ds_load_2addr_b32 v[78:79], v63 offset1:1
	ds_load_2addr_b32 v[80:81], v63 offset0:2 offset1:3
	ds_load_2addr_b32 v[82:83], v63 offset0:4 offset1:5
	ds_load_2addr_b32 v[84:85], v63 offset0:6 offset1:7
	ds_load_2addr_b32 v[114:115], v63 offset0:8 offset1:9
	ds_load_2addr_b32 v[116:117], v63 offset0:14 offset1:15
	ds_load_2addr_b32 v[118:119], v64 offset1:1
	ds_load_2addr_b32 v[120:121], v64 offset0:2 offset1:3
	ds_load_2addr_b32 v[122:123], v64 offset0:4 offset1:5
	ds_load_2addr_b32 v[124:125], v64 offset0:6 offset1:7
	ds_load_2addr_b32 v[126:127], v64 offset0:8 offset1:9
	ds_load_2addr_b32 v[128:129], v64 offset0:10 offset1:11
	ds_load_2addr_b32 v[130:131], v64 offset0:12 offset1:13
	ds_load_2addr_b32 v[132:133], v64 offset0:14 offset1:15
	ds_load_2addr_b32 v[134:135], v65 offset1:1
	ds_load_2addr_b32 v[136:137], v65 offset0:2 offset1:3
	ds_load_2addr_b32 v[138:139], v65 offset0:4 offset1:5
	ds_load_2addr_b32 v[140:141], v65 offset0:6 offset1:7
	ds_load_2addr_b32 v[142:143], v65 offset0:8 offset1:9
	ds_load_2addr_b32 v[144:145], v65 offset0:10 offset1:11
	ds_load_2addr_b32 v[146:147], v65 offset0:12 offset1:13
	ds_load_2addr_b32 v[148:149], v65 offset0:14 offset1:15
	ds_load_2addr_b32 v[150:151], v66 offset1:1
	ds_load_2addr_b32 v[152:153], v66 offset0:2 offset1:3
	ds_load_2addr_b32 v[154:155], v66 offset0:4 offset1:5
	ds_load_2addr_b32 v[156:157], v66 offset0:6 offset1:7
	ds_load_2addr_b32 v[158:159], v66 offset0:8 offset1:9
	;; [unrolled: 1-line block ×7, first 2 shown]
	ds_load_u16 v172, v68
	ds_load_u16 v173, v68 offset:8
	ds_load_u16 v174, v69
	ds_load_u16 v175, v69 offset:8
	;; [unrolled: 2-line block ×4, first 2 shown]
	ds_load_b128 v[62:65], v74 offset:35392
	ds_load_b128 v[66:69], v74 offset:35408
	;; [unrolled: 1-line block ×4, first 2 shown]
	ds_load_b64 v[170:171], v170 offset:36944
	s_wait_dscnt 0x1f
	v_perm_b32 v180, v133, v133, 0x7060100
	v_perm_b32 v181, v117, v117, 0x7060100
	s_wait_dscnt 0x1c
	v_perm_b32 v182, v139, v139, 0x7060100
	s_wait_dscnt 0x18
	;; [unrolled: 2-line block ×4, first 2 shown]
	v_perm_b32 v185, v153, v152, 0x5010c0c
	v_perm_b32 v186, v150, v151, 0xc0c0703
	v_perm_b32 v187, v153, v152, 0x7030c0c
	v_perm_b32 v188, v150, v151, 0xc0c0400
	v_perm_b32 v189, v153, v152, 0x4000c0c
	v_perm_b32 v190, v150, v151, 0xc0c0602
	v_perm_b32 v191, v153, v152, 0x6020c0c
	s_wait_dscnt 0x14
	v_perm_b32 v192, v155, v154, 0xc0c0602
	s_wait_dscnt 0x13
	v_perm_b32 v193, v157, v156, 0x6020c0c
	v_perm_b32 v194, v155, v154, 0xc0c0400
	v_perm_b32 v195, v157, v156, 0x4000c0c
	v_perm_b32 v196, v155, v154, 0xc0c0703
	v_perm_b32 v197, v157, v156, 0x7030c0c
	v_perm_b32 v154, v155, v154, 0xc0c0501
	v_perm_b32 v155, v157, v156, 0x5010c0c
	s_wait_dscnt 0x12
	v_perm_b32 v156, v158, v159, 0xc0c0501
	s_wait_dscnt 0x11
	;; [unrolled: 10-line block ×3, first 2 shown]
	v_perm_b32 v161, v165, v164, 0x6020c0c
	v_perm_b32 v202, v163, v162, 0xc0c0400
	;; [unrolled: 1-line block ×7, first 2 shown]
	s_wait_dscnt 0xc
	v_lshrrev_b16 v164, 8, v172
	v_and_b32_e32 v165, 0xff, v172
	s_wait_dscnt 0xb
	v_cvt_f32_ubyte0_e32 v151, v173
	v_cvt_f32_ubyte1_e32 v153, v173
	s_wait_dscnt 0xa
	v_lshrrev_b16 v172, 8, v174
	v_and_b32_e32 v173, 0xff, v174
	s_wait_dscnt 0x9
	v_cvt_f32_ubyte0_e32 v117, v175
	v_cvt_f32_ubyte1_e32 v133, v175
	;; [unrolled: 6-line block ×4, first 2 shown]
	s_wait_dscnt 0x4
	v_dot4_i32_iu8 v178, v62, v78, 0 neg_lo:[1,1,0]
	v_dot4_i32_iu8 v118, v62, v118, 0 neg_lo:[1,1,0]
	s_wait_dscnt 0x2
	v_dot4_i32_iu8 v179, v70, v114, 0 neg_lo:[1,1,0]
	s_wait_dscnt 0x0
	v_cvt_f32_f16_e64 v78, v170
	v_lshrrev_b32_e32 v170, 16, v170
	v_cvt_f32_f16_e64 v114, v171
	v_lshrrev_b32_e32 v171, 16, v171
	v_dot4_i32_iu8 v134, v62, v134, 0 neg_lo:[1,1,0]
	v_dot4_i32_iu8 v126, v70, v126, 0 neg_lo:[1,1,0]
	;; [unrolled: 1-line block ×3, first 2 shown]
	v_or_b32_e32 v186, v187, v186
	v_perm_b32 v187, v62, v63, 0xc0c0703
	v_dot4_i32_iu8 v178, v63, v79, v178 neg_lo:[1,1,0]
	v_dot4_i32_iu8 v118, v63, v119, v118 neg_lo:[1,1,0]
	;; [unrolled: 1-line block ×3, first 2 shown]
	v_cvt_f32_f16_e64 v79, v170
	v_or_b32_e32 v184, v185, v184
	v_perm_b32 v185, v62, v63, 0xc0c0501
	v_cvt_f32_f16_e64 v115, v171
	v_or_b32_e32 v188, v189, v188
	v_perm_b32 v189, v62, v63, 0xc0c0400
	v_perm_b32 v62, v62, v63, 0xc0c0602
	v_dot4_i32_iu8 v63, v63, v135, v134 neg_lo:[1,1,0]
	v_perm_b32 v206, v65, v64, 0x5010c0c
	v_perm_b32 v207, v65, v64, 0x7030c0c
	v_perm_b32 v208, v65, v64, 0x4000c0c
	v_or_b32_e32 v190, v191, v190
	v_perm_b32 v191, v65, v64, 0x6020c0c
	v_or_b32_e32 v156, v157, v156
	v_perm_b32 v157, v70, v71, 0xc0c0501
	v_perm_b32 v213, v73, v72, 0x5010c0c
	v_or_b32_e32 v198, v199, v198
	v_perm_b32 v199, v70, v71, 0xc0c0703
	;; [unrolled: 3-line block ×3, first 2 shown]
	v_perm_b32 v70, v70, v71, 0xc0c0602
	v_dot4_i32_iu8 v126, v71, v127, v126 neg_lo:[1,1,0]
	v_dot4_i32_iu8 v71, v71, v143, v142 neg_lo:[1,1,0]
	;; [unrolled: 1-line block ×5, first 2 shown]
	v_or_b32_e32 v192, v193, v192
	v_perm_b32 v193, v67, v66, 0xc0c0602
	v_perm_b32 v209, v69, v68, 0x6020c0c
	v_or_b32_e32 v194, v195, v194
	v_perm_b32 v195, v67, v66, 0xc0c0400
	v_perm_b32 v210, v69, v68, 0x4000c0c
	;; [unrolled: 3-line block ×4, first 2 shown]
	v_perm_b32 v215, v73, v72, 0x4000c0c
	v_or_b32_e32 v158, v159, v158
	v_perm_b32 v159, v73, v72, 0x6020c0c
	v_or_b32_e32 v204, v205, v204
	v_perm_b32 v205, v75, v74, 0xc0c0703
	v_perm_b32 v218, v77, v76, 0x7030c0c
	v_or_b32_e32 v162, v163, v162
	v_perm_b32 v163, v75, v74, 0xc0c0501
	v_perm_b32 v219, v77, v76, 0x5010c0c
	v_or_b32_e32 v127, v206, v185
	v_or_b32_e32 v134, v207, v187
	;; [unrolled: 1-line block ×6, first 2 shown]
	v_dot4_i32_iu8 v71, v72, v144, v71 neg_lo:[1,1,0]
	v_dot4_i32_iu8 v64, v65, v137, v64 neg_lo:[1,1,0]
	v_or_b32_e32 v160, v161, v160
	v_perm_b32 v161, v75, v74, 0xc0c0602
	v_perm_b32 v216, v77, v76, 0x6020c0c
	v_or_b32_e32 v202, v203, v202
	v_perm_b32 v203, v75, v74, 0xc0c0400
	v_perm_b32 v217, v77, v76, 0x4000c0c
	v_or_b32_e32 v143, v209, v193
	v_or_b32_e32 v170, v210, v195
	;; [unrolled: 1-line block ×8, first 2 shown]
	v_dot4_i32_iu8 v119, v72, v166, v119 neg_lo:[1,1,0]
	v_dot4_i32_iu8 v120, v72, v128, v126 neg_lo:[1,1,0]
	v_dual_mov_b32 v62, v79 :: v_dual_mov_b32 v70, v115
	v_dot4_i32_iu8 v72, v184, v127, 0 neg_lo:[1,1,0]
	v_dot4_i32_iu8 v126, v186, v134, 0 neg_lo:[1,1,0]
	;; [unrolled: 1-line block ×10, first 2 shown]
	v_or_b32_e32 v161, v216, v161
	v_or_b32_e32 v187, v217, v203
	v_dot4_i32_iu8 v136, v200, v185, 0 neg_lo:[1,1,0]
	v_dot4_i32_iu8 v142, v158, v159, 0 neg_lo:[1,1,0]
	v_dot4_i32_iu8 v118, v73, v167, v119 neg_lo:[1,1,0]
	v_dot4_i32_iu8 v119, v73, v129, v120 neg_lo:[1,1,0]
	v_pk_fma_f32 v[62:63], v[62:63], v[150:151], 0 op_sel_hi:[0,1,0]
	v_dot4_i32_iu8 v71, v192, v143, v128 neg_lo:[1,1,0]
	v_dot4_i32_iu8 v73, v194, v170, v127 neg_lo:[1,1,0]
	;; [unrolled: 1-line block ×14, first 2 shown]
	v_pk_fma_f32 v[62:63], v[70:71], v[152:153], v[62:63] op_sel_hi:[0,1,1]
	v_add_nc_u32_e32 v66, v72, v120
	v_add_nc_u32_e32 v70, v128, v127
	v_dot4_i32_iu8 v72, v67, v83, v80 neg_lo:[1,1,0]
	v_dot4_i32_iu8 v74, v67, v123, v81 neg_lo:[1,1,0]
	;; [unrolled: 1-line block ×6, first 2 shown]
	v_add3_u32 v66, v73, v71, v66
	v_add3_u32 v67, v126, v121, v70
	v_dot4_i32_iu8 v70, v68, v84, v72 neg_lo:[1,1,0]
	v_dot4_i32_iu8 v71, v68, v124, v74 neg_lo:[1,1,0]
	;; [unrolled: 1-line block ×4, first 2 shown]
	v_and_b32_e32 v172, 0xffff, v172
	v_and_b32_e32 v174, 0xffff, v174
	v_dot4_i32_iu8 v72, v76, v116, v80 neg_lo:[1,1,0]
	v_dot4_i32_iu8 v68, v76, v132, v81 neg_lo:[1,1,0]
	v_mul_lo_u32 v66, v66, v175
	v_dot4_i32_iu8 v71, v69, v125, v71 neg_lo:[1,1,0]
	v_dot4_i32_iu8 v69, v69, v85, v70 neg_lo:[1,1,0]
	;; [unrolled: 1-line block ×3, first 2 shown]
	v_mul_lo_u32 v64, v64, v173
	v_and_b32_e32 v164, 0xffff, v164
	v_and_b32_e32 v176, 0xffff, v176
	v_mul_lo_u32 v67, v67, v174
	v_dot4_i32_iu8 v70, v77, v181, v72 neg_lo:[1,1,0]
	v_dot4_i32_iu8 v68, v77, v180, v68 neg_lo:[1,1,0]
	v_mul_lo_u32 v71, v71, v165
	v_mul_lo_u32 v69, v69, v177
	;; [unrolled: 1-line block ×5, first 2 shown]
	v_cvt_f32_i32_e32 v138, v66
	v_cvt_f32_i32_e32 v116, v64
	v_pk_mul_f32 v[62:63], v[62:63], v[58:59]
	v_cvt_f32_i32_e32 v146, v67
	s_add_co_i32 s17, s16, 8
	v_pk_fma_f32 v[64:65], v[138:139], v[78:79], 0 op_sel_hi:[1,1,0]
	v_cvt_f32_i32_e32 v67, v71
	v_cvt_f32_i32_e32 v66, v69
	v_cvt_f32_i32_e32 v132, v72
	v_pk_fma_f32 v[68:69], v[116:117], v[78:79], 0 op_sel_hi:[1,1,0]
	v_cvt_f32_i32_e32 v71, v73
	v_cvt_f32_i32_e32 v70, v70
	v_pk_fma_f32 v[64:65], v[146:147], v[114:115], v[64:65]
	v_pk_fma_f32 v[66:67], v[78:79], v[66:67], 0 op_sel_hi:[0,1,0]
	v_pk_fma_f32 v[68:69], v[132:133], v[114:115], v[68:69]
	s_cmp_lt_u32 s16, 24
	s_mov_b32 s16, s17
	v_pk_mul_f32 v[64:65], v[64:65], v[60:61]
	v_pk_fma_f32 v[66:67], v[114:115], v[70:71], v[66:67] op_sel_hi:[0,1,1]
	v_pk_mul_f32 v[68:69], v[68:69], v[56:57]
	s_delay_alu instid0(VALU_DEP_3) | instskip(NEXT) | instid1(VALU_DEP_3)
	v_sub_f32_e32 v64, v64, v65
	v_pk_fma_f32 v[62:63], v[66:67], v[54:55], v[62:63] neg_lo:[0,0,1] neg_hi:[0,0,1]
	s_delay_alu instid0(VALU_DEP_2) | instskip(NEXT) | instid1(VALU_DEP_2)
	v_dual_sub_f32 v65, v68, v69 :: v_dual_add_f32 v43, v43, v64
	v_pk_add_f32 v[18:19], v[18:19], v[62:63]
	s_delay_alu instid0(VALU_DEP_2)
	v_add_f32_e32 v45, v45, v65
	s_cbranch_scc1 .LBB193_19
; %bb.20:                               ;   in Loop: Header=BB193_5 Depth=1
	s_barrier_signal -1
	s_barrier_wait -1
	s_branch .LBB193_4
.LBB193_21:
	s_mul_i32 s0, s7, s4
	s_wait_loadcnt 0x0
	v_cmp_gt_i32_e32 vcc_lo, s0, v1
	s_and_saveexec_b32 s0, vcc_lo
	s_cbranch_execz .LBB193_30
; %bb.22:
	v_mul_lo_u32 v0, v1, s6
	v_add_nc_u32_e32 v1, s18, v3
	s_mov_b32 s0, exec_lo
	s_delay_alu instid0(VALU_DEP_1)
	v_cmpx_gt_u32_e64 s6, v1
	s_cbranch_execz .LBB193_24
; %bb.23:
	s_delay_alu instid0(VALU_DEP_3)
	v_add_nc_u32_e32 v2, v0, v1
	global_store_b32 v2, v18, s[8:9] scale_offset
.LBB193_24:
	s_wait_xcnt 0x0
	s_or_b32 exec_lo, exec_lo, s0
	v_add_nc_u32_e32 v2, 32, v1
	s_mov_b32 s0, exec_lo
	s_delay_alu instid0(VALU_DEP_1)
	v_cmpx_gt_u32_e64 s6, v2
	s_cbranch_execz .LBB193_26
; %bb.25:
	v_add_nc_u32_e32 v2, v0, v2
	global_store_b32 v2, v19, s[8:9] scale_offset
.LBB193_26:
	s_wait_xcnt 0x0
	s_or_b32 exec_lo, exec_lo, s0
	v_add_nc_u32_e32 v2, 64, v1
	s_mov_b32 s0, exec_lo
	s_delay_alu instid0(VALU_DEP_1)
	v_cmpx_gt_u32_e64 s6, v2
	s_cbranch_execz .LBB193_28
; %bb.27:
	v_add_nc_u32_e32 v2, v0, v2
	global_store_b32 v2, v45, s[8:9] scale_offset
.LBB193_28:
	s_wait_xcnt 0x0
	s_or_b32 exec_lo, exec_lo, s0
	v_add_nc_u32_e32 v1, 0x60, v1
	s_delay_alu instid0(VALU_DEP_1)
	v_cmp_gt_u32_e32 vcc_lo, s6, v1
	s_and_b32 exec_lo, exec_lo, vcc_lo
	s_cbranch_execz .LBB193_30
; %bb.29:
	v_add_nc_u32_e32 v0, v0, v1
	global_store_b32 v0, v43, s[8:9] scale_offset
.LBB193_30:
	s_sendmsg sendmsg(MSG_DEALLOC_VGPRS)
	s_endpgm
	.section	.rodata,"a",@progbits
	.p2align	6, 0x0
	.amdhsa_kernel _ZL8moe_q5_KIfLb0EEvPKvS1_PT_PKiS5_S5_iiiiiii
		.amdhsa_group_segment_fixed_size 37072
		.amdhsa_private_segment_fixed_size 0
		.amdhsa_kernarg_size 76
		.amdhsa_user_sgpr_count 2
		.amdhsa_user_sgpr_dispatch_ptr 0
		.amdhsa_user_sgpr_queue_ptr 0
		.amdhsa_user_sgpr_kernarg_segment_ptr 1
		.amdhsa_user_sgpr_dispatch_id 0
		.amdhsa_user_sgpr_kernarg_preload_length 0
		.amdhsa_user_sgpr_kernarg_preload_offset 0
		.amdhsa_user_sgpr_private_segment_size 0
		.amdhsa_wavefront_size32 1
		.amdhsa_uses_dynamic_stack 0
		.amdhsa_enable_private_segment 0
		.amdhsa_system_sgpr_workgroup_id_x 1
		.amdhsa_system_sgpr_workgroup_id_y 1
		.amdhsa_system_sgpr_workgroup_id_z 0
		.amdhsa_system_sgpr_workgroup_info 0
		.amdhsa_system_vgpr_workitem_id 1
		.amdhsa_next_free_vgpr 237
		.amdhsa_next_free_sgpr 23
		.amdhsa_named_barrier_count 0
		.amdhsa_reserve_vcc 1
		.amdhsa_float_round_mode_32 0
		.amdhsa_float_round_mode_16_64 0
		.amdhsa_float_denorm_mode_32 3
		.amdhsa_float_denorm_mode_16_64 3
		.amdhsa_fp16_overflow 0
		.amdhsa_memory_ordered 1
		.amdhsa_forward_progress 1
		.amdhsa_inst_pref_size 74
		.amdhsa_round_robin_scheduling 0
		.amdhsa_exception_fp_ieee_invalid_op 0
		.amdhsa_exception_fp_denorm_src 0
		.amdhsa_exception_fp_ieee_div_zero 0
		.amdhsa_exception_fp_ieee_overflow 0
		.amdhsa_exception_fp_ieee_underflow 0
		.amdhsa_exception_fp_ieee_inexact 0
		.amdhsa_exception_int_div_zero 0
	.end_amdhsa_kernel
	.section	.text._ZL8moe_q5_KIfLb0EEvPKvS1_PT_PKiS5_S5_iiiiiii,"axG",@progbits,_ZL8moe_q5_KIfLb0EEvPKvS1_PT_PKiS5_S5_iiiiiii,comdat
.Lfunc_end193:
	.size	_ZL8moe_q5_KIfLb0EEvPKvS1_PT_PKiS5_S5_iiiiiii, .Lfunc_end193-_ZL8moe_q5_KIfLb0EEvPKvS1_PT_PKiS5_S5_iiiiiii
                                        ; -- End function
	.set _ZL8moe_q5_KIfLb0EEvPKvS1_PT_PKiS5_S5_iiiiiii.num_vgpr, 237
	.set _ZL8moe_q5_KIfLb0EEvPKvS1_PT_PKiS5_S5_iiiiiii.num_agpr, 0
	.set _ZL8moe_q5_KIfLb0EEvPKvS1_PT_PKiS5_S5_iiiiiii.numbered_sgpr, 23
	.set _ZL8moe_q5_KIfLb0EEvPKvS1_PT_PKiS5_S5_iiiiiii.num_named_barrier, 0
	.set _ZL8moe_q5_KIfLb0EEvPKvS1_PT_PKiS5_S5_iiiiiii.private_seg_size, 0
	.set _ZL8moe_q5_KIfLb0EEvPKvS1_PT_PKiS5_S5_iiiiiii.uses_vcc, 1
	.set _ZL8moe_q5_KIfLb0EEvPKvS1_PT_PKiS5_S5_iiiiiii.uses_flat_scratch, 0
	.set _ZL8moe_q5_KIfLb0EEvPKvS1_PT_PKiS5_S5_iiiiiii.has_dyn_sized_stack, 0
	.set _ZL8moe_q5_KIfLb0EEvPKvS1_PT_PKiS5_S5_iiiiiii.has_recursion, 0
	.set _ZL8moe_q5_KIfLb0EEvPKvS1_PT_PKiS5_S5_iiiiiii.has_indirect_call, 0
	.section	.AMDGPU.csdata,"",@progbits
; Kernel info:
; codeLenInByte = 9392
; TotalNumSgprs: 25
; NumVgprs: 237
; ScratchSize: 0
; MemoryBound: 0
; FloatMode: 240
; IeeeMode: 1
; LDSByteSize: 37072 bytes/workgroup (compile time only)
; SGPRBlocks: 0
; VGPRBlocks: 14
; NumSGPRsForWavesPerEU: 25
; NumVGPRsForWavesPerEU: 237
; NamedBarCnt: 0
; Occupancy: 4
; WaveLimiterHint : 1
; COMPUTE_PGM_RSRC2:SCRATCH_EN: 0
; COMPUTE_PGM_RSRC2:USER_SGPR: 2
; COMPUTE_PGM_RSRC2:TRAP_HANDLER: 0
; COMPUTE_PGM_RSRC2:TGID_X_EN: 1
; COMPUTE_PGM_RSRC2:TGID_Y_EN: 1
; COMPUTE_PGM_RSRC2:TGID_Z_EN: 0
; COMPUTE_PGM_RSRC2:TIDIG_COMP_CNT: 1
	.section	.text._ZL8moe_q5_KIfLb1EEvPKvS1_PT_PKiS5_S5_iiiiiii,"axG",@progbits,_ZL8moe_q5_KIfLb1EEvPKvS1_PT_PKiS5_S5_iiiiiii,comdat
	.globl	_ZL8moe_q5_KIfLb1EEvPKvS1_PT_PKiS5_S5_iiiiiii ; -- Begin function _ZL8moe_q5_KIfLb1EEvPKvS1_PT_PKiS5_S5_iiiiiii
	.p2align	8
	.type	_ZL8moe_q5_KIfLb1EEvPKvS1_PT_PKiS5_S5_iiiiiii,@function
_ZL8moe_q5_KIfLb1EEvPKvS1_PT_PKiS5_S5_iiiiiii: ; @_ZL8moe_q5_KIfLb1EEvPKvS1_PT_PKiS5_S5_iiiiiii
; %bb.0:
	s_load_b128 s[4:7], s[0:1], 0x18
	s_bfe_u32 s2, ttmp6, 0x40010
	s_bfe_u32 s8, ttmp6, 0x40004
	s_add_co_i32 s2, s2, 1
	s_getreg_b32 s3, hwreg(HW_REG_IB_STS2, 6, 4)
	s_mul_i32 s2, ttmp7, s2
	s_delay_alu instid0(SALU_CYCLE_1)
	s_add_co_i32 s8, s8, s2
	s_cmp_eq_u32 s3, 0
	s_cselect_b32 s8, ttmp7, s8
	s_wait_kmcnt 0x0
	s_load_b32 s2, s[6:7], s8 offset:0x0 scale_offset
	s_wait_kmcnt 0x0
	s_cmp_gt_u32 s2, 0xff
	s_cbranch_scc1 .LBB194_30
; %bb.1:
	s_load_b64 s[6:7], s[0:1], 0x28
	s_wait_kmcnt 0x0
	s_load_b32 s7, s[6:7], 0x0
	s_wait_xcnt 0x0
	s_lshl_b32 s6, s8, 3
	s_wait_kmcnt 0x0
	s_cmp_gt_u32 s6, s7
	s_cbranch_scc1 .LBB194_30
; %bb.2:
	v_bfe_u32 v1, v0, 10, 10
	s_bfe_u32 s8, ttmp6, 0x4000c
	s_and_b32 s9, ttmp6, 15
	s_add_co_i32 s8, s8, 1
	v_and_b32_e32 v15, 0x3ff, v0
	v_dual_add_nc_u32 v2, s6, v1 :: v_dual_mov_b32 v92, 0
	s_mul_i32 s8, ttmp9, s8
	v_dual_mov_b32 v98, 0 :: v_dual_mov_b32 v9, 0
	global_load_b32 v3, v2, s[4:5] scale_offset
	s_wait_xcnt 0x0
	s_clause 0x2
	s_load_b128 s[4:7], s[0:1], 0x30
	s_load_b64 s[16:17], s[0:1], 0x10
	s_load_b96 s[12:14], s[0:1], 0x40
	s_add_co_i32 s9, s9, s8
	s_cmp_eq_u32 s3, 0
	v_mov_b32_e32 v8, v92
	s_cselect_b32 s3, ttmp9, s9
	s_delay_alu instid0(SALU_CYCLE_1)
	s_lshl_b32 s15, s3, 7
	s_mov_b32 s3, 0
	s_wait_kmcnt 0x0
	s_cmp_lt_i32 s5, 0x100
	s_cbranch_scc1 .LBB194_21
; %bb.3:
	s_load_b128 s[8:11], s[0:1], 0x0
	s_wait_xcnt 0x0
	s_ashr_i32 s0, s5, 31
	s_ashr_i32 s1, s12, 31
	s_lshr_b32 s0, s0, 24
	s_lshr_b32 s1, s1, 27
	s_mul_i32 s20, s2, s4
	s_not_b32 s2, s15
	s_add_co_i32 s0, s5, s0
	s_add_co_i32 s1, s12, s1
	s_ashr_i32 s4, s0, 8
	s_add_co_i32 s0, s6, s2
	s_ashr_i32 s6, s1, 5
	s_abs_i32 s1, s14
	v_bfe_u32 v8, v0, 2, 8
	s_cvt_f32_u32 s2, s1
	v_dual_lshlrev_b32 v31, 5, v1 :: v_dual_lshlrev_b32 v4, 1, v0
	v_lshlrev_b32_e32 v9, 2, v15
	s_delay_alu instid0(SALU_CYCLE_1)
	v_rcp_iflag_f32_e32 v12, s2
	v_and_b32_e32 v17, 6, v8
	v_lshl_add_u32 v8, v1, 3, v8
	v_and_b32_e32 v5, 7, v0
	s_sub_co_i32 s12, 0, s1
	v_min_i32_e32 v14, s0, v1
	v_add_min_i32_e64 v16, v1, 8, s0
	v_readfirstlane_b32 s2, v12
	v_and_b32_e32 v12, 0x7f, v8
	v_add_nc_u32_e32 v11, v31, v15
	v_and_or_b32 v6, v4, 48, v5
	v_mov_b32_e32 v5, 0
	s_mul_f32 s2, s2, 0x4f7ffffe
	v_min_i32_e32 v48, s0, v12
	v_and_b32_e32 v11, 0x7f, v11
	s_wait_loadcnt 0x0
	v_dual_lshlrev_b32 v10, 2, v6 :: v_dual_sub_nc_u32 v13, 0, v3
	s_cvt_u32_f32 s2, s2
	v_add_min_i32_e64 v18, v1, 16, s0
	v_min_i32_e32 v46, s0, v11
	v_add_min_i32_e64 v20, v1, 24, s0
	s_mul_i32 s12, s12, s2
	v_add_min_i32_e64 v22, v1, 32, s0
	s_mul_hi_u32 s12, s2, s12
	v_ashrrev_i32_e32 v11, 31, v46
	s_add_co_i32 s2, s2, s12
	v_add_min_i32_e64 v24, v1, 40, s0
	v_add_min_i32_e64 v26, v1, 48, s0
	;; [unrolled: 1-line block ×3, first 2 shown]
	v_dual_lshrrev_b32 v11, 27, v11 :: v_dual_max_i32 v12, v3, v13
	v_add_min_i32_e64 v30, v1, 64, s0
	v_add_min_i32_e64 v32, 0x48, v1, s0
	;; [unrolled: 1-line block ×3, first 2 shown]
	s_delay_alu instid0(VALU_DEP_4)
	v_add_nc_u32_e32 v11, v46, v11
	v_mul_hi_u32 v50, v12, s2
	v_add_min_i32_e64 v36, 0x58, v1, s0
	v_add_min_i32_e64 v38, 0x60, v1, s0
	;; [unrolled: 1-line block ×5, first 2 shown]
	v_dual_ashrrev_i32 v13, 31, v48 :: v_dual_ashrrev_i32 v11, 5, v11
	v_mad_u32 v19, 0x104, v14, v10
	v_mad_u32 v21, 0x104, v16, v10
	;; [unrolled: 1-line block ×15, first 2 shown]
	v_and_b32_e32 v52, 3, v0
	v_mad_u32 v51, 0x104, v44, v10
	v_lshrrev_b32_e32 v10, 29, v13
	v_bitop3_b32 v8, v8, 64, 0x7f bitop3:0x6c
	v_dual_lshlrev_b32 v11, 2, v11 :: v_dual_lshlrev_b32 v53, 2, v46
	v_add_nc_u32_e32 v13, 0xfe, v52
	s_delay_alu instid0(VALU_DEP_3) | instskip(SKIP_1) | instid1(VALU_DEP_4)
	v_dual_add_nc_u32 v10, v48, v10 :: v_dual_min_i32 v54, s0, v8
	v_mul_lo_u32 v8, v50, s1
	v_add3_u32 v86, v11, v53, 0x8e40
	s_delay_alu instid0(VALU_DEP_4) | instskip(SKIP_3) | instid1(VALU_DEP_2)
	v_and_b32_e32 v13, 0xff, v13
	v_cmp_gt_u32_e32 vcc_lo, 2, v52
	v_dual_ashrrev_i32 v11, 31, v54 :: v_dual_bitop2_b32 v53, 4, v9 bitop3:0x40
	v_dual_ashrrev_i32 v10, 3, v10 :: v_dual_lshlrev_b32 v55, 2, v52
	v_dual_cndmask_b32 v13, v13, v52, vcc_lo :: v_dual_lshrrev_b32 v11, 29, v11
	v_cmp_lt_u32_e32 vcc_lo, 1, v52
	v_dual_sub_nc_u32 v8, v12, v8 :: v_dual_add_nc_u32 v12, 1, v50
	s_delay_alu instid0(VALU_DEP_3) | instskip(SKIP_1) | instid1(VALU_DEP_3)
	v_dual_lshlrev_b32 v10, 2, v10 :: v_dual_add_nc_u32 v11, v54, v11
	v_cndmask_b32_e32 v87, 0, v53, vcc_lo
	v_subrev_nc_u32_e32 v53, s1, v8
	v_cmp_le_u32_e64 s0, s1, v8
	v_xor_b32_e32 v56, s14, v3
	v_add3_u32 v10, v10, v55, 0x8200
	v_bfe_u32 v2, v0, 5, 5
	v_bfe_u32 v94, v0, 3, 7
	v_dual_cndmask_b32 v12, v50, v12, s0 :: v_dual_cndmask_b32 v8, v8, v53, s0
	v_dual_ashrrev_i32 v11, 3, v11 :: v_dual_bitop2_b32 v50, 31, v0 bitop3:0x40
	v_ashrrev_i32_e32 v56, 31, v56
	s_delay_alu instid0(VALU_DEP_3) | instskip(NEXT) | instid1(VALU_DEP_4)
	v_add_nc_u32_e32 v53, 1, v12
	v_cmp_le_u32_e64 s0, s1, v8
	s_delay_alu instid0(VALU_DEP_4) | instskip(SKIP_1) | instid1(VALU_DEP_3)
	v_dual_lshlrev_b32 v50, 2, v50 :: v_dual_lshlrev_b32 v11, 2, v11
	v_dual_mov_b32 v98, v5 :: v_dual_add_nc_u32 v57, 0x9050, v9
	v_dual_cndmask_b32 v8, v12, v53, s0 :: v_dual_lshlrev_b32 v12, 4, v48
	s_delay_alu instid0(VALU_DEP_3) | instskip(SKIP_2) | instid1(VALU_DEP_4)
	v_add3_u32 v11, v11, v55, 0x8200
	v_lshlrev_b32_e32 v53, 4, v54
	v_lshl_or_b32 v50, v1, 7, v50
	v_dual_add_nc_u32 v55, 32, v15 :: v_dual_bitop2_b32 v8, v8, v56 bitop3:0x14
	v_dual_add_nc_u32 v90, v10, v12 :: v_dual_add_nc_u32 v10, 64, v15
	s_delay_alu instid0(VALU_DEP_2) | instskip(NEXT) | instid1(VALU_DEP_3)
	v_dual_lshlrev_b32 v1, 4, v1 :: v_dual_sub_nc_u32 v8, v8, v56
	v_dual_lshrrev_b32 v89, 3, v55 :: v_dual_lshlrev_b32 v12, 2, v2
	s_delay_alu instid0(VALU_DEP_3) | instskip(SKIP_1) | instid1(VALU_DEP_3)
	v_dual_add_nc_u32 v91, v11, v53 :: v_dual_lshrrev_b32 v53, 3, v10
	v_add_nc_u32_e32 v88, 0x8a40, v50
	v_and_b32_e32 v11, 60, v89
	v_add_nc_u32_e32 v50, 0x60, v15
	v_cmp_ne_u32_e64 s2, 0, v52
	v_dual_lshlrev_b32 v55, 2, v55 :: v_dual_bitop2_b32 v0, 60, v53 bitop3:0x40
	v_cmp_gt_i32_e64 s1, s7, v8
	v_dual_mov_b32 v7, v5 :: v_dual_bitop2_b32 v6, 28, v9 bitop3:0x40
	s_delay_alu instid0(VALU_DEP_3)
	v_add3_u32 v97, v9, v0, 0x8e40
	v_mul_lo_u32 v0, v8, s6
	v_add_co_ci_u32_e64 v8, null, 0, v13, s2
	v_dual_mov_b32 v13, v5 :: v_dual_lshlrev_b32 v100, 1, v13
	v_dual_add_nc_u32 v93, v57, v1 :: v_dual_lshrrev_b32 v56, 3, v50
	v_lshlrev_b32_e32 v57, 2, v10
	v_lshlrev_b32_e32 v50, 2, v50
	v_mul_lo_u32 v14, v14, s4
	v_mul_lo_u32 v16, v16, s4
	v_and_b32_e32 v1, 60, v56
	v_mul_lo_u32 v18, v18, s4
	v_mul_lo_u32 v20, v20, s4
	;; [unrolled: 1-line block ×4, first 2 shown]
	v_add3_u32 v99, v9, v1, 0x8e40
	v_dual_ashrrev_i32 v1, 31, v0 :: v_dual_lshlrev_b32 v106, 2, v50
	v_mul_lo_u32 v26, v26, s4
	v_mul_lo_u32 v28, v28, s4
	;; [unrolled: 1-line block ×13, first 2 shown]
	v_add3_u32 v95, v12, v9, 0x8e40
	v_cndmask_b32_e64 v12, 0, 1, vcc_lo
	s_ashr_i32 s21, s20, 31
	s_mul_i32 s18, s4, s15
	s_wait_kmcnt 0x0
	s_add_nc_u64 s[8:9], s[8:9], s[20:21]
	v_cmp_gt_u32_e64 s0, 4, v15
	s_movk_i32 s12, 0x2080
	s_movk_i32 s20, 0x4100
	;; [unrolled: 1-line block ×3, first 2 shown]
	v_dual_lshlrev_b32 v102, 2, v55 :: v_dual_lshlrev_b32 v103, 2, v53
	v_add_nc_u64_e32 v[52:53], s[10:11], v[6:7]
	s_ashr_i32 s19, s18, 31
	v_and_b32_e32 v4, 0x7c, v9
	v_add3_u32 v96, v9, v11, 0x8e40
	v_dual_mov_b32 v11, v5 :: v_dual_lshlrev_b32 v10, 2, v8
	v_dual_lshlrev_b32 v12, 2, v12 :: v_dual_lshlrev_b32 v101, 2, v9
	v_dual_lshlrev_b32 v104, 2, v57 :: v_dual_lshlrev_b32 v105, 2, v56
	v_dual_mov_b32 v8, v5 :: v_dual_mov_b32 v9, v5
	v_dual_lshlrev_b32 v112, 2, v94 :: v_dual_bitop2_b32 v107, 1, v17 bitop3:0x54
	v_mul_u32_u24_e32 v108, 0x104, v15
	v_mad_u32_u24 v109, 0x104, v15, s12
	v_mad_u32_u24 v110, 0x104, v15, s20
	;; [unrolled: 1-line block ×3, first 2 shown]
	v_dual_mov_b32 v92, v5 :: v_dual_lshlrev_b32 v113, 2, v89
	s_mul_u64 s[18:19], s[18:19], 0xb0
	s_and_b32 s12, s0, s1
	s_add_nc_u64 s[8:9], s[8:9], s[18:19]
	s_mov_b32 s2, s3
	s_branch .LBB194_5
.LBB194_4:                              ;   in Loop: Header=BB194_5 Depth=1
	s_add_co_i32 s2, s2, 1
	s_delay_alu instid0(SALU_CYCLE_1)
	s_cmp_eq_u32 s2, s4
	s_cbranch_scc1 .LBB194_21
.LBB194_5:                              ; =>This Loop Header: Depth=1
                                        ;     Child Loop BB194_11 Depth 2
                                        ;     Child Loop BB194_19 Depth 2
	s_mul_u64 s[18:19], s[2:3], 0xb0
	s_delay_alu instid0(SALU_CYCLE_1) | instskip(NEXT) | instid1(SALU_CYCLE_1)
	s_add_nc_u64 s[18:19], s[8:9], s[18:19]
	v_mad_nc_u64_u32 v[54:55], 0xb0, v2, s[18:19]
	v_mad_nc_i64_i32 v[56:57], 0xb0, v48, s[18:19]
	v_mad_nc_i64_i32 v[58:59], 0xb0, v50, s[18:19]
	s_delay_alu instid0(VALU_DEP_3)
	v_mad_nc_i64_i32 v[60:61], 0xb0, v14, v[54:55]
	v_mad_nc_i64_i32 v[62:63], 0xb0, v16, v[54:55]
	;; [unrolled: 1-line block ×4, first 2 shown]
	v_add_nc_u64_e32 v[70:71], v[56:57], v[10:11]
	v_add_nc_u64_e32 v[56:57], v[56:57], v[12:13]
	;; [unrolled: 1-line block ×3, first 2 shown]
	v_mad_nc_i64_i32 v[68:69], 0xb0, v22, v[54:55]
	v_add_nc_u64_e32 v[58:59], v[58:59], v[12:13]
	v_mad_nc_i64_i32 v[74:75], 0xb0, v24, v[54:55]
	v_mad_nc_i64_i32 v[76:77], 0xb0, v26, v[54:55]
	;; [unrolled: 1-line block ×3, first 2 shown]
	s_clause 0x3
	global_load_b32 v80, v[70:71], off offset:4
	global_load_b32 v81, v[56:57], off offset:4
	;; [unrolled: 1-line block ×4, first 2 shown]
	s_wait_xcnt 0x2
	v_add_nc_u64_e32 v[56:57], v[60:61], v[6:7]
	s_wait_xcnt 0x0
	v_add_nc_u64_e32 v[58:59], v[60:61], v[4:5]
	v_add_nc_u64_e32 v[60:61], v[62:63], v[6:7]
	;; [unrolled: 1-line block ×7, first 2 shown]
	s_clause 0x7
	global_load_b32 v84, v[56:57], off offset:16
	global_load_b32 v85, v[60:61], off offset:16
	;; [unrolled: 1-line block ×8, first 2 shown]
	s_wait_xcnt 0x7
	v_add_nc_u64_e32 v[56:57], v[68:69], v[6:7]
	s_wait_xcnt 0x5
	v_mad_nc_i64_i32 v[70:71], 0xb0, v30, v[54:55]
	v_add_nc_u64_e32 v[60:61], v[74:75], v[6:7]
	s_wait_xcnt 0x1
	v_add_nc_u64_e32 v[62:63], v[74:75], v[4:5]
	v_add_nc_u64_e32 v[64:65], v[76:77], v[6:7]
	v_mad_nc_i64_i32 v[74:75], 0xb0, v32, v[54:55]
	v_add_nc_u64_e32 v[66:67], v[78:79], v[4:5]
	s_wait_xcnt 0x0
	v_add_nc_u64_e32 v[58:59], v[68:69], v[4:5]
	v_add_nc_u64_e32 v[68:69], v[78:79], v[6:7]
	;; [unrolled: 1-line block ×3, first 2 shown]
	s_clause 0x7
	global_load_b32 v78, v[56:57], off offset:16
	global_load_b32 v79, v[60:61], off offset:16
	;; [unrolled: 1-line block ×8, first 2 shown]
	s_wait_xcnt 0x1
	v_mad_nc_i64_i32 v[62:63], 0xb0, v34, v[54:55]
	v_mad_nc_i64_i32 v[66:67], 0xb0, v36, v[54:55]
	v_add_nc_u64_e32 v[56:57], v[70:71], v[4:5]
	v_mad_nc_i64_i32 v[68:69], 0xb0, v38, v[54:55]
	s_wait_xcnt 0x0
	v_add_nc_u64_e32 v[58:59], v[70:71], v[6:7]
	v_mad_nc_i64_i32 v[70:71], 0xb0, v40, v[54:55]
	v_add_nc_u64_e32 v[60:61], v[74:75], v[4:5]
	v_add_nc_u64_e32 v[64:65], v[74:75], v[6:7]
	v_mad_nc_i64_i32 v[72:73], 0xb0, v42, v[54:55]
	v_mad_nc_i64_i32 v[54:55], 0xb0, v44, v[54:55]
	s_clause 0x3
	global_load_b32 v126, v[56:57], off offset:48
	global_load_b32 v127, v[58:59], off offset:16
	;; [unrolled: 1-line block ×4, first 2 shown]
	s_wait_xcnt 0x3
	v_add_nc_u64_e32 v[56:57], v[62:63], v[4:5]
	s_wait_xcnt 0x2
	v_add_nc_u64_e32 v[58:59], v[62:63], v[6:7]
	;; [unrolled: 2-line block ×3, first 2 shown]
	v_add_nc_u64_e32 v[62:63], v[66:67], v[6:7]
	s_wait_xcnt 0x0
	v_add_nc_u64_e32 v[64:65], v[68:69], v[6:7]
	v_add_nc_u64_e32 v[66:67], v[68:69], v[4:5]
	;; [unrolled: 1-line block ×6, first 2 shown]
	s_clause 0x9
	global_load_b32 v130, v[56:57], off offset:48
	global_load_b32 v131, v[58:59], off offset:16
	;; [unrolled: 1-line block ×10, first 2 shown]
	s_wait_xcnt 0x9
	v_add_nc_u64_e32 v[56:57], v[72:73], v[6:7]
	v_add_nc_u64_e32 v[54:55], v[54:55], v[6:7]
	s_clause 0x1
	global_load_b32 v58, v[56:57], off offset:16
	global_load_b32 v59, v[54:55], off offset:16
	s_wait_xcnt 0x0
	v_mad_nc_i64_i32 v[54:55], 0xb0, v46, s[18:19]
	s_lshl_b32 s18, s2, 8
	s_delay_alu instid0(SALU_CYCLE_1)
	s_cmp_lt_i32 s18, s5
	global_load_b32 v54, v[54:55], off
	s_wait_loadcnt 0x23
	s_wait_xcnt 0x0
	v_dual_ashrrev_i32 v55, v87, v80 :: v_dual_ashrrev_i32 v57, v100, v81
	s_wait_loadcnt 0x21
	v_dual_ashrrev_i32 v56, v87, v82 :: v_dual_ashrrev_i32 v60, v100, v83
	s_delay_alu instid0(VALU_DEP_2) | instskip(SKIP_2) | instid1(VALU_DEP_3)
	v_and_b32_e32 v55, 0xf0f0f0f, v55
	s_wait_loadcnt 0x1f
	v_dual_ashrrev_i32 v62, v107, v84 :: v_dual_ashrrev_i32 v63, v17, v85
	v_and_b32_e32 v56, 0xf0f0f0f, v56
	v_ashrrev_i32_e32 v66, v107, v85
	v_and_or_b32 v55, 0x30303030, v57, v55
	s_wait_loadcnt 0x19
	v_dual_ashrrev_i32 v57, v17, v84 :: v_dual_lshrrev_b32 v61, 4, v119
	v_lshrrev_b32_e32 v65, 4, v118
	v_dual_ashrrev_i32 v67, v17, v114 :: v_dual_lshrrev_b32 v69, 4, v117
	v_dual_ashrrev_i32 v70, v107, v114 :: v_dual_ashrrev_i32 v71, v17, v115
	v_dual_lshrrev_b32 v73, 4, v116 :: v_dual_ashrrev_i32 v74, v107, v115
	s_wait_loadcnt 0x18
	v_dual_ashrrev_i32 v75, v17, v78 :: v_dual_ashrrev_i32 v78, v107, v78
	s_wait_loadcnt 0x17
	v_ashrrev_i32_e32 v80, v17, v79
	v_and_or_b32 v56, 0x30303030, v60, v56
	s_wait_loadcnt 0x11
	v_lshrrev_b32_e32 v77, 4, v125
	v_and_b32_e32 v60, 0xf0f0f0f, v119
	v_and_b32_e32 v64, 0xf0f0f0f, v118
	;; [unrolled: 1-line block ×6, first 2 shown]
	v_dual_lshrrev_b32 v82, 4, v124 :: v_dual_ashrrev_i32 v79, v107, v79
	v_dual_ashrrev_i32 v83, v17, v120 :: v_dual_lshrrev_b32 v85, 4, v123
	v_and_b32_e32 v84, 0xf0f0f0f, v123
	v_dual_ashrrev_i32 v114, v107, v120 :: v_dual_ashrrev_i32 v115, v17, v122
	v_and_b32_e32 v116, 0xf0f0f0f, v121
	v_dual_lshrrev_b32 v117, 4, v121 :: v_dual_ashrrev_i32 v118, v107, v122
	s_wait_loadcnt 0xf
	v_dual_ashrrev_i32 v119, v17, v127 :: v_dual_lshrrev_b32 v121, 4, v126
	v_and_b32_e32 v120, 0xf0f0f0f, v126
	s_wait_loadcnt 0xd
	v_dual_ashrrev_i32 v122, v107, v127 :: v_dual_ashrrev_i32 v123, v17, v129
	v_and_b32_e32 v124, 0xf0f0f0f, v128
	v_dual_lshrrev_b32 v125, 4, v128 :: v_dual_ashrrev_i32 v126, v107, v129
	s_wait_loadcnt 0xb
	v_dual_ashrrev_i32 v127, v17, v131 :: v_dual_lshrrev_b32 v129, 4, v130
	v_and_b32_e32 v128, 0xf0f0f0f, v130
	s_wait_loadcnt 0x9
	v_dual_ashrrev_i32 v130, v107, v131 :: v_dual_ashrrev_i32 v131, v17, v133
	v_and_b32_e32 v140, 0xf0f0f0f, v132
	v_dual_lshrrev_b32 v132, 4, v132 :: v_dual_ashrrev_i32 v133, v107, v133
	s_wait_loadcnt 0x8
	v_ashrrev_i32_e32 v141, v17, v134
	s_wait_loadcnt 0x3
	v_and_b32_e32 v142, 0xf0f0f0f, v139
	v_dual_lshrrev_b32 v139, 4, v139 :: v_dual_ashrrev_i32 v134, v107, v134
	v_ashrrev_i32_e32 v143, v17, v136
	v_and_b32_e32 v144, 0xf0f0f0f, v135
	v_dual_lshrrev_b32 v135, 4, v135 :: v_dual_ashrrev_i32 v136, v107, v136
	s_wait_loadcnt 0x2
	v_dual_ashrrev_i32 v145, v17, v58 :: v_dual_ashrrev_i32 v58, v107, v58
	v_and_b32_e32 v146, 0xf0f0f0f, v138
	s_wait_loadcnt 0x1
	v_dual_lshrrev_b32 v138, 4, v138 :: v_dual_ashrrev_i32 v147, v17, v59
	v_and_b32_e32 v148, 0xf0f0f0f, v137
	v_dual_lshrrev_b32 v137, 4, v137 :: v_dual_ashrrev_i32 v59, v107, v59
	v_dual_lshlrev_b32 v57, 4, v57 :: v_dual_lshlrev_b32 v62, 4, v62
	v_and_b32_e32 v61, 0xf0f0f0f, v61
	v_dual_lshlrev_b32 v63, 4, v63 :: v_dual_lshlrev_b32 v66, 4, v66
	v_and_b32_e32 v65, 0xf0f0f0f, v65
	;; [unrolled: 2-line block ×15, first 2 shown]
	v_lshlrev_b32_e32 v147, 4, v147
	v_and_b32_e32 v137, 0xf0f0f0f, v137
	v_lshlrev_b32_e32 v59, 4, v59
	v_and_or_b32 v57, 0x10101010, v57, v60
	v_and_or_b32 v60, 0x10101010, v62, v61
	;; [unrolled: 1-line block ×32, first 2 shown]
	ds_store_2addr_b32 v19, v57, v60 offset1:8
	ds_store_2addr_b32 v21, v61, v62 offset1:8
	;; [unrolled: 1-line block ×16, first 2 shown]
	s_wait_loadcnt 0x0
	ds_store_b32 v86, v54
	ds_store_b32 v90, v55
	;; [unrolled: 1-line block ×3, first 2 shown]
	s_cbranch_scc0 .LBB194_4
; %bb.6:                                ;   in Loop: Header=BB194_5 Depth=1
	s_lshl_b32 s19, s2, 3
	s_delay_alu instid0(SALU_CYCLE_1) | instskip(NEXT) | instid1(VALU_DEP_1)
	v_add_nc_u32_e32 v54, s19, v94
	v_cmp_gt_i32_e32 vcc_lo, s6, v54
	s_and_b32 s21, s1, vcc_lo
	s_delay_alu instid0(SALU_CYCLE_1)
	s_and_saveexec_b32 s20, s21
	s_cbranch_execz .LBB194_8
; %bb.7:                                ;   in Loop: Header=BB194_5 Depth=1
	v_add_nc_u32_e32 v54, v0, v54
	s_delay_alu instid0(VALU_DEP_1)
	v_mad_nc_i64_i32 v[54:55], v54, 36, v[52:53]
	global_load_b32 v54, v[54:55], off offset:4
	s_wait_loadcnt 0x0
	ds_store_b32 v88, v54
.LBB194_8:                              ;   in Loop: Header=BB194_5 Depth=1
	s_or_b32 exec_lo, exec_lo, s20
	v_add_nc_u32_e32 v54, s19, v15
	s_delay_alu instid0(VALU_DEP_1) | instskip(SKIP_1) | instid1(SALU_CYCLE_1)
	v_cmp_gt_i32_e32 vcc_lo, s6, v54
	s_and_b32 s21, s12, vcc_lo
	s_and_saveexec_b32 s20, s21
	s_cbranch_execz .LBB194_10
; %bb.9:                                ;   in Loop: Header=BB194_5 Depth=1
	v_add_nc_u32_e32 v55, v0, v54
	s_delay_alu instid0(VALU_DEP_1)
	v_mad_nc_i64_i32 v[56:57], v55, 36, s[10:11]
	global_load_b32 v55, v[56:57], off
	s_wait_loadcnt 0x0
	ds_store_b32 v93, v55
.LBB194_10:                             ;   in Loop: Header=BB194_5 Depth=1
	s_or_b32 exec_lo, exec_lo, s20
	s_wait_dscnt 0x0
	s_barrier_signal -1
	s_barrier_wait -1
	ds_load_b32 v55, v96 offset:128
	ds_load_b32 v56, v95
	ds_load_b32 v58, v97 offset:256
	ds_load_b32 v62, v99 offset:384
	s_mov_b32 s21, 0
	s_mov_b32 s20, -1
	s_wait_dscnt 0x2
	v_dual_lshrrev_b32 v59, 16, v55 :: v_dual_lshrrev_b32 v60, 16, v56
	v_cvt_f32_f16_e32 v57, v55
	s_wait_dscnt 0x1
	v_lshrrev_b32_e32 v55, 16, v58
	s_wait_dscnt 0x0
	v_lshrrev_b32_e32 v63, 16, v62
	v_cvt_f32_f16_e32 v56, v56
	v_cvt_f32_f16_e32 v58, v58
	;; [unrolled: 1-line block ×7, first 2 shown]
.LBB194_11:                             ;   Parent Loop BB194_5 Depth=1
                                        ; =>  This Inner Loop Header: Depth=2
	s_lshr_b32 s22, s21, 2
	v_lshl_or_b32 v55, s21, 1, v31
	s_lshl_b32 s21, s21, 3
	s_add_co_i32 s22, s22, 0x8200
	v_dual_add_nc_u32 v114, s21, v108 :: v_dual_add_nc_u32 v115, s21, v109
	v_dual_add_nc_u32 v116, s21, v110 :: v_dual_add_nc_u32 v117, s21, v111
	v_add3_u32 v122, s22, v112, v101
	v_add3_u32 v118, s22, v113, v102
	;; [unrolled: 1-line block ×4, first 2 shown]
	v_dual_lshlrev_b32 v126, 2, v55 :: v_dual_lshrrev_b32 v55, 1, v55
	ds_load_2addr_b32 v[74:75], v114 offset1:1
	ds_load_2addr_b32 v[70:71], v114 offset0:2 offset1:3
	ds_load_2addr_b32 v[66:67], v114 offset0:4 offset1:5
	;; [unrolled: 1-line block ×4, first 2 shown]
	ds_load_2addr_b32 v[78:79], v115 offset1:1
	ds_load_2addr_b32 v[72:73], v115 offset0:2 offset1:3
	ds_load_2addr_b32 v[68:69], v115 offset0:4 offset1:5
	;; [unrolled: 1-line block ×9, first 2 shown]
	ds_load_2addr_b32 v[138:139], v117 offset1:1
	ds_load_2addr_b32 v[140:141], v117 offset0:2 offset1:3
	ds_load_2addr_b32 v[142:143], v117 offset0:4 offset1:5
	;; [unrolled: 1-line block ×7, first 2 shown]
	ds_load_2addr_b32 v[154:155], v116 offset1:1
	ds_load_2addr_b32 v[156:157], v115 offset0:14 offset1:15
	ds_load_2addr_b32 v[158:159], v115 offset0:8 offset1:9
	;; [unrolled: 1-line block ×8, first 2 shown]
	ds_load_u16 v174, v118
	ds_load_u16 v175, v118 offset:8
	ds_load_u16 v176, v120
	ds_load_u16 v177, v120 offset:8
	ds_load_u16 v178, v119 offset:8
	ds_load_u16 v179, v119
	ds_load_b128 v[114:117], v126 offset:35392
	ds_load_b128 v[118:121], v126 offset:35408
	ds_load_b64 v[172:173], v55 offset:36944
	ds_load_u16 v55, v122
	ds_load_u16 v180, v122 offset:8
	ds_load_b128 v[122:125], v126 offset:35424
	ds_load_b128 v[126:129], v126 offset:35440
	s_wait_dscnt 0x1b
	v_perm_b32 v189, v143, v142, 0xc0c0602
	s_wait_dscnt 0x1a
	v_perm_b32 v190, v145, v144, 0x6020c0c
	v_perm_b32 v191, v143, v142, 0xc0c0400
	v_perm_b32 v192, v143, v142, 0xc0c0703
	v_perm_b32 v142, v143, v142, 0xc0c0501
	v_perm_b32 v193, v145, v144, 0x4000c0c
	v_perm_b32 v194, v145, v144, 0x7030c0c
	v_perm_b32 v144, v145, v144, 0x5010c0c
	v_perm_b32 v186, v138, v139, 0xc0c0602
	v_perm_b32 v188, v141, v140, 0x6020c0c
	s_wait_dscnt 0x9
	v_cvt_f32_ubyte0_e32 v143, v177
	v_cvt_f32_ubyte1_e32 v145, v177
	v_perm_b32 v195, v146, v147, 0xc0c0501
	s_wait_dscnt 0x6
	v_dot4_i32_iu8 v177, v114, v74, 0 neg_lo:[1,1,0]
	v_dot4_i32_iu8 v78, v114, v78, 0 neg_lo:[1,1,0]
	v_dot4_i32_iu8 v154, v114, v154, 0 neg_lo:[1,1,0]
	v_perm_b32 v206, v114, v115, 0xc0c0501
	v_perm_b32 v208, v114, v115, 0xc0c0703
	s_wait_dscnt 0x1
	v_dot4_i32_iu8 v213, v122, v76, 0 neg_lo:[1,1,0]
	v_perm_b32 v210, v114, v115, 0xc0c0400
	v_perm_b32 v114, v114, v115, 0xc0c0602
	v_dual_lshrrev_b32 v221, 16, v172 :: v_dual_lshrrev_b32 v225, 16, v173
	v_dot4_i32_iu8 v177, v115, v75, v177 neg_lo:[1,1,0]
	v_dot4_i32_iu8 v78, v115, v79, v78 neg_lo:[1,1,0]
	;; [unrolled: 1-line block ×4, first 2 shown]
	v_perm_b32 v196, v146, v147, 0xc0c0703
	v_perm_b32 v197, v146, v147, 0xc0c0400
	v_perm_b32 v146, v146, v147, 0xc0c0602
	v_perm_b32 v147, v149, v148, 0x5010c0c
	v_perm_b32 v198, v149, v148, 0x7030c0c
	v_perm_b32 v199, v149, v148, 0x4000c0c
	v_perm_b32 v148, v149, v148, 0x6020c0c
	v_dot4_i32_iu8 v158, v122, v158, 0 neg_lo:[1,1,0]
	v_dot4_i32_iu8 v132, v122, v132, 0 neg_lo:[1,1,0]
	v_perm_b32 v214, v122, v123, 0xc0c0501
	v_perm_b32 v216, v122, v123, 0xc0c0703
	;; [unrolled: 1-line block ×5, first 2 shown]
	v_cvt_f32_f16_e64 v75, v221
	v_dot4_i32_iu8 v78, v116, v72, v78 neg_lo:[1,1,0]
	v_dot4_i32_iu8 v79, v116, v130, v79 neg_lo:[1,1,0]
	;; [unrolled: 1-line block ×3, first 2 shown]
	v_perm_b32 v181, v138, v139, 0xc0c0501
	v_perm_b32 v182, v141, v140, 0x5010c0c
	;; [unrolled: 1-line block ×6, first 2 shown]
	v_cvt_f32_ubyte0_e32 v139, v175
	v_perm_b32 v207, v117, v116, 0x5010c0c
	v_perm_b32 v209, v117, v116, 0x7030c0c
	v_perm_b32 v211, v117, v116, 0x4000c0c
	v_cvt_f32_ubyte0_e32 v138, v180
	v_or_b32_e32 v186, v188, v186
	v_or_b32_e32 v146, v148, v146
	v_dot4_i32_iu8 v154, v123, v159, v158 neg_lo:[1,1,0]
	v_dot4_i32_iu8 v123, v123, v133, v132 neg_lo:[1,1,0]
	v_cvt_f32_f16_e64 v77, v225
	v_or_b32_e32 v122, v220, v122
	v_dot4_i32_iu8 v177, v116, v70, v177 neg_lo:[1,1,0]
	v_mov_b32_e32 v70, v75
	v_dot4_i32_iu8 v73, v117, v73, v78 neg_lo:[1,1,0]
	v_dot4_i32_iu8 v78, v117, v131, v79 neg_lo:[1,1,0]
	;; [unrolled: 1-line block ×3, first 2 shown]
	v_cvt_f32_ubyte1_e32 v141, v175
	v_perm_b32 v212, v117, v116, 0x6020c0c
	v_perm_b32 v215, v125, v124, 0x5010c0c
	;; [unrolled: 1-line block ×3, first 2 shown]
	v_cvt_f32_ubyte1_e32 v140, v180
	v_perm_b32 v180, v119, v118, 0xc0c0400
	v_perm_b32 v224, v121, v120, 0x4000c0c
	v_cvt_f32_f16_e64 v74, v172
	v_cvt_f32_f16_e64 v76, v173
	v_perm_b32 v172, v119, v118, 0xc0c0703
	v_perm_b32 v173, v121, v120, 0x7030c0c
	;; [unrolled: 1-line block ×4, first 2 shown]
	v_dual_mov_b32 v72, v77 :: v_dual_bitop2_b32 v188, v190, v189 bitop3:0x54
	v_or_b32_e32 v181, v182, v181
	v_or_b32_e32 v182, v184, v183
	;; [unrolled: 1-line block ×6, first 2 shown]
	v_dot4_i32_iu8 v116, v124, v160, v154 neg_lo:[1,1,0]
	v_dot4_i32_iu8 v123, v124, v134, v123 neg_lo:[1,1,0]
	v_dot4_i32_iu8 v122, v146, v122, 0 neg_lo:[1,1,0]
	v_dot4_i32_iu8 v146, v117, v71, v177 neg_lo:[1,1,0]
	v_pk_fma_f32 v[70:71], v[70:71], v[138:139], 0 op_sel_hi:[0,1,0]
	v_dot4_i32_iu8 v68, v118, v68, v73 neg_lo:[1,1,0]
	s_wait_dscnt 0x0
	v_dot4_i32_iu8 v73, v126, v168, v79 neg_lo:[1,1,0]
	v_perm_b32 v149, v151, v150, 0xc0c0602
	v_perm_b32 v200, v151, v150, 0xc0c0400
	;; [unrolled: 1-line block ×18, first 2 shown]
	v_or_b32_e32 v184, v193, v191
	v_or_b32_e32 v185, v194, v192
	;; [unrolled: 1-line block ×11, first 2 shown]
	v_dot4_i32_iu8 v124, v183, v133, 0 neg_lo:[1,1,0]
	v_dot4_i32_iu8 v130, v182, v159, 0 neg_lo:[1,1,0]
	;; [unrolled: 1-line block ×6, first 2 shown]
	v_pk_fma_f32 v[70:71], v[72:73], v[140:141], v[70:71] op_sel_hi:[0,1,1]
	v_dot4_i32_iu8 v72, v118, v82, v78 neg_lo:[1,1,0]
	v_perm_b32 v204, v137, v137, 0x7060100
	v_perm_b32 v228, v127, v126, 0xc0c0602
	v_perm_b32 v229, v129, v128, 0x6020c0c
	v_perm_b32 v230, v127, v126, 0xc0c0400
	v_perm_b32 v231, v129, v128, 0x4000c0c
	v_or_b32_e32 v187, v199, v197
	v_or_b32_e32 v148, v151, v149
	;; [unrolled: 1-line block ×8, first 2 shown]
	v_dot4_i32_iu8 v114, v186, v114, 0 neg_lo:[1,1,0]
	v_dot4_i32_iu8 v134, v147, v189, 0 neg_lo:[1,1,0]
	;; [unrolled: 1-line block ×11, first 2 shown]
	v_or_b32_e32 v149, v202, v200
	v_or_b32_e32 v191, v229, v228
	;; [unrolled: 1-line block ×3, first 2 shown]
	v_dot4_i32_iu8 v147, v187, v190, 0 neg_lo:[1,1,0]
	v_dot4_i32_iu8 v114, v188, v132, v114 neg_lo:[1,1,0]
	;; [unrolled: 1-line block ×5, first 2 shown]
	v_add_nc_u32_e32 v82, v124, v123
	v_dot4_i32_iu8 v73, v127, v204, v78 neg_lo:[1,1,0]
	v_dot4_i32_iu8 v64, v120, v64, v66 neg_lo:[1,1,0]
	;; [unrolled: 1-line block ×5, first 2 shown]
	v_lshrrev_b16 v175, 8, v174
	v_lshrrev_b16 v205, 8, v179
	v_and_b32_e32 v179, 0xff, v179
	v_cvt_f32_ubyte0_e32 v83, v178
	v_cvt_f32_ubyte1_e32 v137, v178
	v_lshrrev_b16 v178, 8, v176
	v_and_b32_e32 v176, 0xff, v176
	v_dot4_i32_iu8 v122, v148, v191, v122 neg_lo:[1,1,0]
	v_dot4_i32_iu8 v125, v149, v192, v147 neg_lo:[1,1,0]
	v_add_nc_u32_e32 v115, v131, v130
	v_dot4_i32_iu8 v69, v127, v163, v79 neg_lo:[1,1,0]
	v_add3_u32 v78, v117, v114, v82
	v_dot4_i32_iu8 v72, v128, v84, v73 neg_lo:[1,1,0]
	v_dot4_i32_iu8 v68, v121, v81, v68 neg_lo:[1,1,0]
	v_and_b32_e32 v174, 0xff, v174
	v_lshrrev_b16 v236, 8, v55
	v_and_b32_e32 v55, 0xff, v55
	v_and_b32_e32 v152, 0xffff, v175
	v_and_b32_e32 v175, 0xffff, v205
	v_and_b32_e32 v178, 0xffff, v178
	v_add3_u32 v79, v125, v122, v115
	v_dot4_i32_iu8 v69, v128, v156, v69 neg_lo:[1,1,0]
	v_mul_lo_u32 v73, v78, v176
	v_dot4_i32_iu8 v66, v121, v165, v66 neg_lo:[1,1,0]
	v_dot4_i32_iu8 v64, v121, v65, v64 neg_lo:[1,1,0]
	;; [unrolled: 1-line block ×4, first 2 shown]
	v_mul_lo_u32 v68, v68, v179
	v_and_b32_e32 v195, 0xffff, v236
	v_mul_lo_u32 v78, v79, v178
	v_dot4_i32_iu8 v69, v129, v153, v69 neg_lo:[1,1,0]
	v_mul_lo_u32 v66, v66, v174
	v_mul_lo_u32 v55, v64, v55
	;; [unrolled: 1-line block ×5, first 2 shown]
	v_cvt_f32_i32_e32 v142, v73
	v_pk_mul_f32 v[70:71], v[70:71], v[60:61]
	v_cvt_f32_i32_e32 v82, v68
	s_mov_b32 s21, 8
	v_cvt_f32_i32_e32 v144, v78
	v_pk_fma_f32 v[64:65], v[142:143], v[74:75], 0 op_sel_hi:[1,1,0]
	v_cvt_f32_i32_e32 v67, v66
	v_cvt_f32_i32_e32 v66, v55
	v_cvt_f32_i32_e32 v136, v72
	v_pk_fma_f32 v[68:69], v[82:83], v[74:75], 0 op_sel_hi:[1,1,0]
	v_cvt_f32_i32_e32 v73, v80
	v_cvt_f32_i32_e32 v72, v79
	v_pk_fma_f32 v[64:65], v[144:145], v[76:77], v[64:65]
	v_pk_fma_f32 v[66:67], v[74:75], v[66:67], 0 op_sel_hi:[0,1,0]
	v_pk_fma_f32 v[68:69], v[136:137], v[76:77], v[68:69]
	s_and_b32 vcc_lo, exec_lo, s20
	s_mov_b32 s20, 0
	v_pk_mul_f32 v[64:65], v[64:65], v[62:63]
	v_pk_fma_f32 v[66:67], v[76:77], v[72:73], v[66:67] op_sel_hi:[0,1,1]
	v_pk_mul_f32 v[68:69], v[68:69], v[58:59]
	s_delay_alu instid0(VALU_DEP_3) | instskip(NEXT) | instid1(VALU_DEP_3)
	v_sub_f32_e32 v55, v64, v65
	v_pk_fma_f32 v[64:65], v[66:67], v[56:57], v[70:71] neg_lo:[0,0,1] neg_hi:[0,0,1]
	s_delay_alu instid0(VALU_DEP_3) | instskip(NEXT) | instid1(VALU_DEP_3)
	v_sub_f32_e32 v66, v68, v69
	v_add_f32_e32 v92, v92, v55
	s_delay_alu instid0(VALU_DEP_3) | instskip(NEXT) | instid1(VALU_DEP_3)
	v_pk_add_f32 v[8:9], v[8:9], v[64:65]
	v_add_f32_e32 v98, v98, v66
	s_cbranch_vccnz .LBB194_11
; %bb.12:                               ;   in Loop: Header=BB194_5 Depth=1
	s_bitset1_b32 s18, 7
	s_delay_alu instid0(SALU_CYCLE_1)
	s_cmp_ge_i32 s18, s5
	s_barrier_signal -1
	s_barrier_wait -1
	s_cbranch_scc1 .LBB194_4
; %bb.13:                               ;   in Loop: Header=BB194_5 Depth=1
	v_add_nc_u32_e32 v55, s19, v89
	s_delay_alu instid0(VALU_DEP_1) | instskip(SKIP_1) | instid1(SALU_CYCLE_1)
	v_cmp_gt_i32_e32 vcc_lo, s6, v55
	s_and_b32 s19, s1, vcc_lo
	s_and_saveexec_b32 s18, s19
	s_cbranch_execz .LBB194_15
; %bb.14:                               ;   in Loop: Header=BB194_5 Depth=1
	v_add_nc_u32_e32 v55, v0, v55
	s_delay_alu instid0(VALU_DEP_1)
	v_mad_nc_i64_i32 v[56:57], v55, 36, v[52:53]
	global_load_b32 v55, v[56:57], off offset:4
	s_wait_loadcnt 0x0
	ds_store_b32 v88, v55
.LBB194_15:                             ;   in Loop: Header=BB194_5 Depth=1
	s_or_b32 exec_lo, exec_lo, s18
	s_and_saveexec_b32 s18, s0
	s_cbranch_execz .LBB194_18
; %bb.16:                               ;   in Loop: Header=BB194_5 Depth=1
	v_or_b32_e32 v55, 4, v54
	s_delay_alu instid0(VALU_DEP_1) | instskip(SKIP_1) | instid1(SALU_CYCLE_1)
	v_cmp_gt_i32_e32 vcc_lo, s6, v55
	s_and_b32 s19, s1, vcc_lo
	s_and_b32 exec_lo, exec_lo, s19
	s_cbranch_execz .LBB194_18
; %bb.17:                               ;   in Loop: Header=BB194_5 Depth=1
	v_ashrrev_i32_e32 v55, 31, v54
	s_delay_alu instid0(VALU_DEP_1) | instskip(NEXT) | instid1(VALU_DEP_1)
	v_add_nc_u64_e32 v[54:55], v[0:1], v[54:55]
	v_mad_nc_u64_u32 v[56:57], v54, 36, s[10:11]
	s_delay_alu instid0(VALU_DEP_1)
	v_mad_i32_i24 v57, v55, 36, v57
	global_load_b32 v54, v[56:57], off offset:144
	s_wait_loadcnt 0x0
	ds_store_b32 v93, v54
.LBB194_18:                             ;   in Loop: Header=BB194_5 Depth=1
	s_or_b32 exec_lo, exec_lo, s18
	s_wait_dscnt 0x0
	s_barrier_signal -1
	s_barrier_wait -1
	ds_load_b32 v54, v96 offset:128
	ds_load_b32 v56, v95
	ds_load_b32 v57, v97 offset:256
	ds_load_b32 v60, v99 offset:384
	s_mov_b32 s18, 16
	s_wait_dscnt 0x2
	v_dual_lshrrev_b32 v58, 16, v54 :: v_dual_lshrrev_b32 v61, 16, v56
	s_wait_dscnt 0x0
	v_dual_lshrrev_b32 v62, 16, v57 :: v_dual_lshrrev_b32 v63, 16, v60
	v_cvt_f32_f16_e32 v55, v54
	v_cvt_f32_f16_e32 v54, v56
	;; [unrolled: 1-line block ×8, first 2 shown]
.LBB194_19:                             ;   Parent Loop BB194_5 Depth=1
                                        ; =>  This Inner Loop Header: Depth=2
	s_lshl_b32 s20, s18, 1
	s_lshr_b32 s19, s18, 2
	s_lshl_b32 s21, s18, 3
	v_and_or_b32 v62, s20, 16, v31
	s_and_b32 s19, s19, 0x3ffffffe
	v_dual_add_nc_u32 v63, s21, v108 :: v_dual_add_nc_u32 v64, s21, v109
	s_add_co_i32 s19, s19, 0x8200
	v_dual_add_nc_u32 v65, s21, v110 :: v_dual_add_nc_u32 v66, s21, v111
	v_add3_u32 v67, s19, v112, v101
	v_add3_u32 v68, s19, v113, v102
	;; [unrolled: 1-line block ×4, first 2 shown]
	v_dual_lshlrev_b32 v74, 2, v62 :: v_dual_lshrrev_b32 v170, 1, v62
	ds_load_2addr_b32 v[78:79], v63 offset1:1
	ds_load_2addr_b32 v[80:81], v63 offset0:2 offset1:3
	ds_load_2addr_b32 v[82:83], v63 offset0:4 offset1:5
	ds_load_2addr_b32 v[84:85], v63 offset0:6 offset1:7
	ds_load_2addr_b32 v[114:115], v63 offset0:8 offset1:9
	ds_load_2addr_b32 v[116:117], v63 offset0:14 offset1:15
	ds_load_2addr_b32 v[118:119], v64 offset1:1
	ds_load_2addr_b32 v[120:121], v64 offset0:2 offset1:3
	ds_load_2addr_b32 v[122:123], v64 offset0:4 offset1:5
	ds_load_2addr_b32 v[124:125], v64 offset0:6 offset1:7
	ds_load_2addr_b32 v[126:127], v64 offset0:8 offset1:9
	ds_load_2addr_b32 v[128:129], v64 offset0:10 offset1:11
	ds_load_2addr_b32 v[130:131], v64 offset0:12 offset1:13
	ds_load_2addr_b32 v[132:133], v64 offset0:14 offset1:15
	ds_load_2addr_b32 v[134:135], v65 offset1:1
	ds_load_2addr_b32 v[136:137], v65 offset0:2 offset1:3
	ds_load_2addr_b32 v[138:139], v65 offset0:4 offset1:5
	;; [unrolled: 8-line block ×3, first 2 shown]
	ds_load_2addr_b32 v[156:157], v66 offset0:6 offset1:7
	ds_load_2addr_b32 v[158:159], v66 offset0:8 offset1:9
	;; [unrolled: 1-line block ×7, first 2 shown]
	ds_load_u16 v172, v68
	ds_load_u16 v173, v68 offset:8
	ds_load_u16 v174, v69
	ds_load_u16 v175, v69 offset:8
	;; [unrolled: 2-line block ×4, first 2 shown]
	ds_load_b128 v[62:65], v74 offset:35392
	ds_load_b128 v[66:69], v74 offset:35408
	;; [unrolled: 1-line block ×4, first 2 shown]
	ds_load_b64 v[170:171], v170 offset:36944
	s_wait_dscnt 0x1f
	v_perm_b32 v180, v133, v133, 0x7060100
	v_perm_b32 v181, v117, v117, 0x7060100
	s_wait_dscnt 0x1c
	v_perm_b32 v182, v139, v139, 0x7060100
	s_wait_dscnt 0x18
	;; [unrolled: 2-line block ×4, first 2 shown]
	v_perm_b32 v185, v153, v152, 0x5010c0c
	v_perm_b32 v186, v150, v151, 0xc0c0703
	v_perm_b32 v187, v153, v152, 0x7030c0c
	v_perm_b32 v188, v150, v151, 0xc0c0400
	v_perm_b32 v189, v153, v152, 0x4000c0c
	v_perm_b32 v190, v150, v151, 0xc0c0602
	v_perm_b32 v191, v153, v152, 0x6020c0c
	s_wait_dscnt 0x14
	v_perm_b32 v192, v155, v154, 0xc0c0602
	s_wait_dscnt 0x13
	v_perm_b32 v193, v157, v156, 0x6020c0c
	v_perm_b32 v194, v155, v154, 0xc0c0400
	v_perm_b32 v195, v157, v156, 0x4000c0c
	v_perm_b32 v196, v155, v154, 0xc0c0703
	v_perm_b32 v197, v157, v156, 0x7030c0c
	v_perm_b32 v154, v155, v154, 0xc0c0501
	v_perm_b32 v155, v157, v156, 0x5010c0c
	s_wait_dscnt 0x12
	v_perm_b32 v156, v158, v159, 0xc0c0501
	s_wait_dscnt 0x11
	;; [unrolled: 10-line block ×3, first 2 shown]
	v_perm_b32 v161, v165, v164, 0x6020c0c
	v_perm_b32 v202, v163, v162, 0xc0c0400
	;; [unrolled: 1-line block ×7, first 2 shown]
	s_wait_dscnt 0xc
	v_lshrrev_b16 v164, 8, v172
	v_and_b32_e32 v165, 0xff, v172
	s_wait_dscnt 0xb
	v_cvt_f32_ubyte0_e32 v151, v173
	v_cvt_f32_ubyte1_e32 v153, v173
	s_wait_dscnt 0xa
	v_lshrrev_b16 v172, 8, v174
	v_and_b32_e32 v173, 0xff, v174
	s_wait_dscnt 0x9
	v_cvt_f32_ubyte0_e32 v117, v175
	v_cvt_f32_ubyte1_e32 v133, v175
	;; [unrolled: 6-line block ×4, first 2 shown]
	s_wait_dscnt 0x4
	v_dot4_i32_iu8 v178, v62, v78, 0 neg_lo:[1,1,0]
	v_dot4_i32_iu8 v118, v62, v118, 0 neg_lo:[1,1,0]
	s_wait_dscnt 0x2
	v_dot4_i32_iu8 v179, v70, v114, 0 neg_lo:[1,1,0]
	s_wait_dscnt 0x0
	v_cvt_f32_f16_e64 v78, v170
	v_lshrrev_b32_e32 v170, 16, v170
	v_cvt_f32_f16_e64 v114, v171
	v_lshrrev_b32_e32 v171, 16, v171
	v_dot4_i32_iu8 v134, v62, v134, 0 neg_lo:[1,1,0]
	v_dot4_i32_iu8 v126, v70, v126, 0 neg_lo:[1,1,0]
	;; [unrolled: 1-line block ×3, first 2 shown]
	v_or_b32_e32 v186, v187, v186
	v_perm_b32 v187, v62, v63, 0xc0c0703
	v_dot4_i32_iu8 v178, v63, v79, v178 neg_lo:[1,1,0]
	v_dot4_i32_iu8 v118, v63, v119, v118 neg_lo:[1,1,0]
	;; [unrolled: 1-line block ×3, first 2 shown]
	v_cvt_f32_f16_e64 v79, v170
	v_or_b32_e32 v184, v185, v184
	v_perm_b32 v185, v62, v63, 0xc0c0501
	v_cvt_f32_f16_e64 v115, v171
	v_or_b32_e32 v188, v189, v188
	v_perm_b32 v189, v62, v63, 0xc0c0400
	v_perm_b32 v62, v62, v63, 0xc0c0602
	v_dot4_i32_iu8 v63, v63, v135, v134 neg_lo:[1,1,0]
	v_perm_b32 v206, v65, v64, 0x5010c0c
	v_perm_b32 v207, v65, v64, 0x7030c0c
	;; [unrolled: 1-line block ×3, first 2 shown]
	v_or_b32_e32 v190, v191, v190
	v_perm_b32 v191, v65, v64, 0x6020c0c
	v_or_b32_e32 v156, v157, v156
	v_perm_b32 v157, v70, v71, 0xc0c0501
	v_perm_b32 v213, v73, v72, 0x5010c0c
	v_or_b32_e32 v198, v199, v198
	v_perm_b32 v199, v70, v71, 0xc0c0703
	;; [unrolled: 3-line block ×3, first 2 shown]
	v_perm_b32 v70, v70, v71, 0xc0c0602
	v_dot4_i32_iu8 v126, v71, v127, v126 neg_lo:[1,1,0]
	v_dot4_i32_iu8 v71, v71, v143, v142 neg_lo:[1,1,0]
	;; [unrolled: 1-line block ×5, first 2 shown]
	v_or_b32_e32 v192, v193, v192
	v_perm_b32 v193, v67, v66, 0xc0c0602
	v_perm_b32 v209, v69, v68, 0x6020c0c
	v_or_b32_e32 v194, v195, v194
	v_perm_b32 v195, v67, v66, 0xc0c0400
	v_perm_b32 v210, v69, v68, 0x4000c0c
	;; [unrolled: 3-line block ×4, first 2 shown]
	v_perm_b32 v215, v73, v72, 0x4000c0c
	v_or_b32_e32 v158, v159, v158
	v_perm_b32 v159, v73, v72, 0x6020c0c
	v_or_b32_e32 v204, v205, v204
	v_perm_b32 v205, v75, v74, 0xc0c0703
	v_perm_b32 v218, v77, v76, 0x7030c0c
	v_or_b32_e32 v162, v163, v162
	v_perm_b32 v163, v75, v74, 0xc0c0501
	v_perm_b32 v219, v77, v76, 0x5010c0c
	v_or_b32_e32 v127, v206, v185
	v_or_b32_e32 v134, v207, v187
	v_or_b32_e32 v135, v208, v189
	v_or_b32_e32 v142, v191, v62
	v_or_b32_e32 v157, v213, v157
	v_or_b32_e32 v179, v214, v199
	v_dot4_i32_iu8 v71, v72, v144, v71 neg_lo:[1,1,0]
	v_dot4_i32_iu8 v64, v65, v137, v64 neg_lo:[1,1,0]
	v_or_b32_e32 v160, v161, v160
	v_perm_b32 v161, v75, v74, 0xc0c0602
	v_perm_b32 v216, v77, v76, 0x6020c0c
	v_or_b32_e32 v202, v203, v202
	v_perm_b32 v203, v75, v74, 0xc0c0400
	v_perm_b32 v217, v77, v76, 0x4000c0c
	v_or_b32_e32 v143, v209, v193
	v_or_b32_e32 v170, v210, v195
	;; [unrolled: 1-line block ×8, first 2 shown]
	v_dot4_i32_iu8 v119, v72, v166, v119 neg_lo:[1,1,0]
	v_dot4_i32_iu8 v120, v72, v128, v126 neg_lo:[1,1,0]
	v_dual_mov_b32 v62, v79 :: v_dual_mov_b32 v70, v115
	v_dot4_i32_iu8 v72, v184, v127, 0 neg_lo:[1,1,0]
	v_dot4_i32_iu8 v126, v186, v134, 0 neg_lo:[1,1,0]
	;; [unrolled: 1-line block ×10, first 2 shown]
	v_or_b32_e32 v161, v216, v161
	v_or_b32_e32 v187, v217, v203
	v_dot4_i32_iu8 v136, v200, v185, 0 neg_lo:[1,1,0]
	v_dot4_i32_iu8 v142, v158, v159, 0 neg_lo:[1,1,0]
	;; [unrolled: 1-line block ×4, first 2 shown]
	v_pk_fma_f32 v[62:63], v[62:63], v[150:151], 0 op_sel_hi:[0,1,0]
	v_dot4_i32_iu8 v71, v192, v143, v128 neg_lo:[1,1,0]
	v_dot4_i32_iu8 v73, v194, v170, v127 neg_lo:[1,1,0]
	;; [unrolled: 1-line block ×14, first 2 shown]
	v_pk_fma_f32 v[62:63], v[70:71], v[152:153], v[62:63] op_sel_hi:[0,1,1]
	v_add_nc_u32_e32 v66, v72, v120
	v_add_nc_u32_e32 v70, v128, v127
	v_dot4_i32_iu8 v72, v67, v83, v80 neg_lo:[1,1,0]
	v_dot4_i32_iu8 v74, v67, v123, v81 neg_lo:[1,1,0]
	;; [unrolled: 1-line block ×6, first 2 shown]
	v_add3_u32 v66, v73, v71, v66
	v_add3_u32 v67, v126, v121, v70
	v_dot4_i32_iu8 v70, v68, v84, v72 neg_lo:[1,1,0]
	v_dot4_i32_iu8 v71, v68, v124, v74 neg_lo:[1,1,0]
	;; [unrolled: 1-line block ×4, first 2 shown]
	v_and_b32_e32 v172, 0xffff, v172
	v_and_b32_e32 v174, 0xffff, v174
	v_dot4_i32_iu8 v72, v76, v116, v80 neg_lo:[1,1,0]
	v_dot4_i32_iu8 v68, v76, v132, v81 neg_lo:[1,1,0]
	v_mul_lo_u32 v66, v66, v175
	v_dot4_i32_iu8 v71, v69, v125, v71 neg_lo:[1,1,0]
	v_dot4_i32_iu8 v69, v69, v85, v70 neg_lo:[1,1,0]
	;; [unrolled: 1-line block ×3, first 2 shown]
	v_mul_lo_u32 v64, v64, v173
	v_and_b32_e32 v164, 0xffff, v164
	v_and_b32_e32 v176, 0xffff, v176
	v_mul_lo_u32 v67, v67, v174
	v_dot4_i32_iu8 v70, v77, v181, v72 neg_lo:[1,1,0]
	v_dot4_i32_iu8 v68, v77, v180, v68 neg_lo:[1,1,0]
	v_mul_lo_u32 v71, v71, v165
	v_mul_lo_u32 v69, v69, v177
	;; [unrolled: 1-line block ×5, first 2 shown]
	v_cvt_f32_i32_e32 v138, v66
	v_cvt_f32_i32_e32 v116, v64
	v_pk_mul_f32 v[62:63], v[62:63], v[58:59]
	v_cvt_f32_i32_e32 v146, v67
	s_add_co_i32 s19, s18, 8
	v_pk_fma_f32 v[64:65], v[138:139], v[78:79], 0 op_sel_hi:[1,1,0]
	v_cvt_f32_i32_e32 v67, v71
	v_cvt_f32_i32_e32 v66, v69
	;; [unrolled: 1-line block ×3, first 2 shown]
	v_pk_fma_f32 v[68:69], v[116:117], v[78:79], 0 op_sel_hi:[1,1,0]
	v_cvt_f32_i32_e32 v71, v73
	v_cvt_f32_i32_e32 v70, v70
	v_pk_fma_f32 v[64:65], v[146:147], v[114:115], v[64:65]
	v_pk_fma_f32 v[66:67], v[78:79], v[66:67], 0 op_sel_hi:[0,1,0]
	v_pk_fma_f32 v[68:69], v[132:133], v[114:115], v[68:69]
	s_cmp_lt_u32 s18, 24
	s_mov_b32 s18, s19
	v_pk_mul_f32 v[64:65], v[64:65], v[60:61]
	v_pk_fma_f32 v[66:67], v[114:115], v[70:71], v[66:67] op_sel_hi:[0,1,1]
	v_pk_mul_f32 v[68:69], v[68:69], v[56:57]
	s_delay_alu instid0(VALU_DEP_3) | instskip(NEXT) | instid1(VALU_DEP_3)
	v_sub_f32_e32 v64, v64, v65
	v_pk_fma_f32 v[62:63], v[66:67], v[54:55], v[62:63] neg_lo:[0,0,1] neg_hi:[0,0,1]
	s_delay_alu instid0(VALU_DEP_3) | instskip(NEXT) | instid1(VALU_DEP_3)
	v_sub_f32_e32 v65, v68, v69
	v_add_f32_e32 v92, v92, v64
	s_delay_alu instid0(VALU_DEP_3) | instskip(NEXT) | instid1(VALU_DEP_3)
	v_pk_add_f32 v[8:9], v[8:9], v[62:63]
	v_add_f32_e32 v98, v98, v65
	s_cbranch_scc1 .LBB194_19
; %bb.20:                               ;   in Loop: Header=BB194_5 Depth=1
	s_barrier_signal -1
	s_barrier_wait -1
	s_branch .LBB194_4
.LBB194_21:
	s_mul_i32 s0, s14, s7
	s_wait_loadcnt 0x0
	v_cmp_gt_i32_e32 vcc_lo, s0, v3
	s_and_saveexec_b32 s0, vcc_lo
	s_cbranch_execz .LBB194_30
; %bb.22:
	v_mul_lo_u32 v0, v3, s13
	v_add_nc_u32_e32 v1, s15, v15
	s_mov_b32 s0, exec_lo
	s_delay_alu instid0(VALU_DEP_1)
	v_cmpx_gt_u32_e64 s13, v1
	s_cbranch_execz .LBB194_24
; %bb.23:
	s_delay_alu instid0(VALU_DEP_3)
	v_add_nc_u32_e32 v2, v0, v1
	global_store_b32 v2, v8, s[16:17] scale_offset
.LBB194_24:
	s_wait_xcnt 0x0
	s_or_b32 exec_lo, exec_lo, s0
	v_add_nc_u32_e32 v2, 32, v1
	s_mov_b32 s0, exec_lo
	s_delay_alu instid0(VALU_DEP_1)
	v_cmpx_gt_u32_e64 s13, v2
	s_cbranch_execz .LBB194_26
; %bb.25:
	v_add_nc_u32_e32 v2, v0, v2
	global_store_b32 v2, v9, s[16:17] scale_offset
.LBB194_26:
	s_wait_xcnt 0x0
	s_or_b32 exec_lo, exec_lo, s0
	v_add_nc_u32_e32 v2, 64, v1
	s_mov_b32 s0, exec_lo
	s_delay_alu instid0(VALU_DEP_1)
	v_cmpx_gt_u32_e64 s13, v2
	s_cbranch_execz .LBB194_28
; %bb.27:
	v_add_nc_u32_e32 v2, v0, v2
	global_store_b32 v2, v98, s[16:17] scale_offset
.LBB194_28:
	s_wait_xcnt 0x0
	s_or_b32 exec_lo, exec_lo, s0
	v_add_nc_u32_e32 v1, 0x60, v1
	s_delay_alu instid0(VALU_DEP_1)
	v_cmp_gt_u32_e32 vcc_lo, s13, v1
	s_and_b32 exec_lo, exec_lo, vcc_lo
	s_cbranch_execz .LBB194_30
; %bb.29:
	v_add_nc_u32_e32 v0, v0, v1
	global_store_b32 v0, v92, s[16:17] scale_offset
.LBB194_30:
	s_sendmsg sendmsg(MSG_DEALLOC_VGPRS)
	s_endpgm
	.section	.rodata,"a",@progbits
	.p2align	6, 0x0
	.amdhsa_kernel _ZL8moe_q5_KIfLb1EEvPKvS1_PT_PKiS5_S5_iiiiiii
		.amdhsa_group_segment_fixed_size 37072
		.amdhsa_private_segment_fixed_size 0
		.amdhsa_kernarg_size 76
		.amdhsa_user_sgpr_count 2
		.amdhsa_user_sgpr_dispatch_ptr 0
		.amdhsa_user_sgpr_queue_ptr 0
		.amdhsa_user_sgpr_kernarg_segment_ptr 1
		.amdhsa_user_sgpr_dispatch_id 0
		.amdhsa_user_sgpr_kernarg_preload_length 0
		.amdhsa_user_sgpr_kernarg_preload_offset 0
		.amdhsa_user_sgpr_private_segment_size 0
		.amdhsa_wavefront_size32 1
		.amdhsa_uses_dynamic_stack 0
		.amdhsa_enable_private_segment 0
		.amdhsa_system_sgpr_workgroup_id_x 1
		.amdhsa_system_sgpr_workgroup_id_y 1
		.amdhsa_system_sgpr_workgroup_id_z 0
		.amdhsa_system_sgpr_workgroup_info 0
		.amdhsa_system_vgpr_workitem_id 1
		.amdhsa_next_free_vgpr 237
		.amdhsa_next_free_sgpr 23
		.amdhsa_named_barrier_count 0
		.amdhsa_reserve_vcc 1
		.amdhsa_float_round_mode_32 0
		.amdhsa_float_round_mode_16_64 0
		.amdhsa_float_denorm_mode_32 3
		.amdhsa_float_denorm_mode_16_64 3
		.amdhsa_fp16_overflow 0
		.amdhsa_memory_ordered 1
		.amdhsa_forward_progress 1
		.amdhsa_inst_pref_size 77
		.amdhsa_round_robin_scheduling 0
		.amdhsa_exception_fp_ieee_invalid_op 0
		.amdhsa_exception_fp_denorm_src 0
		.amdhsa_exception_fp_ieee_div_zero 0
		.amdhsa_exception_fp_ieee_overflow 0
		.amdhsa_exception_fp_ieee_underflow 0
		.amdhsa_exception_fp_ieee_inexact 0
		.amdhsa_exception_int_div_zero 0
	.end_amdhsa_kernel
	.section	.text._ZL8moe_q5_KIfLb1EEvPKvS1_PT_PKiS5_S5_iiiiiii,"axG",@progbits,_ZL8moe_q5_KIfLb1EEvPKvS1_PT_PKiS5_S5_iiiiiii,comdat
.Lfunc_end194:
	.size	_ZL8moe_q5_KIfLb1EEvPKvS1_PT_PKiS5_S5_iiiiiii, .Lfunc_end194-_ZL8moe_q5_KIfLb1EEvPKvS1_PT_PKiS5_S5_iiiiiii
                                        ; -- End function
	.set _ZL8moe_q5_KIfLb1EEvPKvS1_PT_PKiS5_S5_iiiiiii.num_vgpr, 237
	.set _ZL8moe_q5_KIfLb1EEvPKvS1_PT_PKiS5_S5_iiiiiii.num_agpr, 0
	.set _ZL8moe_q5_KIfLb1EEvPKvS1_PT_PKiS5_S5_iiiiiii.numbered_sgpr, 23
	.set _ZL8moe_q5_KIfLb1EEvPKvS1_PT_PKiS5_S5_iiiiiii.num_named_barrier, 0
	.set _ZL8moe_q5_KIfLb1EEvPKvS1_PT_PKiS5_S5_iiiiiii.private_seg_size, 0
	.set _ZL8moe_q5_KIfLb1EEvPKvS1_PT_PKiS5_S5_iiiiiii.uses_vcc, 1
	.set _ZL8moe_q5_KIfLb1EEvPKvS1_PT_PKiS5_S5_iiiiiii.uses_flat_scratch, 0
	.set _ZL8moe_q5_KIfLb1EEvPKvS1_PT_PKiS5_S5_iiiiiii.has_dyn_sized_stack, 0
	.set _ZL8moe_q5_KIfLb1EEvPKvS1_PT_PKiS5_S5_iiiiiii.has_recursion, 0
	.set _ZL8moe_q5_KIfLb1EEvPKvS1_PT_PKiS5_S5_iiiiiii.has_indirect_call, 0
	.section	.AMDGPU.csdata,"",@progbits
; Kernel info:
; codeLenInByte = 9748
; TotalNumSgprs: 25
; NumVgprs: 237
; ScratchSize: 0
; MemoryBound: 0
; FloatMode: 240
; IeeeMode: 1
; LDSByteSize: 37072 bytes/workgroup (compile time only)
; SGPRBlocks: 0
; VGPRBlocks: 14
; NumSGPRsForWavesPerEU: 25
; NumVGPRsForWavesPerEU: 237
; NamedBarCnt: 0
; Occupancy: 4
; WaveLimiterHint : 1
; COMPUTE_PGM_RSRC2:SCRATCH_EN: 0
; COMPUTE_PGM_RSRC2:USER_SGPR: 2
; COMPUTE_PGM_RSRC2:TRAP_HANDLER: 0
; COMPUTE_PGM_RSRC2:TGID_X_EN: 1
; COMPUTE_PGM_RSRC2:TGID_Y_EN: 1
; COMPUTE_PGM_RSRC2:TGID_Z_EN: 0
; COMPUTE_PGM_RSRC2:TIDIG_COMP_CNT: 1
	.section	.text._ZL8moe_q6_KIfLb0EEvPKvS1_PT_PKiS5_S5_iiiiiii,"axG",@progbits,_ZL8moe_q6_KIfLb0EEvPKvS1_PT_PKiS5_S5_iiiiiii,comdat
	.globl	_ZL8moe_q6_KIfLb0EEvPKvS1_PT_PKiS5_S5_iiiiiii ; -- Begin function _ZL8moe_q6_KIfLb0EEvPKvS1_PT_PKiS5_S5_iiiiiii
	.p2align	8
	.type	_ZL8moe_q6_KIfLb0EEvPKvS1_PT_PKiS5_S5_iiiiiii,@function
_ZL8moe_q6_KIfLb0EEvPKvS1_PT_PKiS5_S5_iiiiiii: ; @_ZL8moe_q6_KIfLb0EEvPKvS1_PT_PKiS5_S5_iiiiiii
; %bb.0:
	s_load_b128 s[4:7], s[0:1], 0x18
	s_bfe_u32 s2, ttmp6, 0x40010
	s_bfe_u32 s8, ttmp6, 0x40004
	s_add_co_i32 s2, s2, 1
	s_delay_alu instid0(SALU_CYCLE_1)
	s_mul_i32 s3, ttmp7, s2
	s_getreg_b32 s2, hwreg(HW_REG_IB_STS2, 6, 4)
	s_add_co_i32 s8, s8, s3
	s_cmp_eq_u32 s2, 0
	s_cselect_b32 s3, ttmp7, s8
	s_wait_kmcnt 0x0
	s_load_b32 s12, s[6:7], s3 offset:0x0 scale_offset
	s_wait_kmcnt 0x0
	s_cmp_gt_u32 s12, 0xff
	s_cbranch_scc1 .LBB195_30
; %bb.1:
	s_load_b64 s[6:7], s[0:1], 0x28
	s_lshl_b32 s3, s3, 3
	s_wait_kmcnt 0x0
	s_load_b32 s6, s[6:7], 0x0
	s_wait_kmcnt 0x0
	s_cmp_gt_u32 s3, s6
	s_cbranch_scc1 .LBB195_30
; %bb.2:
	v_bfe_u32 v1, v0, 10, 10
	s_and_b32 s13, ttmp6, 15
	v_and_b32_e32 v23, 0x3ff, v0
	v_dual_mov_b32 v65, 0 :: v_dual_mov_b32 v107, 0
	s_delay_alu instid0(VALU_DEP_3)
	v_dual_mov_b32 v63, 0 :: v_dual_add_nc_u32 v2, s3, v1
	s_bfe_u32 s3, ttmp6, 0x4000c
	v_mov_b32_e32 v110, 0
	s_add_co_i32 s3, s3, 1
	global_load_b32 v17, v2, s[4:5] scale_offset
	s_clause 0x2
	s_load_b64 s[10:11], s[0:1], 0x30
	s_load_b64 s[8:9], s[0:1], 0x10
	s_load_b128 s[4:7], s[0:1], 0x3c
	s_mul_i32 s3, ttmp9, s3
	s_delay_alu instid0(SALU_CYCLE_1)
	s_add_co_i32 s13, s13, s3
	s_cmp_eq_u32 s2, 0
	s_cselect_b32 s2, ttmp9, s13
	s_mov_b32 s13, 0
	s_lshl_b32 s18, s2, 7
	s_wait_kmcnt 0x0
	s_cmp_lt_i32 s11, 0x100
	s_cbranch_scc1 .LBB195_21
; %bb.3:
	v_and_b32_e32 v2, 31, v0
	s_load_b128 s[0:3], s[0:1], 0x0
	s_mul_i32 s16, s12, s10
	v_dual_lshrrev_b32 v6, 1, v0 :: v_dual_bitop2_b32 v7, 7, v0 bitop3:0x40
	s_delay_alu instid0(VALU_DEP_2) | instskip(SKIP_4) | instid1(VALU_DEP_3)
	v_cmp_gt_u32_e32 vcc_lo, 16, v2
	v_dual_lshlrev_b32 v3, 1, v2 :: v_dual_mov_b32 v19, 0
	v_mul_u32_u24_e32 v8, 0x41, v1
	s_ashr_i32 s17, s16, 31
	v_and_or_b32 v6, v6, 8, v7
	v_dual_mov_b32 v110, v19 :: v_dual_add_nc_u32 v5, 0xe0, v3
	s_ashr_i32 s14, s11, 31
	s_ashr_i32 s15, s5, 31
	s_lshr_b32 s10, s14, 24
	s_delay_alu instid0(VALU_DEP_1)
	v_cndmask_b32_e32 v5, v5, v3, vcc_lo
	v_add_nc_u16 v4, v2, -16
	s_add_co_i32 s10, s11, s10
	s_lshr_b32 s12, s15, 27
	s_ashr_i32 s10, s10, 8
	v_and_b32_e32 v5, 0xfe, v5
	v_cndmask_b32_e32 v4, v4, v2, vcc_lo
	s_wait_kmcnt 0x0
	s_add_nc_u64 s[16:17], s[0:1], s[16:17]
	s_abs_i32 s1, s7
	v_dual_lshlrev_b32 v18, 2, v2 :: v_dual_sub_nc_u32 v3, v3, v5
	v_dual_mov_b32 v21, v19 :: v_dual_bitop2_b32 v5, 15, v0 bitop3:0x40
	v_lshlrev_b32_e32 v31, 5, v1
	s_cvt_f32_u32 s0, s1
	s_delay_alu instid0(VALU_DEP_2) | instskip(SKIP_4) | instid1(VALU_DEP_3)
	v_dual_lshlrev_b32 v2, 2, v3 :: v_dual_lshlrev_b32 v3, 2, v5
	v_dual_lshlrev_b32 v5, 2, v8 :: v_dual_lshlrev_b32 v20, 2, v6
	v_cmp_lt_u16_e32 vcc_lo, 7, v4
	s_sub_co_i32 s19, 0, s1
	v_bfe_u32 v6, v0, 2, 8
	v_add3_u32 v27, v2, v3, v5
	v_rcp_iflag_f32_e32 v3, s0
	v_dual_add_nc_u32 v2, v31, v23 :: v_dual_lshlrev_b32 v5, 3, v1
	s_add_co_i32 s5, s5, s12
	s_lshl_b32 s12, s10, 3
	v_cndmask_b32_e64 v25, 0, 2, vcc_lo
	s_delay_alu instid0(VALU_DEP_2) | instskip(NEXT) | instid1(TRANS32_DEP_1)
	v_lshrrev_b32_e32 v4, 3, v2
	v_readfirstlane_b32 s0, v3
	v_mul_i32_i24_e32 v22, s10, v1
	v_mad_i32_i24 v24, s10, v1, s12
	v_bfe_u32 v16, v0, 5, 5
	v_and_b32_e32 v3, 12, v4
	v_and_b32_e32 v2, 0x7f, v2
	s_mul_f32 s0, s0, 0x4f7ffffe
	v_bfe_u32 v59, v0, 3, 7
	s_ashr_i32 s5, s5, 5
	s_delay_alu instid0(VALU_DEP_2)
	v_dual_mov_b32 v29, v19 :: v_dual_lshlrev_b32 v4, 2, v2
	v_mul_i32_i24_e32 v26, s10, v2
	s_wait_loadcnt 0x0
	v_sub_nc_u32_e32 v2, 0, v17
	s_cvt_u32_f32 s0, s0
	v_add_nc_u32_e32 v33, 0x30c0, v27
	v_add3_u32 v49, v4, v3, 0x8e40
	v_dual_add_nc_u32 v3, v6, v5 :: v_dual_lshlrev_b32 v4, 2, v0
	s_mul_i32 s19, s19, s0
	v_max_i32_e32 v7, v17, v2
	s_mul_hi_u32 s19, s0, s19
	v_add_nc_u16 v2, v6, v5
	s_add_co_i32 s0, s0, s19
	v_bitop3_b32 v5, v3, 64, 0x7f bitop3:0x6c
	v_mul_hi_u32 v6, v7, s0
	v_and_b32_e32 v3, 0x7f, v3
	v_and_b32_e32 v28, 12, v4
	v_lshrrev_b16 v2, 1, v2
	v_dual_lshrrev_b32 v4, 1, v5 :: v_dual_lshlrev_b32 v10, 2, v23
	s_delay_alu instid0(VALU_DEP_4) | instskip(NEXT) | instid1(VALU_DEP_4)
	v_mul_i32_i24_e32 v30, s10, v3
	v_lshl_or_b32 v3, v3, 4, v28
	s_delay_alu instid0(VALU_DEP_4)
	v_and_b32_e32 v2, 60, v2
	v_lshl_or_b32 v8, v5, 4, v28
	v_mul_i32_i24_e32 v32, s10, v5
	v_mul_lo_u32 v9, v6, s1
	v_lshl_or_b32 v5, v1, 7, v18
	v_and_b32_e32 v4, 60, v4
	v_add3_u32 v51, v3, v2, 0x8200
	v_dual_mov_b32 v3, v19 :: v_dual_bitop2_b32 v2, 28, v10 bitop3:0x40
	s_delay_alu instid0(VALU_DEP_4) | instskip(NEXT) | instid1(VALU_DEP_4)
	v_add_nc_u32_e32 v57, 0x8a40, v5
	v_add3_u32 v55, v8, v4, 0x8200
	v_dual_lshlrev_b32 v1, 4, v1 :: v_dual_add_nc_u32 v0, 32, v23
	s_mul_i32 s14, s10, s18
	v_dual_sub_nc_u32 v5, v7, v9 :: v_dual_add_nc_u32 v7, 1, v6
	v_dual_add_nc_u32 v11, 64, v23 :: v_dual_bitop2_b32 v9, s7, v17 bitop3:0x14
	v_cmp_gt_u32_e64 s0, 4, v23
	s_delay_alu instid0(VALU_DEP_3)
	v_subrev_nc_u32_e32 v8, s1, v5
	v_cmp_le_u32_e32 vcc_lo, s1, v5
	v_add_nc_u32_e32 v4, 0x9050, v10
	v_ashrrev_i32_e32 v9, 31, v9
	s_movk_i32 s19, 0x104
	s_movk_i32 s20, 0x2080
	v_dual_cndmask_b32 v6, v6, v7 :: v_dual_cndmask_b32 v5, v5, v8
	v_lshlrev_b32_e32 v7, 2, v16
	v_lshrrev_b32_e32 v61, 3, v0
	s_delay_alu instid0(VALU_DEP_3) | instskip(NEXT) | instid1(VALU_DEP_4)
	v_dual_add_nc_u32 v34, s12, v24 :: v_dual_add_nc_u32 v8, 1, v6
	v_cmp_le_u32_e32 vcc_lo, s1, v5
	v_add_nc_u32_e32 v12, 0x60, v23
	v_add3_u32 v106, v7, v10, 0x8e40
	s_delay_alu instid0(VALU_DEP_4) | instskip(SKIP_1) | instid1(VALU_DEP_4)
	v_dual_add_nc_u32 v36, s12, v34 :: v_dual_bitop2_b32 v7, 60, v61 bitop3:0x40
	v_dual_cndmask_b32 v5, v6, v8 :: v_dual_lshrrev_b32 v6, 3, v11
	v_lshrrev_b32_e32 v8, 3, v12
	s_delay_alu instid0(VALU_DEP_3) | instskip(NEXT) | instid1(VALU_DEP_3)
	v_add_nc_u32_e32 v38, s12, v36
	v_dual_lshlrev_b32 v0, 2, v0 :: v_dual_bitop2_b32 v5, v5, v9 bitop3:0x14
	s_delay_alu instid0(VALU_DEP_4) | instskip(SKIP_1) | instid1(VALU_DEP_4)
	v_and_b32_e32 v13, 60, v6
	v_add3_u32 v108, v10, v7, 0x8e40
	v_dual_add_nc_u32 v40, s12, v38 :: v_dual_bitop2_b32 v7, 60, v8 bitop3:0x40
	s_delay_alu instid0(VALU_DEP_4) | instskip(SKIP_3) | instid1(VALU_DEP_2)
	v_dual_sub_nc_u32 v5, v5, v9 :: v_dual_lshlrev_b32 v9, 2, v11
	s_movk_i32 s21, 0x4100
	v_add_nc_u64_e32 v[52:53], s[2:3], v[2:3]
	s_ashr_i32 s15, s14, 31
	v_mul_lo_u32 v46, v5, s5
	v_add_nc_u32_e32 v42, s12, v40
	v_cmp_gt_i32_e64 s1, s4, v5
	v_add_nc_u32_e32 v35, 0x5140, v27
	v_add_nc_u32_e32 v37, 0x5960, v27
	;; [unrolled: 1-line block ×7, first 2 shown]
	v_dual_lshlrev_b32 v117, 2, v59 :: v_dual_ashrrev_i32 v47, 31, v46
	v_dual_lshlrev_b32 v11, 2, v12 :: v_dual_add_nc_u32 v44, s12, v42
	v_add3_u32 v109, v10, v13, 0x8e40
	v_lshlrev_b32_e32 v119, 2, v61
	v_add3_u32 v111, v10, v7, 0x8e40
	v_mul_u32_u24_e32 v112, 0x104, v23
	v_add_nc_u32_e32 v48, s12, v44
	v_mad_u32_u24 v113, 0x104, v23, s20
	v_lshlrev_b32_e32 v122, 2, v9
	v_mad_u32_u24 v114, 0x104, v23, s21
	v_mad_u32_u24 v115, v23, s19, 0x6180
	v_dual_add_nc_u32 v50, s12, v48 :: v_dual_lshlrev_b32 v118, 2, v10
	v_dual_lshlrev_b32 v120, 2, v0 :: v_dual_lshlrev_b32 v121, 2, v6
	s_delay_alu instid0(VALU_DEP_2) | instskip(SKIP_2) | instid1(VALU_DEP_3)
	v_dual_lshlrev_b32 v123, 2, v8 :: v_dual_add_nc_u32 v54, s12, v50
	v_add_nc_u32_e32 v125, 0x800, v27
	v_dual_mov_b32 v63, v19 :: v_dual_add_nc_u32 v126, 0x1000, v27
	v_dual_mov_b32 v107, v19 :: v_dual_add_nc_u32 v56, s12, v54
	v_lshlrev_b32_e32 v124, 2, v11
	v_add_nc_u32_e32 v127, 0x1800, v27
	v_dual_mov_b32 v65, v19 :: v_dual_add_nc_u32 v128, 0x2000, v27
	s_delay_alu instid0(VALU_DEP_4)
	v_add_nc_u32_e32 v58, s12, v56
	v_add_nc_u32_e32 v129, 0x2800, v27
	;; [unrolled: 1-line block ×6, first 2 shown]
	s_mul_u64 s[14:15], s[14:15], 0xd2
	s_and_b32 s19, s0, s1
	s_add_nc_u64 s[14:15], s[16:17], s[14:15]
	s_delay_alu instid0(VALU_DEP_1) | instskip(NEXT) | instid1(VALU_DEP_1)
	v_add_nc_u32_e32 v62, s12, v60
	v_add_nc_u32_e32 v64, s12, v62
	s_mov_b32 s12, s13
	s_branch .LBB195_5
.LBB195_4:                              ;   in Loop: Header=BB195_5 Depth=1
	s_add_co_i32 s12, s12, 1
	s_delay_alu instid0(SALU_CYCLE_1)
	s_cmp_eq_u32 s12, s10
	s_cbranch_scc1 .LBB195_21
.LBB195_5:                              ; =>This Loop Header: Depth=1
                                        ;     Child Loop BB195_11 Depth 2
                                        ;     Child Loop BB195_19 Depth 2
	s_mul_u64 s[16:17], s[12:13], 0xd2
	s_delay_alu instid0(SALU_CYCLE_1) | instskip(NEXT) | instid1(SALU_CYCLE_1)
	s_add_nc_u64 s[16:17], s[14:15], s[16:17]
	v_mad_nc_u64_u32 v[0:1], 0xd2, v16, s[16:17]
	s_delay_alu instid0(VALU_DEP_1)
	v_mad_nc_u64_u32 v[2:3], 0xd2, v22, v[0:1]
	v_mad_nc_u64_u32 v[4:5], 0xd2, v24, v[0:1]
	;; [unrolled: 1-line block ×9, first 2 shown]
	v_add_nc_u64_e32 v[70:71], v[2:3], v[20:21]
	v_add_nc_u64_e32 v[72:73], v[4:5], v[20:21]
	;; [unrolled: 1-line block ×8, first 2 shown]
	s_clause 0x7
	global_load_b32 v78, v[70:71], off offset:128
	global_load_b32 v79, v[72:73], off offset:128
	global_load_b32 v80, v[74:75], off
	global_load_b32 v81, v[6:7], off offset:128
	global_load_b32 v82, v[76:77], off
	global_load_b32 v83, v[8:9], off offset:128
	global_load_b32 v84, v[4:5], off
	global_load_b32 v85, v[2:3], off
	s_wait_xcnt 0x0
	v_mad_nc_u64_u32 v[2:3], 0xd2, v50, v[0:1]
	v_add_nc_u64_e32 v[4:5], v[10:11], v[18:19]
	v_add_nc_u64_e32 v[6:7], v[10:11], v[20:21]
	;; [unrolled: 1-line block ×8, first 2 shown]
	s_clause 0x1
	global_load_b32 v74, v[4:5], off
	global_load_b32 v75, v[6:7], off offset:128
	s_wait_xcnt 0x0
	v_add_nc_u64_e32 v[6:7], v[68:69], v[20:21]
	v_add_nc_u64_e32 v[4:5], v[68:69], v[18:19]
	s_clause 0x3
	global_load_b32 v76, v[10:11], off offset:128
	global_load_b32 v77, v[8:9], off
	global_load_b32 v86, v[12:13], off
	global_load_b32 v87, v[14:15], off offset:128
	s_wait_xcnt 0x2
	v_add_nc_u64_e32 v[8:9], v[2:3], v[18:19]
	v_add_nc_u64_e32 v[2:3], v[2:3], v[20:21]
	s_clause 0x5
	global_load_b32 v88, v[66:67], off offset:128
	global_load_b32 v89, v[70:71], off
	global_load_b32 v90, v[6:7], off offset:128
	global_load_b32 v91, v[4:5], off
	;; [unrolled: 2-line block ×3, first 2 shown]
	s_wait_xcnt 0x1
	v_mad_nc_u64_u32 v[2:3], 0xd2, v30, s[16:17]
	v_mad_nc_u64_u32 v[4:5], 0xd2, v32, s[16:17]
	;; [unrolled: 1-line block ×3, first 2 shown]
	s_wait_xcnt 0x0
	v_mad_nc_u64_u32 v[8:9], 0xd2, v54, v[0:1]
	v_mad_nc_u64_u32 v[10:11], 0xd2, v56, v[0:1]
	;; [unrolled: 1-line block ×6, first 2 shown]
	s_lshl_b32 s16, s12, 8
	v_add_nc_u64_e32 v[2:3], v[2:3], v[28:29]
	v_add_nc_u64_e32 v[4:5], v[4:5], v[28:29]
	s_clause 0x2
	global_load_u16 v94, v[6:7], off offset:208
	global_load_b32 v95, v[2:3], off offset:192
	global_load_b32 v96, v[4:5], off offset:192
	s_wait_xcnt 0x1
	v_add_nc_u64_e32 v[2:3], v[8:9], v[18:19]
	s_wait_xcnt 0x0
	v_add_nc_u64_e32 v[4:5], v[8:9], v[20:21]
	v_add_nc_u64_e32 v[6:7], v[10:11], v[18:19]
	;; [unrolled: 1-line block ×11, first 2 shown]
	s_clause 0xb
	global_load_b32 v97, v[2:3], off
	global_load_b32 v98, v[4:5], off offset:128
	global_load_b32 v99, v[6:7], off
	global_load_b32 v100, v[8:9], off offset:128
	;; [unrolled: 2-line block ×6, first 2 shown]
	s_cmp_lt_i32 s16, s11
	s_wait_loadcnt 0x21
	s_wait_xcnt 0x0
	v_dual_ashrrev_i32 v0, v25, v78 :: v_dual_ashrrev_i32 v3, v25, v79
	s_wait_loadcnt 0x1f
	v_dual_lshrrev_b32 v8, 4, v80 :: v_dual_ashrrev_i32 v6, v25, v81
	s_wait_loadcnt 0x1d
	v_dual_lshrrev_b32 v11, 4, v82 :: v_dual_ashrrev_i32 v9, v25, v83
	s_wait_loadcnt 0x1b
	v_dual_lshrrev_b32 v5, 4, v84 :: v_dual_lshrrev_b32 v2, 4, v85
	v_and_b32_e32 v1, 0xf0f0f0f, v85
	v_and_b32_e32 v7, 0xf0f0f0f, v80
	v_dual_lshlrev_b32 v80, 4, v0 :: v_dual_lshlrev_b32 v81, 4, v3
	s_delay_alu instid0(VALU_DEP_4)
	v_and_b32_e32 v2, 0xf0f0f0f, v2
	v_and_b32_e32 v4, 0xf0f0f0f, v84
	;; [unrolled: 1-line block ×4, first 2 shown]
	s_wait_loadcnt 0x19
	v_dual_lshrrev_b32 v14, 4, v74 :: v_dual_ashrrev_i32 v12, v25, v75
	s_wait_loadcnt 0x17
	v_dual_ashrrev_i32 v15, v25, v76 :: v_dual_lshrrev_b32 v67, 4, v77
	s_wait_loadcnt 0x15
	v_dual_ashrrev_i32 v68, v25, v87 :: v_dual_lshrrev_b32 v70, 4, v86
	;; [unrolled: 2-line block ×3, first 2 shown]
	v_and_b32_e32 v13, 0xf0f0f0f, v74
	s_wait_loadcnt 0x11
	v_dual_ashrrev_i32 v74, v25, v90 :: v_dual_lshrrev_b32 v76, 4, v91
	v_dual_lshlrev_b32 v82, 4, v6 :: v_dual_lshlrev_b32 v83, 4, v9
	v_and_b32_e32 v8, 0xf0f0f0f, v8
	v_and_b32_e32 v11, 0xf0f0f0f, v11
	v_dual_lshlrev_b32 v84, 4, v12 :: v_dual_lshlrev_b32 v85, 4, v15
	v_and_b32_e32 v14, 0xf0f0f0f, v14
	v_and_b32_e32 v66, 0xf0f0f0f, v77
	;; [unrolled: 1-line block ×5, first 2 shown]
	v_dual_lshlrev_b32 v86, 4, v68 :: v_dual_lshlrev_b32 v87, 4, v71
	v_and_b32_e32 v70, 0xf0f0f0f, v70
	v_and_b32_e32 v73, 0xf0f0f0f, v73
	v_and_or_b32 v1, 0x30303030, v80, v1
	v_and_or_b32 v0, 0x30303030, v0, v2
	v_and_b32_e32 v75, 0xf0f0f0f, v91
	s_wait_loadcnt 0xf
	v_dual_ashrrev_i32 v77, v25, v92 :: v_dual_lshrrev_b32 v79, 4, v93
	v_lshlrev_b32_e32 v88, 4, v74
	v_and_b32_e32 v76, 0xf0f0f0f, v76
	v_and_or_b32 v2, 0x30303030, v81, v4
	v_and_or_b32 v3, 0x30303030, v3, v5
	;; [unrolled: 1-line block ×14, first 2 shown]
	v_lshlrev_b16 v68, 8, v1
	v_dual_lshrrev_b32 v69, 16, v1 :: v_dual_lshrrev_b32 v71, 16, v0
	v_lshlrev_b16 v70, 8, v0
	v_lshlrev_b32_e32 v89, 4, v77
	v_and_or_b32 v66, 0x30303030, v88, v75
	v_and_or_b32 v67, 0x30303030, v74, v76
	v_lshlrev_b16 v72, 8, v2
	v_dual_lshrrev_b32 v73, 16, v2 :: v_dual_lshrrev_b32 v75, 16, v3
	v_lshlrev_b16 v74, 8, v3
	v_lshlrev_b16 v76, 8, v4
	v_dual_lshrrev_b32 v80, 16, v4 :: v_dual_lshrrev_b32 v82, 16, v5
	v_lshlrev_b16 v81, 8, v5
	;; [unrolled: 3-line block ×4, first 2 shown]
	v_and_b32_e32 v78, 0xf0f0f0f, v93
	v_lshlrev_b16 v92, 8, v10
	v_dual_lshrrev_b32 v93, 16, v10 :: v_dual_lshrrev_b32 v137, 16, v11
	v_lshlrev_b16 v136, 8, v11
	v_lshlrev_b16 v138, 8, v12
	v_dual_lshrrev_b32 v139, 16, v12 :: v_dual_lshrrev_b32 v141, 16, v13
	v_lshlrev_b16 v140, 8, v13
	;; [unrolled: 3-line block ×3, first 2 shown]
	v_add_nc_u16 v68, 0xe000, v68
	v_lshlrev_b16 v150, 8, v69
	v_add_nc_u16 v70, 0xe000, v70
	v_lshlrev_b16 v151, 8, v71
	;; [unrolled: 2-line block ×16, first 2 shown]
	v_lshrrev_b16 v68, 8, v68
	v_add_nc_u16 v150, 0xe000, v150
	v_lshrrev_b16 v70, 8, v70
	v_add_nc_u16 v151, 0xe000, v151
	;; [unrolled: 2-line block ×16, first 2 shown]
	v_bitop3_b16 v1, v1, v68, 0x3f00 bitop3:0xec
	v_lshrrev_b16 v68, 8, v150
	v_bitop3_b16 v0, v0, v70, 0x3f00 bitop3:0xec
	v_lshrrev_b16 v70, 8, v151
	;; [unrolled: 2-line block ×10, first 2 shown]
	v_lshlrev_b16 v146, 8, v66
	v_dual_lshrrev_b32 v147, 16, v66 :: v_dual_lshrrev_b32 v149, 16, v67
	v_lshlrev_b16 v148, 8, v67
	v_bitop3_b16 v10, v10, v92, 0x3f00 bitop3:0xec
	v_lshrrev_b16 v92, 8, v160
	v_bitop3_b16 v11, v11, v136, 0x3f00 bitop3:0xec
	v_lshrrev_b16 v136, 8, v161
	;; [unrolled: 2-line block ×6, first 2 shown]
	v_bitop3_b16 v68, v69, v68, 0x3f00 bitop3:0xec
	v_bitop3_b16 v69, v71, v70, 0x3f00 bitop3:0xec
	;; [unrolled: 1-line block ×10, first 2 shown]
	v_add_nc_u16 v146, 0xe000, v146
	v_lshlrev_b16 v166, 8, v147
	v_add_nc_u16 v148, 0xe000, v148
	v_lshlrev_b16 v167, 8, v149
	v_add_nc_u16 v1, 0xe000, v1
	v_add_nc_u16 v0, 0xe000, v0
	v_bitop3_b16 v81, v93, v92, 0x3f00 bitop3:0xec
	v_bitop3_b16 v82, v137, v136, 0x3f00 bitop3:0xec
	;; [unrolled: 1-line block ×6, first 2 shown]
	v_add_nc_u16 v68, 0xe000, v68
	v_add_nc_u16 v69, 0xe000, v69
	;; [unrolled: 1-line block ×18, first 2 shown]
	v_lshrrev_b16 v146, 8, v146
	v_add_nc_u16 v166, 0xe000, v166
	v_lshrrev_b16 v148, 8, v148
	v_add_nc_u16 v167, 0xe000, v167
	v_add_nc_u16 v10, 0xe000, v10
	;; [unrolled: 1-line block ×7, first 2 shown]
	v_and_b32_e32 v1, 0xffff, v1
	v_and_b32_e32 v0, 0xffff, v0
	v_add_nc_u16 v81, 0xe000, v81
	v_add_nc_u16 v82, 0xe000, v82
	;; [unrolled: 1-line block ×6, first 2 shown]
	v_dual_lshlrev_b32 v68, 16, v68 :: v_dual_lshlrev_b32 v69, 16, v69
	v_and_b32_e32 v2, 0xffff, v2
	v_and_b32_e32 v3, 0xffff, v3
	v_dual_lshlrev_b32 v70, 16, v70 :: v_dual_lshlrev_b32 v71, 16, v71
	v_and_b32_e32 v4, 0xffff, v4
	v_and_b32_e32 v5, 0xffff, v5
	;; [unrolled: 3-line block ×4, first 2 shown]
	v_dual_lshlrev_b32 v76, 16, v76 :: v_dual_lshlrev_b32 v81, 16, v81
	v_dual_lshlrev_b32 v80, 16, v80 :: v_dual_lshlrev_b32 v82, 16, v82
	v_bitop3_b16 v66, v66, v146, 0x3f00 bitop3:0xec
	v_lshrrev_b16 v146, 8, v166
	v_bitop3_b16 v67, v67, v148, 0x3f00 bitop3:0xec
	v_lshrrev_b16 v148, 8, v167
	v_and_b32_e32 v10, 0xffff, v10
	v_and_b32_e32 v11, 0xffff, v11
	;; [unrolled: 1-line block ×6, first 2 shown]
	v_dual_lshlrev_b32 v83, 16, v83 :: v_dual_lshlrev_b32 v84, 16, v84
	v_dual_lshlrev_b32 v85, 16, v85 :: v_dual_lshlrev_b32 v86, 16, v86
	v_or_b32_e32 v1, v1, v68
	v_or_b32_e32 v0, v0, v69
	;; [unrolled: 1-line block ×10, first 2 shown]
	v_bitop3_b16 v87, v147, v146, 0x3f00 bitop3:0xec
	v_bitop3_b16 v88, v149, v148, 0x3f00 bitop3:0xec
	v_or_b32_e32 v10, v10, v81
	v_or_b32_e32 v11, v11, v82
	;; [unrolled: 1-line block ×6, first 2 shown]
	ds_store_2addr_b32 v27, v1, v0 offset1:16
	ds_store_2addr_b32 v125, v2, v3 offset0:8 offset1:24
	ds_store_2addr_b32 v126, v4, v5 offset0:16 offset1:32
	;; [unrolled: 1-line block ×5, first 2 shown]
	ds_store_2addr_b32 v33, v12, v13 offset1:16
	ds_store_2addr_b32 v130, v14, v15 offset0:8 offset1:24
	v_and_or_b32 v4, 0x30303030, v89, v78
	v_add_nc_u16 v66, 0xe000, v66
	v_add_nc_u16 v0, 0xe000, v87
	;; [unrolled: 1-line block ×3, first 2 shown]
	v_and_b32_e32 v3, 0xf0f0f0f, v79
	v_add_nc_u16 v5, 0xe000, v88
	v_lshlrev_b16 v6, 8, v4
	v_and_b32_e32 v1, 0xffff, v66
	v_lshlrev_b32_e32 v0, 16, v0
	v_and_b32_e32 v2, 0xffff, v2
	v_and_or_b32 v3, 0x30303030, v77, v3
	v_lshlrev_b32_e32 v5, 16, v5
	v_add_nc_u16 v6, 0xe000, v6
	v_lshrrev_b32_e32 v7, 16, v4
	s_delay_alu instid0(VALU_DEP_4) | instskip(NEXT) | instid1(VALU_DEP_4)
	v_dual_lshrrev_b32 v1, 16, v3 :: v_dual_bitop2_b32 v0, v1, v0 bitop3:0x54
	v_or_b32_e32 v2, v2, v5
	v_lshlrev_b16 v8, 8, v3
	v_lshrrev_b16 v6, 8, v6
	v_lshlrev_b16 v5, 8, v7
	v_lshlrev_b16 v9, 8, v1
	ds_store_2addr_b32 v131, v0, v2 offset0:16 offset1:32
	v_add_nc_u16 v2, 0xe000, v8
	v_bitop3_b16 v4, v4, v6, 0x3f00 bitop3:0xec
	s_wait_loadcnt 0xa
	v_ashrrev_i32_e32 v6, v25, v98
	v_add_nc_u16 v0, 0xe000, v5
	v_add_nc_u16 v5, 0xe000, v9
	v_lshrrev_b16 v2, 8, v2
	v_and_b32_e32 v8, 0xf0f0f0f, v97
	v_lshlrev_b32_e32 v9, 4, v6
	v_lshrrev_b16 v0, 8, v0
	v_lshrrev_b16 v5, 8, v5
	v_bitop3_b16 v2, v3, v2, 0x3f00 bitop3:0xec
	v_add_nc_u16 v3, 0xe000, v4
	v_and_or_b32 v4, 0x30303030, v9, v8
	v_bitop3_b16 v0, v7, v0, 0x3f00 bitop3:0xec
	v_bitop3_b16 v1, v1, v5, 0x3f00 bitop3:0xec
	v_lshrrev_b32_e32 v5, 4, v97
	v_add_nc_u16 v2, 0xe000, v2
	v_lshrrev_b32_e32 v7, 16, v4
	v_add_nc_u16 v0, 0xe000, v0
	v_add_nc_u16 v1, 0xe000, v1
	v_and_b32_e32 v5, 0xf0f0f0f, v5
	v_lshlrev_b16 v8, 8, v4
	v_lshlrev_b16 v9, 8, v7
	v_and_b32_e32 v3, 0xffff, v3
	v_lshlrev_b32_e32 v0, 16, v0
	v_and_b32_e32 v2, 0xffff, v2
	v_lshlrev_b32_e32 v1, 16, v1
	v_and_or_b32 v5, 0x30303030, v6, v5
	v_add_nc_u16 v6, 0xe000, v8
	v_add_nc_u16 v8, 0xe000, v9
	v_or_b32_e32 v0, v3, v0
	v_or_b32_e32 v1, v2, v1
	v_lshrrev_b32_e32 v2, 16, v5
	v_lshrrev_b16 v3, 8, v6
	v_lshrrev_b16 v6, 8, v8
	v_lshlrev_b16 v8, 8, v5
	ds_store_2addr_b32 v132, v0, v1 offset0:24 offset1:40
	v_lshlrev_b16 v0, 8, v2
	v_bitop3_b16 v1, v4, v3, 0x3f00 bitop3:0xec
	v_bitop3_b16 v3, v7, v6, 0x3f00 bitop3:0xec
	s_wait_loadcnt 0x8
	v_ashrrev_i32_e32 v6, v25, v100
	v_add_nc_u16 v4, 0xe000, v8
	v_add_nc_u16 v0, 0xe000, v0
	;; [unrolled: 1-line block ×4, first 2 shown]
	v_and_b32_e32 v7, 0xf0f0f0f, v99
	v_lshlrev_b32_e32 v8, 4, v6
	v_lshrrev_b16 v4, 8, v4
	v_lshrrev_b16 v0, 8, v0
	v_and_b32_e32 v1, 0xffff, v1
	v_lshlrev_b32_e32 v3, 16, v3
	v_and_or_b32 v7, 0x30303030, v8, v7
	v_lshrrev_b32_e32 v8, 4, v99
	v_bitop3_b16 v4, v5, v4, 0x3f00 bitop3:0xec
	v_bitop3_b16 v0, v2, v0, 0x3f00 bitop3:0xec
	v_or_b32_e32 v1, v1, v3
	v_lshrrev_b32_e32 v2, 16, v7
	v_and_b32_e32 v3, 0xf0f0f0f, v8
	v_add_nc_u16 v4, 0xe000, v4
	v_add_nc_u16 v0, 0xe000, v0
	v_lshlrev_b16 v5, 8, v7
	v_lshlrev_b16 v8, 8, v2
	v_and_or_b32 v3, 0x30303030, v6, v3
	v_and_b32_e32 v4, 0xffff, v4
	v_lshlrev_b32_e32 v0, 16, v0
	v_add_nc_u16 v5, 0xe000, v5
	v_add_nc_u16 v6, 0xe000, v8
	v_lshlrev_b16 v8, 8, v3
	s_delay_alu instid0(VALU_DEP_4) | instskip(NEXT) | instid1(VALU_DEP_4)
	v_dual_lshrrev_b32 v9, 16, v3 :: v_dual_bitop2_b32 v0, v4, v0 bitop3:0x54
	v_lshrrev_b16 v4, 8, v5
	s_delay_alu instid0(VALU_DEP_4) | instskip(NEXT) | instid1(VALU_DEP_4)
	v_lshrrev_b16 v5, 8, v6
	v_add_nc_u16 v6, 0xe000, v8
	s_delay_alu instid0(VALU_DEP_4)
	v_lshlrev_b16 v8, 8, v9
	ds_store_2addr_b32 v35, v1, v0 offset1:16
	v_bitop3_b16 v0, v7, v4, 0x3f00 bitop3:0xec
	v_bitop3_b16 v1, v2, v5, 0x3f00 bitop3:0xec
	v_lshrrev_b16 v2, 8, v6
	v_add_nc_u16 v4, 0xe000, v8
	s_wait_loadcnt 0x6
	v_ashrrev_i32_e32 v5, v25, v102
	v_add_nc_u16 v0, 0xe000, v0
	v_add_nc_u16 v1, 0xe000, v1
	v_and_b32_e32 v6, 0xf0f0f0f, v101
	v_lshrrev_b16 v4, 8, v4
	v_lshrrev_b32_e32 v7, 4, v101
	v_lshlrev_b32_e32 v8, 4, v5
	v_bitop3_b16 v2, v3, v2, 0x3f00 bitop3:0xec
	v_and_b32_e32 v0, 0xffff, v0
	v_bitop3_b16 v3, v9, v4, 0x3f00 bitop3:0xec
	v_and_b32_e32 v7, 0xf0f0f0f, v7
	v_and_or_b32 v6, 0x30303030, v8, v6
	v_add_nc_u16 v2, 0xe000, v2
	s_wait_loadcnt 0x1
	v_lshrrev_b32_e32 v11, 4, v134
	v_add_nc_u16 v3, 0xe000, v3
	v_dual_lshlrev_b32 v1, 16, v1 :: v_dual_lshrrev_b32 v4, 16, v6
	v_and_b32_e32 v2, 0xffff, v2
	v_and_b32_e32 v12, 0xf0f0f0f, v134
	s_delay_alu instid0(VALU_DEP_3) | instskip(SKIP_3) | instid1(VALU_DEP_4)
	v_dual_lshlrev_b32 v3, 16, v3 :: v_dual_bitop2_b32 v0, v0, v1 bitop3:0x54
	v_and_or_b32 v1, 0x30303030, v5, v7
	v_lshlrev_b16 v5, 8, v6
	v_lshlrev_b16 v8, 8, v4
	v_or_b32_e32 v2, v2, v3
	v_and_b32_e32 v11, 0xf0f0f0f, v11
	v_lshrrev_b32_e32 v7, 16, v1
	v_lshlrev_b16 v9, 8, v1
	v_add_nc_u16 v5, 0xe000, v5
	v_add_nc_u16 v8, 0xe000, v8
	s_delay_alu instid0(VALU_DEP_4) | instskip(NEXT) | instid1(VALU_DEP_4)
	v_lshlrev_b16 v10, 8, v7
	v_add_nc_u16 v9, 0xe000, v9
	s_delay_alu instid0(VALU_DEP_4) | instskip(NEXT) | instid1(VALU_DEP_4)
	v_lshrrev_b16 v5, 8, v5
	v_lshrrev_b16 v8, 8, v8
	s_delay_alu instid0(VALU_DEP_4) | instskip(NEXT) | instid1(VALU_DEP_4)
	v_add_nc_u16 v10, 0xe000, v10
	v_lshrrev_b16 v3, 8, v9
	s_delay_alu instid0(VALU_DEP_4) | instskip(NEXT) | instid1(VALU_DEP_4)
	v_bitop3_b16 v5, v6, v5, 0x3f00 bitop3:0xec
	v_bitop3_b16 v4, v4, v8, 0x3f00 bitop3:0xec
	v_ashrrev_i32_e32 v8, v25, v104
	v_lshrrev_b16 v6, 8, v10
	v_bitop3_b16 v1, v1, v3, 0x3f00 bitop3:0xec
	v_add_nc_u16 v3, 0xe000, v5
	v_add_nc_u16 v4, 0xe000, v4
	v_lshrrev_b32_e32 v9, 4, v103
	v_bitop3_b16 v5, v7, v6, 0x3f00 bitop3:0xec
	v_and_b32_e32 v6, 0xf0f0f0f, v103
	v_lshlrev_b32_e32 v7, 4, v8
	v_and_b32_e32 v3, 0xffff, v3
	v_add_nc_u16 v1, 0xe000, v1
	v_add_nc_u16 v5, 0xe000, v5
	ds_store_2addr_b32 v37, v0, v2 offset1:16
	v_and_or_b32 v6, 0x30303030, v7, v6
	v_lshlrev_b32_e32 v4, 16, v4
	v_and_b32_e32 v7, 0xf0f0f0f, v9
	v_and_b32_e32 v1, 0xffff, v1
	s_delay_alu instid0(VALU_DEP_4) | instskip(NEXT) | instid1(VALU_DEP_4)
	v_dual_lshrrev_b32 v9, 16, v6 :: v_dual_lshlrev_b32 v5, 16, v5
	v_or_b32_e32 v3, v3, v4
	s_delay_alu instid0(VALU_DEP_4) | instskip(SKIP_1) | instid1(VALU_DEP_4)
	v_and_or_b32 v4, 0x30303030, v8, v7
	v_lshlrev_b16 v10, 8, v6
	v_lshlrev_b16 v7, 8, v9
	v_or_b32_e32 v1, v1, v5
	s_delay_alu instid0(VALU_DEP_4) | instskip(NEXT) | instid1(VALU_DEP_4)
	v_lshlrev_b16 v0, 8, v4
	v_add_nc_u16 v5, 0xe000, v10
	s_delay_alu instid0(VALU_DEP_4)
	v_add_nc_u16 v2, 0xe000, v7
	v_lshrrev_b32_e32 v7, 16, v4
	ds_store_2addr_b32 v39, v3, v1 offset1:16
	v_add_nc_u16 v0, 0xe000, v0
	v_lshrrev_b16 v5, 8, v5
	v_lshrrev_b16 v1, 8, v2
	v_lshlrev_b16 v2, 8, v7
	s_wait_loadcnt 0x0
	v_ashrrev_i32_e32 v10, v25, v135
	v_lshrrev_b16 v0, 8, v0
	v_bitop3_b16 v3, v6, v5, 0x3f00 bitop3:0xec
	v_ashrrev_i32_e32 v5, v25, v133
	v_add_nc_u16 v2, 0xe000, v2
	v_bitop3_b16 v1, v9, v1, 0x3f00 bitop3:0xec
	v_and_b32_e32 v6, 0xf0f0f0f, v105
	v_bitop3_b16 v0, v4, v0, 0x3f00 bitop3:0xec
	v_lshlrev_b32_e32 v8, 4, v5
	v_lshrrev_b16 v2, 8, v2
	v_add_nc_u16 v3, 0xe000, v3
	v_add_nc_u16 v1, 0xe000, v1
	v_lshlrev_b32_e32 v13, 4, v10
	v_and_or_b32 v4, 0x30303030, v8, v6
	v_bitop3_b16 v2, v7, v2, 0x3f00 bitop3:0xec
	v_and_b32_e32 v3, 0xffff, v3
	v_lshlrev_b32_e32 v1, 16, v1
	v_add_nc_u16 v0, 0xe000, v0
	v_lshlrev_b16 v7, 8, v4
	v_add_nc_u16 v2, 0xe000, v2
	v_dual_lshrrev_b32 v6, 4, v105 :: v_dual_lshrrev_b32 v8, 16, v4
	v_or_b32_e32 v1, v3, v1
	s_delay_alu instid0(VALU_DEP_4) | instskip(NEXT) | instid1(VALU_DEP_4)
	v_add_nc_u16 v3, 0xe000, v7
	v_lshlrev_b32_e32 v2, 16, v2
	s_delay_alu instid0(VALU_DEP_4) | instskip(SKIP_1) | instid1(VALU_DEP_4)
	v_and_b32_e32 v6, 0xf0f0f0f, v6
	v_and_b32_e32 v0, 0xffff, v0
	v_lshrrev_b16 v3, 8, v3
	s_delay_alu instid0(VALU_DEP_3) | instskip(SKIP_1) | instid1(VALU_DEP_4)
	v_and_or_b32 v5, 0x30303030, v5, v6
	v_lshlrev_b16 v6, 8, v8
	v_or_b32_e32 v0, v0, v2
	s_delay_alu instid0(VALU_DEP_4) | instskip(NEXT) | instid1(VALU_DEP_4)
	v_bitop3_b16 v3, v4, v3, 0x3f00 bitop3:0xec
	v_lshrrev_b32_e32 v7, 16, v5
	v_lshlrev_b16 v9, 8, v5
	v_add_nc_u16 v6, 0xe000, v6
	s_delay_alu instid0(VALU_DEP_4)
	v_add_nc_u16 v3, 0xe000, v3
	ds_store_2addr_b32 v41, v1, v0 offset1:16
	v_lshlrev_b16 v4, 8, v7
	v_add_nc_u16 v9, 0xe000, v9
	v_lshrrev_b16 v6, 8, v6
	v_and_b32_e32 v3, 0xffff, v3
	v_cvt_f32_f16_e32 v0, v94
	v_add_nc_u16 v4, 0xe000, v4
	v_lshrrev_b16 v9, 8, v9
	v_bitop3_b16 v6, v8, v6, 0x3f00 bitop3:0xec
	v_and_or_b32 v8, 0x30303030, v13, v12
	s_delay_alu instid0(VALU_DEP_4) | instskip(NEXT) | instid1(VALU_DEP_4)
	v_lshrrev_b16 v4, 8, v4
	v_bitop3_b16 v5, v5, v9, 0x3f00 bitop3:0xec
	v_and_or_b32 v9, 0x30303030, v10, v11
	v_add_nc_u16 v6, 0xe000, v6
	v_lshlrev_b16 v11, 8, v8
	v_bitop3_b16 v4, v7, v4, 0x3f00 bitop3:0xec
	s_delay_alu instid0(VALU_DEP_4) | instskip(NEXT) | instid1(VALU_DEP_4)
	v_dual_lshrrev_b32 v7, 16, v8 :: v_dual_lshrrev_b32 v10, 16, v9
	v_lshlrev_b32_e32 v6, 16, v6
	v_lshlrev_b16 v13, 8, v9
	v_add_nc_u16 v11, 0xe000, v11
	s_delay_alu instid0(VALU_DEP_4)
	v_lshlrev_b16 v12, 8, v7
	v_lshlrev_b16 v14, 8, v10
	v_add_nc_u16 v5, 0xe000, v5
	v_add_nc_u16 v13, 0xe000, v13
	v_lshrrev_b16 v11, 8, v11
	v_add_nc_u16 v12, 0xe000, v12
	v_add_nc_u16 v14, 0xe000, v14
	;; [unrolled: 1-line block ×3, first 2 shown]
	v_lshrrev_b16 v13, 8, v13
	v_bitop3_b16 v8, v8, v11, 0x3f00 bitop3:0xec
	v_lshrrev_b16 v12, 8, v12
	v_lshrrev_b16 v14, 8, v14
	v_and_b32_e32 v5, 0xffff, v5
	v_bitop3_b16 v9, v9, v13, 0x3f00 bitop3:0xec
	v_add_nc_u16 v8, 0xe000, v8
	v_bitop3_b16 v7, v7, v12, 0x3f00 bitop3:0xec
	v_bitop3_b16 v10, v10, v14, 0x3f00 bitop3:0xec
	v_or_b32_e32 v2, v3, v6
	v_add_nc_u16 v9, 0xe000, v9
	v_and_b32_e32 v8, 0xffff, v8
	v_add_nc_u16 v7, 0xe000, v7
	v_add_nc_u16 v10, 0xe000, v10
	v_lshlrev_b32_e32 v4, 16, v4
	v_and_b32_e32 v9, 0xffff, v9
	s_delay_alu instid0(VALU_DEP_3) | instskip(NEXT) | instid1(VALU_DEP_3)
	v_dual_lshlrev_b32 v7, 16, v7 :: v_dual_lshlrev_b32 v10, 16, v10
	v_or_b32_e32 v3, v5, v4
	s_delay_alu instid0(VALU_DEP_2) | instskip(NEXT) | instid1(VALU_DEP_3)
	v_or_b32_e32 v4, v8, v7
	v_or_b32_e32 v5, v9, v10
	ds_store_2addr_b32 v43, v2, v3 offset1:16
	ds_store_2addr_b32 v45, v4, v5 offset1:16
	ds_store_b32 v49, v0
	ds_store_b32 v51, v95
	;; [unrolled: 1-line block ×3, first 2 shown]
	s_cbranch_scc0 .LBB195_4
; %bb.6:                                ;   in Loop: Header=BB195_5 Depth=1
	s_lshl_b32 s17, s12, 3
	s_delay_alu instid0(SALU_CYCLE_1) | instskip(NEXT) | instid1(VALU_DEP_1)
	v_add_nc_u32_e32 v0, s17, v59
	v_cmp_gt_i32_e32 vcc_lo, s5, v0
	s_and_b32 s21, s1, vcc_lo
	s_delay_alu instid0(SALU_CYCLE_1)
	s_and_saveexec_b32 s20, s21
	s_cbranch_execz .LBB195_8
; %bb.7:                                ;   in Loop: Header=BB195_5 Depth=1
	v_add_nc_u32_e32 v0, v46, v0
	s_delay_alu instid0(VALU_DEP_1)
	v_mad_nc_i64_i32 v[0:1], v0, 36, v[52:53]
	global_load_b32 v0, v[0:1], off offset:4
	s_wait_loadcnt 0x0
	ds_store_b32 v57, v0
.LBB195_8:                              ;   in Loop: Header=BB195_5 Depth=1
	s_or_b32 exec_lo, exec_lo, s20
	v_add_nc_u32_e32 v8, s17, v23
	s_delay_alu instid0(VALU_DEP_1) | instskip(SKIP_1) | instid1(SALU_CYCLE_1)
	v_cmp_gt_i32_e32 vcc_lo, s5, v8
	s_and_b32 s21, s19, vcc_lo
	s_and_saveexec_b32 s20, s21
	s_cbranch_execz .LBB195_10
; %bb.9:                                ;   in Loop: Header=BB195_5 Depth=1
	v_add_nc_u32_e32 v0, v46, v8
	s_delay_alu instid0(VALU_DEP_1)
	v_mad_nc_i64_i32 v[0:1], v0, 36, s[2:3]
	global_load_b32 v0, v[0:1], off
	s_wait_loadcnt 0x0
	v_cvt_f32_f16_e32 v0, v0
	ds_store_b32 v116, v0
.LBB195_10:                             ;   in Loop: Header=BB195_5 Depth=1
	s_or_b32 exec_lo, exec_lo, s20
	s_wait_dscnt 0x0
	s_barrier_signal -1
	s_barrier_wait -1
	ds_load_b32 v9, v106
	ds_load_b32 v88, v108 offset:128
	ds_load_b32 v89, v109 offset:256
	;; [unrolled: 1-line block ×3, first 2 shown]
	s_mov_b32 s21, 0
	s_mov_b32 s20, -1
.LBB195_11:                             ;   Parent Loop BB195_5 Depth=1
                                        ; =>  This Inner Loop Header: Depth=2
	s_lshl_b32 s23, s21, 3
	v_lshl_or_b32 v133, s21, 1, v31
	s_lshr_b32 s22, s21, 1
	v_dual_add_nc_u32 v136, s23, v112 :: v_dual_add_nc_u32 v137, s23, v113
	s_add_co_i32 s21, s22, 0x8200
	v_dual_add_nc_u32 v138, s23, v114 :: v_dual_add_nc_u32 v139, s23, v115
	v_add3_u32 v4, s21, v119, v120
	v_add3_u32 v5, s21, v121, v122
	;; [unrolled: 1-line block ×3, first 2 shown]
	v_lshlrev_b32_e32 v140, 2, v133
	ds_load_2addr_b32 v[10:11], v136 offset0:6 offset1:7
	ds_load_2addr_b32 v[66:67], v136 offset0:10 offset1:11
	;; [unrolled: 1-line block ×9, first 2 shown]
	ds_load_u16 v141, v139 offset:32
	ds_load_b128 v[0:3], v139 offset:34
	ds_load_2addr_b32 v[84:85], v137 offset0:14 offset1:15
	ds_load_2addr_b32 v[68:69], v138 offset0:6 offset1:7
	;; [unrolled: 1-line block ×4, first 2 shown]
	ds_load_b32 v142, v4
	ds_load_2addr_b32 v[94:95], v136 offset0:12 offset1:13
	ds_load_b32 v103, v5
	ds_load_2addr_b32 v[96:97], v137 offset0:12 offset1:13
	ds_load_2addr_b32 v[98:99], v137 offset0:10 offset1:11
	ds_load_b32 v100, v6
	ds_load_2addr_b32 v[104:105], v138 offset0:11 offset1:12
	ds_load_2addr_b32 v[134:135], v138 offset0:9 offset1:10
	ds_load_b128 v[4:7], v140 offset:35440
	ds_load_b128 v[80:83], v140 offset:35424
	s_and_b32 vcc_lo, exec_lo, s20
	s_mov_b32 s20, 0
	s_wait_dscnt 0x10
	v_perm_b32 v143, v79, v79, 0x706000c
	v_perm_b32 v91, v78, v78, 0xc0c0c03
	s_wait_dscnt 0xe
	v_bfe_i32 v146, v2, 8, 8
	v_bfe_i32 v147, v2, 0, 8
	v_perm_b32 v149, v3, v0, 0xc0c0402
	v_perm_b32 v150, v2, v0, 0xc0c0600
	;; [unrolled: 1-line block ×4, first 2 shown]
	s_wait_dscnt 0x8
	v_perm_b32 v0, v92, v95, 0x7060403
	v_ashrrev_i32_e32 v102, 24, v3
	v_bfe_i32 v144, v3, 16, 8
	v_ashrrev_i32_e32 v145, 24, v1
	v_bfe_i32 v101, v1, 0, 8
	v_bfe_i32 v148, v1, 16, 8
	;; [unrolled: 1-line block ×3, first 2 shown]
	s_wait_dscnt 0x1
	v_perm_b32 v2, v94, v6, 0x6040501
	v_perm_b32 v92, v4, v92, 0x6040501
	;; [unrolled: 1-line block ×6, first 2 shown]
	v_dot4_i32_iu8 v2, v92, v2, 0 neg_lo:[1,1,0]
	v_perm_b32 v92, v84, v97, 0x7060403
	v_perm_b32 v84, v4, v84, 0x6040501
	;; [unrolled: 1-line block ×3, first 2 shown]
	v_bfe_i32 v97, v6, 8, 8
	v_dot4_i32_iu8 v2, v94, v3, v2 neg_lo:[1,1,0]
	v_perm_b32 v3, v96, v6, 0x6040501
	v_perm_b32 v94, v5, v96, 0x6040503
	v_bfe_i32 v153, v5, 16, 8
	v_ashrrev_i32_e32 v154, 24, v6
	v_perm_b32 v156, v7, v5, 0xc0c0701
	v_dot4_i32_iu8 v3, v84, v3, 0 neg_lo:[1,1,0]
	v_perm_b32 v84, v105, v6, 0x6040501
	v_perm_b32 v155, v7, v4, 0xc0c0503
	s_wait_dscnt 0x0
	v_bfe_i32 v159, v81, 16, 8
	v_bfe_i32 v160, v80, 8, 8
	v_dot4_i32_iu8 v3, v95, v94, v3 neg_lo:[1,1,0]
	v_perm_b32 v94, v5, v105, 0x6040503
	v_dot4_i32_iu8 v79, v79, v84, 0 neg_lo:[1,1,0]
	v_perm_b32 v84, v6, v5, 0x7060403
	v_bfe_i32 v105, v6, 16, 8
	v_mul_i32_i24_e32 v101, v101, v159
	s_delay_alu instid0(VALU_DEP_4)
	v_dot4_i32_iu8 v78, v78, v94, v79 neg_lo:[1,1,0]
	v_or_b32_e32 v79, v143, v91
	v_dot4_i32_iu8 v0, v84, v0, v2 neg_lo:[1,1,0]
	v_dot4_i32_iu8 v3, v84, v92, v3 neg_lo:[1,1,0]
	v_bfe_i32 v2, v6, 0, 8
	v_ashrrev_i32_e32 v6, 24, v5
	v_dot4_i32_iu8 v78, v84, v79, v78 neg_lo:[1,1,0]
	v_dot4_i32_iu8 v91, v7, v93, v0 neg_lo:[1,1,0]
	v_perm_b32 v0, v70, v82, 0x6040501
	v_dot4_i32_iu8 v93, v7, v85, v3 neg_lo:[1,1,0]
	v_perm_b32 v3, v7, v5, 0xc0c0600
	v_perm_b32 v5, v80, v66, 0x6040501
	v_bfe_i32 v143, v4, 8, 8
	v_bfe_i32 v84, v4, 0, 8
	v_dot4_i32_iu8 v92, v7, v87, v78 neg_lo:[1,1,0]
	v_perm_b32 v4, v7, v4, 0xc0c0402
	v_perm_b32 v7, v81, v70, 0x6040503
	;; [unrolled: 1-line block ×3, first 2 shown]
	v_dot4_i32_iu8 v0, v5, v0, 0 neg_lo:[1,1,0]
	v_perm_b32 v5, v76, v82, 0x6040501
	v_perm_b32 v78, v134, v80, 0x6040503
	;; [unrolled: 1-line block ×4, first 2 shown]
	v_dot4_i32_iu8 v0, v70, v7, v0 neg_lo:[1,1,0]
	v_perm_b32 v7, v80, v98, 0x6040501
	v_perm_b32 v70, v81, v76, 0x6040503
	;; [unrolled: 1-line block ×3, first 2 shown]
	v_bfe_i32 v85, v82, 8, 8
	v_mul_i32_i24_e32 v102, v102, v143
	v_dot4_i32_iu8 v5, v7, v5, 0 neg_lo:[1,1,0]
	v_perm_b32 v7, v77, v80, 0x6040503
	s_delay_alu instid0(VALU_DEP_1) | instskip(SKIP_2) | instid1(VALU_DEP_1)
	v_dot4_i32_iu8 v5, v7, v70, v5 neg_lo:[1,1,0]
	v_perm_b32 v7, v86, v82, 0x6040501
	v_perm_b32 v70, v80, v135, 0x6040501
	v_dot4_i32_iu8 v7, v70, v7, 0 neg_lo:[1,1,0]
	v_perm_b32 v70, v134, v134, 0xc0c0c03
	v_perm_b32 v134, v83, v80, 0xc0c0503
	s_delay_alu instid0(VALU_DEP_3)
	v_dot4_i32_iu8 v7, v78, v76, v7 neg_lo:[1,1,0]
	ds_load_b64 v[78:79], v139 offset:50
	ds_load_u16 v157, v139 offset:58
	ds_load_b32 v158, v139 offset:60
	v_perm_b32 v76, v98, v77, 0x7060403
	v_perm_b32 v77, v82, v81, 0x7060403
	v_or_b32_e32 v70, v71, v70
	ds_load_2addr_b32 v[86:87], v138 offset0:4 offset1:5
	v_dot4_i32_iu8 v0, v77, v66, v0 neg_lo:[1,1,0]
	v_dot4_i32_iu8 v5, v77, v76, v5 neg_lo:[1,1,0]
	v_ashrrev_i32_e32 v76, 24, v82
	s_delay_alu instid0(VALU_DEP_3)
	v_dot4_i32_iu8 v94, v83, v67, v0 neg_lo:[1,1,0]
	v_ashrrev_i32_e32 v0, 24, v81
	v_dot4_i32_iu8 v7, v77, v70, v7 neg_lo:[1,1,0]
	v_dot4_i32_iu8 v95, v83, v99, v5 neg_lo:[1,1,0]
	v_bfe_i32 v5, v80, 0, 8
	v_perm_b32 v99, v83, v81, 0xc0c0600
	s_wait_dscnt 0x3
	v_bfe_i32 v66, v79, 16, 8
	v_dot4_i32_iu8 v96, v83, v104, v7 neg_lo:[1,1,0]
	v_perm_b32 v7, v83, v80, 0xc0c0402
	v_perm_b32 v104, v83, v81, 0xc0c0701
	ds_load_2addr_b32 v[80:81], v139 offset0:6 offset1:7
	v_mul_i32_i24_e32 v2, v66, v2
	s_wait_dscnt 0x2
	v_perm_b32 v66, v158, v78, 0xc0c0501
	v_bfe_i32 v70, v82, 16, 8
	v_perm_b32 v67, v158, v78, 0xc0c0602
	v_mul_i32_i24_e32 v0, v1, v0
	v_perm_b32 v1, v158, v78, 0xc0c0400
	v_dot4_i32_iu8 v98, v66, v155, v2 neg_lo:[1,1,0]
	v_bfe_i32 v66, v79, 8, 8
	v_mul_i32_i24_e32 v2, v144, v84
	v_bfe_i32 v77, v82, 0, 8
	ds_load_2addr_b32 v[82:83], v139 offset0:4 offset1:5
	v_perm_b32 v78, v158, v78, 0xc0c0703
	v_mul_i32_i24_e32 v6, v66, v6
	v_bfe_i32 v66, v157, 0, 8
	v_lshrrev_b16 v157, 8, v157
	s_delay_alu instid0(VALU_DEP_3) | instskip(NEXT) | instid1(VALU_DEP_3)
	v_dot4_i32_iu8 v155, v1, v4, v6 neg_lo:[1,1,0]
	v_mul_i32_i24_e32 v66, v66, v105
	v_mul_i32_i24_e32 v1, v147, v70
	v_bfe_i32 v6, v141, 0, 8
	s_wait_dscnt 0x1
	v_bfe_i32 v84, v81, 0, 8
	ds_load_2addr_b32 v[70:71], v139 offset0:2 offset1:3
	v_dot4_i32_iu8 v144, v67, v3, v66 neg_lo:[1,1,0]
	v_ashrrev_i32_e32 v3, 24, v79
	v_dot4_i32_iu8 v147, v149, v99, v1 neg_lo:[1,1,0]
	v_dot4_i32_iu8 v149, v150, v7, v0 neg_lo:[1,1,0]
	v_mul_i32_i24_e32 v5, v6, v5
	v_mul_i32_i24_e32 v4, v146, v76
	v_mad_i32_i24 v97, v3, v97, v2
	ds_load_b128 v[0:3], v140 offset:35408
	v_mul_i32_i24_e32 v76, v148, v77
	v_mad_i32_i24 v99, v145, v85, v5
	s_wait_dscnt 0x2
	v_bfe_i32 v77, v83, 16, 8
	v_bfe_i32 v6, v80, 16, 8
	v_bfe_i32 v7, v83, 0, 8
	v_dot4_i32_iu8 v148, v152, v134, v76 neg_lo:[1,1,0]
	v_bfe_i32 v76, v81, 8, 8
	v_dot4_i32_iu8 v146, v151, v104, v4 neg_lo:[1,1,0]
	v_ashrrev_i32_e32 v4, 24, v83
	v_perm_b32 v5, v72, v10, 0x6050401
	ds_load_2addr_b32 v[66:67], v138 offset0:2 offset1:3
	v_bfe_i32 v157, v157, 0, 8
	v_perm_b32 v10, v10, v73, 0x7060403
	v_lshrrev_b16 v83, 8, v83
	s_delay_alu instid0(VALU_DEP_3) | instskip(NEXT) | instid1(VALU_DEP_2)
	v_mul_i32_i24_e32 v154, v157, v154
	v_bfe_i32 v83, v83, 0, 8
	s_wait_dscnt 0x1
	v_bfe_i32 v85, v3, 0, 8
	s_delay_alu instid0(VALU_DEP_3) | instskip(SKIP_1) | instid1(VALU_DEP_3)
	v_dot4_i32_iu8 v78, v78, v156, v154 neg_lo:[1,1,0]
	v_ashrrev_i32_e32 v154, 24, v2
	v_mul_i32_i24_e32 v84, v84, v85
	v_bfe_i32 v85, v1, 16, 8
	s_delay_alu instid0(VALU_DEP_1) | instskip(SKIP_3) | instid1(VALU_DEP_3)
	v_mad_i32_i24 v145, v77, v85, v84
	v_bfe_i32 v84, v2, 16, 8
	v_perm_b32 v77, v74, v14, 0x6050401
	v_perm_b32 v14, v14, v75, 0x7060403
	v_mul_i32_i24_e32 v6, v6, v84
	v_bfe_i32 v84, v1, 0, 8
	s_delay_alu instid0(VALU_DEP_1) | instskip(SKIP_2) | instid1(VALU_DEP_2)
	v_mad_i32_i24 v150, v7, v84, v6
	v_bfe_i32 v6, v3, 8, 8
	v_ashrrev_i32_e32 v7, 24, v1
	v_mul_i32_i24_e32 v6, v76, v6
	v_perm_b32 v76, v0, v2, 0x6050401
	s_delay_alu instid0(VALU_DEP_2) | instskip(SKIP_2) | instid1(VALU_DEP_4)
	v_mad_i32_i24 v151, v4, v7, v6
	v_perm_b32 v4, v73, v0, 0x6040503
	v_perm_b32 v6, v1, v72, 0x6040503
	v_dot4_i32_iu8 v5, v5, v76, 0 neg_lo:[1,1,0]
	v_ashrrev_i32_e32 v73, 24, v0
	s_delay_alu instid0(VALU_DEP_2)
	v_dot4_i32_iu8 v152, v6, v4, v5 neg_lo:[1,1,0]
	v_perm_b32 v4, v75, v0, 0x6040503
	v_perm_b32 v5, v1, v74, 0x6040503
	v_dot4_i32_iu8 v6, v77, v76, 0 neg_lo:[1,1,0]
	v_bfe_i32 v74, v71, 0, 8
	v_bfe_i32 v75, v82, 0, 8
	s_delay_alu instid0(VALU_DEP_3)
	v_dot4_i32_iu8 v161, v5, v4, v6 neg_lo:[1,1,0]
	v_perm_b32 v4, v86, v68, 0x6050401
	v_perm_b32 v5, v87, v0, 0x6040503
	;; [unrolled: 1-line block ×4, first 2 shown]
	v_ashrrev_i32_e32 v87, 24, v142
	v_dot4_i32_iu8 v4, v4, v76, 0 neg_lo:[1,1,0]
	ds_load_2addr_b32 v[76:77], v139 offset1:1
	v_dot4_i32_iu8 v162, v6, v5, v4 neg_lo:[1,1,0]
	v_bfe_i32 v4, v82, 8, 8
	v_bfe_i32 v5, v0, 8, 8
	;; [unrolled: 1-line block ×3, first 2 shown]
	s_delay_alu instid0(VALU_DEP_2) | instskip(SKIP_1) | instid1(VALU_DEP_1)
	v_mul_i32_i24_e32 v4, v4, v5
	v_bfe_i32 v5, v80, 8, 8
	v_mad_i32_i24 v72, v5, v6, v4
	v_bfe_i32 v4, v81, 16, 8
	v_bfe_i32 v5, v3, 16, 8
	;; [unrolled: 1-line block ×3, first 2 shown]
	s_delay_alu instid0(VALU_DEP_2) | instskip(SKIP_2) | instid1(VALU_DEP_2)
	v_mul_i32_i24_e32 v4, v4, v5
	v_bfe_i32 v5, v80, 0, 8
	v_ashrrev_i32_e32 v80, 24, v80
	v_mad_i32_i24 v163, v5, v6, v4
	ds_load_b128 v[4:7], v140 offset:35392
	v_mul_i32_i24_e32 v80, v80, v154
	v_lshrrev_b16 v154, 8, v1
	v_perm_b32 v1, v2, v1, 0x7060403
	s_delay_alu instid0(VALU_DEP_2) | instskip(NEXT) | instid1(VALU_DEP_2)
	v_bfe_i32 v154, v154, 0, 8
	v_dot4_i32_iu8 v2, v1, v10, v152 neg_lo:[1,1,0]
	v_dot4_i32_iu8 v10, v1, v14, v161 neg_lo:[1,1,0]
	;; [unrolled: 1-line block ×3, first 2 shown]
	v_bfe_i32 v14, v82, 16, 8
	v_bfe_i32 v68, v0, 16, 8
	v_dot4_i32_iu8 v2, v11, v3, v2 neg_lo:[1,1,0]
	v_mul_i32_i24_e32 v83, v83, v154
	v_bfe_i32 v0, v0, 0, 8
	s_delay_alu instid0(VALU_DEP_4)
	v_mul_i32_i24_e32 v14, v14, v68
	v_ashrrev_i32_e32 v68, 24, v82
	v_lshrrev_b16 v82, 8, v141
	s_wait_dscnt 0x0
	v_bfe_i32 v84, v7, 0, 8
	v_bfe_i32 v85, v5, 16, 8
	;; [unrolled: 1-line block ×3, first 2 shown]
	v_ashrrev_i32_e32 v104, 24, v5
	v_perm_b32 v164, v4, v6, 0x6050401
	v_mul_i32_i24_e32 v74, v74, v84
	v_bfe_i32 v84, v77, 16, 8
	v_bfe_i32 v165, v6, 8, 8
	v_mul_i32_i24_e32 v68, v68, v73
	v_lshrrev_b16 v73, 8, v5
	v_bfe_i32 v166, v6, 0, 8
	v_mad_i32_i24 v74, v84, v85, v74
	v_bfe_i32 v84, v70, 16, 8
	v_bfe_i32 v85, v6, 16, 8
	v_add3_u32 v14, v14, v68, v163
	v_ashrrev_i32_e32 v68, 24, v70
	v_bfe_i32 v73, v73, 0, 8
	v_perm_b32 v141, v3, v3, 0x3020001
	v_mul_i32_i24_e32 v84, v84, v85
	v_bfe_i32 v85, v77, 0, 8
	v_add3_u32 v80, v83, v80, v151
	v_bfe_i32 v83, v142, 0, 8
	v_bfe_i32 v82, v82, 0, 8
	v_mul_i32_i24_e32 v0, v75, v0
	v_mad_i32_i24 v86, v85, v86, v84
	v_bfe_i32 v84, v71, 8, 8
	v_bfe_i32 v85, v7, 8, 8
	v_add3_u32 v80, v150, v145, v80
	v_mul_i32_i24_e32 v82, v82, v160
	s_delay_alu instid0(VALU_DEP_3) | instskip(SKIP_1) | instid1(VALU_DEP_4)
	v_mul_i32_i24_e32 v84, v84, v85
	v_ashrrev_i32_e32 v85, 24, v77
	v_add3_u32 v0, v80, v0, v72
	s_delay_alu instid0(VALU_DEP_2)
	v_mad_i32_i24 v139, v85, v104, v84
	v_add3_u32 v84, s21, v117, v118
	ds_load_b32 v140, v84
	ds_load_2addr_b32 v[84:85], v136 offset0:2 offset1:3
	ds_load_2addr_b32 v[104:105], v136 offset1:1
	s_mov_b32 s21, 8
	s_wait_dscnt 0x2
	v_bfe_i32 v75, v140, 8, 8
	s_wait_dscnt 0x0
	v_perm_b32 v134, v104, v84, 0x6050401
	v_perm_b32 v135, v105, v4, 0x6040503
	;; [unrolled: 1-line block ×3, first 2 shown]
	v_mul_lo_u32 v2, v2, v75
	s_delay_alu instid0(VALU_DEP_4) | instskip(NEXT) | instid1(VALU_DEP_1)
	v_dot4_i32_iu8 v134, v134, v164, 0 neg_lo:[1,1,0]
	v_dot4_i32_iu8 v104, v104, v135, v134 neg_lo:[1,1,0]
	ds_load_2addr_b32 v[134:135], v137 offset1:1
	s_wait_dscnt 0x0
	v_perm_b32 v136, v134, v12, 0x6050401
	v_perm_b32 v137, v135, v4, 0x6040503
	;; [unrolled: 1-line block ×4, first 2 shown]
	v_bfe_i32 v135, v100, 0, 8
	v_dot4_i32_iu8 v136, v136, v164, 0 neg_lo:[1,1,0]
	s_delay_alu instid0(VALU_DEP_1)
	v_dot4_i32_iu8 v134, v134, v137, v136 neg_lo:[1,1,0]
	ds_load_2addr_b32 v[136:137], v138 offset1:1
	s_wait_dscnt 0x0
	v_perm_b32 v138, v136, v66, 0x6050401
	v_perm_b32 v136, v5, v136, 0x6040503
	;; [unrolled: 1-line block ×4, first 2 shown]
	s_delay_alu instid0(VALU_DEP_4) | instskip(SKIP_2) | instid1(VALU_DEP_4)
	v_dot4_i32_iu8 v138, v138, v164, 0 neg_lo:[1,1,0]
	v_perm_b32 v164, v137, v4, 0x6040503
	v_ashrrev_i32_e32 v137, 24, v3
	v_dot4_i32_iu8 v12, v5, v12, v134 neg_lo:[1,1,0]
	v_dot4_i32_iu8 v3, v15, v3, v10 neg_lo:[1,1,0]
	v_bfe_i32 v134, v103, 0, 8
	v_dot4_i32_iu8 v136, v136, v164, v138 neg_lo:[1,1,0]
	v_bfe_i32 v138, v76, 8, 8
	v_bfe_i32 v164, v4, 8, 8
	v_dot4_i32_iu8 v11, v13, v7, v12 neg_lo:[1,1,0]
	s_delay_alu instid0(VALU_DEP_2) | instskip(SKIP_1) | instid1(VALU_DEP_1)
	v_mul_i32_i24_e32 v138, v138, v164
	v_bfe_i32 v164, v70, 8, 8
	v_mad_i32_i24 v138, v164, v165, v138
	v_bfe_i32 v164, v71, 16, 8
	v_bfe_i32 v165, v7, 16, 8
	v_ashrrev_i32_e32 v71, 24, v71
	s_delay_alu instid0(VALU_DEP_2) | instskip(SKIP_2) | instid1(VALU_DEP_2)
	v_mul_i32_i24_e32 v164, v164, v165
	v_bfe_i32 v165, v70, 0, 8
	v_ashrrev_i32_e32 v70, 24, v6
	v_mad_i32_i24 v164, v165, v166, v164
	s_delay_alu instid0(VALU_DEP_2) | instskip(SKIP_3) | instid1(VALU_DEP_3)
	v_mul_i32_i24_e32 v68, v68, v70
	v_lshrrev_b16 v70, 8, v77
	v_perm_b32 v77, v69, v69, 0x7060001
	v_bfe_i32 v69, v76, 16, 8
	v_bfe_i32 v70, v70, 0, 8
	s_delay_alu instid0(VALU_DEP_3) | instskip(NEXT) | instid1(VALU_DEP_2)
	v_dot4_i32_iu8 v1, v77, v141, v1 neg_lo:[1,1,0]
	v_mul_i32_i24_e32 v70, v70, v73
	v_ashrrev_i32_e32 v73, 24, v81
	v_bfe_i32 v81, v4, 16, 8
	s_delay_alu instid0(VALU_DEP_3) | instskip(SKIP_1) | instid1(VALU_DEP_3)
	v_add3_u32 v70, v70, v68, v139
	v_perm_b32 v68, v84, v105, 0x7060403
	v_mul_i32_i24_e32 v81, v69, v81
	v_dual_ashrrev_i32 v69, 24, v4 :: v_dual_ashrrev_i32 v139, 24, v7
	v_bfe_i32 v4, v4, 0, 8
	s_delay_alu instid0(VALU_DEP_4)
	v_dot4_i32_iu8 v6, v5, v68, v104 neg_lo:[1,1,0]
	v_dot4_i32_iu8 v5, v5, v66, v136 neg_lo:[1,1,0]
	v_bfe_i32 v66, v79, 0, 8
	v_dual_ashrrev_i32 v79, 24, v76 :: v_dual_lshrrev_b32 v68, 1, v133
	v_bfe_i32 v76, v76, 0, 8
	v_dual_add_nc_u32 v104, v148, v146 :: v_dual_add_nc_u32 v133, v149, v147
	s_delay_alu instid0(VALU_DEP_3)
	v_mul_i32_i24_e32 v79, v79, v69
	ds_load_b64 v[68:69], v68 offset:36944
	v_mul_i32_i24_e32 v71, v71, v139
	v_add_nc_u32_e32 v139, v155, v144
	v_mul_i32_i24_e32 v73, v73, v137
	v_add3_u32 v79, v81, v79, v164
	v_bfe_i32 v81, v142, 8, 8
	v_bfe_i32 v105, v103, 8, 8
	v_add3_u32 v82, v133, v104, v82
	v_bfe_i32 v133, v100, 8, 8
	v_mul_i32_i24_e32 v4, v76, v4
	v_mul_lo_u32 v3, v3, v81
	v_add3_u32 v10, v86, v74, v70
	v_add3_u32 v0, v0, v14, v73
	v_bfe_i32 v84, v142, 16, 8
	v_dual_ashrrev_i32 v104, 24, v103 :: v_dual_ashrrev_i32 v136, 24, v100
	v_bfe_i32 v103, v103, 16, 8
	v_bfe_i32 v100, v100, 16, 8
	;; [unrolled: 1-line block ×3, first 2 shown]
	v_mul_lo_u32 v1, v1, v105
	v_add3_u32 v4, v10, v4, v138
	v_mad_u32 v3, v11, v83, v3
	v_add3_u32 v10, v82, v99, v101
	v_mul_lo_u32 v0, v0, v133
	v_mul_lo_u32 v12, v94, v76
	;; [unrolled: 1-line block ×5, first 2 shown]
	v_mul_i32_i24_e32 v66, v66, v153
	v_bfe_i32 v137, v140, 0, 8
	v_dot4_i32_iu8 v6, v85, v7, v6 neg_lo:[1,1,0]
	v_dot4_i32_iu8 v5, v67, v7, v5 neg_lo:[1,1,0]
	v_cvt_f32_i32_e32 v3, v3
	v_add3_u32 v4, v4, v79, v71
	v_ashrrev_i32_e32 v140, 24, v140
	v_mad_u32 v2, v6, v137, v2
	v_mad_u32 v1, v5, v134, v1
	s_wait_dscnt 0x0
	v_fma_f32 v3, v68, v3, 0
	v_add_nc_u32_e32 v78, v98, v78
	v_mad_u32 v0, v4, v135, v0
	v_mad_u32 v12, v91, v140, v12
	;; [unrolled: 1-line block ×4, first 2 shown]
	v_add3_u32 v7, v139, v78, v102
	v_cvt_f32_i32_e32 v2, v2
	v_cvt_f32_i32_e32 v1, v1
	s_delay_alu instid0(VALU_DEP_3) | instskip(SKIP_3) | instid1(VALU_DEP_4)
	v_add3_u32 v7, v7, v97, v66
	v_cvt_f32_i32_e32 v0, v0
	v_cvt_f32_i32_e32 v6, v12
	v_fma_f32 v2, v68, v2, 0
	v_mad_u32 v5, v7, v136, v10
	v_cvt_f32_i32_e32 v7, v13
	v_cvt_f32_i32_e32 v4, v4
	v_fma_f32 v1, v68, v1, 0
	v_fma_f32 v0, v68, v0, 0
	s_delay_alu instid0(VALU_DEP_4) | instskip(NEXT) | instid1(VALU_DEP_3)
	v_dual_fmac_f32 v2, v69, v6 :: v_dual_fmac_f32 v3, v69, v7
	v_fmac_f32_e32 v1, v69, v4
	v_cvt_f32_i32_e32 v5, v5
	s_delay_alu instid0(VALU_DEP_2) | instskip(NEXT) | instid1(VALU_DEP_2)
	v_dual_fmac_f32 v107, v88, v3 :: v_dual_fmac_f32 v65, v89, v1
	v_fmac_f32_e32 v0, v69, v5
	s_delay_alu instid0(VALU_DEP_1)
	v_dual_fmac_f32 v110, v9, v2 :: v_dual_fmac_f32 v63, v90, v0
	s_cbranch_vccnz .LBB195_11
; %bb.12:                               ;   in Loop: Header=BB195_5 Depth=1
	s_bitset1_b32 s16, 7
	s_delay_alu instid0(SALU_CYCLE_1)
	s_cmp_ge_i32 s16, s11
	s_barrier_signal -1
	s_barrier_wait -1
	s_cbranch_scc1 .LBB195_4
; %bb.13:                               ;   in Loop: Header=BB195_5 Depth=1
	v_add_nc_u32_e32 v0, s17, v61
	s_delay_alu instid0(VALU_DEP_1) | instskip(SKIP_1) | instid1(SALU_CYCLE_1)
	v_cmp_gt_i32_e32 vcc_lo, s5, v0
	s_and_b32 s17, s1, vcc_lo
	s_and_saveexec_b32 s16, s17
	s_cbranch_execz .LBB195_15
; %bb.14:                               ;   in Loop: Header=BB195_5 Depth=1
	v_add_nc_u32_e32 v0, v46, v0
	s_delay_alu instid0(VALU_DEP_1)
	v_mad_nc_i64_i32 v[0:1], v0, 36, v[52:53]
	global_load_b32 v0, v[0:1], off offset:4
	s_wait_loadcnt 0x0
	ds_store_b32 v57, v0
.LBB195_15:                             ;   in Loop: Header=BB195_5 Depth=1
	s_or_b32 exec_lo, exec_lo, s16
	s_and_saveexec_b32 s16, s0
	s_cbranch_execz .LBB195_18
; %bb.16:                               ;   in Loop: Header=BB195_5 Depth=1
	v_or_b32_e32 v0, 4, v8
	s_delay_alu instid0(VALU_DEP_1) | instskip(SKIP_1) | instid1(SALU_CYCLE_1)
	v_cmp_gt_i32_e32 vcc_lo, s5, v0
	s_and_b32 s17, s1, vcc_lo
	s_and_b32 exec_lo, exec_lo, s17
	s_cbranch_execz .LBB195_18
; %bb.17:                               ;   in Loop: Header=BB195_5 Depth=1
	v_ashrrev_i32_e32 v9, 31, v8
	s_delay_alu instid0(VALU_DEP_1) | instskip(NEXT) | instid1(VALU_DEP_1)
	v_add_nc_u64_e32 v[0:1], v[46:47], v[8:9]
	v_mad_nc_u64_u32 v[2:3], v0, 36, s[2:3]
	s_delay_alu instid0(VALU_DEP_1)
	v_mad_i32_i24 v3, v1, 36, v3
	global_load_b32 v0, v[2:3], off offset:144
	s_wait_loadcnt 0x0
	v_cvt_f32_f16_e32 v0, v0
	ds_store_b32 v116, v0
.LBB195_18:                             ;   in Loop: Header=BB195_5 Depth=1
	s_or_b32 exec_lo, exec_lo, s16
	s_wait_dscnt 0x0
	s_barrier_signal -1
	s_barrier_wait -1
	ds_load_b32 v133, v106
	ds_load_b32 v134, v108 offset:128
	ds_load_b32 v135, v109 offset:256
	;; [unrolled: 1-line block ×3, first 2 shown]
	s_mov_b32 s16, 16
.LBB195_19:                             ;   Parent Loop BB195_5 Depth=1
                                        ; =>  This Inner Loop Header: Depth=2
	s_delay_alu instid0(SALU_CYCLE_1)
	s_lshl_b32 s17, s16, 1
	s_lshl_b32 s21, s16, 3
	v_and_or_b32 v0, s17, 16, v31
	s_lshr_b32 s20, s16, 1
	v_dual_add_nc_u32 v1, s21, v112 :: v_dual_add_nc_u32 v2, s21, v113
	s_add_co_i32 s20, s20, 0x8200
	v_dual_add_nc_u32 v3, s21, v114 :: v_dual_add_nc_u32 v4, s21, v115
	v_add3_u32 v5, s20, v117, v118
	v_add3_u32 v6, s20, v119, v120
	v_add3_u32 v7, s20, v121, v122
	v_add3_u32 v8, s20, v123, v124
	v_dual_lshlrev_b32 v12, 2, v0 :: v_dual_lshrrev_b32 v82, 1, v0
	ds_load_2addr_b32 v[66:67], v1 offset0:6 offset1:7
	ds_load_2addr_b32 v[74:75], v1 offset0:10 offset1:11
	;; [unrolled: 1-line block ×5, first 2 shown]
	ds_load_2addr_b32 v[90:91], v1 offset1:1
	ds_load_2addr_b32 v[72:73], v2 offset0:6 offset1:7
	ds_load_2addr_b32 v[102:103], v2 offset0:8 offset1:9
	;; [unrolled: 1-line block ×8, first 2 shown]
	ds_load_2addr_b32 v[98:99], v3 offset1:1
	ds_load_2addr_b32 v[144:145], v3 offset0:13 offset1:14
	ds_load_2addr_b32 v[80:81], v3 offset0:8 offset1:15
	;; [unrolled: 1-line block ×5, first 2 shown]
	ds_load_2addr_b32 v[152:153], v4 offset1:1
	ds_load_u16 v137, v4 offset:32
	ds_load_b128 v[138:141], v4 offset:34
	ds_load_b64 v[154:155], v4 offset:50
	ds_load_u16 v162, v4 offset:58
	ds_load_b32 v163, v4 offset:60
	ds_load_2addr_b32 v[84:85], v1 offset0:14 offset1:15
	ds_load_2addr_b32 v[100:101], v2 offset1:1
	ds_load_2addr_b32 v[156:157], v1 offset0:12 offset1:13
	ds_load_2addr_b32 v[158:159], v2 offset0:12 offset1:13
	;; [unrolled: 1-line block ×5, first 2 shown]
	ds_load_b32 v164, v6
	ds_load_b32 v165, v7
	;; [unrolled: 1-line block ×4, first 2 shown]
	ds_load_b128 v[0:3], v12 offset:35392
	ds_load_b128 v[4:7], v12 offset:35408
	;; [unrolled: 1-line block ×4, first 2 shown]
	ds_load_b64 v[82:83], v82 offset:36944
	s_wait_dscnt 0x27
	v_perm_b32 v168, v74, v105, 0x7060403
	s_wait_dscnt 0x1a
	v_perm_b32 v170, v145, v145, 0x706000c
	v_perm_b32 v169, v144, v144, 0xc0c0c03
	s_wait_dscnt 0x11
	v_lshrrev_b16 v177, 8, v162
	v_bfe_i32 v162, v162, 0, 8
	v_dual_ashrrev_i32 v173, 24, v155 :: v_dual_ashrrev_i32 v174, 24, v141
	s_wait_dscnt 0xd
	v_perm_b32 v216, v84, v157, 0x7060403
	s_wait_dscnt 0xc
	v_perm_b32 v217, v76, v159, 0x7060403
	;; [unrolled: 2-line block ×3, first 2 shown]
	v_bfe_i32 v176, v155, 0, 8
	v_bfe_i32 v178, v155, 16, 8
	;; [unrolled: 1-line block ×3, first 2 shown]
	v_perm_b32 v179, v163, v154, 0xc0c0602
	s_wait_dscnt 0x5
	v_bfe_i32 v230, v167, 8, 8
	v_bfe_i32 v231, v167, 0, 8
	v_bfe_i32 v232, v167, 16, 8
	s_wait_dscnt 0x2
	v_perm_b32 v74, v8, v74, 0x6040501
	s_wait_dscnt 0x1
	v_perm_b32 v233, v156, v14, 0x6040501
	v_perm_b32 v84, v12, v84, 0x6040501
	;; [unrolled: 1-line block ×6, first 2 shown]
	v_dot4_i32_iu8 v84, v84, v233, 0 neg_lo:[1,1,0]
	v_perm_b32 v105, v105, v8, 0x6040503
	v_perm_b32 v88, v8, v88, 0x6040501
	;; [unrolled: 1-line block ×3, first 2 shown]
	v_dot4_i32_iu8 v76, v76, v234, 0 neg_lo:[1,1,0]
	v_dot4_i32_iu8 v84, v157, v156, v84 neg_lo:[1,1,0]
	v_perm_b32 v157, v13, v158, 0x6040503
	v_perm_b32 v158, v159, v12, 0x6040503
	;; [unrolled: 1-line block ×5, first 2 shown]
	v_ashrrev_i32_e32 v167, 24, v167
	v_dot4_i32_iu8 v76, v158, v157, v76 neg_lo:[1,1,0]
	v_perm_b32 v158, v102, v10, 0x6040501
	v_dot4_i32_iu8 v74, v74, v159, 0 neg_lo:[1,1,0]
	v_perm_b32 v102, v9, v102, 0x6040503
	v_ashrrev_i32_e32 v159, 24, v13
	v_perm_b32 v180, v163, v154, 0xc0c0400
	v_dot4_i32_iu8 v88, v88, v158, 0 neg_lo:[1,1,0]
	v_dot4_i32_iu8 v74, v105, v104, v74 neg_lo:[1,1,0]
	v_perm_b32 v105, v87, v14, 0x6040501
	v_perm_b32 v87, v13, v87, 0x6040503
	;; [unrolled: 1-line block ×3, first 2 shown]
	v_dot4_i32_iu8 v88, v103, v102, v88 neg_lo:[1,1,0]
	v_perm_b32 v103, v144, v12, 0x6040503
	v_perm_b32 v144, v80, v10, 0x6040501
	v_dot4_i32_iu8 v105, v145, v105, 0 neg_lo:[1,1,0]
	v_perm_b32 v145, v8, v161, 0x6040501
	v_perm_b32 v80, v9, v80, 0x6040503
	;; [unrolled: 1-line block ×4, first 2 shown]
	v_dot4_i32_iu8 v87, v103, v87, v105 neg_lo:[1,1,0]
	v_bfe_i32 v105, v14, 16, 8
	v_dot4_i32_iu8 v144, v145, v144, 0 neg_lo:[1,1,0]
	v_bfe_i32 v160, v177, 0, 8
	v_perm_b32 v161, v15, v12, 0xc0c0402
	v_mul_i32_i24_e32 v155, v155, v159
	v_mul_i32_i24_e32 v105, v162, v105
	v_dot4_i32_iu8 v80, v158, v80, v144 neg_lo:[1,1,0]
	v_perm_b32 v158, v15, v13, 0xc0c0600
	v_perm_b32 v181, v163, v154, 0xc0c0703
	v_dot4_i32_iu8 v155, v180, v161, v155 neg_lo:[1,1,0]
	v_bfe_i32 v161, v14, 0, 8
	v_perm_b32 v162, v15, v13, 0xc0c0701
	v_dot4_i32_iu8 v105, v179, v158, v105 neg_lo:[1,1,0]
	v_ashrrev_i32_e32 v158, 24, v14
	v_perm_b32 v154, v163, v154, 0xc0c0501
	v_mul_i32_i24_e32 v161, v178, v161
	v_bfe_i32 v185, v140, 0, 8
	v_lshrrev_b16 v182, 8, v137
	v_mul_i32_i24_e32 v158, v160, v158
	v_bfe_i32 v137, v137, 0, 8
	v_bfe_i32 v175, v141, 16, 8
	;; [unrolled: 1-line block ×4, first 2 shown]
	v_dot4_i32_iu8 v158, v181, v162, v158 neg_lo:[1,1,0]
	v_perm_b32 v162, v15, v12, 0xc0c0503
	v_bfe_i32 v184, v140, 8, 8
	v_perm_b32 v187, v141, v138, 0xc0c0402
	v_perm_b32 v188, v140, v138, 0xc0c0600
	;; [unrolled: 1-line block ×3, first 2 shown]
	v_dot4_i32_iu8 v154, v154, v162, v161 neg_lo:[1,1,0]
	v_bfe_i32 v162, v10, 16, 8
	v_perm_b32 v138, v140, v138, 0xc0c0701
	v_bfe_i32 v140, v146, 8, 8
	v_dual_ashrrev_i32 v191, 24, v149 :: v_dual_ashrrev_i32 v196, 24, v146
	s_delay_alu instid0(VALU_DEP_4)
	v_mul_i32_i24_e32 v162, v185, v162
	v_bfe_i32 v185, v8, 0, 8
	v_bfe_i32 v193, v146, 0, 8
	;; [unrolled: 1-line block ×4, first 2 shown]
	v_mul_i32_i24_e32 v175, v175, v177
	v_mul_i32_i24_e32 v137, v137, v185
	v_bfe_i32 v185, v10, 0, 8
	v_dual_ashrrev_i32 v163, 24, v139 :: v_dual_ashrrev_i32 v190, 24, v148
	v_bfe_i32 v183, v139, 0, 8
	v_bfe_i32 v139, v139, 8, 8
	s_delay_alu instid0(VALU_DEP_4)
	v_mul_i32_i24_e32 v185, v186, v185
	v_bfe_i32 v186, v6, 16, 8
	v_bfe_i32 v194, v147, 8, 8
	v_ashrrev_i32_e32 v177, 24, v7
	v_mad_i32_i24 v104, v173, v104, v175
	v_ashrrev_i32_e32 v173, 24, v9
	v_perm_b32 v175, v11, v9, 0xc0c0600
	v_mul_i32_i24_e32 v146, v146, v186
	v_bfe_i32 v186, v7, 8, 8
	v_bfe_i32 v195, v147, 0, 8
	;; [unrolled: 1-line block ×3, first 2 shown]
	v_dual_ashrrev_i32 v147, 24, v147 :: v_dual_ashrrev_i32 v204, 24, v152
	v_perm_b32 v198, v92, v66, 0x6050401
	v_dot4_i32_iu8 v162, v187, v175, v162 neg_lo:[1,1,0]
	v_ashrrev_i32_e32 v175, 24, v10
	v_perm_b32 v180, v11, v8, 0xc0c0402
	v_mul_i32_i24_e32 v139, v139, v173
	v_bfe_i32 v12, v12, 8, 8
	v_mul_i32_i24_e32 v186, v194, v186
	v_perm_b32 v194, v4, v6, 0x6050401
	v_lshrrev_b16 v171, 8, v149
	v_bfe_i32 v189, v148, 16, 8
	v_perm_b32 v199, v94, v72, 0x6050401
	v_bfe_i32 v202, v150, 8, 8
	v_dual_ashrrev_i32 v205, 24, v153 :: v_dual_ashrrev_i32 v210, 24, v150
	v_bfe_i32 v207, v150, 0, 8
	v_bfe_i32 v150, v150, 16, 8
	v_lshrrev_b16 v156, 8, v5
	v_bfe_i32 v102, v13, 16, 8
	v_bfe_i32 v145, v9, 16, 8
	v_bfe_i32 v159, v4, 16, 8
	v_ashrrev_i32_e32 v160, 24, v4
	v_dot4_i32_iu8 v139, v188, v180, v139 neg_lo:[1,1,0]
	v_ashrrev_i32_e32 v180, 24, v0
	v_perm_b32 v181, v11, v9, 0xc0c0701
	v_mul_i32_i24_e32 v175, v184, v175
	v_mul_i32_i24_e32 v12, v174, v12
	v_bfe_i32 v174, v8, 8, 8
	v_bfe_i32 v182, v182, 0, 8
	v_ashrrev_i32_e32 v187, 24, v6
	v_mul_i32_i24_e32 v147, v147, v177
	v_dot4_i32_iu8 v177, v198, v194, 0 neg_lo:[1,1,0]
	v_bfe_i32 v198, v2, 16, 8
	v_bfe_i32 v188, v7, 0, 8
	;; [unrolled: 1-line block ×3, first 2 shown]
	v_perm_b32 v212, v90, v68, 0x6050401
	v_perm_b32 v213, v100, v70, 0x6050401
	;; [unrolled: 1-line block ×3, first 2 shown]
	v_lshrrev_b16 v157, 8, v1
	v_bfe_i32 v161, v7, 16, 8
	v_bfe_i32 v179, v2, 8, 8
	;; [unrolled: 1-line block ×3, first 2 shown]
	v_dot4_i32_iu8 v141, v141, v181, v175 neg_lo:[1,1,0]
	v_perm_b32 v90, v1, v90, 0x6040503
	v_perm_b32 v100, v1, v100, 0x6040503
	;; [unrolled: 1-line block ×3, first 2 shown]
	v_or_b32_e32 v181, v220, v219
	v_mul_i32_i24_e32 v102, v176, v102
	v_ashrrev_i32_e32 v176, 24, v1
	v_mul_i32_i24_e32 v174, v182, v174
	v_bfe_i32 v182, v1, 0, 8
	v_mul_i32_i24_e32 v145, v183, v145
	v_bfe_i32 v183, v1, 16, 8
	v_mul_i32_i24_e32 v159, v189, v159
	v_mul_i32_i24_e32 v160, v190, v160
	v_ashrrev_i32_e32 v189, 24, v5
	v_mul_i32_i24_e32 v187, v196, v187
	v_bfe_i32 v190, v5, 0, 8
	v_dot4_i32_iu8 v196, v199, v194, 0 neg_lo:[1,1,0]
	v_ashrrev_i32_e32 v199, 24, v2
	v_mul_i32_i24_e32 v150, v150, v198
	v_perm_b32 v8, v11, v8, 0xc0c0503
	v_bfe_i32 v171, v171, 0, 8
	v_perm_b32 v198, v0, v2, 0x6050401
	v_perm_b32 v1, v2, v1, 0x7060403
	v_bfe_i32 v2, v156, 0, 8
	v_perm_b32 v200, v96, v142, 0x6050401
	v_bfe_i32 v201, v148, 8, 8
	v_bfe_i32 v148, v148, 0, 8
	v_perm_b32 v66, v66, v93, 0x7060403
	v_perm_b32 v72, v72, v95, 0x7060403
	;; [unrolled: 1-line block ×6, first 2 shown]
	v_mul_i32_i24_e32 v188, v195, v188
	v_bfe_i32 v195, v4, 8, 8
	v_bfe_i32 v4, v4, 0, 8
	;; [unrolled: 1-line block ×4, first 2 shown]
	v_perm_b32 v92, v5, v92, 0x6040503
	v_perm_b32 v94, v5, v94, 0x6040503
	v_mul_i32_i24_e32 v161, v197, v161
	v_bfe_i32 v197, v5, 16, 8
	v_dot4_i32_iu8 v8, v138, v8, v185 neg_lo:[1,1,0]
	v_mul_i32_i24_e32 v2, v171, v2
	v_mad_i32_i24 v138, v192, v190, v146
	v_mad_i32_i24 v146, v191, v189, v186
	v_lshrrev_b16 v172, 8, v153
	v_bfe_i32 v208, v151, 8, 8
	v_mul_i32_i24_e32 v4, v148, v4
	v_bfe_i32 v148, v3, 8, 8
	v_bfe_i32 v144, v6, 8, 8
	;; [unrolled: 1-line block ×3, first 2 shown]
	v_dual_ashrrev_i32 v170, 24, v3 :: v_dual_bitop2_b32 v169, v170, v169 bitop3:0x54
	v_perm_b32 v96, v5, v96, 0x6040503
	v_dot4_i32_iu8 v194, v200, v194, 0 neg_lo:[1,1,0]
	v_mul_i32_i24_e32 v195, v201, v195
	v_perm_b32 v13, v14, v13, 0x7060403
	v_perm_b32 v9, v10, v9, 0x7060403
	;; [unrolled: 1-line block ×3, first 2 shown]
	v_mad_i32_i24 v103, v163, v103, v137
	v_mad_i32_i24 v137, v149, v197, v188
	v_dot4_i32_iu8 v92, v92, v93, v177 neg_lo:[1,1,0]
	v_dot4_i32_iu8 v93, v94, v95, v196 neg_lo:[1,1,0]
	v_add3_u32 v2, v2, v187, v146
	v_bfe_i32 v209, v151, 0, 8
	v_bfe_i32 v211, v151, 16, 8
	v_ashrrev_i32_e32 v151, 24, v151
	v_bfe_i32 v200, v3, 0, 8
	v_mul_i32_i24_e32 v148, v208, v148
	v_bfe_i32 v172, v172, 0, 8
	v_bfe_i32 v156, v157, 0, 8
	v_bfe_i32 v203, v152, 16, 8
	v_bfe_i32 v215, v152, 8, 8
	v_bfe_i32 v152, v152, 0, 8
	v_dot4_i32_iu8 v94, v96, v97, v194 neg_lo:[1,1,0]
	v_mad_i32_i24 v95, v140, v144, v195
	v_mad_i32_i24 v96, v193, v178, v161
	v_dot4_i32_iu8 v84, v13, v216, v84 neg_lo:[1,1,0]
	v_dot4_i32_iu8 v76, v13, v217, v76 neg_lo:[1,1,0]
	;; [unrolled: 1-line block ×6, first 2 shown]
	v_dual_add_nc_u32 v80, v154, v158 :: v_dual_add_nc_u32 v8, v8, v141
	v_add_nc_u32_e32 v87, v155, v105
	v_mul_i32_i24_e32 v14, v210, v199
	v_bfe_i32 v199, v0, 0, 8
	v_dot4_i32_iu8 v66, v5, v66, v92 neg_lo:[1,1,0]
	v_dot4_i32_iu8 v72, v5, v72, v93 neg_lo:[1,1,0]
	v_add3_u32 v2, v138, v137, v2
	v_bfe_i32 v206, v153, 0, 8
	v_bfe_i32 v153, v153, 16, 8
	v_perm_b32 v68, v68, v91, 0x7060403
	v_perm_b32 v70, v70, v101, 0x7060403
	;; [unrolled: 1-line block ×3, first 2 shown]
	v_bfe_i32 v221, v164, 8, 8
	v_bfe_i32 v222, v164, 0, 8
	;; [unrolled: 1-line block ×3, first 2 shown]
	v_ashrrev_i32_e32 v164, 24, v164
	v_bfe_i32 v173, v0, 16, 8
	v_bfe_i32 v175, v3, 16, 8
	v_perm_b32 v91, v91, v0, 0x6040503
	v_perm_b32 v101, v101, v0, 0x6040503
	;; [unrolled: 1-line block ×3, first 2 shown]
	v_mul_i32_i24_e32 v10, v209, v200
	v_mul_i32_i24_e32 v151, v151, v170
	v_bfe_i32 v0, v0, 8, 8
	v_dot4_i32_iu8 v170, v212, v198, 0 neg_lo:[1,1,0]
	v_dot4_i32_iu8 v200, v213, v198, 0 neg_lo:[1,1,0]
	v_mul_i32_i24_e32 v97, v172, v156
	v_mad_i32_i24 v144, v205, v176, v148
	v_mul_i32_i24_e32 v6, v152, v199
	v_perm_b32 v152, v7, v7, 0x3020001
	v_add3_u32 v92, v159, v160, v96
	v_dot4_i32_iu8 v74, v11, v75, v74 neg_lo:[1,1,0]
	v_dot4_i32_iu8 v75, v11, v89, v88 neg_lo:[1,1,0]
	;; [unrolled: 1-line block ×3, first 2 shown]
	v_add3_u32 v11, v87, v80, v12
	v_dot4_i32_iu8 v12, v67, v7, v66 neg_lo:[1,1,0]
	v_dot4_i32_iu8 v7, v73, v7, v72 neg_lo:[1,1,0]
	v_add3_u32 v2, v2, v4, v95
	v_mul_i32_i24_e32 v175, v211, v175
	v_dot4_i32_iu8 v198, v214, v198, 0 neg_lo:[1,1,0]
	v_mul_i32_i24_e32 v0, v215, v0
	v_mad_i32_i24 v10, v153, v183, v10
	v_mad_i32_i24 v140, v206, v182, v150
	v_dot4_i32_iu8 v90, v90, v91, v170 neg_lo:[1,1,0]
	v_dot4_i32_iu8 v91, v100, v101, v200 neg_lo:[1,1,0]
	v_add3_u32 v14, v97, v14, v144
	v_bfe_i32 v227, v166, 8, 8
	v_mul_lo_u32 v7, v7, v221
	v_add3_u32 v2, v2, v92, v147
	v_mul_i32_i24_e32 v173, v203, v173
	v_mul_i32_i24_e32 v180, v204, v180
	v_dot4_i32_iu8 v98, v98, v99, v198 neg_lo:[1,1,0]
	v_mad_i32_i24 v0, v202, v179, v0
	v_mad_i32_i24 v99, v207, v184, v175
	v_dot4_i32_iu8 v70, v1, v70, v91 neg_lo:[1,1,0]
	v_add3_u32 v10, v140, v10, v14
	v_mul_lo_u32 v66, v75, v223
	v_mul_lo_u32 v2, v2, v227
	v_perm_b32 v143, v143, v143, 0x7060001
	v_dot4_i32_iu8 v5, v5, v142, v94 neg_lo:[1,1,0]
	v_dot4_i32_iu8 v68, v1, v68, v90 neg_lo:[1,1,0]
	;; [unrolled: 1-line block ×3, first 2 shown]
	v_add3_u32 v78, v173, v180, v99
	v_dot4_i32_iu8 v84, v15, v85, v84 neg_lo:[1,1,0]
	v_dot4_i32_iu8 v76, v15, v77, v76 neg_lo:[1,1,0]
	;; [unrolled: 1-line block ×4, first 2 shown]
	v_add3_u32 v0, v10, v6, v0
	v_bfe_i32 v224, v165, 8, 8
	v_bfe_i32 v228, v166, 0, 8
	v_dot4_i32_iu8 v5, v143, v152, v5 neg_lo:[1,1,0]
	v_mad_u32 v7, v15, v222, v7
	v_add3_u32 v0, v0, v78, v151
	v_mad_u32 v10, v76, v164, v66
	v_bfe_i32 v225, v165, 0, 8
	v_mul_lo_u32 v5, v5, v224
	v_dot4_i32_iu8 v1, v79, v3, v1 neg_lo:[1,1,0]
	v_mad_u32 v0, v0, v228, v2
	v_dual_ashrrev_i32 v226, 24, v165 :: v_dual_ashrrev_i32 v229, 24, v166
	v_bfe_i32 v165, v165, 16, 8
	v_bfe_i32 v166, v166, 16, 8
	v_cvt_f32_i32_e32 v7, v7
	v_dot4_i32_iu8 v14, v69, v3, v68 neg_lo:[1,1,0]
	v_mul_lo_u32 v3, v74, v232
	v_mul_lo_u32 v4, v9, v165
	v_mad_u32 v1, v1, v225, v5
	v_cvt_f32_i32_e32 v5, v10
	v_cvt_f32_i32_e32 v0, v0
	s_wait_dscnt 0x0
	v_fma_f32 v7, v82, v7, 0
	v_mul_lo_u32 v9, v12, v230
	s_add_co_i32 s17, s16, 8
	s_cmp_lt_u32 s16, 24
	v_fma_f32 v0, v82, v0, 0
	v_fmac_f32_e32 v7, v83, v5
	v_add_nc_u32_e32 v100, v139, v162
	v_mad_u32 v3, v84, v167, v3
	v_mad_u32 v2, v13, v226, v4
	v_cvt_f32_i32_e32 v1, v1
	v_fmac_f32_e32 v107, v134, v7
	v_add3_u32 v8, v100, v8, v174
	v_mad_u32 v9, v14, v231, v9
	s_mov_b32 s16, s17
	v_fma_f32 v1, v82, v1, 0
	s_delay_alu instid0(VALU_DEP_3) | instskip(SKIP_3) | instid1(VALU_DEP_4)
	v_add3_u32 v6, v8, v103, v145
	v_add3_u32 v8, v11, v104, v102
	v_cvt_f32_i32_e32 v3, v3
	v_cvt_f32_i32_e32 v2, v2
	v_mul_lo_u32 v6, v6, v166
	s_delay_alu instid0(VALU_DEP_2) | instskip(NEXT) | instid1(VALU_DEP_1)
	v_fmac_f32_e32 v1, v83, v2
	v_fmac_f32_e32 v65, v135, v1
	s_delay_alu instid0(VALU_DEP_3) | instskip(SKIP_1) | instid1(VALU_DEP_1)
	v_mad_u32 v4, v8, v229, v6
	v_cvt_f32_i32_e32 v6, v9
	v_fma_f32 v6, v82, v6, 0
	s_delay_alu instid0(VALU_DEP_3) | instskip(NEXT) | instid1(VALU_DEP_1)
	v_cvt_f32_i32_e32 v4, v4
	v_dual_fmac_f32 v6, v83, v3 :: v_dual_fmac_f32 v0, v83, v4
	s_delay_alu instid0(VALU_DEP_1)
	v_dual_fmac_f32 v110, v133, v6 :: v_dual_fmac_f32 v63, v136, v0
	s_cbranch_scc1 .LBB195_19
; %bb.20:                               ;   in Loop: Header=BB195_5 Depth=1
	s_barrier_signal -1
	s_barrier_wait -1
	s_branch .LBB195_4
.LBB195_21:
	s_mul_i32 s0, s7, s4
	s_wait_loadcnt 0x0
	v_cmp_gt_i32_e32 vcc_lo, s0, v17
	s_and_saveexec_b32 s0, vcc_lo
	s_cbranch_execz .LBB195_30
; %bb.22:
	v_mul_lo_u32 v0, v17, s6
	v_add_nc_u32_e32 v1, s18, v23
	s_mov_b32 s0, exec_lo
	s_delay_alu instid0(VALU_DEP_1)
	v_cmpx_gt_u32_e64 s6, v1
	s_cbranch_execz .LBB195_24
; %bb.23:
	s_delay_alu instid0(VALU_DEP_3)
	v_add_nc_u32_e32 v2, v0, v1
	global_store_b32 v2, v110, s[8:9] scale_offset
.LBB195_24:
	s_wait_xcnt 0x0
	s_or_b32 exec_lo, exec_lo, s0
	v_add_nc_u32_e32 v2, 32, v1
	s_mov_b32 s0, exec_lo
	s_delay_alu instid0(VALU_DEP_1)
	v_cmpx_gt_u32_e64 s6, v2
	s_cbranch_execz .LBB195_26
; %bb.25:
	v_add_nc_u32_e32 v2, v0, v2
	global_store_b32 v2, v107, s[8:9] scale_offset
.LBB195_26:
	s_wait_xcnt 0x0
	s_or_b32 exec_lo, exec_lo, s0
	v_add_nc_u32_e32 v2, 64, v1
	s_mov_b32 s0, exec_lo
	s_delay_alu instid0(VALU_DEP_1)
	v_cmpx_gt_u32_e64 s6, v2
	s_cbranch_execz .LBB195_28
; %bb.27:
	v_add_nc_u32_e32 v2, v0, v2
	global_store_b32 v2, v65, s[8:9] scale_offset
.LBB195_28:
	s_wait_xcnt 0x0
	s_or_b32 exec_lo, exec_lo, s0
	v_add_nc_u32_e32 v1, 0x60, v1
	s_delay_alu instid0(VALU_DEP_1)
	v_cmp_gt_u32_e32 vcc_lo, s6, v1
	s_and_b32 exec_lo, exec_lo, vcc_lo
	s_cbranch_execz .LBB195_30
; %bb.29:
	v_add_nc_u32_e32 v0, v0, v1
	global_store_b32 v0, v63, s[8:9] scale_offset
.LBB195_30:
	s_sendmsg sendmsg(MSG_DEALLOC_VGPRS)
	s_endpgm
	.section	.rodata,"a",@progbits
	.p2align	6, 0x0
	.amdhsa_kernel _ZL8moe_q6_KIfLb0EEvPKvS1_PT_PKiS5_S5_iiiiiii
		.amdhsa_group_segment_fixed_size 37072
		.amdhsa_private_segment_fixed_size 0
		.amdhsa_kernarg_size 76
		.amdhsa_user_sgpr_count 2
		.amdhsa_user_sgpr_dispatch_ptr 0
		.amdhsa_user_sgpr_queue_ptr 0
		.amdhsa_user_sgpr_kernarg_segment_ptr 1
		.amdhsa_user_sgpr_dispatch_id 0
		.amdhsa_user_sgpr_kernarg_preload_length 0
		.amdhsa_user_sgpr_kernarg_preload_offset 0
		.amdhsa_user_sgpr_private_segment_size 0
		.amdhsa_wavefront_size32 1
		.amdhsa_uses_dynamic_stack 0
		.amdhsa_enable_private_segment 0
		.amdhsa_system_sgpr_workgroup_id_x 1
		.amdhsa_system_sgpr_workgroup_id_y 1
		.amdhsa_system_sgpr_workgroup_id_z 0
		.amdhsa_system_sgpr_workgroup_info 0
		.amdhsa_system_vgpr_workitem_id 1
		.amdhsa_next_free_vgpr 235
		.amdhsa_next_free_sgpr 24
		.amdhsa_named_barrier_count 0
		.amdhsa_reserve_vcc 1
		.amdhsa_float_round_mode_32 0
		.amdhsa_float_round_mode_16_64 0
		.amdhsa_float_denorm_mode_32 3
		.amdhsa_float_denorm_mode_16_64 3
		.amdhsa_fp16_overflow 0
		.amdhsa_memory_ordered 1
		.amdhsa_forward_progress 1
		.amdhsa_inst_pref_size 119
		.amdhsa_round_robin_scheduling 0
		.amdhsa_exception_fp_ieee_invalid_op 0
		.amdhsa_exception_fp_denorm_src 0
		.amdhsa_exception_fp_ieee_div_zero 0
		.amdhsa_exception_fp_ieee_overflow 0
		.amdhsa_exception_fp_ieee_underflow 0
		.amdhsa_exception_fp_ieee_inexact 0
		.amdhsa_exception_int_div_zero 0
	.end_amdhsa_kernel
	.section	.text._ZL8moe_q6_KIfLb0EEvPKvS1_PT_PKiS5_S5_iiiiiii,"axG",@progbits,_ZL8moe_q6_KIfLb0EEvPKvS1_PT_PKiS5_S5_iiiiiii,comdat
.Lfunc_end195:
	.size	_ZL8moe_q6_KIfLb0EEvPKvS1_PT_PKiS5_S5_iiiiiii, .Lfunc_end195-_ZL8moe_q6_KIfLb0EEvPKvS1_PT_PKiS5_S5_iiiiiii
                                        ; -- End function
	.set _ZL8moe_q6_KIfLb0EEvPKvS1_PT_PKiS5_S5_iiiiiii.num_vgpr, 235
	.set _ZL8moe_q6_KIfLb0EEvPKvS1_PT_PKiS5_S5_iiiiiii.num_agpr, 0
	.set _ZL8moe_q6_KIfLb0EEvPKvS1_PT_PKiS5_S5_iiiiiii.numbered_sgpr, 24
	.set _ZL8moe_q6_KIfLb0EEvPKvS1_PT_PKiS5_S5_iiiiiii.num_named_barrier, 0
	.set _ZL8moe_q6_KIfLb0EEvPKvS1_PT_PKiS5_S5_iiiiiii.private_seg_size, 0
	.set _ZL8moe_q6_KIfLb0EEvPKvS1_PT_PKiS5_S5_iiiiiii.uses_vcc, 1
	.set _ZL8moe_q6_KIfLb0EEvPKvS1_PT_PKiS5_S5_iiiiiii.uses_flat_scratch, 0
	.set _ZL8moe_q6_KIfLb0EEvPKvS1_PT_PKiS5_S5_iiiiiii.has_dyn_sized_stack, 0
	.set _ZL8moe_q6_KIfLb0EEvPKvS1_PT_PKiS5_S5_iiiiiii.has_recursion, 0
	.set _ZL8moe_q6_KIfLb0EEvPKvS1_PT_PKiS5_S5_iiiiiii.has_indirect_call, 0
	.section	.AMDGPU.csdata,"",@progbits
; Kernel info:
; codeLenInByte = 15152
; TotalNumSgprs: 26
; NumVgprs: 235
; ScratchSize: 0
; MemoryBound: 0
; FloatMode: 240
; IeeeMode: 1
; LDSByteSize: 37072 bytes/workgroup (compile time only)
; SGPRBlocks: 0
; VGPRBlocks: 14
; NumSGPRsForWavesPerEU: 26
; NumVGPRsForWavesPerEU: 235
; NamedBarCnt: 0
; Occupancy: 4
; WaveLimiterHint : 1
; COMPUTE_PGM_RSRC2:SCRATCH_EN: 0
; COMPUTE_PGM_RSRC2:USER_SGPR: 2
; COMPUTE_PGM_RSRC2:TRAP_HANDLER: 0
; COMPUTE_PGM_RSRC2:TGID_X_EN: 1
; COMPUTE_PGM_RSRC2:TGID_Y_EN: 1
; COMPUTE_PGM_RSRC2:TGID_Z_EN: 0
; COMPUTE_PGM_RSRC2:TIDIG_COMP_CNT: 1
	.section	.text._ZL8moe_q6_KIfLb1EEvPKvS1_PT_PKiS5_S5_iiiiiii,"axG",@progbits,_ZL8moe_q6_KIfLb1EEvPKvS1_PT_PKiS5_S5_iiiiiii,comdat
	.globl	_ZL8moe_q6_KIfLb1EEvPKvS1_PT_PKiS5_S5_iiiiiii ; -- Begin function _ZL8moe_q6_KIfLb1EEvPKvS1_PT_PKiS5_S5_iiiiiii
	.p2align	8
	.type	_ZL8moe_q6_KIfLb1EEvPKvS1_PT_PKiS5_S5_iiiiiii,@function
_ZL8moe_q6_KIfLb1EEvPKvS1_PT_PKiS5_S5_iiiiiii: ; @_ZL8moe_q6_KIfLb1EEvPKvS1_PT_PKiS5_S5_iiiiiii
; %bb.0:
	s_load_b128 s[4:7], s[0:1], 0x18
	s_bfe_u32 s2, ttmp6, 0x40010
	s_bfe_u32 s8, ttmp6, 0x40004
	s_add_co_i32 s2, s2, 1
	s_delay_alu instid0(SALU_CYCLE_1)
	s_mul_i32 s3, ttmp7, s2
	s_getreg_b32 s2, hwreg(HW_REG_IB_STS2, 6, 4)
	s_add_co_i32 s8, s8, s3
	s_cmp_eq_u32 s2, 0
	s_cselect_b32 s3, ttmp7, s8
	s_wait_kmcnt 0x0
	s_load_b32 s14, s[6:7], s3 offset:0x0 scale_offset
	s_wait_kmcnt 0x0
	s_cmp_gt_u32 s14, 0xff
	s_cbranch_scc1 .LBB196_30
; %bb.1:
	s_load_b64 s[6:7], s[0:1], 0x28
	s_lshl_b32 s3, s3, 3
	s_wait_kmcnt 0x0
	s_load_b32 s6, s[6:7], 0x0
	s_wait_kmcnt 0x0
	s_cmp_gt_u32 s3, s6
	s_cbranch_scc1 .LBB196_30
; %bb.2:
	v_bfe_u32 v1, v0, 10, 10
	s_and_b32 s11, ttmp6, 15
	v_and_b32_e32 v29, 0x3ff, v0
	v_dual_mov_b32 v112, 0 :: v_dual_mov_b32 v115, 0
	s_delay_alu instid0(VALU_DEP_3)
	v_dual_add_nc_u32 v2, s3, v1 :: v_dual_mov_b32 v110, 0
	s_bfe_u32 s3, ttmp6, 0x4000c
	v_mov_b32_e32 v119, 0
	s_add_co_i32 s3, s3, 1
	global_load_b32 v17, v2, s[4:5] scale_offset
	s_wait_xcnt 0x0
	s_clause 0x2
	s_load_b128 s[4:7], s[0:1], 0x30
	s_load_b64 s[12:13], s[0:1], 0x10
	s_load_b96 s[8:10], s[0:1], 0x40
	s_mul_i32 s3, ttmp9, s3
	s_mov_b32 s15, 0
	s_add_co_i32 s11, s11, s3
	s_cmp_eq_u32 s2, 0
	s_cselect_b32 s2, ttmp9, s11
	s_delay_alu instid0(SALU_CYCLE_1)
	s_lshl_b32 s11, s2, 7
	s_wait_kmcnt 0x0
	s_cmp_lt_i32 s5, 0x100
	s_cbranch_scc1 .LBB196_21
; %bb.3:
	s_load_b128 s[0:3], s[0:1], 0x0
	v_and_b32_e32 v2, 31, v0
	s_mul_i32 s18, s14, s4
	v_dual_lshrrev_b32 v6, 1, v0 :: v_dual_bitop2_b32 v7, 7, v0 bitop3:0x40
	s_ashr_i32 s19, s18, 31
	s_delay_alu instid0(VALU_DEP_2)
	v_cmp_gt_u32_e32 vcc_lo, 16, v2
	v_lshlrev_b32_e32 v3, 1, v2
	s_ashr_i32 s17, s8, 31
	v_and_or_b32 v6, v6, 8, v7
	v_lshlrev_b32_e32 v45, 5, v1
	s_lshr_b32 s14, s17, 27
	v_add_nc_u32_e32 v5, 0xe0, v3
	s_add_co_i32 s8, s8, s14
	s_delay_alu instid0(VALU_DEP_2) | instskip(SKIP_1) | instid1(VALU_DEP_3)
	v_dual_lshlrev_b32 v20, 2, v6 :: v_dual_add_nc_u32 v15, v45, v29
	v_bfe_u32 v23, v0, 2, 8
	v_cndmask_b32_e32 v5, v5, v3, vcc_lo
	v_add_nc_u16 v4, v2, -16
	v_bfe_u32 v16, v0, 5, 5
	s_wait_kmcnt 0x0
	s_add_nc_u64 s[18:19], s[0:1], s[18:19]
	s_not_b32 s0, s11
	s_abs_i32 s1, s10
	s_add_co_i32 s0, s6, s0
	s_cvt_f32_u32 s6, s1
	v_dual_cndmask_b32 v4, v4, v2 :: v_dual_mov_b32 v19, 0
	v_dual_lshlrev_b32 v18, 2, v2 :: v_dual_min_i32 v7, s0, v1
	s_delay_alu instid0(SALU_CYCLE_1)
	v_rcp_iflag_f32_e32 v2, s6
	v_and_b32_e32 v15, 0x7f, v15
	s_sub_co_i32 s14, 0, s1
	v_lshl_add_u32 v23, v1, 3, v23
	v_and_b32_e32 v5, 0xfe, v5
	v_add_min_i32_e64 v6, v1, 16, s0
	v_min_i32_e32 v15, s0, v15
	v_readfirstlane_b32 s6, v2
	s_wait_loadcnt 0x0
	v_sub_nc_u32_e32 v2, 0, v17
	v_and_b32_e32 v25, 0x7f, v23
	v_bitop3_b32 v23, v23, 64, 0x7f bitop3:0x6c
	v_ashrrev_i32_e32 v22, 31, v15
	s_mul_f32 s6, s6, 0x4f7ffffe
	v_max_i32_e32 v2, v17, v2
	v_min_i32_e32 v62, s0, v25
	v_dual_sub_nc_u32 v3, v3, v5 :: v_dual_bitop2_b32 v5, 15, v0 bitop3:0x40
	s_cvt_u32_f32 s6, s6
	v_dual_lshrrev_b32 v22, 27, v22 :: v_dual_min_i32 v64, s0, v23
	v_add_min_i32_e64 v8, v1, 24, s0
	s_delay_alu instid0(SALU_CYCLE_1)
	s_mul_i32 s14, s14, s6
	v_add_lshl_u32 v3, v3, v5, 2
	s_mul_hi_u32 s14, s6, s14
	v_add_nc_u32_e32 v22, v15, v22
	s_add_co_i32 s6, s6, s14
	v_add_min_i32_e64 v5, v1, 8, s0
	v_mul_hi_u32 v24, v2, s6
	v_add_min_i32_e64 v9, v1, 32, s0
	v_ashrrev_i32_e32 v22, 5, v22
	v_add_min_i32_e64 v10, v1, 40, s0
	v_add_min_i32_e64 v11, v1, 48, s0
	v_add_min_i32_e64 v12, v1, 56, s0
	v_add_min_i32_e64 v13, v1, 64, s0
	v_add_min_i32_e64 v14, 0x48, v1, s0
	v_add_min_i32_e64 v48, 0x50, v1, s0
	v_add_min_i32_e64 v50, 0x58, v1, s0
	v_add_min_i32_e64 v52, 0x60, v1, s0
	v_mul_lo_u32 v23, v24, s1
	v_add_min_i32_e64 v54, 0x68, v1, s0
	v_add_min_i32_e64 v56, 0x70, v1, s0
	v_add_min_i32_e64 v58, 0x78, v1, s0
	v_dual_lshlrev_b32 v22, 2, v22 :: v_dual_lshlrev_b32 v25, 2, v15
	v_dual_lshlrev_b32 v26, 2, v0 :: v_dual_ashrrev_i32 v27, 31, v62
	v_ashrrev_i32_e32 v28, 31, v64
	v_mad_u32 v31, 0x104, v7, v3
	v_mad_u32 v33, 0x104, v5, v3
	;; [unrolled: 1-line block ×16, first 2 shown]
	v_add3_u32 v65, v22, v25, 0x8e40
	v_dual_lshrrev_b32 v3, 29, v27 :: v_dual_bitop2_b32 v22, 12, v26 bitop3:0x40
	v_dual_lshrrev_b32 v25, 29, v28 :: v_dual_sub_nc_u32 v2, v2, v23
	v_dual_mov_b32 v23, v19 :: v_dual_add_nc_u32 v26, 1, v24
	s_delay_alu instid0(VALU_DEP_2) | instskip(NEXT) | instid1(VALU_DEP_3)
	v_dual_add_nc_u32 v3, v62, v3 :: v_dual_add_nc_u32 v25, v64, v25
	v_subrev_nc_u32_e32 v27, s1, v2
	v_cmp_le_u32_e32 vcc_lo, s1, v2
	s_delay_alu instid0(VALU_DEP_3) | instskip(NEXT) | instid1(VALU_DEP_4)
	v_dual_lshlrev_b32 v28, 2, v29 :: v_dual_ashrrev_i32 v3, 3, v3
	v_dual_ashrrev_i32 v25, 3, v25 :: v_dual_lshlrev_b32 v30, 4, v64
	s_delay_alu instid0(VALU_DEP_4) | instskip(NEXT) | instid1(VALU_DEP_3)
	v_dual_cndmask_b32 v24, v24, v26, vcc_lo :: v_dual_cndmask_b32 v2, v2, v27, vcc_lo
	v_dual_lshlrev_b32 v3, 2, v3 :: v_dual_bitop2_b32 v26, s10, v17 bitop3:0x14
	s_delay_alu instid0(VALU_DEP_2) | instskip(NEXT) | instid1(VALU_DEP_3)
	v_dual_lshlrev_b32 v25, 2, v25 :: v_dual_add_nc_u32 v27, 1, v24
	v_cmp_le_u32_e32 vcc_lo, s1, v2
	s_delay_alu instid0(VALU_DEP_3) | instskip(NEXT) | instid1(VALU_DEP_3)
	v_dual_ashrrev_i32 v26, 31, v26 :: v_dual_add_nc_u32 v34, 32, v29
	v_add3_u32 v25, v25, v22, 0x8200
	s_delay_alu instid0(VALU_DEP_4)
	v_dual_mov_b32 v21, v19 :: v_dual_cndmask_b32 v2, v24, v27
	v_add3_u32 v24, v3, v22, 0x8200
	v_lshlrev_b32_e32 v27, 4, v62
	v_add_nc_u32_e32 v32, 0x9050, v28
	v_lshl_or_b32 v36, v1, 7, v18
	v_xor_b32_e32 v3, v2, v26
	v_dual_lshlrev_b32 v1, 4, v1 :: v_dual_bitop2_b32 v2, 28, v28 bitop3:0x40
	v_dual_add_nc_u32 v106, v24, v27 :: v_dual_lshrrev_b32 v107, 3, v34
	s_delay_alu instid0(VALU_DEP_3) | instskip(SKIP_4) | instid1(VALU_DEP_3)
	v_sub_nc_u32_e32 v26, v3, v26
	v_dual_add_nc_u32 v109, v25, v30 :: v_dual_lshlrev_b32 v24, 2, v16
	v_dual_add_nc_u32 v25, 64, v29 :: v_dual_mov_b32 v3, v19
	v_dual_mov_b32 v112, v19 :: v_dual_add_nc_u32 v27, 0x60, v29
	v_dual_add_nc_u32 v111, v32, v1 :: v_dual_bitop2_b32 v1, 60, v107 bitop3:0x40
	v_lshrrev_b32_e32 v30, 3, v25
	s_ashr_i32 s8, s8, 5
	v_add3_u32 v114, v24, v28, 0x8e40
	v_mul_lo_u32 v24, v26, s8
	v_lshrrev_b32_e32 v32, 3, v27
	v_bfe_u32 v113, v0, 3, 7
	v_lshlrev_b32_e32 v0, 2, v34
	v_and_b32_e32 v34, 60, v30
	s_ashr_i32 s16, s5, 31
	v_dual_mov_b32 v119, v19 :: v_dual_add_nc_u32 v108, 0x8a40, v36
	s_lshr_b32 s4, s16, 24
	v_and_b32_e32 v36, 60, v32
	v_add3_u32 v116, v28, v1, 0x8e40
	v_lshlrev_b32_e32 v1, 2, v25
	v_add3_u32 v117, v28, v34, 0x8e40
	v_lshlrev_b32_e32 v34, 2, v27
	s_add_co_i32 s4, s5, s4
	v_add3_u32 v118, v28, v36, 0x8e40
	s_ashr_i32 s4, s4, 8
	v_dual_ashrrev_i32 v25, 31, v24 :: v_dual_lshlrev_b32 v122, 2, v30
	v_dual_lshlrev_b32 v120, 2, v28 :: v_dual_lshlrev_b32 v123, 2, v1
	v_dual_lshlrev_b32 v121, 2, v0 :: v_dual_lshlrev_b32 v125, 2, v34
	;; [unrolled: 1-line block ×3, first 2 shown]
	v_mul_lo_u32 v28, v7, s4
	v_mul_lo_u32 v30, v5, s4
	;; [unrolled: 1-line block ×19, first 2 shown]
	v_cmp_lt_u16_e32 vcc_lo, 7, v4
	s_mul_i32 s16, s4, s11
	v_cmp_gt_u32_e64 s0, 4, v29
	v_cmp_gt_i32_e64 s1, s7, v26
	s_movk_i32 s6, 0x2080
	s_movk_i32 s14, 0x4100
	;; [unrolled: 1-line block ×3, first 2 shown]
	v_add_nc_u64_e32 v[26:27], s[2:3], v[2:3]
	s_ashr_i32 s17, s16, 31
	v_cndmask_b32_e64 v126, 0, 2, vcc_lo
	v_mul_u32_u24_e32 v127, 0x104, v29
	v_mad_u32_u24 v128, 0x104, v29, s6
	v_mad_u32_u24 v129, 0x104, v29, s14
	;; [unrolled: 1-line block ×3, first 2 shown]
	v_dual_mov_b32 v115, v19 :: v_dual_lshlrev_b32 v132, 2, v107
	v_mov_b32_e32 v110, v19
	s_mul_u64 s[16:17], s[16:17], 0xd2
	s_and_b32 s6, s0, s1
	s_add_nc_u64 s[16:17], s[18:19], s[16:17]
	s_mov_b32 s14, s15
	s_branch .LBB196_5
.LBB196_4:                              ;   in Loop: Header=BB196_5 Depth=1
	s_add_co_i32 s14, s14, 1
	s_delay_alu instid0(SALU_CYCLE_1)
	s_cmp_eq_u32 s14, s4
	s_cbranch_scc1 .LBB196_21
.LBB196_5:                              ; =>This Loop Header: Depth=1
                                        ;     Child Loop BB196_11 Depth 2
                                        ;     Child Loop BB196_19 Depth 2
	s_mul_u64 s[18:19], s[14:15], 0xd2
	s_delay_alu instid0(SALU_CYCLE_1) | instskip(NEXT) | instid1(SALU_CYCLE_1)
	s_add_nc_u64 s[18:19], s[16:17], s[18:19]
	v_mad_nc_u64_u32 v[0:1], 0xd2, v16, s[18:19]
	s_delay_alu instid0(VALU_DEP_1)
	v_mad_nc_i64_i32 v[2:3], 0xd2, v28, v[0:1]
	v_mad_nc_i64_i32 v[4:5], 0xd2, v30, v[0:1]
	;; [unrolled: 1-line block ×9, first 2 shown]
	v_add_nc_u64_e32 v[70:71], v[2:3], v[20:21]
	v_add_nc_u64_e32 v[72:73], v[4:5], v[20:21]
	;; [unrolled: 1-line block ×8, first 2 shown]
	s_clause 0x7
	global_load_b32 v78, v[70:71], off offset:128
	global_load_b32 v79, v[72:73], off offset:128
	global_load_b32 v80, v[74:75], off
	global_load_b32 v81, v[6:7], off offset:128
	global_load_b32 v82, v[76:77], off
	;; [unrolled: 2-line block ×3, first 2 shown]
	global_load_b32 v85, v[2:3], off
	s_wait_xcnt 0x0
	v_mad_nc_i64_i32 v[2:3], 0xd2, v46, v[0:1]
	v_add_nc_u64_e32 v[4:5], v[10:11], v[18:19]
	v_add_nc_u64_e32 v[6:7], v[10:11], v[20:21]
	;; [unrolled: 1-line block ×8, first 2 shown]
	s_clause 0x1
	global_load_b32 v74, v[4:5], off
	global_load_b32 v75, v[6:7], off offset:128
	s_wait_xcnt 0x0
	v_add_nc_u64_e32 v[6:7], v[68:69], v[20:21]
	v_add_nc_u64_e32 v[4:5], v[68:69], v[18:19]
	s_clause 0x3
	global_load_b32 v76, v[10:11], off offset:128
	global_load_b32 v77, v[8:9], off
	global_load_b32 v86, v[12:13], off
	global_load_b32 v87, v[14:15], off offset:128
	s_wait_xcnt 0x2
	v_add_nc_u64_e32 v[8:9], v[2:3], v[18:19]
	v_add_nc_u64_e32 v[2:3], v[2:3], v[20:21]
	s_clause 0x5
	global_load_b32 v88, v[66:67], off offset:128
	global_load_b32 v89, v[70:71], off
	global_load_b32 v90, v[6:7], off offset:128
	global_load_b32 v91, v[4:5], off
	;; [unrolled: 2-line block ×3, first 2 shown]
	s_wait_xcnt 0x1
	v_mad_nc_i64_i32 v[2:3], 0xd2, v62, s[18:19]
	v_mad_nc_i64_i32 v[4:5], 0xd2, v64, s[18:19]
	;; [unrolled: 1-line block ×3, first 2 shown]
	s_wait_xcnt 0x0
	v_mad_nc_i64_i32 v[8:9], 0xd2, v48, v[0:1]
	v_mad_nc_i64_i32 v[10:11], 0xd2, v50, v[0:1]
	;; [unrolled: 1-line block ×6, first 2 shown]
	s_lshl_b32 s18, s14, 8
	v_add_nc_u64_e32 v[2:3], v[2:3], v[22:23]
	v_add_nc_u64_e32 v[4:5], v[4:5], v[22:23]
	s_clause 0x2
	global_load_u16 v94, v[6:7], off offset:208
	global_load_b32 v95, v[2:3], off offset:192
	global_load_b32 v96, v[4:5], off offset:192
	s_wait_xcnt 0x1
	v_add_nc_u64_e32 v[2:3], v[8:9], v[18:19]
	s_wait_xcnt 0x0
	v_add_nc_u64_e32 v[4:5], v[8:9], v[20:21]
	v_add_nc_u64_e32 v[6:7], v[10:11], v[18:19]
	;; [unrolled: 1-line block ×11, first 2 shown]
	s_clause 0xb
	global_load_b32 v97, v[2:3], off
	global_load_b32 v98, v[4:5], off offset:128
	global_load_b32 v99, v[6:7], off
	global_load_b32 v100, v[8:9], off offset:128
	;; [unrolled: 2-line block ×6, first 2 shown]
	s_cmp_lt_i32 s18, s5
	s_wait_loadcnt 0x21
	s_wait_xcnt 0x0
	v_dual_ashrrev_i32 v0, v126, v78 :: v_dual_ashrrev_i32 v3, v126, v79
	s_wait_loadcnt 0x1f
	v_dual_lshrrev_b32 v8, 4, v80 :: v_dual_ashrrev_i32 v6, v126, v81
	s_wait_loadcnt 0x1d
	v_dual_lshrrev_b32 v11, 4, v82 :: v_dual_ashrrev_i32 v9, v126, v83
	s_wait_loadcnt 0x1b
	v_dual_lshrrev_b32 v5, 4, v84 :: v_dual_lshrrev_b32 v2, 4, v85
	v_and_b32_e32 v1, 0xf0f0f0f, v85
	v_and_b32_e32 v7, 0xf0f0f0f, v80
	v_dual_lshlrev_b32 v80, 4, v0 :: v_dual_lshlrev_b32 v81, 4, v3
	s_delay_alu instid0(VALU_DEP_4)
	v_and_b32_e32 v2, 0xf0f0f0f, v2
	v_and_b32_e32 v4, 0xf0f0f0f, v84
	;; [unrolled: 1-line block ×4, first 2 shown]
	s_wait_loadcnt 0x19
	v_dual_lshrrev_b32 v14, 4, v74 :: v_dual_ashrrev_i32 v12, v126, v75
	s_wait_loadcnt 0x17
	v_dual_ashrrev_i32 v15, v126, v76 :: v_dual_lshrrev_b32 v67, 4, v77
	s_wait_loadcnt 0x15
	v_dual_ashrrev_i32 v68, v126, v87 :: v_dual_lshrrev_b32 v70, 4, v86
	;; [unrolled: 2-line block ×3, first 2 shown]
	v_and_b32_e32 v13, 0xf0f0f0f, v74
	s_wait_loadcnt 0x11
	v_dual_ashrrev_i32 v74, v126, v90 :: v_dual_lshrrev_b32 v76, 4, v91
	v_dual_lshlrev_b32 v82, 4, v6 :: v_dual_lshlrev_b32 v83, 4, v9
	v_and_b32_e32 v8, 0xf0f0f0f, v8
	v_and_b32_e32 v11, 0xf0f0f0f, v11
	v_dual_lshlrev_b32 v84, 4, v12 :: v_dual_lshlrev_b32 v85, 4, v15
	v_and_b32_e32 v14, 0xf0f0f0f, v14
	v_and_b32_e32 v66, 0xf0f0f0f, v77
	;; [unrolled: 1-line block ×5, first 2 shown]
	v_dual_lshlrev_b32 v86, 4, v68 :: v_dual_lshlrev_b32 v87, 4, v71
	v_and_b32_e32 v70, 0xf0f0f0f, v70
	v_and_b32_e32 v73, 0xf0f0f0f, v73
	v_and_or_b32 v1, 0x30303030, v80, v1
	v_and_or_b32 v0, 0x30303030, v0, v2
	v_and_b32_e32 v75, 0xf0f0f0f, v91
	s_wait_loadcnt 0xf
	v_dual_ashrrev_i32 v77, v126, v92 :: v_dual_lshrrev_b32 v79, 4, v93
	v_lshlrev_b32_e32 v88, 4, v74
	v_and_b32_e32 v76, 0xf0f0f0f, v76
	v_and_or_b32 v2, 0x30303030, v81, v4
	v_and_or_b32 v3, 0x30303030, v3, v5
	;; [unrolled: 1-line block ×14, first 2 shown]
	v_lshlrev_b16 v68, 8, v1
	v_dual_lshrrev_b32 v69, 16, v1 :: v_dual_lshrrev_b32 v71, 16, v0
	v_lshlrev_b16 v70, 8, v0
	v_lshlrev_b32_e32 v89, 4, v77
	v_and_or_b32 v66, 0x30303030, v88, v75
	v_and_or_b32 v67, 0x30303030, v74, v76
	v_lshlrev_b16 v72, 8, v2
	v_dual_lshrrev_b32 v73, 16, v2 :: v_dual_lshrrev_b32 v75, 16, v3
	v_lshlrev_b16 v74, 8, v3
	v_lshlrev_b16 v76, 8, v4
	v_dual_lshrrev_b32 v80, 16, v4 :: v_dual_lshrrev_b32 v82, 16, v5
	v_lshlrev_b16 v81, 8, v5
	;; [unrolled: 3-line block ×4, first 2 shown]
	v_and_b32_e32 v78, 0xf0f0f0f, v93
	v_lshlrev_b16 v92, 8, v10
	v_dual_lshrrev_b32 v93, 16, v10 :: v_dual_lshrrev_b32 v137, 16, v11
	v_lshlrev_b16 v136, 8, v11
	v_lshlrev_b16 v138, 8, v12
	v_dual_lshrrev_b32 v139, 16, v12 :: v_dual_lshrrev_b32 v141, 16, v13
	v_lshlrev_b16 v140, 8, v13
	;; [unrolled: 3-line block ×3, first 2 shown]
	v_add_nc_u16 v68, 0xe000, v68
	v_lshlrev_b16 v150, 8, v69
	v_add_nc_u16 v70, 0xe000, v70
	v_lshlrev_b16 v151, 8, v71
	;; [unrolled: 2-line block ×16, first 2 shown]
	v_lshrrev_b16 v68, 8, v68
	v_add_nc_u16 v150, 0xe000, v150
	v_lshrrev_b16 v70, 8, v70
	v_add_nc_u16 v151, 0xe000, v151
	;; [unrolled: 2-line block ×16, first 2 shown]
	v_bitop3_b16 v1, v1, v68, 0x3f00 bitop3:0xec
	v_lshrrev_b16 v68, 8, v150
	v_bitop3_b16 v0, v0, v70, 0x3f00 bitop3:0xec
	v_lshrrev_b16 v70, 8, v151
	v_bitop3_b16 v2, v2, v72, 0x3f00 bitop3:0xec
	v_lshrrev_b16 v72, 8, v152
	v_bitop3_b16 v3, v3, v74, 0x3f00 bitop3:0xec
	v_lshrrev_b16 v74, 8, v153
	v_bitop3_b16 v4, v4, v76, 0x3f00 bitop3:0xec
	v_lshrrev_b16 v76, 8, v154
	v_bitop3_b16 v5, v5, v81, 0x3f00 bitop3:0xec
	v_lshrrev_b16 v81, 8, v155
	v_bitop3_b16 v6, v6, v83, 0x3f00 bitop3:0xec
	v_lshrrev_b16 v83, 8, v156
	v_bitop3_b16 v7, v7, v85, 0x3f00 bitop3:0xec
	v_lshrrev_b16 v85, 8, v157
	v_bitop3_b16 v8, v8, v87, 0x3f00 bitop3:0xec
	v_lshrrev_b16 v87, 8, v158
	v_bitop3_b16 v9, v9, v90, 0x3f00 bitop3:0xec
	v_lshrrev_b16 v90, 8, v159
	v_lshlrev_b16 v146, 8, v66
	v_dual_lshrrev_b32 v147, 16, v66 :: v_dual_lshrrev_b32 v149, 16, v67
	v_lshlrev_b16 v148, 8, v67
	v_bitop3_b16 v10, v10, v92, 0x3f00 bitop3:0xec
	v_lshrrev_b16 v92, 8, v160
	v_bitop3_b16 v11, v11, v136, 0x3f00 bitop3:0xec
	v_lshrrev_b16 v136, 8, v161
	;; [unrolled: 2-line block ×6, first 2 shown]
	v_bitop3_b16 v68, v69, v68, 0x3f00 bitop3:0xec
	v_bitop3_b16 v69, v71, v70, 0x3f00 bitop3:0xec
	;; [unrolled: 1-line block ×10, first 2 shown]
	v_add_nc_u16 v146, 0xe000, v146
	v_lshlrev_b16 v166, 8, v147
	v_add_nc_u16 v148, 0xe000, v148
	v_lshlrev_b16 v167, 8, v149
	v_add_nc_u16 v1, 0xe000, v1
	v_add_nc_u16 v0, 0xe000, v0
	v_bitop3_b16 v81, v93, v92, 0x3f00 bitop3:0xec
	v_bitop3_b16 v82, v137, v136, 0x3f00 bitop3:0xec
	;; [unrolled: 1-line block ×6, first 2 shown]
	v_add_nc_u16 v68, 0xe000, v68
	v_add_nc_u16 v69, 0xe000, v69
	;; [unrolled: 1-line block ×18, first 2 shown]
	v_lshrrev_b16 v146, 8, v146
	v_add_nc_u16 v166, 0xe000, v166
	v_lshrrev_b16 v148, 8, v148
	v_add_nc_u16 v167, 0xe000, v167
	v_add_nc_u16 v10, 0xe000, v10
	;; [unrolled: 1-line block ×7, first 2 shown]
	v_and_b32_e32 v1, 0xffff, v1
	v_and_b32_e32 v0, 0xffff, v0
	v_add_nc_u16 v81, 0xe000, v81
	v_add_nc_u16 v82, 0xe000, v82
	;; [unrolled: 1-line block ×6, first 2 shown]
	v_dual_lshlrev_b32 v68, 16, v68 :: v_dual_lshlrev_b32 v69, 16, v69
	v_and_b32_e32 v2, 0xffff, v2
	v_and_b32_e32 v3, 0xffff, v3
	v_dual_lshlrev_b32 v70, 16, v70 :: v_dual_lshlrev_b32 v71, 16, v71
	v_and_b32_e32 v4, 0xffff, v4
	v_and_b32_e32 v5, 0xffff, v5
	;; [unrolled: 3-line block ×4, first 2 shown]
	v_dual_lshlrev_b32 v76, 16, v76 :: v_dual_lshlrev_b32 v81, 16, v81
	v_dual_lshlrev_b32 v80, 16, v80 :: v_dual_lshlrev_b32 v82, 16, v82
	v_bitop3_b16 v66, v66, v146, 0x3f00 bitop3:0xec
	v_lshrrev_b16 v146, 8, v166
	v_bitop3_b16 v67, v67, v148, 0x3f00 bitop3:0xec
	v_lshrrev_b16 v148, 8, v167
	v_and_b32_e32 v10, 0xffff, v10
	v_and_b32_e32 v11, 0xffff, v11
	v_and_b32_e32 v12, 0xffff, v12
	v_and_b32_e32 v13, 0xffff, v13
	v_and_b32_e32 v14, 0xffff, v14
	v_and_b32_e32 v15, 0xffff, v15
	v_dual_lshlrev_b32 v83, 16, v83 :: v_dual_lshlrev_b32 v84, 16, v84
	v_dual_lshlrev_b32 v85, 16, v85 :: v_dual_lshlrev_b32 v86, 16, v86
	v_or_b32_e32 v1, v1, v68
	v_or_b32_e32 v0, v0, v69
	;; [unrolled: 1-line block ×10, first 2 shown]
	v_bitop3_b16 v87, v147, v146, 0x3f00 bitop3:0xec
	v_bitop3_b16 v88, v149, v148, 0x3f00 bitop3:0xec
	v_or_b32_e32 v10, v10, v81
	v_or_b32_e32 v11, v11, v82
	;; [unrolled: 1-line block ×6, first 2 shown]
	ds_store_2addr_b32 v31, v1, v0 offset1:16
	ds_store_2addr_b32 v33, v2, v3 offset1:16
	;; [unrolled: 1-line block ×8, first 2 shown]
	v_and_or_b32 v4, 0x30303030, v89, v78
	v_add_nc_u16 v66, 0xe000, v66
	v_add_nc_u16 v0, 0xe000, v87
	v_add_nc_u16 v2, 0xe000, v67
	v_and_b32_e32 v3, 0xf0f0f0f, v79
	v_add_nc_u16 v5, 0xe000, v88
	v_lshlrev_b16 v6, 8, v4
	v_and_b32_e32 v1, 0xffff, v66
	v_lshlrev_b32_e32 v0, 16, v0
	v_and_b32_e32 v2, 0xffff, v2
	v_and_or_b32 v3, 0x30303030, v77, v3
	v_lshlrev_b32_e32 v5, 16, v5
	v_add_nc_u16 v6, 0xe000, v6
	v_lshrrev_b32_e32 v7, 16, v4
	s_delay_alu instid0(VALU_DEP_4) | instskip(NEXT) | instid1(VALU_DEP_4)
	v_dual_lshrrev_b32 v1, 16, v3 :: v_dual_bitop2_b32 v0, v1, v0 bitop3:0x54
	v_or_b32_e32 v2, v2, v5
	v_lshlrev_b16 v8, 8, v3
	v_lshrrev_b16 v6, 8, v6
	v_lshlrev_b16 v5, 8, v7
	v_lshlrev_b16 v9, 8, v1
	ds_store_2addr_b32 v49, v0, v2 offset1:16
	v_add_nc_u16 v2, 0xe000, v8
	v_bitop3_b16 v4, v4, v6, 0x3f00 bitop3:0xec
	s_wait_loadcnt 0xa
	v_ashrrev_i32_e32 v6, v126, v98
	v_add_nc_u16 v0, 0xe000, v5
	v_add_nc_u16 v5, 0xe000, v9
	v_lshrrev_b16 v2, 8, v2
	v_and_b32_e32 v8, 0xf0f0f0f, v97
	v_lshlrev_b32_e32 v9, 4, v6
	v_lshrrev_b16 v0, 8, v0
	v_lshrrev_b16 v5, 8, v5
	v_bitop3_b16 v2, v3, v2, 0x3f00 bitop3:0xec
	v_add_nc_u16 v3, 0xe000, v4
	v_and_or_b32 v4, 0x30303030, v9, v8
	v_bitop3_b16 v0, v7, v0, 0x3f00 bitop3:0xec
	v_bitop3_b16 v1, v1, v5, 0x3f00 bitop3:0xec
	v_lshrrev_b32_e32 v5, 4, v97
	v_add_nc_u16 v2, 0xe000, v2
	v_lshrrev_b32_e32 v7, 16, v4
	v_add_nc_u16 v0, 0xe000, v0
	v_add_nc_u16 v1, 0xe000, v1
	v_and_b32_e32 v5, 0xf0f0f0f, v5
	v_lshlrev_b16 v8, 8, v4
	v_lshlrev_b16 v9, 8, v7
	v_and_b32_e32 v3, 0xffff, v3
	v_lshlrev_b32_e32 v0, 16, v0
	v_and_b32_e32 v2, 0xffff, v2
	v_lshlrev_b32_e32 v1, 16, v1
	v_and_or_b32 v5, 0x30303030, v6, v5
	v_add_nc_u16 v6, 0xe000, v8
	v_add_nc_u16 v8, 0xe000, v9
	v_or_b32_e32 v0, v3, v0
	v_or_b32_e32 v1, v2, v1
	v_lshrrev_b32_e32 v2, 16, v5
	v_lshrrev_b16 v3, 8, v6
	v_lshrrev_b16 v6, 8, v8
	v_lshlrev_b16 v8, 8, v5
	ds_store_2addr_b32 v51, v0, v1 offset1:16
	v_lshlrev_b16 v0, 8, v2
	v_bitop3_b16 v1, v4, v3, 0x3f00 bitop3:0xec
	v_bitop3_b16 v3, v7, v6, 0x3f00 bitop3:0xec
	s_wait_loadcnt 0x8
	v_ashrrev_i32_e32 v6, v126, v100
	v_add_nc_u16 v4, 0xe000, v8
	v_add_nc_u16 v0, 0xe000, v0
	;; [unrolled: 1-line block ×4, first 2 shown]
	v_and_b32_e32 v7, 0xf0f0f0f, v99
	v_lshlrev_b32_e32 v8, 4, v6
	v_lshrrev_b16 v4, 8, v4
	v_lshrrev_b16 v0, 8, v0
	v_and_b32_e32 v1, 0xffff, v1
	v_lshlrev_b32_e32 v3, 16, v3
	v_and_or_b32 v7, 0x30303030, v8, v7
	v_lshrrev_b32_e32 v8, 4, v99
	v_bitop3_b16 v4, v5, v4, 0x3f00 bitop3:0xec
	v_bitop3_b16 v0, v2, v0, 0x3f00 bitop3:0xec
	v_or_b32_e32 v1, v1, v3
	v_lshrrev_b32_e32 v2, 16, v7
	v_and_b32_e32 v3, 0xf0f0f0f, v8
	v_add_nc_u16 v4, 0xe000, v4
	v_add_nc_u16 v0, 0xe000, v0
	v_lshlrev_b16 v5, 8, v7
	v_lshlrev_b16 v8, 8, v2
	v_and_or_b32 v3, 0x30303030, v6, v3
	v_and_b32_e32 v4, 0xffff, v4
	v_lshlrev_b32_e32 v0, 16, v0
	v_add_nc_u16 v5, 0xe000, v5
	v_add_nc_u16 v6, 0xe000, v8
	v_lshlrev_b16 v8, 8, v3
	s_delay_alu instid0(VALU_DEP_4) | instskip(NEXT) | instid1(VALU_DEP_4)
	v_dual_lshrrev_b32 v9, 16, v3 :: v_dual_bitop2_b32 v0, v4, v0 bitop3:0x54
	v_lshrrev_b16 v4, 8, v5
	s_delay_alu instid0(VALU_DEP_4) | instskip(NEXT) | instid1(VALU_DEP_4)
	v_lshrrev_b16 v5, 8, v6
	v_add_nc_u16 v6, 0xe000, v8
	s_delay_alu instid0(VALU_DEP_4)
	v_lshlrev_b16 v8, 8, v9
	ds_store_2addr_b32 v53, v1, v0 offset1:16
	v_bitop3_b16 v0, v7, v4, 0x3f00 bitop3:0xec
	v_bitop3_b16 v1, v2, v5, 0x3f00 bitop3:0xec
	v_lshrrev_b16 v2, 8, v6
	v_add_nc_u16 v4, 0xe000, v8
	s_wait_loadcnt 0x6
	v_ashrrev_i32_e32 v5, v126, v102
	v_add_nc_u16 v0, 0xe000, v0
	v_add_nc_u16 v1, 0xe000, v1
	v_and_b32_e32 v6, 0xf0f0f0f, v101
	v_lshrrev_b16 v4, 8, v4
	v_lshrrev_b32_e32 v7, 4, v101
	v_lshlrev_b32_e32 v8, 4, v5
	v_bitop3_b16 v2, v3, v2, 0x3f00 bitop3:0xec
	v_and_b32_e32 v0, 0xffff, v0
	v_bitop3_b16 v3, v9, v4, 0x3f00 bitop3:0xec
	v_and_b32_e32 v7, 0xf0f0f0f, v7
	v_and_or_b32 v6, 0x30303030, v8, v6
	v_add_nc_u16 v2, 0xe000, v2
	s_wait_loadcnt 0x1
	v_lshrrev_b32_e32 v11, 4, v134
	v_add_nc_u16 v3, 0xe000, v3
	v_dual_lshlrev_b32 v1, 16, v1 :: v_dual_lshrrev_b32 v4, 16, v6
	v_and_b32_e32 v2, 0xffff, v2
	v_and_b32_e32 v12, 0xf0f0f0f, v134
	s_delay_alu instid0(VALU_DEP_3) | instskip(SKIP_4) | instid1(VALU_DEP_4)
	v_dual_lshlrev_b32 v3, 16, v3 :: v_dual_bitop2_b32 v0, v0, v1 bitop3:0x54
	v_and_or_b32 v1, 0x30303030, v5, v7
	v_lshlrev_b16 v5, 8, v6
	v_lshlrev_b16 v8, 8, v4
	v_and_b32_e32 v11, 0xf0f0f0f, v11
	v_lshrrev_b32_e32 v7, 16, v1
	v_lshlrev_b16 v9, 8, v1
	v_add_nc_u16 v5, 0xe000, v5
	v_add_nc_u16 v8, 0xe000, v8
	s_delay_alu instid0(VALU_DEP_4) | instskip(NEXT) | instid1(VALU_DEP_4)
	v_lshlrev_b16 v10, 8, v7
	v_add_nc_u16 v9, 0xe000, v9
	s_delay_alu instid0(VALU_DEP_4) | instskip(NEXT) | instid1(VALU_DEP_4)
	v_lshrrev_b16 v5, 8, v5
	v_lshrrev_b16 v8, 8, v8
	s_delay_alu instid0(VALU_DEP_4) | instskip(NEXT) | instid1(VALU_DEP_3)
	v_add_nc_u16 v10, 0xe000, v10
	v_bitop3_b16 v5, v6, v5, 0x3f00 bitop3:0xec
	s_delay_alu instid0(VALU_DEP_3)
	v_bitop3_b16 v4, v4, v8, 0x3f00 bitop3:0xec
	v_ashrrev_i32_e32 v8, v126, v104
	v_or_b32_e32 v2, v2, v3
	v_lshrrev_b16 v3, 8, v9
	v_lshrrev_b16 v6, 8, v10
	v_lshrrev_b32_e32 v9, 4, v103
	v_add_nc_u16 v4, 0xe000, v4
	s_delay_alu instid0(VALU_DEP_4)
	v_bitop3_b16 v1, v1, v3, 0x3f00 bitop3:0xec
	v_add_nc_u16 v3, 0xe000, v5
	v_bitop3_b16 v5, v7, v6, 0x3f00 bitop3:0xec
	v_and_b32_e32 v6, 0xf0f0f0f, v103
	v_lshlrev_b32_e32 v7, 4, v8
	v_add_nc_u16 v1, 0xe000, v1
	v_and_b32_e32 v3, 0xffff, v3
	v_add_nc_u16 v5, 0xe000, v5
	ds_store_2addr_b32 v55, v0, v2 offset1:16
	v_and_or_b32 v6, 0x30303030, v7, v6
	v_lshlrev_b32_e32 v4, 16, v4
	v_and_b32_e32 v7, 0xf0f0f0f, v9
	v_and_b32_e32 v1, 0xffff, v1
	s_delay_alu instid0(VALU_DEP_4) | instskip(NEXT) | instid1(VALU_DEP_4)
	v_dual_lshrrev_b32 v9, 16, v6 :: v_dual_lshlrev_b32 v5, 16, v5
	v_or_b32_e32 v3, v3, v4
	s_delay_alu instid0(VALU_DEP_4) | instskip(SKIP_1) | instid1(VALU_DEP_4)
	v_and_or_b32 v4, 0x30303030, v8, v7
	v_lshlrev_b16 v10, 8, v6
	v_lshlrev_b16 v7, 8, v9
	v_or_b32_e32 v1, v1, v5
	s_delay_alu instid0(VALU_DEP_4) | instskip(NEXT) | instid1(VALU_DEP_4)
	v_lshlrev_b16 v0, 8, v4
	v_add_nc_u16 v5, 0xe000, v10
	s_delay_alu instid0(VALU_DEP_4)
	v_add_nc_u16 v2, 0xe000, v7
	v_lshrrev_b32_e32 v7, 16, v4
	ds_store_2addr_b32 v57, v3, v1 offset1:16
	v_add_nc_u16 v0, 0xe000, v0
	v_lshrrev_b16 v5, 8, v5
	v_lshrrev_b16 v1, 8, v2
	v_lshlrev_b16 v2, 8, v7
	s_wait_loadcnt 0x0
	v_ashrrev_i32_e32 v10, v126, v135
	v_lshrrev_b16 v0, 8, v0
	v_bitop3_b16 v3, v6, v5, 0x3f00 bitop3:0xec
	v_ashrrev_i32_e32 v5, v126, v133
	v_add_nc_u16 v2, 0xe000, v2
	v_bitop3_b16 v1, v9, v1, 0x3f00 bitop3:0xec
	v_and_b32_e32 v6, 0xf0f0f0f, v105
	v_bitop3_b16 v0, v4, v0, 0x3f00 bitop3:0xec
	v_lshlrev_b32_e32 v8, 4, v5
	v_lshrrev_b16 v2, 8, v2
	v_add_nc_u16 v3, 0xe000, v3
	v_add_nc_u16 v1, 0xe000, v1
	v_lshlrev_b32_e32 v13, 4, v10
	v_and_or_b32 v4, 0x30303030, v8, v6
	v_bitop3_b16 v2, v7, v2, 0x3f00 bitop3:0xec
	v_and_b32_e32 v3, 0xffff, v3
	v_lshlrev_b32_e32 v1, 16, v1
	v_add_nc_u16 v0, 0xe000, v0
	v_lshlrev_b16 v7, 8, v4
	v_add_nc_u16 v2, 0xe000, v2
	v_dual_lshrrev_b32 v6, 4, v105 :: v_dual_lshrrev_b32 v8, 16, v4
	v_or_b32_e32 v1, v3, v1
	s_delay_alu instid0(VALU_DEP_4) | instskip(NEXT) | instid1(VALU_DEP_4)
	v_add_nc_u16 v3, 0xe000, v7
	v_lshlrev_b32_e32 v2, 16, v2
	s_delay_alu instid0(VALU_DEP_4) | instskip(SKIP_1) | instid1(VALU_DEP_4)
	v_and_b32_e32 v6, 0xf0f0f0f, v6
	v_and_b32_e32 v0, 0xffff, v0
	v_lshrrev_b16 v3, 8, v3
	s_delay_alu instid0(VALU_DEP_3) | instskip(SKIP_1) | instid1(VALU_DEP_4)
	v_and_or_b32 v5, 0x30303030, v5, v6
	v_lshlrev_b16 v6, 8, v8
	v_or_b32_e32 v0, v0, v2
	s_delay_alu instid0(VALU_DEP_4) | instskip(NEXT) | instid1(VALU_DEP_4)
	v_bitop3_b16 v3, v4, v3, 0x3f00 bitop3:0xec
	v_lshrrev_b32_e32 v7, 16, v5
	v_lshlrev_b16 v9, 8, v5
	v_add_nc_u16 v6, 0xe000, v6
	s_delay_alu instid0(VALU_DEP_4)
	v_add_nc_u16 v3, 0xe000, v3
	ds_store_2addr_b32 v59, v1, v0 offset1:16
	v_lshlrev_b16 v4, 8, v7
	v_add_nc_u16 v9, 0xe000, v9
	v_lshrrev_b16 v6, 8, v6
	v_and_b32_e32 v3, 0xffff, v3
	v_cvt_f32_f16_e32 v0, v94
	v_add_nc_u16 v4, 0xe000, v4
	v_lshrrev_b16 v9, 8, v9
	v_bitop3_b16 v6, v8, v6, 0x3f00 bitop3:0xec
	v_and_or_b32 v8, 0x30303030, v13, v12
	s_delay_alu instid0(VALU_DEP_4) | instskip(NEXT) | instid1(VALU_DEP_4)
	v_lshrrev_b16 v4, 8, v4
	v_bitop3_b16 v5, v5, v9, 0x3f00 bitop3:0xec
	v_and_or_b32 v9, 0x30303030, v10, v11
	v_add_nc_u16 v6, 0xe000, v6
	v_lshlrev_b16 v11, 8, v8
	v_bitop3_b16 v4, v7, v4, 0x3f00 bitop3:0xec
	s_delay_alu instid0(VALU_DEP_4) | instskip(NEXT) | instid1(VALU_DEP_4)
	v_dual_lshrrev_b32 v7, 16, v8 :: v_dual_lshrrev_b32 v10, 16, v9
	v_lshlrev_b32_e32 v6, 16, v6
	v_lshlrev_b16 v13, 8, v9
	v_add_nc_u16 v11, 0xe000, v11
	s_delay_alu instid0(VALU_DEP_4)
	v_lshlrev_b16 v12, 8, v7
	v_lshlrev_b16 v14, 8, v10
	v_add_nc_u16 v5, 0xe000, v5
	v_add_nc_u16 v13, 0xe000, v13
	v_lshrrev_b16 v11, 8, v11
	v_add_nc_u16 v12, 0xe000, v12
	v_add_nc_u16 v14, 0xe000, v14
	;; [unrolled: 1-line block ×3, first 2 shown]
	v_lshrrev_b16 v13, 8, v13
	v_bitop3_b16 v8, v8, v11, 0x3f00 bitop3:0xec
	v_lshrrev_b16 v12, 8, v12
	v_lshrrev_b16 v14, 8, v14
	v_and_b32_e32 v5, 0xffff, v5
	v_bitop3_b16 v9, v9, v13, 0x3f00 bitop3:0xec
	v_add_nc_u16 v8, 0xe000, v8
	v_bitop3_b16 v7, v7, v12, 0x3f00 bitop3:0xec
	v_bitop3_b16 v10, v10, v14, 0x3f00 bitop3:0xec
	v_or_b32_e32 v2, v3, v6
	v_add_nc_u16 v9, 0xe000, v9
	v_and_b32_e32 v8, 0xffff, v8
	v_add_nc_u16 v7, 0xe000, v7
	v_add_nc_u16 v10, 0xe000, v10
	v_lshlrev_b32_e32 v4, 16, v4
	v_and_b32_e32 v9, 0xffff, v9
	s_delay_alu instid0(VALU_DEP_3) | instskip(NEXT) | instid1(VALU_DEP_3)
	v_dual_lshlrev_b32 v7, 16, v7 :: v_dual_lshlrev_b32 v10, 16, v10
	v_or_b32_e32 v3, v5, v4
	s_delay_alu instid0(VALU_DEP_2) | instskip(NEXT) | instid1(VALU_DEP_3)
	v_or_b32_e32 v4, v8, v7
	v_or_b32_e32 v5, v9, v10
	ds_store_2addr_b32 v61, v2, v3 offset1:16
	ds_store_2addr_b32 v63, v4, v5 offset1:16
	ds_store_b32 v65, v0
	ds_store_b32 v106, v95
	;; [unrolled: 1-line block ×3, first 2 shown]
	s_cbranch_scc0 .LBB196_4
; %bb.6:                                ;   in Loop: Header=BB196_5 Depth=1
	s_lshl_b32 s19, s14, 3
	s_delay_alu instid0(SALU_CYCLE_1) | instskip(NEXT) | instid1(VALU_DEP_1)
	v_add_nc_u32_e32 v0, s19, v113
	v_cmp_gt_i32_e32 vcc_lo, s8, v0
	s_and_b32 s21, s1, vcc_lo
	s_delay_alu instid0(SALU_CYCLE_1)
	s_and_saveexec_b32 s20, s21
	s_cbranch_execz .LBB196_8
; %bb.7:                                ;   in Loop: Header=BB196_5 Depth=1
	v_add_nc_u32_e32 v0, v24, v0
	s_delay_alu instid0(VALU_DEP_1)
	v_mad_nc_i64_i32 v[0:1], v0, 36, v[26:27]
	global_load_b32 v0, v[0:1], off offset:4
	s_wait_loadcnt 0x0
	ds_store_b32 v108, v0
.LBB196_8:                              ;   in Loop: Header=BB196_5 Depth=1
	s_or_b32 exec_lo, exec_lo, s20
	v_add_nc_u32_e32 v8, s19, v29
	s_delay_alu instid0(VALU_DEP_1) | instskip(SKIP_1) | instid1(SALU_CYCLE_1)
	v_cmp_gt_i32_e32 vcc_lo, s8, v8
	s_and_b32 s21, s6, vcc_lo
	s_and_saveexec_b32 s20, s21
	s_cbranch_execz .LBB196_10
; %bb.9:                                ;   in Loop: Header=BB196_5 Depth=1
	v_add_nc_u32_e32 v0, v24, v8
	s_delay_alu instid0(VALU_DEP_1)
	v_mad_nc_i64_i32 v[0:1], v0, 36, s[2:3]
	global_load_b32 v0, v[0:1], off
	s_wait_loadcnt 0x0
	v_cvt_f32_f16_e32 v0, v0
	ds_store_b32 v111, v0
.LBB196_10:                             ;   in Loop: Header=BB196_5 Depth=1
	s_or_b32 exec_lo, exec_lo, s20
	s_wait_dscnt 0x0
	s_barrier_signal -1
	s_barrier_wait -1
	ds_load_b32 v9, v114
	ds_load_b32 v88, v116 offset:128
	ds_load_b32 v89, v117 offset:256
	;; [unrolled: 1-line block ×3, first 2 shown]
	s_mov_b32 s21, 0
	s_mov_b32 s20, -1
.LBB196_11:                             ;   Parent Loop BB196_5 Depth=1
                                        ; =>  This Inner Loop Header: Depth=2
	s_lshl_b32 s23, s21, 3
	v_lshl_or_b32 v133, s21, 1, v45
	s_lshr_b32 s22, s21, 1
	v_dual_add_nc_u32 v136, s23, v127 :: v_dual_add_nc_u32 v137, s23, v128
	s_add_co_i32 s21, s22, 0x8200
	v_dual_add_nc_u32 v138, s23, v129 :: v_dual_add_nc_u32 v139, s23, v130
	v_add3_u32 v4, s21, v132, v121
	v_add3_u32 v5, s21, v122, v123
	;; [unrolled: 1-line block ×3, first 2 shown]
	v_lshlrev_b32_e32 v140, 2, v133
	ds_load_2addr_b32 v[10:11], v136 offset0:6 offset1:7
	ds_load_2addr_b32 v[66:67], v136 offset0:10 offset1:11
	;; [unrolled: 1-line block ×9, first 2 shown]
	ds_load_u16 v141, v139 offset:32
	ds_load_b128 v[0:3], v139 offset:34
	ds_load_2addr_b32 v[84:85], v137 offset0:14 offset1:15
	ds_load_2addr_b32 v[68:69], v138 offset0:6 offset1:7
	;; [unrolled: 1-line block ×4, first 2 shown]
	ds_load_b32 v142, v4
	ds_load_2addr_b32 v[94:95], v136 offset0:12 offset1:13
	ds_load_b32 v103, v5
	ds_load_2addr_b32 v[96:97], v137 offset0:12 offset1:13
	ds_load_2addr_b32 v[98:99], v137 offset0:10 offset1:11
	ds_load_b32 v100, v6
	ds_load_2addr_b32 v[104:105], v138 offset0:11 offset1:12
	ds_load_2addr_b32 v[134:135], v138 offset0:9 offset1:10
	ds_load_b128 v[4:7], v140 offset:35440
	ds_load_b128 v[80:83], v140 offset:35424
	s_and_b32 vcc_lo, exec_lo, s20
	s_mov_b32 s20, 0
	s_wait_dscnt 0x10
	v_perm_b32 v143, v79, v79, 0x706000c
	v_perm_b32 v91, v78, v78, 0xc0c0c03
	s_wait_dscnt 0xe
	v_bfe_i32 v146, v2, 8, 8
	v_bfe_i32 v147, v2, 0, 8
	v_perm_b32 v149, v3, v0, 0xc0c0402
	v_perm_b32 v150, v2, v0, 0xc0c0600
	;; [unrolled: 1-line block ×4, first 2 shown]
	s_wait_dscnt 0x8
	v_perm_b32 v0, v92, v95, 0x7060403
	v_ashrrev_i32_e32 v102, 24, v3
	v_bfe_i32 v144, v3, 16, 8
	v_ashrrev_i32_e32 v145, 24, v1
	v_bfe_i32 v101, v1, 0, 8
	v_bfe_i32 v148, v1, 16, 8
	;; [unrolled: 1-line block ×3, first 2 shown]
	s_wait_dscnt 0x1
	v_perm_b32 v2, v94, v6, 0x6040501
	v_perm_b32 v92, v4, v92, 0x6040501
	;; [unrolled: 1-line block ×6, first 2 shown]
	v_dot4_i32_iu8 v2, v92, v2, 0 neg_lo:[1,1,0]
	v_perm_b32 v92, v84, v97, 0x7060403
	v_perm_b32 v84, v4, v84, 0x6040501
	;; [unrolled: 1-line block ×3, first 2 shown]
	v_bfe_i32 v97, v6, 8, 8
	v_dot4_i32_iu8 v2, v94, v3, v2 neg_lo:[1,1,0]
	v_perm_b32 v3, v96, v6, 0x6040501
	v_perm_b32 v94, v5, v96, 0x6040503
	v_bfe_i32 v153, v5, 16, 8
	v_ashrrev_i32_e32 v154, 24, v6
	v_perm_b32 v156, v7, v5, 0xc0c0701
	v_dot4_i32_iu8 v3, v84, v3, 0 neg_lo:[1,1,0]
	v_perm_b32 v84, v105, v6, 0x6040501
	v_perm_b32 v155, v7, v4, 0xc0c0503
	s_wait_dscnt 0x0
	v_bfe_i32 v159, v81, 16, 8
	v_bfe_i32 v160, v80, 8, 8
	v_dot4_i32_iu8 v3, v95, v94, v3 neg_lo:[1,1,0]
	v_perm_b32 v94, v5, v105, 0x6040503
	v_dot4_i32_iu8 v79, v79, v84, 0 neg_lo:[1,1,0]
	v_perm_b32 v84, v6, v5, 0x7060403
	v_bfe_i32 v105, v6, 16, 8
	v_mul_i32_i24_e32 v101, v101, v159
	s_delay_alu instid0(VALU_DEP_4)
	v_dot4_i32_iu8 v78, v78, v94, v79 neg_lo:[1,1,0]
	v_or_b32_e32 v79, v143, v91
	v_dot4_i32_iu8 v0, v84, v0, v2 neg_lo:[1,1,0]
	v_dot4_i32_iu8 v3, v84, v92, v3 neg_lo:[1,1,0]
	v_bfe_i32 v2, v6, 0, 8
	v_ashrrev_i32_e32 v6, 24, v5
	v_dot4_i32_iu8 v78, v84, v79, v78 neg_lo:[1,1,0]
	v_dot4_i32_iu8 v91, v7, v93, v0 neg_lo:[1,1,0]
	v_perm_b32 v0, v70, v82, 0x6040501
	v_dot4_i32_iu8 v93, v7, v85, v3 neg_lo:[1,1,0]
	v_perm_b32 v3, v7, v5, 0xc0c0600
	v_perm_b32 v5, v80, v66, 0x6040501
	v_bfe_i32 v143, v4, 8, 8
	v_bfe_i32 v84, v4, 0, 8
	v_dot4_i32_iu8 v92, v7, v87, v78 neg_lo:[1,1,0]
	v_perm_b32 v4, v7, v4, 0xc0c0402
	v_perm_b32 v7, v81, v70, 0x6040503
	;; [unrolled: 1-line block ×3, first 2 shown]
	v_dot4_i32_iu8 v0, v5, v0, 0 neg_lo:[1,1,0]
	v_perm_b32 v5, v76, v82, 0x6040501
	v_perm_b32 v78, v134, v80, 0x6040503
	;; [unrolled: 1-line block ×4, first 2 shown]
	v_dot4_i32_iu8 v0, v70, v7, v0 neg_lo:[1,1,0]
	v_perm_b32 v7, v80, v98, 0x6040501
	v_perm_b32 v70, v81, v76, 0x6040503
	;; [unrolled: 1-line block ×3, first 2 shown]
	v_bfe_i32 v85, v82, 8, 8
	v_mul_i32_i24_e32 v102, v102, v143
	v_dot4_i32_iu8 v5, v7, v5, 0 neg_lo:[1,1,0]
	v_perm_b32 v7, v77, v80, 0x6040503
	s_delay_alu instid0(VALU_DEP_1) | instskip(SKIP_2) | instid1(VALU_DEP_1)
	v_dot4_i32_iu8 v5, v7, v70, v5 neg_lo:[1,1,0]
	v_perm_b32 v7, v86, v82, 0x6040501
	v_perm_b32 v70, v80, v135, 0x6040501
	v_dot4_i32_iu8 v7, v70, v7, 0 neg_lo:[1,1,0]
	v_perm_b32 v70, v134, v134, 0xc0c0c03
	v_perm_b32 v134, v83, v80, 0xc0c0503
	s_delay_alu instid0(VALU_DEP_3)
	v_dot4_i32_iu8 v7, v78, v76, v7 neg_lo:[1,1,0]
	ds_load_b64 v[78:79], v139 offset:50
	ds_load_u16 v157, v139 offset:58
	ds_load_b32 v158, v139 offset:60
	v_perm_b32 v76, v98, v77, 0x7060403
	v_perm_b32 v77, v82, v81, 0x7060403
	v_or_b32_e32 v70, v71, v70
	ds_load_2addr_b32 v[86:87], v138 offset0:4 offset1:5
	v_dot4_i32_iu8 v0, v77, v66, v0 neg_lo:[1,1,0]
	v_dot4_i32_iu8 v5, v77, v76, v5 neg_lo:[1,1,0]
	v_ashrrev_i32_e32 v76, 24, v82
	s_delay_alu instid0(VALU_DEP_3)
	v_dot4_i32_iu8 v94, v83, v67, v0 neg_lo:[1,1,0]
	v_ashrrev_i32_e32 v0, 24, v81
	v_dot4_i32_iu8 v7, v77, v70, v7 neg_lo:[1,1,0]
	v_dot4_i32_iu8 v95, v83, v99, v5 neg_lo:[1,1,0]
	v_bfe_i32 v5, v80, 0, 8
	v_perm_b32 v99, v83, v81, 0xc0c0600
	s_wait_dscnt 0x3
	v_bfe_i32 v66, v79, 16, 8
	v_dot4_i32_iu8 v96, v83, v104, v7 neg_lo:[1,1,0]
	v_perm_b32 v7, v83, v80, 0xc0c0402
	v_perm_b32 v104, v83, v81, 0xc0c0701
	ds_load_2addr_b32 v[80:81], v139 offset0:6 offset1:7
	v_mul_i32_i24_e32 v2, v66, v2
	s_wait_dscnt 0x2
	v_perm_b32 v66, v158, v78, 0xc0c0501
	v_bfe_i32 v70, v82, 16, 8
	v_perm_b32 v67, v158, v78, 0xc0c0602
	v_mul_i32_i24_e32 v0, v1, v0
	v_perm_b32 v1, v158, v78, 0xc0c0400
	v_dot4_i32_iu8 v98, v66, v155, v2 neg_lo:[1,1,0]
	v_bfe_i32 v66, v79, 8, 8
	v_mul_i32_i24_e32 v2, v144, v84
	v_bfe_i32 v77, v82, 0, 8
	ds_load_2addr_b32 v[82:83], v139 offset0:4 offset1:5
	v_perm_b32 v78, v158, v78, 0xc0c0703
	v_mul_i32_i24_e32 v6, v66, v6
	v_bfe_i32 v66, v157, 0, 8
	v_lshrrev_b16 v157, 8, v157
	s_delay_alu instid0(VALU_DEP_3) | instskip(NEXT) | instid1(VALU_DEP_3)
	v_dot4_i32_iu8 v155, v1, v4, v6 neg_lo:[1,1,0]
	v_mul_i32_i24_e32 v66, v66, v105
	v_mul_i32_i24_e32 v1, v147, v70
	v_bfe_i32 v6, v141, 0, 8
	s_wait_dscnt 0x1
	v_bfe_i32 v84, v81, 0, 8
	ds_load_2addr_b32 v[70:71], v139 offset0:2 offset1:3
	v_dot4_i32_iu8 v144, v67, v3, v66 neg_lo:[1,1,0]
	v_ashrrev_i32_e32 v3, 24, v79
	v_dot4_i32_iu8 v147, v149, v99, v1 neg_lo:[1,1,0]
	v_dot4_i32_iu8 v149, v150, v7, v0 neg_lo:[1,1,0]
	v_mul_i32_i24_e32 v5, v6, v5
	v_mul_i32_i24_e32 v4, v146, v76
	v_mad_i32_i24 v97, v3, v97, v2
	ds_load_b128 v[0:3], v140 offset:35408
	v_mul_i32_i24_e32 v76, v148, v77
	v_mad_i32_i24 v99, v145, v85, v5
	s_wait_dscnt 0x2
	v_bfe_i32 v77, v83, 16, 8
	v_bfe_i32 v6, v80, 16, 8
	;; [unrolled: 1-line block ×3, first 2 shown]
	v_dot4_i32_iu8 v148, v152, v134, v76 neg_lo:[1,1,0]
	v_bfe_i32 v76, v81, 8, 8
	v_dot4_i32_iu8 v146, v151, v104, v4 neg_lo:[1,1,0]
	v_ashrrev_i32_e32 v4, 24, v83
	v_perm_b32 v5, v72, v10, 0x6050401
	ds_load_2addr_b32 v[66:67], v138 offset0:2 offset1:3
	v_bfe_i32 v157, v157, 0, 8
	v_perm_b32 v10, v10, v73, 0x7060403
	v_lshrrev_b16 v83, 8, v83
	s_delay_alu instid0(VALU_DEP_3) | instskip(NEXT) | instid1(VALU_DEP_2)
	v_mul_i32_i24_e32 v154, v157, v154
	v_bfe_i32 v83, v83, 0, 8
	s_wait_dscnt 0x1
	v_bfe_i32 v85, v3, 0, 8
	s_delay_alu instid0(VALU_DEP_3) | instskip(SKIP_1) | instid1(VALU_DEP_3)
	v_dot4_i32_iu8 v78, v78, v156, v154 neg_lo:[1,1,0]
	v_ashrrev_i32_e32 v154, 24, v2
	v_mul_i32_i24_e32 v84, v84, v85
	v_bfe_i32 v85, v1, 16, 8
	s_delay_alu instid0(VALU_DEP_1) | instskip(SKIP_3) | instid1(VALU_DEP_3)
	v_mad_i32_i24 v145, v77, v85, v84
	v_bfe_i32 v84, v2, 16, 8
	v_perm_b32 v77, v74, v14, 0x6050401
	v_perm_b32 v14, v14, v75, 0x7060403
	v_mul_i32_i24_e32 v6, v6, v84
	v_bfe_i32 v84, v1, 0, 8
	s_delay_alu instid0(VALU_DEP_1) | instskip(SKIP_2) | instid1(VALU_DEP_2)
	v_mad_i32_i24 v150, v7, v84, v6
	v_bfe_i32 v6, v3, 8, 8
	v_ashrrev_i32_e32 v7, 24, v1
	v_mul_i32_i24_e32 v6, v76, v6
	v_perm_b32 v76, v0, v2, 0x6050401
	s_delay_alu instid0(VALU_DEP_2) | instskip(SKIP_2) | instid1(VALU_DEP_4)
	v_mad_i32_i24 v151, v4, v7, v6
	v_perm_b32 v4, v73, v0, 0x6040503
	v_perm_b32 v6, v1, v72, 0x6040503
	v_dot4_i32_iu8 v5, v5, v76, 0 neg_lo:[1,1,0]
	v_ashrrev_i32_e32 v73, 24, v0
	s_delay_alu instid0(VALU_DEP_2)
	v_dot4_i32_iu8 v152, v6, v4, v5 neg_lo:[1,1,0]
	v_perm_b32 v4, v75, v0, 0x6040503
	v_perm_b32 v5, v1, v74, 0x6040503
	v_dot4_i32_iu8 v6, v77, v76, 0 neg_lo:[1,1,0]
	v_bfe_i32 v74, v71, 0, 8
	v_bfe_i32 v75, v82, 0, 8
	s_delay_alu instid0(VALU_DEP_3)
	v_dot4_i32_iu8 v161, v5, v4, v6 neg_lo:[1,1,0]
	v_perm_b32 v4, v86, v68, 0x6050401
	v_perm_b32 v5, v87, v0, 0x6040503
	;; [unrolled: 1-line block ×4, first 2 shown]
	v_ashrrev_i32_e32 v87, 24, v142
	v_dot4_i32_iu8 v4, v4, v76, 0 neg_lo:[1,1,0]
	ds_load_2addr_b32 v[76:77], v139 offset1:1
	v_dot4_i32_iu8 v162, v6, v5, v4 neg_lo:[1,1,0]
	v_bfe_i32 v4, v82, 8, 8
	v_bfe_i32 v5, v0, 8, 8
	;; [unrolled: 1-line block ×3, first 2 shown]
	s_delay_alu instid0(VALU_DEP_2) | instskip(SKIP_1) | instid1(VALU_DEP_1)
	v_mul_i32_i24_e32 v4, v4, v5
	v_bfe_i32 v5, v80, 8, 8
	v_mad_i32_i24 v72, v5, v6, v4
	v_bfe_i32 v4, v81, 16, 8
	v_bfe_i32 v5, v3, 16, 8
	;; [unrolled: 1-line block ×3, first 2 shown]
	s_delay_alu instid0(VALU_DEP_2) | instskip(SKIP_2) | instid1(VALU_DEP_2)
	v_mul_i32_i24_e32 v4, v4, v5
	v_bfe_i32 v5, v80, 0, 8
	v_ashrrev_i32_e32 v80, 24, v80
	v_mad_i32_i24 v163, v5, v6, v4
	ds_load_b128 v[4:7], v140 offset:35392
	v_mul_i32_i24_e32 v80, v80, v154
	v_lshrrev_b16 v154, 8, v1
	v_perm_b32 v1, v2, v1, 0x7060403
	s_delay_alu instid0(VALU_DEP_2) | instskip(NEXT) | instid1(VALU_DEP_2)
	v_bfe_i32 v154, v154, 0, 8
	v_dot4_i32_iu8 v2, v1, v10, v152 neg_lo:[1,1,0]
	v_dot4_i32_iu8 v10, v1, v14, v161 neg_lo:[1,1,0]
	;; [unrolled: 1-line block ×3, first 2 shown]
	v_bfe_i32 v14, v82, 16, 8
	v_bfe_i32 v68, v0, 16, 8
	v_dot4_i32_iu8 v2, v11, v3, v2 neg_lo:[1,1,0]
	v_mul_i32_i24_e32 v83, v83, v154
	v_bfe_i32 v0, v0, 0, 8
	s_delay_alu instid0(VALU_DEP_4)
	v_mul_i32_i24_e32 v14, v14, v68
	v_ashrrev_i32_e32 v68, 24, v82
	v_lshrrev_b16 v82, 8, v141
	s_wait_dscnt 0x0
	v_bfe_i32 v84, v7, 0, 8
	v_bfe_i32 v85, v5, 16, 8
	;; [unrolled: 1-line block ×3, first 2 shown]
	v_ashrrev_i32_e32 v104, 24, v5
	v_perm_b32 v164, v4, v6, 0x6050401
	v_mul_i32_i24_e32 v74, v74, v84
	v_bfe_i32 v84, v77, 16, 8
	v_bfe_i32 v165, v6, 8, 8
	v_mul_i32_i24_e32 v68, v68, v73
	v_lshrrev_b16 v73, 8, v5
	v_bfe_i32 v166, v6, 0, 8
	v_mad_i32_i24 v74, v84, v85, v74
	v_bfe_i32 v84, v70, 16, 8
	v_bfe_i32 v85, v6, 16, 8
	v_add3_u32 v14, v14, v68, v163
	v_ashrrev_i32_e32 v68, 24, v70
	v_bfe_i32 v73, v73, 0, 8
	v_perm_b32 v141, v3, v3, 0x3020001
	v_mul_i32_i24_e32 v84, v84, v85
	v_bfe_i32 v85, v77, 0, 8
	v_add3_u32 v80, v83, v80, v151
	v_bfe_i32 v83, v142, 0, 8
	v_bfe_i32 v82, v82, 0, 8
	v_mul_i32_i24_e32 v0, v75, v0
	v_mad_i32_i24 v86, v85, v86, v84
	v_bfe_i32 v84, v71, 8, 8
	v_bfe_i32 v85, v7, 8, 8
	v_add3_u32 v80, v150, v145, v80
	v_mul_i32_i24_e32 v82, v82, v160
	s_delay_alu instid0(VALU_DEP_3) | instskip(SKIP_1) | instid1(VALU_DEP_4)
	v_mul_i32_i24_e32 v84, v84, v85
	v_ashrrev_i32_e32 v85, 24, v77
	v_add3_u32 v0, v80, v0, v72
	s_delay_alu instid0(VALU_DEP_2)
	v_mad_i32_i24 v139, v85, v104, v84
	v_add3_u32 v84, s21, v131, v120
	ds_load_b32 v140, v84
	ds_load_2addr_b32 v[84:85], v136 offset0:2 offset1:3
	ds_load_2addr_b32 v[104:105], v136 offset1:1
	s_mov_b32 s21, 8
	s_wait_dscnt 0x2
	v_bfe_i32 v75, v140, 8, 8
	s_wait_dscnt 0x0
	v_perm_b32 v134, v104, v84, 0x6050401
	v_perm_b32 v135, v105, v4, 0x6040503
	;; [unrolled: 1-line block ×3, first 2 shown]
	v_mul_lo_u32 v2, v2, v75
	s_delay_alu instid0(VALU_DEP_4) | instskip(NEXT) | instid1(VALU_DEP_1)
	v_dot4_i32_iu8 v134, v134, v164, 0 neg_lo:[1,1,0]
	v_dot4_i32_iu8 v104, v104, v135, v134 neg_lo:[1,1,0]
	ds_load_2addr_b32 v[134:135], v137 offset1:1
	s_wait_dscnt 0x0
	v_perm_b32 v136, v134, v12, 0x6050401
	v_perm_b32 v137, v135, v4, 0x6040503
	;; [unrolled: 1-line block ×4, first 2 shown]
	v_bfe_i32 v135, v100, 0, 8
	v_dot4_i32_iu8 v136, v136, v164, 0 neg_lo:[1,1,0]
	s_delay_alu instid0(VALU_DEP_1)
	v_dot4_i32_iu8 v134, v134, v137, v136 neg_lo:[1,1,0]
	ds_load_2addr_b32 v[136:137], v138 offset1:1
	s_wait_dscnt 0x0
	v_perm_b32 v138, v136, v66, 0x6050401
	v_perm_b32 v136, v5, v136, 0x6040503
	;; [unrolled: 1-line block ×4, first 2 shown]
	s_delay_alu instid0(VALU_DEP_4) | instskip(SKIP_2) | instid1(VALU_DEP_4)
	v_dot4_i32_iu8 v138, v138, v164, 0 neg_lo:[1,1,0]
	v_perm_b32 v164, v137, v4, 0x6040503
	v_ashrrev_i32_e32 v137, 24, v3
	v_dot4_i32_iu8 v12, v5, v12, v134 neg_lo:[1,1,0]
	v_dot4_i32_iu8 v3, v15, v3, v10 neg_lo:[1,1,0]
	v_bfe_i32 v134, v103, 0, 8
	v_dot4_i32_iu8 v136, v136, v164, v138 neg_lo:[1,1,0]
	v_bfe_i32 v138, v76, 8, 8
	v_bfe_i32 v164, v4, 8, 8
	v_dot4_i32_iu8 v11, v13, v7, v12 neg_lo:[1,1,0]
	s_delay_alu instid0(VALU_DEP_2) | instskip(SKIP_1) | instid1(VALU_DEP_1)
	v_mul_i32_i24_e32 v138, v138, v164
	v_bfe_i32 v164, v70, 8, 8
	v_mad_i32_i24 v138, v164, v165, v138
	v_bfe_i32 v164, v71, 16, 8
	v_bfe_i32 v165, v7, 16, 8
	v_ashrrev_i32_e32 v71, 24, v71
	s_delay_alu instid0(VALU_DEP_2) | instskip(SKIP_2) | instid1(VALU_DEP_2)
	v_mul_i32_i24_e32 v164, v164, v165
	v_bfe_i32 v165, v70, 0, 8
	v_ashrrev_i32_e32 v70, 24, v6
	v_mad_i32_i24 v164, v165, v166, v164
	s_delay_alu instid0(VALU_DEP_2) | instskip(SKIP_3) | instid1(VALU_DEP_3)
	v_mul_i32_i24_e32 v68, v68, v70
	v_lshrrev_b16 v70, 8, v77
	v_perm_b32 v77, v69, v69, 0x7060001
	v_bfe_i32 v69, v76, 16, 8
	v_bfe_i32 v70, v70, 0, 8
	s_delay_alu instid0(VALU_DEP_3) | instskip(NEXT) | instid1(VALU_DEP_2)
	v_dot4_i32_iu8 v1, v77, v141, v1 neg_lo:[1,1,0]
	v_mul_i32_i24_e32 v70, v70, v73
	v_ashrrev_i32_e32 v73, 24, v81
	v_bfe_i32 v81, v4, 16, 8
	s_delay_alu instid0(VALU_DEP_3) | instskip(SKIP_1) | instid1(VALU_DEP_3)
	v_add3_u32 v70, v70, v68, v139
	v_perm_b32 v68, v84, v105, 0x7060403
	v_mul_i32_i24_e32 v81, v69, v81
	v_dual_ashrrev_i32 v69, 24, v4 :: v_dual_ashrrev_i32 v139, 24, v7
	v_bfe_i32 v4, v4, 0, 8
	s_delay_alu instid0(VALU_DEP_4)
	v_dot4_i32_iu8 v6, v5, v68, v104 neg_lo:[1,1,0]
	v_dot4_i32_iu8 v5, v5, v66, v136 neg_lo:[1,1,0]
	v_bfe_i32 v66, v79, 0, 8
	v_dual_ashrrev_i32 v79, 24, v76 :: v_dual_lshrrev_b32 v68, 1, v133
	v_bfe_i32 v76, v76, 0, 8
	v_dual_add_nc_u32 v104, v148, v146 :: v_dual_add_nc_u32 v133, v149, v147
	s_delay_alu instid0(VALU_DEP_3)
	v_mul_i32_i24_e32 v79, v79, v69
	ds_load_b64 v[68:69], v68 offset:36944
	v_mul_i32_i24_e32 v71, v71, v139
	v_add_nc_u32_e32 v139, v155, v144
	v_mul_i32_i24_e32 v73, v73, v137
	v_add3_u32 v79, v81, v79, v164
	v_bfe_i32 v81, v142, 8, 8
	v_bfe_i32 v105, v103, 8, 8
	v_add3_u32 v82, v133, v104, v82
	v_bfe_i32 v133, v100, 8, 8
	v_mul_i32_i24_e32 v4, v76, v4
	v_mul_lo_u32 v3, v3, v81
	v_add3_u32 v10, v86, v74, v70
	v_add3_u32 v0, v0, v14, v73
	v_bfe_i32 v84, v142, 16, 8
	v_dual_ashrrev_i32 v104, 24, v103 :: v_dual_ashrrev_i32 v136, 24, v100
	v_bfe_i32 v103, v103, 16, 8
	v_bfe_i32 v100, v100, 16, 8
	;; [unrolled: 1-line block ×3, first 2 shown]
	v_mul_lo_u32 v1, v1, v105
	v_add3_u32 v4, v10, v4, v138
	v_mad_u32 v3, v11, v83, v3
	v_add3_u32 v10, v82, v99, v101
	v_mul_lo_u32 v0, v0, v133
	v_mul_lo_u32 v12, v94, v76
	;; [unrolled: 1-line block ×5, first 2 shown]
	v_mul_i32_i24_e32 v66, v66, v153
	v_bfe_i32 v137, v140, 0, 8
	v_dot4_i32_iu8 v6, v85, v7, v6 neg_lo:[1,1,0]
	v_dot4_i32_iu8 v5, v67, v7, v5 neg_lo:[1,1,0]
	v_cvt_f32_i32_e32 v3, v3
	v_add3_u32 v4, v4, v79, v71
	v_ashrrev_i32_e32 v140, 24, v140
	v_mad_u32 v2, v6, v137, v2
	v_mad_u32 v1, v5, v134, v1
	s_wait_dscnt 0x0
	v_fma_f32 v3, v68, v3, 0
	v_add_nc_u32_e32 v78, v98, v78
	v_mad_u32 v0, v4, v135, v0
	v_mad_u32 v12, v91, v140, v12
	;; [unrolled: 1-line block ×4, first 2 shown]
	v_add3_u32 v7, v139, v78, v102
	v_cvt_f32_i32_e32 v2, v2
	v_cvt_f32_i32_e32 v1, v1
	s_delay_alu instid0(VALU_DEP_3) | instskip(SKIP_3) | instid1(VALU_DEP_4)
	v_add3_u32 v7, v7, v97, v66
	v_cvt_f32_i32_e32 v0, v0
	v_cvt_f32_i32_e32 v6, v12
	v_fma_f32 v2, v68, v2, 0
	v_mad_u32 v5, v7, v136, v10
	v_cvt_f32_i32_e32 v7, v13
	v_cvt_f32_i32_e32 v4, v4
	v_fma_f32 v1, v68, v1, 0
	v_fma_f32 v0, v68, v0, 0
	s_delay_alu instid0(VALU_DEP_4) | instskip(NEXT) | instid1(VALU_DEP_3)
	v_dual_fmac_f32 v2, v69, v6 :: v_dual_fmac_f32 v3, v69, v7
	v_fmac_f32_e32 v1, v69, v4
	v_cvt_f32_i32_e32 v5, v5
	s_delay_alu instid0(VALU_DEP_2) | instskip(NEXT) | instid1(VALU_DEP_2)
	v_dual_fmac_f32 v115, v88, v3 :: v_dual_fmac_f32 v112, v89, v1
	v_fmac_f32_e32 v0, v69, v5
	s_delay_alu instid0(VALU_DEP_1)
	v_dual_fmac_f32 v119, v9, v2 :: v_dual_fmac_f32 v110, v90, v0
	s_cbranch_vccnz .LBB196_11
; %bb.12:                               ;   in Loop: Header=BB196_5 Depth=1
	s_bitset1_b32 s18, 7
	s_delay_alu instid0(SALU_CYCLE_1)
	s_cmp_ge_i32 s18, s5
	s_barrier_signal -1
	s_barrier_wait -1
	s_cbranch_scc1 .LBB196_4
; %bb.13:                               ;   in Loop: Header=BB196_5 Depth=1
	v_add_nc_u32_e32 v0, s19, v107
	s_delay_alu instid0(VALU_DEP_1) | instskip(SKIP_1) | instid1(SALU_CYCLE_1)
	v_cmp_gt_i32_e32 vcc_lo, s8, v0
	s_and_b32 s19, s1, vcc_lo
	s_and_saveexec_b32 s18, s19
	s_cbranch_execz .LBB196_15
; %bb.14:                               ;   in Loop: Header=BB196_5 Depth=1
	v_add_nc_u32_e32 v0, v24, v0
	s_delay_alu instid0(VALU_DEP_1)
	v_mad_nc_i64_i32 v[0:1], v0, 36, v[26:27]
	global_load_b32 v0, v[0:1], off offset:4
	s_wait_loadcnt 0x0
	ds_store_b32 v108, v0
.LBB196_15:                             ;   in Loop: Header=BB196_5 Depth=1
	s_or_b32 exec_lo, exec_lo, s18
	s_and_saveexec_b32 s18, s0
	s_cbranch_execz .LBB196_18
; %bb.16:                               ;   in Loop: Header=BB196_5 Depth=1
	v_or_b32_e32 v0, 4, v8
	s_delay_alu instid0(VALU_DEP_1) | instskip(SKIP_1) | instid1(SALU_CYCLE_1)
	v_cmp_gt_i32_e32 vcc_lo, s8, v0
	s_and_b32 s19, s1, vcc_lo
	s_and_b32 exec_lo, exec_lo, s19
	s_cbranch_execz .LBB196_18
; %bb.17:                               ;   in Loop: Header=BB196_5 Depth=1
	v_ashrrev_i32_e32 v9, 31, v8
	s_delay_alu instid0(VALU_DEP_1) | instskip(NEXT) | instid1(VALU_DEP_1)
	v_add_nc_u64_e32 v[0:1], v[24:25], v[8:9]
	v_mad_nc_u64_u32 v[2:3], v0, 36, s[2:3]
	s_delay_alu instid0(VALU_DEP_1)
	v_mad_i32_i24 v3, v1, 36, v3
	global_load_b32 v0, v[2:3], off offset:144
	s_wait_loadcnt 0x0
	v_cvt_f32_f16_e32 v0, v0
	ds_store_b32 v111, v0
.LBB196_18:                             ;   in Loop: Header=BB196_5 Depth=1
	s_or_b32 exec_lo, exec_lo, s18
	s_wait_dscnt 0x0
	s_barrier_signal -1
	s_barrier_wait -1
	ds_load_b32 v133, v114
	ds_load_b32 v134, v116 offset:128
	ds_load_b32 v135, v117 offset:256
	;; [unrolled: 1-line block ×3, first 2 shown]
	s_mov_b32 s18, 16
.LBB196_19:                             ;   Parent Loop BB196_5 Depth=1
                                        ; =>  This Inner Loop Header: Depth=2
	s_delay_alu instid0(SALU_CYCLE_1)
	s_lshl_b32 s19, s18, 1
	s_lshl_b32 s21, s18, 3
	v_and_or_b32 v0, s19, 16, v45
	s_lshr_b32 s20, s18, 1
	v_dual_add_nc_u32 v1, s21, v127 :: v_dual_add_nc_u32 v2, s21, v128
	s_add_co_i32 s20, s20, 0x8200
	v_dual_add_nc_u32 v3, s21, v129 :: v_dual_add_nc_u32 v4, s21, v130
	v_add3_u32 v5, s20, v131, v120
	v_add3_u32 v6, s20, v132, v121
	;; [unrolled: 1-line block ×4, first 2 shown]
	v_dual_lshlrev_b32 v12, 2, v0 :: v_dual_lshrrev_b32 v82, 1, v0
	ds_load_2addr_b32 v[66:67], v1 offset0:6 offset1:7
	ds_load_2addr_b32 v[74:75], v1 offset0:10 offset1:11
	;; [unrolled: 1-line block ×5, first 2 shown]
	ds_load_2addr_b32 v[90:91], v1 offset1:1
	ds_load_2addr_b32 v[72:73], v2 offset0:6 offset1:7
	ds_load_2addr_b32 v[102:103], v2 offset0:8 offset1:9
	;; [unrolled: 1-line block ×8, first 2 shown]
	ds_load_2addr_b32 v[98:99], v3 offset1:1
	ds_load_2addr_b32 v[144:145], v3 offset0:13 offset1:14
	ds_load_2addr_b32 v[80:81], v3 offset0:8 offset1:15
	;; [unrolled: 1-line block ×5, first 2 shown]
	ds_load_2addr_b32 v[152:153], v4 offset1:1
	ds_load_u16 v137, v4 offset:32
	ds_load_b128 v[138:141], v4 offset:34
	ds_load_b64 v[154:155], v4 offset:50
	ds_load_u16 v162, v4 offset:58
	ds_load_b32 v163, v4 offset:60
	ds_load_2addr_b32 v[84:85], v1 offset0:14 offset1:15
	ds_load_2addr_b32 v[100:101], v2 offset1:1
	ds_load_2addr_b32 v[156:157], v1 offset0:12 offset1:13
	ds_load_2addr_b32 v[158:159], v2 offset0:12 offset1:13
	;; [unrolled: 1-line block ×5, first 2 shown]
	ds_load_b32 v164, v6
	ds_load_b32 v165, v7
	;; [unrolled: 1-line block ×4, first 2 shown]
	ds_load_b128 v[0:3], v12 offset:35392
	ds_load_b128 v[4:7], v12 offset:35408
	;; [unrolled: 1-line block ×4, first 2 shown]
	ds_load_b64 v[82:83], v82 offset:36944
	s_wait_dscnt 0x27
	v_perm_b32 v168, v74, v105, 0x7060403
	s_wait_dscnt 0x1a
	v_perm_b32 v170, v145, v145, 0x706000c
	v_perm_b32 v169, v144, v144, 0xc0c0c03
	s_wait_dscnt 0x11
	v_lshrrev_b16 v177, 8, v162
	v_bfe_i32 v162, v162, 0, 8
	v_dual_ashrrev_i32 v173, 24, v155 :: v_dual_ashrrev_i32 v174, 24, v141
	s_wait_dscnt 0xd
	v_perm_b32 v216, v84, v157, 0x7060403
	s_wait_dscnt 0xc
	v_perm_b32 v217, v76, v159, 0x7060403
	s_wait_dscnt 0xb
	v_perm_b32 v218, v88, v103, 0x7060403
	v_bfe_i32 v176, v155, 0, 8
	v_bfe_i32 v178, v155, 16, 8
	;; [unrolled: 1-line block ×3, first 2 shown]
	v_perm_b32 v179, v163, v154, 0xc0c0602
	s_wait_dscnt 0x5
	v_bfe_i32 v230, v167, 8, 8
	v_bfe_i32 v231, v167, 0, 8
	;; [unrolled: 1-line block ×3, first 2 shown]
	s_wait_dscnt 0x2
	v_perm_b32 v74, v8, v74, 0x6040501
	s_wait_dscnt 0x1
	v_perm_b32 v233, v156, v14, 0x6040501
	v_perm_b32 v84, v12, v84, 0x6040501
	v_perm_b32 v156, v13, v156, 0x6040503
	v_perm_b32 v157, v157, v12, 0x6040503
	v_perm_b32 v234, v158, v14, 0x6040501
	v_perm_b32 v76, v12, v76, 0x6040501
	v_dot4_i32_iu8 v84, v84, v233, 0 neg_lo:[1,1,0]
	v_perm_b32 v105, v105, v8, 0x6040503
	v_perm_b32 v88, v8, v88, 0x6040501
	;; [unrolled: 1-line block ×3, first 2 shown]
	v_dot4_i32_iu8 v76, v76, v234, 0 neg_lo:[1,1,0]
	v_dot4_i32_iu8 v84, v157, v156, v84 neg_lo:[1,1,0]
	v_perm_b32 v157, v13, v158, 0x6040503
	v_perm_b32 v158, v159, v12, 0x6040503
	;; [unrolled: 1-line block ×5, first 2 shown]
	v_ashrrev_i32_e32 v167, 24, v167
	v_dot4_i32_iu8 v76, v158, v157, v76 neg_lo:[1,1,0]
	v_perm_b32 v158, v102, v10, 0x6040501
	v_dot4_i32_iu8 v74, v74, v159, 0 neg_lo:[1,1,0]
	v_perm_b32 v102, v9, v102, 0x6040503
	v_ashrrev_i32_e32 v159, 24, v13
	v_perm_b32 v180, v163, v154, 0xc0c0400
	v_dot4_i32_iu8 v88, v88, v158, 0 neg_lo:[1,1,0]
	v_dot4_i32_iu8 v74, v105, v104, v74 neg_lo:[1,1,0]
	v_perm_b32 v105, v87, v14, 0x6040501
	v_perm_b32 v87, v13, v87, 0x6040503
	;; [unrolled: 1-line block ×3, first 2 shown]
	v_dot4_i32_iu8 v88, v103, v102, v88 neg_lo:[1,1,0]
	v_perm_b32 v103, v144, v12, 0x6040503
	v_perm_b32 v144, v80, v10, 0x6040501
	v_dot4_i32_iu8 v105, v145, v105, 0 neg_lo:[1,1,0]
	v_perm_b32 v145, v8, v161, 0x6040501
	v_perm_b32 v80, v9, v80, 0x6040503
	;; [unrolled: 1-line block ×4, first 2 shown]
	v_dot4_i32_iu8 v87, v103, v87, v105 neg_lo:[1,1,0]
	v_bfe_i32 v105, v14, 16, 8
	v_dot4_i32_iu8 v144, v145, v144, 0 neg_lo:[1,1,0]
	v_bfe_i32 v160, v177, 0, 8
	v_perm_b32 v161, v15, v12, 0xc0c0402
	v_mul_i32_i24_e32 v155, v155, v159
	v_mul_i32_i24_e32 v105, v162, v105
	v_dot4_i32_iu8 v80, v158, v80, v144 neg_lo:[1,1,0]
	v_perm_b32 v158, v15, v13, 0xc0c0600
	v_perm_b32 v181, v163, v154, 0xc0c0703
	v_dot4_i32_iu8 v155, v180, v161, v155 neg_lo:[1,1,0]
	v_bfe_i32 v161, v14, 0, 8
	v_perm_b32 v162, v15, v13, 0xc0c0701
	v_dot4_i32_iu8 v105, v179, v158, v105 neg_lo:[1,1,0]
	v_ashrrev_i32_e32 v158, 24, v14
	v_perm_b32 v154, v163, v154, 0xc0c0501
	v_mul_i32_i24_e32 v161, v178, v161
	v_bfe_i32 v185, v140, 0, 8
	v_lshrrev_b16 v182, 8, v137
	v_mul_i32_i24_e32 v158, v160, v158
	v_bfe_i32 v137, v137, 0, 8
	v_bfe_i32 v175, v141, 16, 8
	;; [unrolled: 1-line block ×4, first 2 shown]
	v_dot4_i32_iu8 v158, v181, v162, v158 neg_lo:[1,1,0]
	v_perm_b32 v162, v15, v12, 0xc0c0503
	v_bfe_i32 v184, v140, 8, 8
	v_perm_b32 v187, v141, v138, 0xc0c0402
	v_perm_b32 v188, v140, v138, 0xc0c0600
	;; [unrolled: 1-line block ×3, first 2 shown]
	v_dot4_i32_iu8 v154, v154, v162, v161 neg_lo:[1,1,0]
	v_bfe_i32 v162, v10, 16, 8
	v_perm_b32 v138, v140, v138, 0xc0c0701
	v_bfe_i32 v140, v146, 8, 8
	v_dual_ashrrev_i32 v191, 24, v149 :: v_dual_ashrrev_i32 v196, 24, v146
	s_delay_alu instid0(VALU_DEP_4)
	v_mul_i32_i24_e32 v162, v185, v162
	v_bfe_i32 v185, v8, 0, 8
	v_bfe_i32 v193, v146, 0, 8
	;; [unrolled: 1-line block ×4, first 2 shown]
	v_mul_i32_i24_e32 v175, v175, v177
	v_mul_i32_i24_e32 v137, v137, v185
	v_bfe_i32 v185, v10, 0, 8
	v_dual_ashrrev_i32 v163, 24, v139 :: v_dual_ashrrev_i32 v190, 24, v148
	v_bfe_i32 v183, v139, 0, 8
	v_bfe_i32 v139, v139, 8, 8
	s_delay_alu instid0(VALU_DEP_4)
	v_mul_i32_i24_e32 v185, v186, v185
	v_bfe_i32 v186, v6, 16, 8
	v_bfe_i32 v194, v147, 8, 8
	v_ashrrev_i32_e32 v177, 24, v7
	v_mad_i32_i24 v104, v173, v104, v175
	v_ashrrev_i32_e32 v173, 24, v9
	v_perm_b32 v175, v11, v9, 0xc0c0600
	v_mul_i32_i24_e32 v146, v146, v186
	v_bfe_i32 v186, v7, 8, 8
	v_bfe_i32 v195, v147, 0, 8
	;; [unrolled: 1-line block ×3, first 2 shown]
	v_dual_ashrrev_i32 v147, 24, v147 :: v_dual_ashrrev_i32 v204, 24, v152
	v_perm_b32 v198, v92, v66, 0x6050401
	v_dot4_i32_iu8 v162, v187, v175, v162 neg_lo:[1,1,0]
	v_ashrrev_i32_e32 v175, 24, v10
	v_perm_b32 v180, v11, v8, 0xc0c0402
	v_mul_i32_i24_e32 v139, v139, v173
	v_bfe_i32 v12, v12, 8, 8
	v_mul_i32_i24_e32 v186, v194, v186
	v_perm_b32 v194, v4, v6, 0x6050401
	v_lshrrev_b16 v171, 8, v149
	v_bfe_i32 v189, v148, 16, 8
	v_perm_b32 v199, v94, v72, 0x6050401
	v_bfe_i32 v202, v150, 8, 8
	v_dual_ashrrev_i32 v205, 24, v153 :: v_dual_ashrrev_i32 v210, 24, v150
	v_bfe_i32 v207, v150, 0, 8
	v_bfe_i32 v150, v150, 16, 8
	v_lshrrev_b16 v156, 8, v5
	v_bfe_i32 v102, v13, 16, 8
	v_bfe_i32 v145, v9, 16, 8
	;; [unrolled: 1-line block ×3, first 2 shown]
	v_ashrrev_i32_e32 v160, 24, v4
	v_dot4_i32_iu8 v139, v188, v180, v139 neg_lo:[1,1,0]
	v_ashrrev_i32_e32 v180, 24, v0
	v_perm_b32 v181, v11, v9, 0xc0c0701
	v_mul_i32_i24_e32 v175, v184, v175
	v_mul_i32_i24_e32 v12, v174, v12
	v_bfe_i32 v174, v8, 8, 8
	v_bfe_i32 v182, v182, 0, 8
	v_ashrrev_i32_e32 v187, 24, v6
	v_mul_i32_i24_e32 v147, v147, v177
	v_dot4_i32_iu8 v177, v198, v194, 0 neg_lo:[1,1,0]
	v_bfe_i32 v198, v2, 16, 8
	v_bfe_i32 v188, v7, 0, 8
	;; [unrolled: 1-line block ×3, first 2 shown]
	v_perm_b32 v212, v90, v68, 0x6050401
	v_perm_b32 v213, v100, v70, 0x6050401
	;; [unrolled: 1-line block ×3, first 2 shown]
	v_lshrrev_b16 v157, 8, v1
	v_bfe_i32 v161, v7, 16, 8
	v_bfe_i32 v179, v2, 8, 8
	;; [unrolled: 1-line block ×3, first 2 shown]
	v_dot4_i32_iu8 v141, v141, v181, v175 neg_lo:[1,1,0]
	v_perm_b32 v90, v1, v90, 0x6040503
	v_perm_b32 v100, v1, v100, 0x6040503
	;; [unrolled: 1-line block ×3, first 2 shown]
	v_or_b32_e32 v181, v220, v219
	v_mul_i32_i24_e32 v102, v176, v102
	v_ashrrev_i32_e32 v176, 24, v1
	v_mul_i32_i24_e32 v174, v182, v174
	v_bfe_i32 v182, v1, 0, 8
	v_mul_i32_i24_e32 v145, v183, v145
	v_bfe_i32 v183, v1, 16, 8
	v_mul_i32_i24_e32 v159, v189, v159
	v_mul_i32_i24_e32 v160, v190, v160
	v_ashrrev_i32_e32 v189, 24, v5
	v_mul_i32_i24_e32 v187, v196, v187
	v_bfe_i32 v190, v5, 0, 8
	v_dot4_i32_iu8 v196, v199, v194, 0 neg_lo:[1,1,0]
	v_ashrrev_i32_e32 v199, 24, v2
	v_mul_i32_i24_e32 v150, v150, v198
	v_perm_b32 v8, v11, v8, 0xc0c0503
	v_bfe_i32 v171, v171, 0, 8
	v_perm_b32 v198, v0, v2, 0x6050401
	v_perm_b32 v1, v2, v1, 0x7060403
	v_bfe_i32 v2, v156, 0, 8
	v_perm_b32 v200, v96, v142, 0x6050401
	v_bfe_i32 v201, v148, 8, 8
	v_bfe_i32 v148, v148, 0, 8
	v_perm_b32 v66, v66, v93, 0x7060403
	v_perm_b32 v72, v72, v95, 0x7060403
	;; [unrolled: 1-line block ×6, first 2 shown]
	v_mul_i32_i24_e32 v188, v195, v188
	v_bfe_i32 v195, v4, 8, 8
	v_bfe_i32 v4, v4, 0, 8
	;; [unrolled: 1-line block ×4, first 2 shown]
	v_perm_b32 v92, v5, v92, 0x6040503
	v_perm_b32 v94, v5, v94, 0x6040503
	v_mul_i32_i24_e32 v161, v197, v161
	v_bfe_i32 v197, v5, 16, 8
	v_dot4_i32_iu8 v8, v138, v8, v185 neg_lo:[1,1,0]
	v_mul_i32_i24_e32 v2, v171, v2
	v_mad_i32_i24 v138, v192, v190, v146
	v_mad_i32_i24 v146, v191, v189, v186
	v_lshrrev_b16 v172, 8, v153
	v_bfe_i32 v208, v151, 8, 8
	v_mul_i32_i24_e32 v4, v148, v4
	v_bfe_i32 v148, v3, 8, 8
	v_bfe_i32 v144, v6, 8, 8
	;; [unrolled: 1-line block ×3, first 2 shown]
	v_dual_ashrrev_i32 v170, 24, v3 :: v_dual_bitop2_b32 v169, v170, v169 bitop3:0x54
	v_perm_b32 v96, v5, v96, 0x6040503
	v_dot4_i32_iu8 v194, v200, v194, 0 neg_lo:[1,1,0]
	v_mul_i32_i24_e32 v195, v201, v195
	v_perm_b32 v13, v14, v13, 0x7060403
	v_perm_b32 v9, v10, v9, 0x7060403
	;; [unrolled: 1-line block ×3, first 2 shown]
	v_mad_i32_i24 v103, v163, v103, v137
	v_mad_i32_i24 v137, v149, v197, v188
	v_dot4_i32_iu8 v92, v92, v93, v177 neg_lo:[1,1,0]
	v_dot4_i32_iu8 v93, v94, v95, v196 neg_lo:[1,1,0]
	v_add3_u32 v2, v2, v187, v146
	v_bfe_i32 v209, v151, 0, 8
	v_bfe_i32 v211, v151, 16, 8
	v_ashrrev_i32_e32 v151, 24, v151
	v_bfe_i32 v200, v3, 0, 8
	v_mul_i32_i24_e32 v148, v208, v148
	v_bfe_i32 v172, v172, 0, 8
	v_bfe_i32 v156, v157, 0, 8
	;; [unrolled: 1-line block ×5, first 2 shown]
	v_dot4_i32_iu8 v94, v96, v97, v194 neg_lo:[1,1,0]
	v_mad_i32_i24 v95, v140, v144, v195
	v_mad_i32_i24 v96, v193, v178, v161
	v_dot4_i32_iu8 v84, v13, v216, v84 neg_lo:[1,1,0]
	v_dot4_i32_iu8 v76, v13, v217, v76 neg_lo:[1,1,0]
	;; [unrolled: 1-line block ×6, first 2 shown]
	v_dual_add_nc_u32 v80, v154, v158 :: v_dual_add_nc_u32 v8, v8, v141
	v_add_nc_u32_e32 v87, v155, v105
	v_mul_i32_i24_e32 v14, v210, v199
	v_bfe_i32 v199, v0, 0, 8
	v_dot4_i32_iu8 v66, v5, v66, v92 neg_lo:[1,1,0]
	v_dot4_i32_iu8 v72, v5, v72, v93 neg_lo:[1,1,0]
	v_add3_u32 v2, v138, v137, v2
	v_bfe_i32 v206, v153, 0, 8
	v_bfe_i32 v153, v153, 16, 8
	v_perm_b32 v68, v68, v91, 0x7060403
	v_perm_b32 v70, v70, v101, 0x7060403
	;; [unrolled: 1-line block ×3, first 2 shown]
	v_bfe_i32 v221, v164, 8, 8
	v_bfe_i32 v222, v164, 0, 8
	;; [unrolled: 1-line block ×3, first 2 shown]
	v_ashrrev_i32_e32 v164, 24, v164
	v_bfe_i32 v173, v0, 16, 8
	v_bfe_i32 v175, v3, 16, 8
	v_perm_b32 v91, v91, v0, 0x6040503
	v_perm_b32 v101, v101, v0, 0x6040503
	;; [unrolled: 1-line block ×3, first 2 shown]
	v_mul_i32_i24_e32 v10, v209, v200
	v_mul_i32_i24_e32 v151, v151, v170
	v_bfe_i32 v0, v0, 8, 8
	v_dot4_i32_iu8 v170, v212, v198, 0 neg_lo:[1,1,0]
	v_dot4_i32_iu8 v200, v213, v198, 0 neg_lo:[1,1,0]
	v_mul_i32_i24_e32 v97, v172, v156
	v_mad_i32_i24 v144, v205, v176, v148
	v_mul_i32_i24_e32 v6, v152, v199
	v_perm_b32 v152, v7, v7, 0x3020001
	v_add3_u32 v92, v159, v160, v96
	v_dot4_i32_iu8 v74, v11, v75, v74 neg_lo:[1,1,0]
	v_dot4_i32_iu8 v75, v11, v89, v88 neg_lo:[1,1,0]
	v_dot4_i32_iu8 v9, v11, v86, v9 neg_lo:[1,1,0]
	v_add3_u32 v11, v87, v80, v12
	v_dot4_i32_iu8 v12, v67, v7, v66 neg_lo:[1,1,0]
	v_dot4_i32_iu8 v7, v73, v7, v72 neg_lo:[1,1,0]
	v_add3_u32 v2, v2, v4, v95
	v_mul_i32_i24_e32 v175, v211, v175
	v_dot4_i32_iu8 v198, v214, v198, 0 neg_lo:[1,1,0]
	v_mul_i32_i24_e32 v0, v215, v0
	v_mad_i32_i24 v10, v153, v183, v10
	v_mad_i32_i24 v140, v206, v182, v150
	v_dot4_i32_iu8 v90, v90, v91, v170 neg_lo:[1,1,0]
	v_dot4_i32_iu8 v91, v100, v101, v200 neg_lo:[1,1,0]
	v_add3_u32 v14, v97, v14, v144
	v_bfe_i32 v227, v166, 8, 8
	v_mul_lo_u32 v7, v7, v221
	v_add3_u32 v2, v2, v92, v147
	v_mul_i32_i24_e32 v173, v203, v173
	v_mul_i32_i24_e32 v180, v204, v180
	v_dot4_i32_iu8 v98, v98, v99, v198 neg_lo:[1,1,0]
	v_mad_i32_i24 v0, v202, v179, v0
	v_mad_i32_i24 v99, v207, v184, v175
	v_dot4_i32_iu8 v70, v1, v70, v91 neg_lo:[1,1,0]
	v_add3_u32 v10, v140, v10, v14
	v_mul_lo_u32 v66, v75, v223
	v_mul_lo_u32 v2, v2, v227
	v_perm_b32 v143, v143, v143, 0x7060001
	v_dot4_i32_iu8 v5, v5, v142, v94 neg_lo:[1,1,0]
	v_dot4_i32_iu8 v68, v1, v68, v90 neg_lo:[1,1,0]
	;; [unrolled: 1-line block ×3, first 2 shown]
	v_add3_u32 v78, v173, v180, v99
	v_dot4_i32_iu8 v84, v15, v85, v84 neg_lo:[1,1,0]
	v_dot4_i32_iu8 v76, v15, v77, v76 neg_lo:[1,1,0]
	;; [unrolled: 1-line block ×4, first 2 shown]
	v_add3_u32 v0, v10, v6, v0
	v_bfe_i32 v224, v165, 8, 8
	v_bfe_i32 v228, v166, 0, 8
	v_dot4_i32_iu8 v5, v143, v152, v5 neg_lo:[1,1,0]
	v_mad_u32 v7, v15, v222, v7
	v_add3_u32 v0, v0, v78, v151
	v_mad_u32 v10, v76, v164, v66
	v_bfe_i32 v225, v165, 0, 8
	v_mul_lo_u32 v5, v5, v224
	v_dot4_i32_iu8 v1, v79, v3, v1 neg_lo:[1,1,0]
	v_mad_u32 v0, v0, v228, v2
	v_dual_ashrrev_i32 v226, 24, v165 :: v_dual_ashrrev_i32 v229, 24, v166
	v_bfe_i32 v165, v165, 16, 8
	v_bfe_i32 v166, v166, 16, 8
	v_cvt_f32_i32_e32 v7, v7
	v_dot4_i32_iu8 v14, v69, v3, v68 neg_lo:[1,1,0]
	v_mul_lo_u32 v3, v74, v232
	v_mul_lo_u32 v4, v9, v165
	v_mad_u32 v1, v1, v225, v5
	v_cvt_f32_i32_e32 v5, v10
	v_cvt_f32_i32_e32 v0, v0
	s_wait_dscnt 0x0
	v_fma_f32 v7, v82, v7, 0
	v_mul_lo_u32 v9, v12, v230
	s_add_co_i32 s19, s18, 8
	s_cmp_lt_u32 s18, 24
	v_fma_f32 v0, v82, v0, 0
	v_fmac_f32_e32 v7, v83, v5
	v_add_nc_u32_e32 v100, v139, v162
	v_mad_u32 v3, v84, v167, v3
	v_mad_u32 v2, v13, v226, v4
	v_cvt_f32_i32_e32 v1, v1
	v_fmac_f32_e32 v115, v134, v7
	v_add3_u32 v8, v100, v8, v174
	v_mad_u32 v9, v14, v231, v9
	s_mov_b32 s18, s19
	v_fma_f32 v1, v82, v1, 0
	s_delay_alu instid0(VALU_DEP_3) | instskip(SKIP_3) | instid1(VALU_DEP_4)
	v_add3_u32 v6, v8, v103, v145
	v_add3_u32 v8, v11, v104, v102
	v_cvt_f32_i32_e32 v3, v3
	v_cvt_f32_i32_e32 v2, v2
	v_mul_lo_u32 v6, v6, v166
	s_delay_alu instid0(VALU_DEP_2) | instskip(NEXT) | instid1(VALU_DEP_1)
	v_fmac_f32_e32 v1, v83, v2
	v_fmac_f32_e32 v112, v135, v1
	s_delay_alu instid0(VALU_DEP_3) | instskip(SKIP_1) | instid1(VALU_DEP_1)
	v_mad_u32 v4, v8, v229, v6
	v_cvt_f32_i32_e32 v6, v9
	v_fma_f32 v6, v82, v6, 0
	s_delay_alu instid0(VALU_DEP_3) | instskip(NEXT) | instid1(VALU_DEP_1)
	v_cvt_f32_i32_e32 v4, v4
	v_dual_fmac_f32 v6, v83, v3 :: v_dual_fmac_f32 v0, v83, v4
	s_delay_alu instid0(VALU_DEP_1)
	v_dual_fmac_f32 v119, v133, v6 :: v_dual_fmac_f32 v110, v136, v0
	s_cbranch_scc1 .LBB196_19
; %bb.20:                               ;   in Loop: Header=BB196_5 Depth=1
	s_barrier_signal -1
	s_barrier_wait -1
	s_branch .LBB196_4
.LBB196_21:
	s_mul_i32 s0, s10, s7
	s_wait_loadcnt 0x0
	v_cmp_gt_i32_e32 vcc_lo, s0, v17
	s_and_saveexec_b32 s0, vcc_lo
	s_cbranch_execz .LBB196_30
; %bb.22:
	v_mul_lo_u32 v0, v17, s9
	v_add_nc_u32_e32 v1, s11, v29
	s_mov_b32 s0, exec_lo
	s_delay_alu instid0(VALU_DEP_1)
	v_cmpx_gt_u32_e64 s9, v1
	s_cbranch_execz .LBB196_24
; %bb.23:
	s_delay_alu instid0(VALU_DEP_3)
	v_add_nc_u32_e32 v2, v0, v1
	global_store_b32 v2, v119, s[12:13] scale_offset
.LBB196_24:
	s_wait_xcnt 0x0
	s_or_b32 exec_lo, exec_lo, s0
	v_add_nc_u32_e32 v2, 32, v1
	s_mov_b32 s0, exec_lo
	s_delay_alu instid0(VALU_DEP_1)
	v_cmpx_gt_u32_e64 s9, v2
	s_cbranch_execz .LBB196_26
; %bb.25:
	v_add_nc_u32_e32 v2, v0, v2
	global_store_b32 v2, v115, s[12:13] scale_offset
.LBB196_26:
	s_wait_xcnt 0x0
	s_or_b32 exec_lo, exec_lo, s0
	v_add_nc_u32_e32 v2, 64, v1
	s_mov_b32 s0, exec_lo
	s_delay_alu instid0(VALU_DEP_1)
	v_cmpx_gt_u32_e64 s9, v2
	s_cbranch_execz .LBB196_28
; %bb.27:
	v_add_nc_u32_e32 v2, v0, v2
	global_store_b32 v2, v112, s[12:13] scale_offset
.LBB196_28:
	s_wait_xcnt 0x0
	s_or_b32 exec_lo, exec_lo, s0
	v_add_nc_u32_e32 v1, 0x60, v1
	s_delay_alu instid0(VALU_DEP_1)
	v_cmp_gt_u32_e32 vcc_lo, s9, v1
	s_and_b32 exec_lo, exec_lo, vcc_lo
	s_cbranch_execz .LBB196_30
; %bb.29:
	v_add_nc_u32_e32 v0, v0, v1
	global_store_b32 v0, v110, s[12:13] scale_offset
.LBB196_30:
	s_sendmsg sendmsg(MSG_DEALLOC_VGPRS)
	s_endpgm
	.section	.rodata,"a",@progbits
	.p2align	6, 0x0
	.amdhsa_kernel _ZL8moe_q6_KIfLb1EEvPKvS1_PT_PKiS5_S5_iiiiiii
		.amdhsa_group_segment_fixed_size 37072
		.amdhsa_private_segment_fixed_size 0
		.amdhsa_kernarg_size 76
		.amdhsa_user_sgpr_count 2
		.amdhsa_user_sgpr_dispatch_ptr 0
		.amdhsa_user_sgpr_queue_ptr 0
		.amdhsa_user_sgpr_kernarg_segment_ptr 1
		.amdhsa_user_sgpr_dispatch_id 0
		.amdhsa_user_sgpr_kernarg_preload_length 0
		.amdhsa_user_sgpr_kernarg_preload_offset 0
		.amdhsa_user_sgpr_private_segment_size 0
		.amdhsa_wavefront_size32 1
		.amdhsa_uses_dynamic_stack 0
		.amdhsa_enable_private_segment 0
		.amdhsa_system_sgpr_workgroup_id_x 1
		.amdhsa_system_sgpr_workgroup_id_y 1
		.amdhsa_system_sgpr_workgroup_id_z 0
		.amdhsa_system_sgpr_workgroup_info 0
		.amdhsa_system_vgpr_workitem_id 1
		.amdhsa_next_free_vgpr 235
		.amdhsa_next_free_sgpr 24
		.amdhsa_named_barrier_count 0
		.amdhsa_reserve_vcc 1
		.amdhsa_float_round_mode_32 0
		.amdhsa_float_round_mode_16_64 0
		.amdhsa_float_denorm_mode_32 3
		.amdhsa_float_denorm_mode_16_64 3
		.amdhsa_fp16_overflow 0
		.amdhsa_memory_ordered 1
		.amdhsa_forward_progress 1
		.amdhsa_inst_pref_size 121
		.amdhsa_round_robin_scheduling 0
		.amdhsa_exception_fp_ieee_invalid_op 0
		.amdhsa_exception_fp_denorm_src 0
		.amdhsa_exception_fp_ieee_div_zero 0
		.amdhsa_exception_fp_ieee_overflow 0
		.amdhsa_exception_fp_ieee_underflow 0
		.amdhsa_exception_fp_ieee_inexact 0
		.amdhsa_exception_int_div_zero 0
	.end_amdhsa_kernel
	.section	.text._ZL8moe_q6_KIfLb1EEvPKvS1_PT_PKiS5_S5_iiiiiii,"axG",@progbits,_ZL8moe_q6_KIfLb1EEvPKvS1_PT_PKiS5_S5_iiiiiii,comdat
.Lfunc_end196:
	.size	_ZL8moe_q6_KIfLb1EEvPKvS1_PT_PKiS5_S5_iiiiiii, .Lfunc_end196-_ZL8moe_q6_KIfLb1EEvPKvS1_PT_PKiS5_S5_iiiiiii
                                        ; -- End function
	.set _ZL8moe_q6_KIfLb1EEvPKvS1_PT_PKiS5_S5_iiiiiii.num_vgpr, 235
	.set _ZL8moe_q6_KIfLb1EEvPKvS1_PT_PKiS5_S5_iiiiiii.num_agpr, 0
	.set _ZL8moe_q6_KIfLb1EEvPKvS1_PT_PKiS5_S5_iiiiiii.numbered_sgpr, 24
	.set _ZL8moe_q6_KIfLb1EEvPKvS1_PT_PKiS5_S5_iiiiiii.num_named_barrier, 0
	.set _ZL8moe_q6_KIfLb1EEvPKvS1_PT_PKiS5_S5_iiiiiii.private_seg_size, 0
	.set _ZL8moe_q6_KIfLb1EEvPKvS1_PT_PKiS5_S5_iiiiiii.uses_vcc, 1
	.set _ZL8moe_q6_KIfLb1EEvPKvS1_PT_PKiS5_S5_iiiiiii.uses_flat_scratch, 0
	.set _ZL8moe_q6_KIfLb1EEvPKvS1_PT_PKiS5_S5_iiiiiii.has_dyn_sized_stack, 0
	.set _ZL8moe_q6_KIfLb1EEvPKvS1_PT_PKiS5_S5_iiiiiii.has_recursion, 0
	.set _ZL8moe_q6_KIfLb1EEvPKvS1_PT_PKiS5_S5_iiiiiii.has_indirect_call, 0
	.section	.AMDGPU.csdata,"",@progbits
; Kernel info:
; codeLenInByte = 15456
; TotalNumSgprs: 26
; NumVgprs: 235
; ScratchSize: 0
; MemoryBound: 0
; FloatMode: 240
; IeeeMode: 1
; LDSByteSize: 37072 bytes/workgroup (compile time only)
; SGPRBlocks: 0
; VGPRBlocks: 14
; NumSGPRsForWavesPerEU: 26
; NumVGPRsForWavesPerEU: 235
; NamedBarCnt: 0
; Occupancy: 4
; WaveLimiterHint : 1
; COMPUTE_PGM_RSRC2:SCRATCH_EN: 0
; COMPUTE_PGM_RSRC2:USER_SGPR: 2
; COMPUTE_PGM_RSRC2:TRAP_HANDLER: 0
; COMPUTE_PGM_RSRC2:TGID_X_EN: 1
; COMPUTE_PGM_RSRC2:TGID_Y_EN: 1
; COMPUTE_PGM_RSRC2:TGID_Z_EN: 0
; COMPUTE_PGM_RSRC2:TIDIG_COMP_CNT: 1
	.section	.text._ZL8moe_q4_0IN3c104HalfELb0EEvPKvS3_PT_PKiS7_S7_iiiiiii,"axG",@progbits,_ZL8moe_q4_0IN3c104HalfELb0EEvPKvS3_PT_PKiS7_S7_iiiiiii,comdat
	.globl	_ZL8moe_q4_0IN3c104HalfELb0EEvPKvS3_PT_PKiS7_S7_iiiiiii ; -- Begin function _ZL8moe_q4_0IN3c104HalfELb0EEvPKvS3_PT_PKiS7_S7_iiiiiii
	.p2align	8
	.type	_ZL8moe_q4_0IN3c104HalfELb0EEvPKvS3_PT_PKiS7_S7_iiiiiii,@function
_ZL8moe_q4_0IN3c104HalfELb0EEvPKvS3_PT_PKiS7_S7_iiiiiii: ; @_ZL8moe_q4_0IN3c104HalfELb0EEvPKvS3_PT_PKiS7_S7_iiiiiii
; %bb.0:
	s_load_b128 s[4:7], s[0:1], 0x18
	s_bfe_u32 s2, ttmp6, 0x40010
	s_bfe_u32 s8, ttmp6, 0x40004
	s_add_co_i32 s2, s2, 1
	s_delay_alu instid0(SALU_CYCLE_1)
	s_mul_i32 s3, ttmp7, s2
	s_getreg_b32 s2, hwreg(HW_REG_IB_STS2, 6, 4)
	s_add_co_i32 s8, s8, s3
	s_cmp_eq_u32 s2, 0
	s_cselect_b32 s3, ttmp7, s8
	s_wait_kmcnt 0x0
	s_load_b32 s12, s[6:7], s3 offset:0x0 scale_offset
	s_wait_kmcnt 0x0
	s_cmp_gt_u32 s12, 0xff
	s_cbranch_scc1 .LBB197_31
; %bb.1:
	s_load_b64 s[6:7], s[0:1], 0x28
	s_lshl_b32 s3, s3, 3
	s_wait_kmcnt 0x0
	s_load_b32 s6, s[6:7], 0x0
	s_wait_kmcnt 0x0
	s_cmp_gt_u32 s3, s6
	s_cbranch_scc1 .LBB197_31
; %bb.2:
	v_bfe_u32 v1, v0, 10, 10
	s_and_b32 s13, ttmp6, 15
	v_and_b32_e32 v5, 0x3ff, v0
	s_delay_alu instid0(VALU_DEP_2) | instskip(SKIP_1) | instid1(SALU_CYCLE_1)
	v_add_nc_u32_e32 v2, s3, v1
	s_bfe_u32 s3, ttmp6, 0x4000c
	s_add_co_i32 s3, s3, 1
	s_delay_alu instid0(SALU_CYCLE_1)
	s_mul_i32 s3, ttmp9, s3
	global_load_b32 v3, v2, s[4:5] scale_offset
	s_clause 0x2
	s_load_b64 s[10:11], s[0:1], 0x30
	s_load_b64 s[8:9], s[0:1], 0x10
	s_load_b128 s[4:7], s[0:1], 0x3c
	s_add_co_i32 s13, s13, s3
	s_cmp_eq_u32 s2, 0
	s_cselect_b32 s2, ttmp9, s13
	s_mov_b32 s13, 0
	s_lshl_b32 s18, s2, 7
	s_wait_kmcnt 0x0
	s_cmp_lt_i32 s11, 32
	s_cbranch_scc1 .LBB197_21
; %bb.3:
	s_load_b128 s[0:3], s[0:1], 0x0
	s_ashr_i32 s14, s11, 31
	s_mul_i32 s16, s12, s10
	s_abs_i32 s12, s7
	s_lshr_b32 s10, s14, 27
	s_cvt_f32_u32 s20, s12
	s_add_co_i32 s19, s11, s10
	s_ashr_i32 s17, s16, 31
	s_ashr_i32 s10, s19, 5
	v_rcp_iflag_f32_e32 v10, s20
	v_mul_lo_u32 v2, s10, v1
	v_bfe_u32 v33, v0, 3, 7
	s_sub_co_i32 s20, 0, s12
	v_lshl_add_u32 v49, v1, 7, 0x5280
	v_lshl_add_u32 v51, v1, 4, 0x5680
	s_ashr_i32 s15, s5, 31
	v_lshl_add_u32 v20, v1, 2, v33
	s_lshr_b32 s14, s15, 27
	v_bfe_u32 v4, v0, 2, 8
	s_add_co_i32 s5, s5, s14
	s_wait_kmcnt 0x0
	s_add_nc_u64 s[16:17], s[0:1], s[16:17]
	v_readfirstlane_b32 s0, v10
	s_lshl_b32 s1, s10, 3
	s_delay_alu instid0(SALU_CYCLE_1) | instskip(SKIP_3) | instid1(VALU_DEP_2)
	v_dual_lshlrev_b32 v24, 2, v5 :: v_dual_add_nc_u32 v6, s1, v2
	v_dual_add_nc_u32 v22, 32, v20 :: v_dual_add_nc_u32 v30, 64, v20
	s_mul_f32 s0, s0, 0x4f7ffffe
	s_wait_loadcnt 0x0
	v_dual_sub_nc_u32 v12, 0, v3 :: v_dual_add_nc_u32 v10, s1, v6
	v_and_b32_e32 v21, 0x1ffc, v20
	s_cvt_u32_f32 s0, s0
	s_delay_alu instid0(VALU_DEP_2) | instskip(SKIP_1) | instid1(SALU_CYCLE_1)
	v_dual_lshlrev_b32 v48, 5, v22 :: v_dual_max_i32 v16, v3, v12
	v_and_b32_e32 v12, 7, v0
	s_mul_i32 s20, s20, s0
	v_dual_mov_b32 v9, 0 :: v_dual_bitop2_b32 v8, 12, v24 bitop3:0x40
	s_mul_hi_u32 s20, s0, s20
	s_delay_alu instid0(VALU_DEP_2)
	v_lshlrev_b32_e32 v26, 2, v12
	s_add_co_i32 s0, s0, s20
	v_mul_lo_u32 v14, s10, v20
	v_mul_hi_u32 v18, v16, s0
	v_lshlrev_b32_e32 v44, 5, v20
	v_add3_u32 v42, v21, v26, 0x4200
	v_and_b32_e32 v21, 0x3ffc, v30
	v_add_nc_u32_e32 v20, 0x60, v20
	v_mad_u32_u24 v7, 0x84, v1, v24
	v_and_b32_e32 v29, 0x3ffc, v22
	v_dual_add_nc_u32 v72, v51, v24 :: v_dual_add_nc_u32 v34, 32, v5
	v_add3_u32 v50, v21, v26, 0x4200
	v_and_b32_e32 v21, 0x3ffc, v20
	v_mul_lo_u32 v28, v18, s12
	v_add_nc_u32_e32 v22, 1, v18
	v_add3_u32 v46, v29, v26, 0x4200
	s_ashr_i32 s5, s5, 5
	v_add3_u32 v54, v21, v26, 0x4200
	v_add_nc_u32_e32 v36, 0x60, v5
	s_and_not1_b32 s19, s19, 31
	v_dual_add_nc_u32 v84, v42, v44 :: v_dual_lshlrev_b32 v52, 5, v30
	s_mul_i32 s14, s10, s18
	v_add_nc_u32_e32 v17, 0x1080, v7
	v_sub_nc_u32_e32 v16, v16, v28
	s_ashr_i32 s15, s14, 31
	v_add_nc_u32_e32 v19, 0x14a0, v7
	v_add_nc_u32_e32 v23, 0x18c0, v7
	;; [unrolled: 1-line block ×3, first 2 shown]
	v_subrev_nc_u32_e32 v28, s12, v16
	v_cmp_le_u32_e32 vcc_lo, s12, v16
	v_add_nc_u32_e32 v11, 0x420, v7
	v_add_nc_u32_e32 v13, 0x840, v7
	v_add_nc_u32_e32 v27, 0x2100, v7
	v_dual_cndmask_b32 v18, v18, v22 :: v_dual_add_nc_u32 v35, 0x2520, v7
	v_dual_cndmask_b32 v22, v16, v28, vcc_lo :: v_dual_bitop2_b32 v21, s7, v3 bitop3:0x14
	v_add_nc_u32_e32 v16, s1, v10
	v_add_nc_u32_e32 v37, 0x2940, v7
	s_delay_alu instid0(VALU_DEP_4) | instskip(NEXT) | instid1(VALU_DEP_4)
	v_dual_add_nc_u32 v26, 1, v18 :: v_dual_bitop2_b32 v28, 31, v0 bitop3:0x40
	v_ashrrev_i32_e32 v29, 31, v21
	v_cmp_le_u32_e32 vcc_lo, s12, v22
	v_dual_mov_b32 v21, v9 :: v_dual_lshlrev_b32 v55, 5, v20
	v_add_nc_u32_e32 v15, 0xc60, v7
	v_lshl_or_b32 v53, v28, 2, v49
	v_dual_cndmask_b32 v22, v18, v26, vcc_lo :: v_dual_add_nc_u32 v18, s1, v16
	v_and_b32_e32 v0, 0xfc, v0
	v_lshrrev_b32_e32 v74, 3, v34
	v_cmp_gt_u32_e32 vcc_lo, 4, v5
	s_delay_alu instid0(VALU_DEP_4) | instskip(SKIP_3) | instid1(VALU_DEP_4)
	v_xor_b32_e32 v1, v22, v29
	v_dual_add_nc_u32 v22, s1, v18 :: v_dual_bitop2_b32 v20, 28, v24 bitop3:0x40
	v_add_nc_u32_e32 v39, 0x2d60, v7
	v_add_nc_u32_e32 v41, 0x3180, v7
	v_sub_nc_u32_e32 v1, v1, v29
	s_delay_alu instid0(VALU_DEP_4) | instskip(SKIP_2) | instid1(VALU_DEP_4)
	v_dual_add_nc_u32 v29, 64, v5 :: v_dual_add_nc_u32 v24, s1, v22
	v_add_nc_u64_e32 v[30:31], s[2:3], v[20:21]
	v_add_nc_u32_e32 v43, 0x35a0, v7
	v_cmp_gt_i32_e64 s0, s4, v1
	v_mul_lo_u32 v28, v1, s5
	v_dual_add_nc_u32 v26, s1, v24 :: v_dual_lshlrev_b32 v1, 5, v5
	v_and_b32_e32 v21, 0x1fc, v29
	v_and_b32_e32 v29, 0x1fc, v34
	v_add_nc_u32_e32 v45, 0x39c0, v7
	v_add_nc_u32_e32 v47, 0x3de0, v7
	s_delay_alu instid0(VALU_DEP_4) | instskip(NEXT) | instid1(VALU_DEP_4)
	v_dual_add_nc_u32 v0, v1, v0 :: v_dual_add_nc_u32 v21, v1, v21
	v_add_nc_u32_e32 v56, v1, v29
	v_mul_u32_u24_e32 v73, 0x84, v5
	v_mad_u32_u24 v79, 0x84, v5, 64
	v_ashrrev_i32_e32 v29, 31, v28
	v_add_nc_u32_e32 v76, 0x4a00, v21
	v_add_nc_u32_e32 v81, 0x4a10, v21
	v_mov_b32_e32 v21, v9
	v_and_b32_e32 v20, 0x1fc, v36
	v_add_nc_u32_e32 v32, s1, v26
	v_add_nc_u32_e32 v44, s19, v14
	;; [unrolled: 1-line block ×10, first 2 shown]
	v_dual_add_nc_u32 v36, s1, v34 :: v_dual_add_nc_u32 v87, v54, v55
	v_add_nc_u32_e32 v80, 0x4e10, v20
	v_dual_mov_b32 v20, v9 :: v_dual_add_nc_u32 v83, 0x4210, v0
	s_delay_alu instid0(VALU_DEP_3) | instskip(SKIP_3) | instid1(VALU_DEP_3)
	v_dual_add_nc_u32 v38, s1, v36 :: v_dual_mov_b32 v0, v9
	v_mov_b32_e32 v1, v9
	v_mov_b32_e32 v55, 0x41000000
	s_mul_u64 s[14:15], s[14:15], 18
	v_add_nc_u32_e32 v40, s1, v38
	s_add_nc_u64 s[14:15], s[16:17], s[14:15]
	s_and_b32 s16, vcc_lo, s0
	s_mov_b32 s12, s13
	s_delay_alu instid0(VALU_DEP_1) | instskip(NEXT) | instid1(VALU_DEP_1)
	v_add_nc_u32_e32 v42, s1, v40
	v_dual_add_nc_u32 v46, s1, v42 :: v_dual_add_nc_u32 v86, v50, v52
	s_delay_alu instid0(VALU_DEP_1)
	v_dual_add_nc_u32 v52, s19, v48 :: v_dual_add_nc_u32 v50, s1, v46
	s_branch .LBB197_5
.LBB197_4:                              ;   in Loop: Header=BB197_5 Depth=1
	s_add_co_i32 s12, s12, 8
	s_delay_alu instid0(SALU_CYCLE_1)
	s_cmp_ge_i32 s12, s10
	s_cbranch_scc1 .LBB197_22
.LBB197_5:                              ; =>This Loop Header: Depth=1
                                        ;     Child Loop BB197_11 Depth 2
                                        ;     Child Loop BB197_19 Depth 2
	s_mul_u64 s[20:21], s[12:13], 18
	s_lshl_b32 s17, s12, 5
	s_add_nc_u64 s[20:21], s[14:15], s[20:21]
	s_cmp_lt_i32 s17, s11
	v_mad_nc_u64_u32 v[56:57], v4, 18, s[20:21]
	v_mad_nc_u64_u32 v[58:59], v12, 18, s[20:21]
	s_delay_alu instid0(VALU_DEP_2)
	v_mad_nc_u64_u32 v[60:61], v2, 18, v[56:57]
	v_mad_nc_u64_u32 v[62:63], v6, 18, v[56:57]
	;; [unrolled: 1-line block ×11, first 2 shown]
	v_add_nc_u64_e32 v[60:61], v[60:61], v[8:9]
	v_add_nc_u64_e32 v[62:63], v[62:63], v[8:9]
	;; [unrolled: 1-line block ×6, first 2 shown]
	v_mad_nc_u64_u32 v[98:99], v44, 18, v[58:59]
	v_add_nc_u64_e32 v[88:89], v[88:89], v[8:9]
	v_mad_nc_u64_u32 v[100:101], v48, 18, v[58:59]
	v_add_nc_u64_e32 v[90:91], v[90:91], v[8:9]
	s_clause 0x7
	global_load_b32 v54, v[60:61], off offset:2
	global_load_b32 v102, v[62:63], off offset:2
	;; [unrolled: 1-line block ×8, first 2 shown]
	s_wait_xcnt 0x7
	v_mad_nc_u64_u32 v[60:61], v36, 18, v[56:57]
	v_mad_nc_u64_u32 v[58:59], v52, 18, v[58:59]
	s_wait_xcnt 0x6
	v_mad_nc_u64_u32 v[62:63], v38, 18, v[56:57]
	s_wait_xcnt 0x5
	;; [unrolled: 2-line block ×4, first 2 shown]
	v_mad_nc_u64_u32 v[68:69], v46, 18, v[56:57]
	v_mad_nc_u64_u32 v[56:57], v50, 18, v[56:57]
	s_clause 0x3
	global_load_u16 v88, v[96:97], off
	global_load_u16 v89, v[98:99], off
	;; [unrolled: 1-line block ×4, first 2 shown]
	s_wait_xcnt 0x0
	v_add_nc_u64_e32 v[58:59], v[92:93], v[8:9]
	v_add_nc_u64_e32 v[70:71], v[94:95], v[8:9]
	;; [unrolled: 1-line block ×8, first 2 shown]
	s_clause 0x7
	global_load_b32 v92, v[58:59], off offset:2
	global_load_b32 v93, v[70:71], off offset:2
	;; [unrolled: 1-line block ×8, first 2 shown]
	s_wait_loadcnt 0xb
	s_wait_xcnt 0x0
	v_cvt_f32_f16_e32 v56, v88
	s_wait_loadcnt 0xa
	v_cvt_f32_f16_e32 v57, v89
	s_wait_loadcnt 0x9
	;; [unrolled: 2-line block ×3, first 2 shown]
	v_cvt_f32_f16_e32 v59, v91
	ds_store_b32 v7, v54
	ds_store_b32 v11, v102
	;; [unrolled: 1-line block ×8, first 2 shown]
	s_wait_loadcnt 0x7
	ds_store_b32 v27, v92
	s_wait_loadcnt 0x6
	ds_store_b32 v35, v93
	s_wait_loadcnt 0x5
	ds_store_b32 v37, v94
	s_wait_loadcnt 0x4
	ds_store_b32 v39, v95
	s_wait_loadcnt 0x3
	ds_store_b32 v41, v96
	s_wait_loadcnt 0x2
	ds_store_b32 v43, v97
	s_wait_loadcnt 0x1
	ds_store_b32 v45, v98
	s_wait_loadcnt 0x0
	ds_store_b32 v47, v99
	ds_store_b32 v84, v56
	ds_store_b32 v85, v57
	;; [unrolled: 1-line block ×4, first 2 shown]
	s_cbranch_scc0 .LBB197_4
; %bb.6:                                ;   in Loop: Header=BB197_5 Depth=1
	v_add_nc_u32_e32 v54, s12, v33
	s_delay_alu instid0(VALU_DEP_1) | instskip(SKIP_1) | instid1(SALU_CYCLE_1)
	v_cmp_gt_i32_e64 s1, s5, v54
	s_and_b32 s19, s0, s1
	s_and_saveexec_b32 s1, s19
	s_cbranch_execz .LBB197_8
; %bb.7:                                ;   in Loop: Header=BB197_5 Depth=1
	v_add_nc_u32_e32 v54, v28, v54
	s_delay_alu instid0(VALU_DEP_1)
	v_mad_nc_i64_i32 v[56:57], v54, 36, v[30:31]
	global_load_b32 v54, v[56:57], off offset:4
	s_wait_loadcnt 0x0
	ds_store_b32 v53, v54
.LBB197_8:                              ;   in Loop: Header=BB197_5 Depth=1
	s_or_b32 exec_lo, exec_lo, s1
	v_add_nc_u32_e32 v56, s12, v5
	s_delay_alu instid0(VALU_DEP_1) | instskip(SKIP_1) | instid1(SALU_CYCLE_1)
	v_cmp_gt_i32_e64 s1, s5, v56
	s_and_b32 s19, s16, s1
	s_and_saveexec_b32 s1, s19
	s_cbranch_execz .LBB197_10
; %bb.9:                                ;   in Loop: Header=BB197_5 Depth=1
	v_add_nc_u32_e32 v54, v28, v56
	s_delay_alu instid0(VALU_DEP_1)
	v_mad_nc_i64_i32 v[58:59], v54, 36, s[2:3]
	global_load_b32 v54, v[58:59], off
	s_wait_loadcnt 0x0
	ds_store_b32 v72, v54
.LBB197_10:                             ;   in Loop: Header=BB197_5 Depth=1
	s_or_b32 exec_lo, exec_lo, s1
	v_dual_mov_b32 v57, v49 :: v_dual_mov_b32 v88, v51
	v_dual_mov_b32 v89, v78 :: v_dual_mov_b32 v90, v77
	;; [unrolled: 1-line block ×3, first 2 shown]
	v_mov_b32_e32 v93, v73
	s_mov_b32 s1, -4
	s_wait_dscnt 0x0
	s_barrier_signal -1
	s_barrier_wait -1
.LBB197_11:                             ;   Parent Loop BB197_5 Depth=1
                                        ; =>  This Inner Loop Header: Depth=2
	ds_load_2addr_b32 v[60:61], v57 offset0:4 offset1:7
	ds_load_2addr_b32 v[68:69], v93 offset1:1
	ds_load_2addr_b32 v[62:63], v93 offset0:2 offset1:3
	ds_load_2addr_b32 v[64:65], v57 offset1:3
	ds_load_2addr_b32 v[70:71], v57 offset0:1 offset1:2
	ds_load_2addr_b32 v[66:67], v57 offset0:5 offset1:6
	v_add_nc_u32_e32 v54, 0x1080, v93
	v_add_nc_u32_e32 v98, 0x1088, v93
	;; [unrolled: 1-line block ×6, first 2 shown]
	ds_load_b32 v59, v92
	ds_load_b32 v108, v88
	;; [unrolled: 1-line block ×5, first 2 shown]
	ds_load_2addr_b32 v[96:97], v54 offset1:1
	ds_load_2addr_b32 v[98:99], v98 offset1:1
	;; [unrolled: 1-line block ×6, first 2 shown]
	v_dual_add_nc_u32 v93, 16, v93 :: v_dual_add_nc_u32 v92, 4, v92
	v_add_nc_u32_e32 v89, 4, v89
	v_add_nc_u32_e32 v57, 32, v57
	s_add_co_i32 s1, s1, 4
	v_add_nc_u32_e32 v90, 4, v90
	s_wait_dscnt 0x10
	v_lshrrev_b16 v54, 8, v60
	s_wait_dscnt 0xf
	v_dual_lshrrev_b32 v110, 28, v69 :: v_dual_bitop2_b32 v116, 15, v68 bitop3:0x40
	s_wait_dscnt 0xd
	v_lshrrev_b16 v113, 8, v64
	v_ashrrev_i32_e32 v114, 24, v64
	v_bfe_i32 v115, v64, 16, 8
	v_bfe_i32 v64, v64, 0, 8
	v_bfe_u32 v117, v68, 8, 4
	s_wait_dscnt 0xc
	v_ashrrev_i32_e32 v123, 24, v70
	v_bfe_i32 v113, v113, 0, 8
	s_wait_dscnt 0x5
	v_and_b32_e32 v162, 15, v96
	v_mul_i32_i24_e32 v116, v64, v116
	v_bfe_u32 v118, v68, 24, 4
	v_bfe_u32 v119, v68, 16, 4
	v_dual_ashrrev_i32 v155, 24, v61 :: v_dual_lshrrev_b32 v160, 28, v63
	v_bfe_i32 v156, v61, 16, 8
	v_bfe_i32 v157, v61, 8, 8
	;; [unrolled: 1-line block ×3, first 2 shown]
	v_bfe_u32 v61, v63, 4, 4
	s_wait_dscnt 0x1
	v_dual_lshrrev_b32 v161, 16, v108 :: v_dual_lshrrev_b32 v177, 28, v105
	v_bfe_u32 v163, v96, 8, 4
	v_bfe_u32 v164, v96, 24, 4
	;; [unrolled: 1-line block ×3, first 2 shown]
	s_wait_dscnt 0x0
	v_dual_lshrrev_b32 v189, 28, v106 :: v_dual_bitop2_b32 v167, 15, v100 bitop3:0x40
	v_mad_i32_i24 v116, v113, v117, v116
	v_mul_i32_i24_e32 v117, v64, v162
	v_bfe_u32 v109, v68, 12, 4
	v_dual_ashrrev_i32 v120, 24, v60 :: v_dual_ashrrev_i32 v126, 24, v66
	v_bfe_i32 v121, v60, 16, 8
	v_bfe_i32 v122, v60, 0, 8
	;; [unrolled: 1-line block ×5, first 2 shown]
	v_dual_lshrrev_b32 v129, 28, v68 :: v_dual_bitop2_b32 v131, 15, v69 bitop3:0x40
	v_bfe_u32 v130, v68, 20, 4
	v_bfe_u32 v68, v68, 4, 4
	v_mul_i32_i24_e32 v119, v115, v119
	v_mul_i32_i24_e32 v118, v114, v118
	v_bfe_u32 v166, v104, 4, 4
	v_dual_lshrrev_b32 v172, 28, v104 :: v_dual_bitop2_b32 v168, 15, v104 bitop3:0x40
	v_bfe_u32 v169, v104, 20, 4
	v_bfe_u32 v171, v100, 16, 4
	;; [unrolled: 1-line block ×4, first 2 shown]
	v_bfe_i32 v54, v54, 0, 8
	v_bfe_u32 v176, v105, 24, 4
	v_bfe_u32 v178, v105, 16, 4
	v_and_b32_e32 v180, 15, v105
	v_bfe_u32 v182, v100, 4, 4
	v_bfe_u32 v183, v100, 12, 4
	v_bfe_u32 v184, v96, 12, 4
	v_bfe_u32 v185, v96, 4, 4
	v_bfe_u32 v186, v100, 20, 4
	v_lshrrev_b32_e32 v100, 28, v100
	v_mul_i32_i24_e32 v246, v158, v61
	v_cvt_f32_f16_e64 v61, v161
	v_mul_i32_i24_e32 v161, v115, v165
	v_mul_i32_i24_e32 v162, v114, v164
	;; [unrolled: 1-line block ×3, first 2 shown]
	v_mad_i32_i24 v117, v113, v163, v117
	v_bfe_i32 v127, v66, 16, 8
	v_bfe_i32 v128, v66, 8, 8
	;; [unrolled: 1-line block ×3, first 2 shown]
	v_mul_i32_i24_e32 v68, v122, v68
	v_bfe_u32 v179, v105, 20, 4
	v_bfe_u32 v181, v105, 4, 4
	;; [unrolled: 1-line block ×3, first 2 shown]
	v_lshrrev_b32_e32 v96, 28, v96
	v_mul_i32_i24_e32 v164, v166, v122
	v_mul_i32_i24_e32 v166, v169, v121
	;; [unrolled: 1-line block ×12, first 2 shown]
	v_add3_u32 v116, v116, v119, v118
	v_mad_i32_i24 v118, v113, v175, v165
	v_add3_u32 v117, v117, v161, v162
	v_bfe_u32 v132, v69, 8, 4
	v_bfe_i32 v138, v71, 16, 8
	v_dual_ashrrev_i32 v140, 24, v67 :: v_dual_bitop2_b32 v146, 15, v62 bitop3:0x40
	v_mul_i32_i24_e32 v130, v121, v130
	v_mul_i32_i24_e32 v129, v120, v129
	v_bfe_u32 v192, v106, 16, 4
	v_and_b32_e32 v194, 15, v101
	v_and_b32_e32 v205, 15, v97
	v_bfe_u32 v207, v97, 8, 4
	v_mul_i32_i24_e32 v174, v126, v177
	v_mul_i32_i24_e32 v177, v127, v179
	v_mul_i32_i24_e32 v179, v66, v181
	v_mul_i32_i24_e32 v181, v54, v183
	v_mul_i32_i24_e32 v186, v121, v186
	v_mul_i32_i24_e32 v121, v121, v200
	v_mul_i32_i24_e32 v96, v120, v96
	v_add3_u32 v118, v118, v167, v171
	v_add3_u32 v68, v116, v109, v68
	;; [unrolled: 1-line block ×3, first 2 shown]
	v_bfe_u32 v133, v69, 24, 4
	v_bfe_u32 v134, v69, 16, 4
	v_dual_ashrrev_i32 v137, 24, v71 :: v_dual_ashrrev_i32 v143, 24, v65
	v_bfe_i32 v139, v71, 8, 8
	v_bfe_i32 v71, v71, 0, 8
	;; [unrolled: 1-line block ×5, first 2 shown]
	v_bfe_u32 v170, v104, 16, 4
	v_bfe_u32 v173, v104, 24, 4
	;; [unrolled: 1-line block ×3, first 2 shown]
	v_and_b32_e32 v190, 15, v106
	v_bfe_u32 v191, v106, 4, 4
	v_bfe_u32 v193, v106, 20, 4
	;; [unrolled: 1-line block ×5, first 2 shown]
	v_mul_i32_i24_e32 v131, v70, v131
	v_mul_i32_i24_e32 v132, v125, v132
	v_and_b32_e32 v208, 0xf0f0f0f, v104
	v_lshrrev_b32_e32 v104, 4, v104
	v_bfe_u32 v211, v97, 24, 4
	v_bfe_u32 v212, v97, 16, 4
	v_and_b32_e32 v216, 0xf0f0f0f, v106
	v_lshrrev_b32_e32 v106, 4, v106
	v_mul_i32_i24_e32 v184, v140, v189
	v_mul_i32_i24_e32 v189, v138, v192
	;; [unrolled: 1-line block ×6, first 2 shown]
	v_add3_u32 v118, v118, v181, v180
	v_add3_u32 v68, v68, v130, v129
	;; [unrolled: 1-line block ×3, first 2 shown]
	v_bfe_u32 v135, v69, 4, 4
	v_bfe_u32 v136, v69, 12, 4
	;; [unrolled: 1-line block ×5, first 2 shown]
	v_lshrrev_b32_e32 v101, 28, v101
	v_mul_i32_i24_e32 v134, v124, v134
	v_mul_i32_i24_e32 v133, v123, v133
	v_bfe_u32 v213, v97, 4, 4
	v_bfe_u32 v214, v97, 12, 4
	v_mul_i32_i24_e32 v183, v137, v188
	v_mul_i32_i24_e32 v185, v71, v190
	;; [unrolled: 1-line block ×9, first 2 shown]
	v_add3_u32 v100, v118, v186, v100
	v_add3_u32 v68, v68, v132, v131
	;; [unrolled: 1-line block ×3, first 2 shown]
	v_bfe_u32 v69, v69, 20, 4
	v_dual_lshrrev_b32 v201, 28, v97 :: v_dual_bitop2_b32 v202, 15, v102 bitop3:0x40
	v_bfe_u32 v97, v97, 20, 4
	v_mul_i32_i24_e32 v135, v66, v135
	v_mul_i32_i24_e32 v136, v128, v136
	;; [unrolled: 1-line block ×4, first 2 shown]
	v_add3_u32 v100, v100, v191, v120
	v_add3_u32 v68, v68, v134, v133
	;; [unrolled: 1-line block ×3, first 2 shown]
	v_bfe_u32 v147, v62, 24, 4
	v_bfe_u32 v148, v62, 16, 4
	;; [unrolled: 1-line block ×4, first 2 shown]
	v_dual_lshrrev_b32 v151, 28, v62 :: v_dual_bitop2_b32 v153, 15, v63 bitop3:0x40
	v_bfe_u32 v152, v62, 20, 4
	v_bfe_u32 v62, v62, 8, 4
	v_dual_lshrrev_b32 v239, 28, v98 :: v_dual_bitop2_b32 v230, 15, v107 bitop3:0x40
	v_dual_lshrrev_b32 v245, 28, v99 :: v_dual_bitop2_b32 v234, 15, v98 bitop3:0x40
	v_bfe_u32 v235, v98, 24, 4
	v_bfe_u32 v236, v98, 16, 4
	;; [unrolled: 1-line block ×6, first 2 shown]
	v_mul_i32_i24_e32 v110, v126, v110
	v_mul_i32_i24_e32 v69, v127, v69
	v_mul_i32_i24_e32 v66, v66, v198
	v_mul_i32_i24_e32 v197, v128, v199
	v_mul_i32_i24_e32 v198, v126, v201
	v_mul_i32_i24_e32 v97, v127, v97
	v_add3_u32 v100, v100, v193, v194
	v_add3_u32 v68, v68, v135, v136
	;; [unrolled: 1-line block ×3, first 2 shown]
	v_bfe_u32 v203, v102, 8, 4
	v_bfe_u32 v204, v102, 16, 4
	;; [unrolled: 1-line block ×3, first 2 shown]
	v_and_b32_e32 v209, 0xf0f0f0f, v105
	v_dual_lshrrev_b32 v105, 4, v105 :: v_dual_lshrrev_b32 v217, 28, v102
	v_mul_i32_i24_e32 v146, v71, v146
	v_mul_i32_i24_e32 v62, v139, v62
	;; [unrolled: 1-line block ×7, first 2 shown]
	v_lshrrev_b16 v104, 8, v104
	v_add3_u32 v66, v100, v66, v197
	v_add3_u32 v68, v68, v69, v110
	;; [unrolled: 1-line block ×3, first 2 shown]
	v_bfe_i32 v145, v65, 0, 8
	v_bfe_u32 v210, v102, 4, 4
	v_dual_lshrrev_b32 v224, 28, v103 :: v_dual_bitop2_b32 v219, 15, v103 bitop3:0x40
	v_mul_i32_i24_e32 v148, v138, v148
	v_mul_i32_i24_e32 v147, v137, v147
	;; [unrolled: 1-line block ×6, first 2 shown]
	v_lshrrev_b16 v208, 8, v208
	v_lshrrev_b16 v209, 8, v209
	v_mul_i32_i24_e32 v203, v139, v203
	v_lshrrev_b16 v105, 8, v105
	v_dual_add_nc_u32 v91, 4, v91 :: v_dual_bitop2_b32 v104, 15, v104 bitop3:0x40
	v_add3_u32 v66, v66, v126, v101
	v_add3_u32 v62, v68, v62, v146
	;; [unrolled: 1-line block ×3, first 2 shown]
	v_bfe_u32 v215, v102, 12, 4
	v_bfe_u32 v102, v102, 20, 4
	;; [unrolled: 1-line block ×3, first 2 shown]
	v_and_b32_e32 v226, 0xf0f0f0f, v107
	v_dual_lshrrev_b32 v227, 4, v107 :: v_dual_lshrrev_b32 v228, 28, v107
	v_mul_i32_i24_e32 v149, v67, v149
	v_mul_i32_i24_e32 v150, v142, v150
	v_mul_i32_i24_e32 v200, v67, v210
	v_mul_i32_i24_e32 v67, v67, v237
	v_mul_i32_i24_e32 v202, v145, v219
	v_lshrrev_b16 v214, 8, v216
	v_lshrrev_b16 v106, 8, v106
	v_mul_i32_i24_e32 v219, v142, v238
	v_mad_i32_i24 v115, v170, v115, v166
	v_mad_i32_i24 v114, v173, v114, v169
	v_and_b32_e32 v119, 0xffff, v208
	v_and_b32_e32 v163, 0xffff, v209
	v_dual_add_nc_u32 v88, 4, v88 :: v_dual_bitop2_b32 v105, 15, v105 bitop3:0x40
	v_and_b32_e32 v104, 0xffff, v104
	v_add3_u32 v66, v66, v203, v127
	v_add3_u32 v62, v62, v148, v147
	;; [unrolled: 1-line block ×3, first 2 shown]
	v_bfe_i32 v144, v65, 8, 8
	v_bfe_u32 v154, v63, 8, 4
	v_bfe_u32 v218, v103, 8, 4
	v_and_b32_e32 v241, 15, v99
	v_bfe_u32 v242, v99, 8, 4
	v_mul_i32_i24_e32 v152, v141, v152
	v_mul_i32_i24_e32 v151, v140, v151
	;; [unrolled: 1-line block ×7, first 2 shown]
	v_lshrrev_b16 v216, 8, v226
	v_mul_i32_i24_e32 v215, v142, v215
	v_lshrrev_b16 v220, 8, v227
	v_mad_i32_i24 v64, v168, v64, v164
	v_and_b32_e32 v164, 0xffff, v214
	v_and_b32_e32 v106, 15, v106
	v_add3_u32 v109, v114, v172, v174
	v_add3_u32 v114, v115, v176, v177
	v_mul_i32_i24_e32 v113, v119, v113
	v_mul_i32_i24_e32 v115, v125, v163
	v_and_b32_e32 v105, 0xffff, v105
	v_mul_i32_i24_e32 v54, v104, v54
	v_add3_u32 v66, v66, v187, v199
	v_add3_u32 v62, v62, v149, v150
	;; [unrolled: 1-line block ×3, first 2 shown]
	v_bfe_u32 v111, v63, 16, 4
	v_bfe_u32 v112, v63, 24, 4
	v_bfe_i32 v65, v65, 16, 8
	v_bfe_u32 v225, v107, 24, 4
	v_bfe_u32 v232, v99, 16, 4
	;; [unrolled: 1-line block ×3, first 2 shown]
	v_mul_i32_i24_e32 v153, v145, v153
	v_mul_i32_i24_e32 v154, v144, v154
	;; [unrolled: 1-line block ×5, first 2 shown]
	v_and_b32_e32 v165, 0xffff, v216
	v_and_b32_e32 v166, 15, v220
	v_mul_i32_i24_e32 v116, v139, v164
	v_and_b32_e32 v106, 0xffff, v106
	v_mul_i32_i24_e32 v96, v128, v105
	v_add3_u32 v54, v113, v54, v115
	v_add3_u32 v66, v66, v200, v215
	;; [unrolled: 1-line block ×4, first 2 shown]
	v_bfe_u32 v159, v63, 12, 4
	v_bfe_u32 v221, v103, 16, 4
	;; [unrolled: 1-line block ×9, first 2 shown]
	v_mul_i32_i24_e32 v111, v65, v111
	v_mul_i32_i24_e32 v112, v143, v112
	;; [unrolled: 1-line block ×6, first 2 shown]
	v_add3_u32 v64, v64, v178, v179
	v_mul_i32_i24_e32 v119, v144, v165
	v_and_b32_e32 v125, 0xffff, v166
	v_add3_u32 v109, v109, v183, v184
	v_mul_i32_i24_e32 v104, v142, v106
	v_add3_u32 v54, v54, v96, v116
	v_add3_u32 v66, v66, v102, v201
	;; [unrolled: 1-line block ×4, first 2 shown]
	v_bfe_u32 v63, v63, 20, 4
	v_bfe_u32 v103, v103, 20, 4
	;; [unrolled: 1-line block ×3, first 2 shown]
	v_mul_i32_i24_e32 v159, v157, v159
	v_mul_i32_i24_e32 v145, v145, v230
	;; [unrolled: 1-line block ×10, first 2 shown]
	v_add3_u32 v64, v64, v185, v188
	v_add3_u32 v114, v114, v189, v190
	v_mul_i32_i24_e32 v105, v157, v125
	v_add3_u32 v69, v109, v210, v213
	v_add3_u32 v54, v54, v104, v119
	;; [unrolled: 1-line block ×5, first 2 shown]
	v_mul_i32_i24_e32 v63, v156, v63
	v_mul_i32_i24_e32 v160, v155, v160
	;; [unrolled: 1-line block ×6, first 2 shown]
	v_add3_u32 v65, v114, v65, v212
	v_add3_u32 v64, v64, v145, v107
	;; [unrolled: 1-line block ×6, first 2 shown]
	v_cvt_f32_f16_e32 v60, v108
	v_add3_u32 v54, v64, v65, v54
	v_add3_u32 v64, v66, v211, v221
	;; [unrolled: 1-line block ×4, first 2 shown]
	s_cmp_lt_u32 s1, 12
	v_cvt_f32_i32_e32 v54, v54
	v_add3_u32 v66, v64, v103, v156
	v_cvt_f32_i32_e32 v62, v62
	v_cvt_f32_i32_e32 v63, v63
	s_delay_alu instid0(VALU_DEP_4) | instskip(NEXT) | instid1(VALU_DEP_4)
	v_pk_mul_f32 v[64:65], v[54:55], v[60:61]
	v_cvt_f32_i32_e32 v54, v66
	s_delay_alu instid0(VALU_DEP_3) | instskip(NEXT) | instid1(VALU_DEP_3)
	v_pk_mul_f32 v[60:61], v[60:61], v[62:63] op_sel_hi:[0,1]
	v_sub_f32_e32 v63, v64, v65
	s_delay_alu instid0(VALU_DEP_3) | instskip(NEXT) | instid1(VALU_DEP_3)
	v_fma_mix_f32 v62, v108, v54, -v65 op_sel_hi:[1,0,0]
	v_dual_sub_f32 v61, v61, v65 :: v_dual_sub_f32 v60, v60, v65
	s_delay_alu instid0(VALU_DEP_2) | instskip(NEXT) | instid1(VALU_DEP_2)
	v_pk_fma_f32 v[0:1], v[58:59], v[62:63], v[0:1]
	v_pk_fma_f32 v[20:21], v[94:95], v[60:61], v[20:21]
	s_cbranch_scc1 .LBB197_11
; %bb.12:                               ;   in Loop: Header=BB197_5 Depth=1
	s_bitset1_b32 s17, 7
	s_delay_alu instid0(SALU_CYCLE_1)
	s_cmp_ge_i32 s17, s11
	s_barrier_signal -1
	s_barrier_wait -1
	s_cbranch_scc1 .LBB197_4
; %bb.13:                               ;   in Loop: Header=BB197_5 Depth=1
	v_add_nc_u32_e32 v54, s12, v74
	s_delay_alu instid0(VALU_DEP_1) | instskip(SKIP_1) | instid1(SALU_CYCLE_1)
	v_cmp_gt_i32_e64 s1, s5, v54
	s_and_b32 s17, s0, s1
	s_and_saveexec_b32 s1, s17
	s_cbranch_execz .LBB197_15
; %bb.14:                               ;   in Loop: Header=BB197_5 Depth=1
	v_add_nc_u32_e32 v54, v28, v54
	s_delay_alu instid0(VALU_DEP_1)
	v_mad_nc_i64_i32 v[58:59], v54, 36, v[30:31]
	global_load_b32 v54, v[58:59], off offset:4
	s_wait_loadcnt 0x0
	ds_store_b32 v53, v54
.LBB197_15:                             ;   in Loop: Header=BB197_5 Depth=1
	s_or_b32 exec_lo, exec_lo, s1
	s_and_saveexec_b32 s17, vcc_lo
	s_cbranch_execz .LBB197_18
; %bb.16:                               ;   in Loop: Header=BB197_5 Depth=1
	v_or_b32_e32 v54, 4, v56
	s_delay_alu instid0(VALU_DEP_1) | instskip(SKIP_1) | instid1(SALU_CYCLE_1)
	v_cmp_gt_i32_e64 s1, s5, v54
	s_and_b32 s1, s0, s1
	s_and_b32 exec_lo, exec_lo, s1
	s_cbranch_execz .LBB197_18
; %bb.17:                               ;   in Loop: Header=BB197_5 Depth=1
	v_ashrrev_i32_e32 v57, 31, v56
	s_delay_alu instid0(VALU_DEP_1) | instskip(NEXT) | instid1(VALU_DEP_1)
	v_add_nc_u64_e32 v[56:57], v[28:29], v[56:57]
	v_mad_nc_u64_u32 v[58:59], v56, 36, s[2:3]
	s_delay_alu instid0(VALU_DEP_1)
	v_mad_i32_i24 v59, v57, 36, v59
	global_load_b32 v54, v[58:59], off offset:144
	s_wait_loadcnt 0x0
	ds_store_b32 v72, v54
.LBB197_18:                             ;   in Loop: Header=BB197_5 Depth=1
	s_or_b32 exec_lo, exec_lo, s17
	v_dual_mov_b32 v60, v51 :: v_dual_mov_b32 v61, v49
	v_dual_mov_b32 v62, v83 :: v_dual_mov_b32 v63, v82
	;; [unrolled: 1-line block ×3, first 2 shown]
	v_mov_b32_e32 v66, v79
	s_mov_b32 s1, 12
	s_wait_dscnt 0x0
	s_barrier_signal -1
	s_barrier_wait -1
.LBB197_19:                             ;   Parent Loop BB197_5 Depth=1
                                        ; =>  This Inner Loop Header: Depth=2
	ds_load_2addr_b32 v[68:69], v61 offset1:3
	ds_load_2addr_b32 v[70:71], v61 offset0:4 offset1:7
	ds_load_2addr_b32 v[88:89], v61 offset0:1 offset1:2
	ds_load_b32 v67, v60
	ds_load_2addr_b32 v[90:91], v66 offset1:1
	ds_load_2addr_b32 v[92:93], v66 offset0:2 offset1:3
	v_add_nc_u32_e32 v54, 0x1080, v66
	v_add_nc_u32_e32 v98, 0x1088, v66
	;; [unrolled: 1-line block ×6, first 2 shown]
	ds_load_2addr_b32 v[94:95], v61 offset0:5 offset1:6
	ds_load_b32 v56, v62
	ds_load_b32 v57, v63
	;; [unrolled: 1-line block ×4, first 2 shown]
	ds_load_2addr_b32 v[96:97], v54 offset1:1
	ds_load_2addr_b32 v[98:99], v98 offset1:1
	;; [unrolled: 1-line block ×6, first 2 shown]
	v_dual_add_nc_u32 v66, 16, v66 :: v_dual_add_nc_u32 v65, 4, v65
	v_add_nc_u32_e32 v60, 4, v60
	s_add_co_i32 s1, s1, 4
	v_add_nc_u32_e32 v64, 4, v64
	s_cmp_lt_u32 s1, 28
	s_wait_dscnt 0x10
	v_lshrrev_b16 v112, 8, v68
	v_bfe_i32 v115, v68, 0, 8
	s_wait_dscnt 0xe
	v_ashrrev_i32_e32 v122, 24, v88
	v_lshrrev_b16 v54, 8, v70
	s_wait_dscnt 0xc
	v_and_b32_e32 v116, 15, v90
	v_bfe_u32 v117, v90, 8, 4
	v_bfe_i32 v112, v112, 0, 8
	v_dual_lshrrev_b32 v109, 28, v91 :: v_dual_ashrrev_i32 v113, 24, v68
	s_delay_alu instid0(VALU_DEP_4)
	v_mul_i32_i24_e32 v116, v115, v116
	s_wait_dscnt 0x5
	v_and_b32_e32 v190, 15, v96
	v_bfe_i32 v114, v68, 16, 8
	v_bfe_u32 v118, v90, 24, 4
	v_bfe_u32 v119, v90, 16, 4
	v_dual_ashrrev_i32 v120, 24, v70 :: v_dual_bitop2_b32 v130, 15, v91 bitop3:0x40
	v_bfe_i32 v121, v70, 16, 8
	v_bfe_i32 v70, v70, 0, 8
	s_wait_dscnt 0x3
	v_and_b32_e32 v166, 15, v100
	s_wait_dscnt 0x1
	v_dual_lshrrev_b32 v187, 4, v104 :: v_dual_bitop2_b32 v179, 15, v102 bitop3:0x40
	v_bfe_u32 v185, v104, 24, 4
	v_and_b32_e32 v186, 0xf0f0f0f, v104
	v_dual_lshrrev_b32 v188, 28, v104 :: v_dual_bitop2_b32 v194, 15, v104 bitop3:0x40
	v_bfe_u32 v189, v96, 8, 4
	v_bfe_u32 v191, v96, 24, 4
	;; [unrolled: 1-line block ×6, first 2 shown]
	v_lshrrev_b32_e32 v198, 4, v105
	v_mad_i32_i24 v116, v112, v117, v116
	v_mul_i32_i24_e32 v117, v115, v190
	v_bfe_u32 v108, v90, 12, 4
	v_dual_lshrrev_b32 v128, 28, v90 :: v_dual_ashrrev_i32 v139, 24, v95
	v_bfe_u32 v129, v90, 20, 4
	v_bfe_u32 v90, v90, 4, 4
	;; [unrolled: 1-line block ×9, first 2 shown]
	v_lshrrev_b32_e32 v100, 28, v100
	v_mul_i32_i24_e32 v119, v114, v119
	v_mul_i32_i24_e32 v118, v113, v118
	v_bfe_i32 v54, v54, 0, 8
	v_dual_lshrrev_b32 v202, 28, v96 :: v_dual_bitop2_b32 v204, 15, v97 bitop3:0x40
	v_bfe_u32 v203, v96, 20, 4
	v_bfe_u32 v96, v96, 4, 4
	v_mul_i32_i24_e32 v190, v114, v192
	v_mul_i32_i24_e32 v191, v113, v191
	;; [unrolled: 1-line block ×4, first 2 shown]
	v_mad_i32_i24 v117, v112, v189, v117
	v_bfe_i32 v123, v88, 16, 8
	v_bfe_i32 v124, v88, 8, 8
	;; [unrolled: 1-line block ×3, first 2 shown]
	v_dual_ashrrev_i32 v125, 24, v94 :: v_dual_ashrrev_i32 v136, 24, v89
	v_bfe_i32 v126, v94, 16, 8
	v_bfe_i32 v127, v94, 8, 8
	;; [unrolled: 1-line block ×3, first 2 shown]
	v_bfe_u32 v134, v91, 4, 4
	v_bfe_u32 v177, v101, 4, 4
	;; [unrolled: 1-line block ×3, first 2 shown]
	v_and_b32_e32 v197, 0xf0f0f0f, v105
	v_dual_lshrrev_b32 v199, 28, v105 :: v_dual_bitop2_b32 v201, 15, v105 bitop3:0x40
	v_bfe_u32 v200, v105, 16, 4
	v_bfe_u32 v208, v97, 4, 4
	v_mul_i32_i24_e32 v90, v70, v90
	v_bfe_u32 v210, v105, 20, 4
	v_bfe_u32 v105, v105, 4, 4
	v_mul_i32_i24_e32 v168, v114, v168
	v_mul_i32_i24_e32 v169, v113, v169
	;; [unrolled: 1-line block ×6, first 2 shown]
	v_add3_u32 v116, v116, v119, v118
	v_mad_i32_i24 v118, v112, v167, v166
	v_mad_i32_i24 v104, v194, v115, v104
	v_add3_u32 v115, v117, v190, v191
	v_bfe_u32 v131, v91, 8, 4
	v_and_b32_e32 v173, 15, v101
	v_bfe_u32 v205, v97, 8, 4
	v_mul_i32_i24_e32 v129, v121, v129
	v_mul_i32_i24_e32 v128, v120, v128
	;; [unrolled: 1-line block ×7, first 2 shown]
	v_lshrrev_b16 v195, 8, v197
	v_lshrrev_b16 v197, 8, v198
	v_mul_i32_i24_e32 v198, v88, v201
	v_mul_i32_i24_e32 v177, v94, v177
	;; [unrolled: 1-line block ×6, first 2 shown]
	v_add3_u32 v117, v118, v168, v169
	v_add3_u32 v90, v116, v108, v90
	;; [unrolled: 1-line block ×3, first 2 shown]
	v_bfe_u32 v132, v91, 24, 4
	v_bfe_u32 v133, v91, 16, 4
	;; [unrolled: 1-line block ×7, first 2 shown]
	v_lshrrev_b32_e32 v101, 28, v101
	v_bfe_u32 v206, v97, 24, 4
	v_bfe_u32 v207, v97, 16, 4
	v_mul_i32_i24_e32 v130, v88, v130
	v_mul_i32_i24_e32 v131, v124, v131
	;; [unrolled: 1-line block ×6, first 2 shown]
	v_add3_u32 v94, v104, v198, v94
	v_add3_u32 v104, v117, v171, v170
	;; [unrolled: 1-line block ×4, first 2 shown]
	v_bfe_u32 v135, v91, 12, 4
	v_bfe_u32 v209, v97, 12, 4
	v_mul_i32_i24_e32 v133, v123, v133
	v_mul_i32_i24_e32 v132, v122, v132
	;; [unrolled: 1-line block ×9, first 2 shown]
	v_add3_u32 v100, v104, v165, v100
	v_add3_u32 v90, v90, v131, v130
	v_add3_u32 v70, v70, v121, v88
	v_bfe_u32 v91, v91, 20, 4
	v_dual_lshrrev_b32 v157, 16, v67 :: v_dual_lshrrev_b32 v162, 28, v97
	v_bfe_u32 v97, v97, 20, 4
	v_mul_i32_i24_e32 v135, v127, v135
	v_mul_i32_i24_e32 v202, v127, v209
	v_add3_u32 v100, v100, v174, v173
	v_add3_u32 v90, v90, v133, v132
	;; [unrolled: 1-line block ×3, first 2 shown]
	v_bfe_i32 v137, v89, 16, 8
	v_bfe_i32 v138, v89, 8, 8
	;; [unrolled: 1-line block ×3, first 2 shown]
	v_ashrrev_i32_e32 v142, 24, v69
	v_bfe_i32 v143, v69, 8, 8
	v_bfe_i32 v144, v69, 0, 8
	v_bfe_i32 v145, v69, 16, 8
	v_and_b32_e32 v69, 15, v92
	v_bfe_u32 v146, v92, 24, 4
	v_bfe_u32 v147, v92, 16, 4
	;; [unrolled: 1-line block ×4, first 2 shown]
	v_dual_lshrrev_b32 v150, 28, v92 :: v_dual_bitop2_b32 v152, 15, v93 bitop3:0x40
	v_bfe_u32 v151, v92, 20, 4
	v_bfe_u32 v92, v92, 8, 4
	v_mul_i32_i24_e32 v109, v125, v109
	v_mul_i32_i24_e32 v91, v126, v91
	s_wait_dscnt 0x0
	v_dual_lshrrev_b32 v221, 4, v107 :: v_dual_bitop2_b32 v216, 15, v106 bitop3:0x40
	v_dual_lshrrev_b32 v232, 28, v98 :: v_dual_bitop2_b32 v224, 15, v103 bitop3:0x40
	;; [unrolled: 1-line block ×3, first 2 shown]
	v_bfe_u32 v228, v98, 24, 4
	v_bfe_u32 v229, v98, 16, 4
	;; [unrolled: 1-line block ×6, first 2 shown]
	v_mul_i32_i24_e32 v162, v125, v162
	v_mul_i32_i24_e32 v178, v127, v178
	;; [unrolled: 1-line block ×3, first 2 shown]
	v_add3_u32 v100, v100, v175, v176
	v_add3_u32 v90, v90, v134, v135
	;; [unrolled: 1-line block ×3, first 2 shown]
	v_bfe_u32 v110, v93, 16, 4
	v_bfe_u32 v111, v93, 24, 4
	;; [unrolled: 1-line block ×3, first 2 shown]
	v_dual_ashrrev_i32 v154, 24, v71 :: v_dual_lshrrev_b32 v160, 28, v93
	v_bfe_i32 v155, v71, 16, 8
	v_bfe_u32 v158, v93, 4, 4
	v_bfe_u32 v159, v93, 12, 4
	;; [unrolled: 1-line block ×9, first 2 shown]
	v_and_b32_e32 v212, 0xf0f0f0f, v106
	v_bfe_u32 v215, v106, 16, 4
	v_bfe_u32 v223, v103, 8, 4
	;; [unrolled: 1-line block ×4, first 2 shown]
	v_dual_lshrrev_b32 v244, 28, v99 :: v_dual_bitop2_b32 v234, 15, v99 bitop3:0x40
	v_bfe_u32 v235, v99, 8, 4
	v_mul_i32_i24_e32 v236, v89, v69
	v_mul_i32_i24_e32 v92, v138, v92
	v_bfe_u32 v239, v103, 12, 4
	v_bfe_u32 v240, v103, 4, 4
	;; [unrolled: 1-line block ×4, first 2 shown]
	v_cvt_f32_f16_e64 v69, v157
	v_bfe_u32 v157, v99, 4, 4
	v_bfe_u32 v243, v99, 12, 4
	;; [unrolled: 1-line block ×3, first 2 shown]
	v_lshrrev_b16 v187, 8, v187
	v_mul_i32_i24_e32 v172, v126, v172
	v_mul_i32_i24_e32 v101, v125, v101
	;; [unrolled: 1-line block ×6, first 2 shown]
	v_add3_u32 v100, v100, v177, v178
	v_add3_u32 v90, v90, v91, v109
	;; [unrolled: 1-line block ×3, first 2 shown]
	v_bfe_i32 v140, v95, 16, 8
	v_bfe_i32 v141, v95, 8, 8
	v_bfe_i32 v95, v95, 0, 8
	v_bfe_u32 v183, v102, 4, 4
	v_dual_lshrrev_b32 v213, 4, v106 :: v_dual_lshrrev_b32 v214, 28, v106
	v_bfe_u32 v218, v106, 20, 4
	v_bfe_u32 v106, v106, 4, 4
	;; [unrolled: 1-line block ×3, first 2 shown]
	v_mul_i32_i24_e32 v147, v137, v147
	v_mul_i32_i24_e32 v146, v136, v146
	;; [unrolled: 1-line block ×3, first 2 shown]
	v_lshrrev_b16 v186, 8, v186
	v_mul_i32_i24_e32 v105, v126, v210
	v_lshrrev_b16 v126, 8, v212
	v_mul_i32_i24_e32 v180, v138, v180
	v_mul_i32_i24_e32 v181, v137, v181
	;; [unrolled: 1-line block ×11, first 2 shown]
	v_and_b32_e32 v155, 15, v187
	v_add3_u32 v91, v100, v172, v101
	v_add3_u32 v90, v90, v92, v236
	;; [unrolled: 1-line block ×3, first 2 shown]
	v_bfe_u32 v184, v102, 12, 4
	v_dual_lshrrev_b32 v217, 28, v102 :: v_dual_lshrrev_b32 v222, 28, v107
	v_bfe_u32 v102, v102, 20, 4
	v_and_b32_e32 v220, 0xf0f0f0f, v107
	v_mul_i32_i24_e32 v148, v95, v148
	v_mul_i32_i24_e32 v149, v141, v149
	;; [unrolled: 1-line block ×4, first 2 shown]
	v_lshrrev_b16 v199, 8, v213
	v_mul_i32_i24_e32 v183, v95, v183
	v_mul_i32_i24_e32 v106, v95, v106
	v_mul_i32_i24_e32 v207, v140, v218
	v_mul_i32_i24_e32 v208, v139, v214
	v_mul_i32_i24_e32 v214, v142, v225
	v_mul_i32_i24_e32 v95, v95, v230
	v_mul_i32_i24_e32 v215, v141, v231
	v_mul_i32_i24_e32 v218, v142, v219
	v_mul_i32_i24_e32 v142, v142, v164
	v_and_b32_e32 v119, 0xffff, v186
	v_dual_add_nc_u32 v63, 4, v63 :: v_dual_bitop2_b32 v164, 15, v197 bitop3:0x40
	v_and_b32_e32 v166, 0xffff, v195
	v_and_b32_e32 v118, 0xffff, v155
	v_add3_u32 v89, v91, v180, v179
	v_add3_u32 v90, v90, v147, v146
	;; [unrolled: 1-line block ×3, first 2 shown]
	v_mul_i32_i24_e32 v151, v140, v151
	v_mul_i32_i24_e32 v150, v139, v150
	;; [unrolled: 1-line block ×5, first 2 shown]
	v_lshrrev_b16 v209, 8, v220
	v_lshrrev_b16 v210, 8, v221
	v_mul_i32_i24_e32 v140, v140, v233
	v_mul_i32_i24_e32 v139, v139, v232
	v_dual_add_nc_u32 v62, 4, v62 :: v_dual_bitop2_b32 v167, 15, v199 bitop3:0x40
	v_and_b32_e32 v126, 0xffff, v126
	v_mad_i32_i24 v113, v185, v113, v188
	v_mul_i32_i24_e32 v112, v119, v112
	v_mul_i32_i24_e32 v119, v124, v166
	v_and_b32_e32 v108, 0xffff, v164
	v_mul_i32_i24_e32 v54, v118, v54
	v_add3_u32 v89, v89, v181, v182
	v_add3_u32 v90, v90, v148, v149
	;; [unrolled: 1-line block ×3, first 2 shown]
	v_mul_i32_i24_e32 v152, v144, v152
	v_mul_i32_i24_e32 v153, v143, v153
	;; [unrolled: 1-line block ×4, first 2 shown]
	v_dual_add_nc_u32 v61, 32, v61 :: v_dual_bitop2_b32 v186, 15, v210 bitop3:0x40
	v_and_b32_e32 v187, 0xffff, v209
	v_mad_i32_i24 v114, v193, v114, v192
	v_mul_i32_i24_e32 v116, v138, v126
	v_and_b32_e32 v124, 0xffff, v167
	v_add3_u32 v113, v113, v196, v125
	v_mul_i32_i24_e32 v108, v127, v108
	v_add3_u32 v54, v112, v54, v119
	v_add3_u32 v89, v89, v183, v184
	;; [unrolled: 1-line block ×4, first 2 shown]
	v_bfe_i32 v156, v71, 8, 8
	v_bfe_i32 v71, v71, 0, 8
	v_mul_i32_i24_e32 v110, v145, v110
	v_bfe_u32 v237, v107, 16, 4
	v_and_b32_e32 v238, 15, v107
	v_bfe_u32 v107, v107, 4, 4
	v_mul_i32_i24_e32 v163, v145, v163
	v_mul_i32_i24_e32 v211, v144, v224
	;; [unrolled: 1-line block ×4, first 2 shown]
	v_and_b32_e32 v138, 0xffff, v186
	v_add3_u32 v105, v114, v200, v105
	v_mul_i32_i24_e32 v114, v141, v124
	v_add3_u32 v88, v113, v205, v208
	v_add3_u32 v54, v54, v108, v116
	;; [unrolled: 1-line block ×5, first 2 shown]
	v_mul_i32_i24_e32 v158, v71, v158
	v_mul_i32_i24_e32 v159, v156, v159
	v_mul_i32_i24_e32 v213, v145, v226
	v_mul_i32_i24_e32 v144, v144, v238
	v_mul_i32_i24_e32 v145, v145, v237
	v_mul_i32_i24_e32 v219, v71, v240
	v_mul_i32_i24_e32 v107, v71, v107
	v_mul_i32_i24_e32 v71, v71, v157
	v_mul_i32_i24_e32 v157, v156, v243
	v_mul_i32_i24_e32 v96, v156, v138
	v_add3_u32 v94, v94, v203, v106
	v_add3_u32 v104, v105, v204, v207
	v_add3_u32 v88, v88, v218, v222
	v_add3_u32 v54, v54, v114, v126
	v_add3_u32 v89, v89, v212, v211
	v_add3_u32 v90, v90, v110, v111
	v_add3_u32 v70, v70, v163, v142
	v_mul_i32_i24_e32 v160, v154, v160
	v_mul_i32_i24_e32 v220, v156, v239
	;; [unrolled: 1-line block ×4, first 2 shown]
	v_add3_u32 v91, v104, v145, v223
	v_add3_u32 v92, v94, v144, v107
	;; [unrolled: 1-line block ×6, first 2 shown]
	v_cvt_f32_f16_e32 v68, v67
	v_add3_u32 v54, v92, v91, v54
	v_add3_u32 v71, v88, v219, v220
	;; [unrolled: 1-line block ×4, first 2 shown]
	s_delay_alu instid0(VALU_DEP_4) | instskip(NEXT) | instid1(VALU_DEP_4)
	v_cvt_f32_i32_e32 v54, v54
	v_add3_u32 v90, v71, v103, v221
	s_delay_alu instid0(VALU_DEP_4) | instskip(NEXT) | instid1(VALU_DEP_4)
	v_cvt_f32_i32_e32 v70, v88
	v_cvt_f32_i32_e32 v71, v89
	s_delay_alu instid0(VALU_DEP_4) | instskip(NEXT) | instid1(VALU_DEP_4)
	v_pk_mul_f32 v[88:89], v[54:55], v[68:69]
	v_cvt_f32_i32_e32 v54, v90
	s_delay_alu instid0(VALU_DEP_3) | instskip(NEXT) | instid1(VALU_DEP_3)
	v_pk_mul_f32 v[68:69], v[68:69], v[70:71] op_sel_hi:[0,1]
	v_sub_f32_e32 v71, v88, v89
	s_delay_alu instid0(VALU_DEP_3) | instskip(NEXT) | instid1(VALU_DEP_3)
	v_fma_mix_f32 v70, v67, v54, -v89 op_sel_hi:[1,0,0]
	v_dual_sub_f32 v69, v69, v89 :: v_dual_sub_f32 v68, v68, v89
	s_delay_alu instid0(VALU_DEP_2) | instskip(NEXT) | instid1(VALU_DEP_2)
	v_pk_fma_f32 v[0:1], v[58:59], v[70:71], v[0:1]
	v_pk_fma_f32 v[20:21], v[56:57], v[68:69], v[20:21]
	s_cbranch_scc1 .LBB197_19
; %bb.20:                               ;   in Loop: Header=BB197_5 Depth=1
	s_barrier_signal -1
	s_barrier_wait -1
	s_branch .LBB197_4
.LBB197_21:
	v_mov_b32_e32 v20, 0
	s_delay_alu instid0(VALU_DEP_1)
	v_dual_mov_b32 v21, v20 :: v_dual_mov_b32 v0, v20
	v_mov_b32_e32 v1, v20
.LBB197_22:
	s_mul_i32 s0, s7, s4
	s_wait_loadcnt 0x0
	v_cmp_gt_i32_e32 vcc_lo, s0, v3
	s_and_saveexec_b32 s0, vcc_lo
	s_cbranch_execz .LBB197_31
; %bb.23:
	v_mul_lo_u32 v2, v3, s6
	v_add_nc_u32_e32 v3, s18, v5
	s_mov_b32 s0, exec_lo
	s_delay_alu instid0(VALU_DEP_1)
	v_cmpx_gt_u32_e64 s6, v3
	s_cbranch_execz .LBB197_25
; %bb.24:
	s_delay_alu instid0(VALU_DEP_3)
	v_add_nc_u32_e32 v4, v2, v3
	v_cvt_f16_f32_e32 v5, v20
	global_store_b16 v4, v5, s[8:9] scale_offset
.LBB197_25:
	s_wait_xcnt 0x0
	s_or_b32 exec_lo, exec_lo, s0
	v_add_nc_u32_e32 v4, 32, v3
	s_mov_b32 s0, exec_lo
	s_delay_alu instid0(VALU_DEP_1)
	v_cmpx_gt_u32_e64 s6, v4
	s_cbranch_execz .LBB197_27
; %bb.26:
	v_add_nc_u32_e32 v4, v2, v4
	v_cvt_f16_f32_e32 v5, v21
	global_store_b16 v4, v5, s[8:9] scale_offset
.LBB197_27:
	s_wait_xcnt 0x0
	s_or_b32 exec_lo, exec_lo, s0
	v_add_nc_u32_e32 v4, 64, v3
	s_mov_b32 s0, exec_lo
	s_delay_alu instid0(VALU_DEP_1)
	v_cmpx_gt_u32_e64 s6, v4
	s_cbranch_execz .LBB197_29
; %bb.28:
	v_add_nc_u32_e32 v4, v2, v4
	v_cvt_f16_f32_e32 v0, v0
	global_store_b16 v4, v0, s[8:9] scale_offset
.LBB197_29:
	s_wait_xcnt 0x0
	s_or_b32 exec_lo, exec_lo, s0
	v_add_nc_u32_e32 v0, 0x60, v3
	s_delay_alu instid0(VALU_DEP_1)
	v_cmp_gt_u32_e32 vcc_lo, s6, v0
	s_and_b32 exec_lo, exec_lo, vcc_lo
	s_cbranch_execz .LBB197_31
; %bb.30:
	v_add_nc_u32_e32 v0, v2, v0
	v_cvt_f16_f32_e32 v1, v1
	global_store_b16 v0, v1, s[8:9] scale_offset
.LBB197_31:
	s_sendmsg sendmsg(MSG_DEALLOC_VGPRS)
	s_endpgm
	.section	.rodata,"a",@progbits
	.p2align	6, 0x0
	.amdhsa_kernel _ZL8moe_q4_0IN3c104HalfELb0EEvPKvS3_PT_PKiS7_S7_iiiiiii
		.amdhsa_group_segment_fixed_size 22272
		.amdhsa_private_segment_fixed_size 0
		.amdhsa_kernarg_size 76
		.amdhsa_user_sgpr_count 2
		.amdhsa_user_sgpr_dispatch_ptr 0
		.amdhsa_user_sgpr_queue_ptr 0
		.amdhsa_user_sgpr_kernarg_segment_ptr 1
		.amdhsa_user_sgpr_dispatch_id 0
		.amdhsa_user_sgpr_kernarg_preload_length 0
		.amdhsa_user_sgpr_kernarg_preload_offset 0
		.amdhsa_user_sgpr_private_segment_size 0
		.amdhsa_wavefront_size32 1
		.amdhsa_uses_dynamic_stack 0
		.amdhsa_enable_private_segment 0
		.amdhsa_system_sgpr_workgroup_id_x 1
		.amdhsa_system_sgpr_workgroup_id_y 1
		.amdhsa_system_sgpr_workgroup_id_z 0
		.amdhsa_system_sgpr_workgroup_info 0
		.amdhsa_system_vgpr_workitem_id 1
		.amdhsa_next_free_vgpr 247
		.amdhsa_next_free_sgpr 22
		.amdhsa_named_barrier_count 0
		.amdhsa_reserve_vcc 1
		.amdhsa_float_round_mode_32 0
		.amdhsa_float_round_mode_16_64 0
		.amdhsa_float_denorm_mode_32 3
		.amdhsa_float_denorm_mode_16_64 3
		.amdhsa_fp16_overflow 0
		.amdhsa_memory_ordered 1
		.amdhsa_forward_progress 1
		.amdhsa_inst_pref_size 64
		.amdhsa_round_robin_scheduling 0
		.amdhsa_exception_fp_ieee_invalid_op 0
		.amdhsa_exception_fp_denorm_src 0
		.amdhsa_exception_fp_ieee_div_zero 0
		.amdhsa_exception_fp_ieee_overflow 0
		.amdhsa_exception_fp_ieee_underflow 0
		.amdhsa_exception_fp_ieee_inexact 0
		.amdhsa_exception_int_div_zero 0
	.end_amdhsa_kernel
	.section	.text._ZL8moe_q4_0IN3c104HalfELb0EEvPKvS3_PT_PKiS7_S7_iiiiiii,"axG",@progbits,_ZL8moe_q4_0IN3c104HalfELb0EEvPKvS3_PT_PKiS7_S7_iiiiiii,comdat
.Lfunc_end197:
	.size	_ZL8moe_q4_0IN3c104HalfELb0EEvPKvS3_PT_PKiS7_S7_iiiiiii, .Lfunc_end197-_ZL8moe_q4_0IN3c104HalfELb0EEvPKvS3_PT_PKiS7_S7_iiiiiii
                                        ; -- End function
	.set _ZL8moe_q4_0IN3c104HalfELb0EEvPKvS3_PT_PKiS7_S7_iiiiiii.num_vgpr, 247
	.set _ZL8moe_q4_0IN3c104HalfELb0EEvPKvS3_PT_PKiS7_S7_iiiiiii.num_agpr, 0
	.set _ZL8moe_q4_0IN3c104HalfELb0EEvPKvS3_PT_PKiS7_S7_iiiiiii.numbered_sgpr, 22
	.set _ZL8moe_q4_0IN3c104HalfELb0EEvPKvS3_PT_PKiS7_S7_iiiiiii.num_named_barrier, 0
	.set _ZL8moe_q4_0IN3c104HalfELb0EEvPKvS3_PT_PKiS7_S7_iiiiiii.private_seg_size, 0
	.set _ZL8moe_q4_0IN3c104HalfELb0EEvPKvS3_PT_PKiS7_S7_iiiiiii.uses_vcc, 1
	.set _ZL8moe_q4_0IN3c104HalfELb0EEvPKvS3_PT_PKiS7_S7_iiiiiii.uses_flat_scratch, 0
	.set _ZL8moe_q4_0IN3c104HalfELb0EEvPKvS3_PT_PKiS7_S7_iiiiiii.has_dyn_sized_stack, 0
	.set _ZL8moe_q4_0IN3c104HalfELb0EEvPKvS3_PT_PKiS7_S7_iiiiiii.has_recursion, 0
	.set _ZL8moe_q4_0IN3c104HalfELb0EEvPKvS3_PT_PKiS7_S7_iiiiiii.has_indirect_call, 0
	.section	.AMDGPU.csdata,"",@progbits
; Kernel info:
; codeLenInByte = 8116
; TotalNumSgprs: 24
; NumVgprs: 247
; ScratchSize: 0
; MemoryBound: 0
; FloatMode: 240
; IeeeMode: 1
; LDSByteSize: 22272 bytes/workgroup (compile time only)
; SGPRBlocks: 0
; VGPRBlocks: 15
; NumSGPRsForWavesPerEU: 24
; NumVGPRsForWavesPerEU: 247
; NamedBarCnt: 0
; Occupancy: 4
; WaveLimiterHint : 1
; COMPUTE_PGM_RSRC2:SCRATCH_EN: 0
; COMPUTE_PGM_RSRC2:USER_SGPR: 2
; COMPUTE_PGM_RSRC2:TRAP_HANDLER: 0
; COMPUTE_PGM_RSRC2:TGID_X_EN: 1
; COMPUTE_PGM_RSRC2:TGID_Y_EN: 1
; COMPUTE_PGM_RSRC2:TGID_Z_EN: 0
; COMPUTE_PGM_RSRC2:TIDIG_COMP_CNT: 1
	.section	.text._ZL8moe_q4_0IN3c104HalfELb1EEvPKvS3_PT_PKiS7_S7_iiiiiii,"axG",@progbits,_ZL8moe_q4_0IN3c104HalfELb1EEvPKvS3_PT_PKiS7_S7_iiiiiii,comdat
	.globl	_ZL8moe_q4_0IN3c104HalfELb1EEvPKvS3_PT_PKiS7_S7_iiiiiii ; -- Begin function _ZL8moe_q4_0IN3c104HalfELb1EEvPKvS3_PT_PKiS7_S7_iiiiiii
	.p2align	8
	.type	_ZL8moe_q4_0IN3c104HalfELb1EEvPKvS3_PT_PKiS7_S7_iiiiiii,@function
_ZL8moe_q4_0IN3c104HalfELb1EEvPKvS3_PT_PKiS7_S7_iiiiiii: ; @_ZL8moe_q4_0IN3c104HalfELb1EEvPKvS3_PT_PKiS7_S7_iiiiiii
; %bb.0:
	s_load_b128 s[4:7], s[0:1], 0x18
	s_bfe_u32 s2, ttmp6, 0x40010
	s_bfe_u32 s8, ttmp6, 0x40004
	s_add_co_i32 s2, s2, 1
	s_delay_alu instid0(SALU_CYCLE_1)
	s_mul_i32 s3, ttmp7, s2
	s_getreg_b32 s2, hwreg(HW_REG_IB_STS2, 6, 4)
	s_add_co_i32 s8, s8, s3
	s_cmp_eq_u32 s2, 0
	s_cselect_b32 s3, ttmp7, s8
	s_wait_kmcnt 0x0
	s_load_b32 s14, s[6:7], s3 offset:0x0 scale_offset
	s_wait_kmcnt 0x0
	s_cmp_gt_u32 s14, 0xff
	s_cbranch_scc1 .LBB198_31
; %bb.1:
	s_load_b64 s[6:7], s[0:1], 0x28
	s_lshl_b32 s3, s3, 3
	s_wait_kmcnt 0x0
	s_load_b32 s6, s[6:7], 0x0
	s_wait_kmcnt 0x0
	s_cmp_gt_u32 s3, s6
	s_cbranch_scc1 .LBB198_31
; %bb.2:
	v_bfe_u32 v6, v0, 10, 10
	s_and_b32 s11, ttmp6, 15
	v_and_b32_e32 v5, 0x3ff, v0
	s_mov_b32 s15, 0
	s_delay_alu instid0(VALU_DEP_2) | instskip(SKIP_1) | instid1(SALU_CYCLE_1)
	v_add_nc_u32_e32 v1, s3, v6
	s_bfe_u32 s3, ttmp6, 0x4000c
	s_add_co_i32 s3, s3, 1
	s_delay_alu instid0(SALU_CYCLE_1)
	s_mul_i32 s3, ttmp9, s3
	global_load_b32 v1, v1, s[4:5] scale_offset
	s_wait_xcnt 0x0
	s_clause 0x2
	s_load_b128 s[4:7], s[0:1], 0x30
	s_load_b64 s[12:13], s[0:1], 0x10
	s_load_b96 s[8:10], s[0:1], 0x40
	s_add_co_i32 s11, s11, s3
	s_cmp_eq_u32 s2, 0
	s_cselect_b32 s2, ttmp9, s11
	s_delay_alu instid0(SALU_CYCLE_1)
	s_lshl_b32 s11, s2, 7
	s_wait_kmcnt 0x0
	s_cmp_lt_i32 s5, 32
	s_cbranch_scc1 .LBB198_21
; %bb.3:
	s_load_b128 s[0:3], s[0:1], 0x0
	s_mul_i32 s18, s14, s4
	v_bfe_u32 v31, v0, 3, 7
	s_ashr_i32 s19, s18, 31
	s_not_b32 s4, s11
	v_dual_mov_b32 v3, 0 :: v_dual_lshlrev_b32 v7, 2, v5
	s_delay_alu instid0(VALU_DEP_2)
	v_lshl_add_u32 v8, v6, 2, v31
	s_add_co_i32 s20, s6, s4
	s_ashr_i32 s16, s5, 31
	s_ashr_i32 s17, s8, 31
	s_lshr_b32 s14, s16, 27
	v_min_i32_e32 v46, s20, v8
	s_lshr_b32 s16, s17, 27
	v_min_i32_e32 v14, s20, v6
	v_and_b32_e32 v2, 12, v7
	s_add_co_i32 s6, s8, s16
	v_ashrrev_i32_e32 v9, 31, v46
	v_add_min_i32_e64 v48, v8, 32, s20
	v_add_min_i32_e64 v50, v8, 64, s20
	s_wait_kmcnt 0x0
	s_add_nc_u64 s[18:19], s[0:1], s[18:19]
	s_abs_i32 s0, s10
	v_add_min_i32_e64 v52, 0x60, v8, s20
	s_cvt_f32_u32 s1, s0
	s_sub_co_i32 s8, 0, s0
	v_and_b32_e32 v57, 0xfc, v0
	s_ashr_i32 s6, s6, 5
	v_rcp_iflag_f32_e32 v4, s1
	v_add_min_i32_e64 v16, v6, 8, s20
	v_add_min_i32_e64 v18, v6, 16, s20
	;; [unrolled: 1-line block ×6, first 2 shown]
	v_readfirstlane_b32 s1, v4
	s_wait_loadcnt 0x0
	v_sub_nc_u32_e32 v4, 0, v1
	v_add_min_i32_e64 v28, v6, 56, s20
	v_add_min_i32_e64 v30, v6, 64, s20
	;; [unrolled: 1-line block ×3, first 2 shown]
	s_mul_f32 s1, s1, 0x4f7ffffe
	v_dual_lshrrev_b32 v4, 30, v9 :: v_dual_max_i32 v10, v1, v4
	v_add_min_i32_e64 v34, 0x50, v6, s20
	s_delay_alu instid0(SALU_CYCLE_1)
	s_cvt_u32_f32 s1, s1
	v_lshlrev_b32_e32 v51, 5, v46
	v_add_min_i32_e64 v36, 0x58, v6, s20
	v_add_nc_u32_e32 v11, v46, v4
	s_mul_i32 s8, s8, s1
	v_ashrrev_i32_e32 v12, 31, v48
	s_mul_hi_u32 s8, s1, s8
	v_and_b32_e32 v4, 7, v0
	s_add_co_i32 s1, s1, s8
	v_and_b32_e32 v11, -4, v11
	v_mul_hi_u32 v9, v10, s1
	s_delay_alu instid0(VALU_DEP_3)
	v_dual_ashrrev_i32 v8, 31, v50 :: v_dual_lshlrev_b32 v49, 2, v4
	v_add_min_i32_e64 v38, 0x60, v6, s20
	v_add_min_i32_e64 v40, 0x68, v6, s20
	v_add_min_i32_e64 v42, 0x70, v6, s20
	v_add_min_i32_e64 v44, 0x78, v6, s20
	v_add3_u32 v11, v11, v49, 0x4200
	s_add_co_i32 s4, s5, s14
	v_mad_u32 v15, 0x84, v14, v7
	s_ashr_i32 s4, s4, 5
	v_mul_lo_u32 v13, v9, s0
	v_lshrrev_b32_e32 v12, 30, v12
	v_mad_u32 v17, 0x84, v16, v7
	v_mad_u32 v19, 0x84, v18, v7
	;; [unrolled: 1-line block ×9, first 2 shown]
	v_dual_sub_nc_u32 v10, v10, v13 :: v_dual_add_nc_u32 v12, v48, v12
	v_add_nc_u32_e32 v13, 1, v9
	v_mad_u32 v37, 0x84, v34, v7
	v_mad_u32 v39, 0x84, v36, v7
	s_delay_alu instid0(VALU_DEP_4)
	v_subrev_nc_u32_e32 v54, s0, v10
	v_cmp_le_u32_e32 vcc_lo, s0, v10
	v_ashrrev_i32_e32 v53, 31, v52
	v_and_b32_e32 v12, -4, v12
	v_mad_u32 v41, 0x84, v38, v7
	v_mad_u32 v43, 0x84, v40, v7
	v_dual_cndmask_b32 v10, v10, v54, vcc_lo :: v_dual_lshrrev_b32 v8, 30, v8
	v_cndmask_b32_e32 v9, v9, v13, vcc_lo
	v_lshrrev_b32_e32 v13, 30, v53
	v_xor_b32_e32 v53, s10, v1
	s_delay_alu instid0(VALU_DEP_4) | instskip(NEXT) | instid1(VALU_DEP_4)
	v_cmp_le_u32_e32 vcc_lo, s0, v10
	v_dual_add_nc_u32 v8, v50, v8 :: v_dual_add_nc_u32 v54, 1, v9
	v_add3_u32 v12, v12, v49, 0x4200
	s_delay_alu instid0(VALU_DEP_4) | instskip(SKIP_1) | instid1(VALU_DEP_4)
	v_ashrrev_i32_e32 v53, 31, v53
	v_mad_u32 v45, 0x84, v42, v7
	v_dual_add_nc_u32 v13, v52, v13 :: v_dual_bitop2_b32 v8, -4, v8 bitop3:0x40
	v_cndmask_b32_e32 v9, v9, v54, vcc_lo
	v_lshlrev_b32_e32 v58, 5, v50
	v_mad_u32 v47, 0x84, v44, v7
	s_delay_alu instid0(VALU_DEP_4) | instskip(SKIP_4) | instid1(VALU_DEP_4)
	v_add3_u32 v8, v8, v49, 0x4200
	v_dual_lshlrev_b32 v13, 5, v48 :: v_dual_bitop2_b32 v10, -4, v13 bitop3:0x40
	v_xor_b32_e32 v9, v9, v53
	v_add_nc_u32_e32 v55, 32, v5
	v_mul_lo_u32 v14, v14, s4
	v_add3_u32 v54, v10, v49, 0x4200
	v_add_nc_u32_e32 v10, 0x60, v5
	v_add_nc_u32_e32 v49, 64, v5
	v_mul_lo_u32 v16, v16, s4
	v_mul_lo_u32 v18, v18, s4
	;; [unrolled: 1-line block ×3, first 2 shown]
	v_and_b32_e32 v10, 0x1fc, v10
	v_sub_nc_u32_e32 v56, v9, v53
	v_lshlrev_b32_e32 v9, 5, v5
	v_and_b32_e32 v49, 0x1fc, v49
	v_and_b32_e32 v53, 0x1fc, v55
	v_mul_lo_u32 v22, v22, s4
	v_mul_lo_u32 v24, v24, s4
	;; [unrolled: 1-line block ×3, first 2 shown]
	v_dual_add_nc_u32 v60, v9, v49 :: v_dual_add_nc_u32 v49, v11, v51
	v_dual_add_nc_u32 v59, v9, v10 :: v_dual_bitop2_b32 v11, 31, v0 bitop3:0x40
	v_dual_add_nc_u32 v61, v9, v53 :: v_dual_add_nc_u32 v53, v8, v58
	v_dual_add_nc_u32 v57, v9, v57 :: v_dual_bitop2_b32 v8, 28, v7 bitop3:0x40
	v_lshlrev_b32_e32 v9, 5, v52
	v_mul_lo_u32 v10, v56, s6
	v_mul_lo_u32 v28, v28, s4
	;; [unrolled: 1-line block ×4, first 2 shown]
	v_dual_add_nc_u32 v72, v54, v9 :: v_dual_lshrrev_b32 v77, 3, v55
	v_mov_b32_e32 v9, v3
	v_mul_lo_u32 v34, v34, s4
	v_mul_lo_u32 v36, v36, s4
	;; [unrolled: 1-line block ×10, first 2 shown]
	v_lshl_add_u32 v73, v6, 7, 0x5280
	v_lshl_add_u32 v74, v6, 4, 0x5680
	s_mul_i32 s16, s4, s11
	v_add_nc_u32_e32 v51, v12, v13
	v_cmp_gt_u32_e32 vcc_lo, 4, v5
	v_cmp_gt_i32_e64 s0, s7, v56
	v_add_nc_u64_e32 v[12:13], s[2:3], v[8:9]
	s_ashr_i32 s17, s16, 31
	v_lshl_or_b32 v75, v11, 2, v73
	v_dual_add_nc_u32 v76, v74, v7 :: v_dual_ashrrev_i32 v11, 31, v10
	v_mov_b32_e32 v6, v3
	v_dual_mov_b32 v7, v3 :: v_dual_add_nc_u32 v78, 0x4e00, v59
	v_dual_mov_b32 v8, v3 :: v_dual_add_nc_u32 v79, 0x4e10, v59
	v_add_nc_u32_e32 v80, 0x4a00, v60
	v_add_nc_u32_e32 v81, 0x4a10, v60
	;; [unrolled: 1-line block ×6, first 2 shown]
	v_bfe_u32 v0, v0, 2, 8
	v_mul_u32_u24_e32 v86, 0x84, v5
	v_mad_u32_u24 v87, 0x84, v5, 64
	v_mov_b32_e32 v55, 0x41000000
	s_mul_u64 s[16:17], s[16:17], 18
	s_and_b32 s8, vcc_lo, s0
	s_add_nc_u64 s[16:17], s[18:19], s[16:17]
	s_mov_b32 s14, s15
	s_branch .LBB198_5
.LBB198_4:                              ;   in Loop: Header=BB198_5 Depth=1
	s_add_co_i32 s14, s14, 8
	s_delay_alu instid0(SALU_CYCLE_1)
	s_cmp_ge_i32 s14, s4
	s_cbranch_scc1 .LBB198_22
.LBB198_5:                              ; =>This Loop Header: Depth=1
                                        ;     Child Loop BB198_11 Depth 2
                                        ;     Child Loop BB198_19 Depth 2
	s_mul_u64 s[18:19], s[14:15], 18
	s_delay_alu instid0(SALU_CYCLE_1) | instskip(NEXT) | instid1(SALU_CYCLE_1)
	s_add_nc_u64 s[18:19], s[16:17], s[18:19]
	v_mad_nc_u64_u32 v[56:57], v0, 18, s[18:19]
	v_mad_nc_u64_u32 v[58:59], v4, 18, s[18:19]
	s_lshl_b32 s18, s14, 5
	s_delay_alu instid0(SALU_CYCLE_1) | instskip(NEXT) | instid1(VALU_DEP_2)
	s_cmp_lt_i32 s18, s5
	v_mad_nc_i64_i32 v[60:61], v14, 18, v[56:57]
	v_mad_nc_i64_i32 v[62:63], v16, 18, v[56:57]
	;; [unrolled: 1-line block ×17, first 2 shown]
	v_add_nc_u64_e32 v[60:61], v[60:61], v[2:3]
	v_mad_nc_i64_i32 v[108:109], v40, 18, v[56:57]
	v_add_nc_u64_e32 v[62:63], v[62:63], v[2:3]
	v_mad_nc_i64_i32 v[110:111], v42, 18, v[56:57]
	;; [unrolled: 2-line block ×3, first 2 shown]
	v_add_nc_u64_e32 v[66:67], v[66:67], v[2:3]
	v_add_nc_u64_e32 v[68:69], v[68:69], v[2:3]
	;; [unrolled: 1-line block ×4, first 2 shown]
	s_clause 0x3
	global_load_u16 v54, v[98:99], off
	global_load_u16 v112, v[100:101], off
	;; [unrolled: 1-line block ×4, first 2 shown]
	s_wait_xcnt 0x0
	v_add_nc_u64_e32 v[58:59], v[92:93], v[2:3]
	v_add_nc_u64_e32 v[90:91], v[90:91], v[2:3]
	s_clause 0x7
	global_load_b32 v98, v[60:61], off offset:2
	global_load_b32 v99, v[62:63], off offset:2
	;; [unrolled: 1-line block ×8, first 2 shown]
	s_wait_xcnt 0x7
	v_add_nc_u64_e32 v[60:61], v[94:95], v[2:3]
	s_wait_xcnt 0x6
	v_add_nc_u64_e32 v[62:63], v[96:97], v[2:3]
	s_wait_xcnt 0x5
	v_add_nc_u64_e32 v[64:65], v[104:105], v[2:3]
	s_wait_xcnt 0x4
	v_add_nc_u64_e32 v[66:67], v[106:107], v[2:3]
	s_wait_xcnt 0x3
	v_add_nc_u64_e32 v[68:69], v[108:109], v[2:3]
	s_wait_xcnt 0x2
	v_add_nc_u64_e32 v[70:71], v[110:111], v[2:3]
	v_add_nc_u64_e32 v[56:57], v[56:57], v[2:3]
	s_clause 0x7
	global_load_b32 v88, v[58:59], off offset:2
	global_load_b32 v89, v[60:61], off offset:2
	;; [unrolled: 1-line block ×8, first 2 shown]
	s_wait_loadcnt 0x13
	v_cvt_f32_f16_e32 v54, v54
	s_wait_loadcnt 0x12
	s_wait_xcnt 0x0
	v_cvt_f32_f16_e32 v56, v112
	s_wait_loadcnt 0x11
	v_cvt_f32_f16_e32 v57, v113
	s_wait_loadcnt 0x10
	;; [unrolled: 2-line block ×3, first 2 shown]
	ds_store_b32 v15, v98
	ds_store_b32 v49, v54
	s_wait_loadcnt 0xe
	ds_store_b32 v17, v99
	ds_store_b32 v51, v56
	s_wait_loadcnt 0xd
	;; [unrolled: 3-line block ×3, first 2 shown]
	ds_store_b32 v21, v101
	s_wait_loadcnt 0xb
	ds_store_b32 v23, v102
	s_wait_loadcnt 0xa
	;; [unrolled: 2-line block ×12, first 2 shown]
	ds_store_b32 v47, v95
	ds_store_b32 v72, v58
	s_cbranch_scc0 .LBB198_4
; %bb.6:                                ;   in Loop: Header=BB198_5 Depth=1
	v_add_nc_u32_e32 v54, s14, v31
	s_delay_alu instid0(VALU_DEP_1) | instskip(SKIP_1) | instid1(SALU_CYCLE_1)
	v_cmp_gt_i32_e64 s1, s6, v54
	s_and_b32 s19, s0, s1
	s_and_saveexec_b32 s1, s19
	s_cbranch_execz .LBB198_8
; %bb.7:                                ;   in Loop: Header=BB198_5 Depth=1
	v_add_nc_u32_e32 v54, v10, v54
	s_delay_alu instid0(VALU_DEP_1)
	v_mad_nc_i64_i32 v[56:57], v54, 36, v[12:13]
	global_load_b32 v54, v[56:57], off offset:4
	s_wait_loadcnt 0x0
	ds_store_b32 v75, v54
.LBB198_8:                              ;   in Loop: Header=BB198_5 Depth=1
	s_or_b32 exec_lo, exec_lo, s1
	v_add_nc_u32_e32 v56, s14, v5
	s_delay_alu instid0(VALU_DEP_1) | instskip(SKIP_1) | instid1(SALU_CYCLE_1)
	v_cmp_gt_i32_e64 s1, s6, v56
	s_and_b32 s19, s8, s1
	s_and_saveexec_b32 s1, s19
	s_cbranch_execz .LBB198_10
; %bb.9:                                ;   in Loop: Header=BB198_5 Depth=1
	v_add_nc_u32_e32 v54, v10, v56
	s_delay_alu instid0(VALU_DEP_1)
	v_mad_nc_i64_i32 v[58:59], v54, 36, s[2:3]
	global_load_b32 v54, v[58:59], off
	s_wait_loadcnt 0x0
	ds_store_b32 v76, v54
.LBB198_10:                             ;   in Loop: Header=BB198_5 Depth=1
	s_or_b32 exec_lo, exec_lo, s1
	v_dual_mov_b32 v57, v73 :: v_dual_mov_b32 v88, v74
	v_dual_mov_b32 v89, v84 :: v_dual_mov_b32 v90, v82
	;; [unrolled: 1-line block ×3, first 2 shown]
	v_mov_b32_e32 v93, v86
	s_mov_b32 s1, -4
	s_wait_dscnt 0x0
	s_barrier_signal -1
	s_barrier_wait -1
.LBB198_11:                             ;   Parent Loop BB198_5 Depth=1
                                        ; =>  This Inner Loop Header: Depth=2
	ds_load_2addr_b32 v[60:61], v57 offset0:4 offset1:7
	ds_load_2addr_b32 v[68:69], v93 offset1:1
	ds_load_2addr_b32 v[62:63], v93 offset0:2 offset1:3
	ds_load_2addr_b32 v[64:65], v57 offset1:3
	ds_load_2addr_b32 v[70:71], v57 offset0:1 offset1:2
	ds_load_2addr_b32 v[66:67], v57 offset0:5 offset1:6
	v_add_nc_u32_e32 v54, 0x1080, v93
	v_add_nc_u32_e32 v98, 0x1088, v93
	;; [unrolled: 1-line block ×6, first 2 shown]
	ds_load_b32 v59, v92
	ds_load_b32 v108, v88
	ds_load_b32 v94, v89
	ds_load_b32 v95, v90
	ds_load_b32 v58, v91
	ds_load_2addr_b32 v[96:97], v54 offset1:1
	ds_load_2addr_b32 v[98:99], v98 offset1:1
	;; [unrolled: 1-line block ×6, first 2 shown]
	v_dual_add_nc_u32 v93, 16, v93 :: v_dual_add_nc_u32 v92, 4, v92
	v_add_nc_u32_e32 v89, 4, v89
	v_add_nc_u32_e32 v57, 32, v57
	s_add_co_i32 s1, s1, 4
	v_add_nc_u32_e32 v90, 4, v90
	s_wait_dscnt 0x10
	v_lshrrev_b16 v54, 8, v60
	s_wait_dscnt 0xf
	v_dual_lshrrev_b32 v110, 28, v69 :: v_dual_bitop2_b32 v116, 15, v68 bitop3:0x40
	s_wait_dscnt 0xd
	v_lshrrev_b16 v113, 8, v64
	v_ashrrev_i32_e32 v114, 24, v64
	v_bfe_i32 v115, v64, 16, 8
	v_bfe_i32 v64, v64, 0, 8
	v_bfe_u32 v117, v68, 8, 4
	s_wait_dscnt 0xc
	v_ashrrev_i32_e32 v123, 24, v70
	v_bfe_i32 v113, v113, 0, 8
	s_wait_dscnt 0x5
	v_and_b32_e32 v162, 15, v96
	v_mul_i32_i24_e32 v116, v64, v116
	v_bfe_u32 v118, v68, 24, 4
	v_bfe_u32 v119, v68, 16, 4
	v_dual_ashrrev_i32 v155, 24, v61 :: v_dual_lshrrev_b32 v160, 28, v63
	v_bfe_i32 v156, v61, 16, 8
	v_bfe_i32 v157, v61, 8, 8
	;; [unrolled: 1-line block ×3, first 2 shown]
	v_bfe_u32 v61, v63, 4, 4
	s_wait_dscnt 0x1
	v_dual_lshrrev_b32 v161, 16, v108 :: v_dual_lshrrev_b32 v177, 28, v105
	v_bfe_u32 v163, v96, 8, 4
	v_bfe_u32 v164, v96, 24, 4
	;; [unrolled: 1-line block ×3, first 2 shown]
	s_wait_dscnt 0x0
	v_dual_lshrrev_b32 v189, 28, v106 :: v_dual_bitop2_b32 v167, 15, v100 bitop3:0x40
	v_mad_i32_i24 v116, v113, v117, v116
	v_mul_i32_i24_e32 v117, v64, v162
	v_bfe_u32 v109, v68, 12, 4
	v_dual_ashrrev_i32 v120, 24, v60 :: v_dual_ashrrev_i32 v126, 24, v66
	v_bfe_i32 v121, v60, 16, 8
	v_bfe_i32 v122, v60, 0, 8
	;; [unrolled: 1-line block ×5, first 2 shown]
	v_dual_lshrrev_b32 v129, 28, v68 :: v_dual_bitop2_b32 v131, 15, v69 bitop3:0x40
	v_bfe_u32 v130, v68, 20, 4
	v_bfe_u32 v68, v68, 4, 4
	v_mul_i32_i24_e32 v119, v115, v119
	v_mul_i32_i24_e32 v118, v114, v118
	v_bfe_u32 v166, v104, 4, 4
	v_dual_lshrrev_b32 v172, 28, v104 :: v_dual_bitop2_b32 v168, 15, v104 bitop3:0x40
	v_bfe_u32 v169, v104, 20, 4
	v_bfe_u32 v171, v100, 16, 4
	;; [unrolled: 1-line block ×4, first 2 shown]
	v_bfe_i32 v54, v54, 0, 8
	v_bfe_u32 v176, v105, 24, 4
	v_bfe_u32 v178, v105, 16, 4
	v_and_b32_e32 v180, 15, v105
	v_bfe_u32 v182, v100, 4, 4
	v_bfe_u32 v183, v100, 12, 4
	;; [unrolled: 1-line block ×5, first 2 shown]
	v_lshrrev_b32_e32 v100, 28, v100
	v_mul_i32_i24_e32 v246, v158, v61
	v_cvt_f32_f16_e64 v61, v161
	v_mul_i32_i24_e32 v161, v115, v165
	v_mul_i32_i24_e32 v162, v114, v164
	;; [unrolled: 1-line block ×3, first 2 shown]
	v_mad_i32_i24 v117, v113, v163, v117
	v_bfe_i32 v127, v66, 16, 8
	v_bfe_i32 v128, v66, 8, 8
	;; [unrolled: 1-line block ×3, first 2 shown]
	v_mul_i32_i24_e32 v68, v122, v68
	v_bfe_u32 v179, v105, 20, 4
	v_bfe_u32 v181, v105, 4, 4
	;; [unrolled: 1-line block ×3, first 2 shown]
	v_lshrrev_b32_e32 v96, 28, v96
	v_mul_i32_i24_e32 v164, v166, v122
	v_mul_i32_i24_e32 v166, v169, v121
	;; [unrolled: 1-line block ×12, first 2 shown]
	v_add3_u32 v116, v116, v119, v118
	v_mad_i32_i24 v118, v113, v175, v165
	v_add3_u32 v117, v117, v161, v162
	v_bfe_u32 v132, v69, 8, 4
	v_bfe_i32 v138, v71, 16, 8
	v_dual_ashrrev_i32 v140, 24, v67 :: v_dual_bitop2_b32 v146, 15, v62 bitop3:0x40
	v_mul_i32_i24_e32 v130, v121, v130
	v_mul_i32_i24_e32 v129, v120, v129
	v_bfe_u32 v192, v106, 16, 4
	v_and_b32_e32 v194, 15, v101
	v_and_b32_e32 v205, 15, v97
	v_bfe_u32 v207, v97, 8, 4
	v_mul_i32_i24_e32 v174, v126, v177
	v_mul_i32_i24_e32 v177, v127, v179
	;; [unrolled: 1-line block ×7, first 2 shown]
	v_add3_u32 v118, v118, v167, v171
	v_add3_u32 v68, v116, v109, v68
	v_add3_u32 v117, v117, v182, v122
	v_bfe_u32 v133, v69, 24, 4
	v_bfe_u32 v134, v69, 16, 4
	v_dual_ashrrev_i32 v137, 24, v71 :: v_dual_ashrrev_i32 v143, 24, v65
	v_bfe_i32 v139, v71, 8, 8
	v_bfe_i32 v71, v71, 0, 8
	;; [unrolled: 1-line block ×5, first 2 shown]
	v_bfe_u32 v170, v104, 16, 4
	v_bfe_u32 v173, v104, 24, 4
	;; [unrolled: 1-line block ×3, first 2 shown]
	v_and_b32_e32 v190, 15, v106
	v_bfe_u32 v191, v106, 4, 4
	v_bfe_u32 v193, v106, 20, 4
	;; [unrolled: 1-line block ×5, first 2 shown]
	v_mul_i32_i24_e32 v131, v70, v131
	v_mul_i32_i24_e32 v132, v125, v132
	v_and_b32_e32 v208, 0xf0f0f0f, v104
	v_lshrrev_b32_e32 v104, 4, v104
	v_bfe_u32 v211, v97, 24, 4
	v_bfe_u32 v212, v97, 16, 4
	v_and_b32_e32 v216, 0xf0f0f0f, v106
	v_lshrrev_b32_e32 v106, 4, v106
	v_mul_i32_i24_e32 v184, v140, v189
	v_mul_i32_i24_e32 v189, v138, v192
	;; [unrolled: 1-line block ×6, first 2 shown]
	v_add3_u32 v118, v118, v181, v180
	v_add3_u32 v68, v68, v130, v129
	;; [unrolled: 1-line block ×3, first 2 shown]
	v_bfe_u32 v135, v69, 4, 4
	v_bfe_u32 v136, v69, 12, 4
	;; [unrolled: 1-line block ×5, first 2 shown]
	v_lshrrev_b32_e32 v101, 28, v101
	v_mul_i32_i24_e32 v134, v124, v134
	v_mul_i32_i24_e32 v133, v123, v133
	v_bfe_u32 v213, v97, 4, 4
	v_bfe_u32 v214, v97, 12, 4
	v_mul_i32_i24_e32 v183, v137, v188
	v_mul_i32_i24_e32 v185, v71, v190
	;; [unrolled: 1-line block ×9, first 2 shown]
	v_add3_u32 v100, v118, v186, v100
	v_add3_u32 v68, v68, v132, v131
	;; [unrolled: 1-line block ×3, first 2 shown]
	v_bfe_u32 v69, v69, 20, 4
	v_dual_lshrrev_b32 v201, 28, v97 :: v_dual_bitop2_b32 v202, 15, v102 bitop3:0x40
	v_bfe_u32 v97, v97, 20, 4
	v_mul_i32_i24_e32 v135, v66, v135
	v_mul_i32_i24_e32 v136, v128, v136
	v_mul_i32_i24_e32 v195, v66, v213
	v_mul_i32_i24_e32 v196, v128, v214
	v_add3_u32 v100, v100, v191, v120
	v_add3_u32 v68, v68, v134, v133
	;; [unrolled: 1-line block ×3, first 2 shown]
	v_bfe_u32 v147, v62, 24, 4
	v_bfe_u32 v148, v62, 16, 4
	;; [unrolled: 1-line block ×4, first 2 shown]
	v_dual_lshrrev_b32 v151, 28, v62 :: v_dual_bitop2_b32 v153, 15, v63 bitop3:0x40
	v_bfe_u32 v152, v62, 20, 4
	v_bfe_u32 v62, v62, 8, 4
	v_dual_lshrrev_b32 v239, 28, v98 :: v_dual_bitop2_b32 v230, 15, v107 bitop3:0x40
	v_dual_lshrrev_b32 v245, 28, v99 :: v_dual_bitop2_b32 v234, 15, v98 bitop3:0x40
	v_bfe_u32 v235, v98, 24, 4
	v_bfe_u32 v236, v98, 16, 4
	;; [unrolled: 1-line block ×6, first 2 shown]
	v_mul_i32_i24_e32 v110, v126, v110
	v_mul_i32_i24_e32 v69, v127, v69
	;; [unrolled: 1-line block ×6, first 2 shown]
	v_add3_u32 v100, v100, v193, v194
	v_add3_u32 v68, v68, v135, v136
	;; [unrolled: 1-line block ×3, first 2 shown]
	v_bfe_u32 v203, v102, 8, 4
	v_bfe_u32 v204, v102, 16, 4
	;; [unrolled: 1-line block ×3, first 2 shown]
	v_and_b32_e32 v209, 0xf0f0f0f, v105
	v_dual_lshrrev_b32 v105, 4, v105 :: v_dual_lshrrev_b32 v217, 28, v102
	v_mul_i32_i24_e32 v146, v71, v146
	v_mul_i32_i24_e32 v62, v139, v62
	;; [unrolled: 1-line block ×7, first 2 shown]
	v_lshrrev_b16 v104, 8, v104
	v_add3_u32 v66, v100, v66, v197
	v_add3_u32 v68, v68, v69, v110
	;; [unrolled: 1-line block ×3, first 2 shown]
	v_bfe_i32 v145, v65, 0, 8
	v_bfe_u32 v210, v102, 4, 4
	v_dual_lshrrev_b32 v224, 28, v103 :: v_dual_bitop2_b32 v219, 15, v103 bitop3:0x40
	v_mul_i32_i24_e32 v148, v138, v148
	v_mul_i32_i24_e32 v147, v137, v147
	v_mul_i32_i24_e32 v187, v138, v204
	v_mul_i32_i24_e32 v138, v138, v236
	v_mul_i32_i24_e32 v199, v137, v206
	v_mul_i32_i24_e32 v137, v137, v235
	v_lshrrev_b16 v208, 8, v208
	v_lshrrev_b16 v209, 8, v209
	v_mul_i32_i24_e32 v203, v139, v203
	v_lshrrev_b16 v105, 8, v105
	v_dual_add_nc_u32 v91, 4, v91 :: v_dual_bitop2_b32 v104, 15, v104 bitop3:0x40
	v_add3_u32 v66, v66, v126, v101
	v_add3_u32 v62, v68, v62, v146
	;; [unrolled: 1-line block ×3, first 2 shown]
	v_bfe_u32 v215, v102, 12, 4
	v_bfe_u32 v102, v102, 20, 4
	;; [unrolled: 1-line block ×3, first 2 shown]
	v_and_b32_e32 v226, 0xf0f0f0f, v107
	v_dual_lshrrev_b32 v227, 4, v107 :: v_dual_lshrrev_b32 v228, 28, v107
	v_mul_i32_i24_e32 v149, v67, v149
	v_mul_i32_i24_e32 v150, v142, v150
	;; [unrolled: 1-line block ×5, first 2 shown]
	v_lshrrev_b16 v214, 8, v216
	v_lshrrev_b16 v106, 8, v106
	v_mul_i32_i24_e32 v219, v142, v238
	v_mad_i32_i24 v115, v170, v115, v166
	v_mad_i32_i24 v114, v173, v114, v169
	v_and_b32_e32 v119, 0xffff, v208
	v_and_b32_e32 v163, 0xffff, v209
	v_dual_add_nc_u32 v88, 4, v88 :: v_dual_bitop2_b32 v105, 15, v105 bitop3:0x40
	v_and_b32_e32 v104, 0xffff, v104
	v_add3_u32 v66, v66, v203, v127
	v_add3_u32 v62, v62, v148, v147
	;; [unrolled: 1-line block ×3, first 2 shown]
	v_bfe_i32 v144, v65, 8, 8
	v_bfe_u32 v154, v63, 8, 4
	v_bfe_u32 v218, v103, 8, 4
	v_and_b32_e32 v241, 15, v99
	v_bfe_u32 v242, v99, 8, 4
	v_mul_i32_i24_e32 v152, v141, v152
	v_mul_i32_i24_e32 v151, v140, v151
	;; [unrolled: 1-line block ×7, first 2 shown]
	v_lshrrev_b16 v216, 8, v226
	v_mul_i32_i24_e32 v215, v142, v215
	v_lshrrev_b16 v220, 8, v227
	v_mad_i32_i24 v64, v168, v64, v164
	v_and_b32_e32 v164, 0xffff, v214
	v_and_b32_e32 v106, 15, v106
	v_add3_u32 v109, v114, v172, v174
	v_add3_u32 v114, v115, v176, v177
	v_mul_i32_i24_e32 v113, v119, v113
	v_mul_i32_i24_e32 v115, v125, v163
	v_and_b32_e32 v105, 0xffff, v105
	v_mul_i32_i24_e32 v54, v104, v54
	v_add3_u32 v66, v66, v187, v199
	v_add3_u32 v62, v62, v149, v150
	;; [unrolled: 1-line block ×3, first 2 shown]
	v_bfe_u32 v111, v63, 16, 4
	v_bfe_u32 v112, v63, 24, 4
	v_bfe_i32 v65, v65, 16, 8
	v_bfe_u32 v225, v107, 24, 4
	v_bfe_u32 v232, v99, 16, 4
	;; [unrolled: 1-line block ×3, first 2 shown]
	v_mul_i32_i24_e32 v153, v145, v153
	v_mul_i32_i24_e32 v154, v144, v154
	;; [unrolled: 1-line block ×5, first 2 shown]
	v_and_b32_e32 v165, 0xffff, v216
	v_and_b32_e32 v166, 15, v220
	v_mul_i32_i24_e32 v116, v139, v164
	v_and_b32_e32 v106, 0xffff, v106
	v_mul_i32_i24_e32 v96, v128, v105
	v_add3_u32 v54, v113, v54, v115
	v_add3_u32 v66, v66, v200, v215
	;; [unrolled: 1-line block ×4, first 2 shown]
	v_bfe_u32 v159, v63, 12, 4
	v_bfe_u32 v221, v103, 16, 4
	;; [unrolled: 1-line block ×9, first 2 shown]
	v_mul_i32_i24_e32 v111, v65, v111
	v_mul_i32_i24_e32 v112, v143, v112
	;; [unrolled: 1-line block ×6, first 2 shown]
	v_add3_u32 v64, v64, v178, v179
	v_mul_i32_i24_e32 v119, v144, v165
	v_and_b32_e32 v125, 0xffff, v166
	v_add3_u32 v109, v109, v183, v184
	v_mul_i32_i24_e32 v104, v142, v106
	v_add3_u32 v54, v54, v96, v116
	v_add3_u32 v66, v66, v102, v201
	;; [unrolled: 1-line block ×4, first 2 shown]
	v_bfe_u32 v63, v63, 20, 4
	v_bfe_u32 v103, v103, 20, 4
	;; [unrolled: 1-line block ×3, first 2 shown]
	v_mul_i32_i24_e32 v159, v157, v159
	v_mul_i32_i24_e32 v145, v145, v230
	;; [unrolled: 1-line block ×10, first 2 shown]
	v_add3_u32 v64, v64, v185, v188
	v_add3_u32 v114, v114, v189, v190
	v_mul_i32_i24_e32 v105, v157, v125
	v_add3_u32 v69, v109, v210, v213
	v_add3_u32 v54, v54, v104, v119
	;; [unrolled: 1-line block ×5, first 2 shown]
	v_mul_i32_i24_e32 v63, v156, v63
	v_mul_i32_i24_e32 v160, v155, v160
	;; [unrolled: 1-line block ×6, first 2 shown]
	v_add3_u32 v65, v114, v65, v212
	v_add3_u32 v64, v64, v145, v107
	;; [unrolled: 1-line block ×6, first 2 shown]
	v_cvt_f32_f16_e32 v60, v108
	v_add3_u32 v54, v64, v65, v54
	v_add3_u32 v64, v66, v211, v221
	;; [unrolled: 1-line block ×4, first 2 shown]
	s_cmp_lt_u32 s1, 12
	v_cvt_f32_i32_e32 v54, v54
	v_add3_u32 v66, v64, v103, v156
	v_cvt_f32_i32_e32 v62, v62
	v_cvt_f32_i32_e32 v63, v63
	s_delay_alu instid0(VALU_DEP_4) | instskip(NEXT) | instid1(VALU_DEP_4)
	v_pk_mul_f32 v[64:65], v[54:55], v[60:61]
	v_cvt_f32_i32_e32 v54, v66
	s_delay_alu instid0(VALU_DEP_3) | instskip(NEXT) | instid1(VALU_DEP_3)
	v_pk_mul_f32 v[60:61], v[60:61], v[62:63] op_sel_hi:[0,1]
	v_sub_f32_e32 v63, v64, v65
	s_delay_alu instid0(VALU_DEP_3) | instskip(NEXT) | instid1(VALU_DEP_3)
	v_fma_mix_f32 v62, v108, v54, -v65 op_sel_hi:[1,0,0]
	v_dual_sub_f32 v61, v61, v65 :: v_dual_sub_f32 v60, v60, v65
	s_delay_alu instid0(VALU_DEP_2) | instskip(NEXT) | instid1(VALU_DEP_2)
	v_pk_fma_f32 v[8:9], v[58:59], v[62:63], v[8:9]
	v_pk_fma_f32 v[6:7], v[94:95], v[60:61], v[6:7]
	s_cbranch_scc1 .LBB198_11
; %bb.12:                               ;   in Loop: Header=BB198_5 Depth=1
	s_bitset1_b32 s18, 7
	s_delay_alu instid0(SALU_CYCLE_1)
	s_cmp_ge_i32 s18, s5
	s_barrier_signal -1
	s_barrier_wait -1
	s_cbranch_scc1 .LBB198_4
; %bb.13:                               ;   in Loop: Header=BB198_5 Depth=1
	v_add_nc_u32_e32 v54, s14, v77
	s_delay_alu instid0(VALU_DEP_1) | instskip(SKIP_1) | instid1(SALU_CYCLE_1)
	v_cmp_gt_i32_e64 s1, s6, v54
	s_and_b32 s18, s0, s1
	s_and_saveexec_b32 s1, s18
	s_cbranch_execz .LBB198_15
; %bb.14:                               ;   in Loop: Header=BB198_5 Depth=1
	v_add_nc_u32_e32 v54, v10, v54
	s_delay_alu instid0(VALU_DEP_1)
	v_mad_nc_i64_i32 v[58:59], v54, 36, v[12:13]
	global_load_b32 v54, v[58:59], off offset:4
	s_wait_loadcnt 0x0
	ds_store_b32 v75, v54
.LBB198_15:                             ;   in Loop: Header=BB198_5 Depth=1
	s_or_b32 exec_lo, exec_lo, s1
	s_and_saveexec_b32 s18, vcc_lo
	s_cbranch_execz .LBB198_18
; %bb.16:                               ;   in Loop: Header=BB198_5 Depth=1
	v_or_b32_e32 v54, 4, v56
	s_delay_alu instid0(VALU_DEP_1) | instskip(SKIP_1) | instid1(SALU_CYCLE_1)
	v_cmp_gt_i32_e64 s1, s6, v54
	s_and_b32 s1, s0, s1
	s_and_b32 exec_lo, exec_lo, s1
	s_cbranch_execz .LBB198_18
; %bb.17:                               ;   in Loop: Header=BB198_5 Depth=1
	v_ashrrev_i32_e32 v57, 31, v56
	s_delay_alu instid0(VALU_DEP_1) | instskip(NEXT) | instid1(VALU_DEP_1)
	v_add_nc_u64_e32 v[56:57], v[10:11], v[56:57]
	v_mad_nc_u64_u32 v[58:59], v56, 36, s[2:3]
	s_delay_alu instid0(VALU_DEP_1)
	v_mad_i32_i24 v59, v57, 36, v59
	global_load_b32 v54, v[58:59], off offset:144
	s_wait_loadcnt 0x0
	ds_store_b32 v76, v54
.LBB198_18:                             ;   in Loop: Header=BB198_5 Depth=1
	s_or_b32 exec_lo, exec_lo, s18
	v_dual_mov_b32 v60, v74 :: v_dual_mov_b32 v61, v73
	v_dual_mov_b32 v62, v85 :: v_dual_mov_b32 v63, v83
	;; [unrolled: 1-line block ×3, first 2 shown]
	v_mov_b32_e32 v66, v87
	s_mov_b32 s1, 12
	s_wait_dscnt 0x0
	s_barrier_signal -1
	s_barrier_wait -1
.LBB198_19:                             ;   Parent Loop BB198_5 Depth=1
                                        ; =>  This Inner Loop Header: Depth=2
	ds_load_2addr_b32 v[68:69], v61 offset1:3
	ds_load_2addr_b32 v[70:71], v61 offset0:4 offset1:7
	ds_load_2addr_b32 v[88:89], v61 offset0:1 offset1:2
	ds_load_b32 v67, v60
	ds_load_2addr_b32 v[90:91], v66 offset1:1
	ds_load_2addr_b32 v[92:93], v66 offset0:2 offset1:3
	v_add_nc_u32_e32 v54, 0x1080, v66
	v_add_nc_u32_e32 v98, 0x1088, v66
	v_add_nc_u32_e32 v100, 0x2100, v66
	v_add_nc_u32_e32 v102, 0x2108, v66
	v_add_nc_u32_e32 v104, 0x3180, v66
	v_add_nc_u32_e32 v106, 0x3188, v66
	ds_load_2addr_b32 v[94:95], v61 offset0:5 offset1:6
	ds_load_b32 v56, v62
	ds_load_b32 v57, v63
	;; [unrolled: 1-line block ×4, first 2 shown]
	ds_load_2addr_b32 v[96:97], v54 offset1:1
	ds_load_2addr_b32 v[98:99], v98 offset1:1
	;; [unrolled: 1-line block ×6, first 2 shown]
	v_dual_add_nc_u32 v66, 16, v66 :: v_dual_add_nc_u32 v65, 4, v65
	v_add_nc_u32_e32 v60, 4, v60
	s_add_co_i32 s1, s1, 4
	v_add_nc_u32_e32 v64, 4, v64
	s_cmp_lt_u32 s1, 28
	s_wait_dscnt 0x10
	v_lshrrev_b16 v112, 8, v68
	v_bfe_i32 v115, v68, 0, 8
	s_wait_dscnt 0xe
	v_ashrrev_i32_e32 v122, 24, v88
	v_lshrrev_b16 v54, 8, v70
	s_wait_dscnt 0xc
	v_and_b32_e32 v116, 15, v90
	v_bfe_u32 v117, v90, 8, 4
	v_bfe_i32 v112, v112, 0, 8
	v_dual_lshrrev_b32 v109, 28, v91 :: v_dual_ashrrev_i32 v113, 24, v68
	s_delay_alu instid0(VALU_DEP_4)
	v_mul_i32_i24_e32 v116, v115, v116
	s_wait_dscnt 0x5
	v_and_b32_e32 v190, 15, v96
	v_bfe_i32 v114, v68, 16, 8
	v_bfe_u32 v118, v90, 24, 4
	v_bfe_u32 v119, v90, 16, 4
	v_dual_ashrrev_i32 v120, 24, v70 :: v_dual_bitop2_b32 v130, 15, v91 bitop3:0x40
	v_bfe_i32 v121, v70, 16, 8
	v_bfe_i32 v70, v70, 0, 8
	s_wait_dscnt 0x3
	v_and_b32_e32 v166, 15, v100
	s_wait_dscnt 0x1
	v_dual_lshrrev_b32 v187, 4, v104 :: v_dual_bitop2_b32 v179, 15, v102 bitop3:0x40
	v_bfe_u32 v185, v104, 24, 4
	v_and_b32_e32 v186, 0xf0f0f0f, v104
	v_dual_lshrrev_b32 v188, 28, v104 :: v_dual_bitop2_b32 v194, 15, v104 bitop3:0x40
	v_bfe_u32 v189, v96, 8, 4
	v_bfe_u32 v191, v96, 24, 4
	;; [unrolled: 1-line block ×6, first 2 shown]
	v_lshrrev_b32_e32 v198, 4, v105
	v_mad_i32_i24 v116, v112, v117, v116
	v_mul_i32_i24_e32 v117, v115, v190
	v_bfe_u32 v108, v90, 12, 4
	v_dual_lshrrev_b32 v128, 28, v90 :: v_dual_ashrrev_i32 v139, 24, v95
	v_bfe_u32 v129, v90, 20, 4
	v_bfe_u32 v90, v90, 4, 4
	;; [unrolled: 1-line block ×9, first 2 shown]
	v_lshrrev_b32_e32 v100, 28, v100
	v_mul_i32_i24_e32 v119, v114, v119
	v_mul_i32_i24_e32 v118, v113, v118
	v_bfe_i32 v54, v54, 0, 8
	v_dual_lshrrev_b32 v202, 28, v96 :: v_dual_bitop2_b32 v204, 15, v97 bitop3:0x40
	v_bfe_u32 v203, v96, 20, 4
	v_bfe_u32 v96, v96, 4, 4
	v_mul_i32_i24_e32 v190, v114, v192
	v_mul_i32_i24_e32 v191, v113, v191
	;; [unrolled: 1-line block ×4, first 2 shown]
	v_mad_i32_i24 v117, v112, v189, v117
	v_bfe_i32 v123, v88, 16, 8
	v_bfe_i32 v124, v88, 8, 8
	;; [unrolled: 1-line block ×3, first 2 shown]
	v_dual_ashrrev_i32 v125, 24, v94 :: v_dual_ashrrev_i32 v136, 24, v89
	v_bfe_i32 v126, v94, 16, 8
	v_bfe_i32 v127, v94, 8, 8
	;; [unrolled: 1-line block ×3, first 2 shown]
	v_bfe_u32 v134, v91, 4, 4
	v_bfe_u32 v177, v101, 4, 4
	;; [unrolled: 1-line block ×3, first 2 shown]
	v_and_b32_e32 v197, 0xf0f0f0f, v105
	v_dual_lshrrev_b32 v199, 28, v105 :: v_dual_bitop2_b32 v201, 15, v105 bitop3:0x40
	v_bfe_u32 v200, v105, 16, 4
	v_bfe_u32 v208, v97, 4, 4
	v_mul_i32_i24_e32 v90, v70, v90
	v_bfe_u32 v210, v105, 20, 4
	v_bfe_u32 v105, v105, 4, 4
	v_mul_i32_i24_e32 v168, v114, v168
	v_mul_i32_i24_e32 v169, v113, v169
	;; [unrolled: 1-line block ×6, first 2 shown]
	v_add3_u32 v116, v116, v119, v118
	v_mad_i32_i24 v118, v112, v167, v166
	v_mad_i32_i24 v104, v194, v115, v104
	v_add3_u32 v115, v117, v190, v191
	v_bfe_u32 v131, v91, 8, 4
	v_and_b32_e32 v173, 15, v101
	v_bfe_u32 v205, v97, 8, 4
	v_mul_i32_i24_e32 v129, v121, v129
	v_mul_i32_i24_e32 v128, v120, v128
	;; [unrolled: 1-line block ×7, first 2 shown]
	v_lshrrev_b16 v195, 8, v197
	v_lshrrev_b16 v197, 8, v198
	v_mul_i32_i24_e32 v198, v88, v201
	v_mul_i32_i24_e32 v177, v94, v177
	;; [unrolled: 1-line block ×6, first 2 shown]
	v_add3_u32 v117, v118, v168, v169
	v_add3_u32 v90, v116, v108, v90
	;; [unrolled: 1-line block ×3, first 2 shown]
	v_bfe_u32 v132, v91, 24, 4
	v_bfe_u32 v133, v91, 16, 4
	;; [unrolled: 1-line block ×7, first 2 shown]
	v_lshrrev_b32_e32 v101, 28, v101
	v_bfe_u32 v206, v97, 24, 4
	v_bfe_u32 v207, v97, 16, 4
	v_mul_i32_i24_e32 v130, v88, v130
	v_mul_i32_i24_e32 v131, v124, v131
	;; [unrolled: 1-line block ×6, first 2 shown]
	v_add3_u32 v94, v104, v198, v94
	v_add3_u32 v104, v117, v171, v170
	v_add3_u32 v90, v90, v129, v128
	v_add3_u32 v70, v70, v96, v120
	v_bfe_u32 v135, v91, 12, 4
	v_bfe_u32 v209, v97, 12, 4
	v_mul_i32_i24_e32 v133, v123, v133
	v_mul_i32_i24_e32 v132, v122, v132
	;; [unrolled: 1-line block ×9, first 2 shown]
	v_add3_u32 v100, v104, v165, v100
	v_add3_u32 v90, v90, v131, v130
	;; [unrolled: 1-line block ×3, first 2 shown]
	v_bfe_u32 v91, v91, 20, 4
	v_dual_lshrrev_b32 v157, 16, v67 :: v_dual_lshrrev_b32 v162, 28, v97
	v_bfe_u32 v97, v97, 20, 4
	v_mul_i32_i24_e32 v135, v127, v135
	v_mul_i32_i24_e32 v202, v127, v209
	v_add3_u32 v100, v100, v174, v173
	v_add3_u32 v90, v90, v133, v132
	;; [unrolled: 1-line block ×3, first 2 shown]
	v_bfe_i32 v137, v89, 16, 8
	v_bfe_i32 v138, v89, 8, 8
	;; [unrolled: 1-line block ×3, first 2 shown]
	v_ashrrev_i32_e32 v142, 24, v69
	v_bfe_i32 v143, v69, 8, 8
	v_bfe_i32 v144, v69, 0, 8
	;; [unrolled: 1-line block ×3, first 2 shown]
	v_and_b32_e32 v69, 15, v92
	v_bfe_u32 v146, v92, 24, 4
	v_bfe_u32 v147, v92, 16, 4
	v_bfe_u32 v148, v92, 4, 4
	v_bfe_u32 v149, v92, 12, 4
	v_dual_lshrrev_b32 v150, 28, v92 :: v_dual_bitop2_b32 v152, 15, v93 bitop3:0x40
	v_bfe_u32 v151, v92, 20, 4
	v_bfe_u32 v92, v92, 8, 4
	v_mul_i32_i24_e32 v109, v125, v109
	v_mul_i32_i24_e32 v91, v126, v91
	s_wait_dscnt 0x0
	v_dual_lshrrev_b32 v221, 4, v107 :: v_dual_bitop2_b32 v216, 15, v106 bitop3:0x40
	v_dual_lshrrev_b32 v232, 28, v98 :: v_dual_bitop2_b32 v224, 15, v103 bitop3:0x40
	;; [unrolled: 1-line block ×3, first 2 shown]
	v_bfe_u32 v228, v98, 24, 4
	v_bfe_u32 v229, v98, 16, 4
	;; [unrolled: 1-line block ×6, first 2 shown]
	v_mul_i32_i24_e32 v162, v125, v162
	v_mul_i32_i24_e32 v178, v127, v178
	v_mul_i32_i24_e32 v97, v126, v97
	v_add3_u32 v100, v100, v175, v176
	v_add3_u32 v90, v90, v134, v135
	;; [unrolled: 1-line block ×3, first 2 shown]
	v_bfe_u32 v110, v93, 16, 4
	v_bfe_u32 v111, v93, 24, 4
	;; [unrolled: 1-line block ×3, first 2 shown]
	v_dual_ashrrev_i32 v154, 24, v71 :: v_dual_lshrrev_b32 v160, 28, v93
	v_bfe_i32 v155, v71, 16, 8
	v_bfe_u32 v158, v93, 4, 4
	v_bfe_u32 v159, v93, 12, 4
	;; [unrolled: 1-line block ×9, first 2 shown]
	v_and_b32_e32 v212, 0xf0f0f0f, v106
	v_bfe_u32 v215, v106, 16, 4
	v_bfe_u32 v223, v103, 8, 4
	;; [unrolled: 1-line block ×4, first 2 shown]
	v_dual_lshrrev_b32 v244, 28, v99 :: v_dual_bitop2_b32 v234, 15, v99 bitop3:0x40
	v_bfe_u32 v235, v99, 8, 4
	v_mul_i32_i24_e32 v236, v89, v69
	v_mul_i32_i24_e32 v92, v138, v92
	v_bfe_u32 v239, v103, 12, 4
	v_bfe_u32 v240, v103, 4, 4
	v_bfe_u32 v103, v103, 20, 4
	v_bfe_u32 v242, v107, 20, 4
	v_cvt_f32_f16_e64 v69, v157
	v_bfe_u32 v157, v99, 4, 4
	v_bfe_u32 v243, v99, 12, 4
	;; [unrolled: 1-line block ×3, first 2 shown]
	v_lshrrev_b16 v187, 8, v187
	v_mul_i32_i24_e32 v172, v126, v172
	v_mul_i32_i24_e32 v101, v125, v101
	;; [unrolled: 1-line block ×6, first 2 shown]
	v_add3_u32 v100, v100, v177, v178
	v_add3_u32 v90, v90, v91, v109
	v_add3_u32 v70, v70, v97, v162
	v_bfe_i32 v140, v95, 16, 8
	v_bfe_i32 v141, v95, 8, 8
	;; [unrolled: 1-line block ×3, first 2 shown]
	v_bfe_u32 v183, v102, 4, 4
	v_dual_lshrrev_b32 v213, 4, v106 :: v_dual_lshrrev_b32 v214, 28, v106
	v_bfe_u32 v218, v106, 20, 4
	v_bfe_u32 v106, v106, 4, 4
	;; [unrolled: 1-line block ×3, first 2 shown]
	v_mul_i32_i24_e32 v147, v137, v147
	v_mul_i32_i24_e32 v146, v136, v146
	;; [unrolled: 1-line block ×3, first 2 shown]
	v_lshrrev_b16 v186, 8, v186
	v_mul_i32_i24_e32 v105, v126, v210
	v_lshrrev_b16 v126, 8, v212
	v_mul_i32_i24_e32 v180, v138, v180
	v_mul_i32_i24_e32 v181, v137, v181
	v_mul_i32_i24_e32 v182, v136, v182
	v_mul_i32_i24_e32 v204, v137, v215
	v_mul_i32_i24_e32 v205, v136, v211
	v_mul_i32_i24_e32 v212, v143, v223
	v_mul_i32_i24_e32 v137, v137, v229
	v_mul_i32_i24_e32 v136, v136, v228
	v_mul_i32_i24_e32 v103, v155, v103
	v_mul_i32_i24_e32 v223, v155, v242
	v_mul_i32_i24_e32 v99, v155, v99
	v_and_b32_e32 v155, 15, v187
	v_add3_u32 v91, v100, v172, v101
	v_add3_u32 v90, v90, v92, v236
	;; [unrolled: 1-line block ×3, first 2 shown]
	v_bfe_u32 v184, v102, 12, 4
	v_dual_lshrrev_b32 v217, 28, v102 :: v_dual_lshrrev_b32 v222, 28, v107
	v_bfe_u32 v102, v102, 20, 4
	v_and_b32_e32 v220, 0xf0f0f0f, v107
	v_mul_i32_i24_e32 v148, v95, v148
	v_mul_i32_i24_e32 v149, v141, v149
	;; [unrolled: 1-line block ×4, first 2 shown]
	v_lshrrev_b16 v199, 8, v213
	v_mul_i32_i24_e32 v183, v95, v183
	v_mul_i32_i24_e32 v106, v95, v106
	;; [unrolled: 1-line block ×9, first 2 shown]
	v_and_b32_e32 v119, 0xffff, v186
	v_dual_add_nc_u32 v63, 4, v63 :: v_dual_bitop2_b32 v164, 15, v197 bitop3:0x40
	v_and_b32_e32 v166, 0xffff, v195
	v_and_b32_e32 v118, 0xffff, v155
	v_add3_u32 v89, v91, v180, v179
	v_add3_u32 v90, v90, v147, v146
	;; [unrolled: 1-line block ×3, first 2 shown]
	v_mul_i32_i24_e32 v151, v140, v151
	v_mul_i32_i24_e32 v150, v139, v150
	v_mul_i32_i24_e32 v184, v141, v184
	v_mul_i32_i24_e32 v102, v140, v102
	v_mul_i32_i24_e32 v206, v139, v217
	v_lshrrev_b16 v209, 8, v220
	v_lshrrev_b16 v210, 8, v221
	v_mul_i32_i24_e32 v140, v140, v233
	v_mul_i32_i24_e32 v139, v139, v232
	v_dual_add_nc_u32 v62, 4, v62 :: v_dual_bitop2_b32 v167, 15, v199 bitop3:0x40
	v_and_b32_e32 v126, 0xffff, v126
	v_mad_i32_i24 v113, v185, v113, v188
	v_mul_i32_i24_e32 v112, v119, v112
	v_mul_i32_i24_e32 v119, v124, v166
	v_and_b32_e32 v108, 0xffff, v164
	v_mul_i32_i24_e32 v54, v118, v54
	v_add3_u32 v89, v89, v181, v182
	v_add3_u32 v90, v90, v148, v149
	;; [unrolled: 1-line block ×3, first 2 shown]
	v_mul_i32_i24_e32 v152, v144, v152
	v_mul_i32_i24_e32 v153, v143, v153
	;; [unrolled: 1-line block ×4, first 2 shown]
	v_dual_add_nc_u32 v61, 32, v61 :: v_dual_bitop2_b32 v186, 15, v210 bitop3:0x40
	v_and_b32_e32 v187, 0xffff, v209
	v_mad_i32_i24 v114, v193, v114, v192
	v_mul_i32_i24_e32 v116, v138, v126
	v_and_b32_e32 v124, 0xffff, v167
	v_add3_u32 v113, v113, v196, v125
	v_mul_i32_i24_e32 v108, v127, v108
	v_add3_u32 v54, v112, v54, v119
	v_add3_u32 v89, v89, v183, v184
	;; [unrolled: 1-line block ×4, first 2 shown]
	v_bfe_i32 v156, v71, 8, 8
	v_bfe_i32 v71, v71, 0, 8
	v_mul_i32_i24_e32 v110, v145, v110
	v_bfe_u32 v237, v107, 16, 4
	v_and_b32_e32 v238, 15, v107
	v_bfe_u32 v107, v107, 4, 4
	v_mul_i32_i24_e32 v163, v145, v163
	v_mul_i32_i24_e32 v211, v144, v224
	;; [unrolled: 1-line block ×4, first 2 shown]
	v_and_b32_e32 v138, 0xffff, v186
	v_add3_u32 v105, v114, v200, v105
	v_mul_i32_i24_e32 v114, v141, v124
	v_add3_u32 v88, v113, v205, v208
	v_add3_u32 v54, v54, v108, v116
	;; [unrolled: 1-line block ×5, first 2 shown]
	v_mul_i32_i24_e32 v158, v71, v158
	v_mul_i32_i24_e32 v159, v156, v159
	;; [unrolled: 1-line block ×10, first 2 shown]
	v_add3_u32 v94, v94, v203, v106
	v_add3_u32 v104, v105, v204, v207
	;; [unrolled: 1-line block ×7, first 2 shown]
	v_mul_i32_i24_e32 v160, v154, v160
	v_mul_i32_i24_e32 v220, v156, v239
	;; [unrolled: 1-line block ×4, first 2 shown]
	v_add3_u32 v91, v104, v145, v223
	v_add3_u32 v92, v94, v144, v107
	;; [unrolled: 1-line block ×6, first 2 shown]
	v_cvt_f32_f16_e32 v68, v67
	v_add3_u32 v54, v92, v91, v54
	v_add3_u32 v71, v88, v219, v220
	;; [unrolled: 1-line block ×4, first 2 shown]
	s_delay_alu instid0(VALU_DEP_4) | instskip(NEXT) | instid1(VALU_DEP_4)
	v_cvt_f32_i32_e32 v54, v54
	v_add3_u32 v90, v71, v103, v221
	s_delay_alu instid0(VALU_DEP_4) | instskip(NEXT) | instid1(VALU_DEP_4)
	v_cvt_f32_i32_e32 v70, v88
	v_cvt_f32_i32_e32 v71, v89
	s_delay_alu instid0(VALU_DEP_4) | instskip(NEXT) | instid1(VALU_DEP_4)
	v_pk_mul_f32 v[88:89], v[54:55], v[68:69]
	v_cvt_f32_i32_e32 v54, v90
	s_delay_alu instid0(VALU_DEP_3) | instskip(NEXT) | instid1(VALU_DEP_3)
	v_pk_mul_f32 v[68:69], v[68:69], v[70:71] op_sel_hi:[0,1]
	v_sub_f32_e32 v71, v88, v89
	s_delay_alu instid0(VALU_DEP_3) | instskip(NEXT) | instid1(VALU_DEP_3)
	v_fma_mix_f32 v70, v67, v54, -v89 op_sel_hi:[1,0,0]
	v_dual_sub_f32 v69, v69, v89 :: v_dual_sub_f32 v68, v68, v89
	s_delay_alu instid0(VALU_DEP_2) | instskip(NEXT) | instid1(VALU_DEP_2)
	v_pk_fma_f32 v[8:9], v[58:59], v[70:71], v[8:9]
	v_pk_fma_f32 v[6:7], v[56:57], v[68:69], v[6:7]
	s_cbranch_scc1 .LBB198_19
; %bb.20:                               ;   in Loop: Header=BB198_5 Depth=1
	s_barrier_signal -1
	s_barrier_wait -1
	s_branch .LBB198_4
.LBB198_21:
	v_mov_b32_e32 v6, 0
	s_delay_alu instid0(VALU_DEP_1)
	v_dual_mov_b32 v7, v6 :: v_dual_mov_b32 v8, v6
	v_mov_b32_e32 v9, v6
.LBB198_22:
	s_mul_i32 s0, s10, s7
	s_wait_loadcnt 0x0
	v_cmp_gt_i32_e32 vcc_lo, s0, v1
	s_and_saveexec_b32 s0, vcc_lo
	s_cbranch_execz .LBB198_31
; %bb.23:
	v_mul_lo_u32 v0, v1, s9
	v_add_nc_u32_e32 v1, s11, v5
	s_mov_b32 s0, exec_lo
	s_delay_alu instid0(VALU_DEP_1)
	v_cmpx_gt_u32_e64 s9, v1
	s_cbranch_execz .LBB198_25
; %bb.24:
	s_delay_alu instid0(VALU_DEP_3)
	v_add_nc_u32_e32 v2, v0, v1
	v_cvt_f16_f32_e32 v3, v6
	global_store_b16 v2, v3, s[12:13] scale_offset
.LBB198_25:
	s_wait_xcnt 0x0
	s_or_b32 exec_lo, exec_lo, s0
	v_add_nc_u32_e32 v2, 32, v1
	s_mov_b32 s0, exec_lo
	s_delay_alu instid0(VALU_DEP_1)
	v_cmpx_gt_u32_e64 s9, v2
	s_cbranch_execz .LBB198_27
; %bb.26:
	v_add_nc_u32_e32 v2, v0, v2
	v_cvt_f16_f32_e32 v3, v7
	global_store_b16 v2, v3, s[12:13] scale_offset
.LBB198_27:
	s_wait_xcnt 0x0
	s_or_b32 exec_lo, exec_lo, s0
	v_add_nc_u32_e32 v2, 64, v1
	s_mov_b32 s0, exec_lo
	s_delay_alu instid0(VALU_DEP_1)
	v_cmpx_gt_u32_e64 s9, v2
	s_cbranch_execz .LBB198_29
; %bb.28:
	v_add_nc_u32_e32 v2, v0, v2
	v_cvt_f16_f32_e32 v3, v8
	global_store_b16 v2, v3, s[12:13] scale_offset
.LBB198_29:
	s_wait_xcnt 0x0
	s_or_b32 exec_lo, exec_lo, s0
	v_add_nc_u32_e32 v1, 0x60, v1
	s_delay_alu instid0(VALU_DEP_1)
	v_cmp_gt_u32_e32 vcc_lo, s9, v1
	s_and_b32 exec_lo, exec_lo, vcc_lo
	s_cbranch_execz .LBB198_31
; %bb.30:
	v_add_nc_u32_e32 v0, v0, v1
	v_cvt_f16_f32_e32 v1, v9
	global_store_b16 v0, v1, s[12:13] scale_offset
.LBB198_31:
	s_sendmsg sendmsg(MSG_DEALLOC_VGPRS)
	s_endpgm
	.section	.rodata,"a",@progbits
	.p2align	6, 0x0
	.amdhsa_kernel _ZL8moe_q4_0IN3c104HalfELb1EEvPKvS3_PT_PKiS7_S7_iiiiiii
		.amdhsa_group_segment_fixed_size 22272
		.amdhsa_private_segment_fixed_size 0
		.amdhsa_kernarg_size 76
		.amdhsa_user_sgpr_count 2
		.amdhsa_user_sgpr_dispatch_ptr 0
		.amdhsa_user_sgpr_queue_ptr 0
		.amdhsa_user_sgpr_kernarg_segment_ptr 1
		.amdhsa_user_sgpr_dispatch_id 0
		.amdhsa_user_sgpr_kernarg_preload_length 0
		.amdhsa_user_sgpr_kernarg_preload_offset 0
		.amdhsa_user_sgpr_private_segment_size 0
		.amdhsa_wavefront_size32 1
		.amdhsa_uses_dynamic_stack 0
		.amdhsa_enable_private_segment 0
		.amdhsa_system_sgpr_workgroup_id_x 1
		.amdhsa_system_sgpr_workgroup_id_y 1
		.amdhsa_system_sgpr_workgroup_id_z 0
		.amdhsa_system_sgpr_workgroup_info 0
		.amdhsa_system_vgpr_workitem_id 1
		.amdhsa_next_free_vgpr 247
		.amdhsa_next_free_sgpr 21
		.amdhsa_named_barrier_count 0
		.amdhsa_reserve_vcc 1
		.amdhsa_float_round_mode_32 0
		.amdhsa_float_round_mode_16_64 0
		.amdhsa_float_denorm_mode_32 3
		.amdhsa_float_denorm_mode_16_64 3
		.amdhsa_fp16_overflow 0
		.amdhsa_memory_ordered 1
		.amdhsa_forward_progress 1
		.amdhsa_inst_pref_size 67
		.amdhsa_round_robin_scheduling 0
		.amdhsa_exception_fp_ieee_invalid_op 0
		.amdhsa_exception_fp_denorm_src 0
		.amdhsa_exception_fp_ieee_div_zero 0
		.amdhsa_exception_fp_ieee_overflow 0
		.amdhsa_exception_fp_ieee_underflow 0
		.amdhsa_exception_fp_ieee_inexact 0
		.amdhsa_exception_int_div_zero 0
	.end_amdhsa_kernel
	.section	.text._ZL8moe_q4_0IN3c104HalfELb1EEvPKvS3_PT_PKiS7_S7_iiiiiii,"axG",@progbits,_ZL8moe_q4_0IN3c104HalfELb1EEvPKvS3_PT_PKiS7_S7_iiiiiii,comdat
.Lfunc_end198:
	.size	_ZL8moe_q4_0IN3c104HalfELb1EEvPKvS3_PT_PKiS7_S7_iiiiiii, .Lfunc_end198-_ZL8moe_q4_0IN3c104HalfELb1EEvPKvS3_PT_PKiS7_S7_iiiiiii
                                        ; -- End function
	.set _ZL8moe_q4_0IN3c104HalfELb1EEvPKvS3_PT_PKiS7_S7_iiiiiii.num_vgpr, 247
	.set _ZL8moe_q4_0IN3c104HalfELb1EEvPKvS3_PT_PKiS7_S7_iiiiiii.num_agpr, 0
	.set _ZL8moe_q4_0IN3c104HalfELb1EEvPKvS3_PT_PKiS7_S7_iiiiiii.numbered_sgpr, 21
	.set _ZL8moe_q4_0IN3c104HalfELb1EEvPKvS3_PT_PKiS7_S7_iiiiiii.num_named_barrier, 0
	.set _ZL8moe_q4_0IN3c104HalfELb1EEvPKvS3_PT_PKiS7_S7_iiiiiii.private_seg_size, 0
	.set _ZL8moe_q4_0IN3c104HalfELb1EEvPKvS3_PT_PKiS7_S7_iiiiiii.uses_vcc, 1
	.set _ZL8moe_q4_0IN3c104HalfELb1EEvPKvS3_PT_PKiS7_S7_iiiiiii.uses_flat_scratch, 0
	.set _ZL8moe_q4_0IN3c104HalfELb1EEvPKvS3_PT_PKiS7_S7_iiiiiii.has_dyn_sized_stack, 0
	.set _ZL8moe_q4_0IN3c104HalfELb1EEvPKvS3_PT_PKiS7_S7_iiiiiii.has_recursion, 0
	.set _ZL8moe_q4_0IN3c104HalfELb1EEvPKvS3_PT_PKiS7_S7_iiiiiii.has_indirect_call, 0
	.section	.AMDGPU.csdata,"",@progbits
; Kernel info:
; codeLenInByte = 8460
; TotalNumSgprs: 23
; NumVgprs: 247
; ScratchSize: 0
; MemoryBound: 0
; FloatMode: 240
; IeeeMode: 1
; LDSByteSize: 22272 bytes/workgroup (compile time only)
; SGPRBlocks: 0
; VGPRBlocks: 15
; NumSGPRsForWavesPerEU: 23
; NumVGPRsForWavesPerEU: 247
; NamedBarCnt: 0
; Occupancy: 4
; WaveLimiterHint : 1
; COMPUTE_PGM_RSRC2:SCRATCH_EN: 0
; COMPUTE_PGM_RSRC2:USER_SGPR: 2
; COMPUTE_PGM_RSRC2:TRAP_HANDLER: 0
; COMPUTE_PGM_RSRC2:TGID_X_EN: 1
; COMPUTE_PGM_RSRC2:TGID_Y_EN: 1
; COMPUTE_PGM_RSRC2:TGID_Z_EN: 0
; COMPUTE_PGM_RSRC2:TIDIG_COMP_CNT: 1
	.section	.text._ZL8moe_q4_1IN3c104HalfELb0EEvPKvS3_PT_PKiS7_S7_iiiiiii,"axG",@progbits,_ZL8moe_q4_1IN3c104HalfELb0EEvPKvS3_PT_PKiS7_S7_iiiiiii,comdat
	.globl	_ZL8moe_q4_1IN3c104HalfELb0EEvPKvS3_PT_PKiS7_S7_iiiiiii ; -- Begin function _ZL8moe_q4_1IN3c104HalfELb0EEvPKvS3_PT_PKiS7_S7_iiiiiii
	.p2align	8
	.type	_ZL8moe_q4_1IN3c104HalfELb0EEvPKvS3_PT_PKiS7_S7_iiiiiii,@function
_ZL8moe_q4_1IN3c104HalfELb0EEvPKvS3_PT_PKiS7_S7_iiiiiii: ; @_ZL8moe_q4_1IN3c104HalfELb0EEvPKvS3_PT_PKiS7_S7_iiiiiii
; %bb.0:
	s_load_b128 s[4:7], s[0:1], 0x18
	s_bfe_u32 s2, ttmp6, 0x40010
	s_bfe_u32 s8, ttmp6, 0x40004
	s_add_co_i32 s2, s2, 1
	s_delay_alu instid0(SALU_CYCLE_1)
	s_mul_i32 s3, ttmp7, s2
	s_getreg_b32 s2, hwreg(HW_REG_IB_STS2, 6, 4)
	s_add_co_i32 s8, s8, s3
	s_cmp_eq_u32 s2, 0
	s_cselect_b32 s3, ttmp7, s8
	s_wait_kmcnt 0x0
	s_load_b32 s12, s[6:7], s3 offset:0x0 scale_offset
	s_wait_kmcnt 0x0
	s_cmp_gt_u32 s12, 0xff
	s_cbranch_scc1 .LBB199_31
; %bb.1:
	s_load_b64 s[6:7], s[0:1], 0x28
	s_lshl_b32 s3, s3, 3
	s_wait_kmcnt 0x0
	s_load_b32 s6, s[6:7], 0x0
	s_wait_kmcnt 0x0
	s_cmp_gt_u32 s3, s6
	s_cbranch_scc1 .LBB199_31
; %bb.2:
	v_bfe_u32 v1, v0, 10, 10
	s_and_b32 s13, ttmp6, 15
	v_and_b32_e32 v5, 0x3ff, v0
	s_delay_alu instid0(VALU_DEP_2) | instskip(SKIP_1) | instid1(SALU_CYCLE_1)
	v_add_nc_u32_e32 v2, s3, v1
	s_bfe_u32 s3, ttmp6, 0x4000c
	s_add_co_i32 s3, s3, 1
	s_delay_alu instid0(SALU_CYCLE_1)
	s_mul_i32 s3, ttmp9, s3
	global_load_b32 v3, v2, s[4:5] scale_offset
	s_clause 0x2
	s_load_b64 s[10:11], s[0:1], 0x30
	s_load_b64 s[8:9], s[0:1], 0x10
	s_load_b128 s[4:7], s[0:1], 0x3c
	s_add_co_i32 s13, s13, s3
	s_cmp_eq_u32 s2, 0
	s_cselect_b32 s2, ttmp9, s13
	s_mov_b32 s13, 0
	s_lshl_b32 s18, s2, 7
	s_wait_kmcnt 0x0
	s_cmp_lt_i32 s11, 32
	s_cbranch_scc1 .LBB199_21
; %bb.3:
	s_load_b128 s[0:3], s[0:1], 0x0
	s_ashr_i32 s14, s11, 31
	s_mul_i32 s16, s12, s10
	s_abs_i32 s12, s7
	s_lshr_b32 s10, s14, 27
	s_cvt_f32_u32 s20, s12
	s_add_co_i32 s19, s11, s10
	s_ashr_i32 s17, s16, 31
	s_ashr_i32 s10, s19, 5
	v_rcp_iflag_f32_e32 v10, s20
	v_mul_lo_u32 v2, s10, v1
	v_bfe_u32 v33, v0, 3, 7
	s_sub_co_i32 s20, 0, s12
	v_lshl_add_u32 v49, v1, 7, 0x5280
	v_lshl_add_u32 v51, v1, 4, 0x5680
	s_ashr_i32 s15, s5, 31
	v_lshl_add_u32 v20, v1, 2, v33
	s_lshr_b32 s14, s15, 27
	v_bfe_u32 v4, v0, 2, 8
	s_add_co_i32 s5, s5, s14
	s_wait_kmcnt 0x0
	s_add_nc_u64 s[16:17], s[0:1], s[16:17]
	v_readfirstlane_b32 s0, v10
	s_lshl_b32 s1, s10, 3
	s_delay_alu instid0(SALU_CYCLE_1) | instskip(SKIP_3) | instid1(VALU_DEP_2)
	v_dual_lshlrev_b32 v24, 2, v5 :: v_dual_add_nc_u32 v6, s1, v2
	v_dual_add_nc_u32 v22, 32, v20 :: v_dual_add_nc_u32 v30, 64, v20
	s_mul_f32 s0, s0, 0x4f7ffffe
	s_wait_loadcnt 0x0
	v_dual_sub_nc_u32 v12, 0, v3 :: v_dual_add_nc_u32 v10, s1, v6
	v_and_b32_e32 v21, 0x1ffc, v20
	s_cvt_u32_f32 s0, s0
	s_delay_alu instid0(VALU_DEP_2) | instskip(SKIP_1) | instid1(SALU_CYCLE_1)
	v_dual_lshlrev_b32 v48, 5, v22 :: v_dual_max_i32 v16, v3, v12
	v_and_b32_e32 v12, 7, v0
	s_mul_i32 s20, s20, s0
	v_dual_mov_b32 v9, 0 :: v_dual_bitop2_b32 v8, 12, v24 bitop3:0x40
	s_mul_hi_u32 s20, s0, s20
	s_delay_alu instid0(VALU_DEP_2)
	v_lshlrev_b32_e32 v26, 2, v12
	s_add_co_i32 s0, s0, s20
	v_mul_lo_u32 v14, s10, v20
	v_mul_hi_u32 v18, v16, s0
	v_lshlrev_b32_e32 v44, 5, v20
	v_add3_u32 v42, v21, v26, 0x4200
	v_and_b32_e32 v21, 0x3ffc, v30
	v_add_nc_u32_e32 v20, 0x60, v20
	v_mad_u32_u24 v7, 0x84, v1, v24
	v_and_b32_e32 v29, 0x3ffc, v22
	v_dual_add_nc_u32 v68, v51, v24 :: v_dual_add_nc_u32 v34, 32, v5
	v_add3_u32 v50, v21, v26, 0x4200
	v_and_b32_e32 v21, 0x3ffc, v20
	v_mul_lo_u32 v28, v18, s12
	v_add_nc_u32_e32 v22, 1, v18
	v_add3_u32 v46, v29, v26, 0x4200
	s_ashr_i32 s5, s5, 5
	v_add3_u32 v54, v21, v26, 0x4200
	v_add_nc_u32_e32 v36, 0x60, v5
	s_and_not1_b32 s19, s19, 31
	v_dual_add_nc_u32 v80, v42, v44 :: v_dual_lshlrev_b32 v52, 5, v30
	s_mul_i32 s14, s10, s18
	v_add_nc_u32_e32 v17, 0x1080, v7
	v_sub_nc_u32_e32 v16, v16, v28
	s_ashr_i32 s15, s14, 31
	v_add_nc_u32_e32 v19, 0x14a0, v7
	v_add_nc_u32_e32 v23, 0x18c0, v7
	;; [unrolled: 1-line block ×3, first 2 shown]
	v_subrev_nc_u32_e32 v28, s12, v16
	v_cmp_le_u32_e32 vcc_lo, s12, v16
	v_add_nc_u32_e32 v11, 0x420, v7
	v_add_nc_u32_e32 v13, 0x840, v7
	v_add_nc_u32_e32 v27, 0x2100, v7
	v_dual_cndmask_b32 v18, v18, v22 :: v_dual_add_nc_u32 v35, 0x2520, v7
	v_dual_cndmask_b32 v22, v16, v28, vcc_lo :: v_dual_bitop2_b32 v21, s7, v3 bitop3:0x14
	v_add_nc_u32_e32 v16, s1, v10
	v_add_nc_u32_e32 v37, 0x2940, v7
	s_delay_alu instid0(VALU_DEP_4) | instskip(NEXT) | instid1(VALU_DEP_4)
	v_dual_add_nc_u32 v26, 1, v18 :: v_dual_bitop2_b32 v28, 31, v0 bitop3:0x40
	v_ashrrev_i32_e32 v29, 31, v21
	v_cmp_le_u32_e32 vcc_lo, s12, v22
	v_dual_mov_b32 v21, v9 :: v_dual_lshlrev_b32 v55, 5, v20
	v_add_nc_u32_e32 v15, 0xc60, v7
	v_lshl_or_b32 v53, v28, 2, v49
	v_dual_cndmask_b32 v22, v18, v26, vcc_lo :: v_dual_add_nc_u32 v18, s1, v16
	v_and_b32_e32 v0, 0xfc, v0
	v_lshrrev_b32_e32 v70, 3, v34
	v_cmp_gt_u32_e32 vcc_lo, 4, v5
	s_delay_alu instid0(VALU_DEP_4) | instskip(SKIP_3) | instid1(VALU_DEP_4)
	v_xor_b32_e32 v1, v22, v29
	v_dual_add_nc_u32 v22, s1, v18 :: v_dual_bitop2_b32 v20, 28, v24 bitop3:0x40
	v_add_nc_u32_e32 v39, 0x2d60, v7
	v_add_nc_u32_e32 v41, 0x3180, v7
	v_sub_nc_u32_e32 v1, v1, v29
	s_delay_alu instid0(VALU_DEP_4) | instskip(SKIP_2) | instid1(VALU_DEP_4)
	v_dual_add_nc_u32 v29, 64, v5 :: v_dual_add_nc_u32 v24, s1, v22
	v_add_nc_u64_e32 v[30:31], s[2:3], v[20:21]
	v_add_nc_u32_e32 v43, 0x35a0, v7
	v_cmp_gt_i32_e64 s0, s4, v1
	v_mul_lo_u32 v28, v1, s5
	v_dual_add_nc_u32 v26, s1, v24 :: v_dual_lshlrev_b32 v1, 5, v5
	v_and_b32_e32 v21, 0x1fc, v29
	v_and_b32_e32 v29, 0x1fc, v34
	v_add_nc_u32_e32 v45, 0x39c0, v7
	v_add_nc_u32_e32 v47, 0x3de0, v7
	s_delay_alu instid0(VALU_DEP_4) | instskip(NEXT) | instid1(VALU_DEP_4)
	v_dual_add_nc_u32 v0, v1, v0 :: v_dual_add_nc_u32 v21, v1, v21
	v_add_nc_u32_e32 v56, v1, v29
	v_mul_u32_u24_e32 v69, 0x84, v5
	v_mad_u32_u24 v75, 0x84, v5, 64
	v_ashrrev_i32_e32 v29, 31, v28
	v_add_nc_u32_e32 v72, 0x4a00, v21
	v_add_nc_u32_e32 v77, 0x4a10, v21
	v_mov_b32_e32 v21, v9
	v_and_b32_e32 v20, 0x1fc, v36
	v_add_nc_u32_e32 v32, s1, v26
	v_add_nc_u32_e32 v44, s19, v14
	;; [unrolled: 1-line block ×10, first 2 shown]
	v_dual_add_nc_u32 v36, s1, v34 :: v_dual_add_nc_u32 v83, v54, v55
	v_add_nc_u32_e32 v76, 0x4e10, v20
	v_dual_mov_b32 v20, v9 :: v_dual_add_nc_u32 v79, 0x4210, v0
	s_delay_alu instid0(VALU_DEP_3) | instskip(SKIP_3) | instid1(VALU_DEP_2)
	v_dual_add_nc_u32 v38, s1, v36 :: v_dual_mov_b32 v0, v9
	v_mov_b32_e32 v1, v9
	s_mul_u64 s[14:15], s[14:15], 20
	s_mov_b32 s12, s13
	v_add_nc_u32_e32 v40, s1, v38
	s_add_nc_u64 s[14:15], s[16:17], s[14:15]
	s_and_b32 s16, vcc_lo, s0
	s_delay_alu instid0(VALU_DEP_1) | instskip(NEXT) | instid1(VALU_DEP_1)
	v_add_nc_u32_e32 v42, s1, v40
	v_dual_add_nc_u32 v46, s1, v42 :: v_dual_add_nc_u32 v82, v50, v52
	s_delay_alu instid0(VALU_DEP_1)
	v_dual_add_nc_u32 v52, s19, v48 :: v_dual_add_nc_u32 v50, s1, v46
	s_branch .LBB199_5
.LBB199_4:                              ;   in Loop: Header=BB199_5 Depth=1
	s_add_co_i32 s12, s12, 8
	s_delay_alu instid0(SALU_CYCLE_1)
	s_cmp_ge_i32 s12, s10
	s_cbranch_scc1 .LBB199_22
.LBB199_5:                              ; =>This Loop Header: Depth=1
                                        ;     Child Loop BB199_11 Depth 2
                                        ;     Child Loop BB199_19 Depth 2
	s_mul_u64 s[20:21], s[12:13], 20
	s_lshl_b32 s17, s12, 5
	s_add_nc_u64 s[20:21], s[14:15], s[20:21]
	s_cmp_lt_i32 s17, s11
	s_wait_xcnt 0x4
	v_mad_nc_u64_u32 v[54:55], v4, 20, s[20:21]
	s_wait_xcnt 0x0
	v_mad_nc_u64_u32 v[56:57], v12, 20, s[20:21]
	s_delay_alu instid0(VALU_DEP_2)
	v_mad_nc_u64_u32 v[58:59], v2, 20, v[54:55]
	v_mad_nc_u64_u32 v[60:61], v6, 20, v[54:55]
	;; [unrolled: 1-line block ×13, first 2 shown]
	v_add_nc_u64_e32 v[58:59], v[58:59], v[8:9]
	v_mad_nc_u64_u32 v[100:101], v42, 20, v[54:55]
	v_add_nc_u64_e32 v[60:61], v[60:61], v[8:9]
	v_mad_nc_u64_u32 v[102:103], v46, 20, v[54:55]
	;; [unrolled: 2-line block ×3, first 2 shown]
	v_add_nc_u64_e32 v[64:65], v[64:65], v[8:9]
	v_add_nc_u64_e32 v[66:67], v[66:67], v[8:9]
	;; [unrolled: 1-line block ×5, first 2 shown]
	s_clause 0x7
	global_load_b32 v104, v[58:59], off offset:4
	global_load_b32 v105, v[60:61], off offset:4
	;; [unrolled: 1-line block ×8, first 2 shown]
	s_wait_xcnt 0x7
	v_add_nc_u64_e32 v[58:59], v[90:91], v[8:9]
	s_wait_xcnt 0x6
	v_add_nc_u64_e32 v[60:61], v[92:93], v[8:9]
	;; [unrolled: 2-line block ×5, first 2 shown]
	s_wait_xcnt 0x0
	v_mad_nc_u64_u32 v[88:89], v14, 20, v[56:57]
	v_add_nc_u64_e32 v[84:85], v[100:101], v[8:9]
	v_mad_nc_u64_u32 v[90:91], v44, 20, v[56:57]
	v_add_nc_u64_e32 v[86:87], v[102:103], v[8:9]
	;; [unrolled: 2-line block ×3, first 2 shown]
	v_mad_nc_u64_u32 v[56:57], v52, 20, v[56:57]
	s_clause 0xb
	global_load_b32 v94, v[58:59], off offset:4
	global_load_b32 v95, v[60:61], off offset:4
	;; [unrolled: 1-line block ×8, first 2 shown]
	global_load_b32 v102, v[88:89], off
	global_load_b32 v103, v[90:91], off
	;; [unrolled: 1-line block ×4, first 2 shown]
	s_wait_loadcnt 0x13
	ds_store_b32 v7, v104
	s_wait_loadcnt 0x12
	ds_store_b32 v11, v105
	;; [unrolled: 2-line block ×20, first 2 shown]
	s_cbranch_scc0 .LBB199_4
; %bb.6:                                ;   in Loop: Header=BB199_5 Depth=1
	s_wait_xcnt 0x4
	v_add_nc_u32_e32 v54, s12, v33
	s_delay_alu instid0(VALU_DEP_1)
	v_cmp_gt_i32_e64 s1, s5, v54
	s_and_b32 s19, s0, s1
	s_wait_xcnt 0x0
	s_and_saveexec_b32 s1, s19
	s_cbranch_execz .LBB199_8
; %bb.7:                                ;   in Loop: Header=BB199_5 Depth=1
	v_add_nc_u32_e32 v54, v28, v54
	s_delay_alu instid0(VALU_DEP_1)
	v_mad_nc_i64_i32 v[54:55], v54, 36, v[30:31]
	global_load_b32 v54, v[54:55], off offset:4
	s_wait_loadcnt 0x0
	ds_store_b32 v53, v54
.LBB199_8:                              ;   in Loop: Header=BB199_5 Depth=1
	s_or_b32 exec_lo, exec_lo, s1
	v_add_nc_u32_e32 v54, s12, v5
	s_delay_alu instid0(VALU_DEP_1) | instskip(SKIP_1) | instid1(SALU_CYCLE_1)
	v_cmp_gt_i32_e64 s1, s5, v54
	s_and_b32 s19, s16, s1
	s_and_saveexec_b32 s1, s19
	s_cbranch_execz .LBB199_10
; %bb.9:                                ;   in Loop: Header=BB199_5 Depth=1
	v_add_nc_u32_e32 v55, v28, v54
	s_delay_alu instid0(VALU_DEP_1)
	v_mad_nc_i64_i32 v[56:57], v55, 36, s[2:3]
	global_load_b32 v55, v[56:57], off
	s_wait_loadcnt 0x0
	ds_store_b32 v68, v55
.LBB199_10:                             ;   in Loop: Header=BB199_5 Depth=1
	s_or_b32 exec_lo, exec_lo, s1
	v_dual_mov_b32 v55, v49 :: v_dual_mov_b32 v84, v51
	v_dual_mov_b32 v85, v74 :: v_dual_mov_b32 v86, v73
	v_dual_mov_b32 v87, v72 :: v_dual_mov_b32 v88, v71
	v_mov_b32_e32 v89, v69
	s_mov_b32 s1, -4
	s_wait_dscnt 0x0
	s_barrier_signal -1
	s_barrier_wait -1
.LBB199_11:                             ;   Parent Loop BB199_5 Depth=1
                                        ; =>  This Inner Loop Header: Depth=2
	v_add_nc_u32_e32 v90, 0x1080, v89
	v_add_nc_u32_e32 v92, 0x1088, v89
	ds_load_2addr_b32 v[56:57], v55 offset0:4 offset1:7
	ds_load_2addr_b32 v[64:65], v89 offset1:1
	ds_load_2addr_b32 v[60:61], v55 offset1:3
	ds_load_2addr_b32 v[58:59], v89 offset0:2 offset1:3
	ds_load_2addr_b32 v[66:67], v55 offset0:1 offset1:2
	ds_load_2addr_b32 v[62:63], v55 offset0:5 offset1:6
	v_add_nc_u32_e32 v94, 0x2100, v89
	v_add_nc_u32_e32 v96, 0x2108, v89
	;; [unrolled: 1-line block ×4, first 2 shown]
	ds_load_b32 v102, v88
	ds_load_b32 v103, v84
	;; [unrolled: 1-line block ×5, first 2 shown]
	ds_load_2addr_b32 v[90:91], v90 offset1:1
	ds_load_2addr_b32 v[92:93], v92 offset1:1
	;; [unrolled: 1-line block ×6, first 2 shown]
	v_add_nc_u32_e32 v89, 16, v89
	v_dual_add_nc_u32 v85, 4, v85 :: v_dual_add_nc_u32 v84, 4, v84
	v_add_nc_u32_e32 v55, 32, v55
	s_add_co_i32 s1, s1, 4
	v_add_nc_u32_e32 v88, 4, v88
	s_cmp_lt_u32 s1, 12
	v_add_nc_u32_e32 v87, 4, v87
	s_wait_dscnt 0x10
	v_lshrrev_b16 v107, 8, v56
	s_wait_dscnt 0xf
	v_lshrrev_b32_e32 v111, 28, v65
	s_wait_dscnt 0xe
	v_lshrrev_b16 v113, 8, v60
	v_ashrrev_i32_e32 v114, 24, v60
	v_bfe_i32 v115, v60, 16, 8
	v_bfe_i32 v116, v60, 0, 8
	v_dual_lshrrev_b32 v60, 8, v64 :: v_dual_bitop2_b32 v117, 15, v64 bitop3:0x40
	s_wait_dscnt 0xc
	v_dual_ashrrev_i32 v121, 24, v66 :: v_dual_ashrrev_i32 v118, 24, v56
	s_wait_dscnt 0xb
	v_ashrrev_i32_e32 v124, 24, v62
	v_bfe_i32 v119, v56, 16, 8
	v_bfe_i32 v120, v56, 0, 8
	v_bfe_u32 v56, v64, 4, 4
	v_bfe_i32 v113, v113, 0, 8
	s_wait_dscnt 0x1
	v_bfe_u32 v175, v98, 4, 4
	v_bfe_u32 v179, v94, 4, 4
	v_bfe_i32 v107, v107, 0, 8
	v_bfe_u32 v181, v90, 4, 4
	v_bfe_u32 v182, v90, 12, 4
	;; [unrolled: 1-line block ×3, first 2 shown]
	v_and_b32_e32 v60, 15, v60
	v_dual_lshrrev_b32 v171, 28, v99 :: v_dual_bitop2_b32 v161, 15, v94 bitop3:0x40
	v_and_b32_e32 v166, 15, v90
	v_and_b32_e32 v185, 15, v95
	v_bfe_u32 v186, v95, 8, 4
	v_bfe_u32 v187, v95, 20, 4
	v_mul_i32_i24_e32 v189, v120, v56
	v_bfe_u32 v191, v95, 16, 4
	v_bfe_u32 v192, v95, 24, 4
	;; [unrolled: 1-line block ×4, first 2 shown]
	v_lshrrev_b32_e32 v95, 28, v95
	v_mul_i32_i24_e32 v175, v175, v120
	v_mul_i32_i24_e32 v179, v120, v179
	;; [unrolled: 1-line block ×5, first 2 shown]
	v_perm_b32 v117, v60, v117, 0x5040100
	v_perm_b32 v183, v113, v116, 0x5040100
	v_dual_ashrrev_i32 v137, 24, v63 :: v_dual_bitop2_b32 v144, 15, v58 bitop3:0x40
	v_bfe_i32 v138, v63, 16, 8
	v_dual_lshrrev_b32 v150, 28, v58 :: v_dual_bitop2_b32 v143, 15, v59 bitop3:0x40
	v_bfe_u32 v145, v58, 8, 4
	v_bfe_u32 v146, v58, 24, 4
	;; [unrolled: 1-line block ×6, first 2 shown]
	v_pk_mul_f16 v104, v103, v104
	v_pk_mul_f16 v105, v103, v105
	;; [unrolled: 1-line block ×4, first 2 shown]
	v_bfe_u32 v103, v90, 16, 4
	v_bfe_u32 v160, v90, 24, 4
	;; [unrolled: 1-line block ×5, first 2 shown]
	v_lshrrev_b32_e32 v90, 28, v90
	v_mul_i32_i24_e32 v161, v116, v161
	v_mul_i32_i24_e32 v166, v116, v166
	v_pk_mul_lo_u16 v117, v117, v183
	v_bfe_u32 v108, v64, 16, 4
	v_bfe_u32 v109, v64, 24, 4
	;; [unrolled: 1-line block ×7, first 2 shown]
	v_and_b32_e32 v177, 15, v99
	v_bfe_u32 v178, v99, 4, 4
	v_and_b32_e32 v200, 15, v96
	v_and_b32_e32 v202, 0xf0f0f0f, v99
	v_lshrrev_b32_e32 v99, 4, v99
	v_mul_i32_i24_e32 v244, v138, v58
	v_cvt_f32_f16_e32 v58, v106
	v_lshrrev_b32_e32 v106, 16, v106
	v_mad_i32_i24 v161, v113, v162, v161
	v_mad_i32_i24 v162, v113, v168, v166
	v_bfe_i32 v166, v117, 0, 16
	v_dual_ashrrev_i32 v117, 16, v117 :: v_dual_lshrrev_b32 v127, 28, v64
	v_and_b32_e32 v129, 15, v65
	v_bfe_u32 v128, v64, 20, 4
	v_bfe_u32 v64, v64, 12, 4
	;; [unrolled: 1-line block ×3, first 2 shown]
	v_mul_i32_i24_e32 v108, v115, v108
	v_mul_i32_i24_e32 v109, v114, v109
	;; [unrolled: 1-line block ×6, first 2 shown]
	v_lshrrev_b16 v99, 8, v99
	v_add_nc_u32_e32 v117, v117, v166
	v_bfe_u32 v172, v98, 20, 4
	v_lshrrev_b32_e32 v94, 28, v94
	v_mul_i32_i24_e32 v180, v107, v180
	v_mul_i32_i24_e32 v64, v107, v64
	v_and_b32_e32 v99, 15, v99
	v_add3_u32 v161, v161, v163, v164
	v_add3_u32 v103, v162, v103, v160
	;; [unrolled: 1-line block ×3, first 2 shown]
	v_bfe_i32 v122, v66, 16, 8
	v_bfe_i32 v123, v66, 8, 8
	;; [unrolled: 1-line block ×3, first 2 shown]
	v_bfe_u32 v130, v65, 8, 4
	v_dual_lshrrev_b32 v167, 28, v98 :: v_dual_bitop2_b32 v176, 15, v98 bitop3:0x40
	v_dual_lshrrev_b32 v196, 28, v91 :: v_dual_bitop2_b32 v188, 15, v91 bitop3:0x40
	v_bfe_u32 v190, v91, 8, 4
	v_mul_i32_i24_e32 v128, v119, v128
	v_mul_i32_i24_e32 v127, v118, v127
	;; [unrolled: 1-line block ×6, first 2 shown]
	v_add3_u32 v117, v161, v180, v179
	v_add3_u32 v103, v103, v181, v120
	;; [unrolled: 1-line block ×3, first 2 shown]
	v_bfe_u32 v131, v65, 24, 4
	v_bfe_u32 v132, v65, 16, 4
	;; [unrolled: 1-line block ×6, first 2 shown]
	v_and_b32_e32 v201, 0xf0f0f0f, v98
	v_lshrrev_b32_e32 v98, 4, v98
	v_mul_i32_i24_e32 v129, v66, v129
	v_mul_i32_i24_e32 v130, v123, v130
	;; [unrolled: 1-line block ×8, first 2 shown]
	v_add3_u32 v94, v117, v182, v94
	v_add3_u32 v90, v103, v119, v90
	;; [unrolled: 1-line block ×3, first 2 shown]
	v_bfe_u32 v110, v65, 20, 4
	v_bfe_i32 v125, v62, 8, 8
	v_bfe_i32 v126, v62, 0, 8
	v_bfe_u32 v133, v65, 4, 4
	v_bfe_u32 v65, v65, 12, 4
	;; [unrolled: 1-line block ×5, first 2 shown]
	v_mul_i32_i24_e32 v132, v122, v132
	v_mul_i32_i24_e32 v131, v121, v131
	;; [unrolled: 1-line block ×8, first 2 shown]
	v_add3_u32 v94, v94, v184, v118
	v_add3_u32 v66, v90, v185, v66
	;; [unrolled: 1-line block ×3, first 2 shown]
	v_bfe_i32 v62, v62, 16, 8
	v_mul_i32_i24_e32 v133, v126, v133
	v_mul_i32_i24_e32 v65, v125, v65
	;; [unrolled: 1-line block ×7, first 2 shown]
	v_add3_u32 v94, v94, v186, v188
	v_add3_u32 v66, v66, v122, v121
	;; [unrolled: 1-line block ×3, first 2 shown]
	v_dual_ashrrev_i32 v134, 24, v67 :: v_dual_ashrrev_i32 v140, 24, v61
	v_bfe_i32 v135, v67, 16, 8
	v_bfe_i32 v136, v67, 8, 8
	;; [unrolled: 1-line block ×3, first 2 shown]
	v_bfe_u32 v204, v96, 8, 4
	v_mul_i32_i24_e32 v110, v62, v110
	v_dual_lshrrev_b32 v224, 28, v97 :: v_dual_bitop2_b32 v215, 15, v92 bitop3:0x40
	v_bfe_u32 v216, v92, 8, 4
	v_mul_i32_i24_e32 v111, v124, v111
	v_mul_i32_i24_e32 v171, v124, v171
	;; [unrolled: 1-line block ×7, first 2 shown]
	v_add3_u32 v94, v94, v126, v191
	v_add3_u32 v66, v66, v190, v91
	;; [unrolled: 1-line block ×3, first 2 shown]
	v_bfe_u32 v205, v96, 16, 4
	v_bfe_u32 v206, v96, 24, 4
	v_bfe_u32 v217, v92, 24, 4
	v_bfe_u32 v218, v92, 16, 4
	s_wait_dscnt 0x0
	v_bfe_u32 v230, v100, 24, 4
	v_bfe_u32 v234, v100, 16, 4
	v_mul_i32_i24_e32 v144, v67, v144
	v_mul_i32_i24_e32 v145, v136, v145
	;; [unrolled: 1-line block ×6, first 2 shown]
	v_lshrrev_b16 v98, 8, v98
	v_add3_u32 v94, v94, v187, v95
	v_add3_u32 v62, v66, v62, v124
	v_add3_u32 v64, v64, v110, v111
	v_bfe_i32 v139, v63, 8, 8
	v_bfe_i32 v63, v63, 0, 8
	v_bfe_u32 v207, v96, 12, 4
	v_bfe_u32 v208, v96, 4, 4
	;; [unrolled: 1-line block ×4, first 2 shown]
	v_dual_lshrrev_b32 v228, 28, v93 :: v_dual_lshrrev_b32 v232, 4, v100
	v_and_b32_e32 v231, 0xf0f0f0f, v100
	v_dual_lshrrev_b32 v233, 28, v100 :: v_dual_bitop2_b32 v235, 15, v100 bitop3:0x40
	v_bfe_u32 v236, v100, 20, 4
	v_bfe_u32 v100, v100, 4, 4
	v_mul_i32_i24_e32 v147, v135, v147
	v_mul_i32_i24_e32 v146, v134, v146
	;; [unrolled: 1-line block ×8, first 2 shown]
	v_lshrrev_b16 v201, 8, v201
	v_lshrrev_b16 v202, 8, v202
	v_and_b32_e32 v98, 15, v98
	v_add3_u32 v94, v94, v193, v192
	v_add3_u32 v62, v62, v195, v194
	;; [unrolled: 1-line block ×3, first 2 shown]
	v_dual_lshrrev_b32 v209, 28, v96 :: v_dual_bitop2_b32 v210, 15, v93 bitop3:0x40
	v_bfe_u32 v96, v96, 20, 4
	v_dual_lshrrev_b32 v221, 28, v92 :: v_dual_bitop2_b32 v212, 15, v97 bitop3:0x40
	v_bfe_u32 v92, v92, 20, 4
	v_and_b32_e32 v238, 0xf0f0f0f, v101
	v_dual_lshrrev_b32 v239, 4, v101 :: v_dual_lshrrev_b32 v240, 28, v101
	v_mul_i32_i24_e32 v148, v63, v148
	v_mul_i32_i24_e32 v149, v139, v149
	v_mul_i32_i24_e32 v203, v63, v208
	v_mul_i32_i24_e32 v100, v63, v100
	v_mul_i32_i24_e32 v63, v63, v219
	v_lshrrev_b16 v215, 8, v231
	v_lshrrev_b16 v218, 8, v232
	v_mul_i32_i24_e32 v207, v139, v207
	v_mul_i32_i24_e32 v220, v139, v220
	v_mad_i32_i24 v114, v165, v114, v167
	v_and_b32_e32 v165, 0xffff, v201
	v_and_b32_e32 v167, 0xffff, v202
	;; [unrolled: 1-line block ×3, first 2 shown]
	v_add3_u32 v94, v94, v196, v199
	v_add3_u32 v62, v62, v135, v134
	;; [unrolled: 1-line block ×3, first 2 shown]
	v_bfe_i32 v141, v61, 16, 8
	v_bfe_i32 v142, v61, 8, 8
	;; [unrolled: 1-line block ×3, first 2 shown]
	v_bfe_u32 v151, v59, 8, 4
	v_bfe_u32 v211, v97, 8, 4
	;; [unrolled: 1-line block ×3, first 2 shown]
	v_mul_i32_i24_e32 v150, v137, v150
	v_mul_i32_i24_e32 v96, v138, v96
	;; [unrolled: 1-line block ×7, first 2 shown]
	v_lshrrev_b16 v216, 8, v238
	v_lshrrev_b16 v219, 8, v239
	v_and_b32_e32 v168, 0xffff, v215
	v_and_b32_e32 v166, 15, v218
	v_mul_i32_i24_e32 v103, v165, v113
	v_mul_i32_i24_e32 v113, v123, v167
	v_and_b32_e32 v99, 0xffff, v99
	v_mul_i32_i24_e32 v66, v98, v107
	v_add3_u32 v94, v94, v203, v207
	v_add3_u32 v62, v62, v63, v220
	;; [unrolled: 1-line block ×3, first 2 shown]
	v_bfe_u32 v112, v59, 24, 4
	v_dual_ashrrev_i32 v152, 24, v57 :: v_dual_lshrrev_b32 v158, 28, v59
	v_bfe_i32 v153, v57, 16, 8
	v_bfe_i32 v154, v57, 8, 8
	;; [unrolled: 1-line block ×3, first 2 shown]
	v_bfe_u32 v156, v59, 4, 4
	v_bfe_u32 v157, v59, 12, 4
	;; [unrolled: 1-line block ×13, first 2 shown]
	v_and_b32_e32 v242, 15, v101
	v_mul_i32_i24_e32 v143, v61, v143
	v_cvt_f32_f16_e32 v57, v105
	v_cvt_f32_f16_e32 v56, v104
	v_dual_lshrrev_b32 v105, 16, v105 :: v_dual_lshrrev_b32 v104, 16, v104
	v_mul_i32_i24_e32 v151, v142, v151
	v_mul_i32_i24_e32 v206, v61, v210
	;; [unrolled: 1-line block ×5, first 2 shown]
	v_mad_i32_i24 v115, v169, v115, v172
	v_mad_i32_i24 v116, v176, v116, v175
	v_and_b32_e32 v169, 0xffff, v216
	v_dual_add_nc_u32 v86, 4, v86 :: v_dual_bitop2_b32 v109, 15, v219 bitop3:0x40
	v_add3_u32 v114, v114, v170, v171
	v_mul_i32_i24_e32 v90, v136, v168
	v_and_b32_e32 v65, 0xffff, v166
	v_mul_i32_i24_e32 v95, v125, v99
	v_add3_u32 v66, v103, v66, v113
	v_add3_u32 v94, v94, v96, v138
	;; [unrolled: 1-line block ×4, first 2 shown]
	v_bfe_u32 v222, v97, 12, 4
	v_bfe_u32 v223, v97, 4, 4
	;; [unrolled: 1-line block ×5, first 2 shown]
	v_mul_i32_i24_e32 v245, v141, v59
	v_mul_i32_i24_e32 v112, v140, v112
	v_mul_i32_i24_e32 v158, v152, v158
	v_cvt_f32_f16_e32 v59, v102
	v_lshrrev_b32_e32 v102, 16, v102
	v_mul_i32_i24_e32 v67, v67, v235
	v_mul_i32_i24_e32 v209, v61, v242
	v_cvt_f32_f16_e32 v61, v105
	v_cvt_f32_f16_e32 v60, v104
	v_mul_i32_i24_e32 v104, v141, v214
	v_mul_i32_i24_e32 v105, v141, v241
	v_mul_i32_i24_e32 v93, v141, v93
	v_mul_i32_i24_e32 v141, v140, v213
	v_mul_i32_i24_e32 v210, v140, v237
	v_mul_i32_i24_e32 v140, v140, v197
	v_mul_i32_i24_e32 v213, v152, v224
	v_mul_i32_i24_e32 v214, v152, v228
	v_mul_i32_i24_e32 v152, v152, v240
	v_add3_u32 v108, v115, v173, v174
	v_add3_u32 v115, v116, v177, v178
	v_mul_i32_i24_e32 v116, v142, v169
	v_and_b32_e32 v91, 0xffff, v109
	v_mul_i32_i24_e32 v65, v139, v65
	v_add3_u32 v98, v114, v200, v205
	v_add3_u32 v66, v66, v95, v90
	;; [unrolled: 1-line block ×5, first 2 shown]
	v_mul_i32_i24_e32 v156, v155, v156
	v_mul_i32_i24_e32 v159, v153, v159
	;; [unrolled: 1-line block ×12, first 2 shown]
	v_add3_u32 v67, v115, v67, v100
	v_add3_u32 v64, v108, v198, v204
	;; [unrolled: 1-line block ×13, first 2 shown]
	v_cvt_f32_f16_e32 v63, v102
	v_add3_u32 v64, v67, v64, v65
	v_add3_u32 v66, v66, v97, v213
	;; [unrolled: 1-line block ×4, first 2 shown]
	v_cvt_f32_f16_e32 v62, v106
	v_cvt_f32_i32_e32 v65, v64
	v_cvt_f32_i32_e32 v64, v66
	;; [unrolled: 1-line block ×4, first 2 shown]
	s_delay_alu instid0(VALU_DEP_3) | instskip(NEXT) | instid1(VALU_DEP_2)
	v_pk_fma_f32 v[58:59], v[58:59], v[64:65], v[62:63]
	v_pk_fma_f32 v[56:57], v[56:57], v[66:67], v[60:61]
	s_delay_alu instid0(VALU_DEP_2) | instskip(NEXT) | instid1(VALU_DEP_2)
	v_pk_add_f32 v[0:1], v[0:1], v[58:59]
	v_pk_add_f32 v[20:21], v[20:21], v[56:57]
	s_cbranch_scc1 .LBB199_11
; %bb.12:                               ;   in Loop: Header=BB199_5 Depth=1
	s_bitset1_b32 s17, 7
	s_delay_alu instid0(SALU_CYCLE_1)
	s_cmp_ge_i32 s17, s11
	s_barrier_signal -1
	s_barrier_wait -1
	s_cbranch_scc1 .LBB199_4
; %bb.13:                               ;   in Loop: Header=BB199_5 Depth=1
	v_add_nc_u32_e32 v55, s12, v70
	s_delay_alu instid0(VALU_DEP_1) | instskip(SKIP_1) | instid1(SALU_CYCLE_1)
	v_cmp_gt_i32_e64 s1, s5, v55
	s_and_b32 s17, s0, s1
	s_and_saveexec_b32 s1, s17
	s_cbranch_execz .LBB199_15
; %bb.14:                               ;   in Loop: Header=BB199_5 Depth=1
	v_add_nc_u32_e32 v55, v28, v55
	s_delay_alu instid0(VALU_DEP_1)
	v_mad_nc_i64_i32 v[56:57], v55, 36, v[30:31]
	global_load_b32 v55, v[56:57], off offset:4
	s_wait_loadcnt 0x0
	ds_store_b32 v53, v55
.LBB199_15:                             ;   in Loop: Header=BB199_5 Depth=1
	s_or_b32 exec_lo, exec_lo, s1
	s_and_saveexec_b32 s17, vcc_lo
	s_cbranch_execz .LBB199_18
; %bb.16:                               ;   in Loop: Header=BB199_5 Depth=1
	v_or_b32_e32 v55, 4, v54
	s_delay_alu instid0(VALU_DEP_1) | instskip(SKIP_1) | instid1(SALU_CYCLE_1)
	v_cmp_gt_i32_e64 s1, s5, v55
	s_and_b32 s1, s0, s1
	s_and_b32 exec_lo, exec_lo, s1
	s_cbranch_execz .LBB199_18
; %bb.17:                               ;   in Loop: Header=BB199_5 Depth=1
	v_ashrrev_i32_e32 v55, 31, v54
	s_delay_alu instid0(VALU_DEP_1) | instskip(NEXT) | instid1(VALU_DEP_1)
	v_add_nc_u64_e32 v[54:55], v[28:29], v[54:55]
	v_mad_nc_u64_u32 v[56:57], v54, 36, s[2:3]
	s_delay_alu instid0(VALU_DEP_1)
	v_mad_i32_i24 v57, v55, 36, v57
	global_load_b32 v54, v[56:57], off offset:144
	s_wait_loadcnt 0x0
	ds_store_b32 v68, v54
.LBB199_18:                             ;   in Loop: Header=BB199_5 Depth=1
	s_or_b32 exec_lo, exec_lo, s17
	v_dual_mov_b32 v54, v51 :: v_dual_mov_b32 v55, v49
	v_dual_mov_b32 v56, v79 :: v_dual_mov_b32 v57, v78
	;; [unrolled: 1-line block ×3, first 2 shown]
	v_mov_b32_e32 v60, v75
	s_mov_b32 s1, 12
	s_wait_dscnt 0x0
	s_barrier_signal -1
	s_barrier_wait -1
.LBB199_19:                             ;   Parent Loop BB199_5 Depth=1
                                        ; =>  This Inner Loop Header: Depth=2
	ds_load_2addr_b32 v[62:63], v55 offset1:3
	ds_load_2addr_b32 v[64:65], v55 offset0:4 offset1:7
	ds_load_2addr_b32 v[66:67], v55 offset0:1 offset1:2
	ds_load_b32 v61, v54
	ds_load_b32 v102, v56
	ds_load_2addr_b32 v[84:85], v60 offset1:1
	ds_load_2addr_b32 v[86:87], v60 offset0:2 offset1:3
	v_add_nc_u32_e32 v90, 0x1080, v60
	v_add_nc_u32_e32 v92, 0x1088, v60
	;; [unrolled: 1-line block ×6, first 2 shown]
	ds_load_b32 v103, v57
	ds_load_b32 v104, v58
	ds_load_2addr_b32 v[88:89], v55 offset0:5 offset1:6
	ds_load_b32 v105, v59
	ds_load_2addr_b32 v[90:91], v90 offset1:1
	ds_load_2addr_b32 v[92:93], v92 offset1:1
	;; [unrolled: 1-line block ×6, first 2 shown]
	v_dual_add_nc_u32 v60, 16, v60 :: v_dual_add_nc_u32 v58, 4, v58
	v_dual_add_nc_u32 v57, 4, v57 :: v_dual_add_nc_u32 v56, 4, v56
	v_add_nc_u32_e32 v55, 32, v55
	s_wait_dscnt 0x10
	v_lshrrev_b16 v112, 8, v62
	v_ashrrev_i32_e32 v113, 24, v62
	v_bfe_i32 v114, v62, 16, 8
	v_bfe_i32 v115, v62, 0, 8
	s_wait_dscnt 0xb
	v_dual_ashrrev_i32 v139, 24, v63 :: v_dual_lshrrev_b32 v62, 8, v84
	v_dual_ashrrev_i32 v120, 24, v66 :: v_dual_bitop2_b32 v116, 15, v84 bitop3:0x40
	v_bfe_i32 v112, v112, 0, 8
	v_bfe_i32 v140, v63, 16, 8
	s_delay_alu instid0(VALU_DEP_4)
	v_and_b32_e32 v184, 15, v62
	s_wait_dscnt 0x9
	v_pk_mul_f16 v103, v61, v103
	v_bfe_i32 v141, v63, 8, 8
	v_bfe_i32 v142, v63, 0, 8
	v_dual_lshrrev_b32 v149, 28, v86 :: v_dual_bitop2_b32 v63, 15, v87 bitop3:0x40
	s_wait_dscnt 0x1
	v_dual_lshrrev_b32 v182, 4, v98 :: v_dual_lshrrev_b32 v183, 28, v98
	v_dual_lshrrev_b32 v193, 28, v99 :: v_dual_bitop2_b32 v186, 15, v90 bitop3:0x40
	v_lshrrev_b32_e32 v192, 4, v99
	v_perm_b32 v116, v184, v116, 0x5040100
	v_perm_b32 v184, v112, v115, 0x5040100
	v_lshrrev_b16 v106, 8, v64
	v_lshrrev_b32_e32 v110, 28, v85
	v_pk_mul_f16 v104, v61, v104
	v_dual_ashrrev_i32 v117, 24, v64 :: v_dual_bitop2_b32 v128, 15, v85 bitop3:0x40
	v_bfe_i32 v118, v64, 16, 8
	v_bfe_i32 v119, v64, 0, 8
	v_bfe_i32 v121, v66, 16, 8
	v_bfe_i32 v122, v66, 8, 8
	v_bfe_i32 v66, v66, 0, 8
	v_dual_ashrrev_i32 v123, 24, v88 :: v_dual_ashrrev_i32 v133, 24, v67
	v_bfe_i32 v125, v88, 0, 8
	v_bfe_u32 v64, v84, 4, 4
	v_dual_lshrrev_b32 v126, 28, v84 :: v_dual_ashrrev_i32 v136, 24, v89
	v_bfe_u32 v127, v84, 20, 4
	v_bfe_u32 v132, v85, 4, 4
	v_bfe_i32 v134, v67, 16, 8
	v_bfe_i32 v135, v67, 8, 8
	;; [unrolled: 1-line block ×6, first 2 shown]
	v_dual_ashrrev_i32 v151, 24, v65 :: v_dual_bitop2_b32 v143, 15, v86 bitop3:0x40
	v_lshrrev_b32_e32 v156, 28, v87
	v_bfe_i32 v152, v65, 16, 8
	v_bfe_i32 v153, v65, 8, 8
	;; [unrolled: 1-line block ×3, first 2 shown]
	v_bfe_u32 v65, v87, 4, 4
	v_dual_lshrrev_b32 v160, 28, v91 :: v_dual_bitop2_b32 v163, 15, v94 bitop3:0x40
	v_bfe_u32 v162, v94, 20, 4
	v_bfe_u32 v164, v94, 8, 4
	;; [unrolled: 1-line block ×6, first 2 shown]
	v_dual_lshrrev_b32 v94, 28, v94 :: v_dual_bitop2_b32 v170, 15, v95 bitop3:0x40
	v_bfe_u32 v169, v95, 20, 4
	v_bfe_u32 v171, v95, 8, 4
	;; [unrolled: 1-line block ×6, first 2 shown]
	v_dual_lshrrev_b32 v95, 28, v95 :: v_dual_bitop2_b32 v176, 15, v96 bitop3:0x40
	v_bfe_u32 v180, v98, 24, 4
	v_and_b32_e32 v181, 0xf0f0f0f, v98
	v_bfe_u32 v185, v90, 8, 4
	v_bfe_u32 v187, v98, 16, 4
	s_wait_dscnt 0x0
	v_dual_lshrrev_b32 v208, 4, v100 :: v_dual_bitop2_b32 v188, 15, v98 bitop3:0x40
	v_bfe_u32 v189, v98, 20, 4
	v_bfe_u32 v98, v98, 4, 4
	;; [unrolled: 1-line block ×3, first 2 shown]
	v_and_b32_e32 v191, 0xf0f0f0f, v99
	v_bfe_u32 v194, v99, 16, 4
	v_dual_lshrrev_b32 v197, 28, v90 :: v_dual_bitop2_b32 v195, 15, v99 bitop3:0x40
	v_bfe_u32 v196, v90, 4, 4
	v_bfe_u32 v198, v90, 20, 4
	v_dual_lshrrev_b32 v209, 28, v100 :: v_dual_bitop2_b32 v199, 15, v91 bitop3:0x40
	v_bfe_u32 v200, v91, 8, 4
	v_bfe_u32 v203, v91, 4, 4
	;; [unrolled: 1-line block ×4, first 2 shown]
	v_dual_lshrrev_b32 v218, 4, v101 :: v_dual_bitop2_b32 v211, 15, v100 bitop3:0x40
	v_bfe_u32 v213, v96, 4, 4
	v_dual_lshrrev_b32 v214, 28, v96 :: v_dual_lshrrev_b32 v219, 28, v101
	v_bfe_u32 v216, v101, 24, 4
	v_and_b32_e32 v217, 0xf0f0f0f, v101
	v_mul_i32_i24_e32 v221, v142, v63
	v_bfe_u32 v222, v97, 8, 4
	v_dual_lshrrev_b32 v241, 28, v93 :: v_dual_bitop2_b32 v226, 15, v92 bitop3:0x40
	v_bfe_u32 v234, v101, 16, 4
	v_and_b32_e32 v235, 15, v101
	v_bfe_u32 v237, v97, 4, 4
	v_bfe_u32 v239, v93, 4, 4
	v_cvt_f32_f16_e32 v63, v103
	v_lshrrev_b32_e32 v103, 16, v103
	v_bfe_u32 v244, v101, 20, 4
	v_bfe_u32 v101, v101, 4, 4
	v_lshrrev_b16 v182, 8, v182
	v_mul_i32_i24_e32 v186, v115, v186
	v_pk_mul_lo_u16 v116, v116, v184
	v_bfe_u32 v107, v84, 16, 4
	v_bfe_u32 v108, v84, 24, 4
	v_pk_mul_f16 v102, v61, v102
	v_pk_mul_f16 v61, v61, v105
	v_bfe_u32 v105, v90, 16, 4
	v_bfe_u32 v158, v90, 24, 4
	v_mul_i32_i24_e32 v204, v119, v64
	v_mul_i32_i24_e32 v127, v118, v127
	;; [unrolled: 1-line block ×7, first 2 shown]
	v_cvt_f32_f16_e32 v64, v104
	v_lshrrev_b32_e32 v104, 16, v104
	v_lshrrev_b16 v181, 8, v181
	v_mul_i32_i24_e32 v163, v115, v163
	v_mul_i32_i24_e32 v167, v119, v167
	;; [unrolled: 1-line block ×7, first 2 shown]
	v_lshrrev_b16 v192, 8, v192
	v_mul_i32_i24_e32 v174, v125, v174
	v_mul_i32_i24_e32 v95, v123, v95
	v_mul_i32_i24_e32 v119, v119, v196
	v_mul_i32_i24_e32 v118, v118, v198
	v_mul_i32_i24_e32 v117, v117, v197
	v_mul_i32_i24_e32 v196, v66, v199
	v_mul_i32_i24_e32 v197, v122, v200
	v_mul_i32_i24_e32 v198, v125, v203
	v_mul_i32_i24_e32 v99, v125, v99
	v_mul_i32_i24_e32 v125, v123, v193
	v_lshrrev_b16 v199, 8, v208
	v_mul_i32_i24_e32 v176, v67, v176
	v_mul_i32_i24_e32 v200, v67, v211
	;; [unrolled: 1-line block ×7, first 2 shown]
	v_cvt_f32_f16_e32 v67, v103
	v_mul_i32_i24_e32 v103, v154, v239
	v_mul_i32_i24_e32 v101, v154, v101
	v_and_b32_e32 v154, 15, v182
	v_mad_i32_i24 v182, v112, v185, v186
	v_bfe_i32 v185, v116, 0, 16
	v_dual_ashrrev_i32 v116, 16, v116 :: v_dual_bitop2_b32 v186, 15, v199 bitop3:0x40
	v_bfe_u32 v84, v84, 12, 4
	v_mul_i32_i24_e32 v107, v114, v107
	v_mul_i32_i24_e32 v108, v113, v108
	v_bfe_i32 v106, v106, 0, 8
	v_bfe_u32 v90, v90, 12, 4
	v_mul_i32_i24_e32 v105, v114, v105
	v_mul_i32_i24_e32 v158, v113, v158
	;; [unrolled: 1-line block ×4, first 2 shown]
	v_mad_i32_i24 v163, v112, v164, v163
	v_and_b32_e32 v164, 0xffff, v181
	v_dual_add_nc_u32 v116, v116, v185 :: v_dual_bitop2_b32 v181, 15, v192 bitop3:0x40
	v_mul_i32_i24_e32 v168, v106, v168
	v_mul_i32_i24_e32 v84, v106, v84
	;; [unrolled: 1-line block ×3, first 2 shown]
	v_mad_i32_i24 v98, v188, v115, v98
	v_add3_u32 v115, v163, v165, v166
	v_add3_u32 v105, v182, v105, v158
	;; [unrolled: 1-line block ×3, first 2 shown]
	v_bfe_u32 v129, v85, 8, 4
	v_mad_i32_i24 v108, v180, v113, v183
	v_add3_u32 v113, v115, v168, v167
	v_add3_u32 v90, v105, v90, v119
	;; [unrolled: 1-line block ×3, first 2 shown]
	v_bfe_u32 v130, v85, 24, 4
	v_bfe_u32 v131, v85, 16, 4
	;; [unrolled: 1-line block ×4, first 2 shown]
	v_mul_i32_i24_e32 v128, v66, v128
	v_mul_i32_i24_e32 v129, v122, v129
	;; [unrolled: 1-line block ×4, first 2 shown]
	v_add3_u32 v94, v113, v162, v94
	v_add3_u32 v90, v90, v118, v117
	;; [unrolled: 1-line block ×3, first 2 shown]
	v_bfe_u32 v109, v85, 20, 4
	v_bfe_i32 v124, v88, 8, 8
	v_bfe_u32 v85, v85, 12, 4
	v_bfe_u32 v159, v91, 20, 4
	;; [unrolled: 1-line block ×3, first 2 shown]
	v_mul_i32_i24_e32 v131, v121, v131
	v_mul_i32_i24_e32 v130, v120, v130
	;; [unrolled: 1-line block ×8, first 2 shown]
	v_add3_u32 v94, v94, v171, v170
	v_add3_u32 v90, v90, v197, v196
	;; [unrolled: 1-line block ×3, first 2 shown]
	v_bfe_i32 v88, v88, 16, 8
	v_mul_i32_i24_e32 v85, v124, v85
	v_mul_i32_i24_e32 v175, v124, v175
	;; [unrolled: 1-line block ×3, first 2 shown]
	v_add3_u32 v94, v94, v172, v173
	v_add3_u32 v90, v90, v121, v120
	;; [unrolled: 1-line block ×3, first 2 shown]
	v_bfe_u32 v144, v86, 8, 4
	v_bfe_u32 v177, v96, 8, 4
	v_mul_i32_i24_e32 v109, v88, v109
	v_bfe_u32 v227, v92, 8, 4
	v_mul_i32_i24_e32 v159, v88, v159
	v_mul_i32_i24_e32 v169, v88, v169
	v_add3_u32 v94, v94, v174, v175
	v_add3_u32 v90, v90, v198, v91
	;; [unrolled: 1-line block ×3, first 2 shown]
	v_bfe_u32 v145, v86, 24, 4
	v_bfe_u32 v146, v86, 16, 4
	;; [unrolled: 1-line block ×8, first 2 shown]
	v_mul_i32_i24_e32 v144, v135, v144
	v_mul_i32_i24_e32 v177, v135, v177
	;; [unrolled: 1-line block ×3, first 2 shown]
	v_lshrrev_b16 v209, 8, v217
	v_mul_i32_i24_e32 v217, v135, v227
	v_add3_u32 v91, v94, v169, v95
	v_add3_u32 v90, v90, v159, v123
	;; [unrolled: 1-line block ×3, first 2 shown]
	v_bfe_u32 v147, v86, 4, 4
	v_bfe_u32 v148, v86, 12, 4
	v_and_b32_e32 v207, 0xf0f0f0f, v100
	v_bfe_u32 v212, v96, 12, 4
	v_bfe_u32 v215, v100, 20, 4
	;; [unrolled: 1-line block ×5, first 2 shown]
	v_mul_i32_i24_e32 v146, v134, v146
	v_mul_i32_i24_e32 v145, v133, v145
	v_lshrrev_b16 v191, 8, v191
	v_mul_i32_i24_e32 v178, v134, v178
	v_mul_i32_i24_e32 v179, v133, v179
	;; [unrolled: 1-line block ×6, first 2 shown]
	v_add3_u32 v91, v91, v177, v176
	v_add3_u32 v90, v90, v217, v160
	;; [unrolled: 1-line block ×3, first 2 shown]
	v_bfe_u32 v86, v86, 20, 4
	v_bfe_u32 v96, v96, 20, 4
	v_dual_lshrrev_b32 v232, 28, v92 :: v_dual_bitop2_b32 v220, 15, v93 bitop3:0x40
	v_bfe_u32 v92, v92, 20, 4
	v_mul_i32_i24_e32 v147, v89, v147
	v_mul_i32_i24_e32 v148, v138, v148
	;; [unrolled: 1-line block ×3, first 2 shown]
	v_lshrrev_b16 v193, 8, v207
	v_mul_i32_i24_e32 v205, v138, v212
	v_mul_i32_i24_e32 v100, v89, v100
	v_lshrrev_b16 v210, 8, v218
	v_mul_i32_i24_e32 v89, v89, v230
	v_mul_i32_i24_e32 v218, v138, v231
	v_and_b32_e32 v184, 0xffff, v191
	v_and_b32_e32 v105, 0xffff, v154
	v_add3_u32 v91, v91, v178, v179
	v_add3_u32 v90, v90, v134, v133
	;; [unrolled: 1-line block ×3, first 2 shown]
	v_bfe_u32 v150, v87, 8, 4
	v_dual_lshrrev_b32 v238, 28, v97 :: v_dual_bitop2_b32 v223, 15, v97 bitop3:0x40
	v_bfe_u32 v233, v93, 8, 4
	v_mul_i32_i24_e32 v86, v137, v86
	v_mul_i32_i24_e32 v149, v136, v149
	;; [unrolled: 1-line block ×6, first 2 shown]
	v_and_b32_e32 v191, 0xffff, v193
	v_mad_i32_i24 v114, v187, v114, v189
	v_mul_i32_i24_e32 v112, v164, v112
	v_mul_i32_i24_e32 v107, v122, v184
	v_and_b32_e32 v113, 0xffff, v181
	v_mul_i32_i24_e32 v94, v105, v106
	v_add3_u32 v91, v91, v203, v205
	v_add3_u32 v89, v90, v89, v218
	;; [unrolled: 1-line block ×3, first 2 shown]
	v_bfe_u32 v111, v87, 24, 4
	v_bfe_u32 v155, v87, 12, 4
	;; [unrolled: 1-line block ×7, first 2 shown]
	v_mul_i32_i24_e32 v150, v141, v150
	v_bfe_u32 v236, v97, 12, 4
	v_bfe_u32 v97, v97, 20, 4
	;; [unrolled: 1-line block ×4, first 2 shown]
	v_cvt_f32_f16_e32 v62, v102
	v_lshrrev_b32_e32 v102, 16, v102
	v_bfe_u32 v93, v93, 16, 4
	v_mul_i32_i24_e32 v195, v66, v195
	v_mul_i32_i24_e32 v207, v137, v215
	;; [unrolled: 1-line block ×5, first 2 shown]
	v_dual_add_nc_u32 v59, 4, v59 :: v_dual_bitop2_b32 v192, 15, v210 bitop3:0x40
	v_and_b32_e32 v193, 0xffff, v209
	v_mul_i32_i24_e32 v115, v135, v191
	v_and_b32_e32 v116, 0xffff, v186
	v_add3_u32 v108, v108, v190, v125
	v_add3_u32 v85, v114, v194, v88
	v_mul_i32_i24_e32 v95, v124, v113
	v_add3_u32 v90, v112, v94, v107
	v_add3_u32 v91, v91, v96, v206
	;; [unrolled: 1-line block ×4, first 2 shown]
	v_mul_i32_i24_e32 v87, v140, v87
	v_mul_i32_i24_e32 v111, v139, v111
	v_mul_i32_i24_e32 v157, v152, v157
	v_mul_i32_i24_e32 v156, v151, v156
	v_cvt_f32_f16_e32 v65, v61
	v_lshrrev_b32_e32 v61, 16, v61
	v_mul_i32_i24_e32 v214, v140, v225
	v_mul_i32_i24_e32 v215, v139, v224
	;; [unrolled: 1-line block ×6, first 2 shown]
	v_cvt_f32_f16_e32 v66, v102
	v_mul_i32_i24_e32 v93, v140, v93
	v_mul_i32_i24_e32 v102, v139, v161
	;; [unrolled: 1-line block ×7, first 2 shown]
	v_and_b32_e32 v118, 0xffff, v192
	v_add3_u32 v88, v98, v195, v99
	v_mul_i32_i24_e32 v98, v138, v116
	v_add3_u32 v105, v108, v202, v208
	v_add3_u32 v85, v85, v201, v207
	;; [unrolled: 1-line block ×6, first 2 shown]
	v_mul_i32_i24_e32 v155, v153, v155
	v_mul_i32_i24_e32 v142, v142, v235
	;; [unrolled: 1-line block ×5, first 2 shown]
	v_add3_u32 v88, v88, v200, v100
	v_add3_u32 v86, v105, v216, v151
	;; [unrolled: 1-line block ×12, first 2 shown]
	v_cvt_f32_f16_e32 v85, v61
	v_add3_u32 v61, v87, v92, v86
	v_add3_u32 v86, v88, v97, v224
	;; [unrolled: 1-line block ×4, first 2 shown]
	v_cvt_f32_f16_e32 v84, v104
	v_cvt_f32_i32_e32 v87, v61
	v_cvt_f32_i32_e32 v86, v86
	;; [unrolled: 1-line block ×4, first 2 shown]
	v_add_nc_u32_e32 v54, 4, v54
	s_add_co_i32 s1, s1, 4
	v_pk_fma_f32 v[64:65], v[64:65], v[86:87], v[84:85]
	s_cmp_lt_u32 s1, 28
	v_pk_fma_f32 v[62:63], v[62:63], v[88:89], v[66:67]
	s_delay_alu instid0(VALU_DEP_2) | instskip(NEXT) | instid1(VALU_DEP_2)
	v_pk_add_f32 v[0:1], v[0:1], v[64:65]
	v_pk_add_f32 v[20:21], v[20:21], v[62:63]
	s_cbranch_scc1 .LBB199_19
; %bb.20:                               ;   in Loop: Header=BB199_5 Depth=1
	s_barrier_signal -1
	s_barrier_wait -1
	s_branch .LBB199_4
.LBB199_21:
	v_mov_b32_e32 v20, 0
	s_delay_alu instid0(VALU_DEP_1)
	v_dual_mov_b32 v21, v20 :: v_dual_mov_b32 v0, v20
	v_mov_b32_e32 v1, v20
.LBB199_22:
	s_mul_i32 s0, s7, s4
	s_wait_loadcnt 0x0
	v_cmp_gt_i32_e32 vcc_lo, s0, v3
	s_wait_xcnt 0x0
	s_and_saveexec_b32 s0, vcc_lo
	s_cbranch_execz .LBB199_31
; %bb.23:
	v_mul_lo_u32 v2, v3, s6
	v_add_nc_u32_e32 v3, s18, v5
	s_mov_b32 s0, exec_lo
	s_delay_alu instid0(VALU_DEP_1)
	v_cmpx_gt_u32_e64 s6, v3
	s_cbranch_execz .LBB199_25
; %bb.24:
	s_delay_alu instid0(VALU_DEP_3)
	v_add_nc_u32_e32 v4, v2, v3
	v_cvt_f16_f32_e32 v5, v20
	global_store_b16 v4, v5, s[8:9] scale_offset
.LBB199_25:
	s_wait_xcnt 0x0
	s_or_b32 exec_lo, exec_lo, s0
	v_add_nc_u32_e32 v4, 32, v3
	s_mov_b32 s0, exec_lo
	s_delay_alu instid0(VALU_DEP_1)
	v_cmpx_gt_u32_e64 s6, v4
	s_cbranch_execz .LBB199_27
; %bb.26:
	v_add_nc_u32_e32 v4, v2, v4
	v_cvt_f16_f32_e32 v5, v21
	global_store_b16 v4, v5, s[8:9] scale_offset
.LBB199_27:
	s_wait_xcnt 0x0
	s_or_b32 exec_lo, exec_lo, s0
	v_add_nc_u32_e32 v4, 64, v3
	s_mov_b32 s0, exec_lo
	s_delay_alu instid0(VALU_DEP_1)
	v_cmpx_gt_u32_e64 s6, v4
	s_cbranch_execz .LBB199_29
; %bb.28:
	v_add_nc_u32_e32 v4, v2, v4
	v_cvt_f16_f32_e32 v0, v0
	global_store_b16 v4, v0, s[8:9] scale_offset
.LBB199_29:
	s_wait_xcnt 0x0
	s_or_b32 exec_lo, exec_lo, s0
	v_add_nc_u32_e32 v0, 0x60, v3
	s_delay_alu instid0(VALU_DEP_1)
	v_cmp_gt_u32_e32 vcc_lo, s6, v0
	s_and_b32 exec_lo, exec_lo, vcc_lo
	s_cbranch_execz .LBB199_31
; %bb.30:
	v_add_nc_u32_e32 v0, v2, v0
	v_cvt_f16_f32_e32 v1, v1
	global_store_b16 v0, v1, s[8:9] scale_offset
.LBB199_31:
	s_sendmsg sendmsg(MSG_DEALLOC_VGPRS)
	s_endpgm
	.section	.rodata,"a",@progbits
	.p2align	6, 0x0
	.amdhsa_kernel _ZL8moe_q4_1IN3c104HalfELb0EEvPKvS3_PT_PKiS7_S7_iiiiiii
		.amdhsa_group_segment_fixed_size 22272
		.amdhsa_private_segment_fixed_size 0
		.amdhsa_kernarg_size 76
		.amdhsa_user_sgpr_count 2
		.amdhsa_user_sgpr_dispatch_ptr 0
		.amdhsa_user_sgpr_queue_ptr 0
		.amdhsa_user_sgpr_kernarg_segment_ptr 1
		.amdhsa_user_sgpr_dispatch_id 0
		.amdhsa_user_sgpr_kernarg_preload_length 0
		.amdhsa_user_sgpr_kernarg_preload_offset 0
		.amdhsa_user_sgpr_private_segment_size 0
		.amdhsa_wavefront_size32 1
		.amdhsa_uses_dynamic_stack 0
		.amdhsa_enable_private_segment 0
		.amdhsa_system_sgpr_workgroup_id_x 1
		.amdhsa_system_sgpr_workgroup_id_y 1
		.amdhsa_system_sgpr_workgroup_id_z 0
		.amdhsa_system_sgpr_workgroup_info 0
		.amdhsa_system_vgpr_workitem_id 1
		.amdhsa_next_free_vgpr 246
		.amdhsa_next_free_sgpr 22
		.amdhsa_named_barrier_count 0
		.amdhsa_reserve_vcc 1
		.amdhsa_float_round_mode_32 0
		.amdhsa_float_round_mode_16_64 0
		.amdhsa_float_denorm_mode_32 3
		.amdhsa_float_denorm_mode_16_64 3
		.amdhsa_fp16_overflow 0
		.amdhsa_memory_ordered 1
		.amdhsa_forward_progress 1
		.amdhsa_inst_pref_size 65
		.amdhsa_round_robin_scheduling 0
		.amdhsa_exception_fp_ieee_invalid_op 0
		.amdhsa_exception_fp_denorm_src 0
		.amdhsa_exception_fp_ieee_div_zero 0
		.amdhsa_exception_fp_ieee_overflow 0
		.amdhsa_exception_fp_ieee_underflow 0
		.amdhsa_exception_fp_ieee_inexact 0
		.amdhsa_exception_int_div_zero 0
	.end_amdhsa_kernel
	.section	.text._ZL8moe_q4_1IN3c104HalfELb0EEvPKvS3_PT_PKiS7_S7_iiiiiii,"axG",@progbits,_ZL8moe_q4_1IN3c104HalfELb0EEvPKvS3_PT_PKiS7_S7_iiiiiii,comdat
.Lfunc_end199:
	.size	_ZL8moe_q4_1IN3c104HalfELb0EEvPKvS3_PT_PKiS7_S7_iiiiiii, .Lfunc_end199-_ZL8moe_q4_1IN3c104HalfELb0EEvPKvS3_PT_PKiS7_S7_iiiiiii
                                        ; -- End function
	.set _ZL8moe_q4_1IN3c104HalfELb0EEvPKvS3_PT_PKiS7_S7_iiiiiii.num_vgpr, 246
	.set _ZL8moe_q4_1IN3c104HalfELb0EEvPKvS3_PT_PKiS7_S7_iiiiiii.num_agpr, 0
	.set _ZL8moe_q4_1IN3c104HalfELb0EEvPKvS3_PT_PKiS7_S7_iiiiiii.numbered_sgpr, 22
	.set _ZL8moe_q4_1IN3c104HalfELb0EEvPKvS3_PT_PKiS7_S7_iiiiiii.num_named_barrier, 0
	.set _ZL8moe_q4_1IN3c104HalfELb0EEvPKvS3_PT_PKiS7_S7_iiiiiii.private_seg_size, 0
	.set _ZL8moe_q4_1IN3c104HalfELb0EEvPKvS3_PT_PKiS7_S7_iiiiiii.uses_vcc, 1
	.set _ZL8moe_q4_1IN3c104HalfELb0EEvPKvS3_PT_PKiS7_S7_iiiiiii.uses_flat_scratch, 0
	.set _ZL8moe_q4_1IN3c104HalfELb0EEvPKvS3_PT_PKiS7_S7_iiiiiii.has_dyn_sized_stack, 0
	.set _ZL8moe_q4_1IN3c104HalfELb0EEvPKvS3_PT_PKiS7_S7_iiiiiii.has_recursion, 0
	.set _ZL8moe_q4_1IN3c104HalfELb0EEvPKvS3_PT_PKiS7_S7_iiiiiii.has_indirect_call, 0
	.section	.AMDGPU.csdata,"",@progbits
; Kernel info:
; codeLenInByte = 8276
; TotalNumSgprs: 24
; NumVgprs: 246
; ScratchSize: 0
; MemoryBound: 0
; FloatMode: 240
; IeeeMode: 1
; LDSByteSize: 22272 bytes/workgroup (compile time only)
; SGPRBlocks: 0
; VGPRBlocks: 15
; NumSGPRsForWavesPerEU: 24
; NumVGPRsForWavesPerEU: 246
; NamedBarCnt: 0
; Occupancy: 4
; WaveLimiterHint : 1
; COMPUTE_PGM_RSRC2:SCRATCH_EN: 0
; COMPUTE_PGM_RSRC2:USER_SGPR: 2
; COMPUTE_PGM_RSRC2:TRAP_HANDLER: 0
; COMPUTE_PGM_RSRC2:TGID_X_EN: 1
; COMPUTE_PGM_RSRC2:TGID_Y_EN: 1
; COMPUTE_PGM_RSRC2:TGID_Z_EN: 0
; COMPUTE_PGM_RSRC2:TIDIG_COMP_CNT: 1
	.section	.text._ZL8moe_q4_1IN3c104HalfELb1EEvPKvS3_PT_PKiS7_S7_iiiiiii,"axG",@progbits,_ZL8moe_q4_1IN3c104HalfELb1EEvPKvS3_PT_PKiS7_S7_iiiiiii,comdat
	.globl	_ZL8moe_q4_1IN3c104HalfELb1EEvPKvS3_PT_PKiS7_S7_iiiiiii ; -- Begin function _ZL8moe_q4_1IN3c104HalfELb1EEvPKvS3_PT_PKiS7_S7_iiiiiii
	.p2align	8
	.type	_ZL8moe_q4_1IN3c104HalfELb1EEvPKvS3_PT_PKiS7_S7_iiiiiii,@function
_ZL8moe_q4_1IN3c104HalfELb1EEvPKvS3_PT_PKiS7_S7_iiiiiii: ; @_ZL8moe_q4_1IN3c104HalfELb1EEvPKvS3_PT_PKiS7_S7_iiiiiii
; %bb.0:
	s_load_b128 s[4:7], s[0:1], 0x18
	s_bfe_u32 s2, ttmp6, 0x40010
	s_bfe_u32 s8, ttmp6, 0x40004
	s_add_co_i32 s2, s2, 1
	s_delay_alu instid0(SALU_CYCLE_1)
	s_mul_i32 s3, ttmp7, s2
	s_getreg_b32 s2, hwreg(HW_REG_IB_STS2, 6, 4)
	s_add_co_i32 s8, s8, s3
	s_cmp_eq_u32 s2, 0
	s_cselect_b32 s3, ttmp7, s8
	s_wait_kmcnt 0x0
	s_load_b32 s14, s[6:7], s3 offset:0x0 scale_offset
	s_wait_kmcnt 0x0
	s_cmp_gt_u32 s14, 0xff
	s_cbranch_scc1 .LBB200_31
; %bb.1:
	s_load_b64 s[6:7], s[0:1], 0x28
	s_lshl_b32 s3, s3, 3
	s_wait_kmcnt 0x0
	s_load_b32 s6, s[6:7], 0x0
	s_wait_kmcnt 0x0
	s_cmp_gt_u32 s3, s6
	s_cbranch_scc1 .LBB200_31
; %bb.2:
	v_bfe_u32 v6, v0, 10, 10
	s_and_b32 s11, ttmp6, 15
	v_and_b32_e32 v5, 0x3ff, v0
	s_mov_b32 s15, 0
	s_delay_alu instid0(VALU_DEP_2) | instskip(SKIP_1) | instid1(SALU_CYCLE_1)
	v_add_nc_u32_e32 v1, s3, v6
	s_bfe_u32 s3, ttmp6, 0x4000c
	s_add_co_i32 s3, s3, 1
	s_delay_alu instid0(SALU_CYCLE_1)
	s_mul_i32 s3, ttmp9, s3
	global_load_b32 v1, v1, s[4:5] scale_offset
	s_wait_xcnt 0x0
	s_clause 0x2
	s_load_b128 s[4:7], s[0:1], 0x30
	s_load_b64 s[12:13], s[0:1], 0x10
	s_load_b96 s[8:10], s[0:1], 0x40
	s_add_co_i32 s11, s11, s3
	s_cmp_eq_u32 s2, 0
	s_cselect_b32 s2, ttmp9, s11
	s_delay_alu instid0(SALU_CYCLE_1)
	s_lshl_b32 s11, s2, 7
	s_wait_kmcnt 0x0
	s_cmp_lt_i32 s5, 32
	s_cbranch_scc1 .LBB200_21
; %bb.3:
	s_load_b128 s[0:3], s[0:1], 0x0
	s_mul_i32 s18, s14, s4
	v_bfe_u32 v31, v0, 3, 7
	s_ashr_i32 s19, s18, 31
	s_not_b32 s4, s11
	v_dual_mov_b32 v3, 0 :: v_dual_lshlrev_b32 v7, 2, v5
	s_delay_alu instid0(VALU_DEP_2)
	v_lshl_add_u32 v8, v6, 2, v31
	s_add_co_i32 s20, s6, s4
	s_ashr_i32 s16, s5, 31
	s_ashr_i32 s17, s8, 31
	s_lshr_b32 s14, s16, 27
	v_min_i32_e32 v46, s20, v8
	s_lshr_b32 s16, s17, 27
	v_min_i32_e32 v14, s20, v6
	v_and_b32_e32 v2, 12, v7
	s_add_co_i32 s6, s8, s16
	v_ashrrev_i32_e32 v9, 31, v46
	v_add_min_i32_e64 v48, v8, 32, s20
	v_add_min_i32_e64 v50, v8, 64, s20
	s_wait_kmcnt 0x0
	s_add_nc_u64 s[18:19], s[0:1], s[18:19]
	s_abs_i32 s0, s10
	v_add_min_i32_e64 v52, 0x60, v8, s20
	s_cvt_f32_u32 s1, s0
	s_sub_co_i32 s8, 0, s0
	v_and_b32_e32 v57, 0xfc, v0
	s_ashr_i32 s6, s6, 5
	v_rcp_iflag_f32_e32 v4, s1
	v_add_min_i32_e64 v16, v6, 8, s20
	v_add_min_i32_e64 v18, v6, 16, s20
	;; [unrolled: 1-line block ×6, first 2 shown]
	v_readfirstlane_b32 s1, v4
	s_wait_loadcnt 0x0
	v_sub_nc_u32_e32 v4, 0, v1
	v_add_min_i32_e64 v28, v6, 56, s20
	v_add_min_i32_e64 v30, v6, 64, s20
	;; [unrolled: 1-line block ×3, first 2 shown]
	s_mul_f32 s1, s1, 0x4f7ffffe
	v_dual_lshrrev_b32 v4, 30, v9 :: v_dual_max_i32 v10, v1, v4
	v_add_min_i32_e64 v34, 0x50, v6, s20
	s_delay_alu instid0(SALU_CYCLE_1)
	s_cvt_u32_f32 s1, s1
	v_lshlrev_b32_e32 v51, 5, v46
	v_add_min_i32_e64 v36, 0x58, v6, s20
	v_add_nc_u32_e32 v11, v46, v4
	s_mul_i32 s8, s8, s1
	v_ashrrev_i32_e32 v12, 31, v48
	s_mul_hi_u32 s8, s1, s8
	v_and_b32_e32 v4, 7, v0
	s_add_co_i32 s1, s1, s8
	v_and_b32_e32 v11, -4, v11
	v_mul_hi_u32 v9, v10, s1
	s_delay_alu instid0(VALU_DEP_3)
	v_dual_ashrrev_i32 v8, 31, v50 :: v_dual_lshlrev_b32 v49, 2, v4
	v_add_min_i32_e64 v38, 0x60, v6, s20
	v_add_min_i32_e64 v40, 0x68, v6, s20
	;; [unrolled: 1-line block ×4, first 2 shown]
	v_add3_u32 v11, v11, v49, 0x4200
	s_add_co_i32 s4, s5, s14
	v_mad_u32 v15, 0x84, v14, v7
	s_ashr_i32 s4, s4, 5
	v_mul_lo_u32 v13, v9, s0
	v_lshrrev_b32_e32 v12, 30, v12
	v_mad_u32 v17, 0x84, v16, v7
	v_mad_u32 v19, 0x84, v18, v7
	;; [unrolled: 1-line block ×9, first 2 shown]
	v_dual_sub_nc_u32 v10, v10, v13 :: v_dual_add_nc_u32 v12, v48, v12
	v_add_nc_u32_e32 v13, 1, v9
	v_mad_u32 v37, 0x84, v34, v7
	v_mad_u32 v39, 0x84, v36, v7
	s_delay_alu instid0(VALU_DEP_4)
	v_subrev_nc_u32_e32 v54, s0, v10
	v_cmp_le_u32_e32 vcc_lo, s0, v10
	v_ashrrev_i32_e32 v53, 31, v52
	v_and_b32_e32 v12, -4, v12
	v_mad_u32 v41, 0x84, v38, v7
	v_mad_u32 v43, 0x84, v40, v7
	v_dual_cndmask_b32 v10, v10, v54, vcc_lo :: v_dual_lshrrev_b32 v8, 30, v8
	v_cndmask_b32_e32 v9, v9, v13, vcc_lo
	v_lshrrev_b32_e32 v13, 30, v53
	v_xor_b32_e32 v53, s10, v1
	s_delay_alu instid0(VALU_DEP_4) | instskip(NEXT) | instid1(VALU_DEP_4)
	v_cmp_le_u32_e32 vcc_lo, s0, v10
	v_dual_add_nc_u32 v8, v50, v8 :: v_dual_add_nc_u32 v54, 1, v9
	v_add3_u32 v12, v12, v49, 0x4200
	s_delay_alu instid0(VALU_DEP_4) | instskip(SKIP_1) | instid1(VALU_DEP_4)
	v_ashrrev_i32_e32 v53, 31, v53
	v_mad_u32 v45, 0x84, v42, v7
	v_dual_add_nc_u32 v13, v52, v13 :: v_dual_bitop2_b32 v8, -4, v8 bitop3:0x40
	v_cndmask_b32_e32 v9, v9, v54, vcc_lo
	v_lshlrev_b32_e32 v58, 5, v50
	v_mad_u32 v47, 0x84, v44, v7
	s_delay_alu instid0(VALU_DEP_4) | instskip(SKIP_4) | instid1(VALU_DEP_4)
	v_add3_u32 v8, v8, v49, 0x4200
	v_dual_lshlrev_b32 v13, 5, v48 :: v_dual_bitop2_b32 v10, -4, v13 bitop3:0x40
	v_xor_b32_e32 v9, v9, v53
	v_add_nc_u32_e32 v55, 32, v5
	v_mul_lo_u32 v14, v14, s4
	v_add3_u32 v54, v10, v49, 0x4200
	v_add_nc_u32_e32 v10, 0x60, v5
	v_add_nc_u32_e32 v49, 64, v5
	v_mul_lo_u32 v16, v16, s4
	v_mul_lo_u32 v18, v18, s4
	;; [unrolled: 1-line block ×3, first 2 shown]
	v_and_b32_e32 v10, 0x1fc, v10
	v_sub_nc_u32_e32 v56, v9, v53
	v_lshlrev_b32_e32 v9, 5, v5
	v_and_b32_e32 v49, 0x1fc, v49
	v_and_b32_e32 v53, 0x1fc, v55
	v_mul_lo_u32 v22, v22, s4
	v_mul_lo_u32 v24, v24, s4
	;; [unrolled: 1-line block ×3, first 2 shown]
	v_dual_add_nc_u32 v60, v9, v49 :: v_dual_add_nc_u32 v49, v11, v51
	v_dual_add_nc_u32 v59, v9, v10 :: v_dual_bitop2_b32 v11, 31, v0 bitop3:0x40
	v_dual_add_nc_u32 v61, v9, v53 :: v_dual_add_nc_u32 v53, v8, v58
	v_dual_add_nc_u32 v57, v9, v57 :: v_dual_bitop2_b32 v8, 28, v7 bitop3:0x40
	v_lshlrev_b32_e32 v9, 5, v52
	v_mul_lo_u32 v10, v56, s6
	v_mul_lo_u32 v28, v28, s4
	;; [unrolled: 1-line block ×4, first 2 shown]
	v_dual_add_nc_u32 v68, v54, v9 :: v_dual_lshrrev_b32 v73, 3, v55
	v_mov_b32_e32 v9, v3
	v_mul_lo_u32 v34, v34, s4
	v_mul_lo_u32 v36, v36, s4
	;; [unrolled: 1-line block ×10, first 2 shown]
	v_lshl_add_u32 v69, v6, 7, 0x5280
	v_lshl_add_u32 v70, v6, 4, 0x5680
	s_mul_i32 s16, s4, s11
	v_add_nc_u32_e32 v51, v12, v13
	v_cmp_gt_u32_e32 vcc_lo, 4, v5
	v_cmp_gt_i32_e64 s0, s7, v56
	v_add_nc_u64_e32 v[12:13], s[2:3], v[8:9]
	s_ashr_i32 s17, s16, 31
	v_lshl_or_b32 v71, v11, 2, v69
	v_dual_add_nc_u32 v72, v70, v7 :: v_dual_ashrrev_i32 v11, 31, v10
	v_mov_b32_e32 v6, v3
	v_dual_mov_b32 v7, v3 :: v_dual_add_nc_u32 v74, 0x4e00, v59
	v_dual_mov_b32 v8, v3 :: v_dual_add_nc_u32 v75, 0x4e10, v59
	v_add_nc_u32_e32 v76, 0x4a00, v60
	v_add_nc_u32_e32 v77, 0x4a10, v60
	;; [unrolled: 1-line block ×6, first 2 shown]
	v_bfe_u32 v0, v0, 2, 8
	v_mul_u32_u24_e32 v82, 0x84, v5
	v_mad_u32_u24 v83, 0x84, v5, 64
	s_mul_u64 s[16:17], s[16:17], 20
	s_and_b32 s8, vcc_lo, s0
	s_add_nc_u64 s[16:17], s[18:19], s[16:17]
	s_mov_b32 s14, s15
	s_branch .LBB200_5
.LBB200_4:                              ;   in Loop: Header=BB200_5 Depth=1
	s_add_co_i32 s14, s14, 8
	s_delay_alu instid0(SALU_CYCLE_1)
	s_cmp_ge_i32 s14, s4
	s_cbranch_scc1 .LBB200_22
.LBB200_5:                              ; =>This Loop Header: Depth=1
                                        ;     Child Loop BB200_11 Depth 2
                                        ;     Child Loop BB200_19 Depth 2
	s_mul_u64 s[18:19], s[14:15], 20
	s_delay_alu instid0(SALU_CYCLE_1)
	s_add_nc_u64 s[18:19], s[16:17], s[18:19]
	s_wait_xcnt 0x4
	v_mad_nc_u64_u32 v[54:55], v0, 20, s[18:19]
	s_wait_xcnt 0x0
	v_mad_nc_u64_u32 v[56:57], v4, 20, s[18:19]
	s_lshl_b32 s18, s14, 5
	s_delay_alu instid0(SALU_CYCLE_1) | instskip(NEXT) | instid1(VALU_DEP_2)
	s_cmp_lt_i32 s18, s5
	v_mad_nc_i64_i32 v[58:59], v14, 20, v[54:55]
	v_mad_nc_i64_i32 v[60:61], v16, 20, v[54:55]
	;; [unrolled: 1-line block ×13, first 2 shown]
	v_add_nc_u64_e32 v[58:59], v[58:59], v[2:3]
	v_mad_nc_i64_i32 v[100:101], v40, 20, v[54:55]
	v_add_nc_u64_e32 v[60:61], v[60:61], v[2:3]
	v_mad_nc_i64_i32 v[102:103], v42, 20, v[54:55]
	v_add_nc_u64_e32 v[62:63], v[62:63], v[2:3]
	v_mad_nc_i64_i32 v[54:55], v44, 20, v[54:55]
	v_add_nc_u64_e32 v[64:65], v[64:65], v[2:3]
	v_add_nc_u64_e32 v[66:67], v[66:67], v[2:3]
	;; [unrolled: 1-line block ×5, first 2 shown]
	s_clause 0x7
	global_load_b32 v104, v[58:59], off offset:4
	global_load_b32 v105, v[60:61], off offset:4
	;; [unrolled: 1-line block ×8, first 2 shown]
	s_wait_xcnt 0x7
	v_add_nc_u64_e32 v[58:59], v[90:91], v[2:3]
	s_wait_xcnt 0x6
	v_add_nc_u64_e32 v[60:61], v[92:93], v[2:3]
	;; [unrolled: 2-line block ×5, first 2 shown]
	s_wait_xcnt 0x0
	v_mad_nc_i64_i32 v[88:89], v46, 20, v[56:57]
	v_add_nc_u64_e32 v[84:85], v[100:101], v[2:3]
	v_mad_nc_i64_i32 v[90:91], v48, 20, v[56:57]
	v_add_nc_u64_e32 v[86:87], v[102:103], v[2:3]
	;; [unrolled: 2-line block ×3, first 2 shown]
	v_mad_nc_i64_i32 v[56:57], v52, 20, v[56:57]
	s_clause 0xb
	global_load_b32 v94, v[58:59], off offset:4
	global_load_b32 v95, v[60:61], off offset:4
	;; [unrolled: 1-line block ×8, first 2 shown]
	global_load_b32 v102, v[88:89], off
	global_load_b32 v103, v[90:91], off
	;; [unrolled: 1-line block ×4, first 2 shown]
	s_wait_loadcnt 0x13
	ds_store_b32 v15, v104
	s_wait_loadcnt 0x12
	ds_store_b32 v17, v105
	s_wait_loadcnt 0x11
	ds_store_b32 v19, v106
	s_wait_loadcnt 0x10
	ds_store_b32 v21, v107
	s_wait_loadcnt 0xf
	ds_store_b32 v23, v108
	s_wait_loadcnt 0xe
	ds_store_b32 v25, v109
	s_wait_loadcnt 0xd
	ds_store_b32 v27, v110
	s_wait_loadcnt 0xc
	ds_store_b32 v29, v111
	s_wait_loadcnt 0xb
	ds_store_b32 v33, v94
	s_wait_loadcnt 0xa
	ds_store_b32 v35, v95
	s_wait_loadcnt 0x9
	ds_store_b32 v37, v96
	s_wait_loadcnt 0x8
	ds_store_b32 v39, v97
	s_wait_loadcnt 0x7
	ds_store_b32 v41, v98
	s_wait_loadcnt 0x6
	ds_store_b32 v43, v99
	s_wait_loadcnt 0x5
	ds_store_b32 v45, v100
	s_wait_loadcnt 0x4
	ds_store_b32 v47, v101
	s_wait_loadcnt 0x3
	ds_store_b32 v49, v102
	s_wait_loadcnt 0x2
	ds_store_b32 v51, v103
	s_wait_loadcnt 0x1
	ds_store_b32 v53, v112
	s_wait_loadcnt 0x0
	ds_store_b32 v68, v113
	s_cbranch_scc0 .LBB200_4
; %bb.6:                                ;   in Loop: Header=BB200_5 Depth=1
	s_wait_xcnt 0x4
	v_add_nc_u32_e32 v54, s14, v31
	s_delay_alu instid0(VALU_DEP_1)
	v_cmp_gt_i32_e64 s1, s6, v54
	s_and_b32 s19, s0, s1
	s_wait_xcnt 0x0
	s_and_saveexec_b32 s1, s19
	s_cbranch_execz .LBB200_8
; %bb.7:                                ;   in Loop: Header=BB200_5 Depth=1
	v_add_nc_u32_e32 v54, v10, v54
	s_delay_alu instid0(VALU_DEP_1)
	v_mad_nc_i64_i32 v[54:55], v54, 36, v[12:13]
	global_load_b32 v54, v[54:55], off offset:4
	s_wait_loadcnt 0x0
	ds_store_b32 v71, v54
.LBB200_8:                              ;   in Loop: Header=BB200_5 Depth=1
	s_or_b32 exec_lo, exec_lo, s1
	v_add_nc_u32_e32 v54, s14, v5
	s_delay_alu instid0(VALU_DEP_1) | instskip(SKIP_1) | instid1(SALU_CYCLE_1)
	v_cmp_gt_i32_e64 s1, s6, v54
	s_and_b32 s19, s8, s1
	s_and_saveexec_b32 s1, s19
	s_cbranch_execz .LBB200_10
; %bb.9:                                ;   in Loop: Header=BB200_5 Depth=1
	v_add_nc_u32_e32 v55, v10, v54
	s_delay_alu instid0(VALU_DEP_1)
	v_mad_nc_i64_i32 v[56:57], v55, 36, s[2:3]
	global_load_b32 v55, v[56:57], off
	s_wait_loadcnt 0x0
	ds_store_b32 v72, v55
.LBB200_10:                             ;   in Loop: Header=BB200_5 Depth=1
	s_or_b32 exec_lo, exec_lo, s1
	v_dual_mov_b32 v55, v69 :: v_dual_mov_b32 v84, v70
	v_dual_mov_b32 v85, v80 :: v_dual_mov_b32 v86, v78
	;; [unrolled: 1-line block ×3, first 2 shown]
	v_mov_b32_e32 v89, v82
	s_mov_b32 s1, -4
	s_wait_dscnt 0x0
	s_barrier_signal -1
	s_barrier_wait -1
.LBB200_11:                             ;   Parent Loop BB200_5 Depth=1
                                        ; =>  This Inner Loop Header: Depth=2
	v_add_nc_u32_e32 v90, 0x1080, v89
	v_add_nc_u32_e32 v92, 0x1088, v89
	ds_load_2addr_b32 v[56:57], v55 offset0:4 offset1:7
	ds_load_2addr_b32 v[64:65], v89 offset1:1
	ds_load_2addr_b32 v[60:61], v55 offset1:3
	ds_load_2addr_b32 v[58:59], v89 offset0:2 offset1:3
	ds_load_2addr_b32 v[66:67], v55 offset0:1 offset1:2
	;; [unrolled: 1-line block ×3, first 2 shown]
	v_add_nc_u32_e32 v94, 0x2100, v89
	v_add_nc_u32_e32 v96, 0x2108, v89
	;; [unrolled: 1-line block ×4, first 2 shown]
	ds_load_b32 v102, v88
	ds_load_b32 v103, v84
	;; [unrolled: 1-line block ×5, first 2 shown]
	ds_load_2addr_b32 v[90:91], v90 offset1:1
	ds_load_2addr_b32 v[92:93], v92 offset1:1
	;; [unrolled: 1-line block ×6, first 2 shown]
	v_add_nc_u32_e32 v89, 16, v89
	v_dual_add_nc_u32 v85, 4, v85 :: v_dual_add_nc_u32 v84, 4, v84
	v_add_nc_u32_e32 v55, 32, v55
	s_add_co_i32 s1, s1, 4
	v_add_nc_u32_e32 v88, 4, v88
	s_cmp_lt_u32 s1, 12
	v_add_nc_u32_e32 v87, 4, v87
	s_wait_dscnt 0x10
	v_lshrrev_b16 v107, 8, v56
	s_wait_dscnt 0xf
	v_lshrrev_b32_e32 v111, 28, v65
	s_wait_dscnt 0xe
	v_lshrrev_b16 v113, 8, v60
	v_ashrrev_i32_e32 v114, 24, v60
	v_bfe_i32 v115, v60, 16, 8
	v_bfe_i32 v116, v60, 0, 8
	v_dual_lshrrev_b32 v60, 8, v64 :: v_dual_bitop2_b32 v117, 15, v64 bitop3:0x40
	s_wait_dscnt 0xc
	v_dual_ashrrev_i32 v121, 24, v66 :: v_dual_ashrrev_i32 v118, 24, v56
	s_wait_dscnt 0xb
	v_ashrrev_i32_e32 v124, 24, v62
	v_bfe_i32 v119, v56, 16, 8
	v_bfe_i32 v120, v56, 0, 8
	v_bfe_u32 v56, v64, 4, 4
	v_bfe_i32 v113, v113, 0, 8
	s_wait_dscnt 0x1
	v_bfe_u32 v175, v98, 4, 4
	v_bfe_u32 v179, v94, 4, 4
	v_bfe_i32 v107, v107, 0, 8
	v_bfe_u32 v181, v90, 4, 4
	v_bfe_u32 v182, v90, 12, 4
	;; [unrolled: 1-line block ×3, first 2 shown]
	v_and_b32_e32 v60, 15, v60
	v_dual_lshrrev_b32 v171, 28, v99 :: v_dual_bitop2_b32 v161, 15, v94 bitop3:0x40
	v_and_b32_e32 v166, 15, v90
	v_and_b32_e32 v185, 15, v95
	v_bfe_u32 v186, v95, 8, 4
	v_bfe_u32 v187, v95, 20, 4
	v_mul_i32_i24_e32 v189, v120, v56
	v_bfe_u32 v191, v95, 16, 4
	v_bfe_u32 v192, v95, 24, 4
	;; [unrolled: 1-line block ×4, first 2 shown]
	v_lshrrev_b32_e32 v95, 28, v95
	v_mul_i32_i24_e32 v175, v175, v120
	v_mul_i32_i24_e32 v179, v120, v179
	;; [unrolled: 1-line block ×5, first 2 shown]
	v_perm_b32 v117, v60, v117, 0x5040100
	v_perm_b32 v183, v113, v116, 0x5040100
	v_dual_ashrrev_i32 v137, 24, v63 :: v_dual_bitop2_b32 v144, 15, v58 bitop3:0x40
	v_bfe_i32 v138, v63, 16, 8
	v_dual_lshrrev_b32 v150, 28, v58 :: v_dual_bitop2_b32 v143, 15, v59 bitop3:0x40
	v_bfe_u32 v145, v58, 8, 4
	v_bfe_u32 v146, v58, 24, 4
	;; [unrolled: 1-line block ×6, first 2 shown]
	v_pk_mul_f16 v104, v103, v104
	v_pk_mul_f16 v105, v103, v105
	;; [unrolled: 1-line block ×4, first 2 shown]
	v_bfe_u32 v103, v90, 16, 4
	v_bfe_u32 v160, v90, 24, 4
	;; [unrolled: 1-line block ×5, first 2 shown]
	v_lshrrev_b32_e32 v90, 28, v90
	v_mul_i32_i24_e32 v161, v116, v161
	v_mul_i32_i24_e32 v166, v116, v166
	v_pk_mul_lo_u16 v117, v117, v183
	v_bfe_u32 v108, v64, 16, 4
	v_bfe_u32 v109, v64, 24, 4
	;; [unrolled: 1-line block ×7, first 2 shown]
	v_and_b32_e32 v177, 15, v99
	v_bfe_u32 v178, v99, 4, 4
	v_and_b32_e32 v200, 15, v96
	v_and_b32_e32 v202, 0xf0f0f0f, v99
	v_lshrrev_b32_e32 v99, 4, v99
	v_mul_i32_i24_e32 v244, v138, v58
	v_cvt_f32_f16_e32 v58, v106
	v_lshrrev_b32_e32 v106, 16, v106
	v_mad_i32_i24 v161, v113, v162, v161
	v_mad_i32_i24 v162, v113, v168, v166
	v_bfe_i32 v166, v117, 0, 16
	v_dual_ashrrev_i32 v117, 16, v117 :: v_dual_lshrrev_b32 v127, 28, v64
	v_and_b32_e32 v129, 15, v65
	v_bfe_u32 v128, v64, 20, 4
	v_bfe_u32 v64, v64, 12, 4
	;; [unrolled: 1-line block ×3, first 2 shown]
	v_mul_i32_i24_e32 v108, v115, v108
	v_mul_i32_i24_e32 v109, v114, v109
	;; [unrolled: 1-line block ×6, first 2 shown]
	v_lshrrev_b16 v99, 8, v99
	v_add_nc_u32_e32 v117, v117, v166
	v_bfe_u32 v172, v98, 20, 4
	v_lshrrev_b32_e32 v94, 28, v94
	v_mul_i32_i24_e32 v180, v107, v180
	v_mul_i32_i24_e32 v64, v107, v64
	v_and_b32_e32 v99, 15, v99
	v_add3_u32 v161, v161, v163, v164
	v_add3_u32 v103, v162, v103, v160
	;; [unrolled: 1-line block ×3, first 2 shown]
	v_bfe_i32 v122, v66, 16, 8
	v_bfe_i32 v123, v66, 8, 8
	v_bfe_i32 v66, v66, 0, 8
	v_bfe_u32 v130, v65, 8, 4
	v_dual_lshrrev_b32 v167, 28, v98 :: v_dual_bitop2_b32 v176, 15, v98 bitop3:0x40
	v_dual_lshrrev_b32 v196, 28, v91 :: v_dual_bitop2_b32 v188, 15, v91 bitop3:0x40
	v_bfe_u32 v190, v91, 8, 4
	v_mul_i32_i24_e32 v128, v119, v128
	v_mul_i32_i24_e32 v127, v118, v127
	;; [unrolled: 1-line block ×6, first 2 shown]
	v_add3_u32 v117, v161, v180, v179
	v_add3_u32 v103, v103, v181, v120
	;; [unrolled: 1-line block ×3, first 2 shown]
	v_bfe_u32 v131, v65, 24, 4
	v_bfe_u32 v132, v65, 16, 4
	;; [unrolled: 1-line block ×6, first 2 shown]
	v_and_b32_e32 v201, 0xf0f0f0f, v98
	v_lshrrev_b32_e32 v98, 4, v98
	v_mul_i32_i24_e32 v129, v66, v129
	v_mul_i32_i24_e32 v130, v123, v130
	;; [unrolled: 1-line block ×8, first 2 shown]
	v_add3_u32 v94, v117, v182, v94
	v_add3_u32 v90, v103, v119, v90
	;; [unrolled: 1-line block ×3, first 2 shown]
	v_bfe_u32 v110, v65, 20, 4
	v_bfe_i32 v125, v62, 8, 8
	v_bfe_i32 v126, v62, 0, 8
	v_bfe_u32 v133, v65, 4, 4
	v_bfe_u32 v65, v65, 12, 4
	;; [unrolled: 1-line block ×5, first 2 shown]
	v_mul_i32_i24_e32 v132, v122, v132
	v_mul_i32_i24_e32 v131, v121, v131
	;; [unrolled: 1-line block ×8, first 2 shown]
	v_add3_u32 v94, v94, v184, v118
	v_add3_u32 v66, v90, v185, v66
	;; [unrolled: 1-line block ×3, first 2 shown]
	v_bfe_i32 v62, v62, 16, 8
	v_mul_i32_i24_e32 v133, v126, v133
	v_mul_i32_i24_e32 v65, v125, v65
	;; [unrolled: 1-line block ×7, first 2 shown]
	v_add3_u32 v94, v94, v186, v188
	v_add3_u32 v66, v66, v122, v121
	;; [unrolled: 1-line block ×3, first 2 shown]
	v_dual_ashrrev_i32 v134, 24, v67 :: v_dual_ashrrev_i32 v140, 24, v61
	v_bfe_i32 v135, v67, 16, 8
	v_bfe_i32 v136, v67, 8, 8
	;; [unrolled: 1-line block ×3, first 2 shown]
	v_bfe_u32 v204, v96, 8, 4
	v_mul_i32_i24_e32 v110, v62, v110
	v_dual_lshrrev_b32 v224, 28, v97 :: v_dual_bitop2_b32 v215, 15, v92 bitop3:0x40
	v_bfe_u32 v216, v92, 8, 4
	v_mul_i32_i24_e32 v111, v124, v111
	v_mul_i32_i24_e32 v171, v124, v171
	;; [unrolled: 1-line block ×7, first 2 shown]
	v_add3_u32 v94, v94, v126, v191
	v_add3_u32 v66, v66, v190, v91
	;; [unrolled: 1-line block ×3, first 2 shown]
	v_bfe_u32 v205, v96, 16, 4
	v_bfe_u32 v206, v96, 24, 4
	;; [unrolled: 1-line block ×4, first 2 shown]
	s_wait_dscnt 0x0
	v_bfe_u32 v230, v100, 24, 4
	v_bfe_u32 v234, v100, 16, 4
	v_mul_i32_i24_e32 v144, v67, v144
	v_mul_i32_i24_e32 v145, v136, v145
	;; [unrolled: 1-line block ×6, first 2 shown]
	v_lshrrev_b16 v98, 8, v98
	v_add3_u32 v94, v94, v187, v95
	v_add3_u32 v62, v66, v62, v124
	;; [unrolled: 1-line block ×3, first 2 shown]
	v_bfe_i32 v139, v63, 8, 8
	v_bfe_i32 v63, v63, 0, 8
	v_bfe_u32 v207, v96, 12, 4
	v_bfe_u32 v208, v96, 4, 4
	;; [unrolled: 1-line block ×4, first 2 shown]
	v_dual_lshrrev_b32 v228, 28, v93 :: v_dual_lshrrev_b32 v232, 4, v100
	v_and_b32_e32 v231, 0xf0f0f0f, v100
	v_dual_lshrrev_b32 v233, 28, v100 :: v_dual_bitop2_b32 v235, 15, v100 bitop3:0x40
	v_bfe_u32 v236, v100, 20, 4
	v_bfe_u32 v100, v100, 4, 4
	v_mul_i32_i24_e32 v147, v135, v147
	v_mul_i32_i24_e32 v146, v134, v146
	;; [unrolled: 1-line block ×8, first 2 shown]
	v_lshrrev_b16 v201, 8, v201
	v_lshrrev_b16 v202, 8, v202
	v_and_b32_e32 v98, 15, v98
	v_add3_u32 v94, v94, v193, v192
	v_add3_u32 v62, v62, v195, v194
	v_add3_u32 v64, v64, v145, v144
	v_dual_lshrrev_b32 v209, 28, v96 :: v_dual_bitop2_b32 v210, 15, v93 bitop3:0x40
	v_bfe_u32 v96, v96, 20, 4
	v_dual_lshrrev_b32 v221, 28, v92 :: v_dual_bitop2_b32 v212, 15, v97 bitop3:0x40
	v_bfe_u32 v92, v92, 20, 4
	v_and_b32_e32 v238, 0xf0f0f0f, v101
	v_dual_lshrrev_b32 v239, 4, v101 :: v_dual_lshrrev_b32 v240, 28, v101
	v_mul_i32_i24_e32 v148, v63, v148
	v_mul_i32_i24_e32 v149, v139, v149
	;; [unrolled: 1-line block ×5, first 2 shown]
	v_lshrrev_b16 v215, 8, v231
	v_lshrrev_b16 v218, 8, v232
	v_mul_i32_i24_e32 v207, v139, v207
	v_mul_i32_i24_e32 v220, v139, v220
	v_mad_i32_i24 v114, v165, v114, v167
	v_and_b32_e32 v165, 0xffff, v201
	v_and_b32_e32 v167, 0xffff, v202
	v_and_b32_e32 v98, 0xffff, v98
	v_add3_u32 v94, v94, v196, v199
	v_add3_u32 v62, v62, v135, v134
	;; [unrolled: 1-line block ×3, first 2 shown]
	v_bfe_i32 v141, v61, 16, 8
	v_bfe_i32 v142, v61, 8, 8
	;; [unrolled: 1-line block ×3, first 2 shown]
	v_bfe_u32 v151, v59, 8, 4
	v_bfe_u32 v211, v97, 8, 4
	;; [unrolled: 1-line block ×3, first 2 shown]
	v_mul_i32_i24_e32 v150, v137, v150
	v_mul_i32_i24_e32 v96, v138, v96
	;; [unrolled: 1-line block ×7, first 2 shown]
	v_lshrrev_b16 v216, 8, v238
	v_lshrrev_b16 v219, 8, v239
	v_and_b32_e32 v168, 0xffff, v215
	v_and_b32_e32 v166, 15, v218
	v_mul_i32_i24_e32 v103, v165, v113
	v_mul_i32_i24_e32 v113, v123, v167
	v_and_b32_e32 v99, 0xffff, v99
	v_mul_i32_i24_e32 v66, v98, v107
	v_add3_u32 v94, v94, v203, v207
	v_add3_u32 v62, v62, v63, v220
	;; [unrolled: 1-line block ×3, first 2 shown]
	v_bfe_u32 v112, v59, 24, 4
	v_dual_ashrrev_i32 v152, 24, v57 :: v_dual_lshrrev_b32 v158, 28, v59
	v_bfe_i32 v153, v57, 16, 8
	v_bfe_i32 v154, v57, 8, 8
	;; [unrolled: 1-line block ×3, first 2 shown]
	v_bfe_u32 v156, v59, 4, 4
	v_bfe_u32 v157, v59, 12, 4
	;; [unrolled: 1-line block ×13, first 2 shown]
	v_and_b32_e32 v242, 15, v101
	v_mul_i32_i24_e32 v143, v61, v143
	v_cvt_f32_f16_e32 v57, v105
	v_cvt_f32_f16_e32 v56, v104
	v_dual_lshrrev_b32 v105, 16, v105 :: v_dual_lshrrev_b32 v104, 16, v104
	v_mul_i32_i24_e32 v151, v142, v151
	v_mul_i32_i24_e32 v206, v61, v210
	;; [unrolled: 1-line block ×5, first 2 shown]
	v_mad_i32_i24 v115, v169, v115, v172
	v_mad_i32_i24 v116, v176, v116, v175
	v_and_b32_e32 v169, 0xffff, v216
	v_dual_add_nc_u32 v86, 4, v86 :: v_dual_bitop2_b32 v109, 15, v219 bitop3:0x40
	v_add3_u32 v114, v114, v170, v171
	v_mul_i32_i24_e32 v90, v136, v168
	v_and_b32_e32 v65, 0xffff, v166
	v_mul_i32_i24_e32 v95, v125, v99
	v_add3_u32 v66, v103, v66, v113
	v_add3_u32 v94, v94, v96, v138
	;; [unrolled: 1-line block ×4, first 2 shown]
	v_bfe_u32 v222, v97, 12, 4
	v_bfe_u32 v223, v97, 4, 4
	;; [unrolled: 1-line block ×5, first 2 shown]
	v_mul_i32_i24_e32 v245, v141, v59
	v_mul_i32_i24_e32 v112, v140, v112
	;; [unrolled: 1-line block ×3, first 2 shown]
	v_cvt_f32_f16_e32 v59, v102
	v_lshrrev_b32_e32 v102, 16, v102
	v_mul_i32_i24_e32 v67, v67, v235
	v_mul_i32_i24_e32 v209, v61, v242
	v_cvt_f32_f16_e32 v61, v105
	v_cvt_f32_f16_e32 v60, v104
	v_mul_i32_i24_e32 v104, v141, v214
	v_mul_i32_i24_e32 v105, v141, v241
	;; [unrolled: 1-line block ×9, first 2 shown]
	v_add3_u32 v108, v115, v173, v174
	v_add3_u32 v115, v116, v177, v178
	v_mul_i32_i24_e32 v116, v142, v169
	v_and_b32_e32 v91, 0xffff, v109
	v_mul_i32_i24_e32 v65, v139, v65
	v_add3_u32 v98, v114, v200, v205
	v_add3_u32 v66, v66, v95, v90
	;; [unrolled: 1-line block ×5, first 2 shown]
	v_mul_i32_i24_e32 v156, v155, v156
	v_mul_i32_i24_e32 v159, v153, v159
	;; [unrolled: 1-line block ×12, first 2 shown]
	v_add3_u32 v67, v115, v67, v100
	v_add3_u32 v64, v108, v198, v204
	;; [unrolled: 1-line block ×13, first 2 shown]
	v_cvt_f32_f16_e32 v63, v102
	v_add3_u32 v64, v67, v64, v65
	v_add3_u32 v66, v66, v97, v213
	;; [unrolled: 1-line block ×4, first 2 shown]
	v_cvt_f32_f16_e32 v62, v106
	v_cvt_f32_i32_e32 v65, v64
	v_cvt_f32_i32_e32 v64, v66
	;; [unrolled: 1-line block ×4, first 2 shown]
	s_delay_alu instid0(VALU_DEP_3) | instskip(NEXT) | instid1(VALU_DEP_2)
	v_pk_fma_f32 v[58:59], v[58:59], v[64:65], v[62:63]
	v_pk_fma_f32 v[56:57], v[56:57], v[66:67], v[60:61]
	s_delay_alu instid0(VALU_DEP_2) | instskip(NEXT) | instid1(VALU_DEP_2)
	v_pk_add_f32 v[8:9], v[8:9], v[58:59]
	v_pk_add_f32 v[6:7], v[6:7], v[56:57]
	s_cbranch_scc1 .LBB200_11
; %bb.12:                               ;   in Loop: Header=BB200_5 Depth=1
	s_bitset1_b32 s18, 7
	s_delay_alu instid0(SALU_CYCLE_1)
	s_cmp_ge_i32 s18, s5
	s_barrier_signal -1
	s_barrier_wait -1
	s_cbranch_scc1 .LBB200_4
; %bb.13:                               ;   in Loop: Header=BB200_5 Depth=1
	v_add_nc_u32_e32 v55, s14, v73
	s_delay_alu instid0(VALU_DEP_1) | instskip(SKIP_1) | instid1(SALU_CYCLE_1)
	v_cmp_gt_i32_e64 s1, s6, v55
	s_and_b32 s18, s0, s1
	s_and_saveexec_b32 s1, s18
	s_cbranch_execz .LBB200_15
; %bb.14:                               ;   in Loop: Header=BB200_5 Depth=1
	v_add_nc_u32_e32 v55, v10, v55
	s_delay_alu instid0(VALU_DEP_1)
	v_mad_nc_i64_i32 v[56:57], v55, 36, v[12:13]
	global_load_b32 v55, v[56:57], off offset:4
	s_wait_loadcnt 0x0
	ds_store_b32 v71, v55
.LBB200_15:                             ;   in Loop: Header=BB200_5 Depth=1
	s_or_b32 exec_lo, exec_lo, s1
	s_and_saveexec_b32 s18, vcc_lo
	s_cbranch_execz .LBB200_18
; %bb.16:                               ;   in Loop: Header=BB200_5 Depth=1
	v_or_b32_e32 v55, 4, v54
	s_delay_alu instid0(VALU_DEP_1) | instskip(SKIP_1) | instid1(SALU_CYCLE_1)
	v_cmp_gt_i32_e64 s1, s6, v55
	s_and_b32 s1, s0, s1
	s_and_b32 exec_lo, exec_lo, s1
	s_cbranch_execz .LBB200_18
; %bb.17:                               ;   in Loop: Header=BB200_5 Depth=1
	v_ashrrev_i32_e32 v55, 31, v54
	s_delay_alu instid0(VALU_DEP_1) | instskip(NEXT) | instid1(VALU_DEP_1)
	v_add_nc_u64_e32 v[54:55], v[10:11], v[54:55]
	v_mad_nc_u64_u32 v[56:57], v54, 36, s[2:3]
	s_delay_alu instid0(VALU_DEP_1)
	v_mad_i32_i24 v57, v55, 36, v57
	global_load_b32 v54, v[56:57], off offset:144
	s_wait_loadcnt 0x0
	ds_store_b32 v72, v54
.LBB200_18:                             ;   in Loop: Header=BB200_5 Depth=1
	s_or_b32 exec_lo, exec_lo, s18
	v_dual_mov_b32 v54, v70 :: v_dual_mov_b32 v55, v69
	v_dual_mov_b32 v56, v81 :: v_dual_mov_b32 v57, v79
	;; [unrolled: 1-line block ×3, first 2 shown]
	v_mov_b32_e32 v60, v83
	s_mov_b32 s1, 12
	s_wait_dscnt 0x0
	s_barrier_signal -1
	s_barrier_wait -1
.LBB200_19:                             ;   Parent Loop BB200_5 Depth=1
                                        ; =>  This Inner Loop Header: Depth=2
	ds_load_2addr_b32 v[62:63], v55 offset1:3
	ds_load_2addr_b32 v[64:65], v55 offset0:4 offset1:7
	ds_load_2addr_b32 v[66:67], v55 offset0:1 offset1:2
	ds_load_b32 v61, v54
	ds_load_b32 v102, v56
	ds_load_2addr_b32 v[84:85], v60 offset1:1
	ds_load_2addr_b32 v[86:87], v60 offset0:2 offset1:3
	v_add_nc_u32_e32 v90, 0x1080, v60
	v_add_nc_u32_e32 v92, 0x1088, v60
	;; [unrolled: 1-line block ×6, first 2 shown]
	ds_load_b32 v103, v57
	ds_load_b32 v104, v58
	ds_load_2addr_b32 v[88:89], v55 offset0:5 offset1:6
	ds_load_b32 v105, v59
	ds_load_2addr_b32 v[90:91], v90 offset1:1
	ds_load_2addr_b32 v[92:93], v92 offset1:1
	;; [unrolled: 1-line block ×6, first 2 shown]
	v_dual_add_nc_u32 v60, 16, v60 :: v_dual_add_nc_u32 v58, 4, v58
	v_dual_add_nc_u32 v57, 4, v57 :: v_dual_add_nc_u32 v56, 4, v56
	v_add_nc_u32_e32 v55, 32, v55
	s_wait_dscnt 0x10
	v_lshrrev_b16 v112, 8, v62
	v_ashrrev_i32_e32 v113, 24, v62
	v_bfe_i32 v114, v62, 16, 8
	v_bfe_i32 v115, v62, 0, 8
	s_wait_dscnt 0xb
	v_dual_ashrrev_i32 v139, 24, v63 :: v_dual_lshrrev_b32 v62, 8, v84
	v_dual_ashrrev_i32 v120, 24, v66 :: v_dual_bitop2_b32 v116, 15, v84 bitop3:0x40
	v_bfe_i32 v112, v112, 0, 8
	v_bfe_i32 v140, v63, 16, 8
	s_delay_alu instid0(VALU_DEP_4)
	v_and_b32_e32 v184, 15, v62
	s_wait_dscnt 0x9
	v_pk_mul_f16 v103, v61, v103
	v_bfe_i32 v141, v63, 8, 8
	v_bfe_i32 v142, v63, 0, 8
	v_dual_lshrrev_b32 v149, 28, v86 :: v_dual_bitop2_b32 v63, 15, v87 bitop3:0x40
	s_wait_dscnt 0x1
	v_dual_lshrrev_b32 v182, 4, v98 :: v_dual_lshrrev_b32 v183, 28, v98
	v_dual_lshrrev_b32 v193, 28, v99 :: v_dual_bitop2_b32 v186, 15, v90 bitop3:0x40
	v_lshrrev_b32_e32 v192, 4, v99
	v_perm_b32 v116, v184, v116, 0x5040100
	v_perm_b32 v184, v112, v115, 0x5040100
	v_lshrrev_b16 v106, 8, v64
	v_lshrrev_b32_e32 v110, 28, v85
	v_pk_mul_f16 v104, v61, v104
	v_dual_ashrrev_i32 v117, 24, v64 :: v_dual_bitop2_b32 v128, 15, v85 bitop3:0x40
	v_bfe_i32 v118, v64, 16, 8
	v_bfe_i32 v119, v64, 0, 8
	;; [unrolled: 1-line block ×5, first 2 shown]
	v_dual_ashrrev_i32 v123, 24, v88 :: v_dual_ashrrev_i32 v133, 24, v67
	v_bfe_i32 v125, v88, 0, 8
	v_bfe_u32 v64, v84, 4, 4
	v_dual_lshrrev_b32 v126, 28, v84 :: v_dual_ashrrev_i32 v136, 24, v89
	v_bfe_u32 v127, v84, 20, 4
	v_bfe_u32 v132, v85, 4, 4
	v_bfe_i32 v134, v67, 16, 8
	v_bfe_i32 v135, v67, 8, 8
	;; [unrolled: 1-line block ×6, first 2 shown]
	v_dual_ashrrev_i32 v151, 24, v65 :: v_dual_bitop2_b32 v143, 15, v86 bitop3:0x40
	v_lshrrev_b32_e32 v156, 28, v87
	v_bfe_i32 v152, v65, 16, 8
	v_bfe_i32 v153, v65, 8, 8
	;; [unrolled: 1-line block ×3, first 2 shown]
	v_bfe_u32 v65, v87, 4, 4
	v_dual_lshrrev_b32 v160, 28, v91 :: v_dual_bitop2_b32 v163, 15, v94 bitop3:0x40
	v_bfe_u32 v162, v94, 20, 4
	v_bfe_u32 v164, v94, 8, 4
	;; [unrolled: 1-line block ×6, first 2 shown]
	v_dual_lshrrev_b32 v94, 28, v94 :: v_dual_bitop2_b32 v170, 15, v95 bitop3:0x40
	v_bfe_u32 v169, v95, 20, 4
	v_bfe_u32 v171, v95, 8, 4
	;; [unrolled: 1-line block ×6, first 2 shown]
	v_dual_lshrrev_b32 v95, 28, v95 :: v_dual_bitop2_b32 v176, 15, v96 bitop3:0x40
	v_bfe_u32 v180, v98, 24, 4
	v_and_b32_e32 v181, 0xf0f0f0f, v98
	v_bfe_u32 v185, v90, 8, 4
	v_bfe_u32 v187, v98, 16, 4
	s_wait_dscnt 0x0
	v_dual_lshrrev_b32 v208, 4, v100 :: v_dual_bitop2_b32 v188, 15, v98 bitop3:0x40
	v_bfe_u32 v189, v98, 20, 4
	v_bfe_u32 v98, v98, 4, 4
	;; [unrolled: 1-line block ×3, first 2 shown]
	v_and_b32_e32 v191, 0xf0f0f0f, v99
	v_bfe_u32 v194, v99, 16, 4
	v_dual_lshrrev_b32 v197, 28, v90 :: v_dual_bitop2_b32 v195, 15, v99 bitop3:0x40
	v_bfe_u32 v196, v90, 4, 4
	v_bfe_u32 v198, v90, 20, 4
	v_dual_lshrrev_b32 v209, 28, v100 :: v_dual_bitop2_b32 v199, 15, v91 bitop3:0x40
	v_bfe_u32 v200, v91, 8, 4
	v_bfe_u32 v203, v91, 4, 4
	;; [unrolled: 1-line block ×4, first 2 shown]
	v_dual_lshrrev_b32 v218, 4, v101 :: v_dual_bitop2_b32 v211, 15, v100 bitop3:0x40
	v_bfe_u32 v213, v96, 4, 4
	v_dual_lshrrev_b32 v214, 28, v96 :: v_dual_lshrrev_b32 v219, 28, v101
	v_bfe_u32 v216, v101, 24, 4
	v_and_b32_e32 v217, 0xf0f0f0f, v101
	v_mul_i32_i24_e32 v221, v142, v63
	v_bfe_u32 v222, v97, 8, 4
	v_dual_lshrrev_b32 v241, 28, v93 :: v_dual_bitop2_b32 v226, 15, v92 bitop3:0x40
	v_bfe_u32 v234, v101, 16, 4
	v_and_b32_e32 v235, 15, v101
	v_bfe_u32 v237, v97, 4, 4
	v_bfe_u32 v239, v93, 4, 4
	v_cvt_f32_f16_e32 v63, v103
	v_lshrrev_b32_e32 v103, 16, v103
	v_bfe_u32 v244, v101, 20, 4
	v_bfe_u32 v101, v101, 4, 4
	v_lshrrev_b16 v182, 8, v182
	v_mul_i32_i24_e32 v186, v115, v186
	v_pk_mul_lo_u16 v116, v116, v184
	v_bfe_u32 v107, v84, 16, 4
	v_bfe_u32 v108, v84, 24, 4
	v_pk_mul_f16 v102, v61, v102
	v_pk_mul_f16 v61, v61, v105
	v_bfe_u32 v105, v90, 16, 4
	v_bfe_u32 v158, v90, 24, 4
	v_mul_i32_i24_e32 v204, v119, v64
	v_mul_i32_i24_e32 v127, v118, v127
	;; [unrolled: 1-line block ×7, first 2 shown]
	v_cvt_f32_f16_e32 v64, v104
	v_lshrrev_b32_e32 v104, 16, v104
	v_lshrrev_b16 v181, 8, v181
	v_mul_i32_i24_e32 v163, v115, v163
	v_mul_i32_i24_e32 v167, v119, v167
	;; [unrolled: 1-line block ×7, first 2 shown]
	v_lshrrev_b16 v192, 8, v192
	v_mul_i32_i24_e32 v174, v125, v174
	v_mul_i32_i24_e32 v95, v123, v95
	v_mul_i32_i24_e32 v119, v119, v196
	v_mul_i32_i24_e32 v118, v118, v198
	v_mul_i32_i24_e32 v117, v117, v197
	v_mul_i32_i24_e32 v196, v66, v199
	v_mul_i32_i24_e32 v197, v122, v200
	v_mul_i32_i24_e32 v198, v125, v203
	v_mul_i32_i24_e32 v99, v125, v99
	v_mul_i32_i24_e32 v125, v123, v193
	v_lshrrev_b16 v199, 8, v208
	v_mul_i32_i24_e32 v176, v67, v176
	v_mul_i32_i24_e32 v200, v67, v211
	;; [unrolled: 1-line block ×7, first 2 shown]
	v_cvt_f32_f16_e32 v67, v103
	v_mul_i32_i24_e32 v103, v154, v239
	v_mul_i32_i24_e32 v101, v154, v101
	v_and_b32_e32 v154, 15, v182
	v_mad_i32_i24 v182, v112, v185, v186
	v_bfe_i32 v185, v116, 0, 16
	v_dual_ashrrev_i32 v116, 16, v116 :: v_dual_bitop2_b32 v186, 15, v199 bitop3:0x40
	v_bfe_u32 v84, v84, 12, 4
	v_mul_i32_i24_e32 v107, v114, v107
	v_mul_i32_i24_e32 v108, v113, v108
	v_bfe_i32 v106, v106, 0, 8
	v_bfe_u32 v90, v90, 12, 4
	v_mul_i32_i24_e32 v105, v114, v105
	v_mul_i32_i24_e32 v158, v113, v158
	;; [unrolled: 1-line block ×4, first 2 shown]
	v_mad_i32_i24 v163, v112, v164, v163
	v_and_b32_e32 v164, 0xffff, v181
	v_dual_add_nc_u32 v116, v116, v185 :: v_dual_bitop2_b32 v181, 15, v192 bitop3:0x40
	v_mul_i32_i24_e32 v168, v106, v168
	v_mul_i32_i24_e32 v84, v106, v84
	;; [unrolled: 1-line block ×3, first 2 shown]
	v_mad_i32_i24 v98, v188, v115, v98
	v_add3_u32 v115, v163, v165, v166
	v_add3_u32 v105, v182, v105, v158
	v_add3_u32 v107, v116, v107, v108
	v_bfe_u32 v129, v85, 8, 4
	v_mad_i32_i24 v108, v180, v113, v183
	v_add3_u32 v113, v115, v168, v167
	v_add3_u32 v90, v105, v90, v119
	;; [unrolled: 1-line block ×3, first 2 shown]
	v_bfe_u32 v130, v85, 24, 4
	v_bfe_u32 v131, v85, 16, 4
	;; [unrolled: 1-line block ×4, first 2 shown]
	v_mul_i32_i24_e32 v128, v66, v128
	v_mul_i32_i24_e32 v129, v122, v129
	;; [unrolled: 1-line block ×4, first 2 shown]
	v_add3_u32 v94, v113, v162, v94
	v_add3_u32 v90, v90, v118, v117
	;; [unrolled: 1-line block ×3, first 2 shown]
	v_bfe_u32 v109, v85, 20, 4
	v_bfe_i32 v124, v88, 8, 8
	v_bfe_u32 v85, v85, 12, 4
	v_bfe_u32 v159, v91, 20, 4
	;; [unrolled: 1-line block ×3, first 2 shown]
	v_mul_i32_i24_e32 v131, v121, v131
	v_mul_i32_i24_e32 v130, v120, v130
	;; [unrolled: 1-line block ×8, first 2 shown]
	v_add3_u32 v94, v94, v171, v170
	v_add3_u32 v90, v90, v197, v196
	v_add3_u32 v84, v84, v129, v128
	v_bfe_i32 v88, v88, 16, 8
	v_mul_i32_i24_e32 v85, v124, v85
	v_mul_i32_i24_e32 v175, v124, v175
	;; [unrolled: 1-line block ×3, first 2 shown]
	v_add3_u32 v94, v94, v172, v173
	v_add3_u32 v90, v90, v121, v120
	;; [unrolled: 1-line block ×3, first 2 shown]
	v_bfe_u32 v144, v86, 8, 4
	v_bfe_u32 v177, v96, 8, 4
	v_mul_i32_i24_e32 v109, v88, v109
	v_bfe_u32 v227, v92, 8, 4
	v_mul_i32_i24_e32 v159, v88, v159
	v_mul_i32_i24_e32 v169, v88, v169
	v_add3_u32 v94, v94, v174, v175
	v_add3_u32 v90, v90, v198, v91
	;; [unrolled: 1-line block ×3, first 2 shown]
	v_bfe_u32 v145, v86, 24, 4
	v_bfe_u32 v146, v86, 16, 4
	;; [unrolled: 1-line block ×8, first 2 shown]
	v_mul_i32_i24_e32 v144, v135, v144
	v_mul_i32_i24_e32 v177, v135, v177
	;; [unrolled: 1-line block ×3, first 2 shown]
	v_lshrrev_b16 v209, 8, v217
	v_mul_i32_i24_e32 v217, v135, v227
	v_add3_u32 v91, v94, v169, v95
	v_add3_u32 v90, v90, v159, v123
	;; [unrolled: 1-line block ×3, first 2 shown]
	v_bfe_u32 v147, v86, 4, 4
	v_bfe_u32 v148, v86, 12, 4
	v_and_b32_e32 v207, 0xf0f0f0f, v100
	v_bfe_u32 v212, v96, 12, 4
	v_bfe_u32 v215, v100, 20, 4
	;; [unrolled: 1-line block ×5, first 2 shown]
	v_mul_i32_i24_e32 v146, v134, v146
	v_mul_i32_i24_e32 v145, v133, v145
	v_lshrrev_b16 v191, 8, v191
	v_mul_i32_i24_e32 v178, v134, v178
	v_mul_i32_i24_e32 v179, v133, v179
	;; [unrolled: 1-line block ×6, first 2 shown]
	v_add3_u32 v91, v91, v177, v176
	v_add3_u32 v90, v90, v217, v160
	;; [unrolled: 1-line block ×3, first 2 shown]
	v_bfe_u32 v86, v86, 20, 4
	v_bfe_u32 v96, v96, 20, 4
	v_dual_lshrrev_b32 v232, 28, v92 :: v_dual_bitop2_b32 v220, 15, v93 bitop3:0x40
	v_bfe_u32 v92, v92, 20, 4
	v_mul_i32_i24_e32 v147, v89, v147
	v_mul_i32_i24_e32 v148, v138, v148
	v_mul_i32_i24_e32 v88, v88, v205
	v_lshrrev_b16 v193, 8, v207
	v_mul_i32_i24_e32 v205, v138, v212
	v_mul_i32_i24_e32 v100, v89, v100
	v_lshrrev_b16 v210, 8, v218
	v_mul_i32_i24_e32 v89, v89, v230
	v_mul_i32_i24_e32 v218, v138, v231
	v_and_b32_e32 v184, 0xffff, v191
	v_and_b32_e32 v105, 0xffff, v154
	v_add3_u32 v91, v91, v178, v179
	v_add3_u32 v90, v90, v134, v133
	;; [unrolled: 1-line block ×3, first 2 shown]
	v_bfe_u32 v150, v87, 8, 4
	v_dual_lshrrev_b32 v238, 28, v97 :: v_dual_bitop2_b32 v223, 15, v97 bitop3:0x40
	v_bfe_u32 v233, v93, 8, 4
	v_mul_i32_i24_e32 v86, v137, v86
	v_mul_i32_i24_e32 v149, v136, v149
	;; [unrolled: 1-line block ×6, first 2 shown]
	v_and_b32_e32 v191, 0xffff, v193
	v_mad_i32_i24 v114, v187, v114, v189
	v_mul_i32_i24_e32 v112, v164, v112
	v_mul_i32_i24_e32 v107, v122, v184
	v_and_b32_e32 v113, 0xffff, v181
	v_mul_i32_i24_e32 v94, v105, v106
	v_add3_u32 v91, v91, v203, v205
	v_add3_u32 v89, v90, v89, v218
	;; [unrolled: 1-line block ×3, first 2 shown]
	v_bfe_u32 v111, v87, 24, 4
	v_bfe_u32 v155, v87, 12, 4
	;; [unrolled: 1-line block ×7, first 2 shown]
	v_mul_i32_i24_e32 v150, v141, v150
	v_bfe_u32 v236, v97, 12, 4
	v_bfe_u32 v97, v97, 20, 4
	;; [unrolled: 1-line block ×4, first 2 shown]
	v_cvt_f32_f16_e32 v62, v102
	v_lshrrev_b32_e32 v102, 16, v102
	v_bfe_u32 v93, v93, 16, 4
	v_mul_i32_i24_e32 v195, v66, v195
	v_mul_i32_i24_e32 v207, v137, v215
	;; [unrolled: 1-line block ×5, first 2 shown]
	v_dual_add_nc_u32 v59, 4, v59 :: v_dual_bitop2_b32 v192, 15, v210 bitop3:0x40
	v_and_b32_e32 v193, 0xffff, v209
	v_mul_i32_i24_e32 v115, v135, v191
	v_and_b32_e32 v116, 0xffff, v186
	v_add3_u32 v108, v108, v190, v125
	v_add3_u32 v85, v114, v194, v88
	v_mul_i32_i24_e32 v95, v124, v113
	v_add3_u32 v90, v112, v94, v107
	v_add3_u32 v91, v91, v96, v206
	;; [unrolled: 1-line block ×4, first 2 shown]
	v_mul_i32_i24_e32 v87, v140, v87
	v_mul_i32_i24_e32 v111, v139, v111
	;; [unrolled: 1-line block ×4, first 2 shown]
	v_cvt_f32_f16_e32 v65, v61
	v_lshrrev_b32_e32 v61, 16, v61
	v_mul_i32_i24_e32 v214, v140, v225
	v_mul_i32_i24_e32 v215, v139, v224
	;; [unrolled: 1-line block ×6, first 2 shown]
	v_cvt_f32_f16_e32 v66, v102
	v_mul_i32_i24_e32 v93, v140, v93
	v_mul_i32_i24_e32 v102, v139, v161
	;; [unrolled: 1-line block ×7, first 2 shown]
	v_and_b32_e32 v118, 0xffff, v192
	v_add3_u32 v88, v98, v195, v99
	v_mul_i32_i24_e32 v98, v138, v116
	v_add3_u32 v105, v108, v202, v208
	v_add3_u32 v85, v85, v201, v207
	;; [unrolled: 1-line block ×6, first 2 shown]
	v_mul_i32_i24_e32 v155, v153, v155
	v_mul_i32_i24_e32 v142, v142, v235
	;; [unrolled: 1-line block ×5, first 2 shown]
	v_add3_u32 v88, v88, v200, v100
	v_add3_u32 v86, v105, v216, v151
	;; [unrolled: 1-line block ×12, first 2 shown]
	v_cvt_f32_f16_e32 v85, v61
	v_add3_u32 v61, v87, v92, v86
	v_add3_u32 v86, v88, v97, v224
	;; [unrolled: 1-line block ×4, first 2 shown]
	v_cvt_f32_f16_e32 v84, v104
	v_cvt_f32_i32_e32 v87, v61
	v_cvt_f32_i32_e32 v86, v86
	;; [unrolled: 1-line block ×4, first 2 shown]
	v_add_nc_u32_e32 v54, 4, v54
	s_add_co_i32 s1, s1, 4
	v_pk_fma_f32 v[64:65], v[64:65], v[86:87], v[84:85]
	s_cmp_lt_u32 s1, 28
	v_pk_fma_f32 v[62:63], v[62:63], v[88:89], v[66:67]
	s_delay_alu instid0(VALU_DEP_2) | instskip(NEXT) | instid1(VALU_DEP_2)
	v_pk_add_f32 v[8:9], v[8:9], v[64:65]
	v_pk_add_f32 v[6:7], v[6:7], v[62:63]
	s_cbranch_scc1 .LBB200_19
; %bb.20:                               ;   in Loop: Header=BB200_5 Depth=1
	s_barrier_signal -1
	s_barrier_wait -1
	s_branch .LBB200_4
.LBB200_21:
	v_mov_b32_e32 v6, 0
	s_delay_alu instid0(VALU_DEP_1)
	v_dual_mov_b32 v7, v6 :: v_dual_mov_b32 v8, v6
	v_mov_b32_e32 v9, v6
.LBB200_22:
	s_mul_i32 s0, s10, s7
	s_wait_loadcnt 0x0
	v_cmp_gt_i32_e32 vcc_lo, s0, v1
	s_wait_xcnt 0x0
	s_and_saveexec_b32 s0, vcc_lo
	s_cbranch_execz .LBB200_31
; %bb.23:
	v_mul_lo_u32 v0, v1, s9
	v_add_nc_u32_e32 v1, s11, v5
	s_mov_b32 s0, exec_lo
	s_delay_alu instid0(VALU_DEP_1)
	v_cmpx_gt_u32_e64 s9, v1
	s_cbranch_execz .LBB200_25
; %bb.24:
	s_delay_alu instid0(VALU_DEP_3)
	v_add_nc_u32_e32 v2, v0, v1
	v_cvt_f16_f32_e32 v3, v6
	global_store_b16 v2, v3, s[12:13] scale_offset
.LBB200_25:
	s_wait_xcnt 0x0
	s_or_b32 exec_lo, exec_lo, s0
	v_add_nc_u32_e32 v2, 32, v1
	s_mov_b32 s0, exec_lo
	s_delay_alu instid0(VALU_DEP_1)
	v_cmpx_gt_u32_e64 s9, v2
	s_cbranch_execz .LBB200_27
; %bb.26:
	v_add_nc_u32_e32 v2, v0, v2
	v_cvt_f16_f32_e32 v3, v7
	global_store_b16 v2, v3, s[12:13] scale_offset
.LBB200_27:
	s_wait_xcnt 0x0
	s_or_b32 exec_lo, exec_lo, s0
	v_add_nc_u32_e32 v2, 64, v1
	s_mov_b32 s0, exec_lo
	s_delay_alu instid0(VALU_DEP_1)
	v_cmpx_gt_u32_e64 s9, v2
	s_cbranch_execz .LBB200_29
; %bb.28:
	v_add_nc_u32_e32 v2, v0, v2
	v_cvt_f16_f32_e32 v3, v8
	global_store_b16 v2, v3, s[12:13] scale_offset
.LBB200_29:
	s_wait_xcnt 0x0
	s_or_b32 exec_lo, exec_lo, s0
	v_add_nc_u32_e32 v1, 0x60, v1
	s_delay_alu instid0(VALU_DEP_1)
	v_cmp_gt_u32_e32 vcc_lo, s9, v1
	s_and_b32 exec_lo, exec_lo, vcc_lo
	s_cbranch_execz .LBB200_31
; %bb.30:
	v_add_nc_u32_e32 v0, v0, v1
	v_cvt_f16_f32_e32 v1, v9
	global_store_b16 v0, v1, s[12:13] scale_offset
.LBB200_31:
	s_sendmsg sendmsg(MSG_DEALLOC_VGPRS)
	s_endpgm
	.section	.rodata,"a",@progbits
	.p2align	6, 0x0
	.amdhsa_kernel _ZL8moe_q4_1IN3c104HalfELb1EEvPKvS3_PT_PKiS7_S7_iiiiiii
		.amdhsa_group_segment_fixed_size 22272
		.amdhsa_private_segment_fixed_size 0
		.amdhsa_kernarg_size 76
		.amdhsa_user_sgpr_count 2
		.amdhsa_user_sgpr_dispatch_ptr 0
		.amdhsa_user_sgpr_queue_ptr 0
		.amdhsa_user_sgpr_kernarg_segment_ptr 1
		.amdhsa_user_sgpr_dispatch_id 0
		.amdhsa_user_sgpr_kernarg_preload_length 0
		.amdhsa_user_sgpr_kernarg_preload_offset 0
		.amdhsa_user_sgpr_private_segment_size 0
		.amdhsa_wavefront_size32 1
		.amdhsa_uses_dynamic_stack 0
		.amdhsa_enable_private_segment 0
		.amdhsa_system_sgpr_workgroup_id_x 1
		.amdhsa_system_sgpr_workgroup_id_y 1
		.amdhsa_system_sgpr_workgroup_id_z 0
		.amdhsa_system_sgpr_workgroup_info 0
		.amdhsa_system_vgpr_workitem_id 1
		.amdhsa_next_free_vgpr 246
		.amdhsa_next_free_sgpr 21
		.amdhsa_named_barrier_count 0
		.amdhsa_reserve_vcc 1
		.amdhsa_float_round_mode_32 0
		.amdhsa_float_round_mode_16_64 0
		.amdhsa_float_denorm_mode_32 3
		.amdhsa_float_denorm_mode_16_64 3
		.amdhsa_fp16_overflow 0
		.amdhsa_memory_ordered 1
		.amdhsa_forward_progress 1
		.amdhsa_inst_pref_size 68
		.amdhsa_round_robin_scheduling 0
		.amdhsa_exception_fp_ieee_invalid_op 0
		.amdhsa_exception_fp_denorm_src 0
		.amdhsa_exception_fp_ieee_div_zero 0
		.amdhsa_exception_fp_ieee_overflow 0
		.amdhsa_exception_fp_ieee_underflow 0
		.amdhsa_exception_fp_ieee_inexact 0
		.amdhsa_exception_int_div_zero 0
	.end_amdhsa_kernel
	.section	.text._ZL8moe_q4_1IN3c104HalfELb1EEvPKvS3_PT_PKiS7_S7_iiiiiii,"axG",@progbits,_ZL8moe_q4_1IN3c104HalfELb1EEvPKvS3_PT_PKiS7_S7_iiiiiii,comdat
.Lfunc_end200:
	.size	_ZL8moe_q4_1IN3c104HalfELb1EEvPKvS3_PT_PKiS7_S7_iiiiiii, .Lfunc_end200-_ZL8moe_q4_1IN3c104HalfELb1EEvPKvS3_PT_PKiS7_S7_iiiiiii
                                        ; -- End function
	.set _ZL8moe_q4_1IN3c104HalfELb1EEvPKvS3_PT_PKiS7_S7_iiiiiii.num_vgpr, 246
	.set _ZL8moe_q4_1IN3c104HalfELb1EEvPKvS3_PT_PKiS7_S7_iiiiiii.num_agpr, 0
	.set _ZL8moe_q4_1IN3c104HalfELb1EEvPKvS3_PT_PKiS7_S7_iiiiiii.numbered_sgpr, 21
	.set _ZL8moe_q4_1IN3c104HalfELb1EEvPKvS3_PT_PKiS7_S7_iiiiiii.num_named_barrier, 0
	.set _ZL8moe_q4_1IN3c104HalfELb1EEvPKvS3_PT_PKiS7_S7_iiiiiii.private_seg_size, 0
	.set _ZL8moe_q4_1IN3c104HalfELb1EEvPKvS3_PT_PKiS7_S7_iiiiiii.uses_vcc, 1
	.set _ZL8moe_q4_1IN3c104HalfELb1EEvPKvS3_PT_PKiS7_S7_iiiiiii.uses_flat_scratch, 0
	.set _ZL8moe_q4_1IN3c104HalfELb1EEvPKvS3_PT_PKiS7_S7_iiiiiii.has_dyn_sized_stack, 0
	.set _ZL8moe_q4_1IN3c104HalfELb1EEvPKvS3_PT_PKiS7_S7_iiiiiii.has_recursion, 0
	.set _ZL8moe_q4_1IN3c104HalfELb1EEvPKvS3_PT_PKiS7_S7_iiiiiii.has_indirect_call, 0
	.section	.AMDGPU.csdata,"",@progbits
; Kernel info:
; codeLenInByte = 8584
; TotalNumSgprs: 23
; NumVgprs: 246
; ScratchSize: 0
; MemoryBound: 0
; FloatMode: 240
; IeeeMode: 1
; LDSByteSize: 22272 bytes/workgroup (compile time only)
; SGPRBlocks: 0
; VGPRBlocks: 15
; NumSGPRsForWavesPerEU: 23
; NumVGPRsForWavesPerEU: 246
; NamedBarCnt: 0
; Occupancy: 4
; WaveLimiterHint : 1
; COMPUTE_PGM_RSRC2:SCRATCH_EN: 0
; COMPUTE_PGM_RSRC2:USER_SGPR: 2
; COMPUTE_PGM_RSRC2:TRAP_HANDLER: 0
; COMPUTE_PGM_RSRC2:TGID_X_EN: 1
; COMPUTE_PGM_RSRC2:TGID_Y_EN: 1
; COMPUTE_PGM_RSRC2:TGID_Z_EN: 0
; COMPUTE_PGM_RSRC2:TIDIG_COMP_CNT: 1
	.section	.text._ZL8moe_q5_0IN3c104HalfELb0EEvPKvS3_PT_PKiS7_S7_iiiiiii,"axG",@progbits,_ZL8moe_q5_0IN3c104HalfELb0EEvPKvS3_PT_PKiS7_S7_iiiiiii,comdat
	.globl	_ZL8moe_q5_0IN3c104HalfELb0EEvPKvS3_PT_PKiS7_S7_iiiiiii ; -- Begin function _ZL8moe_q5_0IN3c104HalfELb0EEvPKvS3_PT_PKiS7_S7_iiiiiii
	.p2align	8
	.type	_ZL8moe_q5_0IN3c104HalfELb0EEvPKvS3_PT_PKiS7_S7_iiiiiii,@function
_ZL8moe_q5_0IN3c104HalfELb0EEvPKvS3_PT_PKiS7_S7_iiiiiii: ; @_ZL8moe_q5_0IN3c104HalfELb0EEvPKvS3_PT_PKiS7_S7_iiiiiii
; %bb.0:
	s_load_b128 s[4:7], s[0:1], 0x18
	s_bfe_u32 s2, ttmp6, 0x40010
	s_bfe_u32 s8, ttmp6, 0x40004
	s_add_co_i32 s2, s2, 1
	s_delay_alu instid0(SALU_CYCLE_1)
	s_mul_i32 s3, ttmp7, s2
	s_getreg_b32 s2, hwreg(HW_REG_IB_STS2, 6, 4)
	s_add_co_i32 s8, s8, s3
	s_cmp_eq_u32 s2, 0
	s_cselect_b32 s3, ttmp7, s8
	s_wait_kmcnt 0x0
	s_load_b32 s12, s[6:7], s3 offset:0x0 scale_offset
	s_wait_kmcnt 0x0
	s_cmp_gt_u32 s12, 0xff
	s_cbranch_scc1 .LBB201_30
; %bb.1:
	s_load_b64 s[6:7], s[0:1], 0x28
	s_lshl_b32 s3, s3, 3
	s_wait_kmcnt 0x0
	s_load_b32 s6, s[6:7], 0x0
	s_wait_kmcnt 0x0
	s_cmp_gt_u32 s3, s6
	s_cbranch_scc1 .LBB201_30
; %bb.2:
	v_bfe_u32 v20, v0, 10, 10
	s_and_b32 s13, ttmp6, 15
	v_and_b32_e32 v3, 0x3ff, v0
	s_delay_alu instid0(VALU_DEP_2) | instskip(SKIP_1) | instid1(SALU_CYCLE_1)
	v_dual_mov_b32 v17, 0 :: v_dual_add_nc_u32 v1, s3, v20
	s_bfe_u32 s3, ttmp6, 0x4000c
	s_add_co_i32 s3, s3, 1
	s_delay_alu instid0(VALU_DEP_1)
	v_dual_mov_b32 v16, v17 :: v_dual_mov_b32 v49, v17
	global_load_b32 v1, v1, s[4:5] scale_offset
	s_clause 0x2
	s_load_b64 s[10:11], s[0:1], 0x30
	s_load_b64 s[8:9], s[0:1], 0x10
	s_load_b128 s[4:7], s[0:1], 0x3c
	s_mul_i32 s3, ttmp9, s3
	v_mov_b32_e32 v57, v17
	s_add_co_i32 s13, s13, s3
	s_cmp_eq_u32 s2, 0
	s_cselect_b32 s2, ttmp9, s13
	s_mov_b32 s13, 0
	s_lshl_b32 s18, s2, 7
	s_wait_kmcnt 0x0
	s_cmp_lt_i32 s11, 32
	s_cbranch_scc1 .LBB201_21
; %bb.3:
	s_load_b128 s[0:3], s[0:1], 0x0
	s_mul_i32 s16, s12, s10
	s_abs_i32 s12, s7
	s_ashr_i32 s17, s16, 31
	s_cvt_f32_u32 s20, s12
	v_dual_lshlrev_b32 v24, 2, v3 :: v_dual_lshlrev_b32 v4, 3, v3
	s_wait_loadcnt 0x0
	v_sub_nc_u32_e32 v12, 0, v1
	v_rcp_iflag_f32_e32 v7, s20
	v_bfe_u32 v25, v0, 3, 7
	v_and_b32_e32 v8, 12, v24
	s_ashr_i32 s14, s11, 31
	v_max_i32_e32 v16, v1, v12
	s_lshr_b32 s10, s14, 27
	v_lshl_add_u32 v18, v20, 2, v25
	v_and_b32_e32 v12, 7, v0
	s_add_co_i32 s19, s11, s10
	v_mad_u32_u24 v5, 0x104, v20, v4
	s_ashr_i32 s10, s19, 5
	v_add_nc_u32_e32 v31, 64, v18
	s_wait_kmcnt 0x0
	s_add_nc_u64 s[16:17], s[0:1], s[16:17]
	v_readfirstlane_b32 s0, v7
	s_sub_co_i32 s1, 0, s12
	v_lshlrev_b32_e32 v28, 2, v12
	v_mul_lo_u32 v2, s10, v20
	s_lshl_b32 s20, s10, 3
	s_mul_f32 s0, s0, 0x4f7ffffe
	v_mov_b32_e32 v9, 0
	v_and_b32_e32 v22, 0x1ffc, v18
	v_add_nc_u32_e32 v26, 32, v18
	s_cvt_u32_f32 s0, s0
	v_mul_lo_u32 v14, s10, v18
	v_lshl_add_u32 v45, v20, 7, 0x9280
	v_add3_u32 v40, v22, v28, 0x8200
	s_mul_i32 s1, s1, s0
	v_add_nc_u32_e32 v4, s20, v2
	s_mul_hi_u32 s1, s0, s1
	v_and_b32_e32 v30, 0x3ffc, v26
	s_add_co_i32 s0, s0, s1
	v_and_b32_e32 v22, 0x3ffc, v31
	v_mul_hi_u32 v17, v16, s0
	v_dual_add_nc_u32 v10, s20, v4 :: v_dual_lshlrev_b32 v46, 5, v26
	v_add3_u32 v44, v30, v28, 0x8200
	s_delay_alu instid0(VALU_DEP_4)
	v_add3_u32 v48, v22, v28, 0x8200
	v_lshl_add_u32 v47, v20, 4, 0x9680
	v_dual_mov_b32 v57, v9 :: v_dual_add_nc_u32 v32, 0x60, v3
	v_bfe_u32 v6, v0, 2, 8
	v_and_b32_e32 v36, 0xfc, v0
	s_ashr_i32 s15, s5, 31
	v_mul_lo_u32 v29, v17, s12
	v_lshlrev_b32_e32 v42, 5, v18
	v_add_nc_u32_e32 v18, 0x60, v18
	v_add_nc_u32_e32 v26, 1, v17
	s_lshr_b32 s14, s15, 27
	s_and_not1_b32 s19, s19, 31
	s_add_co_i32 s5, s5, s14
	v_and_b32_e32 v22, 0x3ffc, v18
	s_ashr_i32 s5, s5, 5
	s_mul_i32 s14, s10, s18
	s_movk_i32 s1, 0x80
	v_sub_nc_u32_e32 v16, v16, v29
	v_add3_u32 v50, v22, v28, 0x8200
	v_xor_b32_e32 v22, s7, v1
	s_ashr_i32 s15, s14, 31
	v_add_nc_u32_e32 v11, 0x1860, v5
	v_subrev_nc_u32_e32 v29, s12, v16
	v_cmp_le_u32_e32 vcc_lo, s12, v16
	v_add_nc_u32_e32 v13, 0x2080, v5
	v_add_nc_u32_e32 v15, 0x28a0, v5
	v_dual_lshlrev_b32 v49, 5, v31 :: v_dual_bitop2_b32 v28, 31, v0 bitop3:0x40
	v_dual_cndmask_b32 v16, v16, v29 :: v_dual_cndmask_b32 v17, v17, v26
	v_add_nc_u32_e32 v19, 0x30c0, v5
	v_ashrrev_i32_e32 v29, 31, v22
	s_delay_alu instid0(VALU_DEP_4) | instskip(NEXT) | instid1(VALU_DEP_4)
	v_lshl_or_b32 v51, v28, 2, v45
	v_cmp_le_u32_e32 vcc_lo, s12, v16
	v_add_nc_u32_e32 v26, 1, v17
	v_add_nc_u32_e32 v7, 0x1040, v5
	v_and_b32_e32 v16, 28, v24
	v_add_nc_u32_e32 v21, 0x38e0, v5
	s_delay_alu instid0(VALU_DEP_4) | instskip(SKIP_3) | instid1(VALU_DEP_4)
	v_dual_cndmask_b32 v22, v17, v26 :: v_dual_add_nc_u32 v23, 0x4100, v5
	v_dual_mov_b32 v17, v9 :: v_dual_lshlrev_b32 v52, 5, v18
	v_add_nc_u32_e32 v18, s20, v10
	v_cmp_gt_u32_e32 vcc_lo, 4, v3
	v_dual_add_nc_u32 v56, v47, v24 :: v_dual_bitop2_b32 v26, v22, v29 bitop3:0x14
	s_delay_alu instid0(VALU_DEP_3) | instskip(SKIP_1) | instid1(VALU_DEP_3)
	v_dual_add_nc_u32 v34, 32, v3 :: v_dual_add_nc_u32 v20, s20, v18
	v_add_nc_u64_e32 v[30:31], s[2:3], v[16:17]
	v_sub_nc_u32_e32 v28, v26, v29
	v_and_b32_e32 v17, 0x1fc, v32
	v_add_nc_u32_e32 v27, 0x4920, v5
	v_dual_add_nc_u32 v22, s20, v20 :: v_dual_add_nc_u32 v29, 64, v3
	s_delay_alu instid0(VALU_DEP_4) | instskip(SKIP_2) | instid1(VALU_DEP_4)
	v_cmp_gt_i32_e64 s0, s4, v28
	v_mul_lo_u32 v28, v28, s5
	v_add_nc_u32_e32 v33, 0x5140, v5
	v_add_nc_u32_e32 v24, s20, v22
	v_lshrrev_b32_e32 v59, 3, v34
	v_and_b32_e32 v29, 0x1fc, v29
	v_and_b32_e32 v34, 0x1fc, v34
	v_add_nc_u32_e32 v35, 0x5960, v5
	v_dual_add_nc_u32 v26, s20, v24 :: v_dual_lshlrev_b32 v16, 5, v3
	v_add_nc_u32_e32 v69, v40, v42
	v_add_nc_u32_e32 v37, 0x6180, v5
	;; [unrolled: 1-line block ×3, first 2 shown]
	s_delay_alu instid0(VALU_DEP_4) | instskip(SKIP_1) | instid1(VALU_DEP_2)
	v_dual_add_nc_u32 v32, s20, v26 :: v_dual_add_nc_u32 v17, v16, v17
	v_dual_add_nc_u32 v38, v16, v29 :: v_dual_add_nc_u32 v53, v16, v34
	;; [unrolled: 1-line block ×3, first 2 shown]
	v_ashrrev_i32_e32 v29, 31, v28
	s_delay_alu instid0(VALU_DEP_3)
	v_add_nc_u32_e32 v61, 0x8a00, v38
	v_add_nc_u32_e32 v65, 0x8a10, v38
	;; [unrolled: 1-line block ×6, first 2 shown]
	v_mul_u32_u24_e32 v58, 0x104, v3
	v_add_nc_u32_e32 v42, s19, v14
	v_dual_add_nc_u32 v36, s20, v34 :: v_dual_add_nc_u32 v72, v50, v52
	v_add_nc_u32_e32 v60, 0x8e00, v17
	v_add_nc_u32_e32 v62, 0x8600, v53
	s_delay_alu instid0(VALU_DEP_3)
	v_dual_add_nc_u32 v71, v48, v49 :: v_dual_add_nc_u32 v38, s20, v36
	v_add_nc_u32_e32 v46, s19, v42
	v_add_nc_u32_e32 v63, 0x8200, v16
	;; [unrolled: 1-line block ×6, first 2 shown]
	v_mad_u32_u24 v68, 0x104, v3, s1
	v_dual_mov_b32 v49, v9 :: v_dual_mov_b32 v16, v9
	s_delay_alu instid0(VALU_DEP_4) | instskip(SKIP_3) | instid1(VALU_DEP_2)
	v_dual_add_nc_u32 v44, s20, v40 :: v_dual_add_nc_u32 v50, s19, v46
	v_mov_b32_e32 v17, v9
	s_mul_u64 s[14:15], s[14:15], 22
	s_and_b32 s19, vcc_lo, s0
	v_add_nc_u32_e32 v48, s20, v44
	s_add_nc_u64 s[14:15], s[16:17], s[14:15]
	s_mov_b32 s12, s13
	s_branch .LBB201_5
.LBB201_4:                              ;   in Loop: Header=BB201_5 Depth=1
	s_add_co_i32 s12, s12, 8
	s_delay_alu instid0(SALU_CYCLE_1)
	s_cmp_ge_i32 s12, s10
	s_cbranch_scc1 .LBB201_21
.LBB201_5:                              ; =>This Loop Header: Depth=1
                                        ;     Child Loop BB201_11 Depth 2
                                        ;     Child Loop BB201_19 Depth 2
	s_mul_u64 s[16:17], s[12:13], 22
	s_delay_alu instid0(SALU_CYCLE_1) | instskip(NEXT) | instid1(SALU_CYCLE_1)
	s_add_nc_u64 s[16:17], s[14:15], s[16:17]
	v_mad_nc_u64_u32 v[52:53], v6, 22, s[16:17]
	s_delay_alu instid0(VALU_DEP_1)
	v_mad_nc_u64_u32 v[54:55], v2, 22, v[52:53]
	v_mad_nc_u64_u32 v[78:79], v18, 22, v[52:53]
	;; [unrolled: 1-line block ×11, first 2 shown]
	s_clause 0x7
	global_load_b32 v93, v[54:55], off offset:2
	global_load_b32 v94, v[74:75], off offset:2
	;; [unrolled: 1-line block ×8, first 2 shown]
	s_wait_xcnt 0x4
	v_add_nc_u64_e32 v[78:79], v[78:79], v[8:9]
	v_add_nc_u64_e32 v[76:77], v[76:77], v[8:9]
	v_add_nc_u64_e32 v[74:75], v[74:75], v[8:9]
	v_add_nc_u64_e32 v[54:55], v[54:55], v[8:9]
	v_mad_nc_u64_u32 v[104:105], v32, 22, v[52:53]
	s_clause 0x3
	global_load_b32 v88, v[78:79], off offset:6
	global_load_b32 v89, v[76:77], off offset:6
	;; [unrolled: 1-line block ×4, first 2 shown]
	s_wait_xcnt 0x0
	v_add_nc_u64_e32 v[54:55], v[86:87], v[8:9]
	v_add_nc_u64_e32 v[74:75], v[84:85], v[8:9]
	;; [unrolled: 1-line block ×4, first 2 shown]
	s_clause 0x3
	global_load_b32 v92, v[54:55], off offset:6
	global_load_b32 v99, v[74:75], off offset:6
	;; [unrolled: 1-line block ×4, first 2 shown]
	s_wait_xcnt 0x3
	v_mad_nc_u64_u32 v[54:55], v12, 22, s[16:17]
	v_mad_nc_u64_u32 v[112:113], v38, 22, v[52:53]
	;; [unrolled: 1-line block ×5, first 2 shown]
	v_add_nc_u64_e32 v[126:127], v[110:111], v[8:9]
	v_add_nc_u64_e32 v[124:125], v[108:109], v[8:9]
	;; [unrolled: 1-line block ×4, first 2 shown]
	s_lshl_b32 s16, s12, 5
	s_wait_xcnt 0x2
	v_mad_nc_u64_u32 v[74:75], v14, 22, v[54:55]
	v_add_nc_u64_e32 v[128:129], v[112:113], v[8:9]
	v_add_nc_u64_e32 v[130:131], v[114:115], v[8:9]
	;; [unrolled: 1-line block ×4, first 2 shown]
	s_cmp_lt_i32 s16, s11
	s_clause 0x10
	global_load_u16 v83, v[74:75], off
	global_load_b32 v80, v[110:111], off offset:2
	global_load_b32 v82, v[108:109], off offset:2
	;; [unrolled: 1-line block ×15, first 2 shown]
	; meta instruction
	; meta instruction
	;; [unrolled: 1-line block ×15, first 2 shown]
	global_load_b32 v78, v[128:129], off offset:6
	s_wait_loadcnt 0x1f
	v_dual_ashrrev_i32 v93, v8, v93 :: v_dual_ashrrev_i32 v94, v8, v94
	s_wait_loadcnt 0x1d
	v_dual_ashrrev_i32 v95, v8, v95 :: v_dual_ashrrev_i32 v96, v8, v96
	;; [unrolled: 2-line block ×4, first 2 shown]
	s_wait_xcnt 0xc
	v_dual_lshlrev_b32 v104, 4, v93 :: v_dual_lshlrev_b32 v105, 11, v93
	v_dual_lshlrev_b32 v106, 18, v93 :: v_dual_lshlrev_b32 v107, 25, v93
	s_wait_xcnt 0x4
	v_dual_lshlrev_b32 v111, 4, v94 :: v_dual_lshlrev_b32 v112, 11, v94
	s_delay_alu instid0(VALU_DEP_3)
	v_dual_lshlrev_b32 v155, 18, v101 :: v_dual_bitop2_b32 v104, 16, v104 bitop3:0x40
	s_wait_loadcnt 0x15
	v_and_b32_e32 v156, 0xf0f0f0f, v91
	v_and_b32_e32 v105, 0x1000, v105
	v_and_b32_e32 v106, 0x100000, v106
	v_and_b32_e32 v107, 0x10000000, v107
	v_dual_lshlrev_b32 v113, 18, v94 :: v_dual_lshlrev_b32 v114, 25, v94
	v_dual_lshlrev_b32 v118, 4, v95 :: v_dual_lshlrev_b32 v119, 11, v95
	;; [unrolled: 1-line block ×4, first 2 shown]
	v_dual_lshlrev_b32 v157, 25, v101 :: v_dual_lshrrev_b32 v158, 12, v101
	v_or3_b32 v104, v104, v156, v105
	v_lshrrev_b32_e32 v105, 5, v101
	v_or3_b32 v106, v156, v106, v107
	v_dual_lshlrev_b32 v107, 2, v101 :: v_dual_lshlrev_b32 v101, 9, v101
	v_and_b32_e32 v111, 16, v111
	v_and_b32_e32 v156, 0xf0f0f0f, v90
	v_and_b32_e32 v112, 0x1000, v112
	v_dual_lshrrev_b32 v108, 12, v93 :: v_dual_lshrrev_b32 v109, 5, v93
	v_dual_lshlrev_b32 v110, 2, v93 :: v_dual_lshlrev_b32 v93, 9, v93
	v_dual_lshrrev_b32 v115, 12, v94 :: v_dual_lshrrev_b32 v116, 5, v94
	v_dual_lshlrev_b32 v117, 2, v94 :: v_dual_lshlrev_b32 v94, 9, v94
	v_dual_lshlrev_b32 v125, 4, v96 :: v_dual_lshlrev_b32 v126, 11, v96
	s_wait_xcnt 0x0
	v_dual_lshlrev_b32 v127, 18, v96 :: v_dual_lshlrev_b32 v128, 25, v96
	v_dual_lshrrev_b32 v91, 4, v91 :: v_dual_lshrrev_b32 v90, 4, v90
	v_and_b32_e32 v113, 0x100000, v113
	v_and_b32_e32 v114, 0x10000000, v114
	v_or3_b32 v111, v111, v156, v112
	v_and_b32_e32 v112, 0xf0f0f0f, v89
	v_and_b32_e32 v118, 16, v118
	;; [unrolled: 1-line block ×5, first 2 shown]
	v_dual_lshrrev_b32 v122, 12, v95 :: v_dual_lshrrev_b32 v123, 5, v95
	v_dual_lshlrev_b32 v124, 2, v95 :: v_dual_lshlrev_b32 v95, 9, v95
	v_dual_lshrrev_b32 v129, 12, v96 :: v_dual_lshrrev_b32 v130, 5, v96
	v_dual_lshlrev_b32 v131, 2, v96 :: v_dual_lshlrev_b32 v96, 9, v96
	v_dual_lshlrev_b32 v132, 4, v97 :: v_dual_lshlrev_b32 v133, 11, v97
	;; [unrolled: 1-line block ×3, first 2 shown]
	v_dual_lshrrev_b32 v136, 12, v97 :: v_dual_lshrrev_b32 v137, 5, v97
	v_dual_lshlrev_b32 v138, 2, v97 :: v_dual_lshlrev_b32 v97, 9, v97
	v_dual_lshlrev_b32 v139, 4, v98 :: v_dual_lshlrev_b32 v140, 11, v98
	;; [unrolled: 1-line block ×3, first 2 shown]
	v_lshrrev_b32_e32 v89, 4, v89
	v_or3_b32 v113, v156, v113, v114
	v_and_b32_e32 v114, 0xf0f0f0f, v88
	v_lshrrev_b32_e32 v88, 4, v88
	s_wait_loadcnt 0x11
	v_and_b32_e32 v156, 0xf0f0f0f, v103
	v_lshrrev_b32_e32 v103, 4, v103
	v_or3_b32 v118, v118, v112, v119
	v_or3_b32 v112, v112, v120, v121
	v_and_b32_e32 v121, 0xf0f0f0f, v92
	v_dual_lshrrev_b32 v92, 4, v92 :: v_dual_bitop2_b32 v115, 16, v115 bitop3:0x40
	v_and_b32_e32 v108, 16, v108
	v_and_b32_e32 v109, 0x1000, v109
	;; [unrolled: 1-line block ×13, first 2 shown]
	v_dual_lshrrev_b32 v143, 12, v98 :: v_dual_lshrrev_b32 v144, 5, v98
	v_dual_lshlrev_b32 v145, 2, v98 :: v_dual_lshlrev_b32 v98, 9, v98
	v_dual_lshlrev_b32 v146, 4, v100 :: v_dual_lshlrev_b32 v147, 11, v100
	v_dual_lshlrev_b32 v148, 18, v100 :: v_dual_lshlrev_b32 v149, 25, v100
	v_dual_lshrrev_b32 v150, 12, v100 :: v_dual_lshrrev_b32 v151, 5, v100
	v_dual_lshlrev_b32 v152, 2, v100 :: v_dual_lshlrev_b32 v100, 9, v100
	v_and_b32_e32 v119, 0xf0f0f0f, v102
	v_lshrrev_b32_e32 v102, 4, v102
	v_and_b32_e32 v120, 0xf0f0f0f, v99
	v_dual_lshrrev_b32 v99, 4, v99 :: v_dual_bitop2_b32 v122, 16, v122 bitop3:0x40
	v_and_b32_e32 v123, 0x1000, v123
	v_and_b32_e32 v124, 0x100000, v124
	;; [unrolled: 1-line block ×16, first 2 shown]
	v_or3_b32 v108, v108, v91, v109
	v_or3_b32 v91, v91, v110, v93
	;; [unrolled: 1-line block ×4, first 2 shown]
	v_dual_lshrrev_b32 v110, 16, v112 :: v_dual_bitop2_b32 v139, 16, v139 bitop3:0x40
	v_or3_b32 v125, v125, v114, v126
	v_or3_b32 v114, v114, v127, v128
	v_and_b32_e32 v129, 16, v129
	v_and_b32_e32 v137, 0x1000, v137
	;; [unrolled: 1-line block ×14, first 2 shown]
	v_or3_b32 v127, v156, v134, v135
	v_or3_b32 v94, v122, v89, v123
	;; [unrolled: 1-line block ×3, first 2 shown]
	v_and_b32_e32 v143, 16, v143
	v_or3_b32 v95, v129, v88, v130
	v_or3_b32 v88, v88, v131, v96
	v_and_b32_e32 v150, 16, v150
	v_or3_b32 v97, v103, v138, v97
	v_and_b32_e32 v158, 16, v158
	v_lshrrev_b32_e32 v90, 16, v90
	v_or3_b32 v128, v139, v119, v140
	v_or3_b32 v119, v119, v141, v142
	v_and_b32_e32 v136, 16, v136
	v_dual_lshrrev_b32 v122, 16, v127 :: v_dual_bitop2_b32 v132, 16, v132 bitop3:0x40
	v_and_b32_e32 v133, 0x1000, v133
	v_dual_lshrrev_b32 v91, 16, v91 :: v_dual_bitop2_b32 v146, 16, v146 bitop3:0x40
	v_and_b32_e32 v147, 0x1000, v147
	v_and_b32_e32 v154, 0x1000, v154
	v_or3_b32 v98, v102, v145, v98
	v_dual_lshrrev_b32 v119, 16, v119 :: v_dual_bitop2_b32 v153, 16, v153 bitop3:0x40
	v_or3_b32 v96, v136, v103, v137
	v_and_b32_e32 v127, 0x1f00, v93
	v_lshlrev_b16 v93, 8, v93
	v_lshlrev_b16 v129, 8, v108
	v_lshrrev_b32_e32 v89, 16, v89
	v_or3_b32 v103, v143, v102, v144
	v_lshrrev_b32_e32 v88, 16, v88
	v_or3_b32 v102, v150, v99, v151
	v_or3_b32 v99, v99, v152, v100
	v_lshrrev_b32_e32 v97, 16, v97
	v_or3_b32 v100, v158, v92, v105
	v_or3_b32 v92, v92, v107, v101
	v_and_b32_e32 v101, 0x1f00, v104
	v_lshlrev_b16 v104, 8, v104
	v_dual_lshrrev_b32 v105, 16, v106 :: v_dual_lshrrev_b32 v106, 16, v113
	v_lshlrev_b16 v107, 8, v111
	v_or3_b32 v126, v132, v156, v133
	v_or3_b32 v132, v146, v120, v147
	;; [unrolled: 1-line block ×3, first 2 shown]
	v_add_nc_u16 v101, 0xf000, v101
	v_add_nc_u16 v104, 0xf000, v104
	v_and_b32_e32 v134, 0x1f00, v105
	v_lshlrev_b16 v105, 8, v105
	v_and_b32_e32 v135, 0x1f00, v106
	v_lshlrev_b16 v106, 8, v106
	v_add_nc_u16 v107, 0xf000, v107
	v_add_nc_u16 v127, 0xf000, v127
	;; [unrolled: 1-line block ×4, first 2 shown]
	v_lshlrev_b16 v109, 8, v118
	v_lshlrev_b16 v112, 8, v125
	v_lshrrev_b32_e32 v113, 16, v114
	v_and_b32_e32 v114, 0x1f00, v132
	v_lshlrev_b16 v115, 8, v132
	v_and_b32_e32 v116, 0x1f00, v133
	v_lshlrev_b16 v117, 8, v133
	v_lshlrev_b16 v123, 8, v126
	v_and_b32_e32 v130, 0x1f00, v94
	v_lshlrev_b16 v94, 8, v94
	v_and_b32_e32 v141, 0x1f00, v90
	v_lshlrev_b16 v90, 8, v90
	v_perm_b32 v101, v104, v101, 0xc0c0105
	v_add_nc_u16 v104, 0xf000, v134
	v_add_nc_u16 v105, 0xf000, v105
	;; [unrolled: 1-line block ×4, first 2 shown]
	v_lshrrev_b16 v107, 8, v107
	v_perm_b32 v93, v93, v127, 0xc0c0105
	v_lshrrev_b16 v127, 8, v129
	v_add_nc_u16 v109, 0xf000, v109
	v_and_b32_e32 v136, 0x1f00, v110
	v_lshlrev_b16 v110, 8, v110
	v_add_nc_u16 v112, 0xf000, v112
	v_add_nc_u16 v114, 0xf000, v114
	;; [unrolled: 1-line block ×5, first 2 shown]
	v_and_b32_e32 v138, 0x1f00, v122
	v_lshlrev_b16 v122, 8, v122
	v_add_nc_u16 v123, 0xf000, v123
	v_and_b32_e32 v140, 0x1f00, v91
	v_lshlrev_b16 v91, 8, v91
	v_add_nc_u16 v130, 0xf000, v130
	v_add_nc_u16 v94, 0xf000, v94
	v_and_b32_e32 v142, 0x1f00, v89
	v_lshlrev_b16 v89, 8, v89
	v_add_nc_u16 v129, 0xf000, v141
	v_add_nc_u16 v90, 0xf000, v90
	v_perm_b32 v104, v105, v104, 0xc0c0105
	v_perm_b32 v105, v106, v134, 0xc0c0105
	v_bitop3_b16 v106, v111, v107, 0x1f00 bitop3:0xec
	v_bitop3_b16 v108, v108, v127, 0x1f00 bitop3:0xec
	v_lshrrev_b16 v109, 8, v109
	v_and_b32_e32 v131, 0x1f00, v95
	v_lshlrev_b16 v95, 8, v95
	v_add_nc_u16 v135, 0xf000, v136
	v_add_nc_u16 v110, 0xf000, v110
	v_lshrrev_b16 v112, 8, v112
	v_perm_b32 v114, v115, v114, 0xc0c0105
	v_perm_b32 v115, v117, v116, 0xc0c0105
	v_add_nc_u16 v117, 0xf000, v122
	v_lshrrev_b16 v122, 8, v123
	v_add_nc_u16 v123, 0xf000, v140
	v_add_nc_u16 v91, 0xf000, v91
	v_perm_b32 v94, v94, v130, 0xc0c0105
	v_add_nc_u16 v130, 0xf000, v142
	v_add_nc_u16 v89, 0xf000, v89
	v_perm_b32 v90, v90, v129, 0xc0c0105
	v_lshl_or_b32 v101, v104, 16, v101
	v_add_nc_u16 v104, 0xf000, v106
	v_add_nc_u16 v106, 0xf000, v108
	v_bitop3_b16 v107, v118, v109, 0x1f00 bitop3:0xec
	v_and_b32_e32 v137, 0x1f00, v113
	v_lshlrev_b16 v113, 8, v113
	v_add_nc_u16 v131, 0xf000, v131
	v_add_nc_u16 v95, 0xf000, v95
	v_and_b32_e32 v143, 0x1f00, v88
	v_lshlrev_b16 v88, 8, v88
	v_perm_b32 v109, v110, v135, 0xc0c0105
	v_bitop3_b16 v110, v125, v112, 0x1f00 bitop3:0xec
	v_perm_b32 v91, v91, v123, 0xc0c0105
	v_perm_b32 v89, v89, v130, 0xc0c0105
	v_lshl_or_b32 v90, v90, 16, v93
	v_and_b32_e32 v93, 0xffff, v106
	v_add_nc_u16 v107, 0xf000, v107
	v_add_nc_u16 v136, 0xf000, v137
	;; [unrolled: 1-line block ×3, first 2 shown]
	v_perm_b32 v95, v95, v131, 0xc0c0105
	v_add_nc_u16 v131, 0xf000, v143
	v_add_nc_u16 v88, 0xf000, v88
	;; [unrolled: 1-line block ×3, first 2 shown]
	v_and_b32_e32 v132, 0x1f00, v96
	v_lshlrev_b16 v96, 8, v96
	v_lshl_or_b32 v89, v89, 16, v94
	v_and_b32_e32 v94, 0xffff, v104
	v_lshl_or_b32 v91, v91, 16, v93
	v_and_b32_e32 v104, 0xffff, v107
	v_perm_b32 v111, v113, v136, 0xc0c0105
	v_perm_b32 v88, v88, v131, 0xc0c0105
	v_and_b32_e32 v106, 0xffff, v108
	v_and_b32_e32 v148, 0x100000, v148
	;; [unrolled: 1-line block ×3, first 2 shown]
	v_lshlrev_b16 v124, 8, v128
	v_and_b32_e32 v139, 0x1f00, v119
	v_lshlrev_b16 v119, 8, v119
	v_add_nc_u16 v132, 0xf000, v132
	v_add_nc_u16 v96, 0xf000, v96
	v_and_b32_e32 v144, 0x1f00, v97
	v_lshlrev_b16 v97, 8, v97
	v_lshl_or_b32 v93, v105, 16, v94
	ds_store_2addr_b32 v5, v101, v91 offset1:1
	v_add_nc_u32_e32 v91, 0x820, v5
	v_lshl_or_b32 v94, v109, 16, v104
	v_lshl_or_b32 v88, v88, 16, v95
	;; [unrolled: 1-line block ×3, first 2 shown]
	v_or3_b32 v120, v120, v148, v149
	v_perm_b32 v96, v96, v132, 0xc0c0105
	v_add_nc_u16 v132, 0xf000, v144
	v_add_nc_u16 v97, 0xf000, v97
	ds_store_2addr_b32 v91, v93, v90 offset1:1
	ds_store_2addr_b32 v7, v94, v89 offset1:1
	;; [unrolled: 1-line block ×3, first 2 shown]
	v_add_nc_u16 v88, 0xf000, v139
	v_lshrrev_b32_e32 v89, 16, v98
	v_add_nc_u16 v90, 0xf000, v119
	v_add_nc_u16 v93, 0xf000, v124
	v_and_b32_e32 v133, 0x1f00, v103
	v_lshlrev_b16 v103, 8, v103
	v_perm_b32 v94, v97, v132, 0xc0c0105
	v_and_b32_e32 v95, 0x1f00, v89
	v_perm_b32 v88, v90, v88, 0xc0c0105
	v_lshlrev_b16 v89, 8, v89
	v_lshrrev_b16 v90, 8, v93
	v_dual_lshrrev_b32 v93, 16, v120 :: v_dual_lshrrev_b32 v97, 16, v99
	v_lshlrev_b16 v98, 8, v102
	v_and_b32_e32 v155, 0x100000, v155
	v_and_b32_e32 v157, 0x10000000, v157
	v_add_nc_u16 v133, 0xf000, v133
	v_add_nc_u16 v103, 0xf000, v103
	v_add_nc_u16 v95, 0xf000, v95
	v_add_nc_u16 v89, 0xf000, v89
	v_and_b32_e32 v99, 0x1f00, v93
	v_lshlrev_b16 v93, 8, v93
	v_and_b32_e32 v101, 0x1f00, v97
	v_lshlrev_b16 v97, 8, v97
	v_add_nc_u16 v98, 0xf000, v98
	v_or3_b32 v121, v121, v155, v157
	v_perm_b32 v103, v103, v133, 0xc0c0105
	v_bitop3_b16 v91, v126, v122, 0x1f00 bitop3:0xec
	v_add_nc_u16 v99, 0xf000, v99
	v_add_nc_u16 v93, 0xf000, v93
	;; [unrolled: 1-line block ×4, first 2 shown]
	v_lshrrev_b16 v98, 8, v98
	v_bitop3_b16 v90, v128, v90, 0x1f00 bitop3:0xec
	v_perm_b32 v89, v89, v95, 0xc0c0105
	v_perm_b32 v93, v93, v99, 0xc0c0105
	;; [unrolled: 1-line block ×3, first 2 shown]
	v_bitop3_b16 v97, v102, v98, 0x1f00 bitop3:0xec
	v_add_nc_u16 v91, 0xf000, v91
	v_lshl_or_b32 v94, v94, 16, v96
	v_dual_lshrrev_b32 v96, 16, v121 :: v_dual_lshrrev_b32 v92, 16, v92
	v_lshl_or_b32 v98, v89, 16, v103
	v_add_nc_u16 v89, 0xf000, v90
	v_and_b32_e32 v90, 0xffff, v91
	v_lshl_or_b32 v91, v93, 16, v114
	v_and_b32_e32 v93, 0x1f00, v96
	v_lshlrev_b16 v96, 8, v96
	v_and_b32_e32 v89, 0xffff, v89
	v_lshlrev_b16 v99, 8, v100
	s_wait_loadcnt 0xc
	v_ashrrev_i32_e32 v87, v8, v87
	v_add_nc_u16 v93, 0xf000, v93
	v_add_nc_u16 v96, 0xf000, v96
	v_lshl_or_b32 v101, v88, 16, v89
	v_add_nc_u16 v88, 0xf000, v97
	v_add_nc_u16 v89, 0xf000, v99
	v_lshlrev_b32_e32 v97, 4, v87
	v_perm_b32 v93, v96, v93, 0xc0c0105
	v_and_b32_e32 v96, 0x1f00, v92
	v_lshlrev_b16 v92, 8, v92
	v_lshrrev_b16 v89, 8, v89
	v_dual_lshlrev_b32 v99, 11, v87 :: v_dual_bitop2_b32 v97, 16, v97 bitop3:0x40
	v_and_b32_e32 v88, 0xffff, v88
	v_add_nc_u16 v96, 0xf000, v96
	s_delay_alu instid0(VALU_DEP_4)
	v_bitop3_b16 v89, v100, v89, 0x1f00 bitop3:0xec
	v_add_nc_u16 v92, 0xf000, v92
	v_and_b32_e32 v99, 0x1000, v99
	s_wait_loadcnt 0x8
	v_and_b32_e32 v100, 0xf0f0f0f, v86
	v_lshl_or_b32 v95, v95, 16, v88
	v_lshrrev_b32_e32 v86, 4, v86
	v_perm_b32 v88, v92, v96, 0xc0c0105
	v_lshrrev_b32_e32 v96, 12, v87
	v_or3_b32 v92, v97, v100, v99
	v_dual_lshrrev_b32 v97, 5, v87 :: v_dual_lshlrev_b32 v99, 18, v87
	s_delay_alu instid0(VALU_DEP_3) | instskip(SKIP_1) | instid1(VALU_DEP_3)
	v_dual_lshlrev_b32 v102, 25, v87 :: v_dual_bitop2_b32 v96, 16, v96 bitop3:0x40
	v_and_b32_e32 v86, 0xf0f0f0f, v86
	v_and_b32_e32 v97, 0x1000, v97
	v_dual_lshlrev_b32 v103, 2, v87 :: v_dual_lshlrev_b32 v87, 9, v87
	v_and_b32_e32 v99, 0x100000, v99
	v_and_b32_e32 v102, 0x10000000, v102
	s_delay_alu instid0(VALU_DEP_4) | instskip(NEXT) | instid1(VALU_DEP_4)
	v_or3_b32 v96, v96, v86, v97
	v_and_b32_e32 v97, 0x100000, v103
	v_and_b32_e32 v87, 0x10000000, v87
	v_add_nc_u16 v89, 0xf000, v89
	v_or3_b32 v99, v100, v99, v102
	v_lshlrev_b16 v100, 8, v96
	v_and_b32_e32 v102, 0x1f00, v92
	v_or3_b32 v86, v86, v97, v87
	v_lshlrev_b16 v87, 8, v92
	v_lshrrev_b32_e32 v92, 16, v99
	v_add_nc_u16 v97, 0xf000, v100
	v_add_nc_u16 v99, 0xf000, v102
	v_lshrrev_b32_e32 v86, 16, v86
	v_and_b32_e32 v89, 0xffff, v89
	v_add_nc_u16 v116, 0xf000, v138
	v_lshrrev_b16 v97, 8, v97
	v_add_nc_u16 v87, 0xf000, v87
	v_and_b32_e32 v102, 0x1f00, v86
	v_lshlrev_b16 v86, 8, v86
	v_and_b32_e32 v100, 0x1f00, v92
	v_bitop3_b16 v96, v96, v97, 0x1f00 bitop3:0xec
	v_lshlrev_b16 v92, 8, v92
	v_add_nc_u16 v97, 0xf000, v102
	v_add_nc_u16 v86, 0xf000, v86
	v_lshl_or_b32 v102, v88, 16, v89
	v_add_nc_u16 v88, 0xf000, v96
	v_perm_b32 v104, v117, v116, 0xc0c0105
	v_perm_b32 v96, v87, v99, 0xc0c0105
	;; [unrolled: 1-line block ×3, first 2 shown]
	v_mad_nc_u64_u32 v[86:87], v42, 22, v[54:55]
	v_add_nc_u16 v100, 0xf000, v100
	v_add_nc_u16 v92, 0xf000, v92
	v_and_b32_e32 v99, 0xffff, v88
	v_mad_nc_u64_u32 v[88:89], v46, 22, v[54:55]
	v_mad_nc_u64_u32 v[54:55], v50, 22, v[54:55]
	v_lshl_or_b32 v90, v104, 16, v90
	v_perm_b32 v92, v92, v100, 0xc0c0105
	v_lshl_or_b32 v93, v93, 16, v115
	ds_store_2addr_b32 v13, v90, v94 offset1:1
	ds_store_2addr_b32 v15, v101, v98 offset1:1
	;; [unrolled: 1-line block ×4, first 2 shown]
	v_lshl_or_b32 v90, v92, 16, v96
	v_lshl_or_b32 v91, v97, 16, v99
	s_clause 0x2
	global_load_u16 v95, v[86:87], off
	global_load_u16 v96, v[88:89], off
	;; [unrolled: 1-line block ×3, first 2 shown]
	v_ashrrev_i32_e32 v85, v8, v85
	v_and_b32_e32 v94, 0xf0f0f0f, v84
	v_ashrrev_i32_e32 v82, v8, v82
	ds_store_2addr_b32 v23, v90, v91 offset1:1
	v_dual_ashrrev_i32 v80, v8, v80 :: v_dual_lshlrev_b32 v100, 4, v85
	s_wait_loadcnt 0x7
	v_dual_ashrrev_i32 v77, v8, v77 :: v_dual_ashrrev_i32 v76, v8, v76
	v_dual_ashrrev_i32 v74, v8, v74 :: v_dual_ashrrev_i32 v53, v8, v53
	s_delay_alu instid0(VALU_DEP_3) | instskip(SKIP_4) | instid1(VALU_DEP_3)
	v_and_b32_e32 v92, 16, v100
	s_wait_xcnt 0x0
	v_dual_lshrrev_b32 v54, 4, v84 :: v_dual_lshrrev_b32 v55, 12, v85
	v_dual_lshrrev_b32 v84, 5, v85 :: v_dual_lshlrev_b32 v87, 18, v85
	v_lshlrev_b32_e32 v103, 11, v85
	v_and_b32_e32 v54, 0xf0f0f0f, v54
	s_delay_alu instid0(VALU_DEP_4) | instskip(NEXT) | instid1(VALU_DEP_4)
	v_dual_lshlrev_b32 v88, 25, v85 :: v_dual_bitop2_b32 v55, 16, v55 bitop3:0x40
	v_and_b32_e32 v84, 0x1000, v84
	s_delay_alu instid0(VALU_DEP_4) | instskip(SKIP_2) | instid1(VALU_DEP_4)
	v_and_b32_e32 v93, 0x1000, v103
	v_dual_lshlrev_b32 v89, 2, v85 :: v_dual_lshlrev_b32 v85, 9, v85
	v_and_b32_e32 v87, 0x100000, v87
	v_or3_b32 v55, v55, v54, v84
	s_delay_alu instid0(VALU_DEP_4)
	v_or3_b32 v86, v92, v94, v93
	v_and_b32_e32 v84, 0x10000000, v88
	v_and_b32_e32 v88, 0x100000, v89
	;; [unrolled: 1-line block ×3, first 2 shown]
	v_lshlrev_b16 v89, 8, v55
	v_cvt_f32_f16_e32 v83, v83
	v_or3_b32 v84, v94, v87, v84
	v_and_b32_e32 v87, 0x1f00, v86
	v_or3_b32 v54, v54, v88, v85
	v_lshlrev_b16 v85, 8, v86
	v_add_nc_u16 v86, 0xf000, v89
	v_lshrrev_b32_e32 v84, 16, v84
	v_add_nc_u16 v87, 0xf000, v87
	v_lshrrev_b32_e32 v54, 16, v54
	v_add_nc_u16 v85, 0xf000, v85
	v_lshrrev_b16 v86, 8, v86
	v_and_b32_e32 v88, 0x1f00, v84
	v_lshlrev_b16 v84, 8, v84
	v_and_b32_e32 v89, 0x1f00, v54
	v_lshlrev_b16 v54, 8, v54
	v_bitop3_b16 v55, v55, v86, 0x1f00 bitop3:0xec
	v_add_nc_u16 v86, 0xf000, v88
	v_add_nc_u16 v84, 0xf000, v84
	;; [unrolled: 1-line block ×5, first 2 shown]
	v_perm_b32 v85, v85, v87, 0xc0c0105
	v_perm_b32 v84, v84, v86, 0xc0c0105
	v_lshlrev_b32_e32 v86, 4, v82
	v_perm_b32 v54, v54, v88, 0xc0c0105
	v_and_b32_e32 v55, 0xffff, v55
	v_lshlrev_b32_e32 v89, 4, v80
	v_lshl_or_b32 v84, v84, 16, v85
	v_lshlrev_b32_e32 v90, 11, v80
	s_delay_alu instid0(VALU_DEP_4)
	v_lshl_or_b32 v54, v54, 16, v55
	v_and_b32_e32 v55, 16, v86
	v_and_b32_e32 v86, 0xf0f0f0f, v81
	v_dual_lshrrev_b32 v81, 4, v81 :: v_dual_lshlrev_b32 v87, 11, v82
	v_lshlrev_b32_e32 v88, 25, v82
	ds_store_2addr_b32 v27, v84, v54 offset1:1
	v_and_b32_e32 v81, 0xf0f0f0f, v81
	v_and_b32_e32 v85, 0x1000, v87
	v_lshlrev_b32_e32 v87, 18, v82
	v_and_b32_e32 v84, 0x10000000, v88
	v_lshlrev_b32_e32 v88, 2, v82
	s_delay_alu instid0(VALU_DEP_4) | instskip(NEXT) | instid1(VALU_DEP_4)
	v_or3_b32 v54, v55, v86, v85
	v_and_b32_e32 v55, 0x100000, v87
	v_dual_lshrrev_b32 v85, 12, v82 :: v_dual_lshrrev_b32 v87, 5, v82
	v_lshlrev_b32_e32 v82, 9, v82
	v_and_b32_e32 v88, 0x100000, v88
	s_delay_alu instid0(VALU_DEP_4) | instskip(NEXT) | instid1(VALU_DEP_4)
	v_or3_b32 v55, v86, v55, v84
	v_and_b32_e32 v85, 16, v85
	v_and_b32_e32 v87, 0x1000, v87
	;; [unrolled: 1-line block ×4, first 2 shown]
	v_lshrrev_b32_e32 v79, 4, v79
	s_delay_alu instid0(VALU_DEP_4) | instskip(NEXT) | instid1(VALU_DEP_4)
	v_or3_b32 v84, v85, v81, v87
	v_or3_b32 v81, v81, v88, v82
	v_and_b32_e32 v82, 16, v89
	v_and_b32_e32 v85, 0x1000, v90
	v_dual_lshlrev_b32 v87, 18, v80 :: v_dual_lshlrev_b32 v88, 25, v80
	v_dual_lshrrev_b32 v89, 12, v80 :: v_dual_lshrrev_b32 v90, 5, v80
	v_and_b32_e32 v79, 0xf0f0f0f, v79
	s_delay_alu instid0(VALU_DEP_3) | instskip(NEXT) | instid1(VALU_DEP_4)
	v_and_b32_e32 v87, 0x100000, v87
	v_and_b32_e32 v88, 0x10000000, v88
	s_delay_alu instid0(VALU_DEP_4) | instskip(SKIP_4) | instid1(VALU_DEP_4)
	v_and_b32_e32 v89, 16, v89
	v_and_b32_e32 v90, 0x1000, v90
	v_dual_lshrrev_b32 v55, 16, v55 :: v_dual_lshrrev_b32 v81, 16, v81
	v_or3_b32 v82, v82, v86, v85
	v_or3_b32 v85, v86, v87, v88
	;; [unrolled: 1-line block ×3, first 2 shown]
	v_and_b32_e32 v88, 0x1f00, v54
	v_lshlrev_b16 v54, 8, v54
	v_and_b32_e32 v89, 0x1f00, v55
	v_lshlrev_b16 v55, 8, v55
	v_lshlrev_b16 v90, 8, v84
	v_dual_lshlrev_b32 v86, 2, v80 :: v_dual_lshlrev_b32 v80, 9, v80
	v_add_nc_u16 v88, 0xf000, v88
	v_add_nc_u16 v54, 0xf000, v54
	;; [unrolled: 1-line block ×4, first 2 shown]
	v_and_b32_e32 v91, 0x1f00, v81
	v_lshlrev_b16 v81, 8, v81
	v_add_nc_u16 v90, 0xf000, v90
	v_and_b32_e32 v86, 0x100000, v86
	v_and_b32_e32 v80, 0x10000000, v80
	v_perm_b32 v54, v54, v88, 0xc0c0105
	v_perm_b32 v55, v55, v89, 0xc0c0105
	v_add_nc_u16 v88, 0xf000, v91
	v_add_nc_u16 v81, 0xf000, v81
	v_lshrrev_b16 v89, 8, v90
	v_or3_b32 v79, v79, v86, v80
	v_lshl_or_b32 v54, v55, 16, v54
	v_lshrrev_b32_e32 v55, 16, v85
	v_perm_b32 v80, v81, v88, 0xc0c0105
	v_bitop3_b16 v81, v84, v89, 0x1f00 bitop3:0xec
	v_and_b32_e32 v84, 0x1f00, v82
	v_lshlrev_b16 v82, 8, v82
	v_lshlrev_b16 v86, 8, v87
	v_lshrrev_b32_e32 v79, 16, v79
	v_and_b32_e32 v85, 0x1f00, v55
	v_lshlrev_b16 v55, 8, v55
	v_add_nc_u16 v84, 0xf000, v84
	v_add_nc_u16 v82, 0xf000, v82
	;; [unrolled: 1-line block ×6, first 2 shown]
	v_perm_b32 v82, v82, v84, 0xc0c0105
	v_lshrrev_b16 v84, 8, v86
	s_delay_alu instid0(VALU_DEP_4) | instskip(NEXT) | instid1(VALU_DEP_4)
	v_perm_b32 v55, v55, v85, 0xc0c0105
	v_and_b32_e32 v81, 0xffff, v81
	v_and_b32_e32 v85, 0x1f00, v79
	v_lshlrev_b16 v79, 8, v79
	v_bitop3_b16 v84, v87, v84, 0x1f00 bitop3:0xec
	s_wait_loadcnt 0x3
	v_and_b32_e32 v87, 0xf0f0f0f, v78
	v_lshl_or_b32 v80, v80, 16, v81
	v_add_nc_u16 v81, 0xf000, v85
	v_add_nc_u16 v79, 0xf000, v79
	;; [unrolled: 1-line block ×3, first 2 shown]
	v_dual_lshrrev_b32 v78, 4, v78 :: v_dual_lshlrev_b32 v85, 4, v77
	v_lshlrev_b32_e32 v86, 11, v77
	v_lshl_or_b32 v55, v55, 16, v82
	v_perm_b32 v79, v79, v81, 0xc0c0105
	v_and_b32_e32 v81, 0xffff, v84
	v_and_b32_e32 v82, 16, v85
	v_and_b32_e32 v84, 0x1000, v86
	v_dual_lshlrev_b32 v85, 18, v77 :: v_dual_lshlrev_b32 v86, 25, v77
	v_dual_lshrrev_b32 v88, 12, v77 :: v_dual_lshrrev_b32 v89, 5, v77
	v_and_b32_e32 v78, 0xf0f0f0f, v78
	s_delay_alu instid0(VALU_DEP_3) | instskip(NEXT) | instid1(VALU_DEP_4)
	v_and_b32_e32 v85, 0x100000, v85
	v_and_b32_e32 v86, 0x10000000, v86
	s_delay_alu instid0(VALU_DEP_4)
	v_dual_lshlrev_b32 v90, 2, v77 :: v_dual_bitop2_b32 v88, 16, v88 bitop3:0x40
	v_lshlrev_b32_e32 v77, 9, v77
	v_and_b32_e32 v89, 0x1000, v89
	v_or3_b32 v82, v82, v87, v84
	v_or3_b32 v84, v87, v85, v86
	v_and_b32_e32 v85, 0x100000, v90
	v_and_b32_e32 v77, 0x10000000, v77
	v_or3_b32 v86, v88, v78, v89
	v_lshl_or_b32 v79, v79, 16, v81
	v_lshrrev_b32_e32 v84, 16, v84
	v_and_b32_e32 v81, 0x1f00, v82
	v_or3_b32 v77, v78, v85, v77
	v_lshlrev_b16 v78, 8, v86
	v_lshlrev_b16 v82, 8, v82
	v_and_b32_e32 v85, 0x1f00, v84
	v_lshlrev_b16 v84, 8, v84
	v_add_nc_u16 v81, 0xf000, v81
	v_add_nc_u16 v78, 0xf000, v78
	;; [unrolled: 1-line block ×3, first 2 shown]
	v_lshrrev_b32_e32 v77, 16, v77
	v_add_nc_u16 v85, 0xf000, v85
	v_add_nc_u16 v84, 0xf000, v84
	v_lshrrev_b16 v78, 8, v78
	v_perm_b32 v81, v82, v81, 0xc0c0105
	ds_store_2addr_b32 v33, v54, v80 offset1:1
	v_dual_lshlrev_b32 v87, 18, v74 :: v_dual_lshlrev_b32 v88, 25, v74
	v_bitop3_b16 v78, v86, v78, 0x1f00 bitop3:0xec
	v_perm_b32 v84, v84, v85, 0xc0c0105
	v_and_b32_e32 v85, 0xf0f0f0f, v75
	v_dual_lshrrev_b32 v75, 4, v75 :: v_dual_lshlrev_b32 v89, 4, v53
	v_lshlrev_b32_e32 v90, 11, v53
	v_add_nc_u16 v54, 0xf000, v78
	v_lshlrev_b32_e32 v78, 4, v76
	v_and_b32_e32 v82, 0x1f00, v77
	v_lshlrev_b16 v77, 8, v77
	v_lshl_or_b32 v80, v84, 16, v81
	s_delay_alu instid0(VALU_DEP_4) | instskip(NEXT) | instid1(VALU_DEP_4)
	v_dual_lshlrev_b32 v81, 11, v76 :: v_dual_bitop2_b32 v78, 16, v78 bitop3:0x40
	v_add_nc_u16 v82, 0xf000, v82
	s_delay_alu instid0(VALU_DEP_4) | instskip(SKIP_3) | instid1(VALU_DEP_4)
	v_add_nc_u16 v77, 0xf000, v77
	v_and_b32_e32 v54, 0xffff, v54
	v_lshlrev_b32_e32 v84, 25, v76
	v_and_b32_e32 v81, 0x1000, v81
	v_perm_b32 v77, v77, v82, 0xc0c0105
	v_lshlrev_b32_e32 v82, 18, v76
	s_delay_alu instid0(VALU_DEP_3) | instskip(SKIP_1) | instid1(VALU_DEP_4)
	v_or3_b32 v78, v78, v85, v81
	v_lshrrev_b32_e32 v81, 12, v76
	v_lshl_or_b32 v54, v77, 16, v54
	s_delay_alu instid0(VALU_DEP_4) | instskip(SKIP_4) | instid1(VALU_DEP_4)
	v_and_b32_e32 v77, 0x100000, v82
	v_and_b32_e32 v82, 0x10000000, v84
	v_lshrrev_b32_e32 v84, 5, v76
	v_and_b32_e32 v75, 0xf0f0f0f, v75
	v_and_b32_e32 v81, 16, v81
	v_or3_b32 v77, v85, v77, v82
	s_delay_alu instid0(VALU_DEP_4) | instskip(SKIP_2) | instid1(VALU_DEP_3)
	v_and_b32_e32 v82, 0x1000, v84
	v_dual_lshlrev_b32 v84, 2, v76 :: v_dual_lshlrev_b32 v76, 9, v76
	v_dual_lshlrev_b32 v85, 4, v74 :: v_dual_lshlrev_b32 v86, 11, v74
	v_or3_b32 v81, v81, v75, v82
	s_delay_alu instid0(VALU_DEP_3) | instskip(NEXT) | instid1(VALU_DEP_4)
	v_and_b32_e32 v82, 0x100000, v84
	v_and_b32_e32 v76, 0x10000000, v76
	s_delay_alu instid0(VALU_DEP_4)
	v_and_b32_e32 v84, 16, v85
	v_and_b32_e32 v85, 0x1000, v86
	;; [unrolled: 1-line block ×3, first 2 shown]
	v_lshrrev_b32_e32 v73, 4, v73
	v_or3_b32 v75, v75, v82, v76
	v_and_b32_e32 v82, 0x100000, v87
	v_lshrrev_b32_e32 v87, 5, v74
	v_or3_b32 v76, v84, v86, v85
	v_and_b32_e32 v84, 0x10000000, v88
	v_dual_lshrrev_b32 v85, 12, v74 :: v_dual_lshlrev_b32 v88, 2, v74
	v_lshlrev_b32_e32 v74, 9, v74
	v_and_b32_e32 v73, 0xf0f0f0f, v73
	v_and_b32_e32 v87, 0x1000, v87
	s_delay_alu instid0(VALU_DEP_4)
	v_and_b32_e32 v85, 16, v85
	v_and_b32_e32 v88, 0x100000, v88
	;; [unrolled: 1-line block ×3, first 2 shown]
	v_or3_b32 v82, v86, v82, v84
	v_and_b32_e32 v86, 0xf0f0f0f, v52
	v_lshrrev_b32_e32 v52, 4, v52
	v_or3_b32 v84, v85, v73, v87
	v_or3_b32 v73, v73, v88, v74
	v_dual_lshlrev_b32 v87, 18, v53 :: v_dual_lshlrev_b32 v88, 25, v53
	v_dual_lshrrev_b32 v75, 16, v75 :: v_dual_bitop2_b32 v74, 16, v89 bitop3:0x40
	v_and_b32_e32 v85, 0x1000, v90
	v_dual_lshrrev_b32 v89, 12, v53 :: v_dual_lshrrev_b32 v90, 5, v53
	s_delay_alu instid0(VALU_DEP_4) | instskip(SKIP_2) | instid1(VALU_DEP_4)
	v_and_b32_e32 v87, 0x100000, v87
	v_and_b32_e32 v88, 0x10000000, v88
	v_and_b32_e32 v52, 0xf0f0f0f, v52
	v_and_b32_e32 v89, 16, v89
	v_and_b32_e32 v90, 0x1000, v90
	v_or3_b32 v74, v74, v86, v85
	v_or3_b32 v86, v86, v87, v88
	v_lshrrev_b32_e32 v77, 16, v77
	v_and_b32_e32 v88, 0x1f00, v78
	v_or3_b32 v87, v89, v52, v90
	v_lshlrev_b16 v78, 8, v78
	v_lshrrev_b32_e32 v86, 16, v86
	v_and_b32_e32 v89, 0x1f00, v77
	v_lshlrev_b16 v77, 8, v77
	v_dual_lshlrev_b32 v85, 2, v53 :: v_dual_lshlrev_b32 v53, 9, v53
	v_add_nc_u16 v88, 0xf000, v88
	v_add_nc_u16 v78, 0xf000, v78
	;; [unrolled: 1-line block ×4, first 2 shown]
	v_lshlrev_b16 v90, 8, v81
	v_and_b32_e32 v85, 0x100000, v85
	v_and_b32_e32 v53, 0x10000000, v53
	v_perm_b32 v78, v78, v88, 0xc0c0105
	v_perm_b32 v77, v77, v89, 0xc0c0105
	v_add_nc_u16 v88, 0xf000, v90
	v_and_b32_e32 v91, 0x1f00, v75
	v_or3_b32 v52, v52, v85, v53
	v_lshrrev_b32_e32 v73, 16, v73
	v_lshl_or_b32 v53, v77, 16, v78
	v_lshrrev_b32_e32 v78, 16, v82
	v_and_b32_e32 v82, 0x1f00, v76
	v_lshlrev_b16 v76, 8, v76
	v_lshrrev_b16 v77, 8, v88
	v_lshlrev_b16 v88, 8, v84
	v_lshrrev_b32_e32 v52, 16, v52
	v_add_nc_u16 v82, 0xf000, v82
	v_add_nc_u16 v76, 0xf000, v76
	v_bitop3_b16 v77, v81, v77, 0x1f00 bitop3:0xec
	v_and_b32_e32 v81, 0x1f00, v78
	v_lshlrev_b16 v78, 8, v78
	v_and_b32_e32 v85, 0x1f00, v73
	v_lshlrev_b16 v73, 8, v73
	v_perm_b32 v76, v76, v82, 0xc0c0105
	v_lshlrev_b16 v82, 8, v87
	v_add_nc_u16 v81, 0xf000, v81
	v_add_nc_u16 v78, 0xf000, v78
	;; [unrolled: 1-line block ×6, first 2 shown]
	v_perm_b32 v78, v78, v81, 0xc0c0105
	v_lshrrev_b16 v81, 8, v88
	v_lshlrev_b16 v75, 8, v75
	v_perm_b32 v73, v73, v85, 0xc0c0105
	v_and_b32_e32 v85, 0x1f00, v74
	v_lshrrev_b16 v82, 8, v82
	v_bitop3_b16 v81, v84, v81, 0x1f00 bitop3:0xec
	v_lshlrev_b16 v74, 8, v74
	v_and_b32_e32 v88, 0x1f00, v52
	v_add_nc_u16 v84, 0xf000, v85
	v_and_b32_e32 v85, 0x1f00, v86
	v_lshlrev_b16 v86, 8, v86
	v_lshlrev_b16 v52, 8, v52
	v_bitop3_b16 v82, v87, v82, 0x1f00 bitop3:0xec
	v_add_nc_u16 v89, 0xf000, v91
	v_add_nc_u16 v75, 0xf000, v75
	;; [unrolled: 1-line block ×10, first 2 shown]
	v_perm_b32 v75, v75, v89, 0xc0c0105
	v_and_b32_e32 v77, 0xffff, v77
	v_and_b32_e32 v81, 0xffff, v81
	v_perm_b32 v74, v74, v84, 0xc0c0105
	v_perm_b32 v84, v86, v85, 0xc0c0105
	;; [unrolled: 1-line block ×3, first 2 shown]
	v_and_b32_e32 v82, 0xffff, v82
	v_lshl_or_b32 v75, v75, 16, v77
	v_lshl_or_b32 v76, v78, 16, v76
	;; [unrolled: 1-line block ×5, first 2 shown]
	ds_store_2addr_b32 v35, v55, v79 offset1:1
	ds_store_2addr_b32 v37, v80, v54 offset1:1
	;; [unrolled: 1-line block ×5, first 2 shown]
	s_wait_loadcnt 0x2
	v_cvt_f32_f16_e32 v52, v95
	s_wait_loadcnt 0x1
	v_cvt_f32_f16_e32 v53, v96
	s_wait_loadcnt 0x0
	v_cvt_f32_f16_e32 v54, v97
	ds_store_b32 v69, v83
	ds_store_b32 v70, v52
	;; [unrolled: 1-line block ×4, first 2 shown]
	s_cbranch_scc0 .LBB201_4
; %bb.6:                                ;   in Loop: Header=BB201_5 Depth=1
	v_add_nc_u32_e32 v52, s12, v25
	s_delay_alu instid0(VALU_DEP_1) | instskip(SKIP_1) | instid1(SALU_CYCLE_1)
	v_cmp_gt_i32_e64 s1, s5, v52
	s_and_b32 s17, s0, s1
	s_and_saveexec_b32 s1, s17
	s_cbranch_execz .LBB201_8
; %bb.7:                                ;   in Loop: Header=BB201_5 Depth=1
	v_add_nc_u32_e32 v52, v28, v52
	s_delay_alu instid0(VALU_DEP_1)
	v_mad_nc_i64_i32 v[52:53], v52, 36, v[30:31]
	global_load_b32 v52, v[52:53], off offset:4
	s_wait_loadcnt 0x0
	ds_store_b32 v51, v52
.LBB201_8:                              ;   in Loop: Header=BB201_5 Depth=1
	s_or_b32 exec_lo, exec_lo, s1
	v_add_nc_u32_e32 v52, s12, v3
	s_delay_alu instid0(VALU_DEP_1) | instskip(SKIP_1) | instid1(SALU_CYCLE_1)
	v_cmp_gt_i32_e64 s1, s5, v52
	s_and_b32 s17, s19, s1
	s_and_saveexec_b32 s1, s17
	s_cbranch_execz .LBB201_10
; %bb.9:                                ;   in Loop: Header=BB201_5 Depth=1
	v_add_nc_u32_e32 v53, v28, v52
	s_delay_alu instid0(VALU_DEP_1)
	v_mad_nc_i64_i32 v[54:55], v53, 36, s[2:3]
	global_load_b32 v53, v[54:55], off
	s_wait_loadcnt 0x0
	v_cvt_f32_f16_e32 v53, v53
	ds_store_b32 v56, v53
.LBB201_10:                             ;   in Loop: Header=BB201_5 Depth=1
	s_or_b32 exec_lo, exec_lo, s1
	v_dual_mov_b32 v53, v45 :: v_dual_mov_b32 v54, v58
	v_dual_mov_b32 v55, v47 :: v_dual_mov_b32 v73, v63
	;; [unrolled: 1-line block ×3, first 2 shown]
	v_mov_b32_e32 v76, v60
	s_mov_b32 s1, -4
	s_wait_dscnt 0x0
	s_barrier_signal -1
	s_barrier_wait -1
.LBB201_11:                             ;   Parent Loop BB201_5 Depth=1
                                        ; =>  This Inner Loop Header: Depth=2
	ds_load_2addr_b32 v[78:79], v53 offset0:3 offset1:4
	ds_load_2addr_b32 v[80:81], v53 offset0:5 offset1:6
	ds_load_2addr_b32 v[82:83], v54 offset1:1
	ds_load_2addr_b32 v[84:85], v53 offset0:1 offset1:2
	ds_load_2addr_b32 v[86:87], v53 offset1:7
	ds_load_b32 v122, v73
	ds_load_b32 v123, v74
	;; [unrolled: 1-line block ×5, first 2 shown]
	ds_load_2addr_b32 v[92:93], v54 offset0:2 offset1:3
	ds_load_2addr_b32 v[94:95], v54 offset0:4 offset1:5
	;; [unrolled: 1-line block ×3, first 2 shown]
	v_add_nc_u32_e32 v77, 0x2080, v54
	v_add_nc_u32_e32 v91, 0x2088, v54
	;; [unrolled: 1-line block ×11, first 2 shown]
	v_dual_add_nc_u32 v55, 4, v55 :: v_dual_add_nc_u32 v76, 4, v76
	v_add_nc_u32_e32 v75, 4, v75
	s_wait_dscnt 0xc
	v_dual_lshlrev_b32 v129, 24, v79 :: v_dual_lshlrev_b32 v130, 16, v79
	s_wait_dscnt 0x3
	v_dual_mul_f32 v122, v90, v122 :: v_dual_lshlrev_b32 v131, 24, v84
	v_add_nc_u32_e32 v102, 0x2090, v54
	ds_load_2addr_b32 v[98:99], v77 offset1:1
	ds_load_2addr_b32 v[100:101], v91 offset1:1
	;; [unrolled: 1-line block ×12, first 2 shown]
	v_dual_lshlrev_b32 v77, 8, v79 :: v_dual_lshlrev_b32 v124, 8, v80
	v_dual_lshlrev_b32 v132, 16, v84 :: v_dual_lshlrev_b32 v135, 24, v85
	;; [unrolled: 1-line block ×8, first 2 shown]
	v_lshlrev_b32_e32 v141, 24, v87
	v_perm_b32 v143, v80, v84, 0x7030c0c
	v_perm_b32 v146, v130, v129, 0xc0c0703
	v_perm_b32 v147, v79, v77, 0x7030c0c
	v_perm_b32 v148, v132, v131, 0xc0c0703
	v_perm_b32 v149, v134, v133, 0xc0c0703
	s_wait_dscnt 0x3
	v_perm_b32 v130, v114, v130, 0xc0c0503
	v_perm_b32 v132, v134, v132, 0x7030c0c
	s_wait_dscnt 0x2
	v_perm_b32 v134, v117, v116, 0x5010c0c
	v_perm_b32 v154, v86, v115, 0xc0c0501
	;; [unrolled: 1-line block ×5, first 2 shown]
	v_dot4_i32_iu8 v82, v86, v82, 0 neg_lo:[1,1,0]
	v_perm_b32 v144, v81, v85, 0xc0c0703
	v_perm_b32 v145, v87, v78, 0x7030c0c
	v_lshlrev_b32_e32 v142, 16, v87
	v_dot4_i32_iu8 v98, v86, v98, 0 neg_lo:[1,1,0]
	v_dot4_i32_iu8 v106, v86, v106, 0 neg_lo:[1,1,0]
	v_perm_b32 v84, v84, v91, 0x7030c0c
	v_perm_b32 v80, v80, v124, 0x7030c0c
	;; [unrolled: 1-line block ×18, first 2 shown]
	s_wait_dscnt 0x1
	v_perm_b32 v137, v119, v118, 0xc0c0703
	s_wait_dscnt 0x0
	v_perm_b32 v139, v121, v120, 0x7030c0c
	v_or_b32_e32 v130, v132, v130
	v_or_b32_e32 v132, v134, v154
	;; [unrolled: 1-line block ×4, first 2 shown]
	v_perm_b32 v150, v136, v135, 0xc0c0703
	v_or_b32_e32 v135, v145, v144
	v_or_b32_e32 v86, v114, v86
	;; [unrolled: 1-line block ×4, first 2 shown]
	v_dot4_i32_iu8 v79, v79, v134, 0 neg_lo:[1,1,0]
	v_perm_b32 v85, v85, v125, 0x7030c0c
	v_perm_b32 v81, v81, v126, 0x7030c0c
	v_perm_b32 v115, v119, v118, 0xc0c0602
	v_perm_b32 v116, v121, v120, 0x6020c0c
	v_perm_b32 v125, v119, v118, 0xc0c0400
	v_perm_b32 v126, v121, v120, 0x4000c0c
	v_perm_b32 v118, v119, v118, 0xc0c0501
	v_perm_b32 v119, v121, v120, 0x5010c0c
	v_perm_b32 v120, v138, v136, 0xc0c0703
	v_dot4_i32_iu8 v79, v135, v117, v79 neg_lo:[1,1,0]
	v_or_b32_e32 v136, v147, v146
	v_dual_add_nc_u32 v54, 32, v54 :: v_dual_bitop2_b32 v84, v84, v148 bitop3:0x54
	v_or_b32_e32 v80, v80, v149
	v_perm_b32 v121, v142, v140, 0x7030c0c
	s_delay_alu instid0(VALU_DEP_4) | instskip(SKIP_3) | instid1(VALU_DEP_4)
	v_dot4_i32_iu8 v82, v136, v83, v82 neg_lo:[1,1,0]
	v_dot4_i32_iu8 v83, v136, v99, v98 neg_lo:[1,1,0]
	;; [unrolled: 1-line block ×3, first 2 shown]
	v_dual_add_nc_u32 v53, 32, v53 :: v_dual_bitop2_b32 v85, v85, v150 bitop3:0x54
	v_dot4_i32_iu8 v82, v84, v92, v82 neg_lo:[1,1,0]
	s_delay_alu instid0(VALU_DEP_4) | instskip(NEXT) | instid1(VALU_DEP_4)
	v_dot4_i32_iu8 v83, v84, v100, v83 neg_lo:[1,1,0]
	v_dot4_i32_iu8 v84, v84, v108, v98 neg_lo:[1,1,0]
	v_or_b32_e32 v81, v81, v151
	v_or_b32_e32 v129, v131, v129
	v_dot4_i32_iu8 v82, v80, v93, v82 neg_lo:[1,1,0]
	v_dot4_i32_iu8 v83, v80, v101, v83 neg_lo:[1,1,0]
	;; [unrolled: 1-line block ×3, first 2 shown]
	v_or_b32_e32 v131, v133, v157
	v_or_b32_e32 v77, v91, v77
	;; [unrolled: 1-line block ×4, first 2 shown]
	v_dot4_i32_iu8 v106, v130, v132, 0 neg_lo:[1,1,0]
	v_dot4_i32_iu8 v82, v85, v94, v82 neg_lo:[1,1,0]
	;; [unrolled: 1-line block ×4, first 2 shown]
	v_perm_b32 v153, v142, v141, 0xc0c0703
	v_or_b32_e32 v78, v78, v152
	v_or_b32_e32 v91, v116, v115
	v_or_b32_e32 v115, v126, v125
	v_or_b32_e32 v116, v128, v127
	v_dot4_i32_iu8 v77, v77, v86, 0 neg_lo:[1,1,0]
	v_dot4_i32_iu8 v84, v129, v131, 0 neg_lo:[1,1,0]
	;; [unrolled: 1-line block ×6, first 2 shown]
	v_or_b32_e32 v87, v87, v153
	v_dot4_i32_iu8 v77, v114, v91, v77 neg_lo:[1,1,0]
	v_dot4_i32_iu8 v81, v116, v115, v84 neg_lo:[1,1,0]
	v_add_nc_u32_e32 v79, v85, v79
	v_dot4_i32_iu8 v82, v78, v96, v82 neg_lo:[1,1,0]
	v_dot4_i32_iu8 v83, v78, v104, v83 neg_lo:[1,1,0]
	;; [unrolled: 1-line block ×3, first 2 shown]
	v_mul_f32_e32 v84, v90, v123
	v_add3_u32 v77, v81, v77, v79
	v_dot4_i32_iu8 v80, v87, v97, v82 neg_lo:[1,1,0]
	v_dot4_i32_iu8 v82, v87, v105, v83 neg_lo:[1,1,0]
	;; [unrolled: 1-line block ×3, first 2 shown]
	v_pk_mul_f32 v[78:79], v[90:91], v[88:89] op_sel_hi:[0,1]
	v_cvt_f32_i32_e32 v81, v77
	v_cvt_f32_i32_e32 v77, v80
	;; [unrolled: 1-line block ×4, first 2 shown]
	v_dual_add_nc_u32 v74, 4, v74 :: v_dual_add_nc_u32 v73, 4, v73
	s_delay_alu instid0(VALU_DEP_4) | instskip(NEXT) | instid1(VALU_DEP_4)
	v_fmac_f32_e32 v57, v122, v77
	v_fmac_f32_e32 v49, v84, v82
	s_delay_alu instid0(VALU_DEP_4) | instskip(SKIP_1) | instid1(SALU_CYCLE_1)
	v_pk_fma_f32 v[16:17], v[78:79], v[80:81], v[16:17]
	s_add_co_i32 s1, s1, 4
	s_cmp_lt_u32 s1, 12
	s_cbranch_scc1 .LBB201_11
; %bb.12:                               ;   in Loop: Header=BB201_5 Depth=1
	s_bitset1_b32 s16, 7
	s_delay_alu instid0(SALU_CYCLE_1)
	s_cmp_ge_i32 s16, s11
	s_barrier_signal -1
	s_barrier_wait -1
	s_cbranch_scc1 .LBB201_4
; %bb.13:                               ;   in Loop: Header=BB201_5 Depth=1
	v_add_nc_u32_e32 v53, s12, v59
	s_delay_alu instid0(VALU_DEP_1) | instskip(SKIP_1) | instid1(SALU_CYCLE_1)
	v_cmp_gt_i32_e64 s1, s5, v53
	s_and_b32 s16, s0, s1
	s_and_saveexec_b32 s1, s16
	s_cbranch_execz .LBB201_15
; %bb.14:                               ;   in Loop: Header=BB201_5 Depth=1
	v_add_nc_u32_e32 v53, v28, v53
	s_delay_alu instid0(VALU_DEP_1)
	v_mad_nc_i64_i32 v[54:55], v53, 36, v[30:31]
	global_load_b32 v53, v[54:55], off offset:4
	s_wait_loadcnt 0x0
	ds_store_b32 v51, v53
.LBB201_15:                             ;   in Loop: Header=BB201_5 Depth=1
	s_or_b32 exec_lo, exec_lo, s1
	s_and_saveexec_b32 s16, vcc_lo
	s_cbranch_execz .LBB201_18
; %bb.16:                               ;   in Loop: Header=BB201_5 Depth=1
	v_or_b32_e32 v53, 4, v52
	s_delay_alu instid0(VALU_DEP_1) | instskip(SKIP_1) | instid1(SALU_CYCLE_1)
	v_cmp_gt_i32_e64 s1, s5, v53
	s_and_b32 s1, s0, s1
	s_and_b32 exec_lo, exec_lo, s1
	s_cbranch_execz .LBB201_18
; %bb.17:                               ;   in Loop: Header=BB201_5 Depth=1
	v_ashrrev_i32_e32 v53, 31, v52
	s_delay_alu instid0(VALU_DEP_1) | instskip(NEXT) | instid1(VALU_DEP_1)
	v_add_nc_u64_e32 v[52:53], v[28:29], v[52:53]
	v_mad_nc_u64_u32 v[54:55], v52, 36, s[2:3]
	s_delay_alu instid0(VALU_DEP_1)
	v_mad_i32_i24 v55, v53, 36, v55
	global_load_b32 v52, v[54:55], off offset:144
	s_wait_loadcnt 0x0
	v_cvt_f32_f16_e32 v52, v52
	ds_store_b32 v56, v52
.LBB201_18:                             ;   in Loop: Header=BB201_5 Depth=1
	s_or_b32 exec_lo, exec_lo, s16
	v_dual_mov_b32 v52, v47 :: v_dual_mov_b32 v53, v45
	v_dual_mov_b32 v54, v68 :: v_dual_mov_b32 v55, v67
	;; [unrolled: 1-line block ×3, first 2 shown]
	v_mov_b32_e32 v75, v64
	s_mov_b32 s1, 12
	s_wait_dscnt 0x0
	s_barrier_signal -1
	s_barrier_wait -1
.LBB201_19:                             ;   Parent Loop BB201_5 Depth=1
                                        ; =>  This Inner Loop Header: Depth=2
	ds_load_2addr_b32 v[76:77], v53 offset1:7
	ds_load_2addr_b32 v[78:79], v53 offset0:3 offset1:4
	ds_load_2addr_b32 v[80:81], v53 offset0:5 offset1:6
	ds_load_2addr_b32 v[82:83], v53 offset0:1 offset1:2
	ds_load_b32 v84, v52
	ds_load_b32 v120, v55
	;; [unrolled: 1-line block ×5, first 2 shown]
	v_add_nc_u32_e32 v85, 0x2080, v54
	v_add_nc_u32_e32 v100, 0x2090, v54
	;; [unrolled: 1-line block ×11, first 2 shown]
	ds_load_2addr_b32 v[88:89], v54 offset1:1
	ds_load_2addr_b32 v[90:91], v54 offset0:2 offset1:3
	ds_load_2addr_b32 v[92:93], v54 offset0:4 offset1:5
	;; [unrolled: 1-line block ×3, first 2 shown]
	v_dual_add_nc_u32 v75, 4, v75 :: v_dual_add_nc_u32 v74, 4, v74
	s_wait_dscnt 0xc
	v_dual_lshlrev_b32 v140, 24, v77 :: v_dual_lshlrev_b32 v141, 16, v77
	s_wait_dscnt 0xb
	v_dual_lshlrev_b32 v128, 24, v79 :: v_dual_lshlrev_b32 v129, 16, v79
	s_wait_dscnt 0x7
	v_mul_f32_e32 v120, v84, v120
	v_add_nc_u32_e32 v98, 0x2088, v54
	v_add_nc_u32_e32 v54, 32, v54
	v_dual_lshlrev_b32 v130, 24, v82 :: v_dual_lshlrev_b32 v131, 16, v82
	ds_load_2addr_b32 v[96:97], v85 offset1:1
	ds_load_2addr_b32 v[98:99], v98 offset1:1
	;; [unrolled: 1-line block ×12, first 2 shown]
	v_dual_lshlrev_b32 v85, 8, v79 :: v_dual_lshlrev_b32 v132, 24, v80
	v_dual_lshlrev_b32 v133, 16, v80 :: v_dual_lshlrev_b32 v122, 8, v82
	;; [unrolled: 1-line block ×7, first 2 shown]
	v_lshlrev_b32_e32 v139, 16, v78
	v_perm_b32 v142, v80, v82, 0x7030c0c
	v_perm_b32 v145, v129, v128, 0xc0c0703
	;; [unrolled: 1-line block ×5, first 2 shown]
	s_wait_dscnt 0x3
	v_perm_b32 v129, v112, v129, 0xc0c0503
	v_perm_b32 v131, v133, v131, 0x7030c0c
	s_wait_dscnt 0x2
	v_perm_b32 v133, v115, v114, 0x5010c0c
	v_perm_b32 v153, v76, v113, 0xc0c0501
	;; [unrolled: 1-line block ×5, first 2 shown]
	v_dot4_i32_iu8 v88, v76, v88, 0 neg_lo:[1,1,0]
	v_perm_b32 v143, v81, v83, 0xc0c0703
	v_perm_b32 v144, v77, v78, 0x7030c0c
	v_dot4_i32_iu8 v96, v76, v96, 0 neg_lo:[1,1,0]
	v_dot4_i32_iu8 v104, v76, v104, 0 neg_lo:[1,1,0]
	v_perm_b32 v82, v82, v122, 0x7030c0c
	v_perm_b32 v80, v80, v123, 0x7030c0c
	;; [unrolled: 1-line block ×14, first 2 shown]
	s_wait_dscnt 0x1
	v_perm_b32 v113, v117, v116, 0xc0c0602
	s_wait_dscnt 0x0
	v_perm_b32 v115, v119, v118, 0x6020c0c
	v_perm_b32 v122, v125, v124, 0xc0c0703
	;; [unrolled: 1-line block ×7, first 2 shown]
	v_or_b32_e32 v129, v131, v129
	v_or_b32_e32 v131, v133, v153
	;; [unrolled: 1-line block ×4, first 2 shown]
	v_perm_b32 v149, v135, v134, 0xc0c0703
	v_dual_add_nc_u32 v53, 32, v53 :: v_dual_bitop2_b32 v134, v144, v143 bitop3:0x54
	v_or_b32_e32 v85, v112, v85
	v_or_b32_e32 v112, v115, v113
	v_or_b32_e32 v113, v123, v122
	v_or_b32_e32 v122, v138, v136
	v_dot4_i32_iu8 v79, v79, v133, 0 neg_lo:[1,1,0]
	v_perm_b32 v83, v83, v124, 0x7030c0c
	v_perm_b32 v81, v81, v125, 0x7030c0c
	;; [unrolled: 1-line block ×7, first 2 shown]
	v_dot4_i32_iu8 v79, v134, v122, v79 neg_lo:[1,1,0]
	v_or_b32_e32 v135, v146, v145
	v_or_b32_e32 v82, v82, v147
	;; [unrolled: 1-line block ×4, first 2 shown]
	v_perm_b32 v119, v141, v139, 0x7030c0c
	v_dot4_i32_iu8 v88, v135, v89, v88 neg_lo:[1,1,0]
	v_dot4_i32_iu8 v89, v135, v97, v96 neg_lo:[1,1,0]
	;; [unrolled: 1-line block ×3, first 2 shown]
	v_dual_add_nc_u32 v52, 4, v52 :: v_dual_bitop2_b32 v83, v83, v149 bitop3:0x54
	s_delay_alu instid0(VALU_DEP_4) | instskip(NEXT) | instid1(VALU_DEP_4)
	v_dot4_i32_iu8 v88, v82, v90, v88 neg_lo:[1,1,0]
	v_dot4_i32_iu8 v89, v82, v98, v89 neg_lo:[1,1,0]
	s_delay_alu instid0(VALU_DEP_4)
	v_dot4_i32_iu8 v82, v82, v106, v96 neg_lo:[1,1,0]
	v_dot4_i32_iu8 v76, v85, v76, 0 neg_lo:[1,1,0]
	v_or_b32_e32 v81, v81, v150
	v_dot4_i32_iu8 v85, v80, v91, v88 neg_lo:[1,1,0]
	v_dot4_i32_iu8 v88, v80, v99, v89 neg_lo:[1,1,0]
	;; [unrolled: 1-line block ×3, first 2 shown]
	v_or_b32_e32 v128, v130, v128
	v_or_b32_e32 v130, v132, v156
	;; [unrolled: 1-line block ×4, first 2 shown]
	v_dot4_i32_iu8 v104, v129, v131, 0 neg_lo:[1,1,0]
	v_dot4_i32_iu8 v85, v83, v92, v85 neg_lo:[1,1,0]
	;; [unrolled: 1-line block ×4, first 2 shown]
	v_perm_b32 v152, v141, v140, 0xc0c0703
	v_or_b32_e32 v78, v78, v151
	v_or_b32_e32 v114, v125, v124
	;; [unrolled: 1-line block ×3, first 2 shown]
	v_dot4_i32_iu8 v82, v128, v130, 0 neg_lo:[1,1,0]
	v_dot4_i32_iu8 v83, v97, v116, v104 neg_lo:[1,1,0]
	;; [unrolled: 1-line block ×5, first 2 shown]
	v_or_b32_e32 v77, v77, v152
	v_dot4_i32_iu8 v76, v113, v112, v76 neg_lo:[1,1,0]
	v_dot4_i32_iu8 v81, v115, v114, v82 neg_lo:[1,1,0]
	v_add_nc_u32_e32 v79, v83, v79
	v_dot4_i32_iu8 v82, v78, v94, v85 neg_lo:[1,1,0]
	v_dot4_i32_iu8 v83, v78, v102, v88 neg_lo:[1,1,0]
	;; [unrolled: 1-line block ×3, first 2 shown]
	v_mul_f32_e32 v80, v84, v121
	v_add3_u32 v79, v81, v76, v79
	v_dot4_i32_iu8 v81, v77, v95, v82 neg_lo:[1,1,0]
	v_dot4_i32_iu8 v82, v77, v103, v83 neg_lo:[1,1,0]
	;; [unrolled: 1-line block ×3, first 2 shown]
	v_pk_mul_f32 v[76:77], v[84:85], v[86:87] op_sel_hi:[0,1]
	v_cvt_f32_i32_e32 v79, v79
	v_cvt_f32_i32_e32 v81, v81
	;; [unrolled: 1-line block ×4, first 2 shown]
	v_dual_add_nc_u32 v73, 4, v73 :: v_dual_add_nc_u32 v55, 4, v55
	s_delay_alu instid0(VALU_DEP_4) | instskip(NEXT) | instid1(VALU_DEP_4)
	v_fmac_f32_e32 v57, v120, v81
	v_fmac_f32_e32 v49, v80, v82
	s_delay_alu instid0(VALU_DEP_4) | instskip(SKIP_1) | instid1(SALU_CYCLE_1)
	v_pk_fma_f32 v[16:17], v[76:77], v[78:79], v[16:17]
	s_add_co_i32 s1, s1, 4
	s_cmp_lt_u32 s1, 28
	s_cbranch_scc1 .LBB201_19
; %bb.20:                               ;   in Loop: Header=BB201_5 Depth=1
	s_barrier_signal -1
	s_barrier_wait -1
	s_branch .LBB201_4
.LBB201_21:
	s_mul_i32 s0, s7, s4
	s_wait_loadcnt 0x0
	v_cmp_gt_i32_e32 vcc_lo, s0, v1
	s_and_saveexec_b32 s0, vcc_lo
	s_cbranch_execz .LBB201_30
; %bb.22:
	v_mul_lo_u32 v0, v1, s6
	v_add_nc_u32_e32 v1, s18, v3
	s_mov_b32 s0, exec_lo
	s_delay_alu instid0(VALU_DEP_1)
	v_cmpx_gt_u32_e64 s6, v1
	s_cbranch_execz .LBB201_24
; %bb.23:
	s_delay_alu instid0(VALU_DEP_3)
	v_add_nc_u32_e32 v2, v0, v1
	v_cvt_f16_f32_e32 v3, v57
	global_store_b16 v2, v3, s[8:9] scale_offset
.LBB201_24:
	s_wait_xcnt 0x0
	s_or_b32 exec_lo, exec_lo, s0
	v_add_nc_u32_e32 v2, 32, v1
	s_mov_b32 s0, exec_lo
	s_delay_alu instid0(VALU_DEP_1)
	v_cmpx_gt_u32_e64 s6, v2
	s_cbranch_execz .LBB201_26
; %bb.25:
	v_add_nc_u32_e32 v2, v0, v2
	v_cvt_f16_f32_e32 v3, v49
	global_store_b16 v2, v3, s[8:9] scale_offset
.LBB201_26:
	s_wait_xcnt 0x0
	s_or_b32 exec_lo, exec_lo, s0
	v_add_nc_u32_e32 v2, 64, v1
	s_mov_b32 s0, exec_lo
	s_delay_alu instid0(VALU_DEP_1)
	v_cmpx_gt_u32_e64 s6, v2
	s_cbranch_execz .LBB201_28
; %bb.27:
	v_add_nc_u32_e32 v2, v0, v2
	v_cvt_f16_f32_e32 v3, v16
	global_store_b16 v2, v3, s[8:9] scale_offset
.LBB201_28:
	s_wait_xcnt 0x0
	s_or_b32 exec_lo, exec_lo, s0
	v_add_nc_u32_e32 v1, 0x60, v1
	s_delay_alu instid0(VALU_DEP_1)
	v_cmp_gt_u32_e32 vcc_lo, s6, v1
	s_and_b32 exec_lo, exec_lo, vcc_lo
	s_cbranch_execz .LBB201_30
; %bb.29:
	v_add_nc_u32_e32 v0, v0, v1
	v_cvt_f16_f32_e32 v1, v17
	global_store_b16 v0, v1, s[8:9] scale_offset
.LBB201_30:
	s_sendmsg sendmsg(MSG_DEALLOC_VGPRS)
	s_endpgm
	.section	.rodata,"a",@progbits
	.p2align	6, 0x0
	.amdhsa_kernel _ZL8moe_q5_0IN3c104HalfELb0EEvPKvS3_PT_PKiS7_S7_iiiiiii
		.amdhsa_group_segment_fixed_size 38656
		.amdhsa_private_segment_fixed_size 0
		.amdhsa_kernarg_size 76
		.amdhsa_user_sgpr_count 2
		.amdhsa_user_sgpr_dispatch_ptr 0
		.amdhsa_user_sgpr_queue_ptr 0
		.amdhsa_user_sgpr_kernarg_segment_ptr 1
		.amdhsa_user_sgpr_dispatch_id 0
		.amdhsa_user_sgpr_kernarg_preload_length 0
		.amdhsa_user_sgpr_kernarg_preload_offset 0
		.amdhsa_user_sgpr_private_segment_size 0
		.amdhsa_wavefront_size32 1
		.amdhsa_uses_dynamic_stack 0
		.amdhsa_enable_private_segment 0
		.amdhsa_system_sgpr_workgroup_id_x 1
		.amdhsa_system_sgpr_workgroup_id_y 1
		.amdhsa_system_sgpr_workgroup_id_z 0
		.amdhsa_system_sgpr_workgroup_info 0
		.amdhsa_system_vgpr_workitem_id 1
		.amdhsa_next_free_vgpr 159
		.amdhsa_next_free_sgpr 21
		.amdhsa_named_barrier_count 0
		.amdhsa_reserve_vcc 1
		.amdhsa_float_round_mode_32 0
		.amdhsa_float_round_mode_16_64 0
		.amdhsa_float_denorm_mode_32 3
		.amdhsa_float_denorm_mode_16_64 3
		.amdhsa_fp16_overflow 0
		.amdhsa_memory_ordered 1
		.amdhsa_forward_progress 1
		.amdhsa_inst_pref_size 97
		.amdhsa_round_robin_scheduling 0
		.amdhsa_exception_fp_ieee_invalid_op 0
		.amdhsa_exception_fp_denorm_src 0
		.amdhsa_exception_fp_ieee_div_zero 0
		.amdhsa_exception_fp_ieee_overflow 0
		.amdhsa_exception_fp_ieee_underflow 0
		.amdhsa_exception_fp_ieee_inexact 0
		.amdhsa_exception_int_div_zero 0
	.end_amdhsa_kernel
	.section	.text._ZL8moe_q5_0IN3c104HalfELb0EEvPKvS3_PT_PKiS7_S7_iiiiiii,"axG",@progbits,_ZL8moe_q5_0IN3c104HalfELb0EEvPKvS3_PT_PKiS7_S7_iiiiiii,comdat
.Lfunc_end201:
	.size	_ZL8moe_q5_0IN3c104HalfELb0EEvPKvS3_PT_PKiS7_S7_iiiiiii, .Lfunc_end201-_ZL8moe_q5_0IN3c104HalfELb0EEvPKvS3_PT_PKiS7_S7_iiiiiii
                                        ; -- End function
	.set _ZL8moe_q5_0IN3c104HalfELb0EEvPKvS3_PT_PKiS7_S7_iiiiiii.num_vgpr, 159
	.set _ZL8moe_q5_0IN3c104HalfELb0EEvPKvS3_PT_PKiS7_S7_iiiiiii.num_agpr, 0
	.set _ZL8moe_q5_0IN3c104HalfELb0EEvPKvS3_PT_PKiS7_S7_iiiiiii.numbered_sgpr, 21
	.set _ZL8moe_q5_0IN3c104HalfELb0EEvPKvS3_PT_PKiS7_S7_iiiiiii.num_named_barrier, 0
	.set _ZL8moe_q5_0IN3c104HalfELb0EEvPKvS3_PT_PKiS7_S7_iiiiiii.private_seg_size, 0
	.set _ZL8moe_q5_0IN3c104HalfELb0EEvPKvS3_PT_PKiS7_S7_iiiiiii.uses_vcc, 1
	.set _ZL8moe_q5_0IN3c104HalfELb0EEvPKvS3_PT_PKiS7_S7_iiiiiii.uses_flat_scratch, 0
	.set _ZL8moe_q5_0IN3c104HalfELb0EEvPKvS3_PT_PKiS7_S7_iiiiiii.has_dyn_sized_stack, 0
	.set _ZL8moe_q5_0IN3c104HalfELb0EEvPKvS3_PT_PKiS7_S7_iiiiiii.has_recursion, 0
	.set _ZL8moe_q5_0IN3c104HalfELb0EEvPKvS3_PT_PKiS7_S7_iiiiiii.has_indirect_call, 0
	.section	.AMDGPU.csdata,"",@progbits
; Kernel info:
; codeLenInByte = 12400
; TotalNumSgprs: 23
; NumVgprs: 159
; ScratchSize: 0
; MemoryBound: 0
; FloatMode: 240
; IeeeMode: 1
; LDSByteSize: 38656 bytes/workgroup (compile time only)
; SGPRBlocks: 0
; VGPRBlocks: 9
; NumSGPRsForWavesPerEU: 23
; NumVGPRsForWavesPerEU: 159
; NamedBarCnt: 0
; Occupancy: 6
; WaveLimiterHint : 1
; COMPUTE_PGM_RSRC2:SCRATCH_EN: 0
; COMPUTE_PGM_RSRC2:USER_SGPR: 2
; COMPUTE_PGM_RSRC2:TRAP_HANDLER: 0
; COMPUTE_PGM_RSRC2:TGID_X_EN: 1
; COMPUTE_PGM_RSRC2:TGID_Y_EN: 1
; COMPUTE_PGM_RSRC2:TGID_Z_EN: 0
; COMPUTE_PGM_RSRC2:TIDIG_COMP_CNT: 1
	.section	.text._ZL8moe_q5_0IN3c104HalfELb1EEvPKvS3_PT_PKiS7_S7_iiiiiii,"axG",@progbits,_ZL8moe_q5_0IN3c104HalfELb1EEvPKvS3_PT_PKiS7_S7_iiiiiii,comdat
	.globl	_ZL8moe_q5_0IN3c104HalfELb1EEvPKvS3_PT_PKiS7_S7_iiiiiii ; -- Begin function _ZL8moe_q5_0IN3c104HalfELb1EEvPKvS3_PT_PKiS7_S7_iiiiiii
	.p2align	8
	.type	_ZL8moe_q5_0IN3c104HalfELb1EEvPKvS3_PT_PKiS7_S7_iiiiiii,@function
_ZL8moe_q5_0IN3c104HalfELb1EEvPKvS3_PT_PKiS7_S7_iiiiiii: ; @_ZL8moe_q5_0IN3c104HalfELb1EEvPKvS3_PT_PKiS7_S7_iiiiiii
; %bb.0:
	s_load_b128 s[4:7], s[0:1], 0x18
	s_bfe_u32 s2, ttmp6, 0x40010
	s_bfe_u32 s8, ttmp6, 0x40004
	s_add_co_i32 s2, s2, 1
	s_delay_alu instid0(SALU_CYCLE_1)
	s_mul_i32 s3, ttmp7, s2
	s_getreg_b32 s2, hwreg(HW_REG_IB_STS2, 6, 4)
	s_add_co_i32 s8, s8, s3
	s_cmp_eq_u32 s2, 0
	s_cselect_b32 s3, ttmp7, s8
	s_wait_kmcnt 0x0
	s_load_b32 s14, s[6:7], s3 offset:0x0 scale_offset
	s_wait_kmcnt 0x0
	s_cmp_gt_u32 s14, 0xff
	s_cbranch_scc1 .LBB202_30
; %bb.1:
	s_load_b64 s[6:7], s[0:1], 0x28
	s_lshl_b32 s3, s3, 3
	s_wait_kmcnt 0x0
	s_load_b32 s6, s[6:7], 0x0
	s_wait_kmcnt 0x0
	s_cmp_gt_u32 s3, s6
	s_cbranch_scc1 .LBB202_30
; %bb.2:
	v_bfe_u32 v9, v0, 10, 10
	s_and_b32 s11, ttmp6, 15
	v_and_b32_e32 v5, 0x3ff, v0
	s_mov_b32 s15, 0
	s_delay_alu instid0(VALU_DEP_2) | instskip(SKIP_1) | instid1(SALU_CYCLE_1)
	v_dual_mov_b32 v7, 0 :: v_dual_add_nc_u32 v1, s3, v9
	s_bfe_u32 s3, ttmp6, 0x4000c
	s_add_co_i32 s3, s3, 1
	s_delay_alu instid0(VALU_DEP_1)
	v_dual_mov_b32 v6, v7 :: v_dual_mov_b32 v71, v7
	global_load_b32 v1, v1, s[4:5] scale_offset
	s_wait_xcnt 0x0
	s_clause 0x2
	s_load_b128 s[4:7], s[0:1], 0x30
	s_load_b64 s[12:13], s[0:1], 0x10
	s_load_b96 s[8:10], s[0:1], 0x40
	s_mul_i32 s3, ttmp9, s3
	v_mov_b32_e32 v75, v7
	s_add_co_i32 s11, s11, s3
	s_cmp_eq_u32 s2, 0
	s_cselect_b32 s2, ttmp9, s11
	s_delay_alu instid0(SALU_CYCLE_1)
	s_lshl_b32 s11, s2, 7
	s_wait_kmcnt 0x0
	s_cmp_lt_i32 s5, 32
	s_cbranch_scc1 .LBB202_21
; %bb.3:
	s_load_b128 s[0:3], s[0:1], 0x0
	s_mul_i32 s18, s14, s4
	v_bfe_u32 v29, v0, 3, 7
	s_ashr_i32 s19, s18, 31
	s_not_b32 s4, s11
	s_ashr_i32 s16, s5, 31
	s_add_co_i32 s20, s6, s4
	v_lshl_add_u32 v7, v9, 2, v29
	s_ashr_i32 s17, s8, 31
	s_lshr_b32 s14, s16, 27
	s_lshr_b32 s16, s17, 27
	v_dual_mov_b32 v3, 0 :: v_dual_lshlrev_b32 v10, 2, v5
	v_min_i32_e32 v44, s20, v7
	s_add_co_i32 s6, s8, s16
	v_add_min_i32_e64 v46, v7, 32, s20
	s_delay_alu instid0(VALU_DEP_3)
	v_dual_lshlrev_b32 v6, 3, v5 :: v_dual_bitop2_b32 v2, 12, v10 bitop3:0x40
	v_add_min_i32_e64 v14, v9, 8, s20
	v_add_min_i32_e64 v16, v9, 16, s20
	s_wait_kmcnt 0x0
	s_add_nc_u64 s[18:19], s[0:1], s[18:19]
	s_abs_i32 s0, s10
	v_add_min_i32_e64 v18, v9, 24, s20
	s_cvt_f32_u32 s1, s0
	s_sub_co_i32 s8, 0, s0
	v_add_min_i32_e64 v20, v9, 32, s20
	v_add_min_i32_e64 v22, v9, 40, s20
	v_rcp_iflag_f32_e32 v4, s1
	v_add_min_i32_e64 v24, v9, 48, s20
	v_add_min_i32_e64 v26, v9, 56, s20
	;; [unrolled: 1-line block ×6, first 2 shown]
	v_readfirstlane_b32 s1, v4
	s_wait_loadcnt 0x0
	v_sub_nc_u32_e32 v4, 0, v1
	v_dual_ashrrev_i32 v8, 31, v44 :: v_dual_min_i32 v12, s20, v9
	v_ashrrev_i32_e32 v43, 31, v46
	s_mul_f32 s1, s1, 0x4f7ffffe
	s_delay_alu instid0(VALU_DEP_3)
	v_max_i32_e32 v11, v1, v4
	v_add_min_i32_e64 v36, 0x60, v9, s20
	v_lshrrev_b32_e32 v4, 30, v8
	s_cvt_u32_f32 s1, s1
	v_add_min_i32_e64 v38, 0x68, v9, s20
	v_add_min_i32_e64 v42, 0x70, v9, s20
	;; [unrolled: 1-line block ×3, first 2 shown]
	s_mul_i32 s8, s8, s1
	v_add_nc_u32_e32 v40, v44, v4
	s_mul_hi_u32 s8, s1, s8
	v_dual_lshrrev_b32 v50, 30, v43 :: v_dual_bitop2_b32 v4, 7, v0 bitop3:0x40
	s_add_co_i32 s1, s1, s8
	v_add_min_i32_e64 v52, v7, 64, s20
	v_mul_hi_u32 v8, v11, s1
	s_delay_alu instid0(VALU_DEP_3)
	v_lshlrev_b32_e32 v49, 2, v4
	v_add_min_i32_e64 v53, 0x60, v7, s20
	v_mad_u32 v13, 0x104, v12, v6
	v_mad_u32 v15, 0x104, v14, v6
	;; [unrolled: 1-line block ×8, first 2 shown]
	v_mul_lo_u32 v47, v8, s0
	v_and_b32_e32 v40, -4, v40
	v_mad_u32 v31, 0x104, v28, v6
	v_mad_u32 v33, 0x104, v30, v6
	;; [unrolled: 1-line block ×8, first 2 shown]
	v_dual_ashrrev_i32 v51, 31, v53 :: v_dual_sub_nc_u32 v11, v11, v47
	v_add3_u32 v6, v40, v49, 0x8200
	v_dual_add_nc_u32 v40, v46, v50 :: v_dual_lshlrev_b32 v50, 5, v44
	v_add_nc_u32_e32 v47, 1, v8
	s_delay_alu instid0(VALU_DEP_4)
	v_subrev_nc_u32_e32 v54, s0, v11
	v_cmp_le_u32_e32 vcc_lo, s0, v11
	v_ashrrev_i32_e32 v7, 31, v52
	v_and_b32_e32 v57, 0xfc, v0
	s_ashr_i32 s6, s6, 5
	v_dual_lshlrev_b32 v60, 5, v53 :: v_dual_cndmask_b32 v8, v8, v47, vcc_lo
	s_delay_alu instid0(VALU_DEP_3) | instskip(SKIP_1) | instid1(VALU_DEP_3)
	v_dual_lshrrev_b32 v7, 30, v7 :: v_dual_bitop2_b32 v40, -4, v40 bitop3:0x40
	v_dual_lshrrev_b32 v47, 30, v51 :: v_dual_bitop2_b32 v51, s10, v1 bitop3:0x14
	v_dual_cndmask_b32 v11, v11, v54 :: v_dual_add_nc_u32 v54, 1, v8
	s_delay_alu instid0(VALU_DEP_3) | instskip(NEXT) | instid1(VALU_DEP_4)
	v_add_nc_u32_e32 v7, v52, v7
	v_add3_u32 v40, v40, v49, 0x8200
	s_delay_alu instid0(VALU_DEP_4) | instskip(NEXT) | instid1(VALU_DEP_4)
	v_ashrrev_i32_e32 v51, 31, v51
	v_cmp_le_u32_e32 vcc_lo, s0, v11
	v_add_nc_u32_e32 v47, v53, v47
	v_dual_add_nc_u32 v55, 32, v5 :: v_dual_bitop2_b32 v7, -4, v7 bitop3:0x40
	v_dual_lshlrev_b32 v58, 5, v52 :: v_dual_cndmask_b32 v8, v8, v54, vcc_lo
	s_delay_alu instid0(VALU_DEP_3) | instskip(NEXT) | instid1(VALU_DEP_3)
	v_dual_lshlrev_b32 v54, 5, v46 :: v_dual_bitop2_b32 v11, -4, v47 bitop3:0x40
	v_add3_u32 v7, v7, v49, 0x8200
	v_add_nc_u32_e32 v47, 0x60, v5
	v_lshl_add_u32 v61, v9, 7, 0x9280
	s_delay_alu instid0(VALU_DEP_4) | instskip(SKIP_1) | instid1(VALU_DEP_4)
	v_add3_u32 v11, v11, v49, 0x8200
	v_dual_add_nc_u32 v49, 64, v5 :: v_dual_bitop2_b32 v8, v8, v51 bitop3:0x14
	v_and_b32_e32 v47, 0x1fc, v47
	s_add_co_i32 s14, s5, s14
	v_lshl_add_u32 v62, v9, 4, 0x9680
	s_delay_alu instid0(VALU_DEP_3)
	v_and_b32_e32 v49, 0x1fc, v49
	v_dual_sub_nc_u32 v56, v8, v51 :: v_dual_lshlrev_b32 v8, 5, v5
	v_and_b32_e32 v51, 0x1fc, v55
	s_ashr_i32 s4, s14, 5
	v_cmp_gt_u32_e32 vcc_lo, 4, v5
	v_mul_lo_u32 v12, v12, s4
	v_dual_add_nc_u32 v59, v8, v47 :: v_dual_add_nc_u32 v69, v8, v49
	v_dual_add_nc_u32 v71, v8, v51 :: v_dual_add_nc_u32 v57, v8, v57
	v_dual_add_nc_u32 v47, v6, v50 :: v_dual_bitop2_b32 v50, 31, v0 bitop3:0x40
	v_add_nc_u32_e32 v49, v40, v54
	v_mul_lo_u32 v8, v56, s6
	v_dual_add_nc_u32 v51, v7, v58 :: v_dual_lshrrev_b32 v65, 3, v55
	v_dual_add_nc_u32 v60, v11, v60 :: v_dual_bitop2_b32 v6, 28, v10 bitop3:0x40
	v_dual_mov_b32 v7, v3 :: v_dual_add_nc_u32 v64, v62, v10
	v_lshl_or_b32 v63, v50, 2, v61
	v_mul_lo_u32 v14, v14, s4
	v_mul_lo_u32 v16, v16, s4
	;; [unrolled: 1-line block ×19, first 2 shown]
	s_mul_i32 s16, s4, s11
	v_cmp_gt_i32_e64 s0, s7, v56
	v_add_nc_u64_e32 v[10:11], s[2:3], v[6:7]
	s_movk_i32 s1, 0x80
	s_ashr_i32 s17, s16, 31
	v_dual_ashrrev_i32 v9, 31, v8 :: v_dual_mov_b32 v75, v3
	v_add_nc_u32_e32 v66, 0x8e00, v59
	v_add_nc_u32_e32 v67, 0x8e10, v59
	;; [unrolled: 1-line block ×8, first 2 shown]
	v_mov_b32_e32 v6, v3
	v_bfe_u32 v0, v0, 2, 8
	v_mad_u32_u24 v76, 0x104, v5, s1
	v_mov_b32_e32 v71, v3
	s_mul_u64 s[16:17], s[16:17], 22
	s_and_b32 s8, vcc_lo, s0
	s_add_nc_u64 s[16:17], s[18:19], s[16:17]
	s_mov_b32 s14, s15
	s_branch .LBB202_5
.LBB202_4:                              ;   in Loop: Header=BB202_5 Depth=1
	s_add_co_i32 s14, s14, 8
	s_delay_alu instid0(SALU_CYCLE_1)
	s_cmp_ge_i32 s14, s4
	s_cbranch_scc1 .LBB202_21
.LBB202_5:                              ; =>This Loop Header: Depth=1
                                        ;     Child Loop BB202_11 Depth 2
                                        ;     Child Loop BB202_19 Depth 2
	s_mul_u64 s[18:19], s[14:15], 22
	s_delay_alu instid0(SALU_CYCLE_1) | instskip(NEXT) | instid1(SALU_CYCLE_1)
	s_add_nc_u64 s[18:19], s[16:17], s[18:19]
	v_mad_nc_u64_u32 v[52:53], v0, 22, s[18:19]
	s_delay_alu instid0(VALU_DEP_1) | instskip(SKIP_1) | instid1(VALU_DEP_2)
	v_mad_nc_i64_i32 v[54:55], v18, 22, v[52:53]
	v_mad_nc_i64_i32 v[56:57], v16, 22, v[52:53]
	v_add_nc_u64_e32 v[58:59], v[54:55], v[2:3]
	s_delay_alu instid0(VALU_DEP_2)
	v_add_nc_u64_e32 v[80:81], v[56:57], v[2:3]
	s_clause 0x1
	global_load_b32 v77, v[58:59], off offset:6
	global_load_b32 v78, v[80:81], off offset:6
	s_wait_xcnt 0x1
	v_mad_nc_i64_i32 v[58:59], v14, 22, v[52:53]
	s_clause 0x1
	global_load_b32 v56, v[56:57], off offset:2
	global_load_b32 v54, v[54:55], off offset:2
	s_wait_xcnt 0x2
	v_add_nc_u64_e32 v[80:81], v[58:59], v[2:3]
	s_clause 0x1
	global_load_b32 v58, v[58:59], off offset:2
	global_load_b32 v79, v[80:81], off offset:6
	s_wait_xcnt 0x0
	v_mad_nc_i64_i32 v[80:81], v12, 22, v[52:53]
	global_load_b32 v82, v[80:81], off offset:2
	s_wait_xcnt 0x0
	v_add_nc_u64_e32 v[80:81], v[80:81], v[2:3]
	global_load_b32 v80, v[80:81], off offset:6
	s_wait_loadcnt 0x4
	v_dual_ashrrev_i32 v89, v2, v56 :: v_dual_ashrrev_i32 v92, v2, v54
	s_delay_alu instid0(VALU_DEP_1) | instskip(SKIP_1) | instid1(VALU_DEP_1)
	v_dual_lshlrev_b32 v56, 4, v89 :: v_dual_lshlrev_b32 v54, 4, v92
	s_wait_loadcnt 0x3
	v_dual_ashrrev_i32 v86, v2, v58 :: v_dual_bitop2_b32 v56, 16, v56 bitop3:0x40
	s_delay_alu instid0(VALU_DEP_2) | instskip(NEXT) | instid1(VALU_DEP_2)
	v_dual_lshlrev_b32 v57, 11, v89 :: v_dual_bitop2_b32 v54, 16, v54 bitop3:0x40
	v_dual_lshlrev_b32 v55, 11, v92 :: v_dual_lshlrev_b32 v58, 4, v86
	s_delay_alu instid0(VALU_DEP_2) | instskip(NEXT) | instid1(VALU_DEP_2)
	v_and_b32_e32 v57, 0x1000, v57
	v_and_b32_e32 v55, 0x1000, v55
	s_delay_alu instid0(VALU_DEP_3) | instskip(SKIP_1) | instid1(VALU_DEP_1)
	v_and_b32_e32 v58, 16, v58
	v_lshlrev_b32_e32 v59, 11, v86
	v_and_b32_e32 v59, 0x1000, v59
	s_wait_loadcnt 0x1
	s_wait_xcnt 0x0
	v_ashrrev_i32_e32 v81, v2, v82
	s_delay_alu instid0(VALU_DEP_1) | instskip(SKIP_2) | instid1(VALU_DEP_2)
	v_lshlrev_b32_e32 v82, 4, v81
	s_wait_loadcnt 0x0
	v_and_b32_e32 v84, 0xf0f0f0f, v80
	v_dual_lshlrev_b32 v83, 11, v81 :: v_dual_bitop2_b32 v82, 16, v82 bitop3:0x40
	v_lshrrev_b32_e32 v80, 4, v80
	s_delay_alu instid0(VALU_DEP_2) | instskip(NEXT) | instid1(VALU_DEP_1)
	v_and_b32_e32 v83, 0x1000, v83
	v_or3_b32 v85, v82, v84, v83
	v_dual_lshlrev_b32 v82, 18, v81 :: v_dual_lshlrev_b32 v83, 25, v81
	s_delay_alu instid0(VALU_DEP_1) | instskip(NEXT) | instid1(VALU_DEP_2)
	v_and_b32_e32 v82, 0x100000, v82
	v_and_b32_e32 v83, 0x10000000, v83
	s_delay_alu instid0(VALU_DEP_1) | instskip(SKIP_2) | instid1(VALU_DEP_2)
	v_or3_b32 v84, v84, v82, v83
	v_and_b32_e32 v82, 0xf0f0f0f, v79
	v_lshrrev_b32_e32 v79, 4, v79
	v_or3_b32 v87, v58, v82, v59
	v_dual_lshlrev_b32 v58, 18, v86 :: v_dual_lshlrev_b32 v59, 25, v86
	s_delay_alu instid0(VALU_DEP_1) | instskip(NEXT) | instid1(VALU_DEP_2)
	v_and_b32_e32 v58, 0x100000, v58
	v_and_b32_e32 v59, 0x10000000, v59
	s_delay_alu instid0(VALU_DEP_1) | instskip(SKIP_2) | instid1(VALU_DEP_2)
	v_or3_b32 v88, v82, v58, v59
	v_and_b32_e32 v58, 0xf0f0f0f, v78
	v_lshrrev_b32_e32 v78, 4, v78
	v_or3_b32 v90, v56, v58, v57
	v_dual_lshlrev_b32 v56, 18, v89 :: v_dual_lshlrev_b32 v57, 25, v89
	s_delay_alu instid0(VALU_DEP_1) | instskip(NEXT) | instid1(VALU_DEP_2)
	v_and_b32_e32 v56, 0x100000, v56
	v_and_b32_e32 v57, 0x10000000, v57
	s_delay_alu instid0(VALU_DEP_1) | instskip(SKIP_2) | instid1(VALU_DEP_2)
	v_or3_b32 v91, v58, v56, v57
	v_and_b32_e32 v56, 0xf0f0f0f, v77
	v_lshrrev_b32_e32 v77, 4, v77
	v_or3_b32 v93, v54, v56, v55
	v_dual_lshlrev_b32 v54, 18, v92 :: v_dual_lshlrev_b32 v55, 25, v92
	s_delay_alu instid0(VALU_DEP_1) | instskip(NEXT) | instid1(VALU_DEP_2)
	v_and_b32_e32 v54, 0x100000, v54
	v_and_b32_e32 v55, 0x10000000, v55
	s_delay_alu instid0(VALU_DEP_1) | instskip(SKIP_1) | instid1(VALU_DEP_1)
	v_or3_b32 v94, v56, v54, v55
	v_mad_nc_i64_i32 v[54:55], v26, 22, v[52:53]
	v_add_nc_u64_e32 v[56:57], v[54:55], v[2:3]
	s_clause 0x1
	global_load_b32 v54, v[54:55], off offset:2
	global_load_b32 v95, v[56:57], off offset:6
	s_wait_xcnt 0x0
	v_mad_nc_i64_i32 v[56:57], v24, 22, v[52:53]
	s_delay_alu instid0(VALU_DEP_1)
	v_add_nc_u64_e32 v[58:59], v[56:57], v[2:3]
	s_clause 0x1
	global_load_b32 v56, v[56:57], off offset:2
	global_load_b32 v96, v[58:59], off offset:6
	s_wait_xcnt 0x0
	v_mad_nc_i64_i32 v[58:59], v22, 22, v[52:53]
	s_delay_alu instid0(VALU_DEP_1)
	v_add_nc_u64_e32 v[82:83], v[58:59], v[2:3]
	s_clause 0x1
	global_load_b32 v58, v[58:59], off offset:2
	global_load_b32 v97, v[82:83], off offset:6
	s_wait_xcnt 0x0
	v_mad_nc_i64_i32 v[82:83], v20, 22, v[52:53]
	global_load_b32 v98, v[82:83], off offset:2
	s_wait_xcnt 0x0
	v_add_nc_u64_e32 v[82:83], v[82:83], v[2:3]
	global_load_b32 v99, v[82:83], off offset:6
	s_wait_loadcnt 0x7
	v_ashrrev_i32_e32 v108, v2, v54
	s_delay_alu instid0(VALU_DEP_1) | instskip(NEXT) | instid1(VALU_DEP_1)
	v_lshlrev_b32_e32 v54, 4, v108
	v_dual_lshlrev_b32 v55, 11, v108 :: v_dual_bitop2_b32 v54, 16, v54 bitop3:0x40
	s_delay_alu instid0(VALU_DEP_1) | instskip(SKIP_2) | instid1(VALU_DEP_1)
	v_and_b32_e32 v55, 0x1000, v55
	s_wait_loadcnt 0x5
	v_ashrrev_i32_e32 v105, v2, v56
	v_dual_lshlrev_b32 v56, 4, v105 :: v_dual_lshlrev_b32 v57, 11, v105
	s_delay_alu instid0(VALU_DEP_1) | instskip(NEXT) | instid1(VALU_DEP_2)
	v_and_b32_e32 v56, 16, v56
	v_and_b32_e32 v57, 0x1000, v57
	s_wait_loadcnt 0x3
	v_ashrrev_i32_e32 v102, v2, v58
	s_delay_alu instid0(VALU_DEP_1) | instskip(NEXT) | instid1(VALU_DEP_1)
	v_lshlrev_b32_e32 v58, 4, v102
	v_and_b32_e32 v58, 16, v58
	v_lshlrev_b32_e32 v59, 11, v102
	s_delay_alu instid0(VALU_DEP_1) | instskip(SKIP_3) | instid1(VALU_DEP_1)
	v_and_b32_e32 v59, 0x1000, v59
	s_wait_loadcnt 0x1
	v_ashrrev_i32_e32 v98, v2, v98
	s_wait_xcnt 0x0
	v_dual_lshlrev_b32 v82, 4, v98 :: v_dual_lshlrev_b32 v83, 11, v98
	s_wait_loadcnt 0x0
	v_and_b32_e32 v100, 0xf0f0f0f, v99
	s_delay_alu instid0(VALU_DEP_2) | instskip(NEXT) | instid1(VALU_DEP_3)
	v_and_b32_e32 v82, 16, v82
	v_and_b32_e32 v83, 0x1000, v83
	s_delay_alu instid0(VALU_DEP_1) | instskip(SKIP_1) | instid1(VALU_DEP_1)
	v_or3_b32 v101, v82, v100, v83
	v_dual_lshlrev_b32 v82, 18, v98 :: v_dual_lshlrev_b32 v83, 25, v98
	v_and_b32_e32 v82, 0x100000, v82
	s_delay_alu instid0(VALU_DEP_2) | instskip(NEXT) | instid1(VALU_DEP_1)
	v_and_b32_e32 v83, 0x10000000, v83
	v_or3_b32 v100, v100, v82, v83
	v_and_b32_e32 v82, 0xf0f0f0f, v97
	s_delay_alu instid0(VALU_DEP_1) | instskip(SKIP_1) | instid1(VALU_DEP_1)
	v_or3_b32 v103, v58, v82, v59
	v_dual_lshlrev_b32 v58, 18, v102 :: v_dual_lshlrev_b32 v59, 25, v102
	v_and_b32_e32 v58, 0x100000, v58
	s_delay_alu instid0(VALU_DEP_2) | instskip(NEXT) | instid1(VALU_DEP_1)
	v_and_b32_e32 v59, 0x10000000, v59
	v_or3_b32 v104, v82, v58, v59
	;; [unrolled: 8-line block ×4, first 2 shown]
	v_mad_nc_i64_i32 v[54:55], v34, 22, v[52:53]
	s_delay_alu instid0(VALU_DEP_1)
	v_add_nc_u64_e32 v[56:57], v[54:55], v[2:3]
	s_clause 0x1
	global_load_b32 v54, v[54:55], off offset:2
	global_load_b32 v111, v[56:57], off offset:6
	s_wait_xcnt 0x0
	v_mad_nc_i64_i32 v[56:57], v32, 22, v[52:53]
	s_delay_alu instid0(VALU_DEP_1)
	v_add_nc_u64_e32 v[58:59], v[56:57], v[2:3]
	s_clause 0x1
	global_load_b32 v56, v[56:57], off offset:2
	global_load_b32 v112, v[58:59], off offset:6
	s_wait_xcnt 0x0
	;; [unrolled: 7-line block ×3, first 2 shown]
	v_mad_nc_i64_i32 v[82:83], v28, 22, v[52:53]
	global_load_b32 v114, v[82:83], off offset:2
	s_wait_xcnt 0x0
	v_add_nc_u64_e32 v[82:83], v[82:83], v[2:3]
	global_load_b32 v82, v[82:83], off offset:6
	s_wait_loadcnt 0x7
	v_ashrrev_i32_e32 v54, v2, v54
	s_delay_alu instid0(VALU_DEP_1) | instskip(SKIP_1) | instid1(VALU_DEP_1)
	v_lshlrev_b32_e32 v55, 4, v54
	s_wait_loadcnt 0x5
	v_dual_ashrrev_i32 v56, v2, v56 :: v_dual_bitop2_b32 v55, 16, v55 bitop3:0x40
	s_delay_alu instid0(VALU_DEP_1) | instskip(SKIP_1) | instid1(VALU_DEP_1)
	v_lshlrev_b32_e32 v57, 4, v56
	s_wait_loadcnt 0x3
	v_dual_ashrrev_i32 v58, v2, v58 :: v_dual_bitop2_b32 v57, 16, v57 bitop3:0x40
	s_delay_alu instid0(VALU_DEP_1) | instskip(SKIP_2) | instid1(VALU_DEP_1)
	v_lshlrev_b32_e32 v59, 4, v58
	s_wait_loadcnt 0x1
	s_wait_xcnt 0x0
	v_dual_ashrrev_i32 v83, v2, v114 :: v_dual_bitop2_b32 v59, 16, v59 bitop3:0x40
	s_delay_alu instid0(VALU_DEP_1) | instskip(SKIP_2) | instid1(VALU_DEP_2)
	v_lshlrev_b32_e32 v114, 4, v83
	s_wait_loadcnt 0x0
	v_and_b32_e32 v116, 0xf0f0f0f, v82
	v_dual_lshlrev_b32 v115, 11, v83 :: v_dual_bitop2_b32 v114, 16, v114 bitop3:0x40
	v_lshlrev_b32_e32 v117, 25, v83
	s_delay_alu instid0(VALU_DEP_2) | instskip(NEXT) | instid1(VALU_DEP_2)
	v_and_b32_e32 v115, 0x1000, v115
	v_and_b32_e32 v117, 0x10000000, v117
	s_delay_alu instid0(VALU_DEP_2) | instskip(SKIP_1) | instid1(VALU_DEP_1)
	v_or3_b32 v114, v114, v116, v115
	v_lshlrev_b32_e32 v115, 18, v83
	v_and_b32_e32 v115, 0x100000, v115
	s_delay_alu instid0(VALU_DEP_1) | instskip(SKIP_2) | instid1(VALU_DEP_2)
	v_or3_b32 v115, v116, v115, v117
	v_dual_lshrrev_b32 v116, 12, v81 :: v_dual_lshrrev_b32 v117, 5, v81
	v_and_b32_e32 v80, 0xf0f0f0f, v80
	v_and_b32_e32 v116, 16, v116
	s_delay_alu instid0(VALU_DEP_3) | instskip(NEXT) | instid1(VALU_DEP_1)
	v_and_b32_e32 v117, 0x1000, v117
	v_or3_b32 v116, v116, v80, v117
	v_dual_lshlrev_b32 v117, 2, v81 :: v_dual_lshlrev_b32 v81, 9, v81
	s_delay_alu instid0(VALU_DEP_1) | instskip(NEXT) | instid1(VALU_DEP_2)
	v_and_b32_e32 v117, 0x100000, v117
	v_and_b32_e32 v81, 0x10000000, v81
	s_delay_alu instid0(VALU_DEP_1) | instskip(SKIP_2) | instid1(VALU_DEP_2)
	v_or3_b32 v117, v80, v117, v81
	v_dual_lshrrev_b32 v80, 12, v86 :: v_dual_lshrrev_b32 v81, 5, v86
	v_and_b32_e32 v79, 0xf0f0f0f, v79
	v_and_b32_e32 v80, 16, v80
	s_delay_alu instid0(VALU_DEP_3) | instskip(NEXT) | instid1(VALU_DEP_1)
	v_and_b32_e32 v81, 0x1000, v81
	v_or3_b32 v118, v80, v79, v81
	v_dual_lshlrev_b32 v80, 2, v86 :: v_dual_lshlrev_b32 v81, 9, v86
	s_delay_alu instid0(VALU_DEP_1) | instskip(NEXT) | instid1(VALU_DEP_2)
	v_and_b32_e32 v80, 0x100000, v80
	;; [unrolled: 12-line block ×3, first 2 shown]
	v_and_b32_e32 v80, 0x10000000, v80
	s_delay_alu instid0(VALU_DEP_1) | instskip(SKIP_3) | instid1(VALU_DEP_3)
	v_or3_b32 v89, v78, v79, v80
	v_dual_lshrrev_b32 v78, 12, v92 :: v_dual_lshrrev_b32 v79, 5, v92
	v_and_b32_e32 v77, 0xf0f0f0f, v77
	v_lshrrev_b32_e32 v80, 5, v98
	v_and_b32_e32 v78, 16, v78
	s_delay_alu instid0(VALU_DEP_4) | instskip(NEXT) | instid1(VALU_DEP_3)
	v_and_b32_e32 v79, 0x1000, v79
	v_and_b32_e32 v80, 0x1000, v80
	s_delay_alu instid0(VALU_DEP_2) | instskip(SKIP_1) | instid1(VALU_DEP_1)
	v_or3_b32 v120, v78, v77, v79
	v_dual_lshlrev_b32 v78, 2, v92 :: v_dual_lshlrev_b32 v79, 9, v92
	v_and_b32_e32 v78, 0x100000, v78
	s_delay_alu instid0(VALU_DEP_2) | instskip(NEXT) | instid1(VALU_DEP_1)
	v_and_b32_e32 v79, 0x10000000, v79
	v_or3_b32 v77, v77, v78, v79
	v_dual_lshrrev_b32 v78, 4, v99 :: v_dual_lshrrev_b32 v79, 12, v98
	s_delay_alu instid0(VALU_DEP_2) | instskip(NEXT) | instid1(VALU_DEP_2)
	v_lshrrev_b32_e32 v77, 16, v77
	v_and_b32_e32 v78, 0xf0f0f0f, v78
	s_delay_alu instid0(VALU_DEP_3) | instskip(NEXT) | instid1(VALU_DEP_1)
	v_and_b32_e32 v79, 16, v79
	v_or3_b32 v92, v79, v78, v80
	v_dual_lshlrev_b32 v79, 2, v98 :: v_dual_lshlrev_b32 v80, 9, v98
	s_delay_alu instid0(VALU_DEP_1) | instskip(NEXT) | instid1(VALU_DEP_2)
	v_and_b32_e32 v79, 0x100000, v79
	v_and_b32_e32 v80, 0x10000000, v80
	s_delay_alu instid0(VALU_DEP_1) | instskip(SKIP_2) | instid1(VALU_DEP_2)
	v_or3_b32 v98, v78, v79, v80
	v_dual_lshrrev_b32 v78, 4, v97 :: v_dual_lshrrev_b32 v79, 12, v102
	v_lshrrev_b32_e32 v80, 5, v102
	v_and_b32_e32 v78, 0xf0f0f0f, v78
	s_delay_alu instid0(VALU_DEP_3) | instskip(NEXT) | instid1(VALU_DEP_3)
	v_and_b32_e32 v79, 16, v79
	v_and_b32_e32 v80, 0x1000, v80
	s_delay_alu instid0(VALU_DEP_1) | instskip(SKIP_1) | instid1(VALU_DEP_1)
	v_or3_b32 v97, v79, v78, v80
	v_dual_lshlrev_b32 v79, 2, v102 :: v_dual_lshlrev_b32 v80, 9, v102
	v_and_b32_e32 v79, 0x100000, v79
	s_delay_alu instid0(VALU_DEP_2) | instskip(NEXT) | instid1(VALU_DEP_1)
	v_and_b32_e32 v80, 0x10000000, v80
	v_or3_b32 v99, v78, v79, v80
	v_dual_lshrrev_b32 v78, 4, v96 :: v_dual_lshrrev_b32 v79, 12, v105
	v_lshrrev_b32_e32 v80, 5, v105
	s_delay_alu instid0(VALU_DEP_2) | instskip(NEXT) | instid1(VALU_DEP_3)
	v_and_b32_e32 v78, 0xf0f0f0f, v78
	v_and_b32_e32 v79, 16, v79
	s_delay_alu instid0(VALU_DEP_3) | instskip(NEXT) | instid1(VALU_DEP_1)
	v_and_b32_e32 v80, 0x1000, v80
	v_or3_b32 v96, v79, v78, v80
	v_dual_lshlrev_b32 v79, 2, v105 :: v_dual_lshlrev_b32 v80, 9, v105
	s_delay_alu instid0(VALU_DEP_1) | instskip(NEXT) | instid1(VALU_DEP_2)
	v_and_b32_e32 v79, 0x100000, v79
	v_and_b32_e32 v80, 0x10000000, v80
	s_delay_alu instid0(VALU_DEP_1) | instskip(SKIP_2) | instid1(VALU_DEP_2)
	v_or3_b32 v102, v78, v79, v80
	v_dual_lshrrev_b32 v78, 4, v95 :: v_dual_lshrrev_b32 v79, 12, v108
	v_lshrrev_b32_e32 v80, 5, v108
	v_and_b32_e32 v78, 0xf0f0f0f, v78
	s_delay_alu instid0(VALU_DEP_3) | instskip(NEXT) | instid1(VALU_DEP_3)
	v_and_b32_e32 v79, 16, v79
	v_and_b32_e32 v80, 0x1000, v80
	s_delay_alu instid0(VALU_DEP_1) | instskip(SKIP_1) | instid1(VALU_DEP_1)
	v_or3_b32 v95, v79, v78, v80
	v_dual_lshlrev_b32 v79, 2, v108 :: v_dual_lshlrev_b32 v80, 9, v108
	v_and_b32_e32 v79, 0x100000, v79
	s_delay_alu instid0(VALU_DEP_2) | instskip(NEXT) | instid1(VALU_DEP_1)
	v_and_b32_e32 v80, 0x10000000, v80
	v_or3_b32 v105, v78, v79, v80
	v_mad_nc_u64_u32 v[78:79], v4, 22, s[18:19]
	s_lshl_b32 s18, s14, 5
	s_delay_alu instid0(SALU_CYCLE_1) | instskip(NEXT) | instid1(VALU_DEP_1)
	s_cmp_lt_i32 s18, s5
	v_mad_nc_i64_i32 v[80:81], v44, 22, v[78:79]
	global_load_u16 v108, v[80:81], off
	s_wait_xcnt 0x0
	v_mad_nc_i64_i32 v[80:81], v46, 22, v[78:79]
	global_load_u16 v121, v[80:81], off
	s_wait_xcnt 0x0
	v_mad_nc_i64_i32 v[80:81], v48, 22, v[78:79]
	v_mad_nc_i64_i32 v[78:79], v50, 22, v[78:79]
	s_clause 0x1
	global_load_u16 v80, v[80:81], off
	global_load_u16 v78, v[78:79], off
	s_wait_xcnt 0x0
	v_and_b32_e32 v79, 0x1f00, v85
	v_lshlrev_b16 v81, 8, v85
	v_lshrrev_b32_e32 v85, 16, v117
	s_delay_alu instid0(VALU_DEP_3) | instskip(NEXT) | instid1(VALU_DEP_3)
	v_add_nc_u16 v79, 0xf000, v79
	v_add_nc_u16 v81, 0xf000, v81
	s_delay_alu instid0(VALU_DEP_1) | instskip(SKIP_1) | instid1(VALU_DEP_1)
	v_perm_b32 v79, v81, v79, 0xc0c0105
	v_lshrrev_b32_e32 v81, 16, v84
	v_and_b32_e32 v84, 0x1f00, v81
	v_lshlrev_b16 v81, 8, v81
	s_delay_alu instid0(VALU_DEP_2) | instskip(NEXT) | instid1(VALU_DEP_2)
	v_add_nc_u16 v84, 0xf000, v84
	v_add_nc_u16 v81, 0xf000, v81
	s_delay_alu instid0(VALU_DEP_1) | instskip(SKIP_1) | instid1(VALU_DEP_2)
	v_perm_b32 v81, v81, v84, 0xc0c0105
	v_lshlrev_b16 v84, 8, v116
	v_lshl_or_b32 v79, v81, 16, v79
	s_delay_alu instid0(VALU_DEP_2) | instskip(NEXT) | instid1(VALU_DEP_1)
	v_add_nc_u16 v84, 0xf000, v84
	v_lshrrev_b16 v84, 8, v84
	s_delay_alu instid0(VALU_DEP_1) | instskip(SKIP_2) | instid1(VALU_DEP_3)
	v_bitop3_b16 v84, v116, v84, 0x1f00 bitop3:0xec
	v_and_b32_e32 v116, 0x1f00, v85
	v_lshlrev_b16 v85, 8, v85
	v_add_nc_u16 v81, 0xf000, v84
	s_delay_alu instid0(VALU_DEP_3) | instskip(NEXT) | instid1(VALU_DEP_3)
	v_add_nc_u16 v116, 0xf000, v116
	v_add_nc_u16 v85, 0xf000, v85
	s_delay_alu instid0(VALU_DEP_3) | instskip(NEXT) | instid1(VALU_DEP_2)
	v_and_b32_e32 v81, 0xffff, v81
	v_perm_b32 v85, v85, v116, 0xc0c0105
	s_delay_alu instid0(VALU_DEP_1) | instskip(SKIP_1) | instid1(VALU_DEP_1)
	v_lshl_or_b32 v81, v85, 16, v81
	v_lshrrev_b32_e32 v85, 16, v86
	v_and_b32_e32 v86, 0x1f00, v85
	v_lshlrev_b16 v85, 8, v85
	s_delay_alu instid0(VALU_DEP_2) | instskip(NEXT) | instid1(VALU_DEP_2)
	v_add_nc_u16 v86, 0xf000, v86
	v_add_nc_u16 v85, 0xf000, v85
	s_delay_alu instid0(VALU_DEP_1)
	v_perm_b32 v85, v85, v86, 0xc0c0105
	v_lshrrev_b32_e32 v86, 16, v88
	s_wait_loadcnt 0x3
	v_cvt_f32_f16_e32 v84, v108
	ds_store_2addr_b32 v13, v79, v81 offset1:1
	v_and_b32_e32 v79, 0x1f00, v118
	v_lshlrev_b16 v81, 8, v118
	ds_store_b32 v47, v84
	v_add_nc_u16 v79, 0xf000, v79
	v_add_nc_u16 v81, 0xf000, v81
	s_wait_loadcnt 0x2
	v_cvt_f32_f16_e32 v84, v121
	s_delay_alu instid0(VALU_DEP_2)
	v_perm_b32 v79, v81, v79, 0xc0c0105
	v_lshlrev_b16 v81, 8, v87
	ds_store_b32 v49, v84
	v_lshl_or_b32 v79, v85, 16, v79
	v_add_nc_u16 v81, 0xf000, v81
	v_lshrrev_b32_e32 v85, 16, v89
	v_and_b32_e32 v84, 0x1f00, v77
	v_lshlrev_b16 v77, 8, v77
	s_delay_alu instid0(VALU_DEP_4)
	v_lshrrev_b16 v81, 8, v81
	s_wait_loadcnt 0x1
	v_cvt_f32_f16_e32 v80, v80
	v_add_nc_u16 v84, 0xf000, v84
	v_add_nc_u16 v77, 0xf000, v77
	v_bitop3_b16 v81, v87, v81, 0x1f00 bitop3:0xec
	v_and_b32_e32 v87, 0x1f00, v86
	v_lshlrev_b16 v86, 8, v86
	s_delay_alu instid0(VALU_DEP_4)
	v_perm_b32 v77, v77, v84, 0xc0c0105
	v_lshrrev_b32_e32 v84, 16, v94
	v_add_nc_u16 v81, 0xf000, v81
	v_add_nc_u16 v87, 0xf000, v87
	;; [unrolled: 1-line block ×3, first 2 shown]
	ds_store_b32 v51, v80
	s_wait_loadcnt 0x0
	v_cvt_f32_f16_e32 v80, v78
	v_and_b32_e32 v81, 0xffff, v81
	v_lshlrev_b16 v78, 8, v92
	v_perm_b32 v86, v86, v87, 0xc0c0105
	s_delay_alu instid0(VALU_DEP_2) | instskip(NEXT) | instid1(VALU_DEP_2)
	v_add_nc_u16 v78, 0xf000, v78
	v_lshl_or_b32 v81, v86, 16, v81
	v_and_b32_e32 v86, 0x1f00, v85
	v_lshlrev_b16 v85, 8, v85
	ds_store_2addr_b32 v15, v81, v79 offset1:1
	v_and_b32_e32 v79, 0x1f00, v119
	v_lshlrev_b16 v81, 8, v119
	v_add_nc_u16 v86, 0xf000, v86
	v_add_nc_u16 v85, 0xf000, v85
	s_delay_alu instid0(VALU_DEP_4) | instskip(NEXT) | instid1(VALU_DEP_4)
	v_add_nc_u16 v79, 0xf000, v79
	v_add_nc_u16 v81, 0xf000, v81
	s_delay_alu instid0(VALU_DEP_3) | instskip(SKIP_1) | instid1(VALU_DEP_3)
	v_perm_b32 v85, v85, v86, 0xc0c0105
	v_lshrrev_b32_e32 v86, 16, v91
	v_perm_b32 v79, v81, v79, 0xc0c0105
	v_lshlrev_b16 v81, 8, v90
	s_delay_alu instid0(VALU_DEP_3) | instskip(SKIP_1) | instid1(VALU_DEP_4)
	v_and_b32_e32 v87, 0x1f00, v86
	v_lshlrev_b16 v86, 8, v86
	v_lshl_or_b32 v79, v85, 16, v79
	s_delay_alu instid0(VALU_DEP_4)
	v_add_nc_u16 v81, 0xf000, v81
	v_and_b32_e32 v85, 0x1f00, v84
	v_add_nc_u16 v87, 0xf000, v87
	v_add_nc_u16 v86, 0xf000, v86
	v_lshlrev_b16 v84, 8, v84
	v_lshrrev_b16 v81, 8, v81
	v_add_nc_u16 v85, 0xf000, v85
	s_delay_alu instid0(VALU_DEP_4) | instskip(NEXT) | instid1(VALU_DEP_4)
	v_perm_b32 v86, v86, v87, 0xc0c0105
	v_add_nc_u16 v84, 0xf000, v84
	s_delay_alu instid0(VALU_DEP_4) | instskip(NEXT) | instid1(VALU_DEP_2)
	v_bitop3_b16 v81, v90, v81, 0x1f00 bitop3:0xec
	v_perm_b32 v84, v84, v85, 0xc0c0105
	s_delay_alu instid0(VALU_DEP_2) | instskip(NEXT) | instid1(VALU_DEP_1)
	v_add_nc_u16 v81, 0xf000, v81
	v_and_b32_e32 v81, 0xffff, v81
	s_delay_alu instid0(VALU_DEP_1) | instskip(SKIP_3) | instid1(VALU_DEP_2)
	v_lshl_or_b32 v81, v86, 16, v81
	ds_store_2addr_b32 v17, v81, v79 offset1:1
	v_and_b32_e32 v79, 0x1f00, v120
	v_lshlrev_b16 v81, 8, v120
	v_add_nc_u16 v79, 0xf000, v79
	s_delay_alu instid0(VALU_DEP_2) | instskip(NEXT) | instid1(VALU_DEP_1)
	v_add_nc_u16 v81, 0xf000, v81
	v_perm_b32 v79, v81, v79, 0xc0c0105
	v_lshlrev_b16 v81, 8, v93
	s_delay_alu instid0(VALU_DEP_2) | instskip(NEXT) | instid1(VALU_DEP_2)
	v_lshl_or_b32 v77, v77, 16, v79
	v_add_nc_u16 v81, 0xf000, v81
	s_delay_alu instid0(VALU_DEP_1) | instskip(NEXT) | instid1(VALU_DEP_1)
	v_lshrrev_b16 v81, 8, v81
	v_bitop3_b16 v81, v93, v81, 0x1f00 bitop3:0xec
	s_delay_alu instid0(VALU_DEP_1) | instskip(NEXT) | instid1(VALU_DEP_1)
	v_add_nc_u16 v79, 0xf000, v81
	v_and_b32_e32 v79, 0xffff, v79
	s_delay_alu instid0(VALU_DEP_1) | instskip(SKIP_3) | instid1(VALU_DEP_2)
	v_lshl_or_b32 v79, v84, 16, v79
	ds_store_2addr_b32 v19, v79, v77 offset1:1
	v_and_b32_e32 v77, 0x1f00, v92
	v_lshrrev_b32_e32 v79, 16, v98
	v_add_nc_u16 v77, 0xf000, v77
	s_delay_alu instid0(VALU_DEP_2) | instskip(SKIP_1) | instid1(VALU_DEP_3)
	v_and_b32_e32 v81, 0x1f00, v79
	v_lshlrev_b16 v79, 8, v79
	v_perm_b32 v77, v78, v77, 0xc0c0105
	v_lshlrev_b16 v78, 8, v101
	s_delay_alu instid0(VALU_DEP_4) | instskip(NEXT) | instid1(VALU_DEP_4)
	v_add_nc_u16 v81, 0xf000, v81
	v_add_nc_u16 v79, 0xf000, v79
	s_delay_alu instid0(VALU_DEP_3) | instskip(NEXT) | instid1(VALU_DEP_2)
	v_add_nc_u16 v78, 0xf000, v78
	v_perm_b32 v79, v79, v81, 0xc0c0105
	v_lshrrev_b32_e32 v81, 16, v100
	s_delay_alu instid0(VALU_DEP_3) | instskip(NEXT) | instid1(VALU_DEP_3)
	v_lshrrev_b16 v78, 8, v78
	v_lshl_or_b32 v77, v79, 16, v77
	s_delay_alu instid0(VALU_DEP_3) | instskip(SKIP_1) | instid1(VALU_DEP_4)
	v_and_b32_e32 v84, 0x1f00, v81
	v_lshlrev_b16 v81, 8, v81
	v_bitop3_b16 v78, v101, v78, 0x1f00 bitop3:0xec
	v_lshrrev_b32_e32 v79, 5, v83
	s_delay_alu instid0(VALU_DEP_4) | instskip(NEXT) | instid1(VALU_DEP_4)
	v_add_nc_u16 v84, 0xf000, v84
	v_add_nc_u16 v81, 0xf000, v81
	s_delay_alu instid0(VALU_DEP_4) | instskip(NEXT) | instid1(VALU_DEP_4)
	v_add_nc_u16 v78, 0xf000, v78
	v_and_b32_e32 v79, 0x1000, v79
	s_delay_alu instid0(VALU_DEP_3) | instskip(NEXT) | instid1(VALU_DEP_3)
	v_perm_b32 v81, v81, v84, 0xc0c0105
	v_and_b32_e32 v78, 0xffff, v78
	s_delay_alu instid0(VALU_DEP_1) | instskip(SKIP_4) | instid1(VALU_DEP_2)
	v_lshl_or_b32 v78, v81, 16, v78
	v_lshlrev_b32_e32 v81, 9, v83
	ds_store_2addr_b32 v21, v78, v77 offset1:1
	v_dual_lshrrev_b32 v77, 4, v82 :: v_dual_lshrrev_b32 v78, 12, v83
	v_and_b32_e32 v81, 0x10000000, v81
	v_and_b32_e32 v77, 0xf0f0f0f, v77
	s_delay_alu instid0(VALU_DEP_3) | instskip(NEXT) | instid1(VALU_DEP_1)
	v_and_b32_e32 v78, 16, v78
	v_or3_b32 v78, v78, v77, v79
	v_lshlrev_b32_e32 v79, 2, v83
	v_lshrrev_b32_e32 v83, 16, v99
	s_delay_alu instid0(VALU_DEP_2) | instskip(NEXT) | instid1(VALU_DEP_2)
	v_and_b32_e32 v79, 0x100000, v79
	v_and_b32_e32 v84, 0x1f00, v83
	v_lshlrev_b16 v83, 8, v83
	s_delay_alu instid0(VALU_DEP_3)
	v_or3_b32 v77, v77, v79, v81
	v_and_b32_e32 v79, 0x1f00, v103
	v_lshlrev_b16 v81, 8, v103
	v_add_nc_u16 v84, 0xf000, v84
	v_add_nc_u16 v83, 0xf000, v83
	v_lshrrev_b32_e32 v77, 16, v77
	v_add_nc_u16 v79, 0xf000, v79
	v_add_nc_u16 v81, 0xf000, v81
	s_delay_alu instid0(VALU_DEP_4) | instskip(NEXT) | instid1(VALU_DEP_2)
	v_perm_b32 v83, v83, v84, 0xc0c0105
	v_perm_b32 v79, v81, v79, 0xc0c0105
	v_lshrrev_b32_e32 v81, 16, v104
	s_delay_alu instid0(VALU_DEP_1) | instskip(SKIP_1) | instid1(VALU_DEP_2)
	v_and_b32_e32 v82, 0x1f00, v81
	v_lshlrev_b16 v81, 8, v81
	v_add_nc_u16 v82, 0xf000, v82
	s_delay_alu instid0(VALU_DEP_2) | instskip(NEXT) | instid1(VALU_DEP_1)
	v_add_nc_u16 v81, 0xf000, v81
	v_perm_b32 v81, v81, v82, 0xc0c0105
	v_lshlrev_b16 v82, 8, v97
	s_delay_alu instid0(VALU_DEP_2) | instskip(NEXT) | instid1(VALU_DEP_2)
	v_lshl_or_b32 v79, v81, 16, v79
	v_add_nc_u16 v82, 0xf000, v82
	s_delay_alu instid0(VALU_DEP_1) | instskip(NEXT) | instid1(VALU_DEP_1)
	v_lshrrev_b16 v82, 8, v82
	v_bitop3_b16 v82, v97, v82, 0x1f00 bitop3:0xec
	s_delay_alu instid0(VALU_DEP_1) | instskip(NEXT) | instid1(VALU_DEP_1)
	v_add_nc_u16 v81, 0xf000, v82
	v_and_b32_e32 v81, 0xffff, v81
	s_delay_alu instid0(VALU_DEP_1) | instskip(SKIP_3) | instid1(VALU_DEP_2)
	v_lshl_or_b32 v81, v83, 16, v81
	ds_store_2addr_b32 v23, v79, v81 offset1:1
	v_and_b32_e32 v79, 0x1f00, v106
	v_lshlrev_b16 v81, 8, v106
	v_add_nc_u16 v79, 0xf000, v79
	s_delay_alu instid0(VALU_DEP_2) | instskip(NEXT) | instid1(VALU_DEP_1)
	v_add_nc_u16 v81, 0xf000, v81
	v_perm_b32 v79, v81, v79, 0xc0c0105
	v_lshrrev_b32_e32 v81, 16, v107
	s_delay_alu instid0(VALU_DEP_1) | instskip(SKIP_1) | instid1(VALU_DEP_2)
	v_and_b32_e32 v82, 0x1f00, v81
	v_lshlrev_b16 v81, 8, v81
	v_add_nc_u16 v82, 0xf000, v82
	s_delay_alu instid0(VALU_DEP_2) | instskip(NEXT) | instid1(VALU_DEP_1)
	v_add_nc_u16 v81, 0xf000, v81
	v_perm_b32 v81, v81, v82, 0xc0c0105
	v_lshrrev_b32_e32 v82, 16, v102
	s_delay_alu instid0(VALU_DEP_2) | instskip(SKIP_1) | instid1(VALU_DEP_3)
	v_lshl_or_b32 v79, v81, 16, v79
	v_lshlrev_b16 v81, 8, v96
	v_and_b32_e32 v83, 0x1f00, v82
	v_lshlrev_b16 v82, 8, v82
	s_delay_alu instid0(VALU_DEP_3) | instskip(NEXT) | instid1(VALU_DEP_3)
	v_add_nc_u16 v81, 0xf000, v81
	v_add_nc_u16 v83, 0xf000, v83
	s_delay_alu instid0(VALU_DEP_3) | instskip(NEXT) | instid1(VALU_DEP_3)
	v_add_nc_u16 v82, 0xf000, v82
	v_lshrrev_b16 v81, 8, v81
	s_delay_alu instid0(VALU_DEP_2) | instskip(NEXT) | instid1(VALU_DEP_2)
	v_perm_b32 v82, v82, v83, 0xc0c0105
	v_bitop3_b16 v81, v96, v81, 0x1f00 bitop3:0xec
	s_delay_alu instid0(VALU_DEP_1) | instskip(NEXT) | instid1(VALU_DEP_1)
	v_add_nc_u16 v81, 0xf000, v81
	v_and_b32_e32 v81, 0xffff, v81
	s_delay_alu instid0(VALU_DEP_1) | instskip(SKIP_3) | instid1(VALU_DEP_2)
	v_lshl_or_b32 v81, v82, 16, v81
	ds_store_2addr_b32 v25, v79, v81 offset1:1
	v_and_b32_e32 v79, 0x1f00, v109
	v_lshlrev_b16 v81, 8, v109
	v_add_nc_u16 v79, 0xf000, v79
	s_delay_alu instid0(VALU_DEP_2) | instskip(NEXT) | instid1(VALU_DEP_1)
	v_add_nc_u16 v81, 0xf000, v81
	v_perm_b32 v79, v81, v79, 0xc0c0105
	v_lshrrev_b32_e32 v81, 16, v110
	s_delay_alu instid0(VALU_DEP_1) | instskip(SKIP_1) | instid1(VALU_DEP_2)
	v_and_b32_e32 v82, 0x1f00, v81
	v_lshlrev_b16 v81, 8, v81
	v_add_nc_u16 v82, 0xf000, v82
	s_delay_alu instid0(VALU_DEP_2) | instskip(NEXT) | instid1(VALU_DEP_1)
	v_add_nc_u16 v81, 0xf000, v81
	v_perm_b32 v81, v81, v82, 0xc0c0105
	v_lshlrev_b16 v82, 8, v95
	s_delay_alu instid0(VALU_DEP_2) | instskip(NEXT) | instid1(VALU_DEP_2)
	v_lshl_or_b32 v79, v81, 16, v79
	v_add_nc_u16 v82, 0xf000, v82
	v_lshrrev_b32_e32 v81, 16, v105
	s_delay_alu instid0(VALU_DEP_2) | instskip(NEXT) | instid1(VALU_DEP_2)
	v_lshrrev_b16 v82, 8, v82
	v_and_b32_e32 v83, 0x1f00, v81
	v_lshlrev_b16 v81, 8, v81
	s_delay_alu instid0(VALU_DEP_3) | instskip(NEXT) | instid1(VALU_DEP_3)
	v_bitop3_b16 v82, v95, v82, 0x1f00 bitop3:0xec
	v_add_nc_u16 v83, 0xf000, v83
	s_delay_alu instid0(VALU_DEP_3) | instskip(NEXT) | instid1(VALU_DEP_3)
	v_add_nc_u16 v81, 0xf000, v81
	v_add_nc_u16 v82, 0xf000, v82
	s_delay_alu instid0(VALU_DEP_2) | instskip(NEXT) | instid1(VALU_DEP_2)
	v_perm_b32 v81, v81, v83, 0xc0c0105
	v_and_b32_e32 v82, 0xffff, v82
	s_delay_alu instid0(VALU_DEP_1) | instskip(SKIP_3) | instid1(VALU_DEP_2)
	v_lshl_or_b32 v81, v81, 16, v82
	ds_store_2addr_b32 v27, v79, v81 offset1:1
	v_lshlrev_b16 v79, 8, v78
	v_lshlrev_b16 v81, 8, v114
	v_add_nc_u16 v79, 0xf000, v79
	s_delay_alu instid0(VALU_DEP_2) | instskip(NEXT) | instid1(VALU_DEP_2)
	v_add_nc_u16 v81, 0xf000, v81
	v_lshrrev_b16 v79, 8, v79
	s_delay_alu instid0(VALU_DEP_1) | instskip(SKIP_1) | instid1(VALU_DEP_2)
	v_bitop3_b16 v78, v78, v79, 0x1f00 bitop3:0xec
	v_and_b32_e32 v79, 0x1f00, v114
	v_add_nc_u16 v78, 0xf000, v78
	s_delay_alu instid0(VALU_DEP_2) | instskip(NEXT) | instid1(VALU_DEP_2)
	v_add_nc_u16 v79, 0xf000, v79
	v_and_b32_e32 v78, 0xffff, v78
	s_delay_alu instid0(VALU_DEP_2) | instskip(SKIP_1) | instid1(VALU_DEP_1)
	v_perm_b32 v79, v81, v79, 0xc0c0105
	v_lshrrev_b32_e32 v81, 16, v115
	v_and_b32_e32 v82, 0x1f00, v81
	v_lshlrev_b16 v81, 8, v81
	s_delay_alu instid0(VALU_DEP_2) | instskip(NEXT) | instid1(VALU_DEP_2)
	v_add_nc_u16 v82, 0xf000, v82
	v_add_nc_u16 v81, 0xf000, v81
	s_delay_alu instid0(VALU_DEP_1) | instskip(SKIP_2) | instid1(VALU_DEP_3)
	v_perm_b32 v81, v81, v82, 0xc0c0105
	v_and_b32_e32 v82, 0x1f00, v77
	v_lshlrev_b16 v77, 8, v77
	v_lshl_or_b32 v79, v81, 16, v79
	s_delay_alu instid0(VALU_DEP_3) | instskip(NEXT) | instid1(VALU_DEP_3)
	v_add_nc_u16 v82, 0xf000, v82
	v_add_nc_u16 v77, 0xf000, v77
	s_delay_alu instid0(VALU_DEP_1) | instskip(NEXT) | instid1(VALU_DEP_1)
	v_perm_b32 v77, v77, v82, 0xc0c0105
	v_lshl_or_b32 v77, v77, 16, v78
	v_and_b32_e32 v78, 0xf0f0f0f, v113
	ds_store_2addr_b32 v31, v79, v77 offset1:1
	v_dual_lshlrev_b32 v77, 11, v58 :: v_dual_lshlrev_b32 v79, 25, v58
	s_delay_alu instid0(VALU_DEP_1) | instskip(NEXT) | instid1(VALU_DEP_2)
	v_and_b32_e32 v77, 0x1000, v77
	v_and_b32_e32 v79, 0x10000000, v79
	s_delay_alu instid0(VALU_DEP_2) | instskip(SKIP_1) | instid1(VALU_DEP_1)
	v_or3_b32 v77, v59, v78, v77
	v_lshlrev_b32_e32 v59, 18, v58
	v_and_b32_e32 v59, 0x100000, v59
	s_delay_alu instid0(VALU_DEP_1) | instskip(SKIP_2) | instid1(VALU_DEP_2)
	v_or3_b32 v81, v78, v59, v79
	v_dual_lshrrev_b32 v59, 4, v113 :: v_dual_lshrrev_b32 v78, 12, v58
	v_lshrrev_b32_e32 v79, 5, v58
	v_and_b32_e32 v59, 0xf0f0f0f, v59
	s_delay_alu instid0(VALU_DEP_3) | instskip(NEXT) | instid1(VALU_DEP_3)
	v_and_b32_e32 v78, 16, v78
	v_and_b32_e32 v79, 0x1000, v79
	s_delay_alu instid0(VALU_DEP_1) | instskip(SKIP_1) | instid1(VALU_DEP_1)
	v_or3_b32 v82, v78, v59, v79
	v_dual_lshlrev_b32 v78, 2, v58 :: v_dual_lshlrev_b32 v58, 9, v58
	v_and_b32_e32 v78, 0x100000, v78
	s_delay_alu instid0(VALU_DEP_2) | instskip(NEXT) | instid1(VALU_DEP_1)
	v_and_b32_e32 v58, 0x10000000, v58
	v_or3_b32 v83, v59, v78, v58
	v_lshlrev_b32_e32 v58, 11, v56
	v_and_b32_e32 v59, 0xf0f0f0f, v112
	s_delay_alu instid0(VALU_DEP_2) | instskip(NEXT) | instid1(VALU_DEP_1)
	v_and_b32_e32 v58, 0x1000, v58
	v_or3_b32 v84, v57, v59, v58
	v_dual_lshlrev_b32 v57, 18, v56 :: v_dual_lshlrev_b32 v58, 25, v56
	s_delay_alu instid0(VALU_DEP_1) | instskip(NEXT) | instid1(VALU_DEP_2)
	v_and_b32_e32 v57, 0x100000, v57
	v_and_b32_e32 v58, 0x10000000, v58
	s_delay_alu instid0(VALU_DEP_1) | instskip(SKIP_1) | instid1(VALU_DEP_1)
	v_or3_b32 v85, v59, v57, v58
	v_dual_lshrrev_b32 v58, 12, v56 :: v_dual_lshrrev_b32 v59, 5, v56
	v_dual_lshrrev_b32 v57, 4, v112 :: v_dual_bitop2_b32 v58, 16, v58 bitop3:0x40
	s_delay_alu instid0(VALU_DEP_2) | instskip(NEXT) | instid1(VALU_DEP_2)
	v_and_b32_e32 v59, 0x1000, v59
	v_and_b32_e32 v57, 0xf0f0f0f, v57
	s_delay_alu instid0(VALU_DEP_1) | instskip(SKIP_1) | instid1(VALU_DEP_1)
	v_or3_b32 v86, v58, v57, v59
	v_dual_lshlrev_b32 v58, 2, v56 :: v_dual_lshlrev_b32 v56, 9, v56
	v_and_b32_e32 v58, 0x100000, v58
	s_delay_alu instid0(VALU_DEP_2) | instskip(NEXT) | instid1(VALU_DEP_1)
	v_and_b32_e32 v56, 0x10000000, v56
	v_or3_b32 v87, v57, v58, v56
	v_lshlrev_b32_e32 v56, 11, v54
	v_and_b32_e32 v57, 0xf0f0f0f, v111
	s_delay_alu instid0(VALU_DEP_2) | instskip(NEXT) | instid1(VALU_DEP_1)
	v_and_b32_e32 v56, 0x1000, v56
	v_or3_b32 v88, v55, v57, v56
	v_dual_lshlrev_b32 v55, 18, v54 :: v_dual_lshlrev_b32 v56, 25, v54
	s_delay_alu instid0(VALU_DEP_1) | instskip(NEXT) | instid1(VALU_DEP_2)
	v_and_b32_e32 v55, 0x100000, v55
	v_and_b32_e32 v56, 0x10000000, v56
	s_delay_alu instid0(VALU_DEP_1) | instskip(SKIP_2) | instid1(VALU_DEP_2)
	v_or3_b32 v89, v57, v55, v56
	v_dual_lshrrev_b32 v55, 4, v111 :: v_dual_lshrrev_b32 v56, 12, v54
	v_lshrrev_b32_e32 v57, 5, v54
	v_and_b32_e32 v55, 0xf0f0f0f, v55
	s_delay_alu instid0(VALU_DEP_3) | instskip(NEXT) | instid1(VALU_DEP_3)
	v_and_b32_e32 v56, 16, v56
	v_and_b32_e32 v57, 0x1000, v57
	s_delay_alu instid0(VALU_DEP_1) | instskip(SKIP_1) | instid1(VALU_DEP_1)
	v_or3_b32 v90, v56, v55, v57
	v_dual_lshlrev_b32 v56, 2, v54 :: v_dual_lshlrev_b32 v54, 9, v54
	v_and_b32_e32 v56, 0x100000, v56
	s_delay_alu instid0(VALU_DEP_2) | instskip(NEXT) | instid1(VALU_DEP_1)
	v_and_b32_e32 v54, 0x10000000, v54
	v_or3_b32 v91, v55, v56, v54
	v_mad_nc_i64_i32 v[54:55], v42, 22, v[52:53]
	s_delay_alu instid0(VALU_DEP_1)
	v_add_nc_u64_e32 v[56:57], v[54:55], v[2:3]
	s_clause 0x1
	global_load_b32 v54, v[54:55], off offset:2
	global_load_b32 v92, v[56:57], off offset:6
	s_wait_xcnt 0x0
	v_mad_nc_i64_i32 v[56:57], v40, 22, v[52:53]
	s_delay_alu instid0(VALU_DEP_1)
	v_add_nc_u64_e32 v[58:59], v[56:57], v[2:3]
	s_clause 0x1
	global_load_b32 v56, v[56:57], off offset:2
	global_load_b32 v93, v[58:59], off offset:6
	s_wait_xcnt 0x0
	v_mad_nc_i64_i32 v[58:59], v38, 22, v[52:53]
	v_mad_nc_i64_i32 v[52:53], v36, 22, v[52:53]
	s_delay_alu instid0(VALU_DEP_2)
	v_add_nc_u64_e32 v[78:79], v[58:59], v[2:3]
	s_clause 0x1
	global_load_b32 v78, v[78:79], off offset:6
	global_load_b32 v79, v[52:53], off offset:2
	s_wait_xcnt 0x0
	v_add_nc_u64_e32 v[52:53], v[52:53], v[2:3]
	global_load_b32 v52, v[52:53], off offset:6
	s_wait_loadcnt 0x6
	v_ashrrev_i32_e32 v54, v2, v54
	s_delay_alu instid0(VALU_DEP_1) | instskip(SKIP_1) | instid1(VALU_DEP_1)
	v_lshlrev_b32_e32 v55, 4, v54
	s_wait_loadcnt 0x4
	v_dual_ashrrev_i32 v56, v2, v56 :: v_dual_bitop2_b32 v55, 16, v55 bitop3:0x40
	s_delay_alu instid0(VALU_DEP_1) | instskip(SKIP_2) | instid1(VALU_DEP_1)
	v_lshlrev_b32_e32 v57, 4, v56
	s_wait_loadcnt 0x1
	s_wait_xcnt 0x0
	v_dual_ashrrev_i32 v53, v2, v79 :: v_dual_bitop2_b32 v57, 16, v57 bitop3:0x40
	s_delay_alu instid0(VALU_DEP_1) | instskip(SKIP_2) | instid1(VALU_DEP_2)
	v_lshlrev_b32_e32 v79, 4, v53
	s_wait_loadcnt 0x0
	v_and_b32_e32 v95, 0xf0f0f0f, v52
	v_dual_lshlrev_b32 v94, 11, v53 :: v_dual_bitop2_b32 v79, 16, v79 bitop3:0x40
	v_dual_lshlrev_b32 v96, 25, v53 :: v_dual_lshrrev_b32 v52, 4, v52
	s_delay_alu instid0(VALU_DEP_2) | instskip(NEXT) | instid1(VALU_DEP_2)
	v_and_b32_e32 v94, 0x1000, v94
	v_and_b32_e32 v96, 0x10000000, v96
	s_delay_alu instid0(VALU_DEP_2) | instskip(SKIP_1) | instid1(VALU_DEP_1)
	v_or3_b32 v79, v79, v95, v94
	v_lshlrev_b32_e32 v94, 18, v53
	v_and_b32_e32 v94, 0x100000, v94
	s_delay_alu instid0(VALU_DEP_1) | instskip(SKIP_2) | instid1(VALU_DEP_2)
	v_or3_b32 v94, v95, v94, v96
	v_dual_lshrrev_b32 v95, 12, v53 :: v_dual_lshrrev_b32 v96, 5, v53
	v_and_b32_e32 v52, 0xf0f0f0f, v52
	v_and_b32_e32 v95, 16, v95
	s_delay_alu instid0(VALU_DEP_3) | instskip(NEXT) | instid1(VALU_DEP_1)
	v_and_b32_e32 v96, 0x1000, v96
	v_or3_b32 v95, v95, v52, v96
	v_dual_lshlrev_b32 v96, 2, v53 :: v_dual_lshlrev_b32 v53, 9, v53
	s_delay_alu instid0(VALU_DEP_1) | instskip(NEXT) | instid1(VALU_DEP_2)
	v_and_b32_e32 v96, 0x100000, v96
	v_and_b32_e32 v53, 0x10000000, v53
	s_delay_alu instid0(VALU_DEP_1) | instskip(SKIP_2) | instid1(VALU_DEP_3)
	v_or3_b32 v52, v52, v96, v53
	v_and_b32_e32 v53, 0x1f00, v77
	v_lshlrev_b16 v77, 8, v77
	v_lshrrev_b32_e32 v52, 16, v52
	s_delay_alu instid0(VALU_DEP_3) | instskip(NEXT) | instid1(VALU_DEP_3)
	v_add_nc_u16 v53, 0xf000, v53
	v_add_nc_u16 v77, 0xf000, v77
	s_delay_alu instid0(VALU_DEP_1) | instskip(SKIP_1) | instid1(VALU_DEP_1)
	v_perm_b32 v53, v77, v53, 0xc0c0105
	v_lshrrev_b32_e32 v77, 16, v81
	v_and_b32_e32 v81, 0x1f00, v77
	v_lshlrev_b16 v77, 8, v77
	s_delay_alu instid0(VALU_DEP_2) | instskip(NEXT) | instid1(VALU_DEP_2)
	v_add_nc_u16 v81, 0xf000, v81
	v_add_nc_u16 v77, 0xf000, v77
	s_delay_alu instid0(VALU_DEP_1) | instskip(SKIP_1) | instid1(VALU_DEP_2)
	v_perm_b32 v77, v77, v81, 0xc0c0105
	v_dual_lshrrev_b32 v81, 16, v83 :: v_dual_lshrrev_b32 v83, 5, v54
	v_lshl_or_b32 v53, v77, 16, v53
	v_lshlrev_b16 v77, 8, v82
	s_delay_alu instid0(VALU_DEP_3) | instskip(NEXT) | instid1(VALU_DEP_2)
	v_and_b32_e32 v83, 0x1000, v83
	v_add_nc_u16 v77, 0xf000, v77
	s_delay_alu instid0(VALU_DEP_1) | instskip(NEXT) | instid1(VALU_DEP_1)
	v_lshrrev_b16 v77, 8, v77
	v_bitop3_b16 v77, v82, v77, 0x1f00 bitop3:0xec
	v_and_b32_e32 v82, 0x1f00, v81
	v_lshlrev_b16 v81, 8, v81
	s_delay_alu instid0(VALU_DEP_3) | instskip(NEXT) | instid1(VALU_DEP_3)
	v_add_nc_u16 v77, 0xf000, v77
	v_add_nc_u16 v82, 0xf000, v82
	s_delay_alu instid0(VALU_DEP_3) | instskip(NEXT) | instid1(VALU_DEP_3)
	v_add_nc_u16 v81, 0xf000, v81
	v_and_b32_e32 v77, 0xffff, v77
	s_delay_alu instid0(VALU_DEP_2) | instskip(NEXT) | instid1(VALU_DEP_1)
	v_perm_b32 v81, v81, v82, 0xc0c0105
	v_lshl_or_b32 v77, v81, 16, v77
	ds_store_2addr_b32 v33, v53, v77 offset1:1
	v_and_b32_e32 v53, 0x1f00, v84
	v_lshlrev_b16 v77, 8, v84
	s_delay_alu instid0(VALU_DEP_2) | instskip(NEXT) | instid1(VALU_DEP_2)
	v_add_nc_u16 v53, 0xf000, v53
	v_add_nc_u16 v77, 0xf000, v77
	s_delay_alu instid0(VALU_DEP_1) | instskip(SKIP_1) | instid1(VALU_DEP_1)
	v_perm_b32 v53, v77, v53, 0xc0c0105
	v_lshrrev_b32_e32 v77, 16, v85
	v_and_b32_e32 v81, 0x1f00, v77
	v_lshlrev_b16 v77, 8, v77
	s_delay_alu instid0(VALU_DEP_2) | instskip(NEXT) | instid1(VALU_DEP_2)
	v_add_nc_u16 v81, 0xf000, v81
	v_add_nc_u16 v77, 0xf000, v77
	s_delay_alu instid0(VALU_DEP_1) | instskip(SKIP_1) | instid1(VALU_DEP_2)
	v_perm_b32 v77, v77, v81, 0xc0c0105
	v_lshrrev_b32_e32 v81, 16, v87
	v_lshl_or_b32 v53, v77, 16, v53
	v_lshlrev_b16 v77, 8, v86
	s_delay_alu instid0(VALU_DEP_3) | instskip(SKIP_1) | instid1(VALU_DEP_3)
	v_and_b32_e32 v82, 0x1f00, v81
	v_lshlrev_b16 v81, 8, v81
	v_add_nc_u16 v77, 0xf000, v77
	s_delay_alu instid0(VALU_DEP_3) | instskip(NEXT) | instid1(VALU_DEP_3)
	v_add_nc_u16 v82, 0xf000, v82
	v_add_nc_u16 v81, 0xf000, v81
	s_delay_alu instid0(VALU_DEP_3) | instskip(NEXT) | instid1(VALU_DEP_2)
	v_lshrrev_b16 v77, 8, v77
	v_perm_b32 v81, v81, v82, 0xc0c0105
	s_delay_alu instid0(VALU_DEP_2) | instskip(NEXT) | instid1(VALU_DEP_1)
	v_bitop3_b16 v77, v86, v77, 0x1f00 bitop3:0xec
	v_add_nc_u16 v77, 0xf000, v77
	s_delay_alu instid0(VALU_DEP_1) | instskip(NEXT) | instid1(VALU_DEP_1)
	v_and_b32_e32 v77, 0xffff, v77
	v_lshl_or_b32 v77, v81, 16, v77
	ds_store_2addr_b32 v35, v53, v77 offset1:1
	v_and_b32_e32 v53, 0x1f00, v88
	v_lshlrev_b16 v77, 8, v88
	s_delay_alu instid0(VALU_DEP_2) | instskip(NEXT) | instid1(VALU_DEP_2)
	v_add_nc_u16 v53, 0xf000, v53
	v_add_nc_u16 v77, 0xf000, v77
	s_delay_alu instid0(VALU_DEP_1) | instskip(SKIP_1) | instid1(VALU_DEP_1)
	v_perm_b32 v53, v77, v53, 0xc0c0105
	v_lshrrev_b32_e32 v77, 16, v89
	v_and_b32_e32 v81, 0x1f00, v77
	v_lshlrev_b16 v77, 8, v77
	s_delay_alu instid0(VALU_DEP_2) | instskip(NEXT) | instid1(VALU_DEP_2)
	v_add_nc_u16 v81, 0xf000, v81
	v_add_nc_u16 v77, 0xf000, v77
	s_delay_alu instid0(VALU_DEP_1) | instskip(SKIP_1) | instid1(VALU_DEP_2)
	v_perm_b32 v77, v77, v81, 0xc0c0105
	v_lshlrev_b16 v81, 8, v90
	v_lshl_or_b32 v53, v77, 16, v53
	s_delay_alu instid0(VALU_DEP_2) | instskip(SKIP_1) | instid1(VALU_DEP_2)
	v_add_nc_u16 v81, 0xf000, v81
	v_lshrrev_b32_e32 v77, 16, v91
	v_lshrrev_b16 v81, 8, v81
	s_delay_alu instid0(VALU_DEP_2) | instskip(SKIP_1) | instid1(VALU_DEP_3)
	v_and_b32_e32 v82, 0x1f00, v77
	v_lshlrev_b16 v77, 8, v77
	v_bitop3_b16 v81, v90, v81, 0x1f00 bitop3:0xec
	s_delay_alu instid0(VALU_DEP_3) | instskip(NEXT) | instid1(VALU_DEP_3)
	v_add_nc_u16 v82, 0xf000, v82
	v_add_nc_u16 v77, 0xf000, v77
	s_delay_alu instid0(VALU_DEP_3) | instskip(NEXT) | instid1(VALU_DEP_2)
	v_add_nc_u16 v81, 0xf000, v81
	v_perm_b32 v77, v77, v82, 0xc0c0105
	v_lshlrev_b32_e32 v82, 25, v54
	s_delay_alu instid0(VALU_DEP_3) | instskip(NEXT) | instid1(VALU_DEP_2)
	v_and_b32_e32 v81, 0xffff, v81
	v_and_b32_e32 v82, 0x10000000, v82
	s_delay_alu instid0(VALU_DEP_2) | instskip(SKIP_4) | instid1(VALU_DEP_3)
	v_lshl_or_b32 v77, v77, 16, v81
	ds_store_2addr_b32 v37, v53, v77 offset1:1
	v_and_b32_e32 v77, 0x1f00, v79
	v_lshlrev_b16 v79, 8, v79
	v_lshlrev_b16 v53, 8, v95
	v_add_nc_u16 v77, 0xf000, v77
	s_delay_alu instid0(VALU_DEP_3) | instskip(NEXT) | instid1(VALU_DEP_3)
	v_add_nc_u16 v79, 0xf000, v79
	v_add_nc_u16 v53, 0xf000, v53
	s_delay_alu instid0(VALU_DEP_2) | instskip(SKIP_1) | instid1(VALU_DEP_3)
	v_perm_b32 v77, v79, v77, 0xc0c0105
	v_lshrrev_b32_e32 v79, 16, v94
	v_lshrrev_b16 v53, 8, v53
	s_delay_alu instid0(VALU_DEP_2) | instskip(SKIP_1) | instid1(VALU_DEP_3)
	v_and_b32_e32 v81, 0x1f00, v79
	v_lshlrev_b16 v79, 8, v79
	v_bitop3_b16 v53, v95, v53, 0x1f00 bitop3:0xec
	s_delay_alu instid0(VALU_DEP_3) | instskip(NEXT) | instid1(VALU_DEP_3)
	v_add_nc_u16 v81, 0xf000, v81
	v_add_nc_u16 v79, 0xf000, v79
	s_delay_alu instid0(VALU_DEP_3) | instskip(NEXT) | instid1(VALU_DEP_2)
	v_add_nc_u16 v53, 0xf000, v53
	v_perm_b32 v79, v79, v81, 0xc0c0105
	v_and_b32_e32 v81, 0x1f00, v52
	v_lshlrev_b16 v52, 8, v52
	s_delay_alu instid0(VALU_DEP_4) | instskip(NEXT) | instid1(VALU_DEP_4)
	v_and_b32_e32 v53, 0xffff, v53
	v_lshl_or_b32 v77, v79, 16, v77
	s_delay_alu instid0(VALU_DEP_4) | instskip(NEXT) | instid1(VALU_DEP_4)
	v_add_nc_u16 v81, 0xf000, v81
	v_add_nc_u16 v52, 0xf000, v52
	v_lshlrev_b32_e32 v79, 25, v56
	s_delay_alu instid0(VALU_DEP_2) | instskip(NEXT) | instid1(VALU_DEP_2)
	v_perm_b32 v52, v52, v81, 0xc0c0105
	v_and_b32_e32 v79, 0x10000000, v79
	v_lshrrev_b32_e32 v81, 5, v56
	s_delay_alu instid0(VALU_DEP_3) | instskip(NEXT) | instid1(VALU_DEP_2)
	v_lshl_or_b32 v52, v52, 16, v53
	v_and_b32_e32 v81, 0x1000, v81
	ds_store_2addr_b32 v39, v77, v52 offset1:1
	global_load_b32 v52, v[58:59], off offset:2
	s_wait_xcnt 0x0
	v_and_b32_e32 v59, 0xf0f0f0f, v78
	s_wait_loadcnt 0x0
	v_ashrrev_i32_e32 v52, v2, v52
	s_delay_alu instid0(VALU_DEP_1) | instskip(NEXT) | instid1(VALU_DEP_1)
	v_lshlrev_b32_e32 v53, 4, v52
	v_dual_lshlrev_b32 v58, 11, v52 :: v_dual_bitop2_b32 v53, 16, v53 bitop3:0x40
	v_lshlrev_b32_e32 v77, 25, v52
	s_delay_alu instid0(VALU_DEP_2) | instskip(NEXT) | instid1(VALU_DEP_2)
	v_and_b32_e32 v58, 0x1000, v58
	v_and_b32_e32 v77, 0x10000000, v77
	s_delay_alu instid0(VALU_DEP_2) | instskip(SKIP_1) | instid1(VALU_DEP_1)
	v_or3_b32 v53, v53, v59, v58
	v_lshlrev_b32_e32 v58, 18, v52
	v_and_b32_e32 v58, 0x100000, v58
	s_delay_alu instid0(VALU_DEP_1) | instskip(SKIP_2) | instid1(VALU_DEP_2)
	v_or3_b32 v58, v59, v58, v77
	v_dual_lshrrev_b32 v59, 4, v78 :: v_dual_lshrrev_b32 v77, 12, v52
	v_lshrrev_b32_e32 v78, 5, v52
	v_and_b32_e32 v59, 0xf0f0f0f, v59
	s_delay_alu instid0(VALU_DEP_3) | instskip(NEXT) | instid1(VALU_DEP_3)
	v_and_b32_e32 v77, 16, v77
	v_and_b32_e32 v78, 0x1000, v78
	s_delay_alu instid0(VALU_DEP_1) | instskip(SKIP_1) | instid1(VALU_DEP_1)
	v_or3_b32 v77, v77, v59, v78
	v_dual_lshlrev_b32 v78, 2, v52 :: v_dual_lshlrev_b32 v52, 9, v52
	v_and_b32_e32 v78, 0x100000, v78
	s_delay_alu instid0(VALU_DEP_2) | instskip(NEXT) | instid1(VALU_DEP_1)
	v_and_b32_e32 v52, 0x10000000, v52
	v_or3_b32 v52, v59, v78, v52
	v_lshlrev_b32_e32 v59, 11, v56
	v_and_b32_e32 v78, 0xf0f0f0f, v93
	s_delay_alu instid0(VALU_DEP_3) | instskip(NEXT) | instid1(VALU_DEP_3)
	v_lshrrev_b32_e32 v52, 16, v52
	v_and_b32_e32 v59, 0x1000, v59
	s_delay_alu instid0(VALU_DEP_1) | instskip(SKIP_1) | instid1(VALU_DEP_1)
	v_or3_b32 v57, v57, v78, v59
	v_lshlrev_b32_e32 v59, 18, v56
	v_and_b32_e32 v59, 0x100000, v59
	s_delay_alu instid0(VALU_DEP_1) | instskip(SKIP_1) | instid1(VALU_DEP_2)
	v_or3_b32 v59, v78, v59, v79
	v_dual_lshrrev_b32 v78, 4, v93 :: v_dual_lshrrev_b32 v79, 12, v56
	v_lshrrev_b32_e32 v59, 16, v59
	s_delay_alu instid0(VALU_DEP_2) | instskip(NEXT) | instid1(VALU_DEP_3)
	v_and_b32_e32 v78, 0xf0f0f0f, v78
	v_and_b32_e32 v79, 16, v79
	s_delay_alu instid0(VALU_DEP_1) | instskip(SKIP_1) | instid1(VALU_DEP_1)
	v_or3_b32 v79, v79, v78, v81
	v_dual_lshlrev_b32 v81, 2, v56 :: v_dual_lshlrev_b32 v56, 9, v56
	v_and_b32_e32 v81, 0x100000, v81
	s_delay_alu instid0(VALU_DEP_2) | instskip(NEXT) | instid1(VALU_DEP_1)
	v_and_b32_e32 v56, 0x10000000, v56
	v_or3_b32 v56, v78, v81, v56
	v_lshlrev_b32_e32 v78, 11, v54
	v_and_b32_e32 v81, 0xf0f0f0f, v92
	s_delay_alu instid0(VALU_DEP_3) | instskip(NEXT) | instid1(VALU_DEP_3)
	v_dual_lshrrev_b32 v58, 16, v58 :: v_dual_lshrrev_b32 v56, 16, v56
	v_and_b32_e32 v78, 0x1000, v78
	s_delay_alu instid0(VALU_DEP_1) | instskip(SKIP_1) | instid1(VALU_DEP_1)
	v_or3_b32 v55, v55, v81, v78
	v_lshlrev_b32_e32 v78, 18, v54
	v_and_b32_e32 v78, 0x100000, v78
	s_delay_alu instid0(VALU_DEP_1) | instskip(SKIP_1) | instid1(VALU_DEP_2)
	v_or3_b32 v78, v81, v78, v82
	v_dual_lshrrev_b32 v81, 4, v92 :: v_dual_lshrrev_b32 v82, 12, v54
	v_lshrrev_b32_e32 v78, 16, v78
	s_delay_alu instid0(VALU_DEP_2) | instskip(NEXT) | instid1(VALU_DEP_3)
	v_and_b32_e32 v81, 0xf0f0f0f, v81
	v_and_b32_e32 v82, 16, v82
	s_delay_alu instid0(VALU_DEP_1) | instskip(SKIP_1) | instid1(VALU_DEP_1)
	v_or3_b32 v82, v82, v81, v83
	v_dual_lshlrev_b32 v83, 2, v54 :: v_dual_lshlrev_b32 v54, 9, v54
	v_and_b32_e32 v83, 0x100000, v83
	s_delay_alu instid0(VALU_DEP_2) | instskip(NEXT) | instid1(VALU_DEP_1)
	v_and_b32_e32 v54, 0x10000000, v54
	v_or3_b32 v54, v81, v83, v54
	v_and_b32_e32 v81, 0x1f00, v53
	v_lshlrev_b16 v53, 8, v53
	s_delay_alu instid0(VALU_DEP_3) | instskip(NEXT) | instid1(VALU_DEP_3)
	v_lshrrev_b32_e32 v54, 16, v54
	v_add_nc_u16 v81, 0xf000, v81
	s_delay_alu instid0(VALU_DEP_3) | instskip(NEXT) | instid1(VALU_DEP_1)
	v_add_nc_u16 v53, 0xf000, v53
	v_perm_b32 v53, v53, v81, 0xc0c0105
	v_and_b32_e32 v81, 0x1f00, v58
	v_lshlrev_b16 v58, 8, v58
	s_delay_alu instid0(VALU_DEP_2) | instskip(NEXT) | instid1(VALU_DEP_2)
	v_add_nc_u16 v81, 0xf000, v81
	v_add_nc_u16 v58, 0xf000, v58
	s_delay_alu instid0(VALU_DEP_1) | instskip(SKIP_2) | instid1(VALU_DEP_3)
	v_perm_b32 v58, v58, v81, 0xc0c0105
	v_and_b32_e32 v81, 0x1f00, v55
	v_lshlrev_b16 v55, 8, v55
	v_lshl_or_b32 v53, v58, 16, v53
	v_and_b32_e32 v58, 0x1f00, v52
	v_lshlrev_b16 v52, 8, v52
	v_add_nc_u16 v81, 0xf000, v81
	v_add_nc_u16 v55, 0xf000, v55
	s_delay_alu instid0(VALU_DEP_4) | instskip(NEXT) | instid1(VALU_DEP_4)
	v_add_nc_u16 v58, 0xf000, v58
	v_add_nc_u16 v52, 0xf000, v52
	s_delay_alu instid0(VALU_DEP_3) | instskip(SKIP_2) | instid1(VALU_DEP_4)
	v_perm_b32 v55, v55, v81, 0xc0c0105
	v_and_b32_e32 v81, 0x1f00, v78
	v_lshlrev_b16 v78, 8, v78
	v_perm_b32 v52, v52, v58, 0xc0c0105
	v_lshlrev_b16 v58, 8, v77
	s_delay_alu instid0(VALU_DEP_4) | instskip(NEXT) | instid1(VALU_DEP_4)
	v_add_nc_u16 v81, 0xf000, v81
	v_add_nc_u16 v78, 0xf000, v78
	s_delay_alu instid0(VALU_DEP_3) | instskip(NEXT) | instid1(VALU_DEP_2)
	v_add_nc_u16 v58, 0xf000, v58
	v_perm_b32 v78, v78, v81, 0xc0c0105
	v_and_b32_e32 v81, 0x1f00, v54
	s_delay_alu instid0(VALU_DEP_3) | instskip(SKIP_1) | instid1(VALU_DEP_4)
	v_lshrrev_b16 v58, 8, v58
	v_lshlrev_b16 v54, 8, v54
	v_lshl_or_b32 v55, v78, 16, v55
	s_delay_alu instid0(VALU_DEP_4) | instskip(NEXT) | instid1(VALU_DEP_4)
	v_add_nc_u16 v81, 0xf000, v81
	v_bitop3_b16 v58, v77, v58, 0x1f00 bitop3:0xec
	v_and_b32_e32 v77, 0x1f00, v57
	v_lshlrev_b16 v57, 8, v57
	v_add_nc_u16 v54, 0xf000, v54
	s_delay_alu instid0(VALU_DEP_4) | instskip(NEXT) | instid1(VALU_DEP_4)
	v_add_nc_u16 v58, 0xf000, v58
	v_add_nc_u16 v77, 0xf000, v77
	s_delay_alu instid0(VALU_DEP_4) | instskip(NEXT) | instid1(VALU_DEP_4)
	v_add_nc_u16 v57, 0xf000, v57
	v_perm_b32 v54, v54, v81, 0xc0c0105
	s_delay_alu instid0(VALU_DEP_4) | instskip(NEXT) | instid1(VALU_DEP_3)
	v_and_b32_e32 v58, 0xffff, v58
	v_perm_b32 v57, v57, v77, 0xc0c0105
	v_and_b32_e32 v77, 0x1f00, v59
	v_lshlrev_b16 v59, 8, v59
	s_delay_alu instid0(VALU_DEP_4) | instskip(NEXT) | instid1(VALU_DEP_3)
	v_lshl_or_b32 v52, v52, 16, v58
	v_add_nc_u16 v77, 0xf000, v77
	s_delay_alu instid0(VALU_DEP_3) | instskip(SKIP_4) | instid1(VALU_DEP_3)
	v_add_nc_u16 v59, 0xf000, v59
	ds_store_2addr_b32 v41, v53, v52 offset1:1
	v_perm_b32 v59, v59, v77, 0xc0c0105
	v_and_b32_e32 v77, 0x1f00, v56
	v_lshlrev_b16 v56, 8, v56
	v_lshl_or_b32 v57, v59, 16, v57
	s_delay_alu instid0(VALU_DEP_3) | instskip(NEXT) | instid1(VALU_DEP_3)
	v_add_nc_u16 v77, 0xf000, v77
	v_add_nc_u16 v56, 0xf000, v56
	s_delay_alu instid0(VALU_DEP_1) | instskip(SKIP_1) | instid1(VALU_DEP_1)
	v_perm_b32 v56, v56, v77, 0xc0c0105
	v_lshlrev_b16 v77, 8, v79
	v_add_nc_u16 v77, 0xf000, v77
	s_delay_alu instid0(VALU_DEP_1) | instskip(NEXT) | instid1(VALU_DEP_1)
	v_lshrrev_b16 v77, 8, v77
	v_bitop3_b16 v77, v79, v77, 0x1f00 bitop3:0xec
	v_lshlrev_b16 v79, 8, v82
	s_delay_alu instid0(VALU_DEP_2) | instskip(NEXT) | instid1(VALU_DEP_2)
	v_add_nc_u16 v58, 0xf000, v77
	v_add_nc_u16 v79, 0xf000, v79
	s_delay_alu instid0(VALU_DEP_2) | instskip(NEXT) | instid1(VALU_DEP_2)
	v_and_b32_e32 v58, 0xffff, v58
	v_lshrrev_b16 v79, 8, v79
	s_delay_alu instid0(VALU_DEP_2) | instskip(NEXT) | instid1(VALU_DEP_2)
	v_lshl_or_b32 v56, v56, 16, v58
	v_bitop3_b16 v79, v82, v79, 0x1f00 bitop3:0xec
	ds_store_2addr_b32 v43, v57, v56 offset1:1
	v_add_nc_u16 v59, 0xf000, v79
	s_delay_alu instid0(VALU_DEP_1) | instskip(NEXT) | instid1(VALU_DEP_1)
	v_and_b32_e32 v59, 0xffff, v59
	v_lshl_or_b32 v54, v54, 16, v59
	ds_store_2addr_b32 v45, v55, v54 offset1:1
	ds_store_b32 v60, v80
	s_cbranch_scc0 .LBB202_4
; %bb.6:                                ;   in Loop: Header=BB202_5 Depth=1
	v_add_nc_u32_e32 v52, s14, v29
	s_delay_alu instid0(VALU_DEP_1) | instskip(SKIP_1) | instid1(SALU_CYCLE_1)
	v_cmp_gt_i32_e64 s1, s6, v52
	s_and_b32 s19, s0, s1
	s_and_saveexec_b32 s1, s19
	s_cbranch_execz .LBB202_8
; %bb.7:                                ;   in Loop: Header=BB202_5 Depth=1
	v_add_nc_u32_e32 v52, v8, v52
	s_delay_alu instid0(VALU_DEP_1)
	v_mad_nc_i64_i32 v[52:53], v52, 36, v[10:11]
	global_load_b32 v52, v[52:53], off offset:4
	s_wait_loadcnt 0x0
	ds_store_b32 v63, v52
.LBB202_8:                              ;   in Loop: Header=BB202_5 Depth=1
	s_or_b32 exec_lo, exec_lo, s1
	v_add_nc_u32_e32 v52, s14, v5
	s_delay_alu instid0(VALU_DEP_1) | instskip(SKIP_1) | instid1(SALU_CYCLE_1)
	v_cmp_gt_i32_e64 s1, s6, v52
	s_and_b32 s19, s8, s1
	s_and_saveexec_b32 s1, s19
	s_cbranch_execz .LBB202_10
; %bb.9:                                ;   in Loop: Header=BB202_5 Depth=1
	v_add_nc_u32_e32 v53, v8, v52
	s_delay_alu instid0(VALU_DEP_1)
	v_mad_nc_i64_i32 v[54:55], v53, 36, s[2:3]
	global_load_b32 v53, v[54:55], off
	s_wait_loadcnt 0x0
	v_cvt_f32_f16_e32 v53, v53
	ds_store_b32 v64, v53
.LBB202_10:                             ;   in Loop: Header=BB202_5 Depth=1
	s_or_b32 exec_lo, exec_lo, s1
	v_dual_mov_b32 v53, v61 :: v_dual_mov_b32 v55, v62
	v_mul_u32_u24_e32 v54, 0x104, v5
	v_dual_mov_b32 v56, v73 :: v_dual_mov_b32 v57, v70
	v_dual_mov_b32 v58, v68 :: v_dual_mov_b32 v59, v66
	s_mov_b32 s1, -4
	s_wait_dscnt 0x0
	s_barrier_signal -1
	s_barrier_wait -1
.LBB202_11:                             ;   Parent Loop BB202_5 Depth=1
                                        ; =>  This Inner Loop Header: Depth=2
	ds_load_2addr_b32 v[78:79], v53 offset0:3 offset1:4
	ds_load_2addr_b32 v[80:81], v53 offset0:5 offset1:6
	ds_load_2addr_b32 v[82:83], v54 offset1:1
	ds_load_2addr_b32 v[84:85], v53 offset0:1 offset1:2
	ds_load_2addr_b32 v[86:87], v53 offset1:7
	ds_load_b32 v122, v56
	ds_load_b32 v123, v57
	;; [unrolled: 1-line block ×5, first 2 shown]
	ds_load_2addr_b32 v[92:93], v54 offset0:2 offset1:3
	ds_load_2addr_b32 v[94:95], v54 offset0:4 offset1:5
	;; [unrolled: 1-line block ×3, first 2 shown]
	v_add_nc_u32_e32 v77, 0x2080, v54
	v_add_nc_u32_e32 v91, 0x2088, v54
	v_add_nc_u32_e32 v104, 0x2098, v54
	v_add_nc_u32_e32 v106, 0x4100, v54
	v_add_nc_u32_e32 v108, 0x4108, v54
	v_add_nc_u32_e32 v110, 0x4110, v54
	v_add_nc_u32_e32 v112, 0x4118, v54
	v_add_nc_u32_e32 v114, 0x6180, v54
	v_add_nc_u32_e32 v116, 0x6188, v54
	v_add_nc_u32_e32 v118, 0x6190, v54
	v_add_nc_u32_e32 v120, 0x6198, v54
	v_add_nc_u32_e32 v55, 4, v55
	v_dual_add_nc_u32 v59, 4, v59 :: v_dual_add_nc_u32 v58, 4, v58
	s_wait_dscnt 0xc
	v_dual_lshlrev_b32 v129, 24, v79 :: v_dual_lshlrev_b32 v130, 16, v79
	s_wait_dscnt 0x3
	v_dual_mul_f32 v122, v90, v122 :: v_dual_lshlrev_b32 v131, 24, v84
	v_add_nc_u32_e32 v102, 0x2090, v54
	ds_load_2addr_b32 v[98:99], v77 offset1:1
	ds_load_2addr_b32 v[100:101], v91 offset1:1
	;; [unrolled: 1-line block ×12, first 2 shown]
	v_dual_lshlrev_b32 v77, 8, v79 :: v_dual_lshlrev_b32 v124, 8, v80
	v_dual_lshlrev_b32 v132, 16, v84 :: v_dual_lshlrev_b32 v135, 24, v85
	;; [unrolled: 1-line block ×8, first 2 shown]
	v_lshlrev_b32_e32 v141, 24, v87
	v_perm_b32 v143, v80, v84, 0x7030c0c
	v_perm_b32 v146, v130, v129, 0xc0c0703
	v_perm_b32 v147, v79, v77, 0x7030c0c
	v_perm_b32 v148, v132, v131, 0xc0c0703
	v_perm_b32 v149, v134, v133, 0xc0c0703
	s_wait_dscnt 0x3
	v_perm_b32 v130, v114, v130, 0xc0c0503
	v_perm_b32 v132, v134, v132, 0x7030c0c
	s_wait_dscnt 0x2
	v_perm_b32 v134, v117, v116, 0x5010c0c
	v_perm_b32 v154, v86, v115, 0xc0c0501
	;; [unrolled: 1-line block ×5, first 2 shown]
	v_dot4_i32_iu8 v82, v86, v82, 0 neg_lo:[1,1,0]
	v_perm_b32 v144, v81, v85, 0xc0c0703
	v_perm_b32 v145, v87, v78, 0x7030c0c
	v_lshlrev_b32_e32 v142, 16, v87
	v_dot4_i32_iu8 v98, v86, v98, 0 neg_lo:[1,1,0]
	v_dot4_i32_iu8 v106, v86, v106, 0 neg_lo:[1,1,0]
	v_perm_b32 v84, v84, v91, 0x7030c0c
	v_perm_b32 v80, v80, v124, 0x7030c0c
	v_perm_b32 v151, v138, v137, 0xc0c0703
	v_perm_b32 v152, v140, v139, 0xc0c0703
	v_perm_b32 v78, v78, v127, 0x7030c0c
	v_perm_b32 v87, v87, v128, 0x7030c0c
	v_perm_b32 v129, v114, v129, 0xc0c0403
	v_perm_b32 v131, v133, v131, 0x7030c0c
	v_perm_b32 v133, v117, v116, 0x4000c0c
	v_perm_b32 v157, v86, v115, 0xc0c0400
	v_perm_b32 v77, v114, v77, 0xc0c0603
	v_perm_b32 v91, v124, v91, 0x7030c0c
	v_perm_b32 v114, v117, v116, 0x6020c0c
	v_perm_b32 v86, v86, v115, 0xc0c0602
	v_perm_b32 v117, v126, v125, 0xc0c0703
	v_perm_b32 v124, v128, v127, 0x7030c0c
	v_perm_b32 v127, v137, v135, 0xc0c0703
	v_perm_b32 v128, v141, v139, 0x7030c0c
	s_wait_dscnt 0x1
	v_perm_b32 v137, v119, v118, 0xc0c0703
	s_wait_dscnt 0x0
	v_perm_b32 v139, v121, v120, 0x7030c0c
	v_or_b32_e32 v130, v132, v130
	v_or_b32_e32 v132, v134, v154
	;; [unrolled: 1-line block ×4, first 2 shown]
	v_perm_b32 v150, v136, v135, 0xc0c0703
	v_or_b32_e32 v135, v145, v144
	v_or_b32_e32 v86, v114, v86
	;; [unrolled: 1-line block ×4, first 2 shown]
	v_dot4_i32_iu8 v79, v79, v134, 0 neg_lo:[1,1,0]
	v_perm_b32 v85, v85, v125, 0x7030c0c
	v_perm_b32 v81, v81, v126, 0x7030c0c
	;; [unrolled: 1-line block ×9, first 2 shown]
	v_dot4_i32_iu8 v79, v135, v117, v79 neg_lo:[1,1,0]
	v_or_b32_e32 v136, v147, v146
	v_dual_add_nc_u32 v54, 32, v54 :: v_dual_bitop2_b32 v84, v84, v148 bitop3:0x54
	v_or_b32_e32 v80, v80, v149
	v_perm_b32 v121, v142, v140, 0x7030c0c
	s_delay_alu instid0(VALU_DEP_4) | instskip(SKIP_3) | instid1(VALU_DEP_4)
	v_dot4_i32_iu8 v82, v136, v83, v82 neg_lo:[1,1,0]
	v_dot4_i32_iu8 v83, v136, v99, v98 neg_lo:[1,1,0]
	;; [unrolled: 1-line block ×3, first 2 shown]
	v_dual_add_nc_u32 v53, 32, v53 :: v_dual_bitop2_b32 v85, v85, v150 bitop3:0x54
	v_dot4_i32_iu8 v82, v84, v92, v82 neg_lo:[1,1,0]
	s_delay_alu instid0(VALU_DEP_4) | instskip(NEXT) | instid1(VALU_DEP_4)
	v_dot4_i32_iu8 v83, v84, v100, v83 neg_lo:[1,1,0]
	v_dot4_i32_iu8 v84, v84, v108, v98 neg_lo:[1,1,0]
	v_or_b32_e32 v81, v81, v151
	v_or_b32_e32 v129, v131, v129
	v_dot4_i32_iu8 v82, v80, v93, v82 neg_lo:[1,1,0]
	v_dot4_i32_iu8 v83, v80, v101, v83 neg_lo:[1,1,0]
	v_dot4_i32_iu8 v80, v80, v109, v84 neg_lo:[1,1,0]
	v_or_b32_e32 v131, v133, v157
	v_or_b32_e32 v77, v91, v77
	;; [unrolled: 1-line block ×4, first 2 shown]
	v_dot4_i32_iu8 v106, v130, v132, 0 neg_lo:[1,1,0]
	v_dot4_i32_iu8 v82, v85, v94, v82 neg_lo:[1,1,0]
	;; [unrolled: 1-line block ×4, first 2 shown]
	v_perm_b32 v153, v142, v141, 0xc0c0703
	v_or_b32_e32 v78, v78, v152
	v_or_b32_e32 v91, v116, v115
	;; [unrolled: 1-line block ×4, first 2 shown]
	v_dot4_i32_iu8 v77, v77, v86, 0 neg_lo:[1,1,0]
	v_dot4_i32_iu8 v84, v129, v131, 0 neg_lo:[1,1,0]
	;; [unrolled: 1-line block ×6, first 2 shown]
	v_or_b32_e32 v87, v87, v153
	v_dot4_i32_iu8 v77, v114, v91, v77 neg_lo:[1,1,0]
	v_dot4_i32_iu8 v81, v116, v115, v84 neg_lo:[1,1,0]
	v_add_nc_u32_e32 v79, v85, v79
	v_dot4_i32_iu8 v82, v78, v96, v82 neg_lo:[1,1,0]
	v_dot4_i32_iu8 v83, v78, v104, v83 neg_lo:[1,1,0]
	;; [unrolled: 1-line block ×3, first 2 shown]
	v_mul_f32_e32 v84, v90, v123
	v_add3_u32 v77, v81, v77, v79
	v_dot4_i32_iu8 v80, v87, v97, v82 neg_lo:[1,1,0]
	v_dot4_i32_iu8 v82, v87, v105, v83 neg_lo:[1,1,0]
	;; [unrolled: 1-line block ×3, first 2 shown]
	v_pk_mul_f32 v[78:79], v[90:91], v[88:89] op_sel_hi:[0,1]
	v_cvt_f32_i32_e32 v81, v77
	v_cvt_f32_i32_e32 v77, v80
	;; [unrolled: 1-line block ×4, first 2 shown]
	v_dual_add_nc_u32 v57, 4, v57 :: v_dual_add_nc_u32 v56, 4, v56
	s_delay_alu instid0(VALU_DEP_4) | instskip(NEXT) | instid1(VALU_DEP_4)
	v_fmac_f32_e32 v75, v122, v77
	v_fmac_f32_e32 v71, v84, v82
	s_delay_alu instid0(VALU_DEP_4) | instskip(SKIP_1) | instid1(SALU_CYCLE_1)
	v_pk_fma_f32 v[6:7], v[78:79], v[80:81], v[6:7]
	s_add_co_i32 s1, s1, 4
	s_cmp_lt_u32 s1, 12
	s_cbranch_scc1 .LBB202_11
; %bb.12:                               ;   in Loop: Header=BB202_5 Depth=1
	s_bitset1_b32 s18, 7
	s_delay_alu instid0(SALU_CYCLE_1)
	s_cmp_ge_i32 s18, s5
	s_barrier_signal -1
	s_barrier_wait -1
	s_cbranch_scc1 .LBB202_4
; %bb.13:                               ;   in Loop: Header=BB202_5 Depth=1
	v_add_nc_u32_e32 v53, s14, v65
	s_delay_alu instid0(VALU_DEP_1) | instskip(SKIP_1) | instid1(SALU_CYCLE_1)
	v_cmp_gt_i32_e64 s1, s6, v53
	s_and_b32 s18, s0, s1
	s_and_saveexec_b32 s1, s18
	s_cbranch_execz .LBB202_15
; %bb.14:                               ;   in Loop: Header=BB202_5 Depth=1
	v_add_nc_u32_e32 v53, v8, v53
	s_delay_alu instid0(VALU_DEP_1)
	v_mad_nc_i64_i32 v[54:55], v53, 36, v[10:11]
	global_load_b32 v53, v[54:55], off offset:4
	s_wait_loadcnt 0x0
	ds_store_b32 v63, v53
.LBB202_15:                             ;   in Loop: Header=BB202_5 Depth=1
	s_or_b32 exec_lo, exec_lo, s1
	s_and_saveexec_b32 s18, vcc_lo
	s_cbranch_execz .LBB202_18
; %bb.16:                               ;   in Loop: Header=BB202_5 Depth=1
	v_or_b32_e32 v53, 4, v52
	s_delay_alu instid0(VALU_DEP_1) | instskip(SKIP_1) | instid1(SALU_CYCLE_1)
	v_cmp_gt_i32_e64 s1, s6, v53
	s_and_b32 s1, s0, s1
	s_and_b32 exec_lo, exec_lo, s1
	s_cbranch_execz .LBB202_18
; %bb.17:                               ;   in Loop: Header=BB202_5 Depth=1
	v_ashrrev_i32_e32 v53, 31, v52
	s_delay_alu instid0(VALU_DEP_1) | instskip(NEXT) | instid1(VALU_DEP_1)
	v_add_nc_u64_e32 v[52:53], v[8:9], v[52:53]
	v_mad_nc_u64_u32 v[54:55], v52, 36, s[2:3]
	s_delay_alu instid0(VALU_DEP_1)
	v_mad_i32_i24 v55, v53, 36, v55
	global_load_b32 v52, v[54:55], off offset:144
	s_wait_loadcnt 0x0
	v_cvt_f32_f16_e32 v52, v52
	ds_store_b32 v64, v52
.LBB202_18:                             ;   in Loop: Header=BB202_5 Depth=1
	s_or_b32 exec_lo, exec_lo, s18
	v_dual_mov_b32 v52, v62 :: v_dual_mov_b32 v53, v61
	v_dual_mov_b32 v54, v76 :: v_dual_mov_b32 v55, v74
	;; [unrolled: 1-line block ×3, first 2 shown]
	v_mov_b32_e32 v58, v67
	s_mov_b32 s1, 12
	s_wait_dscnt 0x0
	s_barrier_signal -1
	s_barrier_wait -1
.LBB202_19:                             ;   Parent Loop BB202_5 Depth=1
                                        ; =>  This Inner Loop Header: Depth=2
	ds_load_2addr_b32 v[78:79], v53 offset1:7
	ds_load_2addr_b32 v[80:81], v53 offset0:3 offset1:4
	ds_load_2addr_b32 v[82:83], v53 offset0:5 offset1:6
	ds_load_2addr_b32 v[84:85], v53 offset0:1 offset1:2
	ds_load_b32 v86, v52
	ds_load_b32 v122, v55
	;; [unrolled: 1-line block ×5, first 2 shown]
	v_add_nc_u32_e32 v59, 0x2080, v54
	v_add_nc_u32_e32 v77, 0x2088, v54
	;; [unrolled: 1-line block ×11, first 2 shown]
	ds_load_2addr_b32 v[90:91], v54 offset1:1
	ds_load_2addr_b32 v[92:93], v54 offset0:2 offset1:3
	ds_load_2addr_b32 v[94:95], v54 offset0:4 offset1:5
	;; [unrolled: 1-line block ×3, first 2 shown]
	v_dual_add_nc_u32 v58, 4, v58 :: v_dual_add_nc_u32 v57, 4, v57
	v_dual_add_nc_u32 v56, 4, v56 :: v_dual_add_nc_u32 v55, 4, v55
	s_wait_dscnt 0x9
	v_dual_lshlrev_b32 v129, 16, v81 :: v_dual_lshlrev_b32 v130, 24, v84
	s_wait_dscnt 0x7
	v_dual_mul_f32 v122, v86, v122 :: v_dual_lshlrev_b32 v128, 24, v81
	v_add_nc_u32_e32 v104, 0x2098, v54
	ds_load_2addr_b32 v[98:99], v59 offset1:1
	ds_load_2addr_b32 v[100:101], v77 offset1:1
	;; [unrolled: 1-line block ×12, first 2 shown]
	v_dual_add_nc_u32 v54, 32, v54 :: v_dual_lshlrev_b32 v59, 8, v81
	v_dual_lshlrev_b32 v77, 8, v84 :: v_dual_lshlrev_b32 v87, 8, v82
	v_dual_lshlrev_b32 v124, 8, v85 :: v_dual_lshlrev_b32 v125, 8, v83
	;; [unrolled: 1-line block ×8, first 2 shown]
	v_perm_b32 v145, v129, v128, 0xc0c0703
	v_perm_b32 v146, v81, v59, 0x7030c0c
	s_wait_dscnt 0xf
	v_dot4_i32_iu8 v90, v78, v90, 0 neg_lo:[1,1,0]
	v_lshlrev_b32_e32 v141, 16, v79
	v_perm_b32 v142, v82, v84, 0x7030c0c
	v_perm_b32 v143, v83, v85, 0xc0c0703
	;; [unrolled: 1-line block ×3, first 2 shown]
	s_wait_dscnt 0xb
	v_dot4_i32_iu8 v98, v78, v98, 0 neg_lo:[1,1,0]
	s_wait_dscnt 0x7
	v_dot4_i32_iu8 v106, v78, v106, 0 neg_lo:[1,1,0]
	v_perm_b32 v147, v131, v130, 0xc0c0703
	v_perm_b32 v84, v84, v77, 0x7030c0c
	;; [unrolled: 1-line block ×11, first 2 shown]
	s_wait_dscnt 0x3
	v_perm_b32 v129, v114, v129, 0xc0c0503
	v_perm_b32 v131, v133, v131, 0x7030c0c
	s_wait_dscnt 0x2
	v_perm_b32 v133, v117, v116, 0x5010c0c
	v_perm_b32 v153, v78, v115, 0xc0c0501
	;; [unrolled: 1-line block ×13, first 2 shown]
	s_wait_dscnt 0x1
	v_perm_b32 v114, v119, v118, 0xc0c0602
	s_wait_dscnt 0x0
	v_perm_b32 v115, v121, v120, 0x6020c0c
	v_perm_b32 v116, v125, v124, 0xc0c0703
	;; [unrolled: 1-line block ×12, first 2 shown]
	v_or_b32_e32 v135, v146, v145
	v_dual_add_nc_u32 v53, 32, v53 :: v_dual_bitop2_b32 v84, v84, v147 bitop3:0x54
	v_perm_b32 v121, v141, v139, 0x7030c0c
	v_or_b32_e32 v82, v82, v148
	s_delay_alu instid0(VALU_DEP_4)
	v_dot4_i32_iu8 v90, v135, v91, v90 neg_lo:[1,1,0]
	v_dot4_i32_iu8 v91, v135, v99, v98 neg_lo:[1,1,0]
	;; [unrolled: 1-line block ×3, first 2 shown]
	v_or_b32_e32 v129, v131, v129
	v_or_b32_e32 v131, v133, v153
	;; [unrolled: 1-line block ×4, first 2 shown]
	v_dot4_i32_iu8 v90, v84, v92, v90 neg_lo:[1,1,0]
	v_dot4_i32_iu8 v91, v84, v100, v91 neg_lo:[1,1,0]
	v_dot4_i32_iu8 v84, v84, v108, v98 neg_lo:[1,1,0]
	v_dual_add_nc_u32 v52, 4, v52 :: v_dual_bitop2_b32 v85, v85, v149 bitop3:0x54
	v_or_b32_e32 v133, v154, v155
	v_or_b32_e32 v81, v142, v81
	;; [unrolled: 1-line block ×6, first 2 shown]
	v_dot4_i32_iu8 v106, v129, v131, 0 neg_lo:[1,1,0]
	v_dot4_i32_iu8 v59, v59, v77, 0 neg_lo:[1,1,0]
	;; [unrolled: 1-line block ×5, first 2 shown]
	v_or_b32_e32 v83, v83, v150
	v_or_b32_e32 v128, v130, v128
	;; [unrolled: 1-line block ×4, first 2 shown]
	v_dot4_i32_iu8 v81, v81, v133, 0 neg_lo:[1,1,0]
	v_dot4_i32_iu8 v59, v87, v78, v59 neg_lo:[1,1,0]
	;; [unrolled: 1-line block ×6, first 2 shown]
	v_or_b32_e32 v134, v144, v143
	v_perm_b32 v152, v141, v140, 0xc0c0703
	v_or_b32_e32 v80, v80, v151
	v_or_b32_e32 v114, v125, v124
	v_or_b32_e32 v115, v127, v126
	v_dot4_i32_iu8 v84, v128, v130, 0 neg_lo:[1,1,0]
	v_dot4_i32_iu8 v81, v134, v116, v81 neg_lo:[1,1,0]
	;; [unrolled: 1-line block ×5, first 2 shown]
	v_or_b32_e32 v79, v79, v152
	v_dot4_i32_iu8 v83, v115, v114, v84 neg_lo:[1,1,0]
	v_add_nc_u32_e32 v81, v85, v81
	v_dot4_i32_iu8 v77, v80, v96, v77 neg_lo:[1,1,0]
	v_dot4_i32_iu8 v78, v80, v104, v78 neg_lo:[1,1,0]
	v_dot4_i32_iu8 v80, v80, v112, v82 neg_lo:[1,1,0]
	v_mul_f32_e32 v82, v86, v123
	v_add3_u32 v59, v83, v59, v81
	v_dot4_i32_iu8 v77, v79, v97, v77 neg_lo:[1,1,0]
	v_dot4_i32_iu8 v83, v79, v105, v78 neg_lo:[1,1,0]
	;; [unrolled: 1-line block ×3, first 2 shown]
	v_pk_mul_f32 v[78:79], v[86:87], v[88:89] op_sel_hi:[0,1]
	v_cvt_f32_i32_e32 v81, v59
	v_cvt_f32_i32_e32 v59, v77
	;; [unrolled: 1-line block ×4, first 2 shown]
	s_add_co_i32 s1, s1, 4
	s_delay_alu instid0(VALU_DEP_3) | instskip(NEXT) | instid1(VALU_DEP_3)
	v_fmac_f32_e32 v75, v122, v59
	v_fmac_f32_e32 v71, v82, v77
	s_delay_alu instid0(VALU_DEP_3)
	v_pk_fma_f32 v[6:7], v[78:79], v[80:81], v[6:7]
	s_cmp_lt_u32 s1, 28
	s_cbranch_scc1 .LBB202_19
; %bb.20:                               ;   in Loop: Header=BB202_5 Depth=1
	s_barrier_signal -1
	s_barrier_wait -1
	s_branch .LBB202_4
.LBB202_21:
	s_mul_i32 s0, s10, s7
	s_wait_loadcnt 0x0
	v_cmp_gt_i32_e32 vcc_lo, s0, v1
	s_and_saveexec_b32 s0, vcc_lo
	s_cbranch_execz .LBB202_30
; %bb.22:
	v_mul_lo_u32 v0, v1, s9
	v_add_nc_u32_e32 v1, s11, v5
	s_mov_b32 s0, exec_lo
	s_delay_alu instid0(VALU_DEP_1)
	v_cmpx_gt_u32_e64 s9, v1
	s_cbranch_execz .LBB202_24
; %bb.23:
	s_delay_alu instid0(VALU_DEP_3)
	v_add_nc_u32_e32 v2, v0, v1
	v_cvt_f16_f32_e32 v3, v75
	global_store_b16 v2, v3, s[12:13] scale_offset
.LBB202_24:
	s_wait_xcnt 0x0
	s_or_b32 exec_lo, exec_lo, s0
	v_add_nc_u32_e32 v2, 32, v1
	s_mov_b32 s0, exec_lo
	s_delay_alu instid0(VALU_DEP_1)
	v_cmpx_gt_u32_e64 s9, v2
	s_cbranch_execz .LBB202_26
; %bb.25:
	v_add_nc_u32_e32 v2, v0, v2
	v_cvt_f16_f32_e32 v3, v71
	global_store_b16 v2, v3, s[12:13] scale_offset
.LBB202_26:
	s_wait_xcnt 0x0
	s_or_b32 exec_lo, exec_lo, s0
	v_add_nc_u32_e32 v2, 64, v1
	s_mov_b32 s0, exec_lo
	s_delay_alu instid0(VALU_DEP_1)
	v_cmpx_gt_u32_e64 s9, v2
	s_cbranch_execz .LBB202_28
; %bb.27:
	v_add_nc_u32_e32 v2, v0, v2
	v_cvt_f16_f32_e32 v3, v6
	global_store_b16 v2, v3, s[12:13] scale_offset
.LBB202_28:
	s_wait_xcnt 0x0
	s_or_b32 exec_lo, exec_lo, s0
	v_add_nc_u32_e32 v1, 0x60, v1
	s_delay_alu instid0(VALU_DEP_1)
	v_cmp_gt_u32_e32 vcc_lo, s9, v1
	s_and_b32 exec_lo, exec_lo, vcc_lo
	s_cbranch_execz .LBB202_30
; %bb.29:
	v_add_nc_u32_e32 v0, v0, v1
	v_cvt_f16_f32_e32 v1, v7
	global_store_b16 v0, v1, s[12:13] scale_offset
.LBB202_30:
	s_sendmsg sendmsg(MSG_DEALLOC_VGPRS)
	s_endpgm
	.section	.rodata,"a",@progbits
	.p2align	6, 0x0
	.amdhsa_kernel _ZL8moe_q5_0IN3c104HalfELb1EEvPKvS3_PT_PKiS7_S7_iiiiiii
		.amdhsa_group_segment_fixed_size 38656
		.amdhsa_private_segment_fixed_size 0
		.amdhsa_kernarg_size 76
		.amdhsa_user_sgpr_count 2
		.amdhsa_user_sgpr_dispatch_ptr 0
		.amdhsa_user_sgpr_queue_ptr 0
		.amdhsa_user_sgpr_kernarg_segment_ptr 1
		.amdhsa_user_sgpr_dispatch_id 0
		.amdhsa_user_sgpr_kernarg_preload_length 0
		.amdhsa_user_sgpr_kernarg_preload_offset 0
		.amdhsa_user_sgpr_private_segment_size 0
		.amdhsa_wavefront_size32 1
		.amdhsa_uses_dynamic_stack 0
		.amdhsa_enable_private_segment 0
		.amdhsa_system_sgpr_workgroup_id_x 1
		.amdhsa_system_sgpr_workgroup_id_y 1
		.amdhsa_system_sgpr_workgroup_id_z 0
		.amdhsa_system_sgpr_workgroup_info 0
		.amdhsa_system_vgpr_workitem_id 1
		.amdhsa_next_free_vgpr 158
		.amdhsa_next_free_sgpr 21
		.amdhsa_named_barrier_count 0
		.amdhsa_reserve_vcc 1
		.amdhsa_float_round_mode_32 0
		.amdhsa_float_round_mode_16_64 0
		.amdhsa_float_denorm_mode_32 3
		.amdhsa_float_denorm_mode_16_64 3
		.amdhsa_fp16_overflow 0
		.amdhsa_memory_ordered 1
		.amdhsa_forward_progress 1
		.amdhsa_inst_pref_size 108
		.amdhsa_round_robin_scheduling 0
		.amdhsa_exception_fp_ieee_invalid_op 0
		.amdhsa_exception_fp_denorm_src 0
		.amdhsa_exception_fp_ieee_div_zero 0
		.amdhsa_exception_fp_ieee_overflow 0
		.amdhsa_exception_fp_ieee_underflow 0
		.amdhsa_exception_fp_ieee_inexact 0
		.amdhsa_exception_int_div_zero 0
	.end_amdhsa_kernel
	.section	.text._ZL8moe_q5_0IN3c104HalfELb1EEvPKvS3_PT_PKiS7_S7_iiiiiii,"axG",@progbits,_ZL8moe_q5_0IN3c104HalfELb1EEvPKvS3_PT_PKiS7_S7_iiiiiii,comdat
.Lfunc_end202:
	.size	_ZL8moe_q5_0IN3c104HalfELb1EEvPKvS3_PT_PKiS7_S7_iiiiiii, .Lfunc_end202-_ZL8moe_q5_0IN3c104HalfELb1EEvPKvS3_PT_PKiS7_S7_iiiiiii
                                        ; -- End function
	.set _ZL8moe_q5_0IN3c104HalfELb1EEvPKvS3_PT_PKiS7_S7_iiiiiii.num_vgpr, 158
	.set _ZL8moe_q5_0IN3c104HalfELb1EEvPKvS3_PT_PKiS7_S7_iiiiiii.num_agpr, 0
	.set _ZL8moe_q5_0IN3c104HalfELb1EEvPKvS3_PT_PKiS7_S7_iiiiiii.numbered_sgpr, 21
	.set _ZL8moe_q5_0IN3c104HalfELb1EEvPKvS3_PT_PKiS7_S7_iiiiiii.num_named_barrier, 0
	.set _ZL8moe_q5_0IN3c104HalfELb1EEvPKvS3_PT_PKiS7_S7_iiiiiii.private_seg_size, 0
	.set _ZL8moe_q5_0IN3c104HalfELb1EEvPKvS3_PT_PKiS7_S7_iiiiiii.uses_vcc, 1
	.set _ZL8moe_q5_0IN3c104HalfELb1EEvPKvS3_PT_PKiS7_S7_iiiiiii.uses_flat_scratch, 0
	.set _ZL8moe_q5_0IN3c104HalfELb1EEvPKvS3_PT_PKiS7_S7_iiiiiii.has_dyn_sized_stack, 0
	.set _ZL8moe_q5_0IN3c104HalfELb1EEvPKvS3_PT_PKiS7_S7_iiiiiii.has_recursion, 0
	.set _ZL8moe_q5_0IN3c104HalfELb1EEvPKvS3_PT_PKiS7_S7_iiiiiii.has_indirect_call, 0
	.section	.AMDGPU.csdata,"",@progbits
; Kernel info:
; codeLenInByte = 13736
; TotalNumSgprs: 23
; NumVgprs: 158
; ScratchSize: 0
; MemoryBound: 0
; FloatMode: 240
; IeeeMode: 1
; LDSByteSize: 38656 bytes/workgroup (compile time only)
; SGPRBlocks: 0
; VGPRBlocks: 9
; NumSGPRsForWavesPerEU: 23
; NumVGPRsForWavesPerEU: 158
; NamedBarCnt: 0
; Occupancy: 6
; WaveLimiterHint : 1
; COMPUTE_PGM_RSRC2:SCRATCH_EN: 0
; COMPUTE_PGM_RSRC2:USER_SGPR: 2
; COMPUTE_PGM_RSRC2:TRAP_HANDLER: 0
; COMPUTE_PGM_RSRC2:TGID_X_EN: 1
; COMPUTE_PGM_RSRC2:TGID_Y_EN: 1
; COMPUTE_PGM_RSRC2:TGID_Z_EN: 0
; COMPUTE_PGM_RSRC2:TIDIG_COMP_CNT: 1
	.section	.text._ZL8moe_q5_1IN3c104HalfELb0EEvPKvS3_PT_PKiS7_S7_iiiiiii,"axG",@progbits,_ZL8moe_q5_1IN3c104HalfELb0EEvPKvS3_PT_PKiS7_S7_iiiiiii,comdat
	.globl	_ZL8moe_q5_1IN3c104HalfELb0EEvPKvS3_PT_PKiS7_S7_iiiiiii ; -- Begin function _ZL8moe_q5_1IN3c104HalfELb0EEvPKvS3_PT_PKiS7_S7_iiiiiii
	.p2align	8
	.type	_ZL8moe_q5_1IN3c104HalfELb0EEvPKvS3_PT_PKiS7_S7_iiiiiii,@function
_ZL8moe_q5_1IN3c104HalfELb0EEvPKvS3_PT_PKiS7_S7_iiiiiii: ; @_ZL8moe_q5_1IN3c104HalfELb0EEvPKvS3_PT_PKiS7_S7_iiiiiii
; %bb.0:
	s_load_b128 s[4:7], s[0:1], 0x18
	s_bfe_u32 s2, ttmp6, 0x40010
	s_bfe_u32 s8, ttmp6, 0x40004
	s_add_co_i32 s2, s2, 1
	s_delay_alu instid0(SALU_CYCLE_1)
	s_mul_i32 s3, ttmp7, s2
	s_getreg_b32 s2, hwreg(HW_REG_IB_STS2, 6, 4)
	s_add_co_i32 s8, s8, s3
	s_cmp_eq_u32 s2, 0
	s_cselect_b32 s3, ttmp7, s8
	s_wait_kmcnt 0x0
	s_load_b32 s12, s[6:7], s3 offset:0x0 scale_offset
	s_wait_kmcnt 0x0
	s_cmp_gt_u32 s12, 0xff
	s_cbranch_scc1 .LBB203_30
; %bb.1:
	s_load_b64 s[6:7], s[0:1], 0x28
	s_lshl_b32 s3, s3, 3
	s_wait_kmcnt 0x0
	s_load_b32 s6, s[6:7], 0x0
	s_wait_kmcnt 0x0
	s_cmp_gt_u32 s3, s6
	s_cbranch_scc1 .LBB203_30
; %bb.2:
	v_bfe_u32 v20, v0, 10, 10
	s_and_b32 s13, ttmp6, 15
	v_and_b32_e32 v3, 0x3ff, v0
	s_delay_alu instid0(VALU_DEP_2) | instskip(SKIP_1) | instid1(SALU_CYCLE_1)
	v_dual_mov_b32 v17, 0 :: v_dual_add_nc_u32 v1, s3, v20
	s_bfe_u32 s3, ttmp6, 0x4000c
	s_add_co_i32 s3, s3, 1
	s_delay_alu instid0(VALU_DEP_1)
	v_dual_mov_b32 v16, v17 :: v_dual_mov_b32 v49, v17
	global_load_b32 v1, v1, s[4:5] scale_offset
	s_clause 0x2
	s_load_b64 s[10:11], s[0:1], 0x30
	s_load_b64 s[8:9], s[0:1], 0x10
	s_load_b128 s[4:7], s[0:1], 0x3c
	s_mul_i32 s3, ttmp9, s3
	v_mov_b32_e32 v55, v17
	s_add_co_i32 s13, s13, s3
	s_cmp_eq_u32 s2, 0
	s_cselect_b32 s2, ttmp9, s13
	s_mov_b32 s13, 0
	s_lshl_b32 s18, s2, 7
	s_wait_kmcnt 0x0
	s_cmp_lt_i32 s11, 32
	s_cbranch_scc1 .LBB203_21
; %bb.3:
	s_load_b128 s[0:3], s[0:1], 0x0
	s_mul_i32 s16, s12, s10
	s_abs_i32 s12, s7
	s_ashr_i32 s17, s16, 31
	s_cvt_f32_u32 s20, s12
	v_dual_lshlrev_b32 v24, 2, v3 :: v_dual_lshlrev_b32 v4, 3, v3
	s_wait_loadcnt 0x0
	v_sub_nc_u32_e32 v12, 0, v1
	v_rcp_iflag_f32_e32 v7, s20
	v_bfe_u32 v25, v0, 3, 7
	v_and_b32_e32 v8, 12, v24
	s_ashr_i32 s14, s11, 31
	v_max_i32_e32 v16, v1, v12
	s_lshr_b32 s10, s14, 27
	v_lshl_add_u32 v18, v20, 2, v25
	v_and_b32_e32 v12, 7, v0
	s_add_co_i32 s19, s11, s10
	v_mad_u32_u24 v5, 0x104, v20, v4
	s_ashr_i32 s10, s19, 5
	v_add_nc_u32_e32 v31, 64, v18
	s_wait_kmcnt 0x0
	s_add_nc_u64 s[16:17], s[0:1], s[16:17]
	v_readfirstlane_b32 s0, v7
	s_sub_co_i32 s1, 0, s12
	v_lshlrev_b32_e32 v28, 2, v12
	v_mul_lo_u32 v2, s10, v20
	s_lshl_b32 s20, s10, 3
	s_mul_f32 s0, s0, 0x4f7ffffe
	v_mov_b32_e32 v9, 0
	v_and_b32_e32 v22, 0x1ffc, v18
	v_add_nc_u32_e32 v26, 32, v18
	s_cvt_u32_f32 s0, s0
	v_mul_lo_u32 v14, s10, v18
	v_lshl_add_u32 v45, v20, 7, 0x9280
	v_add3_u32 v40, v22, v28, 0x8200
	s_mul_i32 s1, s1, s0
	v_add_nc_u32_e32 v4, s20, v2
	s_mul_hi_u32 s1, s0, s1
	v_and_b32_e32 v30, 0x3ffc, v26
	s_add_co_i32 s0, s0, s1
	v_and_b32_e32 v22, 0x3ffc, v31
	v_mul_hi_u32 v17, v16, s0
	v_dual_add_nc_u32 v10, s20, v4 :: v_dual_lshlrev_b32 v46, 5, v26
	v_add3_u32 v44, v30, v28, 0x8200
	s_delay_alu instid0(VALU_DEP_4)
	v_add3_u32 v48, v22, v28, 0x8200
	v_lshl_add_u32 v47, v20, 4, 0x9680
	v_dual_mov_b32 v55, v9 :: v_dual_add_nc_u32 v32, 0x60, v3
	v_bfe_u32 v6, v0, 2, 8
	v_and_b32_e32 v36, 0xfc, v0
	s_ashr_i32 s15, s5, 31
	v_mul_lo_u32 v29, v17, s12
	v_lshlrev_b32_e32 v42, 5, v18
	v_add_nc_u32_e32 v18, 0x60, v18
	v_add_nc_u32_e32 v26, 1, v17
	s_lshr_b32 s14, s15, 27
	s_and_not1_b32 s19, s19, 31
	s_add_co_i32 s5, s5, s14
	v_and_b32_e32 v22, 0x3ffc, v18
	s_ashr_i32 s5, s5, 5
	s_mul_i32 s14, s10, s18
	s_movk_i32 s1, 0x80
	v_sub_nc_u32_e32 v16, v16, v29
	v_add3_u32 v50, v22, v28, 0x8200
	v_xor_b32_e32 v22, s7, v1
	s_ashr_i32 s15, s14, 31
	v_add_nc_u32_e32 v11, 0x1860, v5
	v_subrev_nc_u32_e32 v29, s12, v16
	v_cmp_le_u32_e32 vcc_lo, s12, v16
	v_add_nc_u32_e32 v13, 0x2080, v5
	v_add_nc_u32_e32 v15, 0x28a0, v5
	v_dual_lshlrev_b32 v49, 5, v31 :: v_dual_bitop2_b32 v28, 31, v0 bitop3:0x40
	v_dual_cndmask_b32 v16, v16, v29 :: v_dual_cndmask_b32 v17, v17, v26
	v_add_nc_u32_e32 v19, 0x30c0, v5
	v_ashrrev_i32_e32 v29, 31, v22
	s_delay_alu instid0(VALU_DEP_4) | instskip(NEXT) | instid1(VALU_DEP_4)
	v_lshl_or_b32 v51, v28, 2, v45
	v_cmp_le_u32_e32 vcc_lo, s12, v16
	v_add_nc_u32_e32 v26, 1, v17
	v_add_nc_u32_e32 v7, 0x1040, v5
	v_and_b32_e32 v16, 28, v24
	v_add_nc_u32_e32 v21, 0x38e0, v5
	s_delay_alu instid0(VALU_DEP_4) | instskip(SKIP_3) | instid1(VALU_DEP_4)
	v_dual_cndmask_b32 v22, v17, v26 :: v_dual_add_nc_u32 v23, 0x4100, v5
	v_dual_mov_b32 v17, v9 :: v_dual_lshlrev_b32 v52, 5, v18
	v_add_nc_u32_e32 v18, s20, v10
	v_cmp_gt_u32_e32 vcc_lo, 4, v3
	v_dual_add_nc_u32 v54, v47, v24 :: v_dual_bitop2_b32 v26, v22, v29 bitop3:0x14
	s_delay_alu instid0(VALU_DEP_3) | instskip(SKIP_1) | instid1(VALU_DEP_3)
	v_dual_add_nc_u32 v34, 32, v3 :: v_dual_add_nc_u32 v20, s20, v18
	v_add_nc_u64_e32 v[30:31], s[2:3], v[16:17]
	v_sub_nc_u32_e32 v28, v26, v29
	v_and_b32_e32 v17, 0x1fc, v32
	v_add_nc_u32_e32 v27, 0x4920, v5
	v_dual_add_nc_u32 v22, s20, v20 :: v_dual_add_nc_u32 v29, 64, v3
	s_delay_alu instid0(VALU_DEP_4) | instskip(SKIP_2) | instid1(VALU_DEP_4)
	v_cmp_gt_i32_e64 s0, s4, v28
	v_mul_lo_u32 v28, v28, s5
	v_add_nc_u32_e32 v33, 0x5140, v5
	v_add_nc_u32_e32 v24, s20, v22
	v_lshrrev_b32_e32 v57, 3, v34
	v_and_b32_e32 v29, 0x1fc, v29
	v_and_b32_e32 v34, 0x1fc, v34
	v_add_nc_u32_e32 v35, 0x5960, v5
	v_dual_add_nc_u32 v26, s20, v24 :: v_dual_lshlrev_b32 v16, 5, v3
	v_add_nc_u32_e32 v67, v40, v42
	v_add_nc_u32_e32 v37, 0x6180, v5
	;; [unrolled: 1-line block ×3, first 2 shown]
	s_delay_alu instid0(VALU_DEP_4) | instskip(SKIP_1) | instid1(VALU_DEP_2)
	v_dual_add_nc_u32 v32, s20, v26 :: v_dual_add_nc_u32 v17, v16, v17
	v_dual_add_nc_u32 v38, v16, v29 :: v_dual_add_nc_u32 v53, v16, v34
	;; [unrolled: 1-line block ×3, first 2 shown]
	v_ashrrev_i32_e32 v29, 31, v28
	s_delay_alu instid0(VALU_DEP_3)
	v_add_nc_u32_e32 v59, 0x8a00, v38
	v_add_nc_u32_e32 v63, 0x8a10, v38
	;; [unrolled: 1-line block ×6, first 2 shown]
	v_mul_u32_u24_e32 v56, 0x104, v3
	v_add_nc_u32_e32 v42, s19, v14
	v_dual_add_nc_u32 v36, s20, v34 :: v_dual_add_nc_u32 v70, v50, v52
	v_add_nc_u32_e32 v58, 0x8e00, v17
	v_add_nc_u32_e32 v60, 0x8600, v53
	s_delay_alu instid0(VALU_DEP_3)
	v_dual_add_nc_u32 v69, v48, v49 :: v_dual_add_nc_u32 v38, s20, v36
	v_add_nc_u32_e32 v46, s19, v42
	v_add_nc_u32_e32 v61, 0x8200, v16
	;; [unrolled: 1-line block ×6, first 2 shown]
	v_mad_u32_u24 v66, 0x104, v3, s1
	v_dual_mov_b32 v49, v9 :: v_dual_mov_b32 v16, v9
	s_delay_alu instid0(VALU_DEP_4) | instskip(SKIP_3) | instid1(VALU_DEP_2)
	v_dual_add_nc_u32 v44, s20, v40 :: v_dual_add_nc_u32 v50, s19, v46
	v_mov_b32_e32 v17, v9
	s_mul_u64 s[14:15], s[14:15], 24
	s_and_b32 s19, vcc_lo, s0
	v_add_nc_u32_e32 v48, s20, v44
	s_add_nc_u64 s[14:15], s[16:17], s[14:15]
	s_mov_b32 s12, s13
	s_branch .LBB203_5
.LBB203_4:                              ;   in Loop: Header=BB203_5 Depth=1
	s_add_co_i32 s12, s12, 8
	s_delay_alu instid0(SALU_CYCLE_1)
	s_cmp_ge_i32 s12, s10
	s_cbranch_scc1 .LBB203_21
.LBB203_5:                              ; =>This Loop Header: Depth=1
                                        ;     Child Loop BB203_11 Depth 2
                                        ;     Child Loop BB203_19 Depth 2
	s_mul_u64 s[16:17], s[12:13], 24
	s_delay_alu instid0(SALU_CYCLE_1) | instskip(NEXT) | instid1(SALU_CYCLE_1)
	s_add_nc_u64 s[16:17], s[14:15], s[16:17]
	v_mad_nc_u64_u32 v[52:53], v6, 24, s[16:17]
	s_delay_alu instid0(VALU_DEP_1)
	v_mad_nc_u64_u32 v[72:73], v2, 24, v[52:53]
	v_mad_nc_u64_u32 v[78:79], v18, 24, v[52:53]
	;; [unrolled: 1-line block ×11, first 2 shown]
	s_clause 0xa
	global_load_b32 v104, v[72:73], off offset:4
	global_load_b32 v105, v[74:75], off offset:4
	;; [unrolled: 1-line block ×11, first 2 shown]
	s_wait_xcnt 0x7
	v_add_nc_u64_e32 v[78:79], v[78:79], v[8:9]
	v_add_nc_u64_e32 v[76:77], v[76:77], v[8:9]
	;; [unrolled: 1-line block ×4, first 2 shown]
	v_mad_nc_u64_u32 v[94:95], v36, 24, v[52:53]
	s_clause 0x3
	global_load_b32 v115, v[78:79], off offset:8
	global_load_b32 v116, v[76:77], off offset:8
	;; [unrolled: 1-line block ×4, first 2 shown]
	s_wait_xcnt 0x0
	v_add_nc_u64_e32 v[72:73], v[86:87], v[8:9]
	v_add_nc_u64_e32 v[74:75], v[84:85], v[8:9]
	;; [unrolled: 1-line block ×4, first 2 shown]
	s_clause 0x3
	global_load_b32 v119, v[72:73], off offset:8
	global_load_b32 v120, v[74:75], off offset:8
	;; [unrolled: 1-line block ×4, first 2 shown]
	s_wait_xcnt 0x3
	v_add_nc_u64_e32 v[72:73], v[94:95], v[8:9]
	s_wait_xcnt 0x2
	v_add_nc_u64_e32 v[74:75], v[92:93], v[8:9]
	;; [unrolled: 2-line block ×4, first 2 shown]
	s_clause 0x3
	global_load_b32 v71, v[72:73], off offset:8
	global_load_b32 v123, v[74:75], off offset:8
	;; [unrolled: 1-line block ×4, first 2 shown]
	s_wait_xcnt 0x3
	v_mad_nc_u64_u32 v[72:73], v12, 24, s[16:17]
	v_mad_nc_u64_u32 v[80:81], v38, 24, v[52:53]
	;; [unrolled: 1-line block ×5, first 2 shown]
	global_load_b32 v126, v[94:95], off offset:4
	s_lshl_b32 s16, s12, 5
	s_delay_alu instid0(SALU_CYCLE_1)
	s_cmp_lt_i32 s16, s11
	v_mad_nc_u64_u32 v[88:89], v14, 24, v[72:73]
	v_mad_nc_u64_u32 v[90:91], v42, 24, v[72:73]
	;; [unrolled: 1-line block ×4, first 2 shown]
	s_wait_xcnt 0x0
	v_add_nc_u64_e32 v[94:95], v[80:81], v[8:9]
	v_add_nc_u64_e32 v[98:99], v[82:83], v[8:9]
	;; [unrolled: 1-line block ×4, first 2 shown]
	s_clause 0xb
	global_load_b32 v73, v[88:89], off
	global_load_b32 v72, v[90:91], off
	;; [unrolled: 1-line block ×4, first 2 shown]
	global_load_b32 v75, v[86:87], off offset:4
	global_load_b32 v77, v[84:85], off offset:4
	;; [unrolled: 1-line block ×8, first 2 shown]
	s_wait_loadcnt 0x22
	s_wait_xcnt 0x4
	v_dual_ashrrev_i32 v80, v8, v104 :: v_dual_ashrrev_i32 v81, v8, v105
	s_wait_loadcnt 0x20
	v_dual_ashrrev_i32 v82, v8, v106 :: v_dual_ashrrev_i32 v83, v8, v107
	s_wait_loadcnt 0x1e
	v_dual_ashrrev_i32 v84, v8, v108 :: v_dual_ashrrev_i32 v85, v8, v109
	s_wait_xcnt 0x0
	s_delay_alu instid0(VALU_DEP_2) | instskip(SKIP_1) | instid1(VALU_DEP_3)
	v_dual_lshlrev_b32 v94, 4, v81 :: v_dual_lshrrev_b32 v95, 12, v82
	v_dual_lshlrev_b32 v96, 4, v82 :: v_dual_lshrrev_b32 v97, 12, v83
	;; [unrolled: 1-line block ×3, first 2 shown]
	s_delay_alu instid0(VALU_DEP_3)
	v_and_b32_e32 v94, 16, v94
	s_wait_loadcnt 0x1c
	v_dual_ashrrev_i32 v86, v8, v110 :: v_dual_ashrrev_i32 v87, v8, v111
	s_wait_loadcnt 0x1a
	v_dual_ashrrev_i32 v88, v8, v112 :: v_dual_ashrrev_i32 v89, v8, v113
	s_wait_loadcnt 0x16
	v_and_b32_e32 v157, 0xf0f0f0f, v117
	v_dual_lshlrev_b32 v92, 4, v80 :: v_dual_lshrrev_b32 v93, 12, v81
	v_dual_lshlrev_b32 v136, 4, v85 :: v_dual_lshrrev_b32 v137, 12, v86
	v_and_b32_e32 v158, 0xf0f0f0f, v116
	v_and_b32_e32 v96, 16, v96
	v_dual_lshrrev_b32 v116, 4, v116 :: v_dual_bitop2_b32 v134, 16, v134 bitop3:0x40
	v_lshrrev_b32_e32 v117, 4, v117
	v_or_b32_e32 v94, v94, v157
	s_wait_loadcnt 0x11
	v_and_b32_e32 v157, 0xf0f0f0f, v122
	v_dual_ashrrev_i32 v90, v8, v114 :: v_dual_lshrrev_b32 v91, 12, v80
	v_dual_lshlrev_b32 v98, 4, v83 :: v_dual_lshrrev_b32 v99, 5, v80
	v_dual_lshlrev_b32 v100, 11, v80 :: v_dual_lshrrev_b32 v101, 5, v81
	;; [unrolled: 1-line block ×4, first 2 shown]
	v_dual_lshlrev_b32 v106, 11, v83 :: v_dual_lshlrev_b32 v107, 2, v80
	v_dual_lshlrev_b32 v108, 18, v80 :: v_dual_lshlrev_b32 v109, 2, v81
	;; [unrolled: 1-line block ×8, first 2 shown]
	v_dual_lshlrev_b32 v83, 25, v83 :: v_dual_lshrrev_b32 v133, 12, v84
	v_dual_lshlrev_b32 v154, 4, v88 :: v_dual_lshlrev_b32 v156, 4, v89
	v_and_b32_e32 v155, 0xf0f0f0f, v118
	v_and_b32_e32 v92, 16, v92
	;; [unrolled: 1-line block ×3, first 2 shown]
	v_dual_lshrrev_b32 v122, 4, v122 :: v_dual_bitop2_b32 v134, v134, v157 bitop3:0x54
	v_lshrrev_b32_e32 v118, 4, v118
	v_or_b32_e32 v96, v96, v158
	v_and_b32_e32 v158, 0xf0f0f0f, v121
	v_or_b32_e32 v92, v92, v155
	v_and_b32_e32 v155, 0xf0f0f0f, v115
	v_and_b32_e32 v154, 16, v154
	;; [unrolled: 1-line block ×4, first 2 shown]
	v_dual_lshrrev_b32 v115, 4, v115 :: v_dual_bitop2_b32 v136, v136, v158 bitop3:0x54
	v_lshrrev_b32_e32 v121, 4, v121
	s_wait_loadcnt 0xd
	v_and_b32_e32 v158, 0xf0f0f0f, v125
	v_and_b32_e32 v133, 16, v133
	;; [unrolled: 1-line block ×6, first 2 shown]
	v_dual_lshrrev_b32 v125, 4, v125 :: v_dual_bitop2_b32 v91, v91, v118 bitop3:0x54
	s_delay_alu instid0(VALU_DEP_4)
	v_dual_lshlrev_b32 v118, 18, v87 :: v_dual_bitop2_b32 v94, v94, v102 bitop3:0x54
	v_lshrrev_b32_e32 v102, 5, v90
	v_dual_lshlrev_b32 v133, 9, v87 :: v_dual_bitop2_b32 v122, v133, v122 bitop3:0x54
	v_or_b32_e32 v154, v154, v158
	v_dual_lshlrev_b32 v158, 4, v90 :: v_dual_lshlrev_b32 v140, 4, v87
	v_dual_lshrrev_b32 v141, 5, v84 :: v_dual_bitop2_b32 v121, v135, v121 bitop3:0x54
	s_delay_alu instid0(VALU_DEP_2)
	v_dual_lshrrev_b32 v135, 12, v88 :: v_dual_bitop2_b32 v158, 16, v158 bitop3:0x40
	v_dual_lshlrev_b32 v138, 4, v86 :: v_dual_lshrrev_b32 v139, 12, v87
	v_and_b32_e32 v157, 0xf0f0f0f, v119
	v_and_b32_e32 v140, 16, v140
	;; [unrolled: 1-line block ×6, first 2 shown]
	v_dual_lshlrev_b32 v142, 11, v84 :: v_dual_lshrrev_b32 v143, 5, v85
	v_dual_lshlrev_b32 v144, 11, v85 :: v_dual_lshrrev_b32 v145, 5, v86
	v_dual_lshlrev_b32 v150, 18, v84 :: v_dual_lshlrev_b32 v151, 2, v85
	v_dual_lshlrev_b32 v152, 18, v85 :: v_dual_lshlrev_b32 v153, 2, v86
	v_and_b32_e32 v138, 16, v138
	v_and_b32_e32 v156, 16, v156
	v_dual_lshrrev_b32 v135, 5, v88 :: v_dual_bitop2_b32 v125, v135, v125 bitop3:0x54
	v_dual_lshlrev_b32 v116, 9, v85 :: v_dual_bitop2_b32 v95, v95, v116 bitop3:0x54
	v_lshlrev_b32_e32 v85, 25, v85
	v_or_b32_e32 v140, v140, v157
	v_and_b32_e32 v157, 0xf0f0f0f, v124
	v_and_b32_e32 v98, 16, v98
	;; [unrolled: 1-line block ×4, first 2 shown]
	s_delay_alu instid0(VALU_DEP_4) | instskip(SKIP_3) | instid1(VALU_DEP_3)
	v_dual_lshrrev_b32 v119, 4, v119 :: v_dual_bitop2_b32 v156, v156, v157 bitop3:0x54
	v_and_b32_e32 v157, 0xf0f0f0f, v123
	v_dual_lshlrev_b32 v146, 11, v86 :: v_dual_lshrrev_b32 v147, 5, v87
	v_dual_lshrrev_b32 v124, 4, v124 :: v_dual_bitop2_b32 v93, 16, v93 bitop3:0x40
	v_dual_lshlrev_b32 v158, 2, v87 :: v_dual_bitop2_b32 v157, v158, v157 bitop3:0x54
	v_or_b32_e32 v98, v98, v155
	v_and_b32_e32 v155, 0xf0f0f0f, v120
	v_dual_lshrrev_b32 v120, 4, v120 :: v_dual_bitop2_b32 v134, v134, v142 bitop3:0x54
	v_lshlrev_b32_e32 v142, 18, v88
	v_and_b32_e32 v117, 0xf0f0f0f, v117
	v_and_b32_e32 v139, 16, v139
	s_delay_alu instid0(VALU_DEP_4)
	v_and_b32_e32 v120, 0xf0f0f0f, v120
	v_and_b32_e32 v119, 0xf0f0f0f, v119
	v_and_b32_e32 v104, 0x1000, v104
	v_and_b32_e32 v144, 0x1000, v144
	v_or_b32_e32 v138, v138, v155
	v_dual_lshrrev_b32 v137, 12, v89 :: v_dual_bitop2_b32 v120, v137, v120 bitop3:0x54
	v_dual_lshlrev_b32 v155, 18, v86 :: v_dual_bitop2_b32 v97, 16, v97 bitop3:0x40
	v_and_b32_e32 v115, 0xf0f0f0f, v115
	v_and_b32_e32 v124, 0xf0f0f0f, v124
	s_delay_alu instid0(VALU_DEP_4)
	v_and_b32_e32 v137, 16, v137
	v_and_b32_e32 v100, 0x1000, v100
	;; [unrolled: 1-line block ×4, first 2 shown]
	v_dual_lshrrev_b32 v123, 4, v123 :: v_dual_bitop2_b32 v93, v93, v117 bitop3:0x54
	v_lshlrev_b32_e32 v117, 9, v84
	v_dual_lshlrev_b32 v104, 11, v90 :: v_dual_bitop2_b32 v96, v96, v104 bitop3:0x54
	v_dual_lshlrev_b32 v144, 2, v89 :: v_dual_bitop2_b32 v136, v136, v144 bitop3:0x54
	v_dual_lshrrev_b32 v139, 12, v90 :: v_dual_bitop2_b32 v119, v139, v119 bitop3:0x54
	v_dual_lshlrev_b32 v148, 11, v87 :: v_dual_lshlrev_b32 v149, 2, v84
	v_or_b32_e32 v124, v137, v124
	v_dual_lshlrev_b32 v137, 11, v88 :: v_dual_bitop2_b32 v97, v97, v115 bitop3:0x54
	v_dual_lshlrev_b32 v115, 9, v86 :: v_dual_bitop2_b32 v92, v92, v100 bitop3:0x54
	v_dual_lshlrev_b32 v100, 11, v89 :: v_dual_bitop2_b32 v138, v138, v146 bitop3:0x54
	v_or_b32_e32 v91, v91, v99
	v_and_b32_e32 v101, 0x1000, v101
	v_and_b32_e32 v105, 0x1000, v105
	;; [unrolled: 1-line block ×22, first 2 shown]
	v_or_b32_e32 v93, v93, v101
	v_or_b32_e32 v97, v97, v105
	;; [unrolled: 1-line block ×4, first 2 shown]
	s_wait_loadcnt 0x6
	v_dual_ashrrev_i32 v77, v8, v77 :: v_dual_bitop2_b32 v112, v138, v155 bitop3:0x54
	v_or_b32_e32 v91, v91, v107
	v_dual_lshlrev_b32 v157, 9, v89 :: v_dual_bitop2_b32 v104, v157, v104 bitop3:0x54
	v_dual_lshrrev_b32 v139, 5, v89 :: v_dual_bitop2_b32 v123, v139, v123 bitop3:0x54
	v_and_b32_e32 v111, 0x100000, v111
	v_dual_lshlrev_b32 v84, 25, v84 :: v_dual_bitop2_b32 v95, v95, v103 bitop3:0x54
	v_or_b32_e32 v98, v98, v106
	v_and_b32_e32 v114, 0x100000, v114
	v_lshlrev_b32_e32 v106, 2, v88
	v_and_b32_e32 v149, 0x100000, v149
	v_and_b32_e32 v150, 0x100000, v150
	v_dual_lshlrev_b32 v86, 25, v86 :: v_dual_bitop2_b32 v101, v122, v141 bitop3:0x54
	v_dual_lshlrev_b32 v148, 2, v90 :: v_dual_bitop2_b32 v140, v140, v148 bitop3:0x54
	v_and_b32_e32 v151, 0x100000, v151
	v_and_b32_e32 v152, 0x100000, v152
	v_or_b32_e32 v103, v121, v143
	v_lshlrev_b32_e32 v87, 25, v87
	v_and_b32_e32 v137, 0x1000, v137
	v_dual_lshlrev_b32 v146, 18, v89 :: v_dual_bitop2_b32 v100, v156, v100 bitop3:0x54
	v_lshlrev_b32_e32 v156, 9, v88
	v_and_b32_e32 v130, 0x10000000, v130
	v_and_b32_e32 v81, 0x10000000, v81
	;; [unrolled: 1-line block ×6, first 2 shown]
	v_or_b32_e32 v105, v120, v145
	v_or_b32_e32 v119, v119, v147
	;; [unrolled: 1-line block ×4, first 2 shown]
	v_dual_ashrrev_i32 v75, v8, v75 :: v_dual_bitop2_b32 v97, v97, v113 bitop3:0x54
	v_or_b32_e32 v80, v92, v80
	v_or_b32_e32 v91, v91, v129
	v_and_b32_e32 v131, 0x10000000, v131
	v_and_b32_e32 v82, 0x10000000, v82
	v_or_b32_e32 v95, v95, v111
	v_and_b32_e32 v132, 0x10000000, v132
	v_and_b32_e32 v83, 0x10000000, v83
	;; [unrolled: 3-line block ×3, first 2 shown]
	v_or_b32_e32 v108, v134, v150
	v_or_b32_e32 v101, v101, v149
	v_and_b32_e32 v116, 0x10000000, v116
	v_and_b32_e32 v85, 0x10000000, v85
	v_or_b32_e32 v110, v136, v152
	v_or_b32_e32 v103, v103, v151
	v_dual_lshlrev_b32 v88, 25, v88 :: v_dual_bitop2_b32 v137, v154, v137 bitop3:0x54
	v_lshlrev_b32_e32 v99, 9, v90
	v_and_b32_e32 v115, 0x10000000, v115
	v_and_b32_e32 v86, 0x10000000, v86
	;; [unrolled: 1-line block ×6, first 2 shown]
	v_or_b32_e32 v120, v125, v135
	v_or_b32_e32 v114, v140, v118
	;; [unrolled: 1-line block ×6, first 2 shown]
	ds_store_2addr_b32 v5, v80, v91 offset1:1
	v_add_nc_u32_e32 v80, 0x820, v5
	v_or_b32_e32 v82, v96, v82
	v_or_b32_e32 v93, v95, v131
	v_or_b32_e32 v83, v98, v83
	v_or_b32_e32 v94, v97, v132
	v_or_b32_e32 v84, v108, v84
	v_or_b32_e32 v95, v101, v117
	v_or_b32_e32 v85, v110, v85
	v_or_b32_e32 v96, v103, v116
	v_and_b32_e32 v139, 0x1000, v139
	v_and_b32_e32 v156, 0x10000000, v156
	v_and_b32_e32 v88, 0x10000000, v88
	v_or_b32_e32 v106, v120, v106
	v_or_b32_e32 v86, v112, v86
	;; [unrolled: 1-line block ×5, first 2 shown]
	ds_store_2addr_b32 v80, v81, v92 offset1:1
	ds_store_2addr_b32 v7, v82, v93 offset1:1
	;; [unrolled: 1-line block ×7, first 2 shown]
	v_ashrrev_i32_e32 v84, v8, v126
	v_dual_lshlrev_b32 v89, 25, v89 :: v_dual_bitop2_b32 v118, v137, v142 bitop3:0x54
	v_and_b32_e32 v144, 0x100000, v144
	v_and_b32_e32 v146, 0x100000, v146
	v_or_b32_e32 v121, v124, v139
	s_delay_alu instid0(VALU_DEP_4)
	v_or_b32_e32 v88, v118, v88
	v_dual_lshrrev_b32 v85, 4, v71 :: v_dual_bitop2_b32 v101, v106, v156 bitop3:0x54
	v_dual_lshrrev_b32 v86, 12, v84 :: v_dual_lshlrev_b32 v154, 18, v90
	v_and_b32_e32 v102, 0x1000, v102
	v_and_b32_e32 v157, 0x10000000, v157
	v_or_b32_e32 v100, v100, v146
	v_or_b32_e32 v109, v121, v144
	v_and_b32_e32 v81, 0x10000000, v89
	ds_store_2addr_b32 v23, v88, v101 offset1:1
	v_lshlrev_b32_e32 v87, 4, v84
	v_and_b32_e32 v85, 0xf0f0f0f, v85
	v_dual_lshrrev_b32 v88, 5, v84 :: v_dual_bitop2_b32 v86, 16, v86 bitop3:0x40
	v_and_b32_e32 v148, 0x100000, v148
	v_and_b32_e32 v154, 0x100000, v154
	v_lshlrev_b32_e32 v80, 25, v90
	s_wait_loadcnt 0x5
	v_dual_ashrrev_i32 v79, v8, v79 :: v_dual_bitop2_b32 v102, v123, v102 bitop3:0x54
	v_or_b32_e32 v83, v109, v157
	v_or_b32_e32 v81, v100, v81
	v_and_b32_e32 v71, 0xf0f0f0f, v71
	v_dual_lshlrev_b32 v89, 11, v84 :: v_dual_bitop2_b32 v87, 16, v87 bitop3:0x40
	v_or_b32_e32 v85, v86, v85
	v_and_b32_e32 v86, 0x1000, v88
	v_lshlrev_b32_e32 v88, 2, v84
	v_or_b32_e32 v102, v102, v148
	v_and_b32_e32 v82, 0x10000000, v99
	v_and_b32_e32 v80, 0x10000000, v80
	v_or_b32_e32 v71, v87, v71
	v_and_b32_e32 v87, 0x1000, v89
	ds_store_2addr_b32 v27, v81, v83 offset1:1
	v_or_b32_e32 v81, v85, v86
	v_and_b32_e32 v83, 0x100000, v88
	s_wait_loadcnt 0x4
	v_dual_lshlrev_b32 v85, 18, v84 :: v_dual_ashrrev_i32 v86, v8, v127
	v_or_b32_e32 v104, v104, v154
	v_dual_lshlrev_b32 v87, 9, v84 :: v_dual_bitop2_b32 v71, v71, v87 bitop3:0x54
	v_or_b32_e32 v81, v81, v83
	s_delay_alu instid0(VALU_DEP_4) | instskip(NEXT) | instid1(VALU_DEP_4)
	v_and_b32_e32 v83, 0x100000, v85
	v_or_b32_e32 v80, v104, v80
	s_wait_loadcnt 0x0
	v_dual_lshrrev_b32 v85, 4, v128 :: v_dual_lshrrev_b32 v88, 12, v86
	v_dual_lshrrev_b32 v89, 5, v75 :: v_dual_bitop2_b32 v82, v102, v82 bitop3:0x54
	v_and_b32_e32 v87, 0x10000000, v87
	v_dual_lshlrev_b32 v83, 4, v86 :: v_dual_bitop2_b32 v71, v71, v83 bitop3:0x54
	v_lshlrev_b32_e32 v84, 25, v84
	ds_store_2addr_b32 v33, v80, v82 offset1:1
	v_and_b32_e32 v80, 0xf0f0f0f, v85
	v_dual_lshrrev_b32 v85, 5, v86 :: v_dual_bitop2_b32 v82, 16, v88 bitop3:0x40
	v_or_b32_e32 v81, v81, v87
	v_dual_lshlrev_b32 v87, 11, v86 :: v_dual_bitop2_b32 v83, 16, v83 bitop3:0x40
	s_delay_alu instid0(VALU_DEP_3) | instskip(SKIP_4) | instid1(VALU_DEP_4)
	v_or_b32_e32 v80, v82, v80
	v_and_b32_e32 v82, 0xf0f0f0f, v128
	v_and_b32_e32 v85, 0x1000, v85
	v_lshlrev_b32_e32 v88, 2, v86
	v_and_b32_e32 v84, 0x10000000, v84
	v_dual_lshlrev_b32 v90, 11, v75 :: v_dual_bitop2_b32 v82, v83, v82 bitop3:0x54
	s_delay_alu instid0(VALU_DEP_4) | instskip(SKIP_4) | instid1(VALU_DEP_4)
	v_or_b32_e32 v80, v80, v85
	v_and_b32_e32 v83, 0x1000, v87
	v_lshlrev_b32_e32 v85, 18, v86
	v_and_b32_e32 v87, 0x100000, v88
	v_dual_lshrrev_b32 v84, 4, v78 :: v_dual_bitop2_b32 v71, v71, v84 bitop3:0x54
	v_or_b32_e32 v82, v82, v83
	s_delay_alu instid0(VALU_DEP_4) | instskip(NEXT) | instid1(VALU_DEP_4)
	v_and_b32_e32 v83, 0x100000, v85
	v_or_b32_e32 v80, v80, v87
	v_dual_lshrrev_b32 v85, 12, v79 :: v_dual_lshlrev_b32 v87, 9, v86
	v_and_b32_e32 v84, 0xf0f0f0f, v84
	s_delay_alu instid0(VALU_DEP_4) | instskip(NEXT) | instid1(VALU_DEP_3)
	v_dual_lshlrev_b32 v83, 25, v86 :: v_dual_bitop2_b32 v82, v82, v83 bitop3:0x54
	v_and_b32_e32 v85, 16, v85
	s_delay_alu instid0(VALU_DEP_4) | instskip(SKIP_2) | instid1(VALU_DEP_4)
	v_and_b32_e32 v86, 0x10000000, v87
	v_dual_lshlrev_b32 v87, 4, v79 :: v_dual_lshrrev_b32 v88, 5, v79
	v_and_b32_e32 v78, 0xf0f0f0f, v78
	v_or_b32_e32 v84, v85, v84
	v_and_b32_e32 v83, 0x10000000, v83
	s_delay_alu instid0(VALU_DEP_4) | instskip(SKIP_3) | instid1(VALU_DEP_4)
	v_and_b32_e32 v85, 16, v87
	v_lshlrev_b32_e32 v87, 11, v79
	v_and_b32_e32 v88, 0x1000, v88
	v_dual_lshlrev_b32 v86, 2, v79 :: v_dual_bitop2_b32 v80, v80, v86 bitop3:0x54
	v_or_b32_e32 v78, v85, v78
	s_delay_alu instid0(VALU_DEP_4) | instskip(NEXT) | instid1(VALU_DEP_4)
	v_and_b32_e32 v85, 0x1000, v87
	v_dual_lshlrev_b32 v87, 18, v79 :: v_dual_bitop2_b32 v84, v84, v88 bitop3:0x54
	s_delay_alu instid0(VALU_DEP_4) | instskip(SKIP_1) | instid1(VALU_DEP_4)
	v_and_b32_e32 v86, 0x100000, v86
	v_or_b32_e32 v82, v82, v83
	v_or_b32_e32 v78, v78, v85
	s_delay_alu instid0(VALU_DEP_4) | instskip(NEXT) | instid1(VALU_DEP_4)
	v_and_b32_e32 v83, 0x100000, v87
	v_dual_lshlrev_b32 v85, 9, v79 :: v_dual_bitop2_b32 v84, v84, v86 bitop3:0x54
	v_dual_lshrrev_b32 v86, 4, v76 :: v_dual_lshrrev_b32 v87, 12, v77
	s_delay_alu instid0(VALU_DEP_3) | instskip(NEXT) | instid1(VALU_DEP_3)
	v_dual_lshlrev_b32 v83, 4, v77 :: v_dual_bitop2_b32 v78, v78, v83 bitop3:0x54
	v_and_b32_e32 v85, 0x10000000, v85
	s_delay_alu instid0(VALU_DEP_3) | instskip(NEXT) | instid1(VALU_DEP_4)
	v_and_b32_e32 v86, 0xf0f0f0f, v86
	v_and_b32_e32 v87, 16, v87
	v_and_b32_e32 v76, 0xf0f0f0f, v76
	v_dual_lshrrev_b32 v88, 5, v77 :: v_dual_bitop2_b32 v83, 16, v83 bitop3:0x40
	v_or_b32_e32 v84, v84, v85
	s_delay_alu instid0(VALU_DEP_4) | instskip(NEXT) | instid1(VALU_DEP_3)
	v_dual_lshlrev_b32 v85, 11, v77 :: v_dual_bitop2_b32 v86, v87, v86 bitop3:0x54
	v_or_b32_e32 v76, v83, v76
	s_delay_alu instid0(VALU_DEP_4) | instskip(SKIP_1) | instid1(VALU_DEP_4)
	v_and_b32_e32 v83, 0x1000, v88
	v_lshlrev_b32_e32 v87, 2, v77
	v_and_b32_e32 v85, 0x1000, v85
	v_dual_lshlrev_b32 v88, 18, v77 :: v_dual_lshlrev_b32 v79, 25, v79
	s_delay_alu instid0(VALU_DEP_4) | instskip(NEXT) | instid1(VALU_DEP_4)
	v_or_b32_e32 v83, v86, v83
	v_and_b32_e32 v86, 0x100000, v87
	s_delay_alu instid0(VALU_DEP_4) | instskip(NEXT) | instid1(VALU_DEP_4)
	v_or_b32_e32 v76, v76, v85
	v_and_b32_e32 v85, 0x100000, v88
	v_dual_lshrrev_b32 v87, 12, v75 :: v_dual_lshlrev_b32 v88, 9, v77
	s_delay_alu instid0(VALU_DEP_4) | instskip(NEXT) | instid1(VALU_DEP_3)
	v_or_b32_e32 v83, v83, v86
	v_dual_lshrrev_b32 v86, 4, v74 :: v_dual_bitop2_b32 v76, v76, v85 bitop3:0x54
	v_lshlrev_b32_e32 v85, 4, v75
	s_delay_alu instid0(VALU_DEP_4) | instskip(SKIP_1) | instid1(VALU_DEP_4)
	v_and_b32_e32 v87, 16, v87
	v_and_b32_e32 v74, 0xf0f0f0f, v74
	;; [unrolled: 1-line block ×3, first 2 shown]
	v_lshlrev_b32_e32 v77, 25, v77
	v_and_b32_e32 v85, 16, v85
	v_and_b32_e32 v79, 0x10000000, v79
	;; [unrolled: 1-line block ×3, first 2 shown]
	v_or_b32_e32 v86, v87, v86
	v_and_b32_e32 v87, 0x1000, v90
	v_or_b32_e32 v74, v85, v74
	v_and_b32_e32 v85, 0x1000, v89
	v_dual_lshlrev_b32 v89, 2, v75 :: v_dual_lshlrev_b32 v90, 18, v75
	v_and_b32_e32 v77, 0x10000000, v77
	s_delay_alu instid0(VALU_DEP_4) | instskip(NEXT) | instid1(VALU_DEP_4)
	v_or_b32_e32 v74, v74, v87
	v_or_b32_e32 v85, v86, v85
	s_delay_alu instid0(VALU_DEP_4) | instskip(SKIP_3) | instid1(VALU_DEP_4)
	v_and_b32_e32 v86, 0x100000, v89
	v_and_b32_e32 v87, 0x100000, v90
	v_dual_lshlrev_b32 v89, 9, v75 :: v_dual_lshlrev_b32 v75, 25, v75
	v_or_b32_e32 v78, v78, v79
	v_or_b32_e32 v85, v85, v86
	s_delay_alu instid0(VALU_DEP_4) | instskip(NEXT) | instid1(VALU_DEP_4)
	v_or_b32_e32 v74, v74, v87
	v_and_b32_e32 v86, 0x10000000, v89
	v_and_b32_e32 v75, 0x10000000, v75
	v_or_b32_e32 v79, v83, v88
	v_or_b32_e32 v76, v76, v77
	s_delay_alu instid0(VALU_DEP_4) | instskip(NEXT) | instid1(VALU_DEP_4)
	v_or_b32_e32 v77, v85, v86
	v_or_b32_e32 v74, v74, v75
	ds_store_2addr_b32 v35, v71, v81 offset1:1
	ds_store_2addr_b32 v37, v82, v80 offset1:1
	;; [unrolled: 1-line block ×5, first 2 shown]
	ds_store_b32 v67, v73
	ds_store_b32 v68, v72
	ds_store_b32 v69, v52
	ds_store_b32 v70, v53
	s_cbranch_scc0 .LBB203_4
; %bb.6:                                ;   in Loop: Header=BB203_5 Depth=1
	v_add_nc_u32_e32 v52, s12, v25
	s_delay_alu instid0(VALU_DEP_1) | instskip(SKIP_1) | instid1(SALU_CYCLE_1)
	v_cmp_gt_i32_e64 s1, s5, v52
	s_and_b32 s17, s0, s1
	s_and_saveexec_b32 s1, s17
	s_cbranch_execz .LBB203_8
; %bb.7:                                ;   in Loop: Header=BB203_5 Depth=1
	v_add_nc_u32_e32 v52, v28, v52
	s_delay_alu instid0(VALU_DEP_1)
	v_mad_nc_i64_i32 v[52:53], v52, 36, v[30:31]
	global_load_b32 v52, v[52:53], off offset:4
	s_wait_loadcnt 0x0
	ds_store_b32 v51, v52
.LBB203_8:                              ;   in Loop: Header=BB203_5 Depth=1
	s_or_b32 exec_lo, exec_lo, s1
	v_add_nc_u32_e32 v52, s12, v3
	s_delay_alu instid0(VALU_DEP_1) | instskip(SKIP_1) | instid1(SALU_CYCLE_1)
	v_cmp_gt_i32_e64 s1, s5, v52
	s_and_b32 s17, s19, s1
	s_and_saveexec_b32 s1, s17
	s_cbranch_execz .LBB203_10
; %bb.9:                                ;   in Loop: Header=BB203_5 Depth=1
	v_add_nc_u32_e32 v53, v28, v52
	s_delay_alu instid0(VALU_DEP_1)
	v_mad_nc_i64_i32 v[72:73], v53, 36, s[2:3]
	global_load_b32 v53, v[72:73], off
	s_wait_loadcnt 0x0
	ds_store_b32 v54, v53
.LBB203_10:                             ;   in Loop: Header=BB203_5 Depth=1
	s_or_b32 exec_lo, exec_lo, s1
	v_dual_mov_b32 v53, v45 :: v_dual_mov_b32 v71, v56
	v_dual_mov_b32 v72, v47 :: v_dual_mov_b32 v73, v61
	;; [unrolled: 1-line block ×3, first 2 shown]
	v_mov_b32_e32 v76, v58
	s_mov_b32 s1, -4
	s_wait_dscnt 0x0
	s_barrier_signal -1
	s_barrier_wait -1
.LBB203_11:                             ;   Parent Loop BB203_5 Depth=1
                                        ; =>  This Inner Loop Header: Depth=2
	ds_load_2addr_b32 v[78:79], v53 offset0:3 offset1:4
	ds_load_2addr_b32 v[80:81], v53 offset0:5 offset1:6
	ds_load_2addr_b32 v[82:83], v71 offset1:1
	ds_load_2addr_b32 v[84:85], v53 offset0:1 offset1:2
	ds_load_2addr_b32 v[86:87], v53 offset1:7
	v_add_nc_u32_e32 v77, 0x2080, v71
	v_add_nc_u32_e32 v96, 0x2088, v71
	;; [unrolled: 1-line block ×4, first 2 shown]
	ds_load_b32 v118, v73
	ds_load_b32 v119, v74
	;; [unrolled: 1-line block ×4, first 2 shown]
	v_add_nc_u32_e32 v102, 0x4100, v71
	v_add_nc_u32_e32 v104, 0x4108, v71
	;; [unrolled: 1-line block ×8, first 2 shown]
	ds_load_b32 v122, v72
	ds_load_2addr_b32 v[88:89], v71 offset0:2 offset1:3
	ds_load_2addr_b32 v[90:91], v71 offset0:4 offset1:5
	;; [unrolled: 1-line block ×3, first 2 shown]
	ds_load_2addr_b32 v[94:95], v77 offset1:1
	ds_load_2addr_b32 v[96:97], v96 offset1:1
	;; [unrolled: 1-line block ×12, first 2 shown]
	s_wait_dscnt 0x18
	v_dual_add_nc_u32 v74, 4, v74 :: v_dual_lshlrev_b32 v77, 8, v79
	v_dual_lshlrev_b32 v127, 8, v78 :: v_dual_lshlrev_b32 v129, 24, v79
	v_lshlrev_b32_e32 v130, 16, v79
	s_wait_dscnt 0x14
	v_dual_lshlrev_b32 v128, 8, v87 :: v_dual_lshlrev_b32 v131, 24, v84
	v_lshlrev_b32_e32 v132, 16, v84
	v_dual_lshlrev_b32 v133, 24, v80 :: v_dual_lshlrev_b32 v134, 16, v80
	v_dual_lshlrev_b32 v141, 24, v87 :: v_dual_lshlrev_b32 v142, 16, v87
	v_dual_lshlrev_b32 v123, 8, v84 :: v_dual_lshlrev_b32 v125, 8, v85
	v_dual_lshlrev_b32 v124, 8, v80 :: v_dual_lshlrev_b32 v126, 8, v81
	s_wait_dscnt 0xf
	v_pk_mul_f16 v118, v122, v118
	v_pk_mul_f16 v119, v122, v119
	;; [unrolled: 1-line block ×3, first 2 shown]
	v_dot4_i32_iu8 v82, v86, v82, 0 neg_lo:[1,1,0]
	v_dual_lshlrev_b32 v135, 24, v85 :: v_dual_lshlrev_b32 v136, 16, v85
	v_dual_lshlrev_b32 v137, 24, v81 :: v_dual_lshlrev_b32 v138, 16, v81
	;; [unrolled: 1-line block ×3, first 2 shown]
	v_perm_b32 v144, v81, v85, 0xc0c0703
	v_perm_b32 v145, v87, v78, 0x7030c0c
	v_pk_mul_f16 v121, v122, v121
	s_wait_dscnt 0xb
	v_dot4_i32_iu8 v94, v86, v94, 0 neg_lo:[1,1,0]
	s_wait_dscnt 0x7
	v_dot4_i32_iu8 v102, v86, v102, 0 neg_lo:[1,1,0]
	v_perm_b32 v122, v130, v129, 0xc0c0703
	v_perm_b32 v146, v79, v77, 0x7030c0c
	;; [unrolled: 1-line block ×6, first 2 shown]
	s_wait_dscnt 0x3
	v_perm_b32 v134, v86, v111, 0xc0c0501
	v_perm_b32 v153, v86, v111, 0xc0c0703
	v_perm_b32 v154, v110, v79, 0xc0c0703
	v_perm_b32 v155, v86, v111, 0xc0c0400
	v_perm_b32 v86, v86, v111, 0xc0c0602
	v_perm_b32 v111, v142, v141, 0xc0c0703
	v_perm_b32 v130, v110, v130, 0xc0c0503
	v_perm_b32 v129, v110, v129, 0xc0c0403
	v_perm_b32 v77, v110, v77, 0xc0c0603
	s_wait_dscnt 0x2
	v_perm_b32 v110, v113, v112, 0x5010c0c
	v_perm_b32 v143, v80, v84, 0x7030c0c
	;; [unrolled: 1-line block ×15, first 2 shown]
	s_wait_dscnt 0x1
	v_perm_b32 v113, v115, v114, 0xc0c0602
	s_wait_dscnt 0x0
	v_perm_b32 v124, v117, v116, 0x6020c0c
	v_perm_b32 v125, v126, v125, 0xc0c0703
	;; [unrolled: 1-line block ×7, first 2 shown]
	v_or_b32_e32 v139, v145, v144
	v_perm_b32 v141, v115, v114, 0xc0c0703
	v_perm_b32 v144, v117, v116, 0x7030c0c
	v_perm_b32 v114, v115, v114, 0xc0c0501
	v_perm_b32 v115, v117, v116, 0x5010c0c
	v_perm_b32 v116, v138, v136, 0xc0c0703
	v_perm_b32 v117, v142, v140, 0x7030c0c
	v_cvt_f32_f16_e32 v78, v120
	v_dual_lshrrev_b32 v120, 16, v120 :: v_dual_bitop2_b32 v122, v146, v122 bitop3:0x54
	v_or_b32_e32 v87, v87, v111
	v_or_b32_e32 v111, v132, v130
	;; [unrolled: 1-line block ×6, first 2 shown]
	v_dot4_i32_iu8 v82, v122, v83, v82 neg_lo:[1,1,0]
	v_dot4_i32_iu8 v83, v122, v95, v94 neg_lo:[1,1,0]
	;; [unrolled: 1-line block ×3, first 2 shown]
	v_or_b32_e32 v95, v117, v116
	v_dot4_i32_iu8 v102, v111, v110, 0 neg_lo:[1,1,0]
	v_dot4_i32_iu8 v77, v77, v86, 0 neg_lo:[1,1,0]
	v_dual_add_nc_u32 v73, 4, v73 :: v_dual_bitop2_b32 v80, v80, v148 bitop3:0x54
	v_dual_add_nc_u32 v72, 4, v72 :: v_dual_bitop2_b32 v85, v85, v149 bitop3:0x54
	s_delay_alu instid0(VALU_DEP_4) | instskip(SKIP_4) | instid1(VALU_DEP_4)
	v_dot4_i32_iu8 v86, v95, v114, v102 neg_lo:[1,1,0]
	v_or_b32_e32 v84, v84, v147
	v_or_b32_e32 v130, v156, v153
	;; [unrolled: 1-line block ×3, first 2 shown]
	v_dual_add_nc_u32 v71, 32, v71 :: v_dual_bitop2_b32 v81, v81, v150 bitop3:0x54
	v_dot4_i32_iu8 v82, v84, v88, v82 neg_lo:[1,1,0]
	v_dot4_i32_iu8 v83, v84, v96, v83 neg_lo:[1,1,0]
	;; [unrolled: 1-line block ×3, first 2 shown]
	v_or_b32_e32 v129, v131, v129
	v_or_b32_e32 v131, v133, v155
	v_dot4_i32_iu8 v82, v80, v89, v82 neg_lo:[1,1,0]
	v_dot4_i32_iu8 v83, v80, v97, v83 neg_lo:[1,1,0]
	;; [unrolled: 1-line block ×3, first 2 shown]
	v_or_b32_e32 v112, v124, v113
	v_or_b32_e32 v113, v126, v125
	;; [unrolled: 1-line block ×3, first 2 shown]
	v_dot4_i32_iu8 v88, v132, v130, 0 neg_lo:[1,1,0]
	v_dot4_i32_iu8 v82, v85, v90, v82 neg_lo:[1,1,0]
	;; [unrolled: 1-line block ×4, first 2 shown]
	v_cvt_f32_f16_e32 v79, v121
	v_dual_lshrrev_b32 v121, 16, v121 :: v_dual_bitop2_b32 v136, v152, v151 bitop3:0x54
	v_dual_add_nc_u32 v53, 32, v53 :: v_dual_bitop2_b32 v123, v128, v127 bitop3:0x54
	v_or_b32_e32 v124, v137, v135
	v_dot4_i32_iu8 v84, v129, v131, 0 neg_lo:[1,1,0]
	v_dot4_i32_iu8 v85, v139, v125, v88 neg_lo:[1,1,0]
	;; [unrolled: 1-line block ×7, first 2 shown]
	v_add_nc_u32_e32 v85, v86, v85
	v_dot4_i32_iu8 v82, v136, v92, v82 neg_lo:[1,1,0]
	v_dot4_i32_iu8 v83, v136, v100, v83 neg_lo:[1,1,0]
	;; [unrolled: 1-line block ×3, first 2 shown]
	v_cvt_f32_f16_e32 v81, v121
	v_add3_u32 v77, v84, v77, v85
	v_dot4_i32_iu8 v82, v87, v93, v82 neg_lo:[1,1,0]
	v_dot4_i32_iu8 v84, v87, v101, v83 neg_lo:[1,1,0]
	v_dot4_i32_iu8 v85, v87, v109, v80 neg_lo:[1,1,0]
	v_cvt_f32_f16_e32 v80, v120
	v_cvt_f32_i32_e32 v83, v77
	v_cvt_f32_i32_e32 v77, v82
	;; [unrolled: 1-line block ×4, first 2 shown]
	v_dual_add_nc_u32 v76, 4, v76 :: v_dual_add_nc_u32 v75, 4, v75
	s_delay_alu instid0(VALU_DEP_4) | instskip(NEXT) | instid1(VALU_DEP_4)
	v_fma_mix_f32 v77, v118, v77, v118 op_sel:[0,0,1] op_sel_hi:[1,0,1]
	v_fma_mix_f32 v84, v119, v84, v119 op_sel:[0,0,1] op_sel_hi:[1,0,1]
	s_delay_alu instid0(VALU_DEP_4) | instskip(SKIP_1) | instid1(VALU_DEP_2)
	v_pk_fma_f32 v[78:79], v[78:79], v[82:83], v[80:81]
	s_add_co_i32 s1, s1, 4
	v_dual_add_f32 v55, v55, v77 :: v_dual_add_f32 v49, v49, v84
	s_delay_alu instid0(VALU_DEP_2)
	v_pk_add_f32 v[16:17], v[16:17], v[78:79]
	s_cmp_lt_u32 s1, 12
	s_cbranch_scc1 .LBB203_11
; %bb.12:                               ;   in Loop: Header=BB203_5 Depth=1
	s_bitset1_b32 s16, 7
	s_delay_alu instid0(SALU_CYCLE_1)
	s_cmp_ge_i32 s16, s11
	s_barrier_signal -1
	s_barrier_wait -1
	s_cbranch_scc1 .LBB203_4
; %bb.13:                               ;   in Loop: Header=BB203_5 Depth=1
	v_add_nc_u32_e32 v53, s12, v57
	s_delay_alu instid0(VALU_DEP_1) | instskip(SKIP_1) | instid1(SALU_CYCLE_1)
	v_cmp_gt_i32_e64 s1, s5, v53
	s_and_b32 s16, s0, s1
	s_and_saveexec_b32 s1, s16
	s_cbranch_execz .LBB203_15
; %bb.14:                               ;   in Loop: Header=BB203_5 Depth=1
	v_add_nc_u32_e32 v53, v28, v53
	s_delay_alu instid0(VALU_DEP_1)
	v_mad_nc_i64_i32 v[72:73], v53, 36, v[30:31]
	global_load_b32 v53, v[72:73], off offset:4
	s_wait_loadcnt 0x0
	ds_store_b32 v51, v53
.LBB203_15:                             ;   in Loop: Header=BB203_5 Depth=1
	s_or_b32 exec_lo, exec_lo, s1
	s_and_saveexec_b32 s16, vcc_lo
	s_cbranch_execz .LBB203_18
; %bb.16:                               ;   in Loop: Header=BB203_5 Depth=1
	v_or_b32_e32 v53, 4, v52
	s_delay_alu instid0(VALU_DEP_1) | instskip(SKIP_1) | instid1(SALU_CYCLE_1)
	v_cmp_gt_i32_e64 s1, s5, v53
	s_and_b32 s1, s0, s1
	s_and_b32 exec_lo, exec_lo, s1
	s_cbranch_execz .LBB203_18
; %bb.17:                               ;   in Loop: Header=BB203_5 Depth=1
	v_ashrrev_i32_e32 v53, 31, v52
	s_delay_alu instid0(VALU_DEP_1) | instskip(NEXT) | instid1(VALU_DEP_1)
	v_add_nc_u64_e32 v[52:53], v[28:29], v[52:53]
	v_mad_nc_u64_u32 v[72:73], v52, 36, s[2:3]
	s_delay_alu instid0(VALU_DEP_1)
	v_mad_i32_i24 v73, v53, 36, v73
	global_load_b32 v52, v[72:73], off offset:144
	s_wait_loadcnt 0x0
	ds_store_b32 v54, v52
.LBB203_18:                             ;   in Loop: Header=BB203_5 Depth=1
	s_or_b32 exec_lo, exec_lo, s16
	v_dual_mov_b32 v52, v47 :: v_dual_mov_b32 v53, v45
	v_dual_mov_b32 v71, v66 :: v_dual_mov_b32 v72, v65
	;; [unrolled: 1-line block ×3, first 2 shown]
	v_mov_b32_e32 v75, v62
	s_mov_b32 s1, 12
	s_wait_dscnt 0x0
	s_barrier_signal -1
	s_barrier_wait -1
.LBB203_19:                             ;   Parent Loop BB203_5 Depth=1
                                        ; =>  This Inner Loop Header: Depth=2
	ds_load_2addr_b32 v[76:77], v53 offset1:7
	ds_load_2addr_b32 v[78:79], v53 offset0:3 offset1:4
	ds_load_2addr_b32 v[80:81], v53 offset0:5 offset1:6
	;; [unrolled: 1-line block ×3, first 2 shown]
	ds_load_b32 v116, v52
	ds_load_b32 v117, v72
	;; [unrolled: 1-line block ×5, first 2 shown]
	v_add_nc_u32_e32 v92, 0x2080, v71
	v_add_nc_u32_e32 v94, 0x2088, v71
	;; [unrolled: 1-line block ×12, first 2 shown]
	ds_load_2addr_b32 v[84:85], v71 offset1:1
	ds_load_2addr_b32 v[86:87], v71 offset0:2 offset1:3
	ds_load_2addr_b32 v[88:89], v71 offset0:4 offset1:5
	;; [unrolled: 1-line block ×3, first 2 shown]
	ds_load_2addr_b32 v[92:93], v92 offset1:1
	ds_load_2addr_b32 v[94:95], v94 offset1:1
	;; [unrolled: 1-line block ×12, first 2 shown]
	s_wait_dscnt 0x17
	v_dual_add_nc_u32 v73, 4, v73 :: v_dual_lshlrev_b32 v121, 8, v79
	v_dual_lshlrev_b32 v128, 24, v79 :: v_dual_lshlrev_b32 v129, 16, v79
	s_wait_dscnt 0x15
	v_dual_lshlrev_b32 v122, 8, v82 :: v_dual_lshlrev_b32 v123, 8, v80
	s_wait_dscnt 0x13
	v_pk_mul_f16 v117, v116, v117
	s_wait_dscnt 0x12
	v_pk_mul_f16 v118, v116, v118
	;; [unrolled: 2-line block ×3, first 2 shown]
	v_dual_lshlrev_b32 v130, 24, v82 :: v_dual_lshlrev_b32 v131, 16, v82
	s_wait_dscnt 0x10
	v_pk_mul_f16 v116, v116, v120
	v_perm_b32 v120, v129, v128, 0xc0c0703
	v_perm_b32 v145, v79, v121, 0x7030c0c
	v_dual_lshlrev_b32 v132, 24, v80 :: v_dual_lshlrev_b32 v133, 16, v80
	s_wait_dscnt 0xf
	v_dot4_i32_iu8 v84, v76, v84, 0 neg_lo:[1,1,0]
	v_perm_b32 v142, v80, v82, 0x7030c0c
	s_wait_dscnt 0xb
	v_dot4_i32_iu8 v92, v76, v92, 0 neg_lo:[1,1,0]
	s_wait_dscnt 0x7
	v_dot4_i32_iu8 v100, v76, v100, 0 neg_lo:[1,1,0]
	v_perm_b32 v146, v131, v130, 0xc0c0703
	v_perm_b32 v82, v82, v122, 0x7030c0c
	s_wait_dscnt 0x3
	v_perm_b32 v153, v76, v109, 0xc0c0501
	v_perm_b32 v155, v76, v109, 0xc0c0703
	;; [unrolled: 1-line block ×4, first 2 shown]
	v_cvt_f32_f16_e32 v76, v119
	v_dual_lshrrev_b32 v119, 16, v119 :: v_dual_bitop2_b32 v120, v145, v120 bitop3:0x54
	v_dual_lshlrev_b32 v124, 8, v83 :: v_dual_lshlrev_b32 v125, 8, v81
	v_dual_lshlrev_b32 v126, 8, v78 :: v_dual_lshlrev_b32 v127, 8, v77
	;; [unrolled: 1-line block ×6, first 2 shown]
	v_perm_b32 v147, v133, v132, 0xc0c0703
	v_perm_b32 v80, v80, v123, 0x7030c0c
	;; [unrolled: 1-line block ×4, first 2 shown]
	s_wait_dscnt 0x2
	v_perm_b32 v133, v111, v110, 0x5010c0c
	v_perm_b32 v154, v111, v110, 0x7030c0c
	;; [unrolled: 1-line block ×3, first 2 shown]
	v_dual_add_nc_u32 v72, 4, v72 :: v_dual_bitop2_b32 v82, v82, v146 bitop3:0x54
	v_dot4_i32_iu8 v84, v120, v85, v84 neg_lo:[1,1,0]
	v_dot4_i32_iu8 v85, v120, v93, v92 neg_lo:[1,1,0]
	;; [unrolled: 1-line block ×3, first 2 shown]
	v_perm_b32 v143, v81, v83, 0xc0c0703
	v_perm_b32 v144, v77, v78, 0x7030c0c
	;; [unrolled: 1-line block ×15, first 2 shown]
	s_wait_dscnt 0x1
	v_perm_b32 v111, v113, v112, 0xc0c0602
	s_wait_dscnt 0x0
	v_perm_b32 v122, v115, v114, 0x6020c0c
	v_perm_b32 v123, v125, v124, 0xc0c0703
	;; [unrolled: 1-line block ×13, first 2 shown]
	v_dual_add_nc_u32 v53, 32, v53 :: v_dual_bitop2_b32 v80, v80, v147 bitop3:0x54
	v_or_b32_e32 v129, v131, v129
	v_or_b32_e32 v131, v133, v153
	;; [unrolled: 1-line block ×4, first 2 shown]
	v_dot4_i32_iu8 v84, v82, v86, v84 neg_lo:[1,1,0]
	v_dot4_i32_iu8 v85, v82, v94, v85 neg_lo:[1,1,0]
	;; [unrolled: 1-line block ×3, first 2 shown]
	v_perm_b32 v149, v137, v136, 0xc0c0703
	v_or_b32_e32 v136, v144, v143
	v_dual_add_nc_u32 v71, 32, v71 :: v_dual_bitop2_b32 v83, v83, v148 bitop3:0x54
	v_or_b32_e32 v109, v110, v109
	v_or_b32_e32 v110, v122, v111
	;; [unrolled: 1-line block ×6, first 2 shown]
	v_dot4_i32_iu8 v100, v129, v131, 0 neg_lo:[1,1,0]
	v_dot4_i32_iu8 v79, v79, v133, 0 neg_lo:[1,1,0]
	v_dot4_i32_iu8 v84, v80, v87, v84 neg_lo:[1,1,0]
	v_dot4_i32_iu8 v85, v80, v95, v85 neg_lo:[1,1,0]
	v_dot4_i32_iu8 v80, v80, v103, v82 neg_lo:[1,1,0]
	v_cvt_f32_f16_e32 v77, v116
	v_lshrrev_b32_e32 v116, 16, v116
	v_or_b32_e32 v128, v130, v128
	v_or_b32_e32 v130, v132, v156
	;; [unrolled: 1-line block ×3, first 2 shown]
	v_dot4_i32_iu8 v84, v83, v88, v84 neg_lo:[1,1,0]
	v_dot4_i32_iu8 v85, v83, v96, v85 neg_lo:[1,1,0]
	v_dot4_i32_iu8 v80, v83, v104, v80 neg_lo:[1,1,0]
	v_dot4_i32_iu8 v79, v136, v123, v79 neg_lo:[1,1,0]
	v_dot4_i32_iu8 v83, v93, v112, v100 neg_lo:[1,1,0]
	v_or_b32_e32 v81, v81, v149
	v_dual_add_nc_u32 v52, 4, v52 :: v_dual_bitop2_b32 v78, v78, v150 bitop3:0x54
	v_or_b32_e32 v121, v126, v125
	v_or_b32_e32 v122, v134, v127
	v_dot4_i32_iu8 v86, v108, v109, 0 neg_lo:[1,1,0]
	v_dot4_i32_iu8 v82, v128, v130, 0 neg_lo:[1,1,0]
	;; [unrolled: 1-line block ×5, first 2 shown]
	v_or_b32_e32 v135, v152, v151
	v_dot4_i32_iu8 v86, v111, v110, v86 neg_lo:[1,1,0]
	v_dot4_i32_iu8 v81, v122, v121, v82 neg_lo:[1,1,0]
	v_add_nc_u32_e32 v82, v83, v79
	v_dot4_i32_iu8 v83, v78, v90, v84 neg_lo:[1,1,0]
	v_dot4_i32_iu8 v84, v78, v98, v85 neg_lo:[1,1,0]
	;; [unrolled: 1-line block ×3, first 2 shown]
	v_cvt_f32_f16_e32 v79, v116
	v_add3_u32 v80, v81, v86, v82
	v_dot4_i32_iu8 v82, v135, v91, v83 neg_lo:[1,1,0]
	v_dot4_i32_iu8 v83, v135, v99, v84 neg_lo:[1,1,0]
	;; [unrolled: 1-line block ×3, first 2 shown]
	v_cvt_f32_f16_e32 v78, v119
	v_cvt_f32_i32_e32 v81, v80
	v_cvt_f32_i32_e32 v82, v82
	;; [unrolled: 1-line block ×4, first 2 shown]
	v_dual_add_nc_u32 v75, 4, v75 :: v_dual_add_nc_u32 v74, 4, v74
	s_delay_alu instid0(VALU_DEP_4) | instskip(NEXT) | instid1(VALU_DEP_4)
	v_fma_mix_f32 v82, v117, v82, v117 op_sel:[0,0,1] op_sel_hi:[1,0,1]
	v_fma_mix_f32 v83, v118, v83, v118 op_sel:[0,0,1] op_sel_hi:[1,0,1]
	s_delay_alu instid0(VALU_DEP_4) | instskip(SKIP_1) | instid1(VALU_DEP_2)
	v_pk_fma_f32 v[76:77], v[76:77], v[80:81], v[78:79]
	s_add_co_i32 s1, s1, 4
	v_dual_add_f32 v55, v55, v82 :: v_dual_add_f32 v49, v49, v83
	s_delay_alu instid0(VALU_DEP_2)
	v_pk_add_f32 v[16:17], v[16:17], v[76:77]
	s_cmp_lt_u32 s1, 28
	s_cbranch_scc1 .LBB203_19
; %bb.20:                               ;   in Loop: Header=BB203_5 Depth=1
	s_barrier_signal -1
	s_barrier_wait -1
	s_branch .LBB203_4
.LBB203_21:
	s_mul_i32 s0, s7, s4
	s_wait_loadcnt 0x0
	v_cmp_gt_i32_e32 vcc_lo, s0, v1
	s_and_saveexec_b32 s0, vcc_lo
	s_cbranch_execz .LBB203_30
; %bb.22:
	v_mul_lo_u32 v0, v1, s6
	v_add_nc_u32_e32 v1, s18, v3
	s_mov_b32 s0, exec_lo
	s_delay_alu instid0(VALU_DEP_1)
	v_cmpx_gt_u32_e64 s6, v1
	s_cbranch_execz .LBB203_24
; %bb.23:
	s_delay_alu instid0(VALU_DEP_3)
	v_add_nc_u32_e32 v2, v0, v1
	v_cvt_f16_f32_e32 v3, v55
	global_store_b16 v2, v3, s[8:9] scale_offset
.LBB203_24:
	s_wait_xcnt 0x0
	s_or_b32 exec_lo, exec_lo, s0
	v_add_nc_u32_e32 v2, 32, v1
	s_mov_b32 s0, exec_lo
	s_delay_alu instid0(VALU_DEP_1)
	v_cmpx_gt_u32_e64 s6, v2
	s_cbranch_execz .LBB203_26
; %bb.25:
	v_add_nc_u32_e32 v2, v0, v2
	v_cvt_f16_f32_e32 v3, v49
	global_store_b16 v2, v3, s[8:9] scale_offset
.LBB203_26:
	s_wait_xcnt 0x0
	s_or_b32 exec_lo, exec_lo, s0
	v_add_nc_u32_e32 v2, 64, v1
	s_mov_b32 s0, exec_lo
	s_delay_alu instid0(VALU_DEP_1)
	v_cmpx_gt_u32_e64 s6, v2
	s_cbranch_execz .LBB203_28
; %bb.27:
	v_add_nc_u32_e32 v2, v0, v2
	v_cvt_f16_f32_e32 v3, v16
	global_store_b16 v2, v3, s[8:9] scale_offset
.LBB203_28:
	s_wait_xcnt 0x0
	s_or_b32 exec_lo, exec_lo, s0
	v_add_nc_u32_e32 v1, 0x60, v1
	s_delay_alu instid0(VALU_DEP_1)
	v_cmp_gt_u32_e32 vcc_lo, s6, v1
	s_and_b32 exec_lo, exec_lo, vcc_lo
	s_cbranch_execz .LBB203_30
; %bb.29:
	v_add_nc_u32_e32 v0, v0, v1
	v_cvt_f16_f32_e32 v1, v17
	global_store_b16 v0, v1, s[8:9] scale_offset
.LBB203_30:
	s_sendmsg sendmsg(MSG_DEALLOC_VGPRS)
	s_endpgm
	.section	.rodata,"a",@progbits
	.p2align	6, 0x0
	.amdhsa_kernel _ZL8moe_q5_1IN3c104HalfELb0EEvPKvS3_PT_PKiS7_S7_iiiiiii
		.amdhsa_group_segment_fixed_size 38656
		.amdhsa_private_segment_fixed_size 0
		.amdhsa_kernarg_size 76
		.amdhsa_user_sgpr_count 2
		.amdhsa_user_sgpr_dispatch_ptr 0
		.amdhsa_user_sgpr_queue_ptr 0
		.amdhsa_user_sgpr_kernarg_segment_ptr 1
		.amdhsa_user_sgpr_dispatch_id 0
		.amdhsa_user_sgpr_kernarg_preload_length 0
		.amdhsa_user_sgpr_kernarg_preload_offset 0
		.amdhsa_user_sgpr_private_segment_size 0
		.amdhsa_wavefront_size32 1
		.amdhsa_uses_dynamic_stack 0
		.amdhsa_enable_private_segment 0
		.amdhsa_system_sgpr_workgroup_id_x 1
		.amdhsa_system_sgpr_workgroup_id_y 1
		.amdhsa_system_sgpr_workgroup_id_z 0
		.amdhsa_system_sgpr_workgroup_info 0
		.amdhsa_system_vgpr_workitem_id 1
		.amdhsa_next_free_vgpr 159
		.amdhsa_next_free_sgpr 21
		.amdhsa_named_barrier_count 0
		.amdhsa_reserve_vcc 1
		.amdhsa_float_round_mode_32 0
		.amdhsa_float_round_mode_16_64 0
		.amdhsa_float_denorm_mode_32 3
		.amdhsa_float_denorm_mode_16_64 3
		.amdhsa_fp16_overflow 0
		.amdhsa_memory_ordered 1
		.amdhsa_forward_progress 1
		.amdhsa_inst_pref_size 69
		.amdhsa_round_robin_scheduling 0
		.amdhsa_exception_fp_ieee_invalid_op 0
		.amdhsa_exception_fp_denorm_src 0
		.amdhsa_exception_fp_ieee_div_zero 0
		.amdhsa_exception_fp_ieee_overflow 0
		.amdhsa_exception_fp_ieee_underflow 0
		.amdhsa_exception_fp_ieee_inexact 0
		.amdhsa_exception_int_div_zero 0
	.end_amdhsa_kernel
	.section	.text._ZL8moe_q5_1IN3c104HalfELb0EEvPKvS3_PT_PKiS7_S7_iiiiiii,"axG",@progbits,_ZL8moe_q5_1IN3c104HalfELb0EEvPKvS3_PT_PKiS7_S7_iiiiiii,comdat
.Lfunc_end203:
	.size	_ZL8moe_q5_1IN3c104HalfELb0EEvPKvS3_PT_PKiS7_S7_iiiiiii, .Lfunc_end203-_ZL8moe_q5_1IN3c104HalfELb0EEvPKvS3_PT_PKiS7_S7_iiiiiii
                                        ; -- End function
	.set _ZL8moe_q5_1IN3c104HalfELb0EEvPKvS3_PT_PKiS7_S7_iiiiiii.num_vgpr, 159
	.set _ZL8moe_q5_1IN3c104HalfELb0EEvPKvS3_PT_PKiS7_S7_iiiiiii.num_agpr, 0
	.set _ZL8moe_q5_1IN3c104HalfELb0EEvPKvS3_PT_PKiS7_S7_iiiiiii.numbered_sgpr, 21
	.set _ZL8moe_q5_1IN3c104HalfELb0EEvPKvS3_PT_PKiS7_S7_iiiiiii.num_named_barrier, 0
	.set _ZL8moe_q5_1IN3c104HalfELb0EEvPKvS3_PT_PKiS7_S7_iiiiiii.private_seg_size, 0
	.set _ZL8moe_q5_1IN3c104HalfELb0EEvPKvS3_PT_PKiS7_S7_iiiiiii.uses_vcc, 1
	.set _ZL8moe_q5_1IN3c104HalfELb0EEvPKvS3_PT_PKiS7_S7_iiiiiii.uses_flat_scratch, 0
	.set _ZL8moe_q5_1IN3c104HalfELb0EEvPKvS3_PT_PKiS7_S7_iiiiiii.has_dyn_sized_stack, 0
	.set _ZL8moe_q5_1IN3c104HalfELb0EEvPKvS3_PT_PKiS7_S7_iiiiiii.has_recursion, 0
	.set _ZL8moe_q5_1IN3c104HalfELb0EEvPKvS3_PT_PKiS7_S7_iiiiiii.has_indirect_call, 0
	.section	.AMDGPU.csdata,"",@progbits
; Kernel info:
; codeLenInByte = 8828
; TotalNumSgprs: 23
; NumVgprs: 159
; ScratchSize: 0
; MemoryBound: 0
; FloatMode: 240
; IeeeMode: 1
; LDSByteSize: 38656 bytes/workgroup (compile time only)
; SGPRBlocks: 0
; VGPRBlocks: 9
; NumSGPRsForWavesPerEU: 23
; NumVGPRsForWavesPerEU: 159
; NamedBarCnt: 0
; Occupancy: 6
; WaveLimiterHint : 1
; COMPUTE_PGM_RSRC2:SCRATCH_EN: 0
; COMPUTE_PGM_RSRC2:USER_SGPR: 2
; COMPUTE_PGM_RSRC2:TRAP_HANDLER: 0
; COMPUTE_PGM_RSRC2:TGID_X_EN: 1
; COMPUTE_PGM_RSRC2:TGID_Y_EN: 1
; COMPUTE_PGM_RSRC2:TGID_Z_EN: 0
; COMPUTE_PGM_RSRC2:TIDIG_COMP_CNT: 1
	.section	.text._ZL8moe_q5_1IN3c104HalfELb1EEvPKvS3_PT_PKiS7_S7_iiiiiii,"axG",@progbits,_ZL8moe_q5_1IN3c104HalfELb1EEvPKvS3_PT_PKiS7_S7_iiiiiii,comdat
	.globl	_ZL8moe_q5_1IN3c104HalfELb1EEvPKvS3_PT_PKiS7_S7_iiiiiii ; -- Begin function _ZL8moe_q5_1IN3c104HalfELb1EEvPKvS3_PT_PKiS7_S7_iiiiiii
	.p2align	8
	.type	_ZL8moe_q5_1IN3c104HalfELb1EEvPKvS3_PT_PKiS7_S7_iiiiiii,@function
_ZL8moe_q5_1IN3c104HalfELb1EEvPKvS3_PT_PKiS7_S7_iiiiiii: ; @_ZL8moe_q5_1IN3c104HalfELb1EEvPKvS3_PT_PKiS7_S7_iiiiiii
; %bb.0:
	s_load_b128 s[4:7], s[0:1], 0x18
	s_bfe_u32 s2, ttmp6, 0x40010
	s_bfe_u32 s8, ttmp6, 0x40004
	s_add_co_i32 s2, s2, 1
	s_delay_alu instid0(SALU_CYCLE_1)
	s_mul_i32 s3, ttmp7, s2
	s_getreg_b32 s2, hwreg(HW_REG_IB_STS2, 6, 4)
	s_add_co_i32 s8, s8, s3
	s_cmp_eq_u32 s2, 0
	s_cselect_b32 s3, ttmp7, s8
	s_wait_kmcnt 0x0
	s_load_b32 s14, s[6:7], s3 offset:0x0 scale_offset
	s_wait_kmcnt 0x0
	s_cmp_gt_u32 s14, 0xff
	s_cbranch_scc1 .LBB204_30
; %bb.1:
	s_load_b64 s[6:7], s[0:1], 0x28
	s_lshl_b32 s3, s3, 3
	s_wait_kmcnt 0x0
	s_load_b32 s6, s[6:7], 0x0
	s_wait_kmcnt 0x0
	s_cmp_gt_u32 s3, s6
	s_cbranch_scc1 .LBB204_30
; %bb.2:
	v_bfe_u32 v9, v0, 10, 10
	s_and_b32 s11, ttmp6, 15
	v_and_b32_e32 v5, 0x3ff, v0
	s_mov_b32 s15, 0
	s_delay_alu instid0(VALU_DEP_2) | instskip(SKIP_1) | instid1(SALU_CYCLE_1)
	v_dual_mov_b32 v7, 0 :: v_dual_add_nc_u32 v1, s3, v9
	s_bfe_u32 s3, ttmp6, 0x4000c
	s_add_co_i32 s3, s3, 1
	s_delay_alu instid0(VALU_DEP_1)
	v_dual_mov_b32 v6, v7 :: v_dual_mov_b32 v69, v7
	global_load_b32 v1, v1, s[4:5] scale_offset
	s_wait_xcnt 0x0
	s_clause 0x2
	s_load_b128 s[4:7], s[0:1], 0x30
	s_load_b64 s[12:13], s[0:1], 0x10
	s_load_b96 s[8:10], s[0:1], 0x40
	s_mul_i32 s3, ttmp9, s3
	v_mov_b32_e32 v73, v7
	s_add_co_i32 s11, s11, s3
	s_cmp_eq_u32 s2, 0
	s_cselect_b32 s2, ttmp9, s11
	s_delay_alu instid0(SALU_CYCLE_1)
	s_lshl_b32 s11, s2, 7
	s_wait_kmcnt 0x0
	s_cmp_lt_i32 s5, 32
	s_cbranch_scc1 .LBB204_21
; %bb.3:
	s_load_b128 s[0:3], s[0:1], 0x0
	s_mul_i32 s18, s14, s4
	v_bfe_u32 v29, v0, 3, 7
	s_ashr_i32 s19, s18, 31
	s_not_b32 s4, s11
	s_ashr_i32 s16, s5, 31
	s_add_co_i32 s20, s6, s4
	v_lshl_add_u32 v7, v9, 2, v29
	s_ashr_i32 s17, s8, 31
	s_lshr_b32 s14, s16, 27
	s_lshr_b32 s16, s17, 27
	v_dual_mov_b32 v3, 0 :: v_dual_lshlrev_b32 v10, 2, v5
	v_min_i32_e32 v44, s20, v7
	s_add_co_i32 s6, s8, s16
	v_add_min_i32_e64 v46, v7, 32, s20
	s_delay_alu instid0(VALU_DEP_3)
	v_dual_lshlrev_b32 v6, 3, v5 :: v_dual_bitop2_b32 v2, 12, v10 bitop3:0x40
	v_add_min_i32_e64 v14, v9, 8, s20
	v_add_min_i32_e64 v16, v9, 16, s20
	s_wait_kmcnt 0x0
	s_add_nc_u64 s[18:19], s[0:1], s[18:19]
	s_abs_i32 s0, s10
	v_add_min_i32_e64 v18, v9, 24, s20
	s_cvt_f32_u32 s1, s0
	s_sub_co_i32 s8, 0, s0
	v_add_min_i32_e64 v20, v9, 32, s20
	v_add_min_i32_e64 v22, v9, 40, s20
	v_rcp_iflag_f32_e32 v4, s1
	v_add_min_i32_e64 v24, v9, 48, s20
	v_add_min_i32_e64 v26, v9, 56, s20
	v_add_min_i32_e64 v28, v9, 64, s20
	v_add_min_i32_e64 v30, 0x48, v9, s20
	v_add_min_i32_e64 v32, 0x50, v9, s20
	v_add_min_i32_e64 v34, 0x58, v9, s20
	v_readfirstlane_b32 s1, v4
	s_wait_loadcnt 0x0
	v_sub_nc_u32_e32 v4, 0, v1
	v_dual_ashrrev_i32 v8, 31, v44 :: v_dual_min_i32 v12, s20, v9
	v_ashrrev_i32_e32 v43, 31, v46
	s_mul_f32 s1, s1, 0x4f7ffffe
	s_delay_alu instid0(VALU_DEP_3)
	v_max_i32_e32 v11, v1, v4
	v_add_min_i32_e64 v36, 0x60, v9, s20
	v_lshrrev_b32_e32 v4, 30, v8
	s_cvt_u32_f32 s1, s1
	v_add_min_i32_e64 v38, 0x68, v9, s20
	v_add_min_i32_e64 v42, 0x70, v9, s20
	;; [unrolled: 1-line block ×3, first 2 shown]
	s_mul_i32 s8, s8, s1
	v_add_nc_u32_e32 v40, v44, v4
	s_mul_hi_u32 s8, s1, s8
	v_dual_lshrrev_b32 v50, 30, v43 :: v_dual_bitop2_b32 v4, 7, v0 bitop3:0x40
	s_add_co_i32 s1, s1, s8
	v_add_min_i32_e64 v52, v7, 64, s20
	v_mul_hi_u32 v8, v11, s1
	s_delay_alu instid0(VALU_DEP_3)
	v_lshlrev_b32_e32 v49, 2, v4
	v_add_min_i32_e64 v53, 0x60, v7, s20
	v_mad_u32 v13, 0x104, v12, v6
	v_mad_u32 v15, 0x104, v14, v6
	;; [unrolled: 1-line block ×8, first 2 shown]
	v_mul_lo_u32 v47, v8, s0
	v_and_b32_e32 v40, -4, v40
	v_mad_u32 v31, 0x104, v28, v6
	v_mad_u32 v33, 0x104, v30, v6
	;; [unrolled: 1-line block ×8, first 2 shown]
	v_dual_ashrrev_i32 v51, 31, v53 :: v_dual_sub_nc_u32 v11, v11, v47
	v_add3_u32 v6, v40, v49, 0x8200
	v_dual_add_nc_u32 v40, v46, v50 :: v_dual_lshlrev_b32 v50, 5, v44
	v_add_nc_u32_e32 v47, 1, v8
	s_delay_alu instid0(VALU_DEP_4)
	v_subrev_nc_u32_e32 v54, s0, v11
	v_cmp_le_u32_e32 vcc_lo, s0, v11
	v_ashrrev_i32_e32 v7, 31, v52
	v_and_b32_e32 v57, 0xfc, v0
	v_lshlrev_b32_e32 v59, 5, v53
	s_ashr_i32 s6, s6, 5
	v_dual_cndmask_b32 v8, v8, v47, vcc_lo :: v_dual_bitop2_b32 v40, -4, v40 bitop3:0x40
	v_lshrrev_b32_e32 v7, 30, v7
	v_dual_lshrrev_b32 v47, 30, v51 :: v_dual_bitop2_b32 v51, s10, v1 bitop3:0x14
	s_delay_alu instid0(VALU_DEP_3) | instskip(NEXT) | instid1(VALU_DEP_3)
	v_dual_cndmask_b32 v11, v11, v54 :: v_dual_add_nc_u32 v54, 1, v8
	v_add_nc_u32_e32 v7, v52, v7
	v_add3_u32 v40, v40, v49, 0x8200
	s_delay_alu instid0(VALU_DEP_4) | instskip(NEXT) | instid1(VALU_DEP_4)
	v_ashrrev_i32_e32 v51, 31, v51
	v_cmp_le_u32_e32 vcc_lo, s0, v11
	v_add_nc_u32_e32 v47, v53, v47
	v_dual_add_nc_u32 v55, 32, v5 :: v_dual_bitop2_b32 v7, -4, v7 bitop3:0x40
	v_dual_lshlrev_b32 v58, 5, v52 :: v_dual_cndmask_b32 v8, v8, v54, vcc_lo
	s_delay_alu instid0(VALU_DEP_3) | instskip(NEXT) | instid1(VALU_DEP_3)
	v_dual_lshlrev_b32 v54, 5, v46 :: v_dual_bitop2_b32 v11, -4, v47 bitop3:0x40
	v_add3_u32 v7, v7, v49, 0x8200
	v_add_nc_u32_e32 v47, 0x60, v5
	s_add_co_i32 s14, s5, s14
	s_delay_alu instid0(VALU_DEP_3) | instskip(SKIP_1) | instid1(VALU_DEP_3)
	v_add3_u32 v11, v11, v49, 0x8200
	v_dual_add_nc_u32 v49, 64, v5 :: v_dual_bitop2_b32 v8, v8, v51 bitop3:0x14
	v_and_b32_e32 v47, 0x1fc, v47
	s_ashr_i32 s4, s14, 5
	v_lshl_add_u32 v60, v9, 4, 0x9680
	s_delay_alu instid0(VALU_DEP_3)
	v_and_b32_e32 v49, 0x1fc, v49
	v_dual_sub_nc_u32 v56, v8, v51 :: v_dual_lshlrev_b32 v8, 5, v5
	v_and_b32_e32 v51, 0x1fc, v55
	v_mul_lo_u32 v12, v12, s4
	v_mul_lo_u32 v14, v14, s4
	;; [unrolled: 1-line block ×3, first 2 shown]
	v_dual_add_nc_u32 v65, v8, v47 :: v_dual_add_nc_u32 v67, v8, v49
	v_dual_add_nc_u32 v69, v8, v51 :: v_dual_add_nc_u32 v57, v8, v57
	v_dual_add_nc_u32 v47, v6, v50 :: v_dual_bitop2_b32 v50, 31, v0 bitop3:0x40
	v_add_nc_u32_e32 v49, v40, v54
	v_dual_add_nc_u32 v51, v7, v58 :: v_dual_lshrrev_b32 v63, 3, v55
	v_dual_add_nc_u32 v58, v11, v59 :: v_dual_bitop2_b32 v6, 28, v10 bitop3:0x40
	v_mul_lo_u32 v8, v56, s6
	v_lshl_add_u32 v59, v9, 7, 0x9280
	v_dual_mov_b32 v7, v3 :: v_dual_add_nc_u32 v62, v60, v10
	v_mul_lo_u32 v18, v18, s4
	v_mul_lo_u32 v20, v20, s4
	s_delay_alu instid0(VALU_DEP_4)
	v_lshl_or_b32 v61, v50, 2, v59
	v_mul_lo_u32 v22, v22, s4
	v_mul_lo_u32 v24, v24, s4
	;; [unrolled: 1-line block ×15, first 2 shown]
	s_mul_i32 s16, s4, s11
	v_cmp_gt_u32_e32 vcc_lo, 4, v5
	v_cmp_gt_i32_e64 s0, s7, v56
	v_add_nc_u64_e32 v[10:11], s[2:3], v[6:7]
	s_movk_i32 s1, 0x80
	s_ashr_i32 s17, s16, 31
	v_dual_ashrrev_i32 v9, 31, v8 :: v_dual_mov_b32 v73, v3
	v_add_nc_u32_e32 v64, 0x8e00, v65
	v_add_nc_u32_e32 v65, 0x8e10, v65
	;; [unrolled: 1-line block ×8, first 2 shown]
	v_mov_b32_e32 v6, v3
	v_bfe_u32 v0, v0, 2, 8
	v_mad_u32_u24 v74, 0x104, v5, s1
	v_mov_b32_e32 v69, v3
	s_mul_u64 s[16:17], s[16:17], 24
	s_and_b32 s8, vcc_lo, s0
	s_add_nc_u64 s[16:17], s[18:19], s[16:17]
	s_mov_b32 s14, s15
	s_branch .LBB204_5
.LBB204_4:                              ;   in Loop: Header=BB204_5 Depth=1
	s_add_co_i32 s14, s14, 8
	s_delay_alu instid0(SALU_CYCLE_1)
	s_cmp_ge_i32 s14, s4
	s_cbranch_scc1 .LBB204_21
.LBB204_5:                              ; =>This Loop Header: Depth=1
                                        ;     Child Loop BB204_11 Depth 2
                                        ;     Child Loop BB204_19 Depth 2
	s_mul_u64 s[18:19], s[14:15], 24
	s_delay_alu instid0(SALU_CYCLE_1) | instskip(NEXT) | instid1(SALU_CYCLE_1)
	s_add_nc_u64 s[18:19], s[16:17], s[18:19]
	v_mad_nc_u64_u32 v[52:53], v0, 24, s[18:19]
	s_delay_alu instid0(VALU_DEP_1) | instskip(SKIP_1) | instid1(VALU_DEP_2)
	v_mad_nc_i64_i32 v[54:55], v18, 24, v[52:53]
	v_mad_nc_i64_i32 v[56:57], v16, 24, v[52:53]
	v_add_nc_u64_e32 v[76:77], v[54:55], v[2:3]
	s_delay_alu instid0(VALU_DEP_2)
	v_add_nc_u64_e32 v[78:79], v[56:57], v[2:3]
	s_clause 0x1
	global_load_b32 v75, v[76:77], off offset:8
	global_load_b32 v80, v[78:79], off offset:8
	s_wait_xcnt 0x1
	v_mad_nc_i64_i32 v[76:77], v14, 24, v[52:53]
	s_wait_xcnt 0x0
	s_delay_alu instid0(VALU_DEP_1)
	v_add_nc_u64_e32 v[78:79], v[76:77], v[2:3]
	global_load_b32 v81, v[78:79], off offset:8
	s_wait_xcnt 0x0
	v_mad_nc_i64_i32 v[78:79], v12, 24, v[52:53]
	global_load_b32 v82, v[78:79], off offset:4
	s_wait_xcnt 0x0
	v_add_nc_u64_e32 v[78:79], v[78:79], v[2:3]
	s_clause 0x3
	global_load_b32 v83, v[78:79], off offset:8
	global_load_b32 v84, v[76:77], off offset:4
	global_load_b32 v85, v[56:57], off offset:4
	global_load_b32 v86, v[54:55], off offset:4
	s_wait_loadcnt 0x5
	s_wait_xcnt 0x2
	v_and_b32_e32 v76, 0xf0f0f0f, v81
	s_wait_loadcnt 0x4
	s_wait_xcnt 0x0
	v_ashrrev_i32_e32 v54, v2, v82
	s_wait_loadcnt 0x3
	v_and_b32_e32 v56, 0xf0f0f0f, v83
	s_delay_alu instid0(VALU_DEP_2) | instskip(NEXT) | instid1(VALU_DEP_1)
	v_lshlrev_b32_e32 v55, 4, v54
	v_dual_lshrrev_b32 v77, 12, v54 :: v_dual_bitop2_b32 v55, 16, v55 bitop3:0x40
	s_delay_alu instid0(VALU_DEP_1) | instskip(SKIP_1) | instid1(VALU_DEP_2)
	v_or_b32_e32 v55, v55, v56
	s_wait_loadcnt 0x2
	v_dual_ashrrev_i32 v56, v2, v84 :: v_dual_bitop2_b32 v77, 16, v77 bitop3:0x40
	s_delay_alu instid0(VALU_DEP_1) | instskip(NEXT) | instid1(VALU_DEP_1)
	v_dual_lshrrev_b32 v78, 12, v56 :: v_dual_lshlrev_b32 v57, 4, v56
	v_and_b32_e32 v78, 16, v78
	s_delay_alu instid0(VALU_DEP_2) | instskip(NEXT) | instid1(VALU_DEP_1)
	v_and_b32_e32 v57, 16, v57
	v_dual_lshrrev_b32 v76, 4, v83 :: v_dual_bitop2_b32 v57, v57, v76 bitop3:0x54
	s_delay_alu instid0(VALU_DEP_1) | instskip(NEXT) | instid1(VALU_DEP_1)
	v_and_b32_e32 v76, 0xf0f0f0f, v76
	v_dual_lshrrev_b32 v77, 4, v81 :: v_dual_bitop2_b32 v76, v77, v76 bitop3:0x54
	s_delay_alu instid0(VALU_DEP_1) | instskip(NEXT) | instid1(VALU_DEP_1)
	v_and_b32_e32 v77, 0xf0f0f0f, v77
	v_dual_lshlrev_b32 v78, 11, v54 :: v_dual_bitop2_b32 v77, v78, v77 bitop3:0x54
	s_delay_alu instid0(VALU_DEP_1) | instskip(NEXT) | instid1(VALU_DEP_1)
	v_and_b32_e32 v78, 0x1000, v78
	v_dual_lshlrev_b32 v78, 11, v56 :: v_dual_bitop2_b32 v55, v55, v78 bitop3:0x54
	s_delay_alu instid0(VALU_DEP_1) | instskip(NEXT) | instid1(VALU_DEP_1)
	v_and_b32_e32 v78, 0x1000, v78
	v_or_b32_e32 v57, v57, v78
	v_lshrrev_b32_e32 v78, 5, v54
	s_delay_alu instid0(VALU_DEP_1) | instskip(NEXT) | instid1(VALU_DEP_1)
	v_and_b32_e32 v78, 0x1000, v78
	v_dual_lshrrev_b32 v78, 5, v56 :: v_dual_bitop2_b32 v76, v76, v78 bitop3:0x54
	s_delay_alu instid0(VALU_DEP_1) | instskip(NEXT) | instid1(VALU_DEP_1)
	v_and_b32_e32 v78, 0x1000, v78
	v_or_b32_e32 v77, v77, v78
	v_lshlrev_b32_e32 v78, 18, v54
	s_delay_alu instid0(VALU_DEP_1) | instskip(NEXT) | instid1(VALU_DEP_1)
	v_and_b32_e32 v78, 0x100000, v78
	v_dual_lshlrev_b32 v78, 18, v56 :: v_dual_bitop2_b32 v55, v55, v78 bitop3:0x54
	s_delay_alu instid0(VALU_DEP_1) | instskip(NEXT) | instid1(VALU_DEP_1)
	v_and_b32_e32 v78, 0x100000, v78
	v_or_b32_e32 v57, v57, v78
	v_lshlrev_b32_e32 v78, 2, v54
	s_delay_alu instid0(VALU_DEP_1) | instskip(NEXT) | instid1(VALU_DEP_1)
	v_and_b32_e32 v78, 0x100000, v78
	v_dual_lshlrev_b32 v78, 2, v56 :: v_dual_bitop2_b32 v76, v76, v78 bitop3:0x54
	s_delay_alu instid0(VALU_DEP_1) | instskip(NEXT) | instid1(VALU_DEP_1)
	v_and_b32_e32 v78, 0x100000, v78
	v_or_b32_e32 v77, v77, v78
	v_dual_lshlrev_b32 v78, 25, v54 :: v_dual_lshlrev_b32 v54, 9, v54
	s_delay_alu instid0(VALU_DEP_1) | instskip(NEXT) | instid1(VALU_DEP_2)
	v_and_b32_e32 v78, 0x10000000, v78
	v_and_b32_e32 v54, 0x10000000, v54
	s_delay_alu instid0(VALU_DEP_2) | instskip(NEXT) | instid1(VALU_DEP_2)
	v_or_b32_e32 v55, v55, v78
	v_dual_lshlrev_b32 v78, 25, v56 :: v_dual_bitop2_b32 v54, v76, v54 bitop3:0x54
	s_wait_loadcnt 0x1
	v_dual_lshlrev_b32 v56, 9, v56 :: v_dual_ashrrev_i32 v76, v2, v85
	ds_store_2addr_b32 v13, v55, v54 offset1:1
	v_mad_nc_i64_i32 v[54:55], v26, 24, v[52:53]
	v_and_b32_e32 v78, 0x10000000, v78
	v_and_b32_e32 v56, 0x10000000, v56
	s_delay_alu instid0(VALU_DEP_2) | instskip(NEXT) | instid1(VALU_DEP_2)
	v_dual_lshrrev_b32 v79, 12, v76 :: v_dual_bitop2_b32 v57, v57, v78 bitop3:0x54
	v_or_b32_e32 v56, v77, v56
	v_and_b32_e32 v78, 0xf0f0f0f, v75
	s_wait_loadcnt 0x0
	s_delay_alu instid0(VALU_DEP_3)
	v_dual_ashrrev_i32 v77, v2, v86 :: v_dual_bitop2_b32 v79, 16, v79 bitop3:0x40
	v_lshrrev_b32_e32 v75, 4, v75
	ds_store_2addr_b32 v15, v57, v56 offset1:1
	v_add_nc_u64_e32 v[56:57], v[54:55], v[2:3]
	v_and_b32_e32 v75, 0xf0f0f0f, v75
	global_load_b32 v81, v[56:57], off offset:8
	s_wait_xcnt 0x0
	v_lshlrev_b32_e32 v56, 4, v76
	v_and_b32_e32 v57, 0xf0f0f0f, v80
	s_delay_alu instid0(VALU_DEP_2) | instskip(NEXT) | instid1(VALU_DEP_1)
	v_and_b32_e32 v56, 16, v56
	v_or_b32_e32 v56, v56, v57
	v_lshlrev_b32_e32 v57, 4, v77
	s_delay_alu instid0(VALU_DEP_1) | instskip(NEXT) | instid1(VALU_DEP_1)
	v_and_b32_e32 v57, 16, v57
	v_dual_lshrrev_b32 v78, 4, v80 :: v_dual_bitop2_b32 v57, v57, v78 bitop3:0x54
	s_delay_alu instid0(VALU_DEP_1) | instskip(NEXT) | instid1(VALU_DEP_1)
	v_and_b32_e32 v78, 0xf0f0f0f, v78
	v_dual_lshrrev_b32 v79, 12, v77 :: v_dual_bitop2_b32 v78, v79, v78 bitop3:0x54
	s_delay_alu instid0(VALU_DEP_1) | instskip(NEXT) | instid1(VALU_DEP_1)
	v_and_b32_e32 v79, 16, v79
	v_dual_lshlrev_b32 v79, 11, v76 :: v_dual_bitop2_b32 v75, v79, v75 bitop3:0x54
	s_delay_alu instid0(VALU_DEP_1) | instskip(NEXT) | instid1(VALU_DEP_1)
	v_and_b32_e32 v79, 0x1000, v79
	v_dual_lshlrev_b32 v79, 11, v77 :: v_dual_bitop2_b32 v56, v56, v79 bitop3:0x54
	s_delay_alu instid0(VALU_DEP_1) | instskip(NEXT) | instid1(VALU_DEP_1)
	v_and_b32_e32 v79, 0x1000, v79
	v_dual_lshrrev_b32 v79, 5, v76 :: v_dual_bitop2_b32 v57, v57, v79 bitop3:0x54
	s_delay_alu instid0(VALU_DEP_1) | instskip(NEXT) | instid1(VALU_DEP_1)
	v_and_b32_e32 v79, 0x1000, v79
	v_dual_lshrrev_b32 v79, 5, v77 :: v_dual_bitop2_b32 v78, v78, v79 bitop3:0x54
	s_delay_alu instid0(VALU_DEP_1) | instskip(NEXT) | instid1(VALU_DEP_1)
	v_and_b32_e32 v79, 0x1000, v79
	v_dual_lshlrev_b32 v79, 18, v76 :: v_dual_bitop2_b32 v75, v75, v79 bitop3:0x54
	s_delay_alu instid0(VALU_DEP_1) | instskip(NEXT) | instid1(VALU_DEP_1)
	v_and_b32_e32 v79, 0x100000, v79
	v_dual_lshlrev_b32 v79, 18, v77 :: v_dual_bitop2_b32 v56, v56, v79 bitop3:0x54
	;; [unrolled: 3-line block ×5, first 2 shown]
	v_lshlrev_b32_e32 v76, 9, v76
	s_delay_alu instid0(VALU_DEP_2) | instskip(NEXT) | instid1(VALU_DEP_2)
	v_and_b32_e32 v79, 0x10000000, v79
	v_and_b32_e32 v76, 0x10000000, v76
	s_delay_alu instid0(VALU_DEP_2) | instskip(NEXT) | instid1(VALU_DEP_2)
	v_or_b32_e32 v56, v56, v79
	v_dual_lshlrev_b32 v78, 25, v77 :: v_dual_bitop2_b32 v76, v78, v76 bitop3:0x54
	ds_store_2addr_b32 v17, v56, v76 offset1:1
	v_and_b32_e32 v78, 0x10000000, v78
	s_delay_alu instid0(VALU_DEP_1) | instskip(SKIP_1) | instid1(VALU_DEP_2)
	v_dual_lshlrev_b32 v76, 9, v77 :: v_dual_bitop2_b32 v78, v57, v78 bitop3:0x54
	v_mad_nc_i64_i32 v[56:57], v24, 24, v[52:53]
	v_and_b32_e32 v76, 0x10000000, v76
	s_delay_alu instid0(VALU_DEP_1) | instskip(NEXT) | instid1(VALU_DEP_3)
	v_or_b32_e32 v75, v75, v76
	v_add_nc_u64_e32 v[76:77], v[56:57], v[2:3]
	ds_store_2addr_b32 v19, v78, v75 offset1:1
	global_load_b32 v80, v[76:77], off offset:8
	s_wait_xcnt 0x0
	v_mad_nc_i64_i32 v[76:77], v22, 24, v[52:53]
	s_delay_alu instid0(VALU_DEP_1)
	v_add_nc_u64_e32 v[78:79], v[76:77], v[2:3]
	global_load_b32 v75, v[78:79], off offset:8
	s_wait_xcnt 0x0
	v_mad_nc_i64_i32 v[78:79], v20, 24, v[52:53]
	global_load_b32 v82, v[78:79], off offset:4
	s_wait_xcnt 0x0
	v_add_nc_u64_e32 v[78:79], v[78:79], v[2:3]
	s_clause 0x3
	global_load_b32 v83, v[78:79], off offset:8
	global_load_b32 v84, v[76:77], off offset:4
	;; [unrolled: 1-line block ×4, first 2 shown]
	s_wait_loadcnt 0x6
	s_wait_xcnt 0x3
	v_and_b32_e32 v78, 0xf0f0f0f, v80
	v_lshrrev_b32_e32 v80, 4, v80
	s_delay_alu instid0(VALU_DEP_1) | instskip(SKIP_4) | instid1(VALU_DEP_1)
	v_and_b32_e32 v80, 0xf0f0f0f, v80
	s_wait_loadcnt 0x5
	s_wait_xcnt 0x2
	v_and_b32_e32 v76, 0xf0f0f0f, v75
	v_lshrrev_b32_e32 v75, 4, v75
	v_and_b32_e32 v75, 0xf0f0f0f, v75
	s_wait_loadcnt 0x4
	s_wait_xcnt 0x0
	v_ashrrev_i32_e32 v54, v2, v82
	v_and_b32_e32 v82, 0xf0f0f0f, v81
	s_delay_alu instid0(VALU_DEP_2) | instskip(SKIP_2) | instid1(VALU_DEP_2)
	v_dual_lshrrev_b32 v81, 4, v81 :: v_dual_lshlrev_b32 v55, 4, v54
	s_wait_loadcnt 0x3
	v_and_b32_e32 v56, 0xf0f0f0f, v83
	v_and_b32_e32 v81, 0xf0f0f0f, v81
	s_delay_alu instid0(VALU_DEP_3) | instskip(NEXT) | instid1(VALU_DEP_1)
	v_and_b32_e32 v55, 16, v55
	v_or_b32_e32 v55, v55, v56
	s_wait_loadcnt 0x2
	v_ashrrev_i32_e32 v56, v2, v84
	s_delay_alu instid0(VALU_DEP_1) | instskip(NEXT) | instid1(VALU_DEP_1)
	v_lshlrev_b32_e32 v57, 4, v56
	v_and_b32_e32 v57, 16, v57
	s_wait_loadcnt 0x1
	s_delay_alu instid0(VALU_DEP_1) | instskip(NEXT) | instid1(VALU_DEP_1)
	v_dual_ashrrev_i32 v76, v2, v85 :: v_dual_bitop2_b32 v57, v57, v76 bitop3:0x54
	v_lshlrev_b32_e32 v77, 4, v76
	s_delay_alu instid0(VALU_DEP_1) | instskip(NEXT) | instid1(VALU_DEP_1)
	v_and_b32_e32 v77, 16, v77
	v_or_b32_e32 v77, v77, v78
	s_wait_loadcnt 0x0
	v_ashrrev_i32_e32 v78, v2, v86
	s_delay_alu instid0(VALU_DEP_1) | instskip(NEXT) | instid1(VALU_DEP_1)
	v_lshlrev_b32_e32 v79, 4, v78
	v_and_b32_e32 v79, 16, v79
	s_delay_alu instid0(VALU_DEP_1) | instskip(SKIP_1) | instid1(VALU_DEP_2)
	v_dual_lshrrev_b32 v82, 4, v83 :: v_dual_bitop2_b32 v79, v79, v82 bitop3:0x54
	v_lshrrev_b32_e32 v83, 12, v54
	v_and_b32_e32 v82, 0xf0f0f0f, v82
	s_delay_alu instid0(VALU_DEP_2) | instskip(NEXT) | instid1(VALU_DEP_1)
	v_and_b32_e32 v83, 16, v83
	v_dual_lshrrev_b32 v83, 12, v56 :: v_dual_bitop2_b32 v82, v83, v82 bitop3:0x54
	s_delay_alu instid0(VALU_DEP_1) | instskip(NEXT) | instid1(VALU_DEP_1)
	v_and_b32_e32 v83, 16, v83
	v_dual_lshrrev_b32 v83, 12, v76 :: v_dual_bitop2_b32 v75, v83, v75 bitop3:0x54
	s_delay_alu instid0(VALU_DEP_1) | instskip(NEXT) | instid1(VALU_DEP_1)
	;; [unrolled: 3-line block ×3, first 2 shown]
	v_and_b32_e32 v83, 16, v83
	v_dual_lshlrev_b32 v83, 11, v54 :: v_dual_bitop2_b32 v81, v83, v81 bitop3:0x54
	s_delay_alu instid0(VALU_DEP_1) | instskip(NEXT) | instid1(VALU_DEP_1)
	v_and_b32_e32 v83, 0x1000, v83
	v_dual_lshlrev_b32 v83, 11, v56 :: v_dual_bitop2_b32 v55, v55, v83 bitop3:0x54
	s_delay_alu instid0(VALU_DEP_1) | instskip(NEXT) | instid1(VALU_DEP_1)
	;; [unrolled: 3-line block ×4, first 2 shown]
	v_and_b32_e32 v83, 0x1000, v83
	v_dual_lshrrev_b32 v83, 5, v54 :: v_dual_bitop2_b32 v79, v79, v83 bitop3:0x54
	s_delay_alu instid0(VALU_DEP_1) | instskip(NEXT) | instid1(VALU_DEP_1)
	v_and_b32_e32 v83, 0x1000, v83
	v_dual_lshrrev_b32 v83, 5, v56 :: v_dual_bitop2_b32 v82, v82, v83 bitop3:0x54
	s_delay_alu instid0(VALU_DEP_1) | instskip(NEXT) | instid1(VALU_DEP_1)
	;; [unrolled: 3-line block ×4, first 2 shown]
	v_and_b32_e32 v83, 0x1000, v83
	v_dual_lshlrev_b32 v83, 18, v54 :: v_dual_bitop2_b32 v81, v81, v83 bitop3:0x54
	s_delay_alu instid0(VALU_DEP_1) | instskip(NEXT) | instid1(VALU_DEP_1)
	v_and_b32_e32 v83, 0x100000, v83
	v_dual_lshlrev_b32 v83, 18, v56 :: v_dual_bitop2_b32 v55, v55, v83 bitop3:0x54
	s_delay_alu instid0(VALU_DEP_1) | instskip(NEXT) | instid1(VALU_DEP_1)
	;; [unrolled: 3-line block ×8, first 2 shown]
	v_and_b32_e32 v83, 0x100000, v83
	v_dual_lshlrev_b32 v83, 25, v54 :: v_dual_bitop2_b32 v81, v81, v83 bitop3:0x54
	v_lshlrev_b32_e32 v54, 9, v54
	s_delay_alu instid0(VALU_DEP_2) | instskip(NEXT) | instid1(VALU_DEP_2)
	v_and_b32_e32 v83, 0x10000000, v83
	v_and_b32_e32 v54, 0x10000000, v54
	s_delay_alu instid0(VALU_DEP_2) | instskip(NEXT) | instid1(VALU_DEP_2)
	v_dual_lshlrev_b32 v83, 25, v56 :: v_dual_bitop2_b32 v55, v55, v83 bitop3:0x54
	v_dual_lshlrev_b32 v56, 9, v56 :: v_dual_bitop2_b32 v54, v82, v54 bitop3:0x54
	s_delay_alu instid0(VALU_DEP_2) | instskip(NEXT) | instid1(VALU_DEP_2)
	v_and_b32_e32 v83, 0x10000000, v83
	v_and_b32_e32 v56, 0x10000000, v56
	s_delay_alu instid0(VALU_DEP_2) | instskip(NEXT) | instid1(VALU_DEP_2)
	v_dual_lshlrev_b32 v83, 25, v76 :: v_dual_bitop2_b32 v57, v57, v83 bitop3:0x54
	v_or_b32_e32 v56, v75, v56
	v_dual_lshlrev_b32 v75, 9, v76 :: v_dual_lshlrev_b32 v76, 9, v78
	ds_store_2addr_b32 v21, v55, v54 offset1:1
	v_and_b32_e32 v83, 0x10000000, v83
	v_mad_nc_i64_i32 v[54:55], v32, 24, v[52:53]
	v_and_b32_e32 v75, 0x10000000, v75
	v_and_b32_e32 v76, 0x10000000, v76
	s_delay_alu instid0(VALU_DEP_4) | instskip(NEXT) | instid1(VALU_DEP_3)
	v_dual_lshlrev_b32 v83, 25, v78 :: v_dual_bitop2_b32 v77, v77, v83 bitop3:0x54
	v_or_b32_e32 v75, v80, v75
	s_delay_alu instid0(VALU_DEP_3)
	v_or_b32_e32 v78, v81, v76
	ds_store_2addr_b32 v23, v57, v56 offset1:1
	v_mad_nc_i64_i32 v[56:57], v34, 24, v[52:53]
	v_and_b32_e32 v83, 0x10000000, v83
	ds_store_2addr_b32 v25, v77, v75 offset1:1
	v_mad_nc_i64_i32 v[76:77], v30, 24, v[52:53]
	v_or_b32_e32 v79, v79, v83
	ds_store_2addr_b32 v27, v79, v78 offset1:1
	v_add_nc_u64_e32 v[78:79], v[54:55], v[2:3]
	s_clause 0x1
	global_load_b32 v75, v[78:79], off offset:8
	global_load_b32 v80, v[56:57], off offset:4
	s_wait_xcnt 0x1
	v_add_nc_u64_e32 v[78:79], v[76:77], v[2:3]
	global_load_b32 v81, v[78:79], off offset:8
	s_wait_xcnt 0x0
	v_mad_nc_i64_i32 v[78:79], v28, 24, v[52:53]
	global_load_b32 v82, v[78:79], off offset:4
	s_wait_xcnt 0x0
	v_add_nc_u64_e32 v[78:79], v[78:79], v[2:3]
	s_clause 0x2
	global_load_b32 v83, v[78:79], off offset:8
	global_load_b32 v84, v[76:77], off offset:4
	;; [unrolled: 1-line block ×3, first 2 shown]
	s_wait_xcnt 0x0
	v_add_nc_u64_e32 v[54:55], v[56:57], v[2:3]
	global_load_b32 v86, v[54:55], off offset:8
	s_wait_loadcnt 0x7
	v_and_b32_e32 v78, 0xf0f0f0f, v75
	v_lshrrev_b32_e32 v75, 4, v75
	s_delay_alu instid0(VALU_DEP_1)
	v_and_b32_e32 v75, 0xf0f0f0f, v75
	s_wait_loadcnt 0x5
	v_and_b32_e32 v76, 0xf0f0f0f, v81
	s_wait_loadcnt 0x4
	s_wait_xcnt 0x0
	v_ashrrev_i32_e32 v54, v2, v82
	s_delay_alu instid0(VALU_DEP_1) | instskip(SKIP_2) | instid1(VALU_DEP_2)
	v_lshlrev_b32_e32 v55, 4, v54
	s_wait_loadcnt 0x3
	v_and_b32_e32 v56, 0xf0f0f0f, v83
	v_dual_lshrrev_b32 v79, 12, v54 :: v_dual_bitop2_b32 v55, 16, v55 bitop3:0x40
	s_delay_alu instid0(VALU_DEP_1) | instskip(SKIP_2) | instid1(VALU_DEP_1)
	v_or_b32_e32 v55, v55, v56
	s_wait_loadcnt 0x2
	v_ashrrev_i32_e32 v56, v2, v84
	v_lshlrev_b32_e32 v57, 4, v56
	s_delay_alu instid0(VALU_DEP_1) | instskip(SKIP_1) | instid1(VALU_DEP_1)
	v_and_b32_e32 v57, 16, v57
	s_wait_loadcnt 0x1
	v_dual_ashrrev_i32 v76, v2, v85 :: v_dual_bitop2_b32 v57, v57, v76 bitop3:0x54
	s_delay_alu instid0(VALU_DEP_1) | instskip(NEXT) | instid1(VALU_DEP_1)
	v_dual_lshlrev_b32 v77, 4, v76 :: v_dual_bitop2_b32 v79, 16, v79 bitop3:0x40
	v_and_b32_e32 v77, 16, v77
	s_delay_alu instid0(VALU_DEP_1) | instskip(NEXT) | instid1(VALU_DEP_1)
	v_dual_lshrrev_b32 v78, 4, v83 :: v_dual_bitop2_b32 v77, v77, v78 bitop3:0x54
	v_and_b32_e32 v78, 0xf0f0f0f, v78
	s_delay_alu instid0(VALU_DEP_1) | instskip(SKIP_1) | instid1(VALU_DEP_2)
	v_dual_lshrrev_b32 v79, 4, v81 :: v_dual_bitop2_b32 v78, v79, v78 bitop3:0x54
	v_lshrrev_b32_e32 v81, 12, v56
	v_and_b32_e32 v79, 0xf0f0f0f, v79
	s_delay_alu instid0(VALU_DEP_2) | instskip(NEXT) | instid1(VALU_DEP_1)
	v_and_b32_e32 v81, 16, v81
	v_dual_lshrrev_b32 v81, 12, v76 :: v_dual_bitop2_b32 v79, v81, v79 bitop3:0x54
	s_delay_alu instid0(VALU_DEP_1) | instskip(NEXT) | instid1(VALU_DEP_1)
	v_and_b32_e32 v81, 16, v81
	v_dual_lshlrev_b32 v81, 11, v54 :: v_dual_bitop2_b32 v75, v81, v75 bitop3:0x54
	s_delay_alu instid0(VALU_DEP_1) | instskip(NEXT) | instid1(VALU_DEP_1)
	v_and_b32_e32 v81, 0x1000, v81
	v_dual_lshlrev_b32 v81, 11, v56 :: v_dual_bitop2_b32 v55, v55, v81 bitop3:0x54
	;; [unrolled: 3-line block ×3, first 2 shown]
	s_delay_alu instid0(VALU_DEP_1) | instskip(NEXT) | instid1(VALU_DEP_1)
	v_and_b32_e32 v81, 0x1000, v81
	v_dual_lshrrev_b32 v81, 5, v54 :: v_dual_bitop2_b32 v77, v77, v81 bitop3:0x54
	s_delay_alu instid0(VALU_DEP_1) | instskip(NEXT) | instid1(VALU_DEP_1)
	v_and_b32_e32 v81, 0x1000, v81
	v_dual_lshrrev_b32 v81, 5, v56 :: v_dual_bitop2_b32 v78, v78, v81 bitop3:0x54
	;; [unrolled: 3-line block ×3, first 2 shown]
	s_delay_alu instid0(VALU_DEP_1) | instskip(NEXT) | instid1(VALU_DEP_1)
	v_and_b32_e32 v81, 0x1000, v81
	v_dual_lshlrev_b32 v81, 18, v54 :: v_dual_bitop2_b32 v75, v75, v81 bitop3:0x54
	s_delay_alu instid0(VALU_DEP_1) | instskip(NEXT) | instid1(VALU_DEP_1)
	v_and_b32_e32 v81, 0x100000, v81
	v_dual_lshlrev_b32 v81, 18, v56 :: v_dual_bitop2_b32 v55, v55, v81 bitop3:0x54
	;; [unrolled: 3-line block ×7, first 2 shown]
	v_lshlrev_b32_e32 v54, 9, v54
	s_delay_alu instid0(VALU_DEP_2) | instskip(NEXT) | instid1(VALU_DEP_2)
	v_and_b32_e32 v81, 0x10000000, v81
	v_and_b32_e32 v54, 0x10000000, v54
	s_delay_alu instid0(VALU_DEP_2) | instskip(NEXT) | instid1(VALU_DEP_2)
	v_dual_lshlrev_b32 v81, 25, v56 :: v_dual_bitop2_b32 v55, v55, v81 bitop3:0x54
	v_dual_lshlrev_b32 v56, 9, v56 :: v_dual_bitop2_b32 v54, v78, v54 bitop3:0x54
	s_delay_alu instid0(VALU_DEP_2) | instskip(NEXT) | instid1(VALU_DEP_2)
	v_and_b32_e32 v81, 0x10000000, v81
	v_and_b32_e32 v56, 0x10000000, v56
	s_delay_alu instid0(VALU_DEP_2)
	v_dual_lshlrev_b32 v81, 25, v76 :: v_dual_bitop2_b32 v57, v57, v81 bitop3:0x54
	v_lshlrev_b32_e32 v76, 9, v76
	ds_store_2addr_b32 v31, v55, v54 offset1:1
	v_mad_nc_i64_i32 v[54:55], v42, 24, v[52:53]
	v_or_b32_e32 v56, v79, v56
	v_and_b32_e32 v81, 0x10000000, v81
	v_and_b32_e32 v76, 0x10000000, v76
	ds_store_2addr_b32 v33, v57, v56 offset1:1
	v_or_b32_e32 v77, v77, v81
	v_or_b32_e32 v75, v75, v76
	v_mad_nc_i64_i32 v[56:57], v40, 24, v[52:53]
	ds_store_2addr_b32 v35, v77, v75 offset1:1
	v_add_nc_u64_e32 v[76:77], v[54:55], v[2:3]
	global_load_b32 v75, v[76:77], off offset:8
	s_wait_xcnt 0x0
	v_add_nc_u64_e32 v[76:77], v[56:57], v[2:3]
	global_load_b32 v81, v[76:77], off offset:8
	s_wait_xcnt 0x0
	v_mad_nc_i64_i32 v[76:77], v38, 24, v[52:53]
	v_mad_nc_i64_i32 v[52:53], v36, 24, v[52:53]
	s_delay_alu instid0(VALU_DEP_2)
	v_add_nc_u64_e32 v[78:79], v[76:77], v[2:3]
	s_clause 0x1
	global_load_b32 v78, v[78:79], off offset:8
	global_load_b32 v79, v[52:53], off offset:4
	s_wait_xcnt 0x0
	v_add_nc_u64_e32 v[52:53], v[52:53], v[2:3]
	s_clause 0x3
	global_load_b32 v82, v[52:53], off offset:8
	global_load_b32 v83, v[76:77], off offset:4
	;; [unrolled: 1-line block ×4, first 2 shown]
	s_wait_loadcnt 0x8
	s_wait_xcnt 0x3
	v_dual_ashrrev_i32 v52, v2, v80 :: v_dual_lshrrev_b32 v53, 4, v86
	s_wait_xcnt 0x1
	s_delay_alu instid0(VALU_DEP_1) | instskip(NEXT) | instid1(VALU_DEP_2)
	v_dual_lshlrev_b32 v55, 4, v52 :: v_dual_lshrrev_b32 v54, 12, v52
	v_and_b32_e32 v53, 0xf0f0f0f, v53
	s_delay_alu instid0(VALU_DEP_2) | instskip(NEXT) | instid1(VALU_DEP_3)
	v_and_b32_e32 v55, 16, v55
	v_and_b32_e32 v54, 16, v54
	s_delay_alu instid0(VALU_DEP_1) | instskip(SKIP_1) | instid1(VALU_DEP_1)
	v_or_b32_e32 v53, v54, v53
	v_and_b32_e32 v54, 0xf0f0f0f, v86
	v_dual_lshrrev_b32 v55, 5, v52 :: v_dual_bitop2_b32 v54, v55, v54 bitop3:0x54
	s_delay_alu instid0(VALU_DEP_1) | instskip(NEXT) | instid1(VALU_DEP_1)
	v_and_b32_e32 v55, 0x1000, v55
	v_dual_lshlrev_b32 v55, 11, v52 :: v_dual_bitop2_b32 v53, v53, v55 bitop3:0x54
	s_delay_alu instid0(VALU_DEP_1) | instskip(NEXT) | instid1(VALU_DEP_1)
	v_and_b32_e32 v55, 0x1000, v55
	v_dual_lshlrev_b32 v55, 2, v52 :: v_dual_bitop2_b32 v54, v54, v55 bitop3:0x54
	;; [unrolled: 3-line block ×4, first 2 shown]
	v_lshlrev_b32_e32 v52, 25, v52
	s_delay_alu instid0(VALU_DEP_2) | instskip(NEXT) | instid1(VALU_DEP_2)
	v_and_b32_e32 v55, 0x10000000, v55
	v_and_b32_e32 v52, 0x10000000, v52
	s_wait_loadcnt 0x3
	s_wait_xcnt 0x0
	s_delay_alu instid0(VALU_DEP_2) | instskip(SKIP_1) | instid1(VALU_DEP_2)
	v_dual_lshrrev_b32 v56, 4, v82 :: v_dual_bitop2_b32 v53, v53, v55 bitop3:0x54
	v_ashrrev_i32_e32 v55, v2, v79
	v_and_b32_e32 v56, 0xf0f0f0f, v56
	s_delay_alu instid0(VALU_DEP_2) | instskip(SKIP_1) | instid1(VALU_DEP_2)
	v_dual_lshrrev_b32 v57, 12, v55 :: v_dual_lshlrev_b32 v76, 4, v55
	v_dual_lshlrev_b32 v54, 11, v55 :: v_dual_bitop2_b32 v52, v54, v52 bitop3:0x54
	v_and_b32_e32 v57, 16, v57
	s_delay_alu instid0(VALU_DEP_3) | instskip(NEXT) | instid1(VALU_DEP_3)
	v_and_b32_e32 v76, 16, v76
	v_and_b32_e32 v54, 0x1000, v54
	s_delay_alu instid0(VALU_DEP_3) | instskip(SKIP_1) | instid1(VALU_DEP_1)
	v_or_b32_e32 v56, v57, v56
	v_and_b32_e32 v57, 0xf0f0f0f, v82
	v_dual_lshrrev_b32 v76, 5, v55 :: v_dual_bitop2_b32 v57, v76, v57 bitop3:0x54
	s_delay_alu instid0(VALU_DEP_1) | instskip(NEXT) | instid1(VALU_DEP_2)
	v_or_b32_e32 v54, v57, v54
	v_and_b32_e32 v76, 0x1000, v76
	s_delay_alu instid0(VALU_DEP_1) | instskip(NEXT) | instid1(VALU_DEP_1)
	v_dual_lshlrev_b32 v57, 2, v55 :: v_dual_bitop2_b32 v56, v56, v76 bitop3:0x54
	v_and_b32_e32 v57, 0x100000, v57
	s_delay_alu instid0(VALU_DEP_1) | instskip(NEXT) | instid1(VALU_DEP_1)
	v_dual_lshlrev_b32 v57, 18, v55 :: v_dual_bitop2_b32 v56, v56, v57 bitop3:0x54
	v_and_b32_e32 v57, 0x100000, v57
	s_delay_alu instid0(VALU_DEP_1)
	v_dual_lshlrev_b32 v57, 9, v55 :: v_dual_bitop2_b32 v54, v54, v57 bitop3:0x54
	v_lshlrev_b32_e32 v55, 25, v55
	ds_store_2addr_b32 v37, v52, v53 offset1:1
	v_mad_nc_u64_u32 v[52:53], v4, 24, s[18:19]
	s_lshl_b32 s18, s14, 5
	v_and_b32_e32 v57, 0x10000000, v57
	v_and_b32_e32 v55, 0x10000000, v55
	s_cmp_lt_i32 s18, s5
	s_delay_alu instid0(VALU_DEP_2) | instskip(NEXT) | instid1(VALU_DEP_2)
	v_or_b32_e32 v56, v56, v57
	v_or_b32_e32 v54, v54, v55
	ds_store_2addr_b32 v39, v54, v56 offset1:1
	v_mad_nc_i64_i32 v[54:55], v44, 24, v[52:53]
	global_load_b32 v56, v[54:55], off
	s_wait_xcnt 0x0
	v_mad_nc_i64_i32 v[54:55], v46, 24, v[52:53]
	global_load_b32 v57, v[54:55], off
	s_wait_xcnt 0x0
	v_mad_nc_i64_i32 v[54:55], v48, 24, v[52:53]
	v_mad_nc_i64_i32 v[52:53], v50, 24, v[52:53]
	s_clause 0x1
	global_load_b32 v54, v[54:55], off
	global_load_b32 v52, v[52:53], off
	s_wait_loadcnt 0x6
	s_wait_xcnt 0x0
	v_dual_ashrrev_i32 v53, v2, v83 :: v_dual_lshrrev_b32 v55, 4, v78
	s_delay_alu instid0(VALU_DEP_1) | instskip(NEXT) | instid1(VALU_DEP_2)
	v_lshrrev_b32_e32 v76, 12, v53
	v_and_b32_e32 v55, 0xf0f0f0f, v55
	s_delay_alu instid0(VALU_DEP_2) | instskip(NEXT) | instid1(VALU_DEP_1)
	v_dual_lshlrev_b32 v77, 4, v53 :: v_dual_bitop2_b32 v76, 16, v76 bitop3:0x40
	v_and_b32_e32 v77, 16, v77
	s_delay_alu instid0(VALU_DEP_2) | instskip(SKIP_1) | instid1(VALU_DEP_1)
	v_or_b32_e32 v55, v76, v55
	v_and_b32_e32 v76, 0xf0f0f0f, v78
	v_dual_lshrrev_b32 v78, 4, v81 :: v_dual_bitop2_b32 v76, v77, v76 bitop3:0x54
	v_lshrrev_b32_e32 v77, 5, v53
	s_delay_alu instid0(VALU_DEP_2) | instskip(NEXT) | instid1(VALU_DEP_2)
	v_and_b32_e32 v78, 0xf0f0f0f, v78
	v_and_b32_e32 v77, 0x1000, v77
	s_delay_alu instid0(VALU_DEP_1) | instskip(SKIP_1) | instid1(VALU_DEP_1)
	v_or_b32_e32 v55, v55, v77
	v_lshlrev_b32_e32 v77, 11, v53
	v_and_b32_e32 v77, 0x1000, v77
	s_delay_alu instid0(VALU_DEP_1) | instskip(SKIP_1) | instid1(VALU_DEP_1)
	v_or_b32_e32 v76, v76, v77
	v_lshlrev_b32_e32 v77, 2, v53
	;; [unrolled: 4-line block ×3, first 2 shown]
	v_and_b32_e32 v77, 0x100000, v77
	s_delay_alu instid0(VALU_DEP_1) | instskip(SKIP_1) | instid1(VALU_DEP_1)
	v_or_b32_e32 v76, v76, v77
	v_dual_lshlrev_b32 v77, 9, v53 :: v_dual_lshlrev_b32 v53, 25, v53
	v_and_b32_e32 v77, 0x10000000, v77
	s_delay_alu instid0(VALU_DEP_2) | instskip(NEXT) | instid1(VALU_DEP_2)
	v_and_b32_e32 v53, 0x10000000, v53
	v_or_b32_e32 v55, v55, v77
	s_wait_loadcnt 0x4
	v_ashrrev_i32_e32 v77, v2, v85
	s_delay_alu instid0(VALU_DEP_1) | instskip(NEXT) | instid1(VALU_DEP_1)
	v_dual_lshrrev_b32 v79, 12, v77 :: v_dual_lshlrev_b32 v80, 4, v77
	v_and_b32_e32 v79, 16, v79
	s_delay_alu instid0(VALU_DEP_2) | instskip(NEXT) | instid1(VALU_DEP_2)
	v_and_b32_e32 v80, 16, v80
	v_or_b32_e32 v78, v79, v78
	v_and_b32_e32 v79, 0xf0f0f0f, v81
	v_lshrrev_b32_e32 v81, 4, v75
	v_and_b32_e32 v75, 0xf0f0f0f, v75
	s_delay_alu instid0(VALU_DEP_3) | instskip(NEXT) | instid1(VALU_DEP_3)
	v_dual_lshrrev_b32 v80, 5, v77 :: v_dual_bitop2_b32 v79, v80, v79 bitop3:0x54
	v_and_b32_e32 v81, 0xf0f0f0f, v81
	s_delay_alu instid0(VALU_DEP_2) | instskip(NEXT) | instid1(VALU_DEP_1)
	v_and_b32_e32 v80, 0x1000, v80
	v_dual_lshlrev_b32 v80, 11, v77 :: v_dual_bitop2_b32 v78, v78, v80 bitop3:0x54
	s_delay_alu instid0(VALU_DEP_1) | instskip(NEXT) | instid1(VALU_DEP_1)
	v_and_b32_e32 v80, 0x1000, v80
	v_dual_lshlrev_b32 v80, 2, v77 :: v_dual_bitop2_b32 v79, v79, v80 bitop3:0x54
	s_delay_alu instid0(VALU_DEP_1) | instskip(NEXT) | instid1(VALU_DEP_1)
	;; [unrolled: 3-line block ×3, first 2 shown]
	v_and_b32_e32 v80, 0x100000, v80
	v_or_b32_e32 v79, v79, v80
	v_dual_ashrrev_i32 v80, v2, v84 :: v_dual_bitop2_b32 v53, v76, v53 bitop3:0x54
	v_dual_lshlrev_b32 v76, 9, v77 :: v_dual_lshlrev_b32 v77, 25, v77
	s_delay_alu instid0(VALU_DEP_2) | instskip(NEXT) | instid1(VALU_DEP_2)
	v_lshrrev_b32_e32 v82, 12, v80
	v_and_b32_e32 v76, 0x10000000, v76
	s_delay_alu instid0(VALU_DEP_3) | instskip(NEXT) | instid1(VALU_DEP_3)
	v_and_b32_e32 v77, 0x10000000, v77
	v_and_b32_e32 v82, 16, v82
	s_delay_alu instid0(VALU_DEP_3) | instskip(NEXT) | instid1(VALU_DEP_2)
	v_or_b32_e32 v76, v78, v76
	v_dual_lshlrev_b32 v78, 9, v80 :: v_dual_bitop2_b32 v81, v82, v81 bitop3:0x54
	s_delay_alu instid0(VALU_DEP_4) | instskip(SKIP_1) | instid1(VALU_DEP_3)
	v_dual_lshlrev_b32 v82, 4, v80 :: v_dual_bitop2_b32 v77, v79, v77 bitop3:0x54
	v_lshlrev_b32_e32 v79, 25, v80
	v_and_b32_e32 v78, 0x10000000, v78
	s_delay_alu instid0(VALU_DEP_3) | instskip(NEXT) | instid1(VALU_DEP_3)
	v_and_b32_e32 v82, 16, v82
	v_and_b32_e32 v79, 0x10000000, v79
	s_delay_alu instid0(VALU_DEP_2) | instskip(NEXT) | instid1(VALU_DEP_1)
	v_dual_lshrrev_b32 v82, 5, v80 :: v_dual_bitop2_b32 v75, v82, v75 bitop3:0x54
	v_and_b32_e32 v82, 0x1000, v82
	s_delay_alu instid0(VALU_DEP_1) | instskip(NEXT) | instid1(VALU_DEP_1)
	v_dual_lshlrev_b32 v82, 11, v80 :: v_dual_bitop2_b32 v81, v81, v82 bitop3:0x54
	v_and_b32_e32 v82, 0x1000, v82
	s_delay_alu instid0(VALU_DEP_1) | instskip(NEXT) | instid1(VALU_DEP_1)
	v_dual_lshlrev_b32 v82, 2, v80 :: v_dual_bitop2_b32 v75, v75, v82 bitop3:0x54
	;; [unrolled: 3-line block ×3, first 2 shown]
	v_or_b32_e32 v78, v81, v78
	s_delay_alu instid0(VALU_DEP_2) | instskip(NEXT) | instid1(VALU_DEP_1)
	v_and_b32_e32 v82, 0x100000, v82
	v_or_b32_e32 v75, v75, v82
	s_delay_alu instid0(VALU_DEP_1)
	v_or_b32_e32 v75, v75, v79
	ds_store_2addr_b32 v41, v53, v55 offset1:1
	ds_store_2addr_b32 v43, v77, v76 offset1:1
	;; [unrolled: 1-line block ×3, first 2 shown]
	s_wait_loadcnt 0x3
	ds_store_b32 v47, v56
	s_wait_loadcnt 0x2
	ds_store_b32 v49, v57
	;; [unrolled: 2-line block ×4, first 2 shown]
	s_cbranch_scc0 .LBB204_4
; %bb.6:                                ;   in Loop: Header=BB204_5 Depth=1
	v_add_nc_u32_e32 v52, s14, v29
	s_delay_alu instid0(VALU_DEP_1) | instskip(SKIP_1) | instid1(SALU_CYCLE_1)
	v_cmp_gt_i32_e64 s1, s6, v52
	s_and_b32 s19, s0, s1
	s_and_saveexec_b32 s1, s19
	s_cbranch_execz .LBB204_8
; %bb.7:                                ;   in Loop: Header=BB204_5 Depth=1
	v_add_nc_u32_e32 v52, v8, v52
	s_delay_alu instid0(VALU_DEP_1)
	v_mad_nc_i64_i32 v[52:53], v52, 36, v[10:11]
	global_load_b32 v52, v[52:53], off offset:4
	s_wait_loadcnt 0x0
	ds_store_b32 v61, v52
.LBB204_8:                              ;   in Loop: Header=BB204_5 Depth=1
	s_or_b32 exec_lo, exec_lo, s1
	v_add_nc_u32_e32 v52, s14, v5
	s_delay_alu instid0(VALU_DEP_1) | instskip(SKIP_1) | instid1(SALU_CYCLE_1)
	v_cmp_gt_i32_e64 s1, s6, v52
	s_and_b32 s19, s8, s1
	s_and_saveexec_b32 s1, s19
	s_cbranch_execz .LBB204_10
; %bb.9:                                ;   in Loop: Header=BB204_5 Depth=1
	v_add_nc_u32_e32 v53, v8, v52
	s_delay_alu instid0(VALU_DEP_1)
	v_mad_nc_i64_i32 v[54:55], v53, 36, s[2:3]
	global_load_b32 v53, v[54:55], off
	s_wait_loadcnt 0x0
	ds_store_b32 v62, v53
.LBB204_10:                             ;   in Loop: Header=BB204_5 Depth=1
	s_or_b32 exec_lo, exec_lo, s1
	v_dual_mov_b32 v53, v59 :: v_dual_mov_b32 v55, v60
	v_mul_u32_u24_e32 v54, 0x104, v5
	v_dual_mov_b32 v56, v71 :: v_dual_mov_b32 v57, v68
	v_dual_mov_b32 v75, v66 :: v_dual_mov_b32 v76, v64
	s_mov_b32 s1, -4
	s_wait_dscnt 0x0
	s_barrier_signal -1
	s_barrier_wait -1
.LBB204_11:                             ;   Parent Loop BB204_5 Depth=1
                                        ; =>  This Inner Loop Header: Depth=2
	ds_load_2addr_b32 v[78:79], v53 offset0:3 offset1:4
	ds_load_2addr_b32 v[80:81], v53 offset0:5 offset1:6
	ds_load_2addr_b32 v[82:83], v54 offset1:1
	ds_load_2addr_b32 v[84:85], v53 offset0:1 offset1:2
	ds_load_2addr_b32 v[86:87], v53 offset1:7
	v_add_nc_u32_e32 v77, 0x2080, v54
	v_add_nc_u32_e32 v96, 0x2088, v54
	;; [unrolled: 1-line block ×4, first 2 shown]
	ds_load_b32 v118, v56
	ds_load_b32 v119, v57
	;; [unrolled: 1-line block ×4, first 2 shown]
	v_add_nc_u32_e32 v102, 0x4100, v54
	v_add_nc_u32_e32 v104, 0x4108, v54
	;; [unrolled: 1-line block ×8, first 2 shown]
	ds_load_b32 v122, v55
	ds_load_2addr_b32 v[88:89], v54 offset0:2 offset1:3
	ds_load_2addr_b32 v[90:91], v54 offset0:4 offset1:5
	;; [unrolled: 1-line block ×3, first 2 shown]
	ds_load_2addr_b32 v[94:95], v77 offset1:1
	ds_load_2addr_b32 v[96:97], v96 offset1:1
	;; [unrolled: 1-line block ×12, first 2 shown]
	s_wait_dscnt 0x18
	v_dual_add_nc_u32 v57, 4, v57 :: v_dual_lshlrev_b32 v77, 8, v79
	v_dual_lshlrev_b32 v127, 8, v78 :: v_dual_lshlrev_b32 v129, 24, v79
	v_lshlrev_b32_e32 v130, 16, v79
	s_wait_dscnt 0x14
	v_dual_lshlrev_b32 v128, 8, v87 :: v_dual_lshlrev_b32 v131, 24, v84
	v_lshlrev_b32_e32 v132, 16, v84
	v_dual_lshlrev_b32 v133, 24, v80 :: v_dual_lshlrev_b32 v134, 16, v80
	v_dual_lshlrev_b32 v141, 24, v87 :: v_dual_lshlrev_b32 v142, 16, v87
	;; [unrolled: 1-line block ×4, first 2 shown]
	s_wait_dscnt 0xf
	v_pk_mul_f16 v118, v122, v118
	v_pk_mul_f16 v119, v122, v119
	;; [unrolled: 1-line block ×3, first 2 shown]
	v_dot4_i32_iu8 v82, v86, v82, 0 neg_lo:[1,1,0]
	v_dual_lshlrev_b32 v135, 24, v85 :: v_dual_lshlrev_b32 v136, 16, v85
	v_dual_lshlrev_b32 v137, 24, v81 :: v_dual_lshlrev_b32 v138, 16, v81
	;; [unrolled: 1-line block ×3, first 2 shown]
	v_perm_b32 v144, v81, v85, 0xc0c0703
	v_perm_b32 v145, v87, v78, 0x7030c0c
	v_pk_mul_f16 v121, v122, v121
	s_wait_dscnt 0xb
	v_dot4_i32_iu8 v94, v86, v94, 0 neg_lo:[1,1,0]
	s_wait_dscnt 0x7
	v_dot4_i32_iu8 v102, v86, v102, 0 neg_lo:[1,1,0]
	v_perm_b32 v122, v130, v129, 0xc0c0703
	v_perm_b32 v146, v79, v77, 0x7030c0c
	;; [unrolled: 1-line block ×6, first 2 shown]
	s_wait_dscnt 0x3
	v_perm_b32 v134, v86, v111, 0xc0c0501
	v_perm_b32 v153, v86, v111, 0xc0c0703
	;; [unrolled: 1-line block ×9, first 2 shown]
	s_wait_dscnt 0x2
	v_perm_b32 v110, v113, v112, 0x5010c0c
	v_perm_b32 v143, v80, v84, 0x7030c0c
	;; [unrolled: 1-line block ×15, first 2 shown]
	s_wait_dscnt 0x1
	v_perm_b32 v113, v115, v114, 0xc0c0602
	s_wait_dscnt 0x0
	v_perm_b32 v124, v117, v116, 0x6020c0c
	v_perm_b32 v125, v126, v125, 0xc0c0703
	;; [unrolled: 1-line block ×7, first 2 shown]
	v_or_b32_e32 v139, v145, v144
	v_perm_b32 v141, v115, v114, 0xc0c0703
	v_perm_b32 v144, v117, v116, 0x7030c0c
	;; [unrolled: 1-line block ×6, first 2 shown]
	v_cvt_f32_f16_e32 v78, v120
	v_dual_lshrrev_b32 v120, 16, v120 :: v_dual_bitop2_b32 v122, v146, v122 bitop3:0x54
	v_or_b32_e32 v87, v87, v111
	v_or_b32_e32 v111, v132, v130
	;; [unrolled: 1-line block ×6, first 2 shown]
	v_dot4_i32_iu8 v82, v122, v83, v82 neg_lo:[1,1,0]
	v_dot4_i32_iu8 v83, v122, v95, v94 neg_lo:[1,1,0]
	;; [unrolled: 1-line block ×3, first 2 shown]
	v_or_b32_e32 v95, v117, v116
	v_dot4_i32_iu8 v102, v111, v110, 0 neg_lo:[1,1,0]
	v_dot4_i32_iu8 v77, v77, v86, 0 neg_lo:[1,1,0]
	v_dual_add_nc_u32 v55, 4, v55 :: v_dual_bitop2_b32 v80, v80, v148 bitop3:0x54
	v_dual_add_nc_u32 v56, 4, v56 :: v_dual_bitop2_b32 v85, v85, v149 bitop3:0x54
	s_delay_alu instid0(VALU_DEP_4) | instskip(SKIP_4) | instid1(VALU_DEP_4)
	v_dot4_i32_iu8 v86, v95, v114, v102 neg_lo:[1,1,0]
	v_or_b32_e32 v84, v84, v147
	v_or_b32_e32 v130, v156, v153
	;; [unrolled: 1-line block ×3, first 2 shown]
	v_dual_add_nc_u32 v53, 32, v53 :: v_dual_bitop2_b32 v81, v81, v150 bitop3:0x54
	v_dot4_i32_iu8 v82, v84, v88, v82 neg_lo:[1,1,0]
	v_dot4_i32_iu8 v83, v84, v96, v83 neg_lo:[1,1,0]
	;; [unrolled: 1-line block ×3, first 2 shown]
	v_or_b32_e32 v129, v131, v129
	v_or_b32_e32 v131, v133, v155
	v_dot4_i32_iu8 v82, v80, v89, v82 neg_lo:[1,1,0]
	v_dot4_i32_iu8 v83, v80, v97, v83 neg_lo:[1,1,0]
	;; [unrolled: 1-line block ×3, first 2 shown]
	v_or_b32_e32 v112, v124, v113
	v_or_b32_e32 v113, v126, v125
	;; [unrolled: 1-line block ×3, first 2 shown]
	v_dot4_i32_iu8 v88, v132, v130, 0 neg_lo:[1,1,0]
	v_dot4_i32_iu8 v82, v85, v90, v82 neg_lo:[1,1,0]
	;; [unrolled: 1-line block ×4, first 2 shown]
	v_cvt_f32_f16_e32 v79, v121
	v_dual_lshrrev_b32 v121, 16, v121 :: v_dual_bitop2_b32 v136, v152, v151 bitop3:0x54
	v_dual_add_nc_u32 v54, 32, v54 :: v_dual_bitop2_b32 v123, v128, v127 bitop3:0x54
	v_or_b32_e32 v124, v137, v135
	v_dot4_i32_iu8 v84, v129, v131, 0 neg_lo:[1,1,0]
	v_dot4_i32_iu8 v85, v139, v125, v88 neg_lo:[1,1,0]
	;; [unrolled: 1-line block ×7, first 2 shown]
	v_add_nc_u32_e32 v85, v86, v85
	v_dot4_i32_iu8 v82, v136, v92, v82 neg_lo:[1,1,0]
	v_dot4_i32_iu8 v83, v136, v100, v83 neg_lo:[1,1,0]
	;; [unrolled: 1-line block ×3, first 2 shown]
	v_cvt_f32_f16_e32 v81, v121
	v_add3_u32 v77, v84, v77, v85
	v_dot4_i32_iu8 v82, v87, v93, v82 neg_lo:[1,1,0]
	v_dot4_i32_iu8 v84, v87, v101, v83 neg_lo:[1,1,0]
	;; [unrolled: 1-line block ×3, first 2 shown]
	v_cvt_f32_f16_e32 v80, v120
	v_cvt_f32_i32_e32 v83, v77
	v_cvt_f32_i32_e32 v77, v82
	;; [unrolled: 1-line block ×4, first 2 shown]
	v_dual_add_nc_u32 v76, 4, v76 :: v_dual_add_nc_u32 v75, 4, v75
	s_delay_alu instid0(VALU_DEP_4) | instskip(NEXT) | instid1(VALU_DEP_4)
	v_fma_mix_f32 v77, v118, v77, v118 op_sel:[0,0,1] op_sel_hi:[1,0,1]
	v_fma_mix_f32 v84, v119, v84, v119 op_sel:[0,0,1] op_sel_hi:[1,0,1]
	s_delay_alu instid0(VALU_DEP_4) | instskip(SKIP_1) | instid1(VALU_DEP_3)
	v_pk_fma_f32 v[78:79], v[78:79], v[82:83], v[80:81]
	s_add_co_i32 s1, s1, 4
	v_add_f32_e32 v73, v73, v77
	s_delay_alu instid0(VALU_DEP_3) | instskip(NEXT) | instid1(VALU_DEP_3)
	v_add_f32_e32 v69, v69, v84
	v_pk_add_f32 v[6:7], v[6:7], v[78:79]
	s_cmp_lt_u32 s1, 12
	s_cbranch_scc1 .LBB204_11
; %bb.12:                               ;   in Loop: Header=BB204_5 Depth=1
	s_bitset1_b32 s18, 7
	s_delay_alu instid0(SALU_CYCLE_1)
	s_cmp_ge_i32 s18, s5
	s_barrier_signal -1
	s_barrier_wait -1
	s_cbranch_scc1 .LBB204_4
; %bb.13:                               ;   in Loop: Header=BB204_5 Depth=1
	v_add_nc_u32_e32 v53, s14, v63
	s_delay_alu instid0(VALU_DEP_1) | instskip(SKIP_1) | instid1(SALU_CYCLE_1)
	v_cmp_gt_i32_e64 s1, s6, v53
	s_and_b32 s18, s0, s1
	s_and_saveexec_b32 s1, s18
	s_cbranch_execz .LBB204_15
; %bb.14:                               ;   in Loop: Header=BB204_5 Depth=1
	v_add_nc_u32_e32 v53, v8, v53
	s_delay_alu instid0(VALU_DEP_1)
	v_mad_nc_i64_i32 v[54:55], v53, 36, v[10:11]
	global_load_b32 v53, v[54:55], off offset:4
	s_wait_loadcnt 0x0
	ds_store_b32 v61, v53
.LBB204_15:                             ;   in Loop: Header=BB204_5 Depth=1
	s_or_b32 exec_lo, exec_lo, s1
	s_and_saveexec_b32 s18, vcc_lo
	s_cbranch_execz .LBB204_18
; %bb.16:                               ;   in Loop: Header=BB204_5 Depth=1
	v_or_b32_e32 v53, 4, v52
	s_delay_alu instid0(VALU_DEP_1) | instskip(SKIP_1) | instid1(SALU_CYCLE_1)
	v_cmp_gt_i32_e64 s1, s6, v53
	s_and_b32 s1, s0, s1
	s_and_b32 exec_lo, exec_lo, s1
	s_cbranch_execz .LBB204_18
; %bb.17:                               ;   in Loop: Header=BB204_5 Depth=1
	v_ashrrev_i32_e32 v53, 31, v52
	s_delay_alu instid0(VALU_DEP_1) | instskip(NEXT) | instid1(VALU_DEP_1)
	v_add_nc_u64_e32 v[52:53], v[8:9], v[52:53]
	v_mad_nc_u64_u32 v[54:55], v52, 36, s[2:3]
	s_delay_alu instid0(VALU_DEP_1)
	v_mad_i32_i24 v55, v53, 36, v55
	global_load_b32 v52, v[54:55], off offset:144
	s_wait_loadcnt 0x0
	ds_store_b32 v62, v52
.LBB204_18:                             ;   in Loop: Header=BB204_5 Depth=1
	s_or_b32 exec_lo, exec_lo, s18
	v_dual_mov_b32 v52, v60 :: v_dual_mov_b32 v53, v59
	v_dual_mov_b32 v54, v74 :: v_dual_mov_b32 v55, v72
	;; [unrolled: 1-line block ×3, first 2 shown]
	v_mov_b32_e32 v75, v65
	s_mov_b32 s1, 12
	s_wait_dscnt 0x0
	s_barrier_signal -1
	s_barrier_wait -1
.LBB204_19:                             ;   Parent Loop BB204_5 Depth=1
                                        ; =>  This Inner Loop Header: Depth=2
	ds_load_2addr_b32 v[76:77], v53 offset1:7
	ds_load_2addr_b32 v[78:79], v53 offset0:3 offset1:4
	ds_load_2addr_b32 v[80:81], v53 offset0:5 offset1:6
	;; [unrolled: 1-line block ×3, first 2 shown]
	ds_load_b32 v116, v52
	ds_load_b32 v117, v55
	;; [unrolled: 1-line block ×5, first 2 shown]
	v_add_nc_u32_e32 v92, 0x2080, v54
	v_add_nc_u32_e32 v94, 0x2088, v54
	;; [unrolled: 1-line block ×12, first 2 shown]
	ds_load_2addr_b32 v[84:85], v54 offset1:1
	ds_load_2addr_b32 v[86:87], v54 offset0:2 offset1:3
	ds_load_2addr_b32 v[88:89], v54 offset0:4 offset1:5
	;; [unrolled: 1-line block ×3, first 2 shown]
	ds_load_2addr_b32 v[92:93], v92 offset1:1
	ds_load_2addr_b32 v[94:95], v94 offset1:1
	;; [unrolled: 1-line block ×12, first 2 shown]
	s_wait_dscnt 0x17
	v_dual_add_nc_u32 v56, 4, v56 :: v_dual_lshlrev_b32 v121, 8, v79
	v_dual_lshlrev_b32 v128, 24, v79 :: v_dual_lshlrev_b32 v129, 16, v79
	s_wait_dscnt 0x15
	v_dual_lshlrev_b32 v122, 8, v82 :: v_dual_lshlrev_b32 v123, 8, v80
	s_wait_dscnt 0x13
	v_pk_mul_f16 v117, v116, v117
	s_wait_dscnt 0x12
	v_pk_mul_f16 v118, v116, v118
	;; [unrolled: 2-line block ×3, first 2 shown]
	v_dual_lshlrev_b32 v130, 24, v82 :: v_dual_lshlrev_b32 v131, 16, v82
	s_wait_dscnt 0x10
	v_pk_mul_f16 v116, v116, v120
	v_perm_b32 v120, v129, v128, 0xc0c0703
	v_perm_b32 v145, v79, v121, 0x7030c0c
	v_dual_lshlrev_b32 v132, 24, v80 :: v_dual_lshlrev_b32 v133, 16, v80
	s_wait_dscnt 0xf
	v_dot4_i32_iu8 v84, v76, v84, 0 neg_lo:[1,1,0]
	v_perm_b32 v142, v80, v82, 0x7030c0c
	s_wait_dscnt 0xb
	v_dot4_i32_iu8 v92, v76, v92, 0 neg_lo:[1,1,0]
	s_wait_dscnt 0x7
	v_dot4_i32_iu8 v100, v76, v100, 0 neg_lo:[1,1,0]
	v_perm_b32 v146, v131, v130, 0xc0c0703
	v_perm_b32 v82, v82, v122, 0x7030c0c
	s_wait_dscnt 0x3
	v_perm_b32 v153, v76, v109, 0xc0c0501
	v_perm_b32 v155, v76, v109, 0xc0c0703
	;; [unrolled: 1-line block ×4, first 2 shown]
	v_cvt_f32_f16_e32 v76, v119
	v_dual_lshrrev_b32 v119, 16, v119 :: v_dual_bitop2_b32 v120, v145, v120 bitop3:0x54
	v_dual_lshlrev_b32 v124, 8, v83 :: v_dual_lshlrev_b32 v125, 8, v81
	v_dual_lshlrev_b32 v126, 8, v78 :: v_dual_lshlrev_b32 v127, 8, v77
	;; [unrolled: 1-line block ×6, first 2 shown]
	v_perm_b32 v147, v133, v132, 0xc0c0703
	v_perm_b32 v80, v80, v123, 0x7030c0c
	;; [unrolled: 1-line block ×4, first 2 shown]
	s_wait_dscnt 0x2
	v_perm_b32 v133, v111, v110, 0x5010c0c
	v_perm_b32 v154, v111, v110, 0x7030c0c
	;; [unrolled: 1-line block ×3, first 2 shown]
	v_dual_add_nc_u32 v55, 4, v55 :: v_dual_bitop2_b32 v82, v82, v146 bitop3:0x54
	v_dot4_i32_iu8 v84, v120, v85, v84 neg_lo:[1,1,0]
	v_dot4_i32_iu8 v85, v120, v93, v92 neg_lo:[1,1,0]
	v_dot4_i32_iu8 v92, v120, v101, v100 neg_lo:[1,1,0]
	v_perm_b32 v143, v81, v83, 0xc0c0703
	v_perm_b32 v144, v77, v78, 0x7030c0c
	;; [unrolled: 1-line block ×15, first 2 shown]
	s_wait_dscnt 0x1
	v_perm_b32 v111, v113, v112, 0xc0c0602
	s_wait_dscnt 0x0
	v_perm_b32 v122, v115, v114, 0x6020c0c
	v_perm_b32 v123, v125, v124, 0xc0c0703
	;; [unrolled: 1-line block ×13, first 2 shown]
	v_dual_add_nc_u32 v54, 32, v54 :: v_dual_bitop2_b32 v80, v80, v147 bitop3:0x54
	v_or_b32_e32 v129, v131, v129
	v_or_b32_e32 v131, v133, v153
	;; [unrolled: 1-line block ×4, first 2 shown]
	v_dot4_i32_iu8 v84, v82, v86, v84 neg_lo:[1,1,0]
	v_dot4_i32_iu8 v85, v82, v94, v85 neg_lo:[1,1,0]
	;; [unrolled: 1-line block ×3, first 2 shown]
	v_perm_b32 v149, v137, v136, 0xc0c0703
	v_or_b32_e32 v136, v144, v143
	v_dual_add_nc_u32 v53, 32, v53 :: v_dual_bitop2_b32 v83, v83, v148 bitop3:0x54
	v_or_b32_e32 v109, v110, v109
	v_or_b32_e32 v110, v122, v111
	;; [unrolled: 1-line block ×6, first 2 shown]
	v_dot4_i32_iu8 v100, v129, v131, 0 neg_lo:[1,1,0]
	v_dot4_i32_iu8 v79, v79, v133, 0 neg_lo:[1,1,0]
	;; [unrolled: 1-line block ×5, first 2 shown]
	v_cvt_f32_f16_e32 v77, v116
	v_lshrrev_b32_e32 v116, 16, v116
	v_or_b32_e32 v128, v130, v128
	v_or_b32_e32 v130, v132, v156
	;; [unrolled: 1-line block ×3, first 2 shown]
	v_dot4_i32_iu8 v84, v83, v88, v84 neg_lo:[1,1,0]
	v_dot4_i32_iu8 v85, v83, v96, v85 neg_lo:[1,1,0]
	;; [unrolled: 1-line block ×5, first 2 shown]
	v_or_b32_e32 v81, v81, v149
	v_dual_add_nc_u32 v52, 4, v52 :: v_dual_bitop2_b32 v78, v78, v150 bitop3:0x54
	v_or_b32_e32 v121, v126, v125
	v_or_b32_e32 v122, v134, v127
	v_dot4_i32_iu8 v86, v108, v109, 0 neg_lo:[1,1,0]
	v_dot4_i32_iu8 v82, v128, v130, 0 neg_lo:[1,1,0]
	;; [unrolled: 1-line block ×3, first 2 shown]
	v_or_b32_e32 v135, v152, v151
	v_dot4_i32_iu8 v85, v81, v97, v85 neg_lo:[1,1,0]
	v_dot4_i32_iu8 v86, v111, v110, v86 neg_lo:[1,1,0]
	;; [unrolled: 1-line block ×4, first 2 shown]
	v_add_nc_u32_e32 v82, v83, v79
	v_dot4_i32_iu8 v83, v78, v90, v84 neg_lo:[1,1,0]
	v_dot4_i32_iu8 v84, v78, v98, v85 neg_lo:[1,1,0]
	;; [unrolled: 1-line block ×3, first 2 shown]
	v_cvt_f32_f16_e32 v79, v116
	v_add3_u32 v80, v81, v86, v82
	v_dot4_i32_iu8 v82, v135, v91, v83 neg_lo:[1,1,0]
	v_dual_add_nc_u32 v75, 4, v75 :: v_dual_add_nc_u32 v57, 4, v57
	s_add_co_i32 s1, s1, 4
	s_delay_alu instid0(VALU_DEP_3) | instskip(NEXT) | instid1(VALU_DEP_3)
	v_cvt_f32_i32_e32 v81, v80
	v_cvt_f32_i32_e32 v82, v82
	s_cmp_lt_u32 s1, 28
	s_delay_alu instid0(VALU_DEP_1) | instskip(NEXT) | instid1(VALU_DEP_1)
	v_fma_mix_f32 v82, v117, v82, v117 op_sel:[0,0,1] op_sel_hi:[1,0,1]
	v_add_f32_e32 v73, v73, v82
	v_dot4_i32_iu8 v83, v135, v99, v84 neg_lo:[1,1,0]
	v_dot4_i32_iu8 v84, v135, v107, v78 neg_lo:[1,1,0]
	v_cvt_f32_f16_e32 v78, v119
	s_delay_alu instid0(VALU_DEP_3) | instskip(NEXT) | instid1(VALU_DEP_3)
	v_cvt_f32_i32_e32 v83, v83
	v_cvt_f32_i32_e32 v80, v84
	s_delay_alu instid0(VALU_DEP_2) | instskip(NEXT) | instid1(VALU_DEP_2)
	v_fma_mix_f32 v83, v118, v83, v118 op_sel:[0,0,1] op_sel_hi:[1,0,1]
	v_pk_fma_f32 v[76:77], v[76:77], v[80:81], v[78:79]
	s_delay_alu instid0(VALU_DEP_2) | instskip(NEXT) | instid1(VALU_DEP_2)
	v_add_f32_e32 v69, v69, v83
	v_pk_add_f32 v[6:7], v[6:7], v[76:77]
	s_cbranch_scc1 .LBB204_19
; %bb.20:                               ;   in Loop: Header=BB204_5 Depth=1
	s_barrier_signal -1
	s_barrier_wait -1
	s_branch .LBB204_4
.LBB204_21:
	s_mul_i32 s0, s10, s7
	s_wait_loadcnt 0x0
	v_cmp_gt_i32_e32 vcc_lo, s0, v1
	s_and_saveexec_b32 s0, vcc_lo
	s_cbranch_execz .LBB204_30
; %bb.22:
	v_mul_lo_u32 v0, v1, s9
	v_add_nc_u32_e32 v1, s11, v5
	s_mov_b32 s0, exec_lo
	s_delay_alu instid0(VALU_DEP_1)
	v_cmpx_gt_u32_e64 s9, v1
	s_cbranch_execz .LBB204_24
; %bb.23:
	s_delay_alu instid0(VALU_DEP_3)
	v_add_nc_u32_e32 v2, v0, v1
	v_cvt_f16_f32_e32 v3, v73
	global_store_b16 v2, v3, s[12:13] scale_offset
.LBB204_24:
	s_wait_xcnt 0x0
	s_or_b32 exec_lo, exec_lo, s0
	v_add_nc_u32_e32 v2, 32, v1
	s_mov_b32 s0, exec_lo
	s_delay_alu instid0(VALU_DEP_1)
	v_cmpx_gt_u32_e64 s9, v2
	s_cbranch_execz .LBB204_26
; %bb.25:
	v_add_nc_u32_e32 v2, v0, v2
	v_cvt_f16_f32_e32 v3, v69
	global_store_b16 v2, v3, s[12:13] scale_offset
.LBB204_26:
	s_wait_xcnt 0x0
	s_or_b32 exec_lo, exec_lo, s0
	v_add_nc_u32_e32 v2, 64, v1
	s_mov_b32 s0, exec_lo
	s_delay_alu instid0(VALU_DEP_1)
	v_cmpx_gt_u32_e64 s9, v2
	s_cbranch_execz .LBB204_28
; %bb.27:
	v_add_nc_u32_e32 v2, v0, v2
	v_cvt_f16_f32_e32 v3, v6
	global_store_b16 v2, v3, s[12:13] scale_offset
.LBB204_28:
	s_wait_xcnt 0x0
	s_or_b32 exec_lo, exec_lo, s0
	v_add_nc_u32_e32 v1, 0x60, v1
	s_delay_alu instid0(VALU_DEP_1)
	v_cmp_gt_u32_e32 vcc_lo, s9, v1
	s_and_b32 exec_lo, exec_lo, vcc_lo
	s_cbranch_execz .LBB204_30
; %bb.29:
	v_add_nc_u32_e32 v0, v0, v1
	v_cvt_f16_f32_e32 v1, v7
	global_store_b16 v0, v1, s[12:13] scale_offset
.LBB204_30:
	s_sendmsg sendmsg(MSG_DEALLOC_VGPRS)
	s_endpgm
	.section	.rodata,"a",@progbits
	.p2align	6, 0x0
	.amdhsa_kernel _ZL8moe_q5_1IN3c104HalfELb1EEvPKvS3_PT_PKiS7_S7_iiiiiii
		.amdhsa_group_segment_fixed_size 38656
		.amdhsa_private_segment_fixed_size 0
		.amdhsa_kernarg_size 76
		.amdhsa_user_sgpr_count 2
		.amdhsa_user_sgpr_dispatch_ptr 0
		.amdhsa_user_sgpr_queue_ptr 0
		.amdhsa_user_sgpr_kernarg_segment_ptr 1
		.amdhsa_user_sgpr_dispatch_id 0
		.amdhsa_user_sgpr_kernarg_preload_length 0
		.amdhsa_user_sgpr_kernarg_preload_offset 0
		.amdhsa_user_sgpr_private_segment_size 0
		.amdhsa_wavefront_size32 1
		.amdhsa_uses_dynamic_stack 0
		.amdhsa_enable_private_segment 0
		.amdhsa_system_sgpr_workgroup_id_x 1
		.amdhsa_system_sgpr_workgroup_id_y 1
		.amdhsa_system_sgpr_workgroup_id_z 0
		.amdhsa_system_sgpr_workgroup_info 0
		.amdhsa_system_vgpr_workitem_id 1
		.amdhsa_next_free_vgpr 157
		.amdhsa_next_free_sgpr 21
		.amdhsa_named_barrier_count 0
		.amdhsa_reserve_vcc 1
		.amdhsa_float_round_mode_32 0
		.amdhsa_float_round_mode_16_64 0
		.amdhsa_float_denorm_mode_32 3
		.amdhsa_float_denorm_mode_16_64 3
		.amdhsa_fp16_overflow 0
		.amdhsa_memory_ordered 1
		.amdhsa_forward_progress 1
		.amdhsa_inst_pref_size 77
		.amdhsa_round_robin_scheduling 0
		.amdhsa_exception_fp_ieee_invalid_op 0
		.amdhsa_exception_fp_denorm_src 0
		.amdhsa_exception_fp_ieee_div_zero 0
		.amdhsa_exception_fp_ieee_overflow 0
		.amdhsa_exception_fp_ieee_underflow 0
		.amdhsa_exception_fp_ieee_inexact 0
		.amdhsa_exception_int_div_zero 0
	.end_amdhsa_kernel
	.section	.text._ZL8moe_q5_1IN3c104HalfELb1EEvPKvS3_PT_PKiS7_S7_iiiiiii,"axG",@progbits,_ZL8moe_q5_1IN3c104HalfELb1EEvPKvS3_PT_PKiS7_S7_iiiiiii,comdat
.Lfunc_end204:
	.size	_ZL8moe_q5_1IN3c104HalfELb1EEvPKvS3_PT_PKiS7_S7_iiiiiii, .Lfunc_end204-_ZL8moe_q5_1IN3c104HalfELb1EEvPKvS3_PT_PKiS7_S7_iiiiiii
                                        ; -- End function
	.set _ZL8moe_q5_1IN3c104HalfELb1EEvPKvS3_PT_PKiS7_S7_iiiiiii.num_vgpr, 157
	.set _ZL8moe_q5_1IN3c104HalfELb1EEvPKvS3_PT_PKiS7_S7_iiiiiii.num_agpr, 0
	.set _ZL8moe_q5_1IN3c104HalfELb1EEvPKvS3_PT_PKiS7_S7_iiiiiii.numbered_sgpr, 21
	.set _ZL8moe_q5_1IN3c104HalfELb1EEvPKvS3_PT_PKiS7_S7_iiiiiii.num_named_barrier, 0
	.set _ZL8moe_q5_1IN3c104HalfELb1EEvPKvS3_PT_PKiS7_S7_iiiiiii.private_seg_size, 0
	.set _ZL8moe_q5_1IN3c104HalfELb1EEvPKvS3_PT_PKiS7_S7_iiiiiii.uses_vcc, 1
	.set _ZL8moe_q5_1IN3c104HalfELb1EEvPKvS3_PT_PKiS7_S7_iiiiiii.uses_flat_scratch, 0
	.set _ZL8moe_q5_1IN3c104HalfELb1EEvPKvS3_PT_PKiS7_S7_iiiiiii.has_dyn_sized_stack, 0
	.set _ZL8moe_q5_1IN3c104HalfELb1EEvPKvS3_PT_PKiS7_S7_iiiiiii.has_recursion, 0
	.set _ZL8moe_q5_1IN3c104HalfELb1EEvPKvS3_PT_PKiS7_S7_iiiiiii.has_indirect_call, 0
	.section	.AMDGPU.csdata,"",@progbits
; Kernel info:
; codeLenInByte = 9820
; TotalNumSgprs: 23
; NumVgprs: 157
; ScratchSize: 0
; MemoryBound: 0
; FloatMode: 240
; IeeeMode: 1
; LDSByteSize: 38656 bytes/workgroup (compile time only)
; SGPRBlocks: 0
; VGPRBlocks: 9
; NumSGPRsForWavesPerEU: 23
; NumVGPRsForWavesPerEU: 157
; NamedBarCnt: 0
; Occupancy: 6
; WaveLimiterHint : 1
; COMPUTE_PGM_RSRC2:SCRATCH_EN: 0
; COMPUTE_PGM_RSRC2:USER_SGPR: 2
; COMPUTE_PGM_RSRC2:TRAP_HANDLER: 0
; COMPUTE_PGM_RSRC2:TGID_X_EN: 1
; COMPUTE_PGM_RSRC2:TGID_Y_EN: 1
; COMPUTE_PGM_RSRC2:TGID_Z_EN: 0
; COMPUTE_PGM_RSRC2:TIDIG_COMP_CNT: 1
	.section	.text._ZL8moe_q8_0IN3c104HalfELb0EEvPKvS3_PT_PKiS7_S7_iiiiiii,"axG",@progbits,_ZL8moe_q8_0IN3c104HalfELb0EEvPKvS3_PT_PKiS7_S7_iiiiiii,comdat
	.globl	_ZL8moe_q8_0IN3c104HalfELb0EEvPKvS3_PT_PKiS7_S7_iiiiiii ; -- Begin function _ZL8moe_q8_0IN3c104HalfELb0EEvPKvS3_PT_PKiS7_S7_iiiiiii
	.p2align	8
	.type	_ZL8moe_q8_0IN3c104HalfELb0EEvPKvS3_PT_PKiS7_S7_iiiiiii,@function
_ZL8moe_q8_0IN3c104HalfELb0EEvPKvS3_PT_PKiS7_S7_iiiiiii: ; @_ZL8moe_q8_0IN3c104HalfELb0EEvPKvS3_PT_PKiS7_S7_iiiiiii
; %bb.0:
	s_load_b128 s[4:7], s[0:1], 0x18
	s_bfe_u32 s2, ttmp6, 0x40010
	s_bfe_u32 s3, ttmp6, 0x40004
	s_add_co_i32 s2, s2, 1
	s_getreg_b32 s8, hwreg(HW_REG_IB_STS2, 6, 4)
	s_mul_i32 s2, ttmp7, s2
	s_delay_alu instid0(SALU_CYCLE_1)
	s_add_co_i32 s3, s3, s2
	s_cmp_eq_u32 s8, 0
	s_cselect_b32 s2, ttmp7, s3
	s_wait_kmcnt 0x0
	s_load_b32 s14, s[6:7], s2 offset:0x0 scale_offset
	s_wait_kmcnt 0x0
	s_cmp_gt_u32 s14, 0xff
	s_cbranch_scc1 .LBB205_22
; %bb.1:
	s_load_b64 s[6:7], s[0:1], 0x28
	s_lshl_b32 s2, s2, 3
	s_wait_kmcnt 0x0
	s_load_b32 s3, s[6:7], 0x0
	s_wait_kmcnt 0x0
	s_cmp_gt_u32 s2, s3
	s_cbranch_scc1 .LBB205_22
; %bb.2:
	v_bfe_u32 v12, v0, 10, 10
	s_bfe_u32 s9, ttmp6, 0x4000c
	s_and_b32 s10, ttmp6, 15
	s_add_co_i32 s9, s9, 1
	v_and_b32_e32 v5, 0x3ff, v0
	v_dual_add_nc_u32 v1, s2, v12 :: v_dual_mov_b32 v9, 0
	s_mul_i32 s9, ttmp9, s9
	s_mov_b32 s15, 0
	s_add_co_i32 s10, s10, s9
	global_load_b32 v3, v1, s[4:5] scale_offset
	s_clause 0x2
	s_load_b64 s[12:13], s[0:1], 0x30
	s_load_b64 s[2:3], s[0:1], 0x10
	s_load_b128 s[4:7], s[0:1], 0x3c
	s_cmp_eq_u32 s8, 0
	v_dual_mov_b32 v8, v9 :: v_dual_mov_b32 v17, v9
	s_cselect_b32 s8, ttmp9, s10
	v_mov_b32_e32 v19, v9
	s_lshl_b32 s18, s8, 7
	s_wait_kmcnt 0x0
	s_cmp_lt_i32 s13, 32
	s_cbranch_scc1 .LBB205_13
; %bb.3:
	s_abs_i32 s19, s7
	s_load_b128 s[8:11], s[0:1], 0x0
	s_cvt_f32_u32 s16, s19
	s_ashr_i32 s17, s13, 31
	s_wait_loadcnt 0x0
	v_dual_lshlrev_b32 v9, 3, v12 :: v_dual_sub_nc_u32 v6, 0, v3
	v_rcp_iflag_f32_e32 v4, s16
	s_mul_i32 s16, s14, s12
	s_sub_co_i32 s14, 0, s19
	v_dual_mov_b32 v1, 0 :: v_dual_lshlrev_b32 v8, 2, v5
	v_bfe_u32 v14, v0, 2, 8
	v_dual_lshlrev_b32 v19, 4, v12 :: v_dual_bitop2_b32 v15, s7, v3 bitop3:0x14
	s_wait_xcnt 0x0
	v_readfirstlane_b32 s0, v4
	v_dual_add_nc_u32 v23, 64, v5 :: v_dual_bitop2_b32 v4, 3, v0 bitop3:0x40
	v_lshl_add_u32 v7, v12, 7, 0x4a40
	v_mad_u32_u24 v13, 0x84, v12, v8
	s_mul_f32 s1, s0, 0x4f7ffffe
	v_bfe_u32 v2, v0, 3, 7
	v_dual_add_nc_u32 v25, 32, v5 :: v_dual_bitop2_b32 v16, 31, v0 bitop3:0x40
	s_delay_alu instid0(SALU_CYCLE_1)
	s_cvt_u32_f32 s12, s1
	s_lshr_b32 s1, s17, 27
	v_and_b32_e32 v0, 28, v8
	s_add_co_i32 s1, s13, s1
	s_mul_i32 s14, s14, s12
	s_ashr_i32 s1, s1, 5
	s_mul_hi_u32 s14, s12, s14
	v_add_nc_u16 v22, v14, v9
	s_add_co_i32 s12, s12, s14
	s_lshl_b32 s14, s1, 3
	v_max_i32_e32 v17, v3, v6
	v_mul_lo_u32 v6, s1, v12
	v_add_nc_u32_e32 v9, v14, v9
	v_lshrrev_b16 v29, 1, v22
	s_ashr_i32 s20, s5, 31
	v_add_nc_u32_e32 v8, 0x4e40, v8
	v_cmp_gt_u32_e64 s0, 4, v5
	s_wait_kmcnt 0x0
	v_add_nc_u64_e32 v[40:41], s[10:11], v[0:1]
	v_and_b32_e32 v29, 0x1ffc, v29
	s_ashr_i32 s17, s16, 31
	v_mul_u32_u24_e32 v11, 0x84, v5
	s_add_nc_u64 s[8:9], s[8:9], s[16:17]
	v_add_nc_u32_e32 v10, s14, v6
	v_mul_hi_u32 v18, v17, s12
	v_lshlrev_b32_e32 v27, 2, v4
	s_lshr_b32 s12, s20, 27
	s_mul_i32 s20, s1, s18
	v_dual_add_nc_u32 v12, s14, v10 :: v_dual_ashrrev_i32 v28, 31, v15
	v_lshl_add_u32 v15, v16, 2, v7
	v_add3_u32 v33, v29, v27, 0x4200
	s_add_co_i32 s5, s5, s12
	s_delay_alu instid0(VALU_DEP_3)
	v_add_nc_u32_e32 v14, s14, v12
	s_ashr_i32 s5, s5, 5
	v_mul_lo_u32 v20, v18, s19
	s_ashr_i32 s21, s20, 31
	v_lshlrev_b32_e32 v36, 2, v2
	s_mul_u64 s[20:21], s[20:21], 34
	s_delay_alu instid0(SALU_CYCLE_1) | instskip(NEXT) | instid1(VALU_DEP_2)
	s_add_nc_u64 s[8:9], s[8:9], s[20:21]
	v_dual_sub_nc_u32 v17, v17, v20 :: v_dual_add_nc_u32 v20, 1, v18
	s_delay_alu instid0(VALU_DEP_1) | instskip(SKIP_2) | instid1(VALU_DEP_4)
	v_subrev_nc_u32_e32 v24, s19, v17
	v_cmp_le_u32_e32 vcc_lo, s19, v17
	v_add_nc_u32_e32 v16, s14, v14
	v_dual_cndmask_b32 v26, v18, v20 :: v_dual_add_nc_u32 v21, 0x60, v5
	s_delay_alu instid0(VALU_DEP_4) | instskip(NEXT) | instid1(VALU_DEP_3)
	v_cndmask_b32_e32 v17, v17, v24, vcc_lo
	v_add_nc_u32_e32 v18, s14, v16
	v_mul_lo_u32 v20, s1, v9
	s_delay_alu instid0(VALU_DEP_4) | instskip(NEXT) | instid1(VALU_DEP_3)
	v_dual_add_nc_u32 v24, 1, v26 :: v_dual_add_nc_u32 v30, 64, v9
	v_add_nc_u32_e32 v22, s14, v18
	v_cmp_le_u32_e32 vcc_lo, s19, v17
	s_delay_alu instid0(VALU_DEP_3) | instskip(NEXT) | instid1(VALU_DEP_4)
	v_dual_lshlrev_b32 v9, 4, v9 :: v_dual_lshrrev_b32 v31, 1, v30
	v_dual_lshlrev_b32 v35, 4, v30 :: v_dual_cndmask_b32 v17, v26, v24, vcc_lo
	s_delay_alu instid0(VALU_DEP_4) | instskip(SKIP_1) | instid1(VALU_DEP_4)
	v_add_nc_u32_e32 v24, s14, v22
	v_lshl_add_u32 v44, s1, 6, v20
	v_and_b32_e32 v30, 0x3ffc, v31
	v_add_nc_u32_e32 v33, v33, v9
	v_xor_b32_e32 v17, v17, v28
	v_dual_mov_b32 v9, v1 :: v_dual_add_nc_u32 v26, s14, v24
	s_delay_alu instid0(VALU_DEP_4) | instskip(NEXT) | instid1(VALU_DEP_3)
	v_add3_u32 v37, v30, v27, 0x4200
	v_dual_lshrrev_b32 v27, 1, v21 :: v_dual_sub_nc_u32 v17, v17, v28
	s_delay_alu instid0(VALU_DEP_3) | instskip(NEXT) | instid1(VALU_DEP_3)
	v_dual_add_nc_u32 v28, s14, v26 :: v_dual_lshrrev_b32 v23, 1, v23
	v_add_nc_u32_e32 v35, v37, v35
	s_delay_alu instid0(VALU_DEP_3) | instskip(NEXT) | instid1(VALU_DEP_4)
	v_and_b32_e32 v27, 0xfc, v27
	v_cmp_gt_i32_e32 vcc_lo, s4, v17
	s_delay_alu instid0(VALU_DEP_4) | instskip(SKIP_3) | instid1(VALU_DEP_4)
	v_dual_add_nc_u32 v30, s14, v28 :: v_dual_lshrrev_b32 v25, 1, v25
	v_mul_lo_u32 v21, v17, s5
	v_lshlrev_b32_e32 v17, 4, v5
	v_and_b32_e32 v29, 0xfc, v23
	v_add_nc_u32_e32 v32, s14, v30
	v_and_b32_e32 v31, 0xfc, v25
	s_and_b32 s12, s0, vcc_lo
	v_add3_u32 v23, v17, v27, 0x4800
	v_add3_u32 v25, v17, v29, 0x4600
	v_add_nc_u32_e32 v34, s14, v32
	v_add3_u32 v29, v17, v36, 0x4200
	v_add3_u32 v27, v17, v31, 0x4400
	v_add_nc_u32_e32 v31, 0x4e40, v19
	s_delay_alu instid0(VALU_DEP_4) | instskip(SKIP_1) | instid1(VALU_DEP_2)
	v_dual_mov_b32 v17, v1 :: v_dual_add_nc_u32 v36, s14, v34
	v_dual_add_nc_u32 v37, v8, v19 :: v_dual_mov_b32 v19, v1
	v_dual_mov_b32 v8, v1 :: v_dual_add_nc_u32 v38, s14, v36
	s_delay_alu instid0(VALU_DEP_1)
	v_add_nc_u32_e32 v42, s14, v38
	s_mov_b32 s14, s15
	s_branch .LBB205_5
.LBB205_4:                              ;   in Loop: Header=BB205_5 Depth=1
	s_add_co_i32 s14, s14, 4
	s_delay_alu instid0(SALU_CYCLE_1)
	s_cmp_ge_i32 s14, s1
	s_cbranch_scc1 .LBB205_13
.LBB205_5:                              ; =>This Loop Header: Depth=1
                                        ;     Child Loop BB205_11 Depth 2
	s_mul_u64 s[16:17], s[14:15], 34
	s_lshl_b32 s0, s14, 5
	s_add_nc_u64 s[16:17], s[8:9], s[16:17]
	s_cmp_ge_i32 s0, s13
	v_mad_nc_u64_u32 v[46:47], v2, 34, s[16:17]
	v_mad_nc_u64_u32 v[48:49], v4, 34, s[16:17]
	s_delay_alu instid0(VALU_DEP_2)
	v_mad_nc_u64_u32 v[50:51], v6, 34, v[46:47]
	v_mad_nc_u64_u32 v[52:53], v10, 34, v[46:47]
	;; [unrolled: 1-line block ×13, first 2 shown]
	v_add_nc_u64_e32 v[50:51], v[50:51], v[0:1]
	v_mad_nc_u64_u32 v[76:77], v36, 34, v[46:47]
	v_add_nc_u64_e32 v[52:53], v[52:53], v[0:1]
	v_mad_nc_u64_u32 v[78:79], v38, 34, v[46:47]
	;; [unrolled: 2-line block ×5, first 2 shown]
	v_add_nc_u64_e32 v[60:61], v[60:61], v[0:1]
	v_add_nc_u64_e32 v[62:63], v[62:63], v[0:1]
	;; [unrolled: 1-line block ×3, first 2 shown]
	s_clause 0x9
	global_load_b32 v39, v[50:51], off offset:2
	global_load_b32 v43, v[52:53], off offset:2
	global_load_b32 v45, v[54:55], off offset:2
	global_load_b32 v82, v[56:57], off offset:2
	global_load_b32 v83, v[58:59], off offset:2
	global_load_b32 v84, v[60:61], off offset:2
	global_load_b32 v85, v[62:63], off offset:2
	global_load_b32 v86, v[64:65], off offset:2
	global_load_u16 v87, v[80:81], off
	global_load_u16 v88, v[48:49], off
	s_wait_xcnt 0x0
	v_add_nc_u64_e32 v[48:49], v[66:67], v[0:1]
	v_add_nc_u64_e32 v[50:51], v[68:69], v[0:1]
	;; [unrolled: 1-line block ×8, first 2 shown]
	s_clause 0x7
	global_load_b32 v62, v[48:49], off offset:2
	global_load_b32 v63, v[50:51], off offset:2
	;; [unrolled: 1-line block ×8, first 2 shown]
	s_wait_xcnt 0x0
	v_add_nc_u32_e32 v46, 0x420, v13
	v_add_nc_u32_e32 v47, 0x840, v13
	v_add_nc_u32_e32 v48, 0xc60, v13
	v_add_nc_u32_e32 v49, 0x1080, v13
	v_add_nc_u32_e32 v50, 0x14a0, v13
	v_add_nc_u32_e32 v51, 0x18c0, v13
	v_add_nc_u32_e32 v52, 0x1ce0, v13
	v_add_nc_u32_e32 v53, 0x2100, v13
	v_add_nc_u32_e32 v54, 0x2520, v13
	v_add_nc_u32_e32 v55, 0x2940, v13
	v_add_nc_u32_e32 v56, 0x2d60, v13
	v_add_nc_u32_e32 v57, 0x3180, v13
	v_add_nc_u32_e32 v58, 0x35a0, v13
	v_add_nc_u32_e32 v59, 0x39c0, v13
	v_add_nc_u32_e32 v60, 0x3de0, v13
	s_wait_loadcnt 0x9
	v_cvt_f32_f16_e32 v61, v87
	s_wait_loadcnt 0x8
	v_cvt_f32_f16_e32 v70, v88
	ds_store_b32 v13, v39
	ds_store_b32 v46, v43
	ds_store_b32 v47, v45
	ds_store_b32 v48, v82
	ds_store_b32 v49, v83
	ds_store_b32 v50, v84
	ds_store_b32 v51, v85
	ds_store_b32 v52, v86
	s_wait_loadcnt 0x7
	ds_store_b32 v53, v62
	s_wait_loadcnt 0x6
	ds_store_b32 v54, v63
	;; [unrolled: 2-line block ×8, first 2 shown]
	ds_store_b32 v33, v61
	ds_store_b32 v35, v70
	s_cbranch_scc1 .LBB205_4
; %bb.6:                                ;   in Loop: Header=BB205_5 Depth=1
	v_add_nc_u32_e32 v39, s14, v2
	s_delay_alu instid0(VALU_DEP_1) | instskip(SKIP_1) | instid1(SALU_CYCLE_1)
	v_cmp_gt_i32_e64 s0, s5, v39
	s_and_b32 s16, vcc_lo, s0
	s_and_saveexec_b32 s0, s16
	s_cbranch_execz .LBB205_8
; %bb.7:                                ;   in Loop: Header=BB205_5 Depth=1
	v_add_nc_u32_e32 v39, v21, v39
	s_delay_alu instid0(VALU_DEP_1)
	v_mad_nc_i64_i32 v[46:47], v39, 36, v[40:41]
	global_load_b32 v39, v[46:47], off offset:4
	s_wait_loadcnt 0x0
	ds_store_b32 v15, v39
.LBB205_8:                              ;   in Loop: Header=BB205_5 Depth=1
	s_or_b32 exec_lo, exec_lo, s0
	v_or_b32_e32 v39, s14, v5
	s_delay_alu instid0(VALU_DEP_1) | instskip(SKIP_1) | instid1(SALU_CYCLE_1)
	v_cmp_gt_i32_e64 s0, s5, v39
	s_and_b32 s16, s12, s0
	s_and_saveexec_b32 s0, s16
	s_cbranch_execz .LBB205_10
; %bb.9:                                ;   in Loop: Header=BB205_5 Depth=1
	v_add_nc_u32_e32 v39, v21, v39
	s_delay_alu instid0(VALU_DEP_1)
	v_mad_nc_i64_i32 v[46:47], v39, 36, s[10:11]
	global_load_b32 v39, v[46:47], off
	s_wait_loadcnt 0x0
	v_cvt_f32_f16_e32 v39, v39
	ds_store_b32 v37, v39
.LBB205_10:                             ;   in Loop: Header=BB205_5 Depth=1
	s_or_b32 exec_lo, exec_lo, s0
	v_dual_mov_b32 v39, v7 :: v_dual_mov_b32 v43, v31
	v_dual_mov_b32 v45, v29 :: v_dual_mov_b32 v46, v27
	;; [unrolled: 1-line block ×3, first 2 shown]
	v_mov_b32_e32 v49, v11
	s_mov_b32 s0, -8
	s_wait_dscnt 0x0
	s_barrier_signal -1
	s_barrier_wait -1
.LBB205_11:                             ;   Parent Loop BB205_5 Depth=1
                                        ; =>  This Inner Loop Header: Depth=2
	ds_load_b32 v58, v43
	ds_load_b32 v94, v45
	ds_load_2addr_b32 v[60:61], v49 offset1:1
	ds_load_b32 v95, v46
	ds_load_b32 v62, v47
	;; [unrolled: 1-line block ×3, first 2 shown]
	ds_load_b128 v[50:53], v39
	ds_load_b128 v[54:57], v39 offset:16
	v_add_nc_u32_e32 v59, 0x1080, v49
	v_add_nc_u32_e32 v72, 0x1088, v49
	;; [unrolled: 1-line block ×12, first 2 shown]
	ds_load_2addr_b32 v[64:65], v49 offset0:2 offset1:3
	ds_load_2addr_b32 v[66:67], v49 offset0:4 offset1:5
	ds_load_2addr_b32 v[68:69], v49 offset0:6 offset1:7
	ds_load_2addr_b32 v[70:71], v59 offset1:1
	ds_load_2addr_b32 v[72:73], v72 offset1:1
	;; [unrolled: 1-line block ×12, first 2 shown]
	s_wait_dscnt 0x15
	v_dual_mul_f32 v59, v58, v94 :: v_dual_add_nc_u32 v49, 32, v49
	v_dual_add_nc_u32 v48, 4, v48 :: v_dual_add_nc_u32 v47, 4, v47
	v_add_nc_u32_e32 v46, 4, v46
	s_wait_dscnt 0x10
	v_dot4_i32_iu8 v60, v50, v60, 0 neg_lo:[1,1,0]
	v_perm_b32 v94, v50, v51, 0xc0c0501
	v_perm_b32 v96, v53, v52, 0x5010c0c
	;; [unrolled: 1-line block ×6, first 2 shown]
	s_wait_dscnt 0xb
	v_dot4_i32_iu8 v70, v50, v70, 0 neg_lo:[1,1,0]
	s_wait_dscnt 0x7
	v_dot4_i32_iu8 v50, v50, v78, 0 neg_lo:[1,1,0]
	v_add_nc_u32_e32 v45, 4, v45
	v_dot4_i32_iu8 v60, v51, v61, v60 neg_lo:[1,1,0]
	v_or_b32_e32 v61, v96, v94
	s_wait_dscnt 0x3
	v_perm_b32 v78, v86, v87, 0xc0c0501
	s_wait_dscnt 0x2
	v_perm_b32 v94, v89, v88, 0x5010c0c
	v_or_b32_e32 v96, v98, v97
	v_perm_b32 v97, v86, v87, 0xc0c0703
	v_perm_b32 v98, v89, v88, 0x7030c0c
	v_dot4_i32_iu8 v70, v51, v71, v70 neg_lo:[1,1,0]
	v_dot4_i32_iu8 v50, v51, v79, v50 neg_lo:[1,1,0]
	v_perm_b32 v100, v53, v52, 0x4000c0c
	v_perm_b32 v102, v53, v52, 0x6020c0c
	;; [unrolled: 1-line block ×10, first 2 shown]
	v_dot4_i32_iu8 v51, v52, v64, v60 neg_lo:[1,1,0]
	v_or_b32_e32 v60, v94, v78
	v_or_b32_e32 v64, v98, v97
	v_dot4_i32_iu8 v70, v52, v72, v70 neg_lo:[1,1,0]
	v_dot4_i32_iu8 v50, v52, v80, v50 neg_lo:[1,1,0]
	v_or_b32_e32 v99, v100, v99
	v_perm_b32 v100, v86, v87, 0xc0c0400
	v_dual_add_nc_u32 v43, 4, v43 :: v_dual_bitop2_b32 v101, v102, v101 bitop3:0x54
	v_perm_b32 v102, v89, v88, 0x4000c0c
	v_perm_b32 v86, v86, v87, 0xc0c0602
	;; [unrolled: 1-line block ×3, first 2 shown]
	v_or_b32_e32 v88, v104, v103
	s_wait_dscnt 0x1
	v_perm_b32 v89, v91, v90, 0xc0c0602
	s_wait_dscnt 0x0
	v_perm_b32 v103, v93, v92, 0x6020c0c
	v_dual_add_nc_u32 v39, 32, v39 :: v_dual_bitop2_b32 v104, v106, v105 bitop3:0x54
	v_perm_b32 v105, v91, v90, 0xc0c0400
	v_or_b32_e32 v107, v108, v107
	v_perm_b32 v108, v91, v90, 0xc0c0703
	v_or_b32_e32 v109, v110, v109
	v_perm_b32 v110, v93, v92, 0x7030c0c
	v_perm_b32 v90, v91, v90, 0xc0c0501
	;; [unrolled: 1-line block ×3, first 2 shown]
	v_dot4_i32_iu8 v51, v53, v65, v51 neg_lo:[1,1,0]
	v_dot4_i32_iu8 v52, v60, v61, 0 neg_lo:[1,1,0]
	;; [unrolled: 1-line block ×5, first 2 shown]
	v_perm_b32 v106, v93, v92, 0x4000c0c
	v_or_b32_e32 v71, v102, v100
	v_or_b32_e32 v78, v87, v86
	;; [unrolled: 1-line block ×5, first 2 shown]
	v_dot4_i32_iu8 v51, v54, v66, v51 neg_lo:[1,1,0]
	v_dot4_i32_iu8 v64, v54, v74, v64 neg_lo:[1,1,0]
	;; [unrolled: 1-line block ×3, first 2 shown]
	v_or_b32_e32 v86, v106, v105
	v_dot4_i32_iu8 v61, v78, v101, 0 neg_lo:[1,1,0]
	v_dot4_i32_iu8 v53, v71, v99, 0 neg_lo:[1,1,0]
	;; [unrolled: 1-line block ×9, first 2 shown]
	v_add_nc_u32_e32 v52, v52, v54
	v_dot4_i32_iu8 v51, v56, v68, v51 neg_lo:[1,1,0]
	v_dot4_i32_iu8 v54, v56, v76, v60 neg_lo:[1,1,0]
	;; [unrolled: 1-line block ×3, first 2 shown]
	v_mul_f32_e32 v55, v58, v95
	v_add3_u32 v52, v53, v61, v52
	v_dot4_i32_iu8 v56, v57, v69, v51 neg_lo:[1,1,0]
	v_dot4_i32_iu8 v54, v57, v77, v54 neg_lo:[1,1,0]
	;; [unrolled: 1-line block ×3, first 2 shown]
	v_pk_mul_f32 v[50:51], v[58:59], v[62:63] op_sel_hi:[0,1]
	v_cvt_f32_i32_e32 v53, v52
	v_cvt_f32_i32_e32 v56, v56
	;; [unrolled: 1-line block ×4, first 2 shown]
	s_add_co_i32 s0, s0, 8
	s_delay_alu instid0(VALU_DEP_3) | instskip(NEXT) | instid1(VALU_DEP_3)
	v_fmac_f32_e32 v19, v59, v56
	v_fmac_f32_e32 v17, v55, v54
	s_delay_alu instid0(VALU_DEP_3)
	v_pk_fma_f32 v[8:9], v[50:51], v[52:53], v[8:9]
	s_cmp_lt_u32 s0, 24
	s_cbranch_scc1 .LBB205_11
; %bb.12:                               ;   in Loop: Header=BB205_5 Depth=1
	s_barrier_signal -1
	s_barrier_wait -1
	s_branch .LBB205_4
.LBB205_13:
	s_mul_i32 s0, s7, s4
	s_wait_loadcnt 0x0
	v_cmp_gt_i32_e32 vcc_lo, s0, v3
	s_and_saveexec_b32 s0, vcc_lo
	s_cbranch_execz .LBB205_22
; %bb.14:
	v_mul_lo_u32 v0, v3, s6
	v_add_nc_u32_e32 v1, s18, v5
	s_mov_b32 s0, exec_lo
	s_delay_alu instid0(VALU_DEP_1)
	v_cmpx_gt_u32_e64 s6, v1
	s_cbranch_execz .LBB205_16
; %bb.15:
	s_delay_alu instid0(VALU_DEP_3)
	v_add_nc_u32_e32 v2, v0, v1
	v_cvt_f16_f32_e32 v3, v19
	global_store_b16 v2, v3, s[2:3] scale_offset
.LBB205_16:
	s_wait_xcnt 0x0
	s_or_b32 exec_lo, exec_lo, s0
	v_add_nc_u32_e32 v2, 32, v1
	s_mov_b32 s0, exec_lo
	s_delay_alu instid0(VALU_DEP_1)
	v_cmpx_gt_u32_e64 s6, v2
	s_cbranch_execz .LBB205_18
; %bb.17:
	v_add_nc_u32_e32 v2, v0, v2
	v_cvt_f16_f32_e32 v3, v17
	global_store_b16 v2, v3, s[2:3] scale_offset
.LBB205_18:
	s_wait_xcnt 0x0
	s_or_b32 exec_lo, exec_lo, s0
	v_add_nc_u32_e32 v2, 64, v1
	s_mov_b32 s0, exec_lo
	s_delay_alu instid0(VALU_DEP_1)
	v_cmpx_gt_u32_e64 s6, v2
	s_cbranch_execz .LBB205_20
; %bb.19:
	v_add_nc_u32_e32 v2, v0, v2
	v_cvt_f16_f32_e32 v3, v8
	global_store_b16 v2, v3, s[2:3] scale_offset
.LBB205_20:
	s_wait_xcnt 0x0
	s_or_b32 exec_lo, exec_lo, s0
	v_add_nc_u32_e32 v1, 0x60, v1
	s_delay_alu instid0(VALU_DEP_1)
	v_cmp_gt_u32_e32 vcc_lo, s6, v1
	s_and_b32 exec_lo, exec_lo, vcc_lo
	s_cbranch_execz .LBB205_22
; %bb.21:
	v_add_nc_u32_e32 v0, v0, v1
	v_cvt_f16_f32_e32 v1, v9
	global_store_b16 v0, v1, s[2:3] scale_offset
.LBB205_22:
	s_sendmsg sendmsg(MSG_DEALLOC_VGPRS)
	s_endpgm
	.section	.rodata,"a",@progbits
	.p2align	6, 0x0
	.amdhsa_kernel _ZL8moe_q8_0IN3c104HalfELb0EEvPKvS3_PT_PKiS7_S7_iiiiiii
		.amdhsa_group_segment_fixed_size 20160
		.amdhsa_private_segment_fixed_size 0
		.amdhsa_kernarg_size 76
		.amdhsa_user_sgpr_count 2
		.amdhsa_user_sgpr_dispatch_ptr 0
		.amdhsa_user_sgpr_queue_ptr 0
		.amdhsa_user_sgpr_kernarg_segment_ptr 1
		.amdhsa_user_sgpr_dispatch_id 0
		.amdhsa_user_sgpr_kernarg_preload_length 0
		.amdhsa_user_sgpr_kernarg_preload_offset 0
		.amdhsa_user_sgpr_private_segment_size 0
		.amdhsa_wavefront_size32 1
		.amdhsa_uses_dynamic_stack 0
		.amdhsa_enable_private_segment 0
		.amdhsa_system_sgpr_workgroup_id_x 1
		.amdhsa_system_sgpr_workgroup_id_y 1
		.amdhsa_system_sgpr_workgroup_id_z 0
		.amdhsa_system_sgpr_workgroup_info 0
		.amdhsa_system_vgpr_workitem_id 1
		.amdhsa_next_free_vgpr 111
		.amdhsa_next_free_sgpr 22
		.amdhsa_named_barrier_count 0
		.amdhsa_reserve_vcc 1
		.amdhsa_float_round_mode_32 0
		.amdhsa_float_round_mode_16_64 0
		.amdhsa_float_denorm_mode_32 3
		.amdhsa_float_denorm_mode_16_64 3
		.amdhsa_fp16_overflow 0
		.amdhsa_memory_ordered 1
		.amdhsa_forward_progress 1
		.amdhsa_inst_pref_size 27
		.amdhsa_round_robin_scheduling 0
		.amdhsa_exception_fp_ieee_invalid_op 0
		.amdhsa_exception_fp_denorm_src 0
		.amdhsa_exception_fp_ieee_div_zero 0
		.amdhsa_exception_fp_ieee_overflow 0
		.amdhsa_exception_fp_ieee_underflow 0
		.amdhsa_exception_fp_ieee_inexact 0
		.amdhsa_exception_int_div_zero 0
	.end_amdhsa_kernel
	.section	.text._ZL8moe_q8_0IN3c104HalfELb0EEvPKvS3_PT_PKiS7_S7_iiiiiii,"axG",@progbits,_ZL8moe_q8_0IN3c104HalfELb0EEvPKvS3_PT_PKiS7_S7_iiiiiii,comdat
.Lfunc_end205:
	.size	_ZL8moe_q8_0IN3c104HalfELb0EEvPKvS3_PT_PKiS7_S7_iiiiiii, .Lfunc_end205-_ZL8moe_q8_0IN3c104HalfELb0EEvPKvS3_PT_PKiS7_S7_iiiiiii
                                        ; -- End function
	.set _ZL8moe_q8_0IN3c104HalfELb0EEvPKvS3_PT_PKiS7_S7_iiiiiii.num_vgpr, 111
	.set _ZL8moe_q8_0IN3c104HalfELb0EEvPKvS3_PT_PKiS7_S7_iiiiiii.num_agpr, 0
	.set _ZL8moe_q8_0IN3c104HalfELb0EEvPKvS3_PT_PKiS7_S7_iiiiiii.numbered_sgpr, 22
	.set _ZL8moe_q8_0IN3c104HalfELb0EEvPKvS3_PT_PKiS7_S7_iiiiiii.num_named_barrier, 0
	.set _ZL8moe_q8_0IN3c104HalfELb0EEvPKvS3_PT_PKiS7_S7_iiiiiii.private_seg_size, 0
	.set _ZL8moe_q8_0IN3c104HalfELb0EEvPKvS3_PT_PKiS7_S7_iiiiiii.uses_vcc, 1
	.set _ZL8moe_q8_0IN3c104HalfELb0EEvPKvS3_PT_PKiS7_S7_iiiiiii.uses_flat_scratch, 0
	.set _ZL8moe_q8_0IN3c104HalfELb0EEvPKvS3_PT_PKiS7_S7_iiiiiii.has_dyn_sized_stack, 0
	.set _ZL8moe_q8_0IN3c104HalfELb0EEvPKvS3_PT_PKiS7_S7_iiiiiii.has_recursion, 0
	.set _ZL8moe_q8_0IN3c104HalfELb0EEvPKvS3_PT_PKiS7_S7_iiiiiii.has_indirect_call, 0
	.section	.AMDGPU.csdata,"",@progbits
; Kernel info:
; codeLenInByte = 3396
; TotalNumSgprs: 24
; NumVgprs: 111
; ScratchSize: 0
; MemoryBound: 0
; FloatMode: 240
; IeeeMode: 1
; LDSByteSize: 20160 bytes/workgroup (compile time only)
; SGPRBlocks: 0
; VGPRBlocks: 6
; NumSGPRsForWavesPerEU: 24
; NumVGPRsForWavesPerEU: 111
; NamedBarCnt: 0
; Occupancy: 9
; WaveLimiterHint : 1
; COMPUTE_PGM_RSRC2:SCRATCH_EN: 0
; COMPUTE_PGM_RSRC2:USER_SGPR: 2
; COMPUTE_PGM_RSRC2:TRAP_HANDLER: 0
; COMPUTE_PGM_RSRC2:TGID_X_EN: 1
; COMPUTE_PGM_RSRC2:TGID_Y_EN: 1
; COMPUTE_PGM_RSRC2:TGID_Z_EN: 0
; COMPUTE_PGM_RSRC2:TIDIG_COMP_CNT: 1
	.section	.text._ZL8moe_q8_0IN3c104HalfELb1EEvPKvS3_PT_PKiS7_S7_iiiiiii,"axG",@progbits,_ZL8moe_q8_0IN3c104HalfELb1EEvPKvS3_PT_PKiS7_S7_iiiiiii,comdat
	.globl	_ZL8moe_q8_0IN3c104HalfELb1EEvPKvS3_PT_PKiS7_S7_iiiiiii ; -- Begin function _ZL8moe_q8_0IN3c104HalfELb1EEvPKvS3_PT_PKiS7_S7_iiiiiii
	.p2align	8
	.type	_ZL8moe_q8_0IN3c104HalfELb1EEvPKvS3_PT_PKiS7_S7_iiiiiii,@function
_ZL8moe_q8_0IN3c104HalfELb1EEvPKvS3_PT_PKiS7_S7_iiiiiii: ; @_ZL8moe_q8_0IN3c104HalfELb1EEvPKvS3_PT_PKiS7_S7_iiiiiii
; %bb.0:
	s_load_b128 s[4:7], s[0:1], 0x18
	s_bfe_u32 s2, ttmp6, 0x40010
	s_bfe_u32 s8, ttmp6, 0x40004
	s_add_co_i32 s2, s2, 1
	s_delay_alu instid0(SALU_CYCLE_1)
	s_mul_i32 s3, ttmp7, s2
	s_getreg_b32 s2, hwreg(HW_REG_IB_STS2, 6, 4)
	s_add_co_i32 s8, s8, s3
	s_cmp_eq_u32 s2, 0
	s_cselect_b32 s3, ttmp7, s8
	s_wait_kmcnt 0x0
	s_load_b32 s14, s[6:7], s3 offset:0x0 scale_offset
	s_wait_kmcnt 0x0
	s_cmp_gt_u32 s14, 0xff
	s_cbranch_scc1 .LBB206_22
; %bb.1:
	s_load_b64 s[6:7], s[0:1], 0x28
	s_lshl_b32 s3, s3, 3
	s_wait_kmcnt 0x0
	s_load_b32 s6, s[6:7], 0x0
	s_wait_kmcnt 0x0
	s_cmp_gt_u32 s3, s6
	s_cbranch_scc1 .LBB206_22
; %bb.2:
	v_bfe_u32 v20, v0, 10, 10
	s_and_b32 s11, ttmp6, 15
	v_and_b32_e32 v3, 0x3ff, v0
	s_mov_b32 s15, 0
	s_delay_alu instid0(VALU_DEP_2) | instskip(SKIP_1) | instid1(SALU_CYCLE_1)
	v_dual_mov_b32 v17, 0 :: v_dual_add_nc_u32 v1, s3, v20
	s_bfe_u32 s3, ttmp6, 0x4000c
	s_add_co_i32 s3, s3, 1
	s_delay_alu instid0(VALU_DEP_1)
	v_dual_mov_b32 v16, v17 :: v_dual_mov_b32 v41, v17
	global_load_b32 v1, v1, s[4:5] scale_offset
	s_wait_xcnt 0x0
	s_clause 0x2
	s_load_b128 s[4:7], s[0:1], 0x30
	s_load_b64 s[12:13], s[0:1], 0x10
	s_load_b96 s[8:10], s[0:1], 0x40
	s_mul_i32 s3, ttmp9, s3
	v_mov_b32_e32 v50, v17
	s_add_co_i32 s11, s11, s3
	s_cmp_eq_u32 s2, 0
	s_cselect_b32 s2, ttmp9, s11
	s_delay_alu instid0(SALU_CYCLE_1)
	s_lshl_b32 s11, s2, 7
	s_wait_kmcnt 0x0
	s_cmp_lt_i32 s5, 32
	s_cbranch_scc1 .LBB206_13
; %bb.3:
	s_load_b128 s[0:3], s[0:1], 0x0
	s_ashr_i32 s16, s5, 31
	s_ashr_i32 s17, s8, 31
	s_mul_i32 s18, s14, s4
	s_lshr_b32 s14, s16, 27
	s_lshr_b32 s16, s17, 27
	s_ashr_i32 s19, s18, 31
	s_add_co_i32 s8, s8, s16
	v_bfe_u32 v18, v0, 2, 8
	s_not_b32 s4, s11
	s_add_co_i32 s14, s5, s14
	s_add_co_i32 s6, s6, s4
	s_wait_loadcnt 0x0
	v_dual_sub_nc_u32 v27, 0, v1 :: v_dual_min_i32 v7, s6, v20
	v_lshl_add_u32 v18, v20, 3, v18
	s_ashr_i32 s4, s14, 5
	v_dual_mov_b32 v5, 0 :: v_dual_lshlrev_b32 v16, 2, v3
	v_bfe_u32 v2, v0, 3, 7
	s_delay_alu instid0(VALU_DEP_3)
	v_min_i32_e32 v40, s6, v18
	s_wait_kmcnt 0x0
	s_add_nc_u64 s[18:19], s[0:1], s[18:19]
	s_abs_i32 s0, s10
	s_ashr_i32 s1, s8, 5
	s_cvt_f32_u32 s8, s0
	s_sub_co_i32 s14, 0, s0
	v_dual_ashrrev_i32 v35, 31, v40 :: v_dual_max_i32 v30, v1, v27
	s_delay_alu instid0(SALU_CYCLE_1)
	v_rcp_iflag_f32_e32 v17, s8
	v_and_b32_e32 v4, 28, v16
	v_add_min_i32_e64 v42, v18, 64, s6
	v_add_min_i32_e64 v9, v20, 8, s6
	v_lshrrev_b32_e32 v35, 29, v35
	v_add_min_i32_e64 v11, v20, 16, s6
	v_add_min_i32_e64 v13, v20, 24, s6
	v_readfirstlane_b32 s8, v17
	s_delay_alu instid0(VALU_DEP_4) | instskip(SKIP_3) | instid1(VALU_DEP_3)
	v_dual_ashrrev_i32 v46, 31, v42 :: v_dual_add_nc_u32 v18, v40, v35
	v_add_min_i32_e64 v15, v20, 32, s6
	v_add_min_i32_e64 v22, v20, 40, s6
	s_mul_f32 s8, s8, 0x4f7ffffe
	v_lshrrev_b32_e32 v46, 29, v46
	v_dual_ashrrev_i32 v47, 3, v18 :: v_dual_bitop2_b32 v18, 3, v0 bitop3:0x40
	s_delay_alu instid0(SALU_CYCLE_1)
	s_cvt_u32_f32 s8, s8
	v_add_min_i32_e64 v24, v20, 48, s6
	v_add_min_i32_e64 v17, v20, 56, s6
	;; [unrolled: 1-line block ×3, first 2 shown]
	s_mul_i32 s14, s14, s8
	v_add_min_i32_e64 v28, 0x48, v20, s6
	s_mul_hi_u32 s14, s8, s14
	v_add_min_i32_e64 v32, 0x50, v20, s6
	s_add_co_i32 s8, s8, s14
	v_add_min_i32_e64 v36, 0x58, v20, s6
	v_mul_hi_u32 v34, v30, s8
	v_add_min_i32_e64 v38, 0x60, v20, s6
	v_add_min_i32_e64 v41, 0x68, v20, s6
	;; [unrolled: 1-line block ×4, first 2 shown]
	v_mul_lo_u32 v6, v7, s4
	v_mad_u32 v7, 0x84, v7, v16
	v_mul_lo_u32 v8, v9, s4
	v_mad_u32 v9, 0x84, v9, v16
	;; [unrolled: 2-line block ×3, first 2 shown]
	v_mul_lo_u32 v43, v34, s0
	v_mul_lo_u32 v12, v13, s4
	v_mad_u32 v13, 0x84, v13, v16
	v_mul_lo_u32 v14, v15, s4
	v_mad_u32 v15, 0x84, v15, v16
	v_mad_u32 v19, 0x84, v22, v16
	;; [unrolled: 1-line block ×6, first 2 shown]
	v_add_nc_u32_e32 v46, v42, v46
	v_sub_nc_u32_e32 v30, v30, v43
	v_dual_lshlrev_b32 v43, 2, v47 :: v_dual_add_nc_u32 v47, 1, v34
	v_mad_u32 v29, 0x84, v32, v16
	s_delay_alu instid0(VALU_DEP_4) | instskip(NEXT) | instid1(VALU_DEP_4)
	v_ashrrev_i32_e32 v46, 3, v46
	v_subrev_nc_u32_e32 v49, s0, v30
	v_cmp_le_u32_e32 vcc_lo, s0, v30
	v_lshlrev_b32_e32 v48, 2, v18
	v_mad_u32 v31, 0x84, v36, v16
	v_lshlrev_b32_e32 v53, 4, v40
	v_mad_u32 v33, 0x84, v38, v16
	v_cndmask_b32_e32 v34, v34, v47, vcc_lo
	v_cndmask_b32_e32 v30, v30, v49, vcc_lo
	v_add3_u32 v50, v43, v48, 0x4200
	v_dual_lshlrev_b32 v46, 2, v46 :: v_dual_bitop2_b32 v43, s10, v1 bitop3:0x14
	s_delay_alu instid0(VALU_DEP_4) | instskip(NEXT) | instid1(VALU_DEP_4)
	v_add_nc_u32_e32 v47, 1, v34
	v_cmp_le_u32_e32 vcc_lo, s0, v30
	s_delay_alu instid0(VALU_DEP_3)
	v_dual_lshlrev_b32 v55, 4, v42 :: v_dual_ashrrev_i32 v43, 31, v43
	v_lshlrev_b32_e32 v49, 4, v3
	v_mad_u32 v35, 0x84, v41, v16
	v_cndmask_b32_e32 v30, v34, v47, vcc_lo
	v_add3_u32 v34, v46, v48, 0x4200
	v_add_nc_u32_e32 v46, 0x60, v3
	v_dual_add_nc_u32 v47, 64, v3 :: v_dual_add_nc_u32 v48, 32, v3
	v_mad_u32 v37, 0x84, v44, v16
	v_mad_u32 v39, 0x84, v45, v16
	s_delay_alu instid0(VALU_DEP_4) | instskip(NEXT) | instid1(VALU_DEP_4)
	v_dual_lshrrev_b32 v46, 1, v46 :: v_dual_bitop2_b32 v30, v30, v43 bitop3:0x14
	v_dual_lshrrev_b32 v48, 1, v48 :: v_dual_lshrrev_b32 v47, 1, v47
	v_and_b32_e32 v0, 31, v0
	v_add_nc_u32_e32 v16, 0x4e40, v16
	s_delay_alu instid0(VALU_DEP_4)
	v_sub_nc_u32_e32 v30, v30, v43
	v_and_b32_e32 v43, 0xfc, v46
	v_and_b32_e32 v46, 0xfc, v47
	;; [unrolled: 1-line block ×3, first 2 shown]
	v_lshlrev_b32_e32 v48, 2, v2
	v_cmp_gt_i32_e32 vcc_lo, s7, v30
	v_add3_u32 v43, v49, v43, 0x4800
	v_add3_u32 v46, v49, v46, 0x4600
	;; [unrolled: 1-line block ×4, first 2 shown]
	v_lshl_add_u32 v49, v20, 7, 0x4a40
	v_lshlrev_b32_e32 v20, 4, v20
	v_mul_lo_u32 v52, v30, s1
	v_add_nc_u32_e32 v55, v34, v55
	v_mul_lo_u32 v30, v36, s4
	v_lshl_add_u32 v51, v0, 2, v49
	v_add_nc_u32_e32 v54, 0x4e40, v20
	v_mul_lo_u32 v0, v22, s4
	v_mul_lo_u32 v22, v17, s4
	;; [unrolled: 1-line block ×6, first 2 shown]
	v_dual_mov_b32 v41, v5 :: v_dual_add_nc_u32 v53, v50, v53
	v_add_nc_u32_e32 v56, v16, v20
	v_mul_lo_u32 v20, v24, s4
	v_mul_lo_u32 v24, v26, s4
	;; [unrolled: 1-line block ×6, first 2 shown]
	s_mul_i32 s16, s4, s11
	v_cmp_gt_u32_e64 s0, 4, v3
	v_add_nc_u64_e32 v[44:45], s[2:3], v[4:5]
	s_ashr_i32 s17, s16, 31
	v_dual_mov_b32 v16, v5 :: v_dual_mov_b32 v17, v5
	v_mul_u32_u24_e32 v57, 0x84, v3
	v_mov_b32_e32 v50, v5
	s_mul_u64 s[16:17], s[16:17], 34
	s_and_b32 s6, s0, vcc_lo
	s_add_nc_u64 s[16:17], s[18:19], s[16:17]
	s_mov_b32 s14, s15
	s_branch .LBB206_5
.LBB206_4:                              ;   in Loop: Header=BB206_5 Depth=1
	s_add_co_i32 s14, s14, 4
	s_delay_alu instid0(SALU_CYCLE_1)
	s_cmp_ge_i32 s14, s4
	s_cbranch_scc1 .LBB206_13
.LBB206_5:                              ; =>This Loop Header: Depth=1
                                        ;     Child Loop BB206_11 Depth 2
	s_mul_u64 s[18:19], s[14:15], 34
	s_lshl_b32 s0, s14, 5
	s_add_nc_u64 s[18:19], s[16:17], s[18:19]
	s_cmp_ge_i32 s0, s5
	v_mad_nc_u64_u32 v[58:59], v2, 34, s[18:19]
	v_mad_nc_u64_u32 v[60:61], v18, 34, s[18:19]
	s_delay_alu instid0(VALU_DEP_2)
	v_mad_nc_i64_i32 v[62:63], v6, 34, v[58:59]
	v_mad_nc_i64_i32 v[64:65], v8, 34, v[58:59]
	;; [unrolled: 1-line block ×17, first 2 shown]
	v_add_nc_u64_e32 v[62:63], v[62:63], v[4:5]
	v_mad_nc_i64_i32 v[58:59], v38, 34, v[58:59]
	v_add_nc_u64_e32 v[64:65], v[64:65], v[4:5]
	v_add_nc_u64_e32 v[66:67], v[66:67], v[4:5]
	;; [unrolled: 1-line block ×7, first 2 shown]
	s_clause 0x9
	global_load_u16 v94, v[92:93], off
	global_load_u16 v95, v[60:61], off
	global_load_b32 v96, v[62:63], off offset:2
	global_load_b32 v97, v[64:65], off offset:2
	;; [unrolled: 1-line block ×8, first 2 shown]
	s_wait_xcnt 0x8
	v_add_nc_u64_e32 v[60:61], v[78:79], v[4:5]
	s_wait_xcnt 0x7
	v_add_nc_u64_e32 v[62:63], v[80:81], v[4:5]
	s_wait_xcnt 0x6
	v_add_nc_u64_e32 v[64:65], v[82:83], v[4:5]
	s_wait_xcnt 0x5
	v_add_nc_u64_e32 v[66:67], v[84:85], v[4:5]
	s_wait_xcnt 0x4
	v_add_nc_u64_e32 v[68:69], v[86:87], v[4:5]
	s_wait_xcnt 0x3
	v_add_nc_u64_e32 v[70:71], v[88:89], v[4:5]
	s_wait_xcnt 0x2
	v_add_nc_u64_e32 v[72:73], v[90:91], v[4:5]
	v_add_nc_u64_e32 v[58:59], v[58:59], v[4:5]
	s_clause 0x7
	global_load_b32 v74, v[60:61], off offset:2
	global_load_b32 v75, v[62:63], off offset:2
	;; [unrolled: 1-line block ×8, first 2 shown]
	s_wait_loadcnt 0x11
	s_wait_xcnt 0x0
	v_cvt_f32_f16_e32 v58, v94
	s_wait_loadcnt 0x10
	v_cvt_f32_f16_e32 v59, v95
	s_wait_loadcnt 0xf
	ds_store_b32 v7, v96
	ds_store_b32 v53, v58
	s_wait_loadcnt 0xe
	ds_store_b32 v9, v97
	s_wait_loadcnt 0xd
	;; [unrolled: 2-line block ×15, first 2 shown]
	ds_store_b32 v39, v81
	ds_store_b32 v55, v59
	s_cbranch_scc1 .LBB206_4
; %bb.6:                                ;   in Loop: Header=BB206_5 Depth=1
	v_add_nc_u32_e32 v58, s14, v2
	s_delay_alu instid0(VALU_DEP_1) | instskip(SKIP_1) | instid1(SALU_CYCLE_1)
	v_cmp_gt_i32_e64 s0, s1, v58
	s_and_b32 s8, vcc_lo, s0
	s_and_saveexec_b32 s0, s8
	s_cbranch_execz .LBB206_8
; %bb.7:                                ;   in Loop: Header=BB206_5 Depth=1
	v_add_nc_u32_e32 v58, v52, v58
	s_delay_alu instid0(VALU_DEP_1)
	v_mad_nc_i64_i32 v[58:59], v58, 36, v[44:45]
	global_load_b32 v58, v[58:59], off offset:4
	s_wait_loadcnt 0x0
	ds_store_b32 v51, v58
.LBB206_8:                              ;   in Loop: Header=BB206_5 Depth=1
	s_or_b32 exec_lo, exec_lo, s0
	v_or_b32_e32 v58, s14, v3
	s_delay_alu instid0(VALU_DEP_1) | instskip(SKIP_1) | instid1(SALU_CYCLE_1)
	v_cmp_gt_i32_e64 s0, s1, v58
	s_and_b32 s8, s6, s0
	s_and_saveexec_b32 s0, s8
	s_cbranch_execz .LBB206_10
; %bb.9:                                ;   in Loop: Header=BB206_5 Depth=1
	v_add_nc_u32_e32 v58, v52, v58
	s_delay_alu instid0(VALU_DEP_1)
	v_mad_nc_i64_i32 v[58:59], v58, 36, s[2:3]
	global_load_b32 v58, v[58:59], off
	s_wait_loadcnt 0x0
	v_cvt_f32_f16_e32 v58, v58
	ds_store_b32 v56, v58
.LBB206_10:                             ;   in Loop: Header=BB206_5 Depth=1
	s_or_b32 exec_lo, exec_lo, s0
	v_dual_mov_b32 v58, v49 :: v_dual_mov_b32 v59, v54
	v_dual_mov_b32 v60, v48 :: v_dual_mov_b32 v61, v47
	;; [unrolled: 1-line block ×3, first 2 shown]
	v_mov_b32_e32 v64, v57
	s_mov_b32 s0, -8
	s_wait_dscnt 0x0
	s_barrier_signal -1
	s_barrier_wait -1
.LBB206_11:                             ;   Parent Loop BB206_5 Depth=1
                                        ; =>  This Inner Loop Header: Depth=2
	ds_load_b32 v74, v59
	ds_load_b32 v110, v60
	ds_load_2addr_b32 v[76:77], v64 offset1:1
	ds_load_b32 v111, v61
	ds_load_b32 v78, v62
	;; [unrolled: 1-line block ×3, first 2 shown]
	ds_load_b128 v[66:69], v58
	ds_load_b128 v[70:73], v58 offset:16
	v_add_nc_u32_e32 v65, 0x1080, v64
	v_add_nc_u32_e32 v75, 0x1088, v64
	;; [unrolled: 1-line block ×12, first 2 shown]
	ds_load_2addr_b32 v[80:81], v64 offset0:2 offset1:3
	ds_load_2addr_b32 v[82:83], v64 offset0:4 offset1:5
	;; [unrolled: 1-line block ×3, first 2 shown]
	ds_load_2addr_b32 v[86:87], v65 offset1:1
	ds_load_2addr_b32 v[88:89], v75 offset1:1
	;; [unrolled: 1-line block ×12, first 2 shown]
	s_wait_dscnt 0x15
	v_dual_mul_f32 v65, v74, v110 :: v_dual_add_nc_u32 v64, 32, v64
	v_dual_add_nc_u32 v63, 4, v63 :: v_dual_add_nc_u32 v62, 4, v62
	v_add_nc_u32_e32 v61, 4, v61
	s_wait_dscnt 0x10
	v_dot4_i32_iu8 v75, v66, v76, 0 neg_lo:[1,1,0]
	v_perm_b32 v76, v66, v67, 0xc0c0501
	v_perm_b32 v110, v69, v68, 0x5010c0c
	;; [unrolled: 1-line block ×6, first 2 shown]
	s_wait_dscnt 0xb
	v_dot4_i32_iu8 v86, v66, v86, 0 neg_lo:[1,1,0]
	s_wait_dscnt 0x7
	v_dot4_i32_iu8 v66, v66, v94, 0 neg_lo:[1,1,0]
	v_dot4_i32_iu8 v75, v67, v77, v75 neg_lo:[1,1,0]
	v_or_b32_e32 v76, v110, v76
	s_wait_dscnt 0x3
	v_perm_b32 v77, v102, v103, 0xc0c0501
	s_wait_dscnt 0x2
	v_perm_b32 v94, v105, v104, 0x5010c0c
	v_dual_add_nc_u32 v59, 4, v59 :: v_dual_bitop2_b32 v110, v113, v112 bitop3:0x54
	v_perm_b32 v112, v102, v103, 0xc0c0703
	v_perm_b32 v113, v105, v104, 0x7030c0c
	v_dot4_i32_iu8 v86, v67, v87, v86 neg_lo:[1,1,0]
	v_dot4_i32_iu8 v66, v67, v95, v66 neg_lo:[1,1,0]
	;; [unrolled: 1-line block ×3, first 2 shown]
	v_perm_b32 v115, v69, v68, 0x4000c0c
	v_perm_b32 v117, v69, v68, 0x6020c0c
	;; [unrolled: 1-line block ×10, first 2 shown]
	v_or_b32_e32 v75, v94, v77
	v_or_b32_e32 v77, v113, v112
	v_dot4_i32_iu8 v86, v68, v88, v86 neg_lo:[1,1,0]
	v_dot4_i32_iu8 v66, v68, v96, v66 neg_lo:[1,1,0]
	;; [unrolled: 1-line block ×3, first 2 shown]
	v_dual_add_nc_u32 v60, 4, v60 :: v_dual_bitop2_b32 v114, v115, v114 bitop3:0x54
	v_perm_b32 v115, v102, v103, 0xc0c0400
	v_dual_add_nc_u32 v58, 32, v58 :: v_dual_bitop2_b32 v116, v117, v116 bitop3:0x54
	v_perm_b32 v117, v105, v104, 0x4000c0c
	v_perm_b32 v102, v102, v103, 0xc0c0602
	;; [unrolled: 1-line block ×3, first 2 shown]
	v_or_b32_e32 v104, v119, v118
	s_wait_dscnt 0x1
	v_perm_b32 v105, v107, v106, 0xc0c0602
	v_or_b32_e32 v119, v121, v120
	v_perm_b32 v120, v107, v106, 0xc0c0400
	v_or_b32_e32 v122, v123, v122
	v_perm_b32 v123, v107, v106, 0xc0c0703
	v_or_b32_e32 v124, v125, v124
	s_wait_dscnt 0x0
	v_perm_b32 v125, v109, v108, 0x7030c0c
	v_perm_b32 v106, v107, v106, 0xc0c0501
	v_perm_b32 v107, v109, v108, 0x5010c0c
	v_dot4_i32_iu8 v68, v75, v76, 0 neg_lo:[1,1,0]
	v_dot4_i32_iu8 v75, v77, v110, 0 neg_lo:[1,1,0]
	;; [unrolled: 1-line block ×5, first 2 shown]
	v_or_b32_e32 v87, v103, v102
	v_or_b32_e32 v102, v125, v123
	;; [unrolled: 1-line block ×3, first 2 shown]
	v_dot4_i32_iu8 v77, v70, v90, v77 neg_lo:[1,1,0]
	v_dot4_i32_iu8 v66, v70, v98, v66 neg_lo:[1,1,0]
	;; [unrolled: 1-line block ×8, first 2 shown]
	v_perm_b32 v118, v109, v108, 0x6020c0c
	v_perm_b32 v121, v109, v108, 0x4000c0c
	v_dual_add_nc_u32 v68, v68, v70 :: v_dual_bitop2_b32 v80, v117, v115 bitop3:0x54
	v_dot4_i32_iu8 v70, v72, v92, v75 neg_lo:[1,1,0]
	v_dot4_i32_iu8 v66, v72, v100, v66 neg_lo:[1,1,0]
	;; [unrolled: 1-line block ×3, first 2 shown]
	v_or_b32_e32 v94, v118, v105
	v_or_b32_e32 v95, v121, v120
	v_dot4_i32_iu8 v76, v87, v116, 0 neg_lo:[1,1,0]
	v_dot4_i32_iu8 v69, v80, v114, 0 neg_lo:[1,1,0]
	v_cvt_f32_i32_e32 v72, v72
	v_dot4_i32_iu8 v70, v73, v93, v70 neg_lo:[1,1,0]
	v_dot4_i32_iu8 v73, v73, v101, v66 neg_lo:[1,1,0]
	v_mul_f32_e32 v71, v74, v111
	v_dot4_i32_iu8 v69, v95, v119, v69 neg_lo:[1,1,0]
	v_fmac_f32_e32 v50, v65, v72
	v_dot4_i32_iu8 v76, v94, v104, v76 neg_lo:[1,1,0]
	v_pk_mul_f32 v[66:67], v[74:75], v[78:79] op_sel_hi:[0,1]
	v_cvt_f32_i32_e32 v70, v70
	s_add_co_i32 s0, s0, 8
	s_delay_alu instid0(VALU_DEP_3) | instskip(SKIP_1) | instid1(VALU_DEP_2)
	v_add3_u32 v68, v69, v76, v68
	s_cmp_lt_u32 s0, 24
	v_fmac_f32_e32 v41, v71, v70
	s_delay_alu instid0(VALU_DEP_2) | instskip(SKIP_1) | instid1(VALU_DEP_1)
	v_cvt_f32_i32_e32 v69, v68
	v_cvt_f32_i32_e32 v68, v73
	v_pk_fma_f32 v[16:17], v[66:67], v[68:69], v[16:17]
	s_cbranch_scc1 .LBB206_11
; %bb.12:                               ;   in Loop: Header=BB206_5 Depth=1
	s_barrier_signal -1
	s_barrier_wait -1
	s_branch .LBB206_4
.LBB206_13:
	s_mul_i32 s0, s10, s7
	s_wait_loadcnt 0x0
	v_cmp_gt_i32_e32 vcc_lo, s0, v1
	s_and_saveexec_b32 s0, vcc_lo
	s_cbranch_execz .LBB206_22
; %bb.14:
	v_mul_lo_u32 v0, v1, s9
	v_add_nc_u32_e32 v1, s11, v3
	s_mov_b32 s0, exec_lo
	s_delay_alu instid0(VALU_DEP_1)
	v_cmpx_gt_u32_e64 s9, v1
	s_cbranch_execz .LBB206_16
; %bb.15:
	s_delay_alu instid0(VALU_DEP_3)
	v_add_nc_u32_e32 v2, v0, v1
	v_cvt_f16_f32_e32 v3, v50
	global_store_b16 v2, v3, s[12:13] scale_offset
.LBB206_16:
	s_wait_xcnt 0x0
	s_or_b32 exec_lo, exec_lo, s0
	v_add_nc_u32_e32 v2, 32, v1
	s_mov_b32 s0, exec_lo
	s_delay_alu instid0(VALU_DEP_1)
	v_cmpx_gt_u32_e64 s9, v2
	s_cbranch_execz .LBB206_18
; %bb.17:
	v_add_nc_u32_e32 v2, v0, v2
	v_cvt_f16_f32_e32 v3, v41
	global_store_b16 v2, v3, s[12:13] scale_offset
.LBB206_18:
	s_wait_xcnt 0x0
	s_or_b32 exec_lo, exec_lo, s0
	v_add_nc_u32_e32 v2, 64, v1
	s_mov_b32 s0, exec_lo
	s_delay_alu instid0(VALU_DEP_1)
	v_cmpx_gt_u32_e64 s9, v2
	s_cbranch_execz .LBB206_20
; %bb.19:
	v_add_nc_u32_e32 v2, v0, v2
	v_cvt_f16_f32_e32 v3, v16
	global_store_b16 v2, v3, s[12:13] scale_offset
.LBB206_20:
	s_wait_xcnt 0x0
	s_or_b32 exec_lo, exec_lo, s0
	v_add_nc_u32_e32 v1, 0x60, v1
	s_delay_alu instid0(VALU_DEP_1)
	v_cmp_gt_u32_e32 vcc_lo, s9, v1
	s_and_b32 exec_lo, exec_lo, vcc_lo
	s_cbranch_execz .LBB206_22
; %bb.21:
	v_add_nc_u32_e32 v0, v0, v1
	v_cvt_f16_f32_e32 v1, v17
	global_store_b16 v0, v1, s[12:13] scale_offset
.LBB206_22:
	s_sendmsg sendmsg(MSG_DEALLOC_VGPRS)
	s_endpgm
	.section	.rodata,"a",@progbits
	.p2align	6, 0x0
	.amdhsa_kernel _ZL8moe_q8_0IN3c104HalfELb1EEvPKvS3_PT_PKiS7_S7_iiiiiii
		.amdhsa_group_segment_fixed_size 20160
		.amdhsa_private_segment_fixed_size 0
		.amdhsa_kernarg_size 76
		.amdhsa_user_sgpr_count 2
		.amdhsa_user_sgpr_dispatch_ptr 0
		.amdhsa_user_sgpr_queue_ptr 0
		.amdhsa_user_sgpr_kernarg_segment_ptr 1
		.amdhsa_user_sgpr_dispatch_id 0
		.amdhsa_user_sgpr_kernarg_preload_length 0
		.amdhsa_user_sgpr_kernarg_preload_offset 0
		.amdhsa_user_sgpr_private_segment_size 0
		.amdhsa_wavefront_size32 1
		.amdhsa_uses_dynamic_stack 0
		.amdhsa_enable_private_segment 0
		.amdhsa_system_sgpr_workgroup_id_x 1
		.amdhsa_system_sgpr_workgroup_id_y 1
		.amdhsa_system_sgpr_workgroup_id_z 0
		.amdhsa_system_sgpr_workgroup_info 0
		.amdhsa_system_vgpr_workitem_id 1
		.amdhsa_next_free_vgpr 126
		.amdhsa_next_free_sgpr 20
		.amdhsa_named_barrier_count 0
		.amdhsa_reserve_vcc 1
		.amdhsa_float_round_mode_32 0
		.amdhsa_float_round_mode_16_64 0
		.amdhsa_float_denorm_mode_32 3
		.amdhsa_float_denorm_mode_16_64 3
		.amdhsa_fp16_overflow 0
		.amdhsa_memory_ordered 1
		.amdhsa_forward_progress 1
		.amdhsa_inst_pref_size 30
		.amdhsa_round_robin_scheduling 0
		.amdhsa_exception_fp_ieee_invalid_op 0
		.amdhsa_exception_fp_denorm_src 0
		.amdhsa_exception_fp_ieee_div_zero 0
		.amdhsa_exception_fp_ieee_overflow 0
		.amdhsa_exception_fp_ieee_underflow 0
		.amdhsa_exception_fp_ieee_inexact 0
		.amdhsa_exception_int_div_zero 0
	.end_amdhsa_kernel
	.section	.text._ZL8moe_q8_0IN3c104HalfELb1EEvPKvS3_PT_PKiS7_S7_iiiiiii,"axG",@progbits,_ZL8moe_q8_0IN3c104HalfELb1EEvPKvS3_PT_PKiS7_S7_iiiiiii,comdat
.Lfunc_end206:
	.size	_ZL8moe_q8_0IN3c104HalfELb1EEvPKvS3_PT_PKiS7_S7_iiiiiii, .Lfunc_end206-_ZL8moe_q8_0IN3c104HalfELb1EEvPKvS3_PT_PKiS7_S7_iiiiiii
                                        ; -- End function
	.set _ZL8moe_q8_0IN3c104HalfELb1EEvPKvS3_PT_PKiS7_S7_iiiiiii.num_vgpr, 126
	.set _ZL8moe_q8_0IN3c104HalfELb1EEvPKvS3_PT_PKiS7_S7_iiiiiii.num_agpr, 0
	.set _ZL8moe_q8_0IN3c104HalfELb1EEvPKvS3_PT_PKiS7_S7_iiiiiii.numbered_sgpr, 20
	.set _ZL8moe_q8_0IN3c104HalfELb1EEvPKvS3_PT_PKiS7_S7_iiiiiii.num_named_barrier, 0
	.set _ZL8moe_q8_0IN3c104HalfELb1EEvPKvS3_PT_PKiS7_S7_iiiiiii.private_seg_size, 0
	.set _ZL8moe_q8_0IN3c104HalfELb1EEvPKvS3_PT_PKiS7_S7_iiiiiii.uses_vcc, 1
	.set _ZL8moe_q8_0IN3c104HalfELb1EEvPKvS3_PT_PKiS7_S7_iiiiiii.uses_flat_scratch, 0
	.set _ZL8moe_q8_0IN3c104HalfELb1EEvPKvS3_PT_PKiS7_S7_iiiiiii.has_dyn_sized_stack, 0
	.set _ZL8moe_q8_0IN3c104HalfELb1EEvPKvS3_PT_PKiS7_S7_iiiiiii.has_recursion, 0
	.set _ZL8moe_q8_0IN3c104HalfELb1EEvPKvS3_PT_PKiS7_S7_iiiiiii.has_indirect_call, 0
	.section	.AMDGPU.csdata,"",@progbits
; Kernel info:
; codeLenInByte = 3720
; TotalNumSgprs: 22
; NumVgprs: 126
; ScratchSize: 0
; MemoryBound: 0
; FloatMode: 240
; IeeeMode: 1
; LDSByteSize: 20160 bytes/workgroup (compile time only)
; SGPRBlocks: 0
; VGPRBlocks: 7
; NumSGPRsForWavesPerEU: 22
; NumVGPRsForWavesPerEU: 126
; NamedBarCnt: 0
; Occupancy: 8
; WaveLimiterHint : 1
; COMPUTE_PGM_RSRC2:SCRATCH_EN: 0
; COMPUTE_PGM_RSRC2:USER_SGPR: 2
; COMPUTE_PGM_RSRC2:TRAP_HANDLER: 0
; COMPUTE_PGM_RSRC2:TGID_X_EN: 1
; COMPUTE_PGM_RSRC2:TGID_Y_EN: 1
; COMPUTE_PGM_RSRC2:TGID_Z_EN: 0
; COMPUTE_PGM_RSRC2:TIDIG_COMP_CNT: 1
	.section	.text._ZL8moe_q2_KIN3c104HalfELb0EEvPKvS3_PT_PKiS7_S7_iiiiiii,"axG",@progbits,_ZL8moe_q2_KIN3c104HalfELb0EEvPKvS3_PT_PKiS7_S7_iiiiiii,comdat
	.globl	_ZL8moe_q2_KIN3c104HalfELb0EEvPKvS3_PT_PKiS7_S7_iiiiiii ; -- Begin function _ZL8moe_q2_KIN3c104HalfELb0EEvPKvS3_PT_PKiS7_S7_iiiiiii
	.p2align	8
	.type	_ZL8moe_q2_KIN3c104HalfELb0EEvPKvS3_PT_PKiS7_S7_iiiiiii,@function
_ZL8moe_q2_KIN3c104HalfELb0EEvPKvS3_PT_PKiS7_S7_iiiiiii: ; @_ZL8moe_q2_KIN3c104HalfELb0EEvPKvS3_PT_PKiS7_S7_iiiiiii
; %bb.0:
	s_load_b128 s[4:7], s[0:1], 0x18
	s_bfe_u32 s2, ttmp6, 0x40010
	s_bfe_u32 s8, ttmp6, 0x40004
	s_add_co_i32 s2, s2, 1
	s_delay_alu instid0(SALU_CYCLE_1)
	s_mul_i32 s3, ttmp7, s2
	s_getreg_b32 s2, hwreg(HW_REG_IB_STS2, 6, 4)
	s_add_co_i32 s8, s8, s3
	s_cmp_eq_u32 s2, 0
	s_cselect_b32 s3, ttmp7, s8
	s_wait_kmcnt 0x0
	s_load_b32 s12, s[6:7], s3 offset:0x0 scale_offset
	s_wait_kmcnt 0x0
	s_cmp_gt_u32 s12, 0xff
	s_cbranch_scc1 .LBB207_47
; %bb.1:
	s_load_b64 s[6:7], s[0:1], 0x28
	s_lshl_b32 s3, s3, 3
	s_wait_kmcnt 0x0
	s_load_b32 s6, s[6:7], 0x0
	s_wait_kmcnt 0x0
	s_cmp_gt_u32 s3, s6
	s_cbranch_scc1 .LBB207_47
; %bb.2:
	v_bfe_u32 v1, v0, 10, 10
	s_and_b32 s13, ttmp6, 15
	v_and_b32_e32 v13, 0x3ff, v0
	s_delay_alu instid0(VALU_DEP_2) | instskip(SKIP_1) | instid1(SALU_CYCLE_1)
	v_add_nc_u32_e32 v2, s3, v1
	s_bfe_u32 s3, ttmp6, 0x4000c
	s_add_co_i32 s3, s3, 1
	s_delay_alu instid0(SALU_CYCLE_1)
	s_mul_i32 s3, ttmp9, s3
	global_load_b32 v9, v2, s[4:5] scale_offset
	s_clause 0x2
	s_load_b64 s[10:11], s[0:1], 0x30
	s_load_b64 s[8:9], s[0:1], 0x10
	s_load_b128 s[4:7], s[0:1], 0x3c
	s_add_co_i32 s13, s13, s3
	s_cmp_eq_u32 s2, 0
	s_cselect_b32 s2, ttmp9, s13
	s_mov_b32 s13, 0
	s_lshl_b32 s18, s2, 7
	s_wait_kmcnt 0x0
	s_cmp_lt_i32 s11, 0x100
	s_cbranch_scc1 .LBB207_37
; %bb.3:
	s_load_b128 s[0:3], s[0:1], 0x0
	s_mul_i32 s16, s12, s10
	s_wait_loadcnt 0x0
	v_dual_sub_nc_u32 v7, 0, v9 :: v_dual_bitop2_b32 v64, 7, v0 bitop3:0x40
	s_ashr_i32 s17, s16, 31
	v_dual_mov_b32 v11, 0 :: v_dual_lshlrev_b32 v4, 2, v13
	s_delay_alu instid0(VALU_DEP_2) | instskip(SKIP_2) | instid1(VALU_DEP_4)
	v_dual_lshlrev_b32 v22, 2, v64 :: v_dual_max_i32 v7, v9, v7
	v_lshlrev_b32_e32 v5, 4, v1
	v_bfe_u32 v2, v0, 1, 9
	v_and_b32_e32 v10, 60, v4
	v_and_b32_e32 v16, 1, v0
	v_bfe_u32 v45, v0, 3, 7
	s_ashr_i32 s14, s11, 31
	v_add_nc_u32_e32 v2, v2, v5
	s_ashr_i32 s15, s5, 31
	s_lshr_b32 s10, s14, 24
	v_lshl_add_u32 v56, v1, 2, v45
	s_lshr_b32 s12, s15, 27
	s_wait_kmcnt 0x0
	s_add_nc_u64 s[16:17], s[0:1], s[16:17]
	s_abs_i32 s0, s7
	v_and_b32_e32 v6, 0x7f, v2
	s_cvt_f32_u32 s1, s0
	s_sub_co_i32 s19, 0, s0
	s_add_co_i32 s10, s11, s10
	s_add_co_i32 s12, s5, s12
	v_rcp_iflag_f32_e32 v3, s1
	s_ashr_i32 s5, s10, 8
	s_ashr_i32 s10, s12, 5
	s_lshl_b32 s12, s5, 3
	v_mad_u32_u24 v15, 0x84, v1, v4
	v_mul_i32_i24_e32 v12, s5, v1
	v_lshrrev_b32_e32 v2, 2, v2
	v_readfirstlane_b32 s1, v3
	v_lshlrev_b32_e32 v3, 2, v16
	v_mad_i32_i24 v14, s5, v1, s12
	v_lshl_add_u32 v51, v1, 7, 0x56a0
	v_dual_mov_b32 v19, v11 :: v_dual_bitop2_b32 v2, 28, v2 bitop3:0x40
	s_mul_f32 s1, s1, 0x4f7ffffe
	v_lshl_or_b32 v3, v6, 3, v3
	v_and_b32_e32 v21, 0x1ffc, v56
	v_add_nc_u32_e32 v55, 0x5aa0, v5
	s_cvt_u32_f32 s1, s1
	v_bfe_u32 v8, v0, 4, 6
	v_add3_u32 v49, v3, v2, 0x5280
	v_dual_add_nc_u32 v2, 32, v56 :: v_dual_add_nc_u32 v3, 64, v56
	s_mul_i32 s19, s19, s1
	v_lshlrev_b32_e32 v40, 5, v56
	s_mul_hi_u32 s19, s1, s19
	s_delay_alu instid0(VALU_DEP_2)
	v_dual_lshlrev_b32 v44, 5, v2 :: v_dual_bitop2_b32 v18, 12, v4 bitop3:0x40
	s_add_co_i32 s1, s1, s19
	v_and_b32_e32 v28, 0x3ffc, v3
	v_mul_hi_u32 v20, v7, s1
	v_lshlrev_b32_e32 v48, 5, v3
	v_and_b32_e32 v26, 0x3ffc, v2
	v_add3_u32 v21, v21, v22, 0x4200
	v_add3_u32 v46, v28, v22, 0x4200
	s_lshl_b32 s19, s5, 5
	v_cmp_lt_u32_e64 s1, 3, v64
	v_xor_b32_e32 v1, s7, v9
	v_add3_u32 v42, v26, v22, 0x4200
	s_mul_i32 s14, s5, s18
	v_add_nc_u32_e32 v17, 0x420, v15
	v_mul_lo_u32 v24, v20, s0
	v_add_nc_u32_e32 v3, 1, v20
	s_ashr_i32 s15, s14, 31
	v_add_nc_u32_e32 v25, 0x840, v15
	v_add_nc_u32_e32 v27, 0xc60, v15
	;; [unrolled: 1-line block ×8, first 2 shown]
	v_sub_nc_u32_e32 v7, v7, v24
	v_add_nc_u32_e32 v47, 0x2940, v15
	v_add_nc_u32_e32 v92, 0x2d60, v15
	;; [unrolled: 1-line block ×4, first 2 shown]
	v_cmp_le_u32_e32 vcc_lo, s0, v7
	v_add_nc_u32_e32 v23, 0x60, v56
	v_add_nc_u32_e32 v95, 0x39c0, v15
	v_add_nc_u32_e32 v96, 0x3de0, v15
	v_dual_cndmask_b32 v20, v20, v3 :: v_dual_lshlrev_b32 v101, 2, v8
	s_delay_alu instid0(VALU_DEP_4) | instskip(SKIP_3) | instid1(VALU_DEP_4)
	v_and_b32_e32 v30, 0x3ffc, v23
	v_lshlrev_b32_e32 v52, 5, v23
	v_subrev_nc_u32_e32 v23, s0, v7
	v_dual_mov_b32 v3, v11 :: v_dual_bitop2_b32 v2, 28, v4 bitop3:0x40
	v_add3_u32 v50, v30, v22, 0x4200
	s_delay_alu instid0(VALU_DEP_3) | instskip(SKIP_2) | instid1(VALU_DEP_3)
	v_dual_cndmask_b32 v7, v7, v23, vcc_lo :: v_dual_bitop2_b32 v22, 31, v0 bitop3:0x40
	v_dual_add_nc_u32 v23, 1, v20 :: v_dual_ashrrev_i32 v1, 31, v1
	v_add_nc_u32_e32 v57, v55, v4
	v_lshl_add_u32 v53, v22, 2, v51
	s_delay_alu instid0(VALU_DEP_4)
	v_cmp_le_u32_e32 vcc_lo, s0, v7
	v_dual_add_nc_u32 v4, 32, v13 :: v_dual_lshlrev_b32 v54, 1, v13
	v_add_nc_u32_e32 v22, 0x60, v13
	v_dual_cndmask_b32 v5, v20, v23 :: v_dual_add_nc_u32 v24, s12, v14
	v_dual_add_nc_u32 v20, 64, v13 :: v_dual_lshlrev_b32 v23, 5, v13
	v_and_b32_e32 v0, 0xfc, v0
	v_and_b32_e32 v31, 0x1fc, v4
	v_and_b32_e32 v36, 0x1fc, v22
	s_delay_alu instid0(VALU_DEP_4) | instskip(SKIP_1) | instid1(VALU_DEP_4)
	v_and_b32_e32 v34, 0x1fc, v20
	v_dual_lshlrev_b32 v58, 1, v4 :: v_dual_bitop2_b32 v5, v5, v1 bitop3:0x14
	v_dual_add_nc_u32 v59, v23, v0 :: v_dual_add_nc_u32 v61, v23, v31
	s_delay_alu instid0(VALU_DEP_3) | instskip(SKIP_1) | instid1(VALU_DEP_4)
	v_dual_add_nc_u32 v63, v23, v34 :: v_dual_add_nc_u32 v65, v23, v36
	v_dual_mov_b32 v23, v11 :: v_dual_add_nc_u32 v26, s12, v24
	v_dual_lshlrev_b32 v66, 1, v22 :: v_dual_sub_nc_u32 v1, v5, v1
	v_dual_lshrrev_b32 v5, 4, v4 :: v_dual_lshrrev_b32 v0, 4, v22
	s_delay_alu instid0(VALU_DEP_3) | instskip(SKIP_1) | instid1(VALU_DEP_4)
	v_add_nc_u32_e32 v28, s12, v26
	v_lshrrev_b32_e32 v79, 3, v22
	v_mul_lo_u32 v30, v1, s10
	v_add_nc_u32_e32 v81, v21, v40
	v_dual_add_nc_u32 v82, v42, v44 :: v_dual_lshlrev_b32 v85, 2, v54
	v_add_nc_u32_e32 v32, s12, v28
	v_dual_lshlrev_b32 v60, 1, v20 :: v_dual_lshrrev_b32 v62, 4, v20
	v_dual_mov_b32 v21, v11 :: v_dual_add_nc_u32 v84, v50, v52
	s_delay_alu instid0(VALU_DEP_3) | instskip(SKIP_3) | instid1(VALU_DEP_4)
	v_dual_lshlrev_b32 v87, 2, v58 :: v_dual_add_nc_u32 v34, s12, v32
	v_dual_lshrrev_b32 v67, 3, v4 :: v_dual_ashrrev_i32 v31, 31, v30
	v_lshlrev_b32_e32 v86, 2, v5
	v_mul_i32_i24_e32 v54, s5, v56
	v_add_nc_u32_e32 v36, s12, v34
	v_mad_i32_i24 v56, s5, v56, s19
	v_mul_u32_u24_e32 v7, 33, v13
	v_dual_lshlrev_b32 v88, 2, v62 :: v_dual_lshlrev_b32 v89, 2, v60
	s_delay_alu instid0(VALU_DEP_4) | instskip(NEXT) | instid1(VALU_DEP_4)
	v_add_nc_u32_e32 v40, s12, v36
	v_dual_add_nc_u32 v60, s19, v56 :: v_dual_lshlrev_b32 v91, 2, v66
	v_cmp_gt_u32_e32 vcc_lo, 4, v13
	v_cmp_gt_i32_e64 s0, s4, v1
	s_delay_alu instid0(VALU_DEP_4) | instskip(SKIP_3) | instid1(VALU_DEP_4)
	v_add_nc_u32_e32 v42, s12, v40
	v_add_nc_u32_e32 v83, v46, v48
	v_add_nc_u64_e32 v[38:39], s[2:3], v[2:3]
	v_dual_lshrrev_b32 v78, 3, v20 :: v_dual_lshlrev_b32 v80, 2, v7
	v_dual_add_nc_u32 v44, s12, v42 :: v_dual_mov_b32 v22, v11
	v_mov_b32_e32 v20, v11
	v_mul_i32_i24_e32 v50, s5, v6
	v_add_nc_u32_e32 v97, 0x4200, v59
	s_delay_alu instid0(VALU_DEP_4)
	v_add_nc_u32_e32 v46, s12, v44
	v_lshlrev_b32_e32 v90, 2, v0
	v_add_nc_u32_e32 v98, 0x4600, v61
	v_add_nc_u32_e32 v99, 0x4a00, v63
	;; [unrolled: 1-line block ×4, first 2 shown]
	v_cndmask_b32_e64 v64, 0, 1, s1
	v_add_nc_u32_e32 v66, s19, v60
	s_mul_u64 s[14:15], s[14:15], 0x54
	s_delay_alu instid0(VALU_DEP_3) | instskip(SKIP_2) | instid1(VALU_DEP_1)
	v_add_nc_u32_e32 v52, s12, v48
	s_add_nc_u64 s[14:15], s[16:17], s[14:15]
	s_and_b32 s16, vcc_lo, s0
	v_add_nc_u32_e32 v58, s12, v52
	s_delay_alu instid0(VALU_DEP_1)
	v_add_nc_u32_e32 v62, s12, v58
	s_mov_b32 s12, s13
	s_branch .LBB207_5
.LBB207_4:                              ;   in Loop: Header=BB207_5 Depth=1
	s_add_co_i32 s12, s12, 2
	s_delay_alu instid0(SALU_CYCLE_1)
	s_cmp_ge_i32 s12, s5
	s_cbranch_scc1 .LBB207_38
.LBB207_5:                              ; =>This Loop Header: Depth=1
                                        ;     Child Loop BB207_11 Depth 2
                                        ;     Child Loop BB207_19 Depth 2
	;; [unrolled: 1-line block ×4, first 2 shown]
	s_mul_u64 s[20:21], s[12:13], 0x54
	s_lshl_b32 s17, s12, 8
	s_add_nc_u64 s[20:21], s[14:15], s[20:21]
	s_cmp_lt_i32 s17, s11
	s_wait_xcnt 0x5
	v_mad_nc_u64_u32 v[0:1], 0x54, v8, s[20:21]
	s_wait_xcnt 0x0
	v_mad_nc_u64_u32 v[4:5], 0x54, v64, s[20:21]
	v_mad_nc_u64_u32 v[2:3], 0x54, v50, s[20:21]
	s_delay_alu instid0(VALU_DEP_3)
	v_mad_nc_u64_u32 v[6:7], 0x54, v12, v[0:1]
	v_mad_nc_u64_u32 v[68:69], 0x54, v14, v[0:1]
	;; [unrolled: 1-line block ×14, first 2 shown]
	v_add_nc_u64_e32 v[6:7], v[6:7], v[10:11]
	v_mad_nc_u64_u32 v[118:119], 0x54, v58, v[0:1]
	v_add_nc_u64_e32 v[68:69], v[68:69], v[10:11]
	v_mad_nc_u64_u32 v[0:1], 0x54, v62, v[0:1]
	v_add_nc_u64_e32 v[70:71], v[70:71], v[10:11]
	v_add_nc_u64_e32 v[72:73], v[72:73], v[10:11]
	v_add_nc_u64_e32 v[74:75], v[74:75], v[10:11]
	v_add_nc_u64_e32 v[4:5], v[4:5], v[18:19]
	v_add_nc_u64_e32 v[76:77], v[76:77], v[10:11]
	v_add_nc_u64_e32 v[102:103], v[102:103], v[10:11]
	v_add_nc_u64_e32 v[106:107], v[106:107], v[10:11]
	v_add_nc_u64_e32 v[104:105], v[104:105], v[10:11]
	s_clause 0x7
	global_load_b32 v120, v[6:7], off offset:16
	global_load_b32 v121, v[68:69], off offset:16
	;; [unrolled: 1-line block ×8, first 2 shown]
	s_wait_xcnt 0x7
	v_add_nc_u64_e32 v[6:7], v[108:109], v[10:11]
	s_wait_xcnt 0x6
	v_add_nc_u64_e32 v[68:69], v[110:111], v[10:11]
	;; [unrolled: 2-line block ×4, first 2 shown]
	v_mad_nc_u64_u32 v[2:3], 0x54, v16, v[2:3]
	s_wait_xcnt 0x3
	v_add_nc_u64_e32 v[74:75], v[116:117], v[10:11]
	s_wait_xcnt 0x1
	v_mad_nc_u64_u32 v[102:103], 0x54, v54, v[4:5]
	v_add_nc_u64_e32 v[76:77], v[118:119], v[10:11]
	s_wait_xcnt 0x0
	v_mad_nc_u64_u32 v[104:105], 0x54, v56, v[4:5]
	v_add_nc_u64_e32 v[0:1], v[0:1], v[10:11]
	v_mad_nc_u64_u32 v[108:109], 0x54, v60, v[4:5]
	v_mad_nc_u64_u32 v[4:5], 0x54, v66, v[4:5]
	s_clause 0xc
	global_load_b32 v110, v[106:107], off offset:16
	global_load_b32 v111, v[6:7], off offset:16
	;; [unrolled: 1-line block ×9, first 2 shown]
	global_load_b32 v119, v[102:103], off
	global_load_b32 v128, v[104:105], off
	;; [unrolled: 1-line block ×4, first 2 shown]
	s_wait_loadcnt 0x14
	ds_store_b32 v15, v120
	s_wait_loadcnt 0x13
	ds_store_b32 v17, v121
	s_wait_loadcnt 0x12
	ds_store_b32 v25, v122
	s_wait_loadcnt 0x11
	ds_store_b32 v27, v123
	s_wait_loadcnt 0x10
	ds_store_b32 v29, v124
	s_wait_loadcnt 0xf
	ds_store_b32 v33, v125
	s_wait_loadcnt 0xe
	ds_store_b32 v35, v126
	s_wait_loadcnt 0xd
	ds_store_b32 v37, v127
	s_wait_loadcnt 0xc
	ds_store_b32 v41, v110
	s_wait_loadcnt 0xb
	ds_store_b32 v43, v111
	s_wait_loadcnt 0xa
	ds_store_b32 v47, v112
	s_wait_loadcnt 0x9
	ds_store_b32 v92, v113
	s_wait_loadcnt 0x8
	ds_store_b32 v93, v114
	s_wait_loadcnt 0x7
	ds_store_b32 v94, v115
	s_wait_loadcnt 0x6
	ds_store_b32 v95, v116
	s_wait_loadcnt 0x5
	ds_store_b32 v96, v117
	s_wait_loadcnt 0x4
	ds_store_b32 v49, v118
	s_wait_loadcnt 0x3
	ds_store_b32 v81, v119
	s_wait_loadcnt 0x2
	ds_store_b32 v82, v128
	s_wait_loadcnt 0x1
	ds_store_b32 v83, v129
	s_wait_loadcnt 0x0
	ds_store_b32 v84, v130
	s_cbranch_scc0 .LBB207_4
; %bb.6:                                ;   in Loop: Header=BB207_5 Depth=1
	s_lshl_b32 s19, s12, 3
	s_wait_xcnt 0x5
	v_add_nc_u32_e32 v0, s19, v45
	s_delay_alu instid0(VALU_DEP_1)
	v_cmp_gt_i32_e64 s1, s10, v0
	s_and_b32 s20, s0, s1
	s_wait_xcnt 0x0
	s_and_saveexec_b32 s1, s20
	s_cbranch_execz .LBB207_8
; %bb.7:                                ;   in Loop: Header=BB207_5 Depth=1
	v_add_nc_u32_e32 v0, v30, v0
	s_delay_alu instid0(VALU_DEP_1)
	v_mad_nc_i64_i32 v[0:1], v0, 36, v[38:39]
	global_load_b32 v0, v[0:1], off offset:4
	s_wait_loadcnt 0x0
	ds_store_b32 v53, v0
.LBB207_8:                              ;   in Loop: Header=BB207_5 Depth=1
	s_or_b32 exec_lo, exec_lo, s1
	v_add_nc_u32_e32 v68, s19, v13
	s_delay_alu instid0(VALU_DEP_1) | instskip(SKIP_1) | instid1(SALU_CYCLE_1)
	v_cmp_gt_i32_e64 s1, s10, v68
	s_and_b32 s20, s16, s1
	s_and_saveexec_b32 s1, s20
	s_cbranch_execz .LBB207_10
; %bb.9:                                ;   in Loop: Header=BB207_5 Depth=1
	v_add_nc_u32_e32 v0, v30, v68
	s_delay_alu instid0(VALU_DEP_1)
	v_mad_nc_i64_i32 v[0:1], v0, 36, s[2:3]
	global_load_b32 v0, v[0:1], off
	s_wait_loadcnt 0x0
	v_cvt_f32_f16_e32 v0, v0
	ds_store_b32 v57, v0
.LBB207_10:                             ;   in Loop: Header=BB207_5 Depth=1
	s_or_b32 exec_lo, exec_lo, s1
	v_dual_mov_b32 v69, v55 :: v_dual_mov_b32 v71, v51
	s_mov_b32 s1, 0
	s_wait_dscnt 0x0
	s_barrier_signal -1
	s_barrier_wait -1
.LBB207_11:                             ;   Parent Loop BB207_5 Depth=1
                                        ; =>  This Inner Loop Header: Depth=2
	s_and_b32 s21, s1, 0x3ffffff8
	ds_load_b32 v70, v69
	ds_load_b128 v[4:7], v71
	ds_load_b128 v[0:3], v71 offset:16
	v_lshl_add_u32 v74, s21, 2, v80
	s_lshr_b32 s22, s1, 2
	s_and_b32 s20, s1, -16
	s_and_b32 s21, s22, 0x3ffffffc
	s_add_co_i32 s20, s1, s20
	ds_load_2addr_b32 v[72:73], v74 offset0:4 offset1:7
	s_addk_co_i32 s21, 0x5280
	v_dual_add_nc_u32 v75, s20, v97 :: v_dual_add_nc_u32 v76, s20, v98
	v_dual_add_nc_u32 v124, s20, v99 :: v_dual_add_nc_u32 v77, s20, v100
	v_add3_u32 v108, s21, v101, v85
	v_add3_u32 v109, s21, v86, v87
	;; [unrolled: 1-line block ×4, first 2 shown]
	v_add_nc_u32_e32 v112, 0x1080, v74
	v_add_nc_u32_e32 v113, 0x1088, v74
	;; [unrolled: 1-line block ×12, first 2 shown]
	ds_load_2addr_b32 v[102:103], v74 offset1:1
	ds_load_2addr_b32 v[104:105], v74 offset0:2 offset1:3
	ds_load_2addr_b32 v[106:107], v74 offset0:5 offset1:6
	ds_load_u16 v132, v75
	ds_load_b32 v133, v108
	ds_load_b32 v134, v109
	;; [unrolled: 1-line block ×4, first 2 shown]
	ds_load_u16 v77, v77
	ds_load_2addr_b32 v[108:109], v114 offset0:36 offset1:39
	ds_load_2addr_b32 v[110:111], v112 offset1:1
	ds_load_2addr_b32 v[112:113], v113 offset1:1
	;; [unrolled: 1-line block ×5, first 2 shown]
	ds_load_u16 v75, v76
	ds_load_2addr_b32 v[120:121], v120 offset1:1
	ds_load_2addr_b32 v[122:123], v122 offset1:1
	ds_load_u16 v76, v124
	ds_load_2addr_b32 v[124:125], v125 offset1:1
	ds_load_2addr_b32 v[126:127], v126 offset1:1
	;; [unrolled: 1-line block ×4, first 2 shown]
	s_wait_dscnt 0x15
	v_dual_ashrrev_i32 v103, s1, v103 :: v_dual_ashrrev_i32 v105, s1, v105
	v_lshrrev_b16 v136, 8, v0
	v_dual_ashrrev_i32 v137, 24, v4 :: v_dual_ashrrev_i32 v144, 24, v5
	v_dual_ashrrev_i32 v138, 24, v0 :: v_dual_ashrrev_i32 v145, 24, v1
	v_bfe_i32 v140, v0, 0, 8
	v_bfe_i32 v141, v0, 16, 8
	;; [unrolled: 1-line block ×4, first 2 shown]
	v_lshrrev_b16 v0, 8, v1
	v_bfe_i32 v146, v4, 8, 8
	v_bfe_i32 v4, v1, 0, 8
	v_bfe_i32 v147, v1, 16, 8
	v_bfe_i32 v1, v5, 0, 8
	v_and_b32_e32 v168, 3, v103
	v_bfe_u32 v169, v103, 8, 2
	v_bfe_u32 v170, v103, 16, 2
	v_lshrrev_b32_e32 v103, 24, v103
	v_bfe_i32 v139, v5, 8, 8
	v_bfe_i32 v5, v5, 16, 8
	v_dual_ashrrev_i32 v72, s1, v72 :: v_dual_ashrrev_i32 v73, s1, v73
	v_mul_i32_i24_e32 v168, v168, v1
	s_wait_dscnt 0x9
	v_dual_ashrrev_i32 v117, s1, v117 :: v_dual_bitop2_b32 v103, 3, v103 bitop3:0x40
	v_dual_ashrrev_i32 v149, 24, v2 :: v_dual_ashrrev_i32 v156, 24, v3
	v_bfe_i32 v160, v3, 16, 8
	v_bfe_i32 v161, v3, 0, 8
	;; [unrolled: 1-line block ×4, first 2 shown]
	v_dual_ashrrev_i32 v107, s1, v107 :: v_dual_bitop2_b32 v171, 3, v72 bitop3:0x40
	v_bfe_u32 v172, v72, 8, 2
	v_bfe_u32 v173, v72, 16, 2
	v_dual_lshrrev_b32 v72, 24, v72 :: v_dual_ashrrev_i32 v111, s1, v111
	v_mad_i32_i24 v168, v169, v139, v168
	v_mul_i32_i24_e32 v169, v170, v5
	v_mul_i32_i24_e32 v103, v103, v144
	s_delay_alu instid0(VALU_DEP_4) | instskip(SKIP_2) | instid1(VALU_DEP_4)
	v_and_b32_e32 v72, 3, v72
	v_lshrrev_b16 v148, 8, v6
	v_dual_ashrrev_i32 v150, 24, v6 :: v_dual_ashrrev_i32 v157, 24, v7
	v_add3_u32 v103, v168, v169, v103
	v_mul_i32_i24_e32 v169, v172, v3
	v_bfe_i32 v151, v6, 16, 8
	v_bfe_i32 v152, v6, 0, 8
	v_dual_add_nc_u32 v6, v146, v139 :: v_dual_ashrrev_i32 v102, s1, v102
	s_wait_dscnt 0x3
	v_ashrrev_i32_e32 v125, s1, v125
	v_mad_i32_i24 v169, v171, v140, v169
	v_mul_i32_i24_e32 v171, v173, v141
	v_mul_i32_i24_e32 v72, v72, v138
	v_dual_ashrrev_i32 v104, s1, v104 :: v_dual_ashrrev_i32 v106, s1, v106
	v_and_b32_e32 v168, 3, v102
	v_dual_ashrrev_i32 v108, s1, v108 :: v_dual_bitop2_b32 v170, 3, v111 bitop3:0x40
	s_delay_alu instid0(VALU_DEP_4) | instskip(SKIP_4) | instid1(VALU_DEP_4)
	v_add3_u32 v72, v169, v171, v72
	v_and_b32_e32 v169, 3, v117
	v_dual_add_nc_u32 v165, v1, v142 :: v_dual_bitop2_b32 v171, 3, v125 bitop3:0x40
	v_add_nc_u32_e32 v167, v4, v140
	v_mul_i32_i24_e32 v170, v170, v1
	v_mul_i32_i24_e32 v169, v169, v1
	s_delay_alu instid0(VALU_DEP_4)
	v_mul_i32_i24_e32 v1, v171, v1
	v_bfe_u32 v171, v111, 8, 2
	v_mul_i32_i24_e32 v168, v142, v168
	v_bfe_i32 v136, v0, 0, 8
	v_ashrrev_i32_e32 v110, s1, v110
	v_bfe_i32 v153, v2, 16, 8
	v_mad_i32_i24 v170, v171, v139, v170
	v_bfe_u32 v171, v117, 8, 2
	v_bfe_i32 v154, v2, 0, 8
	v_bfe_i32 v155, v2, 8, 8
	v_lshrrev_b16 v2, 8, v7
	v_add_nc_u32_e32 v0, v145, v138
	v_mad_i32_i24 v169, v171, v139, v169
	v_bfe_u32 v171, v125, 8, 2
	v_ashrrev_i32_e32 v116, s1, v116
	v_bfe_i32 v163, v2, 0, 8
	v_dual_add_nc_u32 v2, v144, v137 :: v_dual_add_nc_u32 v164, v5, v143
	v_add_nc_u32_e32 v166, v147, v141
	v_mad_i32_i24 v139, v171, v139, v1
	v_dual_lshrrev_b32 v171, 24, v111 :: v_dual_bitop2_b32 v1, 3, v104 bitop3:0x40
	v_bfe_u32 v111, v111, 16, 2
	v_bfe_i32 v148, v148, 0, 8
	v_ashrrev_i32_e32 v112, s1, v112
	s_delay_alu instid0(VALU_DEP_4) | instskip(SKIP_3) | instid1(VALU_DEP_4)
	v_mul_i32_i24_e32 v1, v1, v152
	v_and_b32_e32 v171, 3, v171
	v_mul_i32_i24_e32 v111, v111, v5
	v_dual_ashrrev_i32 v124, s1, v124 :: v_dual_ashrrev_i32 v118, s1, v118
	v_add3_u32 v103, v103, v1, v168
	v_and_b32_e32 v1, 3, v108
	v_bfe_u32 v168, v108, 8, 2
	v_bfe_i32 v158, v7, 16, 8
	v_bfe_i32 v159, v7, 0, 8
	v_lshrrev_b16 v7, 8, v132
	v_mul_i32_i24_e32 v1, v1, v140
	v_lshrrev_b32_e32 v172, 24, v104
	v_add3_u32 v164, v164, v151, v158
	v_add3_u32 v165, v165, v152, v159
	v_dual_ashrrev_i32 v122, s1, v122 :: v_dual_lshrrev_b32 v174, 24, v105
	v_mad_i32_i24 v1, v168, v3, v1
	v_lshrrev_b32_e32 v168, 24, v108
	v_bfe_u32 v108, v108, 16, 2
	v_dual_lshrrev_b32 v175, 24, v73 :: v_dual_ashrrev_i32 v119, s1, v119
	v_add3_u32 v167, v167, v154, v161
	s_delay_alu instid0(VALU_DEP_4) | instskip(NEXT) | instid1(VALU_DEP_4)
	v_and_b32_e32 v168, 3, v168
	v_mul_i32_i24_e32 v108, v108, v141
	s_wait_dscnt 0x1
	v_dual_ashrrev_i32 v121, s1, v121 :: v_dual_ashrrev_i32 v128, s1, v128
	v_ashrrev_i32_e32 v129, s1, v129
	v_mul_i32_i24_e32 v168, v168, v138
	v_ashrrev_i32_e32 v114, s1, v114
	v_lshrrev_b16 v176, 8, v76
	v_add3_u32 v166, v166, v153, v160
	s_add_co_i32 s20, s1, 2
	v_add3_u32 v108, v1, v108, v168
	v_ashrrev_i32_e32 v1, s1, v120
	v_mul_i32_i24_e32 v171, v171, v144
	v_and_b32_e32 v120, 3, v106
	s_cmp_lt_u32 s1, 6
	v_dual_ashrrev_i32 v127, s1, v127 :: v_dual_ashrrev_i32 v109, s1, v109
	s_delay_alu instid0(VALU_DEP_3) | instskip(SKIP_4) | instid1(VALU_DEP_4)
	v_add3_u32 v111, v170, v111, v171
	v_lshrrev_b32_e32 v170, 8, v106
	v_mul_i32_i24_e32 v120, v120, v4
	v_lshrrev_b16 v171, 8, v77
	v_dual_ashrrev_i32 v113, s1, v113 :: v_dual_ashrrev_i32 v115, s1, v115
	v_and_b32_e32 v168, 3, v170
	v_add3_u32 v170, v2, v150, v157
	v_bfe_u32 v2, v125, 16, 2
	v_lshrrev_b32_e32 v173, 16, v107
	v_ashrrev_i32_e32 v123, s1, v123
	v_mul_i32_i24_e32 v168, v168, v136
	v_add_nc_u32_e32 v71, 32, v71
	v_mul_i32_i24_e32 v2, v2, v5
	v_add_nc_u32_e32 v69, 4, v69
	s_delay_alu instid0(VALU_DEP_4) | instskip(SKIP_3) | instid1(VALU_DEP_3)
	v_add3_u32 v72, v72, v120, v168
	v_ashrrev_i32_e32 v120, s1, v126
	v_bfe_u32 v126, v117, 16, 2
	v_bfe_u32 v117, v117, 24, 2
	v_and_b32_e32 v168, 3, v120
	s_delay_alu instid0(VALU_DEP_3) | instskip(NEXT) | instid1(VALU_DEP_3)
	v_mul_i32_i24_e32 v126, v126, v5
	v_mul_i32_i24_e32 v117, v117, v144
	v_bfe_u32 v5, v125, 24, 2
	v_bfe_u32 v125, v120, 16, 2
	s_delay_alu instid0(VALU_DEP_3) | instskip(SKIP_1) | instid1(VALU_DEP_4)
	v_add3_u32 v117, v169, v126, v117
	v_and_b32_e32 v126, 3, v1
	v_mul_i32_i24_e32 v5, v5, v144
	v_add3_u32 v169, v6, v148, v163
	v_add3_u32 v6, v0, v149, v156
	v_bfe_u32 v0, v1, 16, 2
	v_mul_i32_i24_e32 v126, v126, v140
	v_add3_u32 v5, v139, v2, v5
	v_cvt_f32_f16_e64 v2, v135
	v_lshrrev_b32_e32 v135, 16, v135
	v_mul_i32_i24_e32 v140, v168, v140
	v_bfe_u32 v168, v1, 8, 2
	v_bfe_u32 v1, v1, 24, 2
	v_mul_i32_i24_e32 v125, v125, v141
	v_mul_i32_i24_e32 v0, v0, v141
	v_lshrrev_b32_e32 v144, 16, v73
	v_mad_i32_i24 v126, v168, v3, v126
	v_bfe_u32 v168, v120, 8, 2
	v_bfe_u32 v120, v120, 24, 2
	v_mul_i32_i24_e32 v1, v1, v138
	v_bfe_u32 v139, v105, 8, 2
	v_bfe_u32 v141, v77, 4, 4
	v_mad_i32_i24 v140, v168, v3, v140
	v_mul_i32_i24_e32 v120, v120, v138
	v_bfe_u32 v168, v132, 4, 4
	v_and_b32_e32 v132, 15, v132
	v_add3_u32 v126, v126, v0, v1
	v_add_nc_u32_e32 v3, v136, v3
	v_add3_u32 v120, v140, v125, v120
	v_and_b32_e32 v125, 3, v110
	v_and_b32_e32 v138, 3, v112
	;; [unrolled: 1-line block ×3, first 2 shown]
	v_add3_u32 v177, v3, v155, v162
	v_cvt_f32_f16_e64 v1, v134
	v_mul_i32_i24_e32 v125, v142, v125
	v_mul_i32_i24_e32 v138, v138, v152
	v_dual_lshrrev_b32 v134, 16, v134 :: v_dual_bitop2_b32 v144, 3, v144 bitop3:0x40
	v_cvt_f32_f16_e64 v3, v135
	v_bfe_u32 v135, v113, 8, 2
	s_delay_alu instid0(VALU_DEP_4)
	v_add3_u32 v111, v111, v138, v125
	v_bfe_u32 v125, v102, 8, 2
	v_bfe_u32 v138, v102, 16, 2
	v_cvt_f32_f16_e64 v0, v133
	v_lshrrev_b32_e32 v133, 16, v133
	v_mul_i32_i24_e32 v139, v139, v163
	v_mul_i32_i24_e32 v125, v146, v125
	;; [unrolled: 1-line block ×4, first 2 shown]
	v_and_b32_e32 v77, 15, v77
	v_and_b32_e32 v132, 0xffff, v132
	s_delay_alu instid0(VALU_DEP_4) | instskip(SKIP_1) | instid1(VALU_DEP_4)
	v_add3_u32 v103, v103, v125, v138
	v_dual_lshrrev_b32 v125, 8, v114 :: v_dual_bitop2_b32 v138, 3, v114 bitop3:0x40
	v_and_b32_e32 v77, 0xffff, v77
	s_delay_alu instid0(VALU_DEP_2) | instskip(NEXT) | instid1(VALU_DEP_3)
	v_and_b32_e32 v125, 3, v125
	v_mul_i32_i24_e32 v138, v138, v4
	s_delay_alu instid0(VALU_DEP_2) | instskip(NEXT) | instid1(VALU_DEP_1)
	v_mul_i32_i24_e32 v125, v125, v136
	v_add3_u32 v108, v108, v138, v125
	v_dual_lshrrev_b32 v125, 16, v106 :: v_dual_bitop2_b32 v138, 3, v105 bitop3:0x40
	s_delay_alu instid0(VALU_DEP_1) | instskip(NEXT) | instid1(VALU_DEP_1)
	v_dual_lshrrev_b32 v106, 24, v106 :: v_dual_bitop2_b32 v125, 3, v125 bitop3:0x40
	v_and_b32_e32 v106, 3, v106
	s_delay_alu instid0(VALU_DEP_2) | instskip(NEXT) | instid1(VALU_DEP_2)
	v_mul_i32_i24_e32 v125, v125, v147
	v_mul_i32_i24_e32 v106, v106, v145
	s_delay_alu instid0(VALU_DEP_1) | instskip(SKIP_2) | instid1(VALU_DEP_2)
	v_add3_u32 v72, v72, v125, v106
	v_and_b32_e32 v106, 3, v116
	v_and_b32_e32 v125, 3, v118
	v_mul_i32_i24_e32 v106, v142, v106
	s_delay_alu instid0(VALU_DEP_2) | instskip(NEXT) | instid1(VALU_DEP_1)
	v_mul_i32_i24_e32 v125, v125, v152
	v_add3_u32 v106, v117, v125, v106
	v_and_b32_e32 v117, 3, v121
	v_bfe_u32 v125, v121, 8, 2
	s_delay_alu instid0(VALU_DEP_2) | instskip(NEXT) | instid1(VALU_DEP_2)
	v_mul_i32_i24_e32 v117, v117, v4
	v_mul_i32_i24_e32 v125, v125, v136
	s_delay_alu instid0(VALU_DEP_1) | instskip(SKIP_2) | instid1(VALU_DEP_1)
	v_add3_u32 v117, v126, v117, v125
	s_wait_dscnt 0x0
	v_dual_ashrrev_i32 v125, s1, v130 :: v_dual_bitop2_b32 v126, 3, v124 bitop3:0x40
	v_and_b32_e32 v130, 3, v125
	s_delay_alu instid0(VALU_DEP_2)
	v_mul_i32_i24_e32 v126, v142, v126
	v_bfe_u32 v142, v73, 8, 2
	v_bfe_u32 v73, v76, 4, 4
	v_and_b32_e32 v76, 15, v76
	v_mul_i32_i24_e32 v130, v130, v152
	v_and_b32_e32 v152, 3, v127
	v_mul_i32_i24_e32 v142, v142, v162
	v_mul_lo_u32 v73, 0x1010101, v73
	v_and_b32_e32 v76, 0xffff, v76
	v_add3_u32 v126, v5, v130, v126
	v_mul_i32_i24_e32 v4, v152, v4
	v_bfe_u32 v152, v127, 8, 2
	v_bfe_u32 v5, v102, 24, 2
	v_dual_lshrrev_b32 v102, 8, v104 :: v_dual_lshrrev_b32 v130, 16, v105
	v_bfe_u32 v105, v121, 24, 2
	s_delay_alu instid0(VALU_DEP_4)
	v_mul_i32_i24_e32 v136, v152, v136
	v_lshrrev_b32_e32 v152, 16, v104
	v_mul_lo_u32 v104, 0x1010101, v168
	v_and_b32_e32 v102, 3, v102
	v_mul_i32_i24_e32 v5, v137, v5
	v_add3_u32 v120, v120, v4, v136
	v_mul_i32_i24_e32 v105, v105, v145
	v_and_b32_e32 v130, 3, v130
	v_mul_i32_i24_e32 v102, v102, v148
	v_bfe_i32 v4, v104, 0, 8
	v_bfe_i32 v136, v104, 8, 8
	s_delay_alu instid0(VALU_DEP_3) | instskip(SKIP_1) | instid1(VALU_DEP_4)
	v_add3_u32 v168, v103, v5, v102
	v_dual_lshrrev_b32 v5, 16, v114 :: v_dual_lshrrev_b32 v102, 24, v114
	v_mul_i32_i24_e32 v4, v165, v4
	v_bfe_u32 v103, v121, 16, 2
	v_and_b32_e32 v121, 3, v113
	s_delay_alu instid0(VALU_DEP_4)
	v_and_b32_e32 v5, 3, v5
	v_and_b32_e32 v102, 3, v102
	v_mad_i32_i24 v4, v169, v136, v4
	v_bfe_i32 v136, v104, 16, 8
	v_lshrrev_b32_e32 v104, 24, v104
	v_mul_i32_i24_e32 v103, v103, v147
	v_mul_i32_i24_e32 v5, v5, v147
	;; [unrolled: 1-line block ×5, first 2 shown]
	v_add3_u32 v117, v117, v103, v105
	v_bfe_u32 v103, v116, 8, 2
	v_bfe_u32 v105, v116, 16, 2
	v_add3_u32 v108, v108, v5, v102
	v_add3_u32 v104, v4, v136, v104
	v_bfe_u32 v4, v110, 8, 2
	v_bfe_u32 v136, v110, 16, 2
	v_mul_i32_i24_e32 v103, v103, v146
	v_mul_i32_i24_e32 v105, v105, v143
	v_bfe_u32 v102, v75, 4, 4
	v_mul_i32_i24_e32 v4, v146, v4
	v_mul_i32_i24_e32 v136, v143, v136
	v_bfe_u32 v110, v110, 24, 2
	v_add3_u32 v106, v106, v103, v105
	v_bfe_u32 v103, v127, 16, 2
	v_bfe_u32 v105, v127, 24, 2
	v_add3_u32 v111, v111, v4, v136
	v_dual_lshrrev_b32 v136, 8, v107 :: v_dual_bitop2_b32 v4, 3, v107 bitop3:0x40
	v_lshrrev_b32_e32 v107, 24, v107
	v_ashrrev_i32_e32 v131, s1, v131
	v_mul_lo_u32 v102, 0x1010101, v102
	s_delay_alu instid0(VALU_DEP_4)
	v_mul_i32_i24_e32 v4, v4, v154
	v_and_b32_e32 v5, 3, v136
	v_mul_i32_i24_e32 v103, v103, v147
	v_bfe_u32 v127, v124, 8, 2
	v_mul_i32_i24_e32 v105, v105, v145
	v_mul_i32_i24_e32 v110, v137, v110
	;; [unrolled: 1-line block ×3, first 2 shown]
	v_lshrrev_b32_e32 v147, 16, v115
	v_and_b32_e32 v107, 3, v107
	v_add3_u32 v120, v120, v103, v105
	v_bfe_u32 v103, v124, 16, 2
	v_add3_u32 v136, v72, v4, v5
	v_and_b32_e32 v72, 0xffff, v7
	v_mul_i32_i24_e32 v105, v127, v146
	v_and_b32_e32 v127, 3, v109
	v_mul_i32_i24_e32 v103, v103, v143
	s_delay_alu instid0(VALU_DEP_4) | instskip(SKIP_2) | instid1(VALU_DEP_4)
	v_dual_lshrrev_b32 v146, 16, v109 :: v_dual_lshrrev_b32 v72, 4, v72
	v_cvt_f32_f16_e64 v5, v134
	v_mul_lo_u32 v134, 0x1010101, v141
	v_add3_u32 v126, v126, v105, v103
	v_bfe_i32 v103, v102, 8, 8
	v_mul_lo_u32 v145, 0x1010101, v72
	v_bfe_i32 v72, v102, 0, 8
	v_dual_lshrrev_b32 v105, 8, v112 :: v_dual_lshrrev_b32 v141, 16, v113
	v_bfe_u32 v116, v116, 24, 2
	v_lshrrev_b32_e32 v113, 24, v113
	s_delay_alu instid0(VALU_DEP_4) | instskip(NEXT) | instid1(VALU_DEP_4)
	v_mul_i32_i24_e32 v72, v165, v72
	v_and_b32_e32 v105, 3, v105
	v_mul_i32_i24_e32 v107, v107, v149
	v_mul_i32_i24_e32 v116, v116, v137
	v_bfe_u32 v124, v124, 24, 2
	v_mad_i32_i24 v72, v169, v103, v72
	v_lshrrev_b32_e32 v103, 24, v102
	v_bfe_i32 v102, v102, 16, 8
	v_mul_i32_i24_e32 v105, v105, v148
	v_bfe_u32 v143, v109, 8, 2
	v_lshrrev_b32_e32 v109, 24, v109
	v_mul_i32_i24_e32 v103, v170, v103
	v_mul_i32_i24_e32 v102, v164, v102
	v_add3_u32 v105, v111, v110, v105
	v_dual_lshrrev_b32 v110, 16, v112 :: v_dual_lshrrev_b32 v111, 24, v112
	v_and_b32_e32 v112, 3, v115
	s_delay_alu instid0(VALU_DEP_4)
	v_add3_u32 v72, v72, v102, v103
	v_bfe_i32 v102, v73, 0, 8
	v_bfe_i32 v103, v73, 8, 8
	v_mul_i32_i24_e32 v124, v124, v137
	v_mul_i32_i24_e32 v112, v112, v154
	v_and_b32_e32 v137, 3, v128
	v_mul_i32_i24_e32 v102, v165, v102
	v_mul_i32_i24_e32 v121, v121, v159
	;; [unrolled: 1-line block ×3, first 2 shown]
	v_and_b32_e32 v147, 3, v147
	v_mul_i32_i24_e32 v137, v137, v154
	v_mad_i32_i24 v102, v169, v103, v102
	v_bfe_i32 v103, v73, 16, 8
	v_lshrrev_b32_e32 v73, 24, v73
	v_cvt_f32_f16_e64 v4, v133
	v_and_b32_e32 v133, 0xffff, v171
	v_lshrrev_b16 v114, 8, v75
	v_mul_i32_i24_e32 v103, v164, v103
	v_mul_i32_i24_e32 v73, v170, v73
	s_delay_alu instid0(VALU_DEP_4) | instskip(SKIP_2) | instid1(VALU_DEP_4)
	v_dual_lshrrev_b32 v133, 4, v133 :: v_dual_bitop2_b32 v111, 3, v111 bitop3:0x40
	v_and_b32_e32 v110, 3, v110
	v_mul_i32_i24_e32 v143, v143, v162
	v_add3_u32 v73, v102, v103, v73
	v_bfe_i32 v102, v145, 0, 8
	v_bfe_i32 v103, v145, 8, 8
	v_mul_lo_u32 v133, 0x1010101, v133
	v_mul_i32_i24_e32 v110, v110, v151
	v_and_b32_e32 v146, 3, v146
	v_mul_i32_i24_e32 v102, v167, v102
	v_mul_i32_i24_e32 v103, v177, v103
	v_and_b32_e32 v7, 15, v7
	v_and_b32_e32 v75, 15, v75
	;; [unrolled: 1-line block ×3, first 2 shown]
	s_mov_b32 s1, s20
	v_add3_u32 v102, v104, v102, v103
	v_mul_i32_i24_e32 v103, v138, v159
	v_mul_i32_i24_e32 v104, v140, v161
	v_and_b32_e32 v138, 3, v152
	v_and_b32_e32 v140, 3, v172
	v_dual_lshrrev_b32 v172, 8, v118 :: v_dual_bitop2_b32 v152, 3, v173 bitop3:0x40
	v_cvt_f32_f16_e64 v173, v74
	s_delay_alu instid0(VALU_DEP_4) | instskip(NEXT) | instid1(VALU_DEP_4)
	v_mul_i32_i24_e32 v138, v138, v151
	v_mul_i32_i24_e32 v140, v140, v150
	s_delay_alu instid0(VALU_DEP_4) | instskip(SKIP_2) | instid1(VALU_DEP_4)
	v_dual_lshrrev_b32 v74, 16, v74 :: v_dual_bitop2_b32 v172, 3, v172 bitop3:0x40
	v_mul_i32_i24_e32 v144, v144, v160
	v_and_b32_e32 v75, 0xffff, v75
	v_add3_u32 v138, v168, v138, v140
	v_dual_lshrrev_b32 v140, 8, v115 :: v_dual_lshrrev_b32 v115, 24, v115
	v_mul_i32_i24_e32 v152, v152, v153
	v_and_b32_e32 v168, 3, v175
	v_mul_i32_i24_e32 v172, v172, v148
	s_delay_alu instid0(VALU_DEP_4)
	v_and_b32_e32 v140, 3, v140
	v_and_b32_e32 v115, 3, v115
	v_add3_u32 v107, v136, v152, v107
	v_lshrrev_b32_e32 v152, 8, v122
	v_add3_u32 v106, v106, v116, v172
	v_dual_lshrrev_b32 v172, 16, v122 :: v_dual_bitop2_b32 v116, 3, v122 bitop3:0x40
	s_delay_alu instid0(VALU_DEP_3) | instskip(SKIP_1) | instid1(VALU_DEP_3)
	v_dual_lshrrev_b32 v122, 24, v122 :: v_dual_bitop2_b32 v152, 3, v152 bitop3:0x40
	v_mul_i32_i24_e32 v140, v140, v155
	v_mul_i32_i24_e32 v116, v116, v154
	s_delay_alu instid0(VALU_DEP_3) | instskip(NEXT) | instid1(VALU_DEP_4)
	v_dual_lshrrev_b32 v154, 8, v123 :: v_dual_bitop2_b32 v122, 3, v122 bitop3:0x40
	v_mul_i32_i24_e32 v152, v152, v155
	s_delay_alu instid0(VALU_DEP_4)
	v_add3_u32 v108, v108, v112, v140
	v_and_b32_e32 v140, 3, v174
	v_mul_i32_i24_e32 v115, v115, v149
	v_mul_i32_i24_e32 v122, v122, v149
	v_add3_u32 v116, v117, v116, v152
	v_dual_lshrrev_b32 v152, 8, v125 :: v_dual_lshrrev_b32 v117, 16, v118
	v_lshrrev_b32_e32 v118, 24, v118
	v_and_b32_e32 v112, 0xffff, v114
	v_and_b32_e32 v172, 3, v172
	s_delay_alu instid0(VALU_DEP_4)
	v_and_b32_e32 v152, 3, v152
	v_and_b32_e32 v154, 3, v154
	;; [unrolled: 1-line block ×5, first 2 shown]
	v_mul_i32_i24_e32 v148, v152, v148
	v_lshrrev_b32_e32 v152, 8, v128
	v_mul_i32_i24_e32 v118, v118, v150
	v_mul_i32_i24_e32 v154, v154, v162
	v_lshrrev_b32_e32 v112, 4, v112
	v_add3_u32 v124, v126, v124, v148
	v_and_b32_e32 v152, 3, v152
	v_and_b32_e32 v126, 3, v123
	v_dual_lshrrev_b32 v136, 4, v136 :: v_dual_bitop2_b32 v148, 3, v119 bitop3:0x40
	v_mul_lo_u32 v112, 0x1010101, v112
	s_delay_alu instid0(VALU_DEP_4)
	v_mul_i32_i24_e32 v152, v152, v155
	v_and_b32_e32 v155, 3, v131
	v_and_b32_e32 v141, 3, v141
	v_mul_i32_i24_e32 v130, v130, v158
	v_cvt_f32_f16_e32 v74, v74
	v_add3_u32 v120, v120, v137, v152
	v_dual_lshrrev_b32 v137, 8, v119 :: v_dual_bitop2_b32 v152, 3, v129 bitop3:0x40
	v_mul_i32_i24_e32 v148, v148, v159
	v_mul_i32_i24_e32 v155, v155, v159
	v_lshrrev_b32_e32 v159, 16, v125
	v_mul_i32_i24_e32 v126, v126, v161
	v_mul_i32_i24_e32 v152, v152, v161
	v_dual_lshrrev_b32 v161, 16, v128 :: v_dual_lshrrev_b32 v128, 24, v128
	s_delay_alu instid0(VALU_DEP_4) | instskip(SKIP_1) | instid1(VALU_DEP_3)
	v_dual_lshrrev_b32 v125, 24, v125 :: v_dual_bitop2_b32 v159, 3, v159 bitop3:0x40
	v_mul_i32_i24_e32 v147, v147, v153
	v_and_b32_e32 v161, 3, v161
	s_delay_alu instid0(VALU_DEP_4)
	v_and_b32_e32 v128, 3, v128
	v_and_b32_e32 v137, 3, v137
	;; [unrolled: 1-line block ×4, first 2 shown]
	v_mul_i32_i24_e32 v141, v141, v158
	v_mul_i32_i24_e32 v128, v128, v149
	v_lshrrev_b32_e32 v149, 8, v129
	v_mul_i32_i24_e32 v111, v111, v150
	v_mul_i32_i24_e32 v125, v125, v150
	v_lshrrev_b32_e32 v150, 8, v131
	v_mul_i32_i24_e32 v172, v172, v153
	v_and_b32_e32 v149, 3, v149
	v_mul_i32_i24_e32 v137, v137, v163
	v_mul_i32_i24_e32 v168, v168, v156
	v_and_b32_e32 v150, 3, v150
	v_mul_i32_i24_e32 v109, v109, v156
	v_mul_i32_i24_e32 v149, v149, v162
	v_lshrrev_b32_e32 v162, 16, v131
	v_mul_i32_i24_e32 v153, v161, v153
	v_dual_lshrrev_b32 v161, 16, v119 :: v_dual_lshrrev_b32 v119, 24, v119
	v_mul_i32_i24_e32 v117, v117, v151
	v_mul_i32_i24_e32 v151, v159, v151
	v_dual_lshrrev_b32 v159, 16, v123 :: v_dual_lshrrev_b32 v123, 24, v123
	v_mul_i32_i24_e32 v150, v150, v163
	v_dual_lshrrev_b32 v163, 16, v129 :: v_dual_lshrrev_b32 v129, 24, v129
	v_and_b32_e32 v161, 3, v161
	v_dual_lshrrev_b32 v131, 24, v131 :: v_dual_bitop2_b32 v162, 3, v162 bitop3:0x40
	v_and_b32_e32 v123, 3, v123
	s_delay_alu instid0(VALU_DEP_4) | instskip(NEXT) | instid1(VALU_DEP_4)
	v_and_b32_e32 v129, 3, v129
	v_mul_i32_i24_e32 v161, v161, v158
	s_delay_alu instid0(VALU_DEP_4)
	v_mul_i32_i24_e32 v158, v162, v158
	v_lshrrev_b16 v162, 8, v134
	v_and_b32_e32 v159, 3, v159
	v_and_b32_e32 v119, 3, v119
	;; [unrolled: 1-line block ×4, first 2 shown]
	v_mul_lo_u32 v136, 0x1010101, v136
	v_and_b32_e32 v113, 3, v113
	v_mul_i32_i24_e32 v123, v123, v156
	v_mul_i32_i24_e32 v129, v129, v156
	v_bfe_i32 v156, v162, 0, 8
	v_lshrrev_b32_e32 v162, 24, v133
	v_mul_i32_i24_e32 v140, v140, v157
	v_mul_i32_i24_e32 v113, v113, v157
	;; [unrolled: 1-line block ×5, first 2 shown]
	v_bfe_i32 v157, v134, 16, 8
	v_mul_i32_i24_e32 v162, v6, v162
	v_and_b32_e32 v175, 0xffff, v7
	v_lshrrev_b32_e32 v7, 24, v145
	v_mul_i32_i24_e32 v146, v146, v160
	v_mul_i32_i24_e32 v160, v163, v160
	v_bfe_i32 v163, v134, 0, 8
	v_lshrrev_b32_e32 v134, 24, v134
	v_mul_i32_i24_e32 v156, v169, v156
	v_bfe_i32 v169, v133, 8, 8
	v_mul_i32_i24_e32 v7, v6, v7
	v_add3_u32 v106, v106, v117, v118
	v_mad_i32_i24 v134, v170, v134, v162
	v_bfe_i32 v170, v133, 16, 8
	v_bfe_i32 v133, v133, 0, 8
	;; [unrolled: 1-line block ×3, first 2 shown]
	v_add3_u32 v106, v106, v148, v137
	v_add3_u32 v103, v138, v103, v139
	v_mul_i32_i24_e32 v170, v166, v170
	v_mul_i32_i24_e32 v133, v167, v133
	;; [unrolled: 1-line block ×3, first 2 shown]
	v_add3_u32 v104, v107, v104, v142
	v_add3_u32 v107, v116, v172, v122
	v_mad_i32_i24 v157, v164, v157, v170
	v_bfe_i32 v164, v112, 16, 8
	v_bfe_i32 v170, v136, 16, 8
	v_mad_i32_i24 v133, v165, v163, v133
	v_bfe_i32 v163, v112, 0, 8
	v_bfe_i32 v165, v136, 0, 8
	v_mul_i32_i24_e32 v164, v166, v164
	v_mul_i32_i24_e32 v166, v166, v170
	v_bfe_i32 v170, v112, 8, 8
	v_mul_i32_i24_e32 v163, v167, v163
	v_mul_i32_i24_e32 v165, v167, v165
	v_bfe_i32 v167, v136, 8, 8
	v_lshrrev_b32_e32 v112, 24, v112
	v_mul_i32_i24_e32 v170, v177, v170
	v_lshrrev_b32_e32 v136, 24, v136
	v_add3_u32 v7, v102, v162, v7
	v_mul_i32_i24_e32 v167, v177, v167
	v_mul_i32_i24_e32 v112, v6, v112
	v_add3_u32 v72, v72, v163, v170
	v_add3_u32 v102, v105, v110, v111
	;; [unrolled: 1-line block ×3, first 2 shown]
	v_mul_i32_i24_e32 v6, v6, v136
	v_add3_u32 v73, v73, v165, v167
	v_add3_u32 v72, v72, v164, v112
	;; [unrolled: 1-line block ×6, first 2 shown]
	v_cvt_f32_i32_e32 v6, v7
	v_cvt_f32_i32_e32 v7, v72
	v_add3_u32 v72, v110, v158, v131
	v_add3_u32 v108, v120, v153, v128
	v_cvt_f32_i32_e32 v110, v73
	v_add3_u32 v73, v102, v141, v113
	v_add3_u32 v102, v106, v161, v119
	v_mul_lo_u32 v72, v72, v77
	v_add3_u32 v103, v103, v130, v140
	v_add3_u32 v108, v108, v152, v149
	v_and_b32_e32 v174, 15, v176
	v_mul_lo_u32 v76, v102, v76
	v_and_b32_e32 v171, 0xffff, v171
	v_add3_u32 v107, v107, v126, v154
	v_mul_lo_u32 v77, v103, v132
	v_add3_u32 v103, v108, v160, v129
	v_mul_i32_i24_e32 v169, v177, v169
	v_mul_lo_u32 v75, v73, v75
	v_and_b32_e32 v114, 15, v114
	v_and_b32_e32 v174, 0xffff, v174
	v_add3_u32 v105, v105, v127, v143
	v_add3_u32 v102, v107, v159, v123
	v_mad_u32 v72, v103, v171, v72
	v_add3_u32 v111, v156, v169, v134
	v_and_b32_e32 v114, 0xffff, v114
	v_add3_u32 v104, v104, v144, v168
	v_add3_u32 v103, v105, v146, v109
	v_mad_u32 v76, v102, v174, v76
	v_add3_u32 v111, v133, v157, v111
	v_pk_mul_f32 v[4:5], v[4:5], v[6:7]
	v_mad_u32 v77, v104, v175, v77
	v_mad_u32 v75, v103, v114, v75
	v_mul_f32_e32 v6, v74, v110
	v_cvt_f32_i32_e32 v73, v111
	v_cvt_f32_i32_e32 v72, v72
	;; [unrolled: 1-line block ×3, first 2 shown]
	s_delay_alu instid0(VALU_DEP_2) | instskip(SKIP_2) | instid1(VALU_DEP_3)
	v_pk_mul_f32 v[2:3], v[2:3], v[72:73]
	v_cvt_f32_i32_e32 v72, v77
	v_cvt_f32_i32_e32 v73, v75
	v_dual_mul_f32 v74, v173, v7 :: v_dual_mov_b32 v75, v2
	s_delay_alu instid0(VALU_DEP_4) | instskip(NEXT) | instid1(VALU_DEP_3)
	v_mov_b32_e32 v7, v3
	v_pk_fma_f32 v[0:1], v[0:1], v[72:73], v[4:5] neg_lo:[0,0,1] neg_hi:[0,0,1]
	s_delay_alu instid0(VALU_DEP_2) | instskip(NEXT) | instid1(VALU_DEP_2)
	v_pk_add_f32 v[2:3], v[74:75], v[6:7] neg_lo:[0,1] neg_hi:[0,1]
	v_pk_fma_f32 v[22:23], v[70:71], v[0:1], v[22:23] op_sel_hi:[0,1,1]
	s_delay_alu instid0(VALU_DEP_2)
	v_pk_fma_f32 v[20:21], v[70:71], v[2:3], v[20:21] op_sel_hi:[0,1,1]
	s_cbranch_scc1 .LBB207_11
; %bb.12:                               ;   in Loop: Header=BB207_5 Depth=1
	s_or_b32 s1, s17, 0x80
	s_delay_alu instid0(SALU_CYCLE_1)
	s_cmp_ge_i32 s1, s11
	s_barrier_signal -1
	s_barrier_wait -1
	s_cbranch_scc1 .LBB207_4
; %bb.13:                               ;   in Loop: Header=BB207_5 Depth=1
	v_add_nc_u32_e32 v0, s19, v67
	s_delay_alu instid0(VALU_DEP_1) | instskip(SKIP_1) | instid1(SALU_CYCLE_1)
	v_cmp_gt_i32_e64 s1, s10, v0
	s_and_b32 s20, s0, s1
	s_and_saveexec_b32 s1, s20
	s_cbranch_execz .LBB207_15
; %bb.14:                               ;   in Loop: Header=BB207_5 Depth=1
	v_add_nc_u32_e32 v0, v30, v0
	s_delay_alu instid0(VALU_DEP_1)
	v_mad_nc_i64_i32 v[0:1], v0, 36, v[38:39]
	global_load_b32 v0, v[0:1], off offset:4
	s_wait_loadcnt 0x0
	ds_store_b32 v53, v0
.LBB207_15:                             ;   in Loop: Header=BB207_5 Depth=1
	s_or_b32 exec_lo, exec_lo, s1
	s_and_saveexec_b32 s20, vcc_lo
	s_cbranch_execz .LBB207_18
; %bb.16:                               ;   in Loop: Header=BB207_5 Depth=1
	v_or_b32_e32 v0, 4, v68
	s_delay_alu instid0(VALU_DEP_1) | instskip(SKIP_1) | instid1(SALU_CYCLE_1)
	v_cmp_gt_i32_e64 s1, s10, v0
	s_and_b32 s1, s0, s1
	s_and_b32 exec_lo, exec_lo, s1
	s_cbranch_execz .LBB207_18
; %bb.17:                               ;   in Loop: Header=BB207_5 Depth=1
	v_ashrrev_i32_e32 v69, 31, v68
	s_delay_alu instid0(VALU_DEP_1) | instskip(NEXT) | instid1(VALU_DEP_1)
	v_add_nc_u64_e32 v[0:1], v[30:31], v[68:69]
	v_mad_nc_u64_u32 v[2:3], v0, 36, s[2:3]
	s_delay_alu instid0(VALU_DEP_1)
	v_mad_i32_i24 v3, v1, 36, v3
	global_load_b32 v0, v[2:3], off offset:144
	s_wait_loadcnt 0x0
	v_cvt_f32_f16_e32 v0, v0
	ds_store_b32 v57, v0
.LBB207_18:                             ;   in Loop: Header=BB207_5 Depth=1
	s_or_b32 exec_lo, exec_lo, s20
	v_dual_mov_b32 v69, v51 :: v_dual_mov_b32 v71, v55
	s_mov_b32 s1, 8
	s_wait_dscnt 0x0
	s_barrier_signal -1
	s_barrier_wait -1
.LBB207_19:                             ;   Parent Loop BB207_5 Depth=1
                                        ; =>  This Inner Loop Header: Depth=2
	s_and_b32 s22, s1, 0x3ffffff8
	ds_load_b32 v70, v71
	ds_load_b128 v[4:7], v69
	ds_load_b128 v[0:3], v69 offset:16
	v_lshl_add_u32 v102, s22, 2, v80
	s_lshr_b32 s23, s1, 2
	s_and_b32 s21, s1, -16
	s_and_b32 s22, s23, 0x3ffffffc
	s_add_co_i32 s21, s1, s21
	ds_load_2addr_b32 v[72:73], v102 offset0:4 offset1:7
	s_addk_co_i32 s22, 0x5280
	v_dual_add_nc_u32 v103, s21, v59 :: v_dual_add_nc_u32 v104, s21, v61
	v_dual_add_nc_u32 v105, s21, v63 :: v_dual_add_nc_u32 v108, s21, v65
	v_add3_u32 v109, s22, v101, v85
	v_add3_u32 v110, s22, v86, v87
	;; [unrolled: 1-line block ×4, first 2 shown]
	v_add_nc_u32_e32 v113, 0x1080, v102
	v_add_nc_u32_e32 v114, 0x1088, v102
	;; [unrolled: 1-line block ×12, first 2 shown]
	ds_load_2addr_b32 v[76:77], v102 offset1:1
	ds_load_2addr_b32 v[74:75], v102 offset0:2 offset1:3
	ds_load_2addr_b32 v[106:107], v102 offset0:5 offset1:6
	ds_load_u16 v132, v103 offset:16896
	ds_load_u16 v133, v108 offset:19968
	;; [unrolled: 1-line block ×4, first 2 shown]
	ds_load_b32 v135, v109
	ds_load_b32 v136, v110
	;; [unrolled: 1-line block ×4, first 2 shown]
	ds_load_2addr_b32 v[108:109], v115 offset0:36 offset1:39
	ds_load_2addr_b32 v[110:111], v113 offset1:1
	ds_load_2addr_b32 v[112:113], v114 offset1:1
	;; [unrolled: 1-line block ×11, first 2 shown]
	s_wait_dscnt 0x18
	v_lshrrev_b16 v139, 8, v0
	v_dual_ashrrev_i32 v140, 24, v4 :: v_dual_ashrrev_i32 v147, 24, v5
	v_dual_ashrrev_i32 v141, 24, v0 :: v_dual_ashrrev_i32 v148, 24, v1
	v_bfe_i32 v142, v5, 8, 8
	v_bfe_i32 v143, v0, 0, 8
	;; [unrolled: 1-line block ×5, first 2 shown]
	v_lshrrev_b16 v0, 8, v1
	v_bfe_i32 v149, v4, 8, 8
	v_bfe_i32 v150, v1, 0, 8
	;; [unrolled: 1-line block ×5, first 2 shown]
	v_lshrrev_b16 v1, 8, v6
	v_dual_ashrrev_i32 v154, 24, v2 :: v_dual_ashrrev_i32 v102, 24, v3
	v_bfe_i32 v158, v2, 16, 8
	v_bfe_i32 v159, v2, 0, 8
	;; [unrolled: 1-line block ×3, first 2 shown]
	v_lshrrev_b16 v2, 8, v7
	s_add_co_i32 s20, s1, -8
	v_dual_ashrrev_i32 v155, 24, v6 :: v_dual_ashrrev_i32 v103, 24, v7
	v_bfe_i32 v156, v6, 16, 8
	v_bfe_i32 v157, v6, 0, 8
	;; [unrolled: 1-line block ×10, first 2 shown]
	v_dual_add_nc_u32 v0, v148, v141 :: v_dual_add_nc_u32 v1, v147, v140
	v_dual_add_nc_u32 v2, v153, v146 :: v_dual_add_nc_u32 v3, v152, v145
	;; [unrolled: 1-line block ×3, first 2 shown]
	s_wait_dscnt 0x16
	v_dual_add_nc_u32 v6, v149, v142 :: v_dual_ashrrev_i32 v76, s20, v76
	s_wait_dscnt 0x15
	v_dual_ashrrev_i32 v77, s20, v77 :: v_dual_ashrrev_i32 v75, s20, v75
	v_dual_ashrrev_i32 v72, s20, v72 :: v_dual_ashrrev_i32 v73, s20, v73
	v_bfe_i32 v139, v139, 0, 8
	s_wait_dscnt 0x11
	v_lshrrev_b16 v171, 8, v134
	v_bfe_u32 v172, v134, 4, 4
	v_and_b32_e32 v134, 15, v134
	s_wait_dscnt 0x10
	v_lshrrev_b16 v173, 8, v105
	v_bfe_u32 v174, v105, 4, 4
	v_and_b32_e32 v105, 15, v105
	v_add3_u32 v176, v6, v165, v166
	v_add3_u32 v177, v1, v155, v103
	;; [unrolled: 1-line block ×6, first 2 shown]
	s_wait_dscnt 0xd
	v_cvt_f32_f16_e64 v6, v137
	v_lshrrev_b32_e32 v3, 16, v137
	v_cvt_f32_f16_e64 v1, v136
	v_cvt_f32_f16_e64 v0, v135
	v_dual_lshrrev_b32 v4, 16, v136 :: v_dual_lshrrev_b32 v135, 16, v135
	s_wait_dscnt 0xc
	v_lshrrev_b32_e32 v136, 16, v138
	v_cvt_f32_f16_e64 v2, v138
	v_and_b32_e32 v137, 3, v77
	v_bfe_u32 v138, v77, 8, 2
	v_bfe_u32 v183, v77, 16, 2
	v_dual_lshrrev_b32 v77, 24, v77 :: v_dual_bitop2_b32 v187, 3, v72 bitop3:0x40
	v_bfe_u32 v188, v72, 8, 2
	v_bfe_u32 v189, v72, 16, 2
	v_dual_lshrrev_b32 v72, 24, v72 :: v_dual_ashrrev_i32 v74, s20, v74
	v_ashrrev_i32_e32 v107, s20, v107
	v_dual_lshrrev_b32 v186, 16, v75 :: v_dual_bitop2_b32 v184, 3, v75 bitop3:0x40
	v_bfe_u32 v185, v75, 8, 2
	s_wait_dscnt 0x9
	v_dual_ashrrev_i32 v113, s20, v113 :: v_dual_ashrrev_i32 v108, s20, v108
	s_wait_dscnt 0x5
	v_dual_ashrrev_i32 v117, s20, v117 :: v_dual_ashrrev_i32 v120, s20, v120
	;; [unrolled: 2-line block ×3, first 2 shown]
	v_dual_lshrrev_b32 v75, 24, v75 :: v_dual_ashrrev_i32 v122, s20, v122
	v_dual_ashrrev_i32 v118, s20, v118 :: v_dual_ashrrev_i32 v123, s20, v123
	v_mul_i32_i24_e32 v137, v137, v152
	v_mul_i32_i24_e32 v188, v188, v139
	v_and_b32_e32 v77, 3, v77
	v_dual_ashrrev_i32 v106, s20, v106 :: v_dual_bitop2_b32 v72, 3, v72 bitop3:0x40
	v_dual_ashrrev_i32 v110, s20, v110 :: v_dual_ashrrev_i32 v111, s20, v111
	v_lshrrev_b16 v167, 8, v132
	v_dual_ashrrev_i32 v109, s20, v109 :: v_dual_ashrrev_i32 v116, s20, v116
	v_dual_lshrrev_b32 v198, 16, v74 :: v_dual_bitop2_b32 v196, 3, v74 bitop3:0x40
	v_dual_ashrrev_i32 v114, s20, v114 :: v_dual_bitop2_b32 v202, 3, v107 bitop3:0x40
	v_and_b32_e32 v214, 3, v108
	v_and_b32_e32 v226, 3, v120
	;; [unrolled: 1-line block ×3, first 2 shown]
	v_mad_i32_i24 v137, v138, v142, v137
	v_mul_i32_i24_e32 v183, v183, v153
	v_mul_i32_i24_e32 v77, v77, v147
	v_mad_i32_i24 v187, v187, v143, v188
	v_mul_i32_i24_e32 v189, v189, v144
	v_mul_i32_i24_e32 v72, v72, v141
	v_bfe_u32 v168, v132, 4, 4
	v_and_b32_e32 v132, 15, v132
	v_bfe_u32 v170, v133, 4, 4
	v_add3_u32 v179, v5, v159, v162
	v_dual_ashrrev_i32 v121, s20, v121 :: v_dual_ashrrev_i32 v124, s20, v124
	v_dual_ashrrev_i32 v127, s20, v127 :: v_dual_ashrrev_i32 v112, s20, v112
	v_dual_lshrrev_b32 v197, 8, v74 :: v_dual_bitop2_b32 v193, 3, v76 bitop3:0x40
	v_dual_lshrrev_b32 v74, 24, v74 :: v_dual_ashrrev_i32 v115, s20, v115
	v_dual_lshrrev_b32 v200, 8, v106 :: v_dual_bitop2_b32 v199, 3, v106 bitop3:0x40
	v_and_b32_e32 v207, 0xffff, v171
	v_and_b32_e32 v171, 15, v171
	v_cvt_f32_f16_e32 v5, v4
	v_cvt_f32_f16_e64 v4, v135
	v_dual_lshrrev_b32 v219, 16, v109 :: v_dual_bitop2_b32 v135, 3, v111 bitop3:0x40
	v_bfe_u32 v215, v108, 8, 2
	v_bfe_u32 v216, v108, 16, 2
	v_dual_lshrrev_b32 v108, 24, v108 :: v_dual_bitop2_b32 v223, 3, v117 bitop3:0x40
	v_dual_ashrrev_i32 v119, s20, v119 :: v_dual_bitop2_b32 v235, 3, v125 bitop3:0x40
	s_wait_dscnt 0x1
	v_ashrrev_i32_e32 v128, s20, v128
	v_and_b32_e32 v205, 0xffff, v167
	v_dual_lshrrev_b32 v213, 16, v113 :: v_dual_bitop2_b32 v167, 15, v167 bitop3:0x40
	v_dual_lshrrev_b32 v138, 8, v112 :: v_dual_bitop2_b32 v211, 3, v113 bitop3:0x40
	v_bfe_u32 v212, v113, 8, 2
	v_and_b32_e32 v220, 3, v116
	v_bfe_u32 v227, v120, 8, 2
	v_bfe_u32 v239, v126, 8, 2
	v_add3_u32 v77, v137, v183, v77
	v_and_b32_e32 v183, 3, v198
	v_dual_lshrrev_b32 v188, 8, v114 :: v_dual_bitop2_b32 v198, 3, v114 bitop3:0x40
	v_add3_u32 v72, v187, v189, v72
	v_dual_lshrrev_b32 v187, 16, v114 :: v_dual_lshrrev_b32 v114, 24, v114
	v_lshrrev_b32_e32 v113, 24, v113
	v_mul_i32_i24_e32 v214, v214, v143
	v_mul_i32_i24_e32 v226, v226, v143
	;; [unrolled: 1-line block ×3, first 2 shown]
	v_lshrrev_b16 v169, 8, v133
	v_dual_lshrrev_b32 v192, 16, v73 :: v_dual_bitop2_b32 v190, 3, v73 bitop3:0x40
	v_bfe_u32 v191, v73, 8, 2
	v_bfe_u32 v194, v76, 8, 2
	;; [unrolled: 1-line block ×4, first 2 shown]
	v_dual_lshrrev_b32 v201, 16, v106 :: v_dual_lshrrev_b32 v106, 24, v106
	v_dual_lshrrev_b32 v203, 8, v107 :: v_dual_lshrrev_b32 v204, 16, v107
	v_dual_lshrrev_b32 v107, 24, v107 :: v_dual_lshrrev_b32 v73, 24, v73
	s_wait_dscnt 0x0
	v_dual_ashrrev_i32 v130, s20, v130 :: v_dual_ashrrev_i32 v129, s20, v129
	v_ashrrev_i32_e32 v131, s20, v131
	v_mul_lo_u32 v170, 0x1010101, v170
	v_and_b32_e32 v208, 0xffff, v173
	v_and_b32_e32 v173, 15, v173
	v_cvt_f32_f16_e64 v209, v3
	v_cvt_f32_f16_e64 v3, v136
	v_bfe_u32 v136, v111, 8, 2
	v_bfe_u32 v210, v111, 16, 2
	v_dual_lshrrev_b32 v111, 24, v111 :: v_dual_bitop2_b32 v217, 3, v109 bitop3:0x40
	v_lshrrev_b32_e32 v137, 16, v112
	v_bfe_u32 v221, v116, 8, 2
	v_bfe_u32 v222, v116, 16, 2
	;; [unrolled: 1-line block ×8, first 2 shown]
	v_and_b32_e32 v232, 3, v124
	v_bfe_u32 v233, v124, 8, 2
	v_bfe_u32 v234, v124, 16, 2
	;; [unrolled: 1-line block ×8, first 2 shown]
	v_and_b32_e32 v244, 3, v110
	v_bfe_u32 v245, v110, 8, 2
	v_bfe_u32 v246, v110, 24, 2
	;; [unrolled: 1-line block ×3, first 2 shown]
	v_dual_lshrrev_b32 v238, 8, v118 :: v_dual_bitop2_b32 v247, 3, v112 bitop3:0x40
	v_lshrrev_b32_e32 v112, 24, v112
	v_and_b32_e32 v200, 3, v200
	v_mul_i32_i24_e32 v135, v135, v152
	v_mul_i32_i24_e32 v223, v223, v152
	;; [unrolled: 1-line block ×3, first 2 shown]
	v_and_b32_e32 v108, 3, v108
	v_dual_add_nc_u32 v175, v164, v139 :: v_dual_bitop2_b32 v133, 15, v133 bitop3:0x40
	v_mul_lo_u32 v168, 0x1010101, v168
	v_mul_lo_u32 v172, 0x1010101, v172
	v_mad_i32_i24 v214, v215, v139, v214
	v_mad_i32_i24 v226, v227, v139, v226
	;; [unrolled: 1-line block ×3, first 2 shown]
	v_dual_lshrrev_b32 v205, 4, v205 :: v_dual_bitop2_b32 v239, 3, v119 bitop3:0x40
	v_and_b32_e32 v206, 0xffff, v169
	v_and_b32_e32 v169, 15, v169
	v_mul_lo_u32 v174, 0x1010101, v174
	v_dual_lshrrev_b32 v235, 8, v115 :: v_dual_bitop2_b32 v229, 3, v121 bitop3:0x40
	v_bfe_u32 v230, v121, 8, 2
	v_and_b32_e32 v241, 3, v127
	v_bfe_u32 v242, v127, 8, 2
	v_dual_lshrrev_b32 v215, 16, v122 :: v_dual_bitop2_b32 v197, 3, v197 bitop3:0x40
	v_mul_i32_i24_e32 v193, v145, v193
	v_mul_i32_i24_e32 v76, v146, v76
	;; [unrolled: 1-line block ×4, first 2 shown]
	v_and_b32_e32 v189, 3, v201
	v_and_b32_e32 v106, 3, v106
	;; [unrolled: 1-line block ×3, first 2 shown]
	v_mad_i32_i24 v135, v136, v142, v135
	v_lshrrev_b32_e32 v136, 16, v115
	v_mul_i32_i24_e32 v199, v199, v150
	v_and_b32_e32 v73, 3, v73
	v_mad_i32_i24 v223, v224, v142, v223
	v_and_b32_e32 v224, 3, v118
	v_mad_i32_i24 v142, v236, v142, v152
	v_dual_lshrrev_b32 v236, 8, v122 :: v_dual_bitop2_b32 v152, 3, v122 bitop3:0x40
	v_lshrrev_b32_e32 v122, 24, v122
	v_mul_i32_i24_e32 v244, v145, v244
	v_mul_i32_i24_e32 v220, v145, v220
	;; [unrolled: 1-line block ×3, first 2 shown]
	v_lshrrev_b32_e32 v232, 8, v123
	v_mul_i32_i24_e32 v210, v210, v153
	v_mul_i32_i24_e32 v225, v225, v153
	;; [unrolled: 1-line block ×3, first 2 shown]
	v_and_b32_e32 v237, 3, v130
	v_mul_i32_i24_e32 v216, v216, v144
	v_mul_i32_i24_e32 v110, v146, v110
	;; [unrolled: 1-line block ×4, first 2 shown]
	v_dual_lshrrev_b32 v206, 4, v206 :: v_dual_bitop2_b32 v234, 3, v131 bitop3:0x40
	v_mul_i32_i24_e32 v246, v140, v246
	v_mul_i32_i24_e32 v116, v116, v140
	;; [unrolled: 1-line block ×3, first 2 shown]
	v_dual_lshrrev_b32 v140, 8, v128 :: v_dual_bitop2_b32 v111, 3, v111 bitop3:0x40
	v_lshrrev_b32_e32 v208, 4, v208
	v_mul_i32_i24_e32 v117, v117, v147
	v_mul_i32_i24_e32 v125, v125, v147
	;; [unrolled: 1-line block ×5, first 2 shown]
	v_dual_lshrrev_b32 v141, 8, v129 :: v_dual_bitop2_b32 v188, 3, v188 bitop3:0x40
	v_mul_i32_i24_e32 v200, v200, v164
	v_mul_lo_u32 v205, 0x1010101, v205
	v_bfe_u32 v218, v109, 8, 2
	v_bfe_u32 v231, v121, 16, 2
	v_bfe_u32 v243, v127, 16, 2
	v_mul_i32_i24_e32 v184, v184, v161
	v_and_b32_e32 v74, 3, v74
	v_mul_i32_i24_e32 v194, v149, v194
	v_dual_lshrrev_b32 v109, 24, v109 :: v_dual_bitop2_b32 v203, 3, v203 bitop3:0x40
	v_dual_lshrrev_b32 v227, 16, v118 :: v_dual_lshrrev_b32 v118, 24, v118
	v_and_b32_e32 v143, 3, v123
	v_mul_i32_i24_e32 v229, v229, v150
	v_mul_i32_i24_e32 v247, v247, v157
	v_mul_i32_i24_e32 v224, v224, v157
	v_mul_i32_i24_e32 v157, v237, v157
	v_lshrrev_b32_e32 v237, 16, v119
	v_mul_i32_i24_e32 v198, v198, v150
	v_mul_i32_i24_e32 v150, v241, v150
	v_dual_lshrrev_b32 v241, 16, v123 :: v_dual_lshrrev_b32 v123, 24, v123
	v_mul_i32_i24_e32 v211, v211, v161
	v_mul_i32_i24_e32 v239, v239, v161
	;; [unrolled: 1-line block ×3, first 2 shown]
	v_lshrrev_b32_e32 v234, 8, v130
	v_mul_i32_i24_e32 v230, v230, v164
	v_mul_i32_i24_e32 v242, v242, v164
	;; [unrolled: 1-line block ×3, first 2 shown]
	v_lshrrev_b32_e32 v188, 8, v131
	v_and_b32_e32 v187, 3, v187
	v_mul_i32_i24_e32 v189, v189, v151
	v_and_b32_e32 v114, 3, v114
	v_mul_i32_i24_e32 v106, v106, v148
	v_mul_i32_i24_e32 v248, v73, v102
	v_and_b32_e32 v73, 3, v236
	v_and_b32_e32 v232, 3, v232
	;; [unrolled: 1-line block ×4, first 2 shown]
	v_mul_lo_u32 v208, 0x1010101, v208
	v_and_b32_e32 v235, 3, v235
	v_add3_u32 v77, v77, v196, v193
	v_add3_u32 v108, v214, v216, v108
	v_add3_u32 v72, v72, v199, v200
	v_add3_u32 v117, v223, v225, v117
	v_add3_u32 v125, v142, v153, v125
	v_bfe_u32 v121, v121, 24, 2
	v_bfe_u32 v127, v127, 24, 2
	v_mul_i32_i24_e32 v245, v149, v245
	v_mul_i32_i24_e32 v221, v221, v149
	;; [unrolled: 1-line block ×3, first 2 shown]
	v_and_b32_e32 v233, 3, v128
	v_add3_u32 v175, v175, v160, v163
	v_and_b32_e32 v75, 3, v75
	v_and_b32_e32 v192, 3, v192
	v_mul_i32_i24_e32 v191, v191, v163
	v_mul_i32_i24_e32 v111, v111, v147
	v_dual_lshrrev_b32 v147, 16, v130 :: v_dual_lshrrev_b32 v130, 24, v130
	v_mul_i32_i24_e32 v231, v231, v151
	v_mul_i32_i24_e32 v243, v243, v151
	v_dual_lshrrev_b32 v142, 24, v205 :: v_dual_bitop2_b32 v138, 3, v138 bitop3:0x40
	v_mul_i32_i24_e32 v197, v197, v165
	v_mul_i32_i24_e32 v203, v203, v160
	;; [unrolled: 1-line block ×3, first 2 shown]
	v_and_b32_e32 v236, 3, v238
	v_and_b32_e32 v234, 3, v234
	v_mul_i32_i24_e32 v235, v235, v160
	v_mul_i32_i24_e32 v73, v73, v160
	;; [unrolled: 1-line block ×3, first 2 shown]
	v_lshrrev_b32_e32 v160, 24, v168
	v_mul_i32_i24_e32 v151, v187, v151
	v_mul_i32_i24_e32 v232, v232, v163
	;; [unrolled: 1-line block ×3, first 2 shown]
	v_lshrrev_b32_e32 v163, 24, v172
	v_mul_i32_i24_e32 v114, v114, v148
	v_add3_u32 v76, v77, v194, v76
	v_add3_u32 v77, v108, v198, v164
	;; [unrolled: 1-line block ×5, first 2 shown]
	v_mul_i32_i24_e32 v228, v228, v144
	v_mul_i32_i24_e32 v144, v240, v144
	;; [unrolled: 1-line block ×4, first 2 shown]
	v_lshrrev_b32_e32 v187, 16, v129
	v_mul_i32_i24_e32 v152, v152, v159
	v_mul_i32_i24_e32 v121, v121, v148
	;; [unrolled: 1-line block ×3, first 2 shown]
	v_dual_lshrrev_b32 v148, 16, v131 :: v_dual_lshrrev_b32 v131, 24, v131
	v_mul_i32_i24_e32 v159, v233, v159
	v_dual_lshrrev_b32 v207, 4, v207 :: v_dual_bitop2_b32 v233, 3, v129 bitop3:0x40
	v_lshrrev_b32_e32 v240, 8, v119
	v_mul_i32_i24_e32 v183, v183, v156
	v_mul_i32_i24_e32 v74, v74, v155
	v_and_b32_e32 v227, 3, v227
	v_and_b32_e32 v147, 3, v147
	;; [unrolled: 1-line block ×3, first 2 shown]
	v_mul_lo_u32 v206, 0x1010101, v206
	v_and_b32_e32 v137, 3, v137
	v_mul_i32_i24_e32 v138, v138, v165
	v_mul_i32_i24_e32 v236, v236, v165
	;; [unrolled: 1-line block ×3, first 2 shown]
	v_add3_u32 v111, v135, v210, v111
	v_add3_u32 v76, v76, v195, v197
	;; [unrolled: 1-line block ×7, first 2 shown]
	v_mul_lo_u32 v207, 0x1010101, v207
	v_dual_lshrrev_b32 v119, 24, v119 :: v_dual_bitop2_b32 v204, 3, v204 bitop3:0x40
	v_and_b32_e32 v186, 3, v186
	v_mul_i32_i24_e32 v185, v185, v166
	v_and_b32_e32 v118, 3, v118
	v_and_b32_e32 v238, 3, v240
	;; [unrolled: 1-line block ×3, first 2 shown]
	v_bfe_i32 v234, v168, 16, 8
	v_mul_i32_i24_e32 v137, v137, v156
	v_mul_i32_i24_e32 v227, v227, v156
	;; [unrolled: 1-line block ×3, first 2 shown]
	v_bfe_i32 v156, v168, 8, 8
	v_bfe_i32 v168, v168, 0, 8
	v_mul_i32_i24_e32 v130, v130, v155
	v_add3_u32 v111, v111, v247, v244
	v_add3_u32 v74, v76, v183, v74
	;; [unrolled: 1-line block ×5, first 2 shown]
	v_mul_i32_i24_e32 v190, v190, v162
	v_and_b32_e32 v107, 3, v107
	v_mul_i32_i24_e32 v217, v217, v162
	v_lshrrev_b32_e32 v129, 24, v129
	v_mul_i32_i24_e32 v143, v143, v162
	v_mul_i32_i24_e32 v162, v233, v162
	v_dual_lshrrev_b32 v233, 16, v128 :: v_dual_lshrrev_b32 v128, 24, v128
	v_add3_u32 v108, v120, v229, v230
	v_add3_u32 v120, v126, v150, v242
	v_and_b32_e32 v112, 3, v112
	v_and_b32_e32 v213, 3, v213
	v_and_b32_e32 v113, 3, v113
	v_mul_i32_i24_e32 v212, v212, v166
	v_mul_i32_i24_e32 v186, v186, v104
	;; [unrolled: 1-line block ×3, first 2 shown]
	v_and_b32_e32 v237, 3, v237
	v_and_b32_e32 v119, 3, v119
	;; [unrolled: 1-line block ×4, first 2 shown]
	v_mul_i32_i24_e32 v118, v118, v155
	v_mul_i32_i24_e32 v238, v238, v166
	;; [unrolled: 1-line block ×4, first 2 shown]
	v_add3_u32 v110, v111, v245, v110
	v_add3_u32 v74, v74, v184, v185
	;; [unrolled: 1-line block ×3, first 2 shown]
	v_dual_lshrrev_b32 v115, 24, v115 :: v_dual_bitop2_b32 v136, 3, v136 bitop3:0x40
	v_add_nc_u32_e32 v71, 4, v71
	v_mul_i32_i24_e32 v204, v204, v158
	v_mul_i32_i24_e32 v107, v107, v154
	v_and_b32_e32 v215, 3, v215
	v_and_b32_e32 v233, 3, v233
	;; [unrolled: 1-line block ×3, first 2 shown]
	v_add3_u32 v72, v72, v202, v203
	v_add3_u32 v111, v120, v243, v127
	v_mul_i32_i24_e32 v213, v213, v104
	v_mul_i32_i24_e32 v237, v237, v104
	;; [unrolled: 1-line block ×6, first 2 shown]
	v_mad_i32_i24 v153, v176, v156, v168
	v_lshrrev_b32_e32 v156, 24, v206
	v_bfe_i32 v168, v206, 16, 8
	v_bfe_i32 v193, v206, 8, 8
	;; [unrolled: 1-line block ×3, first 2 shown]
	v_lshrrev_b32_e32 v206, 24, v207
	v_mul_i32_i24_e32 v112, v112, v155
	v_add3_u32 v110, v110, v246, v138
	v_add3_u32 v77, v77, v227, v118
	;; [unrolled: 1-line block ×4, first 2 shown]
	v_dual_add_nc_u32 v69, 32, v69 :: v_dual_bitop2_b32 v115, 3, v115 bitop3:0x40
	v_and_b32_e32 v122, 3, v122
	v_mul_i32_i24_e32 v136, v136, v158
	v_mul_i32_i24_e32 v215, v215, v158
	v_mul_i32_i24_e32 v158, v233, v158
	v_mul_i32_i24_e32 v128, v128, v154
	v_add3_u32 v108, v108, v231, v121
	v_add3_u32 v72, v72, v204, v107
	;; [unrolled: 1-line block ×3, first 2 shown]
	v_and_b32_e32 v219, 3, v219
	v_and_b32_e32 v109, 3, v109
	;; [unrolled: 1-line block ×7, first 2 shown]
	v_add3_u32 v110, v110, v137, v112
	v_add3_u32 v77, v77, v239, v238
	;; [unrolled: 1-line block ×3, first 2 shown]
	v_mul_i32_i24_e32 v115, v115, v154
	v_mul_i32_i24_e32 v122, v122, v154
	v_add3_u32 v73, v108, v152, v73
	v_add3_u32 v107, v107, v158, v128
	v_mul_i32_i24_e32 v192, v192, v7
	v_lshrrev_b16 v233, 8, v170
	v_bfe_i32 v188, v172, 16, 8
	v_bfe_i32 v148, v172, 8, 8
	;; [unrolled: 1-line block ×3, first 2 shown]
	v_mul_i32_i24_e32 v219, v219, v7
	v_mul_i32_i24_e32 v240, v240, v7
	;; [unrolled: 1-line block ×3, first 2 shown]
	v_lshrrev_b32_e32 v187, 24, v174
	v_bfe_i32 v131, v174, 16, 8
	v_mul_i32_i24_e32 v109, v109, v102
	v_mul_i32_i24_e32 v123, v123, v102
	;; [unrolled: 1-line block ×3, first 2 shown]
	v_bfe_i32 v129, v174, 8, 8
	v_bfe_i32 v174, v174, 0, 8
	v_mul_i32_i24_e32 v234, v182, v234
	v_mul_i32_i24_e32 v160, v177, v160
	v_bfe_i32 v135, v205, 0, 8
	v_bfe_i32 v139, v205, 8, 8
	v_and_b32_e32 v105, 0xffff, v105
	v_add3_u32 v110, v110, v211, v212
	v_add3_u32 v77, v77, v237, v119
	v_mul_lo_u32 v75, v75, v133
	v_add3_u32 v76, v76, v136, v115
	v_add3_u32 v112, v72, v190, v191
	;; [unrolled: 1-line block ×4, first 2 shown]
	v_bfe_i32 v155, v170, 0, 8
	v_bfe_i32 v154, v170, 16, 8
	v_lshrrev_b32_e32 v170, 24, v170
	v_bfe_i32 v233, v233, 0, 8
	v_mul_i32_i24_e32 v172, v181, v172
	v_mul_i32_i24_e32 v174, v181, v174
	v_bfe_i32 v144, v205, 16, 8
	v_mul_i32_i24_e32 v125, v178, v142
	v_mul_i32_i24_e32 v135, v179, v135
	;; [unrolled: 1-line block ×3, first 2 shown]
	v_add3_u32 v142, v153, v234, v160
	v_mul_i32_i24_e32 v153, v178, v156
	v_and_b32_e32 v132, 0xffff, v132
	v_and_b32_e32 v134, 0xffff, v134
	v_add3_u32 v104, v110, v213, v113
	v_mul_lo_u32 v77, v77, v105
	v_and_b32_e32 v169, 0xffff, v169
	v_add3_u32 v106, v112, v192, v248
	v_add3_u32 v112, v115, v143, v232
	;; [unrolled: 1-line block ×3, first 2 shown]
	v_mul_i32_i24_e32 v163, v177, v163
	v_mul_i32_i24_e32 v188, v182, v188
	;; [unrolled: 1-line block ×5, first 2 shown]
	v_bfe_i32 v200, v207, 0, 8
	v_bfe_i32 v205, v207, 8, 8
	v_mad_i32_i24 v148, v176, v148, v172
	v_lshrrev_b32_e32 v172, 24, v208
	v_bfe_i32 v210, v208, 16, 8
	v_bfe_i32 v214, v208, 8, 8
	;; [unrolled: 1-line block ×3, first 2 shown]
	v_mad_i32_i24 v129, v176, v129, v174
	v_mul_i32_i24_e32 v126, v180, v144
	v_mul_i32_i24_e32 v144, v179, v196
	;; [unrolled: 1-line block ×4, first 2 shown]
	v_add3_u32 v117, v142, v135, v139
	v_mad_i32_i24 v120, v177, v170, v153
	v_mul_lo_u32 v74, v74, v132
	v_mul_lo_u32 v103, v104, v134
	v_and_b32_e32 v173, 0xffff, v173
	v_add3_u32 v76, v76, v217, v218
	v_add3_u32 v102, v112, v240, v123
	v_mad_u32 v7, v7, v169, v75
	v_bfe_i32 v207, v207, 16, 8
	v_mul_i32_i24_e32 v160, v179, v200
	v_mul_i32_i24_e32 v164, v175, v205
	v_add3_u32 v148, v148, v188, v163
	v_mul_i32_i24_e32 v168, v178, v172
	v_mul_i32_i24_e32 v172, v179, v208
	;; [unrolled: 1-line block ×3, first 2 shown]
	v_add3_u32 v129, v129, v131, v187
	v_mad_i32_i24 v121, v182, v154, v150
	v_mad_i32_i24 v127, v181, v155, v144
	v_add3_u32 v108, v117, v126, v125
	v_add3_u32 v111, v199, v145, v120
	v_and_b32_e32 v167, 0xffff, v167
	v_and_b32_e32 v171, 0xffff, v171
	v_add3_u32 v76, v76, v219, v109
	v_mad_u32 v77, v102, v173, v77
	v_mul_i32_i24_e32 v156, v178, v206
	v_mul_i32_i24_e32 v157, v180, v207
	;; [unrolled: 1-line block ×3, first 2 shown]
	v_add3_u32 v131, v148, v160, v164
	v_add3_u32 v129, v129, v172, v174
	v_cvt_f32_i32_e32 v72, v108
	v_add3_u32 v108, v127, v121, v111
	v_mad_u32 v102, v106, v167, v74
	v_mad_u32 v76, v76, v171, v103
	v_add3_u32 v114, v131, v157, v156
	v_add3_u32 v116, v129, v163, v168
	v_cvt_f32_i32_e32 v75, v108
	v_cvt_f32_i32_e32 v74, v7
	;; [unrolled: 1-line block ×5, first 2 shown]
	s_add_co_i32 s20, s1, 2
	v_pk_mul_f32 v[2:3], v[2:3], v[74:75]
	v_cvt_f32_i32_e32 v74, v102
	v_pk_mul_f32 v[4:5], v[4:5], v[72:73]
	v_mul_f32_e32 v72, v209, v111
	v_cvt_f32_i32_e32 v75, v76
	v_mul_f32_e32 v6, v6, v7
	v_dual_mov_b32 v7, v2 :: v_dual_mov_b32 v73, v3
	s_cmp_lt_u32 s1, 14
	s_delay_alu instid0(VALU_DEP_3) | instskip(SKIP_1) | instid1(VALU_DEP_2)
	v_pk_fma_f32 v[0:1], v[0:1], v[74:75], v[4:5] neg_lo:[0,0,1] neg_hi:[0,0,1]
	s_mov_b32 s1, s20
	v_pk_add_f32 v[2:3], v[6:7], v[72:73] neg_lo:[0,1] neg_hi:[0,1]
	s_delay_alu instid0(VALU_DEP_2) | instskip(NEXT) | instid1(VALU_DEP_2)
	v_pk_fma_f32 v[22:23], v[70:71], v[0:1], v[22:23] op_sel_hi:[0,1,1]
	v_pk_fma_f32 v[20:21], v[70:71], v[2:3], v[20:21] op_sel_hi:[0,1,1]
	s_cbranch_scc1 .LBB207_19
; %bb.20:                               ;   in Loop: Header=BB207_5 Depth=1
	s_or_b32 s1, s17, 0x100
	s_delay_alu instid0(SALU_CYCLE_1)
	s_cmp_ge_i32 s1, s11
	s_barrier_signal -1
	s_barrier_wait -1
	s_cbranch_scc1 .LBB207_4
; %bb.21:                               ;   in Loop: Header=BB207_5 Depth=1
	v_add_nc_u32_e32 v0, s19, v78
	s_delay_alu instid0(VALU_DEP_1) | instskip(SKIP_1) | instid1(SALU_CYCLE_1)
	v_cmp_gt_i32_e64 s1, s10, v0
	s_and_b32 s20, s0, s1
	s_and_saveexec_b32 s1, s20
	s_cbranch_execz .LBB207_23
; %bb.22:                               ;   in Loop: Header=BB207_5 Depth=1
	v_add_nc_u32_e32 v0, v30, v0
	s_delay_alu instid0(VALU_DEP_1)
	v_mad_nc_i64_i32 v[0:1], v0, 36, v[38:39]
	global_load_b32 v0, v[0:1], off offset:4
	s_wait_loadcnt 0x0
	ds_store_b32 v53, v0
.LBB207_23:                             ;   in Loop: Header=BB207_5 Depth=1
	s_or_b32 exec_lo, exec_lo, s1
	s_and_saveexec_b32 s20, vcc_lo
	s_cbranch_execz .LBB207_26
; %bb.24:                               ;   in Loop: Header=BB207_5 Depth=1
	v_or_b32_e32 v0, 8, v68
	s_delay_alu instid0(VALU_DEP_1) | instskip(SKIP_1) | instid1(SALU_CYCLE_1)
	v_cmp_gt_i32_e64 s1, s10, v0
	s_and_b32 s1, s0, s1
	s_and_b32 exec_lo, exec_lo, s1
	s_cbranch_execz .LBB207_26
; %bb.25:                               ;   in Loop: Header=BB207_5 Depth=1
	v_ashrrev_i32_e32 v69, 31, v68
	s_delay_alu instid0(VALU_DEP_1) | instskip(NEXT) | instid1(VALU_DEP_1)
	v_add_nc_u64_e32 v[0:1], v[30:31], v[68:69]
	v_mad_nc_u64_u32 v[2:3], v0, 36, s[2:3]
	s_delay_alu instid0(VALU_DEP_1)
	v_mad_i32_i24 v3, v1, 36, v3
	global_load_b32 v0, v[2:3], off offset:288
	s_wait_loadcnt 0x0
	v_cvt_f32_f16_e32 v0, v0
	ds_store_b32 v57, v0
.LBB207_26:                             ;   in Loop: Header=BB207_5 Depth=1
	s_or_b32 exec_lo, exec_lo, s20
	v_dual_mov_b32 v1, v51 :: v_dual_mov_b32 v69, v55
	s_mov_b32 s1, 16
	s_wait_dscnt 0x0
	s_barrier_signal -1
	s_barrier_wait -1
.LBB207_27:                             ;   Parent Loop BB207_5 Depth=1
                                        ; =>  This Inner Loop Header: Depth=2
	s_and_b32 s22, s1, 0x3ffffff8
	s_add_co_i32 s20, s1, -16
	v_lshl_add_u32 v72, s22, 2, v80
	s_lshr_b32 s22, s1, 2
	s_and_b32 s21, s1, -16
	s_and_b32 s22, s22, 0x3ffffffc
	s_add_co_i32 s21, s1, s21
	ds_load_2addr_b32 v[2:3], v72 offset1:1
	s_addk_co_i32 s22, 0x5280
	ds_load_2addr_b32 v[6:7], v72 offset0:2 offset1:3
	ds_load_b32 v0, v69
	v_add_nc_u32_e32 v146, 0x2118, v72
	v_add_nc_u32_e32 v166, 0x3188, v72
	;; [unrolled: 1-line block ×4, first 2 shown]
	s_wait_dscnt 0x2
	v_dual_add_nc_u32 v69, 4, v69 :: v_dual_ashrrev_i32 v103, s20, v2
	v_ashrrev_i32_e32 v4, s20, v3
	ds_load_2addr_b32 v[2:3], v72 offset0:4 offset1:7
	v_dual_add_nc_u32 v109, s21, v59 :: v_dual_lshrrev_b32 v114, 24, v4
	v_and_b32_e32 v111, 3, v4
	v_bfe_u32 v112, v4, 8, 2
	v_bfe_u32 v113, v4, 16, 2
	s_wait_dscnt 0x0
	v_dual_ashrrev_i32 v2, s20, v2 :: v_dual_ashrrev_i32 v108, s20, v3
	v_add3_u32 v3, s22, v101, v85
	s_delay_alu instid0(VALU_DEP_2)
	v_dual_lshrrev_b32 v121, 24, v2 :: v_dual_bitop2_b32 v118, 3, v2 bitop3:0x40
	v_bfe_u32 v119, v2, 8, 2
	v_bfe_u32 v120, v2, 16, 2
	v_add_nc_u32_e32 v2, 0x1080, v72
	ds_load_b32 v110, v3
	v_dual_lshrrev_b32 v124, 16, v108 :: v_dual_bitop2_b32 v122, 3, v108 bitop3:0x40
	v_bfe_u32 v123, v108, 8, 2
	ds_load_2addr_b32 v[2:3], v2 offset1:1
	s_wait_dscnt 0x0
	v_dual_ashrrev_i32 v125, s20, v2 :: v_dual_bitop2_b32 v124, 3, v124 bitop3:0x40
	v_ashrrev_i32_e32 v4, s20, v3
	v_add_nc_u32_e32 v2, 0x1088, v72
	s_delay_alu instid0(VALU_DEP_2)
	v_dual_lshrrev_b32 v134, 24, v4 :: v_dual_bitop2_b32 v131, 3, v4 bitop3:0x40
	ds_load_2addr_b32 v[70:71], v2 offset1:1
	v_add_nc_u32_e32 v2, 0x1000, v72
	v_bfe_u32 v132, v4, 8, 2
	v_bfe_u32 v133, v4, 16, 2
	ds_load_2addr_b32 v[2:3], v2 offset0:36 offset1:39
	s_wait_dscnt 0x1
	v_ashrrev_i32_e32 v126, s20, v71
	v_add3_u32 v71, s22, v88, v89
	ds_load_b32 v71, v71
	s_wait_dscnt 0x1
	v_dual_ashrrev_i32 v7, s20, v7 :: v_dual_ashrrev_i32 v2, s20, v2
	v_ashrrev_i32_e32 v128, s20, v3
	v_add3_u32 v3, s22, v86, v87
	v_dual_lshrrev_b32 v137, 16, v126 :: v_dual_bitop2_b32 v135, 3, v126 bitop3:0x40
	s_delay_alu instid0(VALU_DEP_4)
	v_dual_lshrrev_b32 v141, 24, v2 :: v_dual_bitop2_b32 v138, 3, v2 bitop3:0x40
	v_bfe_u32 v139, v2, 8, 2
	v_bfe_u32 v140, v2, 16, 2
	v_add_nc_u32_e32 v2, 0x2100, v72
	ds_load_b32 v130, v3
	v_dual_lshrrev_b32 v117, 16, v7 :: v_dual_bitop2_b32 v115, 3, v7 bitop3:0x40
	v_bfe_u32 v116, v7, 8, 2
	ds_load_2addr_b32 v[2:3], v2 offset1:1
	v_lshrrev_b32_e32 v7, 24, v7
	v_bfe_u32 v136, v126, 8, 2
	v_dual_lshrrev_b32 v144, 16, v128 :: v_dual_bitop2_b32 v142, 3, v128 bitop3:0x40
	s_wait_dscnt 0x2
	v_cvt_f32_f16_e64 v164, v71
	v_add_nc_u32_e32 v127, 0x1094, v72
	v_bfe_u32 v143, v128, 8, 2
	s_wait_dscnt 0x0
	v_dual_ashrrev_i32 v4, s20, v2 :: v_dual_ashrrev_i32 v5, s20, v3
	v_add_nc_u32_e32 v2, 0x2110, v72
	s_delay_alu instid0(VALU_DEP_2) | instskip(NEXT) | instid1(VALU_DEP_3)
	v_dual_add_nc_u32 v147, s21, v63 :: v_dual_bitop2_b32 v148, 3, v4 bitop3:0x40
	v_and_b32_e32 v152, 3, v5
	ds_load_2addr_b32 v[2:3], v2 offset1:1
	v_bfe_u32 v149, v4, 8, 2
	v_bfe_u32 v150, v4, 16, 2
	;; [unrolled: 1-line block ×6, first 2 shown]
	s_wait_dscnt 0x0
	v_dual_ashrrev_i32 v2, s20, v2 :: v_dual_ashrrev_i32 v3, s20, v3
	s_delay_alu instid0(VALU_DEP_1)
	v_and_b32_e32 v156, 3, v2
	v_bfe_u32 v157, v2, 8, 2
	v_bfe_u32 v158, v2, 16, 2
	v_bfe_u32 v159, v2, 24, 2
	v_lshrrev_b32_e32 v2, 16, v71
	v_and_b32_e32 v160, 3, v3
	v_bfe_u32 v161, v3, 8, 2
	v_bfe_u32 v162, v3, 16, 2
	;; [unrolled: 1-line block ×3, first 2 shown]
	v_cvt_f32_f16_e64 v165, v2
	v_add_nc_u32_e32 v2, 0x3180, v72
	v_add3_u32 v71, s22, v90, v91
	v_add_nc_u32_e32 v145, 0x2108, v72
	ds_load_2addr_b32 v[2:3], v2 offset1:1
	ds_load_b32 v71, v71
	s_wait_dscnt 0x1
	v_ashrrev_i32_e32 v4, s20, v2
	v_add_nc_u32_e32 v2, 0x3190, v72
	v_dual_ashrrev_i32 v5, s20, v3 :: v_dual_add_nc_u32 v168, s21, v65
	s_delay_alu instid0(VALU_DEP_3)
	v_and_b32_e32 v169, 3, v4
	ds_load_2addr_b32 v[2:3], v2 offset1:1
	v_bfe_u32 v75, v4, 8, 2
	v_bfe_u32 v74, v4, 16, 2
	;; [unrolled: 1-line block ×3, first 2 shown]
	v_and_b32_e32 v170, 3, v5
	v_bfe_u32 v171, v5, 8, 2
	v_bfe_u32 v172, v5, 16, 2
	;; [unrolled: 1-line block ×3, first 2 shown]
	s_wait_dscnt 0x0
	v_dual_ashrrev_i32 v2, s20, v2 :: v_dual_ashrrev_i32 v3, s20, v3
	s_delay_alu instid0(VALU_DEP_1)
	v_and_b32_e32 v174, 3, v2
	v_bfe_u32 v175, v2, 8, 2
	v_bfe_u32 v176, v2, 16, 2
	;; [unrolled: 1-line block ×3, first 2 shown]
	v_and_b32_e32 v178, 3, v3
	v_bfe_u32 v179, v3, 8, 2
	v_bfe_u32 v77, v3, 16, 2
	;; [unrolled: 1-line block ×3, first 2 shown]
	ds_load_b128 v[2:5], v1
	ds_load_b128 v[104:107], v1 offset:16
	s_wait_dscnt 0x1
	v_ashrrev_i32_e32 v102, 24, v2
	v_bfe_i32 v185, v2, 0, 8
	v_bfe_i32 v186, v2, 16, 8
	;; [unrolled: 1-line block ×3, first 2 shown]
	v_lshrrev_b16 v2, 8, v4
	s_wait_dscnt 0x0
	v_lshrrev_b16 v180, 8, v104
	v_ashrrev_i32_e32 v181, 24, v104
	v_bfe_i32 v183, v104, 0, 8
	v_bfe_i32 v184, v104, 16, 8
	v_lshrrev_b16 v104, 8, v105
	v_dual_ashrrev_i32 v187, 24, v3 :: v_dual_ashrrev_i32 v189, 24, v105
	v_ashrrev_i32_e32 v195, 24, v106
	v_bfe_i32 v197, v2, 0, 8
	v_lshrrev_b16 v2, 8, v5
	v_bfe_i32 v180, v180, 0, 8
	v_bfe_i32 v182, v3, 8, 8
	;; [unrolled: 1-line block ×4, first 2 shown]
	v_dual_ashrrev_i32 v196, 24, v4 :: v_dual_ashrrev_i32 v203, 24, v107
	v_bfe_i32 v198, v4, 16, 8
	v_bfe_i32 v199, v4, 0, 8
	v_ashrrev_i32_e32 v204, 24, v5
	v_bfe_i32 v205, v2, 0, 8
	v_dual_add_nc_u32 v2, v189, v181 :: v_dual_add_nc_u32 v4, v187, v102
	v_bfe_i32 v193, v3, 0, 8
	v_bfe_i32 v202, v106, 8, 8
	;; [unrolled: 1-line block ×7, first 2 shown]
	v_dual_add_nc_u32 v3, v188, v180 :: v_dual_add_nc_u32 v5, v194, v186
	v_dual_add_nc_u32 v104, v193, v185 :: v_dual_add_nc_u32 v107, v190, v182
	v_add3_u32 v212, v4, v196, v204
	v_ashrrev_i32_e32 v4, s20, v6
	v_bfe_i32 v191, v105, 0, 8
	v_bfe_i32 v192, v105, 16, 8
	v_add3_u32 v213, v3, v202, v210
	v_add3_u32 v214, v2, v195, v203
	;; [unrolled: 1-line block ×3, first 2 shown]
	v_mul_i32_i24_e32 v2, v111, v193
	v_mul_i32_i24_e32 v3, v131, v193
	v_dual_ashrrev_i32 v5, s20, v70 :: v_dual_bitop2_b32 v6, 3, v125 bitop3:0x40
	v_add3_u32 v211, v107, v197, v205
	v_mul_i32_i24_e32 v107, v135, v207
	v_and_b32_e32 v70, 3, v103
	v_dual_lshrrev_b32 v219, 8, v4 :: v_dual_bitop2_b32 v131, 3, v134 bitop3:0x40
	v_and_b32_e32 v135, 3, v4
	v_dual_lshrrev_b32 v220, 8, v5 :: v_dual_bitop2_b32 v114, 3, v114 bitop3:0x40
	v_bfe_i32 v200, v106, 16, 8
	v_bfe_i32 v201, v106, 0, 8
	v_dual_add_nc_u32 v105, v192, v184 :: v_dual_add_nc_u32 v106, v191, v183
	v_dual_lshrrev_b32 v221, 16, v4 :: v_dual_bitop2_b32 v134, 3, v5 bitop3:0x40
	v_mul_i32_i24_e32 v113, v113, v194
	v_mul_i32_i24_e32 v133, v133, v194
	;; [unrolled: 1-line block ×4, first 2 shown]
	v_mad_i32_i24 v3, v132, v182, v3
	v_mad_i32_i24 v2, v112, v182, v2
	v_add3_u32 v215, v106, v201, v209
	v_add3_u32 v216, v105, v200, v208
	;; [unrolled: 1-line block ×3, first 2 shown]
	v_mul_i32_i24_e32 v104, v115, v207
	v_mul_i32_i24_e32 v105, v119, v180
	;; [unrolled: 1-line block ×3, first 2 shown]
	v_bfe_u32 v111, v125, 8, 2
	v_bfe_u32 v115, v103, 8, 2
	;; [unrolled: 1-line block ×6, first 2 shown]
	v_dual_lshrrev_b32 v222, 16, v5 :: v_dual_bitop2_b32 v220, 3, v220 bitop3:0x40
	v_mul_i32_i24_e32 v70, v185, v70
	v_mul_i32_i24_e32 v6, v185, v6
	;; [unrolled: 1-line block ×4, first 2 shown]
	v_add3_u32 v2, v2, v113, v114
	v_add3_u32 v3, v3, v133, v131
	v_dual_lshrrev_b32 v4, 24, v4 :: v_dual_bitop2_b32 v219, 3, v219 bitop3:0x40
	v_dual_lshrrev_b32 v5, 24, v5 :: v_dual_bitop2_b32 v222, 3, v222 bitop3:0x40
	v_mul_i32_i24_e32 v115, v190, v115
	v_mul_i32_i24_e32 v111, v190, v111
	;; [unrolled: 1-line block ×4, first 2 shown]
	v_add3_u32 v3, v3, v134, v6
	v_add3_u32 v2, v2, v135, v70
	v_and_b32_e32 v221, 3, v221
	v_and_b32_e32 v5, 3, v5
	;; [unrolled: 1-line block ×3, first 2 shown]
	v_mul_i32_i24_e32 v122, v102, v122
	v_mul_i32_i24_e32 v119, v102, v119
	;; [unrolled: 1-line block ×4, first 2 shown]
	v_add3_u32 v2, v2, v115, v103
	v_add3_u32 v3, v3, v111, v125
	v_mul_i32_i24_e32 v221, v221, v198
	v_mul_i32_i24_e32 v222, v222, v198
	;; [unrolled: 1-line block ×4, first 2 shown]
	v_add3_u32 v3, v3, v119, v220
	v_add3_u32 v2, v2, v122, v219
	v_mul_i32_i24_e32 v6, v138, v183
	v_mul_i32_i24_e32 v120, v120, v184
	v_mul_i32_i24_e32 v135, v140, v184
	v_add3_u32 v103, v3, v222, v5
	v_add3_u32 v70, v2, v221, v4
	ds_load_2addr_b32 v[2:3], v72 offset0:5 offset1:6
	ds_load_2addr_b32 v[4:5], v127 offset1:1
	v_mad_i32_i24 v105, v118, v183, v105
	v_mad_i32_i24 v6, v139, v180, v6
	v_mul_i32_i24_e32 v111, v142, v209
	v_mul_i32_i24_e32 v75, v75, v190
	;; [unrolled: 1-line block ×6, first 2 shown]
	s_wait_dscnt 0x0
	v_dual_ashrrev_i32 v2, s20, v2 :: v_dual_ashrrev_i32 v4, s20, v4
	v_and_b32_e32 v112, 3, v121
	v_dual_ashrrev_i32 v3, s20, v3 :: v_dual_bitop2_b32 v72, 3, v141 bitop3:0x40
	s_delay_alu instid0(VALU_DEP_3) | instskip(SKIP_3) | instid1(VALU_DEP_4)
	v_dual_lshrrev_b32 v115, 8, v2 :: v_dual_lshrrev_b32 v119, 8, v4
	v_dual_lshrrev_b32 v122, 16, v4 :: v_dual_ashrrev_i32 v5, s20, v5
	v_and_b32_e32 v113, 3, v4
	v_dual_lshrrev_b32 v121, 16, v2 :: v_dual_bitop2_b32 v114, 3, v2 bitop3:0x40
	v_and_b32_e32 v119, 3, v119
	v_dual_lshrrev_b32 v2, 24, v2 :: v_dual_bitop2_b32 v115, 3, v115 bitop3:0x40
	v_dual_lshrrev_b32 v4, 24, v4 :: v_dual_bitop2_b32 v122, 3, v122 bitop3:0x40
	v_mul_i32_i24_e32 v112, v112, v181
	v_mul_i32_i24_e32 v72, v72, v181
	v_dual_lshrrev_b32 v131, 8, v3 :: v_dual_bitop2_b32 v121, 3, v121 bitop3:0x40
	s_delay_alu instid0(VALU_DEP_4) | instskip(SKIP_1) | instid1(VALU_DEP_4)
	v_dual_lshrrev_b32 v132, 8, v5 :: v_dual_bitop2_b32 v4, 3, v4 bitop3:0x40
	v_dual_lshrrev_b32 v133, 16, v3 :: v_dual_bitop2_b32 v2, 3, v2 bitop3:0x40
	v_add3_u32 v6, v6, v135, v72
	v_add3_u32 v72, v105, v120, v112
	v_mul_i32_i24_e32 v105, v114, v191
	v_mul_i32_i24_e32 v112, v113, v191
	;; [unrolled: 1-line block ×4, first 2 shown]
	v_dual_lshrrev_b32 v134, 16, v5 :: v_dual_bitop2_b32 v125, 3, v5 bitop3:0x40
	v_dual_lshrrev_b32 v3, 24, v3 :: v_dual_bitop2_b32 v127, 3, v3 bitop3:0x40
	;; [unrolled: 1-line block ×3, first 2 shown]
	v_and_b32_e32 v131, 3, v131
	v_mul_i32_i24_e32 v115, v121, v192
	v_mul_i32_i24_e32 v118, v122, v192
	;; [unrolled: 1-line block ×4, first 2 shown]
	v_add3_u32 v72, v72, v105, v113
	v_add3_u32 v6, v6, v112, v114
	v_and_b32_e32 v134, 3, v134
	v_and_b32_e32 v133, 3, v133
	;; [unrolled: 1-line block ×4, first 2 shown]
	v_mul_i32_i24_e32 v119, v127, v201
	v_mul_i32_i24_e32 v120, v125, v201
	;; [unrolled: 1-line block ×4, first 2 shown]
	v_add3_u32 v4, v6, v118, v4
	v_add3_u32 v2, v72, v115, v2
	v_mul_i32_i24_e32 v125, v133, v200
	v_mul_i32_i24_e32 v127, v134, v200
	;; [unrolled: 1-line block ×3, first 2 shown]
	v_add3_u32 v4, v4, v120, v122
	v_add3_u32 v2, v2, v119, v121
	v_lshrrev_b32_e32 v121, 24, v126
	v_mul_i32_i24_e32 v3, v3, v195
	ds_load_u16 v6, v129 offset:17904
	v_add3_u32 v4, v4, v127, v5
	v_and_b32_e32 v135, 3, v144
	v_and_b32_e32 v121, 3, v121
	v_add3_u32 v5, v2, v125, v3
	ds_load_u16 v2, v109 offset:16880
	s_wait_dscnt 0x1
	v_lshrrev_b16 v72, 8, v6
	v_bfe_u32 v114, v6, 4, 4
	v_and_b32_e32 v6, 15, v6
	s_wait_dscnt 0x0
	v_lshrrev_b16 v3, 8, v2
	v_bfe_u32 v105, v2, 4, 4
	v_and_b32_e32 v112, 0xffff, v72
	v_and_b32_e32 v2, 15, v2
	;; [unrolled: 1-line block ×4, first 2 shown]
	v_lshrrev_b32_e32 v6, 24, v108
	v_mul_lo_u32 v105, 0x1010101, v105
	v_and_b32_e32 v125, 0xffff, v2
	v_lshrrev_b32_e32 v2, 4, v112
	v_and_b32_e32 v113, 0xffff, v3
	v_mul_lo_u32 v114, 0x1010101, v114
	v_mul_i32_i24_e32 v120, v120, v206
	s_delay_alu instid0(VALU_DEP_4) | instskip(SKIP_4) | instid1(VALU_DEP_3)
	v_mul_lo_u32 v2, 0x1010101, v2
	v_and_b32_e32 v117, 3, v117
	v_lshrrev_b32_e32 v113, 4, v113
	v_bfe_i32 v109, v105, 16, 8
	v_lshrrev_b32_e32 v119, 24, v105
	v_mul_lo_u32 v113, 0x1010101, v113
	v_dual_lshrrev_b32 v118, 24, v114 :: v_dual_bitop2_b32 v122, 3, v7 bitop3:0x40
	v_bfe_i32 v115, v114, 16, 8
	v_bfe_i32 v112, v2, 0, 8
	;; [unrolled: 1-line block ×3, first 2 shown]
	v_lshrrev_b32_e32 v132, 24, v2
	v_bfe_i32 v134, v2, 16, 8
	v_dual_lshrrev_b32 v2, 24, v128 :: v_dual_bitop2_b32 v128, 3, v6 bitop3:0x40
	v_dual_lshrrev_b32 v6, 16, v130 :: v_dual_lshrrev_b32 v133, 24, v113
	v_mul_i32_i24_e32 v117, v117, v206
	s_delay_alu instid0(VALU_DEP_3) | instskip(SKIP_1) | instid1(VALU_DEP_4)
	v_and_b32_e32 v108, 3, v2
	v_and_b32_e32 v2, 15, v3
	v_cvt_f32_f16_e32 v7, v6
	v_mul_i32_i24_e32 v122, v122, v204
	v_mul_i32_i24_e32 v121, v121, v204
	;; [unrolled: 1-line block ×3, first 2 shown]
	v_and_b32_e32 v137, 0xffff, v2
	v_cvt_f32_f16_e32 v2, v110
	v_lshrrev_b32_e32 v110, 16, v110
	v_bfe_i32 v127, v113, 0, 8
	v_bfe_i32 v131, v113, 8, 8
	;; [unrolled: 1-line block ×3, first 2 shown]
	v_mul_i32_i24_e32 v109, v218, v109
	v_cvt_f32_f16_e32 v6, v110
	v_bfe_i32 v110, v105, 8, 8
	v_bfe_i32 v105, v105, 0, 8
	v_mul_i32_i24_e32 v115, v218, v115
	v_and_b32_e32 v3, 15, v72
	s_delay_alu instid0(VALU_DEP_3) | instskip(NEXT) | instid1(VALU_DEP_2)
	v_mul_i32_i24_e32 v105, v217, v105
	v_and_b32_e32 v72, 0xffff, v3
	v_cvt_f32_f16_e64 v3, v130
	v_mul_i32_i24_e32 v130, v151, v102
	s_delay_alu instid0(VALU_DEP_4) | instskip(SKIP_2) | instid1(VALU_DEP_2)
	v_mad_i32_i24 v105, v211, v110, v105
	v_mul_i32_i24_e32 v110, v116, v205
	v_mul_i32_i24_e32 v116, v136, v205
	v_add3_u32 v70, v70, v104, v110
	v_mul_i32_i24_e32 v104, v123, v210
	v_mul_i32_i24_e32 v110, v124, v208
	s_delay_alu instid0(VALU_DEP_4)
	v_add3_u32 v103, v103, v107, v116
	v_mul_i32_i24_e32 v107, v143, v210
	v_add3_u32 v70, v70, v117, v122
	v_mul_i32_i24_e32 v117, v128, v203
	;; [unrolled: 2-line block ×3, first 2 shown]
	v_add3_u32 v4, v4, v111, v107
	v_add3_u32 v103, v103, v120, v121
	v_mul_i32_i24_e32 v107, v216, v113
	v_add3_u32 v5, v5, v110, v117
	v_mul_i32_i24_e32 v117, v212, v118
	v_bfe_i32 v118, v114, 8, 8
	v_bfe_i32 v114, v114, 0, 8
	v_add3_u32 v4, v4, v116, v108
	v_mul_i32_i24_e32 v116, v212, v119
	v_mul_i32_i24_e32 v110, v215, v127
	;; [unrolled: 1-line block ×6, first 2 shown]
	v_add3_u32 v105, v105, v109, v116
	v_mul_lo_u32 v103, v103, v126
	v_mad_i32_i24 v114, v211, v118, v114
	v_mul_i32_i24_e32 v104, v214, v133
	v_mul_i32_i24_e32 v106, v214, v132
	;; [unrolled: 1-line block ×3, first 2 shown]
	v_add3_u32 v105, v105, v110, v112
	v_add3_u32 v109, v114, v115, v117
	v_mul_lo_u32 v70, v70, v125
	v_mul_i32_i24_e32 v126, v149, v190
	v_mul_i32_i24_e32 v128, v150, v186
	v_add3_u32 v104, v105, v107, v104
	v_add3_u32 v109, v109, v111, v113
	v_mad_u32 v4, v4, v72, v103
	v_mul_i32_i24_e32 v72, v152, v193
	v_mul_i32_i24_e32 v103, v154, v194
	v_cvt_f32_i32_e32 v104, v104
	v_add3_u32 v105, v109, v108, v106
	v_mul_i32_i24_e32 v108, v160, v191
	v_mad_i32_i24 v72, v153, v182, v72
	v_mad_u32 v70, v5, v137, v70
	v_mul_i32_i24_e32 v109, v161, v188
	v_cvt_f32_i32_e32 v105, v105
	v_mul_i32_i24_e32 v127, v162, v192
	v_cvt_f32_i32_e32 v5, v4
	v_mul_i32_i24_e32 v129, v163, v189
	s_delay_alu instid0(VALU_DEP_4) | instskip(SKIP_4) | instid1(VALU_DEP_4)
	v_pk_mul_f32 v[6:7], v[6:7], v[104:105]
	v_mul_i32_i24_e32 v104, v155, v187
	v_mul_i32_i24_e32 v105, v159, v181
	v_cvt_f32_i32_e32 v4, v70
	v_mul_i32_i24_e32 v70, v185, v148
	v_add3_u32 v72, v72, v103, v104
	v_mul_i32_i24_e32 v103, v156, v183
	v_mul_i32_i24_e32 v104, v158, v184
	v_pk_fma_f32 v[2:3], v[2:3], v[4:5], v[6:7] neg_lo:[0,0,1] neg_hi:[0,0,1]
	s_delay_alu instid0(VALU_DEP_3) | instskip(NEXT) | instid1(VALU_DEP_2)
	v_mad_i32_i24 v103, v157, v180, v103
	v_pk_fma_f32 v[22:23], v[0:1], v[2:3], v[22:23] op_sel_hi:[0,1,1]
	s_delay_alu instid0(VALU_DEP_2)
	v_add3_u32 v103, v103, v104, v105
	ds_load_2addr_b32 v[104:105], v145 offset1:1
	ds_load_2addr_b32 v[106:107], v146 offset1:1
	ds_load_u16 v110, v147 offset:18928
	s_wait_dscnt 0x1
	v_dual_ashrrev_i32 v104, s20, v104 :: v_dual_ashrrev_i32 v106, s20, v106
	s_wait_dscnt 0x0
	v_lshrrev_b16 v111, 8, v110
	v_dual_ashrrev_i32 v105, s20, v105 :: v_dual_ashrrev_i32 v107, s20, v107
	s_delay_alu instid0(VALU_DEP_3) | instskip(SKIP_1) | instid1(VALU_DEP_4)
	v_dual_lshrrev_b32 v117, 8, v104 :: v_dual_bitop2_b32 v114, 3, v104 bitop3:0x40
	v_dual_lshrrev_b32 v116, 8, v106 :: v_dual_lshrrev_b32 v118, 16, v106
	v_and_b32_e32 v112, 0xffff, v111
	s_delay_alu instid0(VALU_DEP_3) | instskip(NEXT) | instid1(VALU_DEP_4)
	v_mul_i32_i24_e32 v114, v114, v199
	v_dual_lshrrev_b32 v119, 16, v104 :: v_dual_bitop2_b32 v117, 3, v117 bitop3:0x40
	s_delay_alu instid0(VALU_DEP_4) | instskip(SKIP_1) | instid1(VALU_DEP_4)
	v_and_b32_e32 v116, 3, v116
	v_dual_lshrrev_b32 v104, 24, v104 :: v_dual_bitop2_b32 v118, 3, v118 bitop3:0x40
	v_add3_u32 v70, v72, v114, v70
	v_dual_lshrrev_b32 v112, 4, v112 :: v_dual_bitop2_b32 v115, 3, v106 bitop3:0x40
	v_dual_lshrrev_b32 v106, 24, v106 :: v_dual_bitop2_b32 v119, 3, v119 bitop3:0x40
	s_delay_alu instid0(VALU_DEP_4)
	v_dual_lshrrev_b32 v123, 8, v105 :: v_dual_bitop2_b32 v104, 3, v104 bitop3:0x40
	v_mul_i32_i24_e32 v117, v117, v197
	v_add3_u32 v72, v103, v108, v109
	v_add3_u32 v70, v70, v126, v128
	v_bfe_u32 v113, v110, 4, 4
	v_mul_lo_u32 v112, 0x1010101, v112
	v_dual_lshrrev_b32 v122, 8, v107 :: v_dual_bitop2_b32 v106, 3, v106 bitop3:0x40
	v_dual_lshrrev_b32 v125, 16, v105 :: v_dual_bitop2_b32 v121, 3, v105 bitop3:0x40
	;; [unrolled: 1-line block ×3, first 2 shown]
	v_mul_i32_i24_e32 v115, v115, v201
	v_mul_i32_i24_e32 v116, v116, v202
	;; [unrolled: 1-line block ×4, first 2 shown]
	v_add3_u32 v72, v72, v127, v129
	v_add3_u32 v70, v70, v130, v117
	v_mul_lo_u32 v113, 0x1010101, v113
	v_dual_lshrrev_b32 v124, 16, v107 :: v_dual_bitop2_b32 v120, 3, v107 bitop3:0x40
	v_dual_lshrrev_b32 v107, 24, v107 :: v_dual_bitop2_b32 v122, 3, v122 bitop3:0x40
	;; [unrolled: 1-line block ×3, first 2 shown]
	v_and_b32_e32 v105, 3, v105
	v_mul_i32_i24_e32 v118, v118, v200
	v_mul_i32_i24_e32 v106, v106, v195
	v_mul_i32_i24_e32 v121, v121, v207
	v_mul_i32_i24_e32 v123, v123, v205
	v_add3_u32 v72, v72, v115, v116
	v_add3_u32 v70, v70, v119, v104
	v_and_b32_e32 v124, 3, v124
	v_and_b32_e32 v107, 3, v107
	v_mul_i32_i24_e32 v120, v120, v209
	v_mul_i32_i24_e32 v122, v122, v210
	;; [unrolled: 1-line block ×4, first 2 shown]
	v_add3_u32 v72, v72, v118, v106
	v_add3_u32 v70, v70, v121, v123
	v_mul_i32_i24_e32 v124, v124, v208
	v_mul_i32_i24_e32 v107, v107, v203
	v_bfe_i32 v104, v112, 16, 8
	v_add3_u32 v72, v72, v120, v122
	v_add3_u32 v70, v70, v125, v105
	v_bfe_i32 v105, v112, 8, 8
	v_bfe_i32 v106, v112, 0, 8
	;; [unrolled: 1-line block ×3, first 2 shown]
	v_add3_u32 v72, v72, v124, v107
	v_lshrrev_b32_e32 v107, 24, v113
	v_bfe_i32 v108, v113, 16, 8
	v_bfe_i32 v109, v113, 8, 8
	v_mul_i32_i24_e32 v112, v217, v112
	v_mul_i32_i24_e32 v106, v215, v106
	;; [unrolled: 1-line block ×5, first 2 shown]
	v_mad_i32_i24 v109, v211, v109, v112
	v_mul_i32_i24_e32 v104, v216, v104
	v_mul_i32_i24_e32 v103, v214, v103
	s_delay_alu instid0(VALU_DEP_3) | instskip(NEXT) | instid1(VALU_DEP_1)
	v_add3_u32 v107, v109, v108, v107
	v_add3_u32 v105, v107, v106, v105
	v_mul_i32_i24_e32 v106, v173, v187
	s_delay_alu instid0(VALU_DEP_2) | instskip(SKIP_2) | instid1(VALU_DEP_2)
	v_add3_u32 v103, v105, v104, v103
	v_mul_i32_i24_e32 v104, v170, v193
	v_mul_i32_i24_e32 v105, v172, v194
	v_mad_i32_i24 v104, v171, v182, v104
	s_delay_alu instid0(VALU_DEP_1) | instskip(SKIP_3) | instid1(VALU_DEP_3)
	v_add3_u32 v108, v104, v105, v106
	v_mul_i32_i24_e32 v104, v174, v183
	v_mul_i32_i24_e32 v105, v176, v184
	v_mul_i32_i24_e32 v106, v177, v181
	v_mad_i32_i24 v104, v175, v180, v104
	s_delay_alu instid0(VALU_DEP_1)
	v_add3_u32 v109, v104, v105, v106
	ds_load_2addr_b32 v[104:105], v166 offset1:1
	ds_load_2addr_b32 v[106:107], v167 offset1:1
	ds_load_u16 v112, v168 offset:19952
	v_and_b32_e32 v110, 15, v110
	s_wait_dscnt 0x2
	v_dual_ashrrev_i32 v105, s20, v105 :: v_dual_bitop2_b32 v111, 15, v111 bitop3:0x40
	v_ashrrev_i32_e32 v104, s20, v104
	s_wait_dscnt 0x0
	v_lshrrev_b16 v113, 8, v112
	v_ashrrev_i32_e32 v107, s20, v107
	v_and_b32_e32 v110, 0xffff, v110
	v_ashrrev_i32_e32 v106, s20, v106
	v_bfe_u32 v115, v112, 4, 4
	v_and_b32_e32 v114, 0xffff, v113
	v_and_b32_e32 v116, 3, v104
	v_mul_lo_u32 v70, v70, v110
	v_dual_lshrrev_b32 v118, 8, v106 :: v_dual_bitop2_b32 v117, 3, v106 bitop3:0x40
	s_delay_alu instid0(VALU_DEP_4) | instskip(SKIP_2) | instid1(VALU_DEP_4)
	v_dual_lshrrev_b32 v114, 4, v114 :: v_dual_lshrrev_b32 v119, 8, v104
	v_mul_lo_u32 v115, 0x1010101, v115
	v_and_b32_e32 v111, 0xffff, v111
	v_and_b32_e32 v118, 3, v118
	s_delay_alu instid0(VALU_DEP_4)
	v_mul_lo_u32 v114, 0x1010101, v114
	v_dual_lshrrev_b32 v120, 16, v106 :: v_dual_bitop2_b32 v119, 3, v119 bitop3:0x40
	v_dual_lshrrev_b32 v121, 16, v104 :: v_dual_lshrrev_b32 v106, 24, v106
	v_mad_u32 v70, v72, v111, v70
	v_cvt_f32_i32_e32 v72, v103
	v_mul_i32_i24_e32 v103, v185, v169
	v_mul_i32_i24_e32 v110, v178, v191
	;; [unrolled: 1-line block ×3, first 2 shown]
	v_dual_lshrrev_b32 v104, 24, v104 :: v_dual_bitop2_b32 v121, 3, v121 bitop3:0x40
	v_dual_lshrrev_b32 v125, 8, v105 :: v_dual_bitop2_b32 v106, 3, v106 bitop3:0x40
	v_mul_i32_i24_e32 v116, v116, v199
	s_delay_alu instid0(VALU_DEP_3) | instskip(NEXT) | instid1(VALU_DEP_3)
	v_dual_lshrrev_b32 v126, 16, v107 :: v_dual_bitop2_b32 v104, 3, v104 bitop3:0x40
	v_dual_lshrrev_b32 v128, 24, v114 :: v_dual_bitop2_b32 v125, 3, v125 bitop3:0x40
	v_lshrrev_b16 v129, 8, v115
	s_delay_alu instid0(VALU_DEP_4)
	v_add3_u32 v103, v108, v116, v103
	v_add3_u32 v108, v109, v110, v111
	v_dual_lshrrev_b32 v124, 8, v107 :: v_dual_bitop2_b32 v120, 3, v120 bitop3:0x40
	v_and_b32_e32 v126, 3, v126
	v_bfe_i32 v130, v115, 0, 8
	v_bfe_i32 v131, v115, 16, 8
	v_lshrrev_b32_e32 v115, 24, v115
	v_bfe_i32 v132, v114, 16, 8
	v_bfe_i32 v133, v114, 8, 8
	;; [unrolled: 1-line block ×4, first 2 shown]
	v_mul_i32_i24_e32 v117, v117, v201
	v_mul_i32_i24_e32 v102, v119, v197
	;; [unrolled: 1-line block ×3, first 2 shown]
	v_add3_u32 v76, v108, v77, v76
	v_add3_u32 v74, v103, v75, v74
	v_mul_i32_i24_e32 v103, v214, v128
	v_dual_lshrrev_b32 v127, 16, v105 :: v_dual_bitop2_b32 v122, 3, v107 bitop3:0x40
	v_dual_lshrrev_b32 v107, 24, v107 :: v_dual_bitop2_b32 v123, 3, v105 bitop3:0x40
	;; [unrolled: 1-line block ×3, first 2 shown]
	v_mul_i32_i24_e32 v119, v121, v198
	v_mul_i32_i24_e32 v104, v104, v196
	v_add3_u32 v73, v74, v73, v102
	v_add3_u32 v74, v76, v117, v118
	v_mul_i32_i24_e32 v75, v211, v129
	v_mul_i32_i24_e32 v76, v215, v114
	;; [unrolled: 1-line block ×4, first 2 shown]
	v_mad_i32_i24 v103, v212, v115, v103
	v_and_b32_e32 v127, 3, v127
	v_and_b32_e32 v105, 3, v105
	v_mul_i32_i24_e32 v121, v123, v207
	v_mul_i32_i24_e32 v123, v125, v205
	v_add3_u32 v73, v73, v119, v104
	v_mad_i32_i24 v102, v218, v131, v102
	v_mad_i32_i24 v76, v217, v130, v76
	v_add3_u32 v75, v75, v77, v103
	v_mul_i32_i24_e32 v125, v127, v206
	v_mul_i32_i24_e32 v105, v105, v204
	v_add3_u32 v73, v73, v121, v123
	v_mul_i32_i24_e32 v120, v120, v200
	v_add3_u32 v77, v76, v102, v75
	v_and_b32_e32 v75, 15, v112
	v_mul_i32_i24_e32 v106, v106, v195
	v_add3_u32 v73, v73, v125, v105
	v_and_b32_e32 v107, 3, v107
	v_mul_i32_i24_e32 v122, v122, v209
	v_and_b32_e32 v75, 0xffff, v75
	v_mul_i32_i24_e32 v124, v124, v210
	v_add3_u32 v74, v74, v120, v106
	v_mul_i32_i24_e32 v126, v126, v208
	v_mul_i32_i24_e32 v107, v107, v203
	v_mul_lo_u32 v73, v73, v75
	v_and_b32_e32 v76, 15, v113
	v_add3_u32 v74, v74, v122, v124
	v_cvt_f32_i32_e32 v77, v77
	v_cvt_f32_i32_e32 v70, v70
	v_mul_f32_e32 v72, v165, v72
	v_and_b32_e32 v76, 0xffff, v76
	v_add3_u32 v74, v74, v126, v107
	s_add_co_i32 s20, s1, 2
	v_mul_f32_e32 v70, v164, v70
	s_cmp_lt_u32 s1, 22
	s_mov_b32 s1, s20
	v_mad_u32 v73, v74, v76, v73
	v_cvt_f32_f16_e32 v74, v71
	v_lshrrev_b32_e32 v71, 16, v71
	s_delay_alu instid0(VALU_DEP_1) | instskip(NEXT) | instid1(VALU_DEP_4)
	v_cvt_f32_f16_e32 v75, v71
	v_cvt_f32_i32_e32 v76, v73
	s_delay_alu instid0(VALU_DEP_1) | instskip(NEXT) | instid1(VALU_DEP_1)
	v_pk_mul_f32 v[74:75], v[74:75], v[76:77]
	v_dual_mov_b32 v71, v74 :: v_dual_mov_b32 v73, v75
	s_delay_alu instid0(VALU_DEP_1) | instskip(NEXT) | instid1(VALU_DEP_1)
	v_pk_add_f32 v[4:5], v[70:71], v[72:73] neg_lo:[0,1] neg_hi:[0,1]
	v_pk_fma_f32 v[20:21], v[0:1], v[4:5], v[20:21] op_sel_hi:[0,1,1]
	v_add_nc_u32_e32 v1, 32, v1
	s_cbranch_scc1 .LBB207_27
; %bb.28:                               ;   in Loop: Header=BB207_5 Depth=1
	s_or_b32 s1, s17, 0x180
	s_delay_alu instid0(SALU_CYCLE_1)
	s_cmp_ge_i32 s1, s11
	s_barrier_signal -1
	s_barrier_wait -1
	s_cbranch_scc1 .LBB207_4
; %bb.29:                               ;   in Loop: Header=BB207_5 Depth=1
	v_add_nc_u32_e32 v0, s19, v79
	s_delay_alu instid0(VALU_DEP_1) | instskip(SKIP_1) | instid1(SALU_CYCLE_1)
	v_cmp_gt_i32_e64 s1, s10, v0
	s_and_b32 s17, s0, s1
	s_and_saveexec_b32 s1, s17
	s_cbranch_execz .LBB207_31
; %bb.30:                               ;   in Loop: Header=BB207_5 Depth=1
	v_add_nc_u32_e32 v0, v30, v0
	s_delay_alu instid0(VALU_DEP_1)
	v_mad_nc_i64_i32 v[0:1], v0, 36, v[38:39]
	global_load_b32 v0, v[0:1], off offset:4
	s_wait_loadcnt 0x0
	ds_store_b32 v53, v0
.LBB207_31:                             ;   in Loop: Header=BB207_5 Depth=1
	s_or_b32 exec_lo, exec_lo, s1
	s_and_saveexec_b32 s17, vcc_lo
	s_cbranch_execz .LBB207_34
; %bb.32:                               ;   in Loop: Header=BB207_5 Depth=1
	v_or_b32_e32 v0, 12, v68
	s_delay_alu instid0(VALU_DEP_1) | instskip(SKIP_1) | instid1(SALU_CYCLE_1)
	v_cmp_gt_i32_e64 s1, s10, v0
	s_and_b32 s1, s0, s1
	s_and_b32 exec_lo, exec_lo, s1
	s_cbranch_execz .LBB207_34
; %bb.33:                               ;   in Loop: Header=BB207_5 Depth=1
	v_ashrrev_i32_e32 v69, 31, v68
	s_delay_alu instid0(VALU_DEP_1) | instskip(NEXT) | instid1(VALU_DEP_1)
	v_add_nc_u64_e32 v[0:1], v[30:31], v[68:69]
	v_mad_nc_u64_u32 v[2:3], v0, 36, s[2:3]
	s_delay_alu instid0(VALU_DEP_1)
	v_mad_i32_i24 v3, v1, 36, v3
	global_load_b32 v0, v[2:3], off offset:432
	s_wait_loadcnt 0x0
	v_cvt_f32_f16_e32 v0, v0
	ds_store_b32 v57, v0
.LBB207_34:                             ;   in Loop: Header=BB207_5 Depth=1
	s_or_b32 exec_lo, exec_lo, s17
	v_dual_mov_b32 v1, v51 :: v_dual_mov_b32 v74, v55
	s_mov_b32 s1, 24
	s_wait_dscnt 0x0
	s_barrier_signal -1
	s_barrier_wait -1
.LBB207_35:                             ;   Parent Loop BB207_5 Depth=1
                                        ; =>  This Inner Loop Header: Depth=2
	s_and_b32 s20, s1, 0x3ffffff8
	s_sub_co_i32 s17, s1, 24
	v_lshl_add_u32 v70, s20, 2, v80
	s_lshr_b32 s20, s1, 2
	s_and_b32 s19, s1, -16
	s_and_b32 s20, s20, 0x3ffffffc
	s_add_co_i32 s19, s1, s19
	ds_load_2addr_b32 v[2:3], v70 offset1:1
	s_addk_co_i32 s20, 0x5280
	ds_load_2addr_b32 v[6:7], v70 offset0:2 offset1:3
	ds_load_b32 v0, v74
	v_add_nc_u32_e32 v126, 0x1094, v70
	v_add_nc_u32_e32 v144, 0x2108, v70
	v_add_nc_u32_e32 v166, 0x3198, v70
	v_dual_add_nc_u32 v128, s19, v61 :: v_dual_add_nc_u32 v74, 4, v74
	s_wait_dscnt 0x2
	v_dual_ashrrev_i32 v106, s17, v2 :: v_dual_ashrrev_i32 v4, s17, v3
	ds_load_2addr_b32 v[2:3], v70 offset0:4 offset1:7
	v_dual_add_nc_u32 v108, s19, v59 :: v_dual_lshrrev_b32 v113, 24, v4
	v_and_b32_e32 v110, 3, v4
	v_bfe_u32 v111, v4, 8, 2
	v_bfe_u32 v112, v4, 16, 2
	s_wait_dscnt 0x0
	v_dual_ashrrev_i32 v2, s17, v2 :: v_dual_ashrrev_i32 v107, s17, v3
	v_add3_u32 v3, s20, v101, v85
	s_delay_alu instid0(VALU_DEP_2)
	v_dual_lshrrev_b32 v120, 24, v2 :: v_dual_bitop2_b32 v117, 3, v2 bitop3:0x40
	v_bfe_u32 v118, v2, 8, 2
	v_bfe_u32 v119, v2, 16, 2
	v_add_nc_u32_e32 v2, 0x1080, v70
	ds_load_b32 v109, v3
	v_dual_lshrrev_b32 v123, 16, v107 :: v_dual_bitop2_b32 v121, 3, v107 bitop3:0x40
	v_bfe_u32 v122, v107, 8, 2
	ds_load_2addr_b32 v[2:3], v2 offset1:1
	v_ashrrev_i32_e32 v7, s17, v7
	v_and_b32_e32 v123, 3, v123
	s_delay_alu instid0(VALU_DEP_2) | instskip(SKIP_1) | instid1(VALU_DEP_2)
	v_dual_lshrrev_b32 v116, 16, v7 :: v_dual_bitop2_b32 v114, 3, v7 bitop3:0x40
	v_bfe_u32 v115, v7, 8, 2
	v_dual_lshrrev_b32 v7, 24, v7 :: v_dual_bitop2_b32 v116, 3, v116 bitop3:0x40
	s_wait_dscnt 0x0
	v_dual_ashrrev_i32 v124, s17, v2 :: v_dual_ashrrev_i32 v4, s17, v3
	v_add_nc_u32_e32 v2, 0x1088, v70
	s_delay_alu instid0(VALU_DEP_2)
	v_dual_lshrrev_b32 v133, 24, v4 :: v_dual_bitop2_b32 v130, 3, v4 bitop3:0x40
	ds_load_2addr_b32 v[68:69], v2 offset1:1
	v_add_nc_u32_e32 v2, 0x1000, v70
	v_bfe_u32 v131, v4, 8, 2
	v_bfe_u32 v132, v4, 16, 2
	ds_load_2addr_b32 v[2:3], v2 offset0:36 offset1:39
	s_wait_dscnt 0x1
	v_ashrrev_i32_e32 v125, s17, v69
	v_add3_u32 v69, s20, v88, v89
	s_wait_dscnt 0x0
	v_dual_ashrrev_i32 v2, s17, v2 :: v_dual_ashrrev_i32 v127, s17, v3
	v_add3_u32 v3, s20, v86, v87
	ds_load_b32 v69, v69
	v_dual_lshrrev_b32 v136, 16, v125 :: v_dual_bitop2_b32 v134, 3, v125 bitop3:0x40
	v_dual_lshrrev_b32 v140, 24, v2 :: v_dual_bitop2_b32 v137, 3, v2 bitop3:0x40
	v_bfe_u32 v138, v2, 8, 2
	v_bfe_u32 v139, v2, 16, 2
	v_add_nc_u32_e32 v2, 0x2100, v70
	ds_load_b32 v129, v3
	v_bfe_u32 v135, v125, 8, 2
	v_dual_lshrrev_b32 v143, 16, v127 :: v_dual_bitop2_b32 v141, 3, v127 bitop3:0x40
	ds_load_2addr_b32 v[2:3], v2 offset1:1
	v_bfe_u32 v142, v127, 8, 2
	s_wait_dscnt 0x2
	v_cvt_f32_f16_e64 v163, v69
	v_add_nc_u32_e32 v145, 0x2118, v70
	s_wait_dscnt 0x0
	v_dual_ashrrev_i32 v4, s17, v2 :: v_dual_ashrrev_i32 v5, s17, v3
	v_add_nc_u32_e32 v2, 0x2110, v70
	s_delay_alu instid0(VALU_DEP_2)
	v_dual_add_nc_u32 v146, s19, v63 :: v_dual_bitop2_b32 v147, 3, v4 bitop3:0x40
	v_bfe_u32 v148, v4, 8, 2
	ds_load_2addr_b32 v[2:3], v2 offset1:1
	v_bfe_u32 v149, v4, 16, 2
	v_bfe_u32 v150, v4, 24, 2
	;; [unrolled: 1-line block ×5, first 2 shown]
	s_wait_dscnt 0x0
	v_dual_ashrrev_i32 v2, s17, v2 :: v_dual_ashrrev_i32 v3, s17, v3
	s_delay_alu instid0(VALU_DEP_1)
	v_and_b32_e32 v155, 3, v2
	v_bfe_u32 v156, v2, 8, 2
	v_bfe_u32 v157, v2, 16, 2
	;; [unrolled: 1-line block ×3, first 2 shown]
	v_dual_lshrrev_b32 v2, 16, v69 :: v_dual_bitop2_b32 v159, 3, v3 bitop3:0x40
	v_bfe_u32 v160, v3, 8, 2
	v_bfe_u32 v161, v3, 16, 2
	;; [unrolled: 1-line block ×3, first 2 shown]
	s_delay_alu instid0(VALU_DEP_4)
	v_cvt_f32_f16_e64 v164, v2
	v_add_nc_u32_e32 v2, 0x3180, v70
	v_add3_u32 v69, s20, v90, v91
	v_add_nc_u32_e32 v165, 0x3188, v70
	ds_load_2addr_b32 v[2:3], v2 offset1:1
	ds_load_b32 v69, v69
	s_wait_dscnt 0x1
	v_dual_ashrrev_i32 v4, s17, v2 :: v_dual_bitop2_b32 v151, 3, v5 bitop3:0x40
	v_add_nc_u32_e32 v2, 0x3190, v70
	v_dual_ashrrev_i32 v5, s17, v3 :: v_dual_add_nc_u32 v167, s19, v65
	s_delay_alu instid0(VALU_DEP_3)
	v_and_b32_e32 v168, 3, v4
	ds_load_2addr_b32 v[2:3], v2 offset1:1
	v_bfe_u32 v73, v4, 8, 2
	v_bfe_u32 v72, v4, 16, 2
	;; [unrolled: 1-line block ×3, first 2 shown]
	v_and_b32_e32 v169, 3, v5
	v_bfe_u32 v170, v5, 8, 2
	v_bfe_u32 v171, v5, 16, 2
	;; [unrolled: 1-line block ×3, first 2 shown]
	s_wait_dscnt 0x0
	v_dual_ashrrev_i32 v2, s17, v2 :: v_dual_ashrrev_i32 v3, s17, v3
	s_delay_alu instid0(VALU_DEP_1)
	v_and_b32_e32 v173, 3, v2
	v_bfe_u32 v174, v2, 8, 2
	v_bfe_u32 v175, v2, 16, 2
	;; [unrolled: 1-line block ×3, first 2 shown]
	v_and_b32_e32 v177, 3, v3
	v_bfe_u32 v178, v3, 8, 2
	v_bfe_u32 v76, v3, 16, 2
	;; [unrolled: 1-line block ×3, first 2 shown]
	ds_load_b128 v[2:5], v1
	ds_load_b128 v[102:105], v1 offset:16
	s_wait_dscnt 0x1
	v_ashrrev_i32_e32 v77, 24, v2
	s_wait_dscnt 0x0
	v_lshrrev_b16 v179, 8, v102
	v_ashrrev_i32_e32 v180, 24, v102
	v_bfe_i32 v182, v102, 0, 8
	v_bfe_i32 v183, v102, 16, 8
	;; [unrolled: 1-line block ×4, first 2 shown]
	v_lshrrev_b16 v102, 8, v103
	v_bfe_i32 v189, v2, 8, 8
	v_lshrrev_b16 v2, 8, v4
	v_bfe_i32 v179, v179, 0, 8
	v_ashrrev_i32_e32 v186, 24, v3
	v_bfe_i32 v187, v102, 0, 8
	v_dual_ashrrev_i32 v188, 24, v103 :: v_dual_ashrrev_i32 v194, 24, v104
	v_bfe_i32 v193, v3, 16, 8
	v_bfe_i32 v196, v2, 0, 8
	v_lshrrev_b16 v2, 8, v5
	v_bfe_i32 v181, v3, 8, 8
	v_bfe_i32 v192, v3, 0, 8
	v_dual_ashrrev_i32 v195, 24, v4 :: v_dual_ashrrev_i32 v202, 24, v105
	v_bfe_i32 v197, v4, 16, 8
	v_bfe_i32 v198, v4, 0, 8
	v_bfe_i32 v201, v104, 8, 8
	v_ashrrev_i32_e32 v203, 24, v5
	v_bfe_i32 v204, v2, 0, 8
	v_bfe_i32 v205, v5, 16, 8
	v_bfe_i32 v206, v5, 0, 8
	v_bfe_i32 v209, v105, 8, 8
	v_dual_add_nc_u32 v2, v188, v180 :: v_dual_add_nc_u32 v3, v187, v179
	v_add_nc_u32_e32 v4, v186, v77
	v_dual_add_nc_u32 v5, v193, v185 :: v_dual_add_nc_u32 v102, v192, v184
	v_bfe_i32 v190, v103, 0, 8
	v_bfe_i32 v191, v103, 16, 8
	;; [unrolled: 1-line block ×4, first 2 shown]
	v_add_nc_u32_e32 v105, v189, v181
	v_add3_u32 v211, v4, v195, v203
	v_add3_u32 v212, v3, v201, v209
	;; [unrolled: 1-line block ×4, first 2 shown]
	v_mul_i32_i24_e32 v2, v110, v192
	v_mul_i32_i24_e32 v3, v130, v192
	v_dual_ashrrev_i32 v4, s17, v6 :: v_dual_ashrrev_i32 v5, s17, v68
	v_and_b32_e32 v68, 3, v106
	v_and_b32_e32 v130, 3, v133
	s_delay_alu instid0(VALU_DEP_3)
	v_dual_lshrrev_b32 v220, 16, v4 :: v_dual_bitop2_b32 v113, 3, v113 bitop3:0x40
	v_bfe_i32 v199, v104, 16, 8
	v_bfe_i32 v200, v104, 0, 8
	v_dual_add_nc_u32 v103, v191, v183 :: v_dual_add_nc_u32 v104, v190, v182
	v_add3_u32 v210, v105, v196, v204
	v_mul_i32_i24_e32 v105, v134, v206
	v_dual_lshrrev_b32 v219, 8, v5 :: v_dual_bitop2_b32 v6, 3, v124 bitop3:0x40
	v_dual_lshrrev_b32 v221, 16, v5 :: v_dual_bitop2_b32 v133, 3, v5 bitop3:0x40
	;; [unrolled: 1-line block ×3, first 2 shown]
	v_mul_i32_i24_e32 v112, v112, v193
	v_mul_i32_i24_e32 v132, v132, v193
	;; [unrolled: 1-line block ×4, first 2 shown]
	v_mad_i32_i24 v3, v131, v181, v3
	v_mad_i32_i24 v2, v111, v181, v2
	v_add3_u32 v214, v104, v200, v208
	v_add3_u32 v215, v103, v199, v207
	v_add3_u32 v216, v102, v198, v206
	v_mul_i32_i24_e32 v102, v114, v206
	v_mul_i32_i24_e32 v103, v118, v179
	;; [unrolled: 1-line block ×3, first 2 shown]
	v_bfe_u32 v110, v124, 8, 2
	v_bfe_u32 v114, v106, 8, 2
	;; [unrolled: 1-line block ×6, first 2 shown]
	v_lshrrev_b32_e32 v4, 24, v4
	v_mul_i32_i24_e32 v68, v184, v68
	v_mul_i32_i24_e32 v6, v184, v6
	;; [unrolled: 1-line block ×4, first 2 shown]
	v_add3_u32 v2, v2, v112, v113
	v_add3_u32 v3, v3, v132, v130
	v_dual_lshrrev_b32 v5, 24, v5 :: v_dual_bitop2_b32 v219, 3, v219 bitop3:0x40
	v_and_b32_e32 v218, 3, v218
	v_mul_i32_i24_e32 v114, v189, v114
	v_mul_i32_i24_e32 v110, v189, v110
	;; [unrolled: 1-line block ×4, first 2 shown]
	v_add3_u32 v3, v3, v133, v6
	v_add3_u32 v2, v2, v134, v68
	v_and_b32_e32 v221, 3, v221
	v_and_b32_e32 v220, 3, v220
	;; [unrolled: 1-line block ×4, first 2 shown]
	v_mul_i32_i24_e32 v121, v77, v121
	v_mul_i32_i24_e32 v118, v77, v118
	;; [unrolled: 1-line block ×4, first 2 shown]
	v_add3_u32 v2, v2, v114, v106
	v_add3_u32 v3, v3, v110, v124
	v_mul_i32_i24_e32 v220, v220, v197
	v_mul_i32_i24_e32 v221, v221, v197
	;; [unrolled: 1-line block ×4, first 2 shown]
	v_add3_u32 v3, v3, v118, v219
	v_add3_u32 v2, v2, v121, v218
	v_mul_i32_i24_e32 v6, v137, v182
	v_mul_i32_i24_e32 v119, v119, v183
	;; [unrolled: 1-line block ×3, first 2 shown]
	v_add3_u32 v106, v3, v221, v5
	v_add3_u32 v68, v2, v220, v4
	ds_load_2addr_b32 v[2:3], v70 offset0:5 offset1:6
	ds_load_2addr_b32 v[4:5], v126 offset1:1
	v_mad_i32_i24 v103, v117, v182, v103
	v_mad_i32_i24 v6, v138, v179, v6
	v_mul_i32_i24_e32 v110, v141, v208
	v_mul_i32_i24_e32 v73, v73, v189
	;; [unrolled: 1-line block ×6, first 2 shown]
	s_wait_dscnt 0x0
	v_dual_ashrrev_i32 v2, s17, v2 :: v_dual_ashrrev_i32 v4, s17, v4
	v_and_b32_e32 v70, 3, v140
	v_dual_ashrrev_i32 v3, s17, v3 :: v_dual_bitop2_b32 v111, 3, v120 bitop3:0x40
	s_delay_alu instid0(VALU_DEP_3) | instskip(SKIP_2) | instid1(VALU_DEP_3)
	v_dual_lshrrev_b32 v114, 8, v2 :: v_dual_bitop2_b32 v112, 3, v4 bitop3:0x40
	v_dual_lshrrev_b32 v118, 8, v4 :: v_dual_ashrrev_i32 v5, s17, v5
	v_dual_lshrrev_b32 v121, 16, v4 :: v_dual_bitop2_b32 v113, 3, v2 bitop3:0x40
	v_dual_lshrrev_b32 v130, 8, v3 :: v_dual_bitop2_b32 v114, 3, v114 bitop3:0x40
	s_delay_alu instid0(VALU_DEP_3) | instskip(SKIP_4) | instid1(VALU_DEP_4)
	v_dual_lshrrev_b32 v4, 24, v4 :: v_dual_bitop2_b32 v118, 3, v118 bitop3:0x40
	v_dual_lshrrev_b32 v120, 16, v2 :: v_dual_lshrrev_b32 v2, 24, v2
	v_mul_i32_i24_e32 v111, v111, v180
	v_mul_i32_i24_e32 v70, v70, v180
	v_dual_lshrrev_b32 v132, 16, v3 :: v_dual_bitop2_b32 v121, 3, v121 bitop3:0x40
	v_dual_lshrrev_b32 v131, 8, v5 :: v_dual_bitop2_b32 v120, 3, v120 bitop3:0x40
	;; [unrolled: 1-line block ×3, first 2 shown]
	v_and_b32_e32 v2, 3, v2
	v_add3_u32 v6, v6, v134, v70
	v_add3_u32 v70, v103, v119, v111
	v_mul_i32_i24_e32 v103, v113, v190
	v_mul_i32_i24_e32 v111, v112, v190
	;; [unrolled: 1-line block ×4, first 2 shown]
	v_dual_lshrrev_b32 v5, 24, v5 :: v_dual_bitop2_b32 v124, 3, v5 bitop3:0x40
	v_and_b32_e32 v126, 3, v3
	v_and_b32_e32 v131, 3, v131
	v_dual_lshrrev_b32 v3, 24, v3 :: v_dual_bitop2_b32 v130, 3, v130 bitop3:0x40
	v_mul_i32_i24_e32 v114, v120, v191
	v_mul_i32_i24_e32 v117, v121, v191
	;; [unrolled: 1-line block ×4, first 2 shown]
	v_add3_u32 v70, v70, v103, v112
	v_add3_u32 v6, v6, v111, v113
	v_and_b32_e32 v133, 3, v133
	v_and_b32_e32 v132, 3, v132
	;; [unrolled: 1-line block ×4, first 2 shown]
	v_mul_i32_i24_e32 v118, v126, v200
	v_mul_i32_i24_e32 v119, v124, v200
	;; [unrolled: 1-line block ×4, first 2 shown]
	v_add3_u32 v4, v6, v117, v4
	v_add3_u32 v2, v70, v114, v2
	v_mul_i32_i24_e32 v126, v133, v199
	v_mul_i32_i24_e32 v3, v3, v194
	;; [unrolled: 1-line block ×3, first 2 shown]
	v_add3_u32 v4, v4, v119, v121
	v_add3_u32 v2, v2, v118, v120
	v_lshrrev_b32_e32 v120, 24, v125
	v_mul_i32_i24_e32 v124, v132, v199
	ds_load_u16 v6, v128 offset:17904
	v_add3_u32 v4, v4, v126, v5
	v_and_b32_e32 v119, 3, v136
	v_and_b32_e32 v120, 3, v120
	v_add3_u32 v5, v2, v124, v3
	ds_load_u16 v2, v108 offset:16880
	v_and_b32_e32 v134, 3, v143
	s_wait_dscnt 0x1
	v_lshrrev_b16 v70, 8, v6
	v_bfe_u32 v113, v6, 4, 4
	v_and_b32_e32 v6, 15, v6
	s_wait_dscnt 0x0
	v_lshrrev_b16 v3, 8, v2
	v_bfe_u32 v103, v2, 4, 4
	v_and_b32_e32 v111, 0xffff, v70
	v_and_b32_e32 v2, 15, v2
	;; [unrolled: 1-line block ×4, first 2 shown]
	v_mul_lo_u32 v103, 0x1010101, v103
	v_lshrrev_b32_e32 v6, 24, v107
	v_and_b32_e32 v124, 0xffff, v2
	s_delay_alu instid0(VALU_DEP_4) | instskip(SKIP_2) | instid1(VALU_DEP_3)
	v_dual_lshrrev_b32 v2, 4, v111 :: v_dual_lshrrev_b32 v112, 4, v112
	v_mul_lo_u32 v113, 0x1010101, v113
	v_mul_i32_i24_e32 v116, v116, v205
	v_mul_lo_u32 v2, 0x1010101, v2
	s_delay_alu instid0(VALU_DEP_4) | instskip(SKIP_4) | instid1(VALU_DEP_3)
	v_mul_lo_u32 v112, 0x1010101, v112
	v_and_b32_e32 v121, 3, v7
	v_bfe_i32 v108, v103, 16, 8
	v_dual_lshrrev_b32 v118, 24, v103 :: v_dual_lshrrev_b32 v117, 24, v113
	v_bfe_i32 v114, v113, 16, 8
	v_mul_i32_i24_e32 v108, v217, v108
	v_bfe_i32 v111, v2, 0, 8
	v_bfe_i32 v128, v2, 8, 8
	v_lshrrev_b32_e32 v131, 24, v2
	v_bfe_i32 v133, v2, 16, 8
	v_dual_lshrrev_b32 v2, 24, v127 :: v_dual_bitop2_b32 v127, 3, v6 bitop3:0x40
	v_lshrrev_b32_e32 v6, 16, v129
	v_mul_i32_i24_e32 v119, v119, v205
	v_mul_i32_i24_e32 v120, v120, v203
	s_delay_alu instid0(VALU_DEP_4)
	v_and_b32_e32 v107, 3, v2
	v_and_b32_e32 v2, 15, v3
	v_cvt_f32_f16_e32 v7, v6
	v_lshrrev_b32_e32 v132, 24, v112
	v_mul_i32_i24_e32 v121, v121, v203
	v_mul_i32_i24_e32 v107, v107, v202
	v_and_b32_e32 v136, 0xffff, v2
	v_cvt_f32_f16_e32 v2, v109
	v_lshrrev_b32_e32 v109, 16, v109
	v_bfe_i32 v126, v112, 0, 8
	v_bfe_i32 v130, v112, 8, 8
	;; [unrolled: 1-line block ×3, first 2 shown]
	v_mul_i32_i24_e32 v114, v217, v114
	v_cvt_f32_f16_e32 v6, v109
	v_bfe_i32 v109, v103, 8, 8
	v_bfe_i32 v103, v103, 0, 8
	v_and_b32_e32 v3, 15, v70
	s_delay_alu instid0(VALU_DEP_2) | instskip(NEXT) | instid1(VALU_DEP_2)
	v_mul_i32_i24_e32 v103, v216, v103
	v_and_b32_e32 v70, 0xffff, v3
	v_cvt_f32_f16_e64 v3, v129
	v_mul_i32_i24_e32 v129, v150, v77
	s_delay_alu instid0(VALU_DEP_4) | instskip(SKIP_2) | instid1(VALU_DEP_2)
	v_mad_i32_i24 v103, v210, v109, v103
	v_mul_i32_i24_e32 v109, v115, v204
	v_mul_i32_i24_e32 v115, v135, v204
	v_add3_u32 v68, v68, v102, v109
	s_delay_alu instid0(VALU_DEP_2)
	v_add3_u32 v105, v106, v105, v115
	v_mul_i32_i24_e32 v109, v123, v207
	v_mul_i32_i24_e32 v106, v142, v209
	;; [unrolled: 1-line block ×3, first 2 shown]
	v_add3_u32 v68, v68, v116, v121
	v_add3_u32 v102, v105, v119, v120
	v_mul_i32_i24_e32 v105, v122, v209
	v_mul_i32_i24_e32 v116, v127, v202
	v_add3_u32 v4, v4, v110, v106
	v_mul_i32_i24_e32 v106, v215, v112
	v_mul_i32_i24_e32 v110, v214, v111
	v_add3_u32 v5, v5, v104, v105
	v_mul_i32_i24_e32 v111, v212, v130
	v_add3_u32 v4, v4, v115, v107
	v_mul_i32_i24_e32 v115, v211, v118
	v_mul_i32_i24_e32 v112, v212, v128
	v_add3_u32 v5, v5, v109, v116
	v_mul_i32_i24_e32 v116, v211, v117
	v_bfe_i32 v117, v113, 8, 8
	v_bfe_i32 v113, v113, 0, 8
	v_mul_i32_i24_e32 v109, v214, v126
	v_add3_u32 v103, v103, v108, v115
	v_mul_lo_u32 v102, v102, v125
	v_mul_i32_i24_e32 v104, v213, v132
	v_mul_i32_i24_e32 v113, v216, v113
	;; [unrolled: 1-line block ×4, first 2 shown]
	v_add3_u32 v103, v103, v109, v111
	v_mul_lo_u32 v68, v68, v124
	v_mad_i32_i24 v113, v210, v117, v113
	v_mul_i32_i24_e32 v125, v148, v189
	v_mul_i32_i24_e32 v126, v161, v191
	v_add3_u32 v104, v103, v106, v104
	v_mad_u32 v4, v4, v70, v102
	v_add3_u32 v108, v113, v114, v116
	v_mul_i32_i24_e32 v70, v151, v192
	v_mul_i32_i24_e32 v127, v149, v185
	v_cvt_f32_i32_e32 v102, v104
	v_mul_i32_i24_e32 v104, v158, v180
	v_add3_u32 v108, v108, v110, v112
	v_mad_i32_i24 v70, v152, v181, v70
	v_mad_u32 v68, v5, v136, v68
	v_mul_i32_i24_e32 v128, v162, v188
	s_delay_alu instid0(VALU_DEP_4) | instskip(SKIP_3) | instid1(VALU_DEP_4)
	v_add3_u32 v103, v108, v107, v105
	v_cvt_f32_i32_e32 v5, v4
	v_mul_i32_i24_e32 v107, v159, v190
	v_mul_i32_i24_e32 v108, v160, v187
	v_cvt_f32_i32_e32 v103, v103
	v_cvt_f32_i32_e32 v4, v68
	v_mul_i32_i24_e32 v68, v184, v147
	s_delay_alu instid0(VALU_DEP_3) | instskip(SKIP_2) | instid1(VALU_DEP_3)
	v_pk_mul_f32 v[6:7], v[6:7], v[102:103]
	v_mul_i32_i24_e32 v102, v153, v193
	v_mul_i32_i24_e32 v103, v154, v186
	v_pk_fma_f32 v[2:3], v[2:3], v[4:5], v[6:7] neg_lo:[0,0,1] neg_hi:[0,0,1]
	s_delay_alu instid0(VALU_DEP_2) | instskip(SKIP_2) | instid1(VALU_DEP_4)
	v_add3_u32 v70, v70, v102, v103
	v_mul_i32_i24_e32 v102, v155, v182
	v_mul_i32_i24_e32 v103, v157, v183
	v_pk_fma_f32 v[22:23], v[0:1], v[2:3], v[22:23] op_sel_hi:[0,1,1]
	s_delay_alu instid0(VALU_DEP_3) | instskip(NEXT) | instid1(VALU_DEP_1)
	v_mad_i32_i24 v102, v156, v179, v102
	v_add3_u32 v106, v102, v103, v104
	ds_load_2addr_b32 v[102:103], v144 offset1:1
	ds_load_2addr_b32 v[104:105], v145 offset1:1
	ds_load_u16 v109, v146 offset:18928
	s_wait_dscnt 0x1
	v_dual_ashrrev_i32 v102, s17, v102 :: v_dual_ashrrev_i32 v104, s17, v104
	s_wait_dscnt 0x0
	v_lshrrev_b16 v110, 8, v109
	v_bfe_u32 v112, v109, 4, 4
	s_delay_alu instid0(VALU_DEP_3) | instskip(SKIP_1) | instid1(VALU_DEP_4)
	v_dual_ashrrev_i32 v105, s17, v105 :: v_dual_bitop2_b32 v113, 3, v102 bitop3:0x40
	v_lshrrev_b32_e32 v116, 8, v102
	v_and_b32_e32 v111, 0xffff, v110
	v_dual_lshrrev_b32 v115, 8, v104 :: v_dual_ashrrev_i32 v103, s17, v103
	s_delay_alu instid0(VALU_DEP_4) | instskip(SKIP_1) | instid1(VALU_DEP_4)
	v_mul_i32_i24_e32 v113, v113, v198
	v_dual_lshrrev_b32 v118, 16, v102 :: v_dual_bitop2_b32 v114, 3, v104 bitop3:0x40
	v_lshrrev_b32_e32 v111, 4, v111
	s_delay_alu instid0(VALU_DEP_4)
	v_and_b32_e32 v115, 3, v115
	v_dual_lshrrev_b32 v102, 24, v102 :: v_dual_bitop2_b32 v116, 3, v116 bitop3:0x40
	v_dual_lshrrev_b32 v117, 16, v104 :: v_dual_lshrrev_b32 v104, 24, v104
	v_add3_u32 v68, v70, v113, v68
	v_add3_u32 v70, v106, v107, v108
	v_mul_lo_u32 v112, 0x1010101, v112
	v_mul_lo_u32 v111, 0x1010101, v111
	v_dual_lshrrev_b32 v122, 8, v103 :: v_dual_bitop2_b32 v117, 3, v117 bitop3:0x40
	v_dual_lshrrev_b32 v121, 8, v105 :: v_dual_bitop2_b32 v118, 3, v118 bitop3:0x40
	;; [unrolled: 1-line block ×4, first 2 shown]
	v_mul_i32_i24_e32 v114, v114, v200
	v_mul_i32_i24_e32 v116, v116, v196
	;; [unrolled: 1-line block ×3, first 2 shown]
	v_add3_u32 v70, v70, v126, v128
	v_add3_u32 v68, v68, v125, v127
	v_dual_lshrrev_b32 v105, 24, v105 :: v_dual_bitop2_b32 v119, 3, v105 bitop3:0x40
	v_dual_lshrrev_b32 v103, 24, v103 :: v_dual_bitop2_b32 v120, 3, v103 bitop3:0x40
	v_and_b32_e32 v121, 3, v121
	v_dual_lshrrev_b32 v106, 24, v112 :: v_dual_bitop2_b32 v122, 3, v122 bitop3:0x40
	v_mul_i32_i24_e32 v118, v118, v197
	v_mul_i32_i24_e32 v117, v117, v199
	;; [unrolled: 1-line block ×4, first 2 shown]
	v_add3_u32 v68, v68, v129, v116
	v_add3_u32 v70, v70, v114, v115
	v_and_b32_e32 v123, 3, v123
	v_and_b32_e32 v124, 3, v124
	;; [unrolled: 1-line block ×4, first 2 shown]
	v_mul_i32_i24_e32 v120, v120, v206
	v_mul_i32_i24_e32 v119, v119, v208
	;; [unrolled: 1-line block ×3, first 2 shown]
	v_add3_u32 v70, v70, v117, v104
	v_add3_u32 v68, v68, v118, v102
	v_lshrrev_b32_e32 v102, 24, v111
	v_mul_i32_i24_e32 v121, v121, v209
	v_mul_i32_i24_e32 v124, v124, v205
	;; [unrolled: 1-line block ×5, first 2 shown]
	v_add3_u32 v68, v68, v120, v122
	v_add3_u32 v70, v70, v119, v121
	v_bfe_i32 v104, v111, 8, 8
	v_bfe_i32 v107, v112, 16, 8
	;; [unrolled: 1-line block ×3, first 2 shown]
	v_add3_u32 v68, v68, v124, v103
	v_add3_u32 v70, v70, v123, v105
	v_bfe_i32 v103, v111, 16, 8
	v_bfe_i32 v105, v111, 0, 8
	;; [unrolled: 1-line block ×3, first 2 shown]
	v_and_b32_e32 v109, 15, v109
	v_mul_i32_i24_e32 v107, v217, v107
	v_mul_i32_i24_e32 v106, v211, v106
	;; [unrolled: 1-line block ×4, first 2 shown]
	v_and_b32_e32 v109, 0xffff, v109
	v_mul_i32_i24_e32 v104, v212, v104
	v_and_b32_e32 v110, 15, v110
	v_mul_i32_i24_e32 v103, v215, v103
	v_mad_i32_i24 v108, v210, v108, v111
	v_mul_lo_u32 v68, v68, v109
	v_mul_i32_i24_e32 v102, v213, v102
	v_and_b32_e32 v110, 0xffff, v110
	v_mul_i32_i24_e32 v109, v177, v190
	v_add3_u32 v106, v108, v107, v106
	s_delay_alu instid0(VALU_DEP_1) | instskip(SKIP_3) | instid1(VALU_DEP_4)
	v_add3_u32 v104, v106, v105, v104
	v_mul_i32_i24_e32 v106, v184, v168
	v_mad_u32 v68, v70, v110, v68
	v_mul_i32_i24_e32 v110, v178, v187
	v_add3_u32 v102, v104, v103, v102
	v_mul_i32_i24_e32 v103, v171, v193
	v_mul_i32_i24_e32 v104, v172, v186
	s_delay_alu instid0(VALU_DEP_3) | instskip(SKIP_2) | instid1(VALU_DEP_3)
	v_cvt_f32_i32_e32 v70, v102
	v_mul_i32_i24_e32 v102, v169, v192
	v_cvt_f32_i32_e32 v68, v68
	v_mul_f32_e32 v70, v164, v70
	s_delay_alu instid0(VALU_DEP_3) | instskip(NEXT) | instid1(VALU_DEP_3)
	v_mad_i32_i24 v102, v170, v181, v102
	v_mul_f32_e32 v68, v163, v68
	s_delay_alu instid0(VALU_DEP_2) | instskip(SKIP_3) | instid1(VALU_DEP_3)
	v_add3_u32 v107, v102, v103, v104
	v_mul_i32_i24_e32 v102, v173, v182
	v_mul_i32_i24_e32 v103, v175, v183
	;; [unrolled: 1-line block ×3, first 2 shown]
	v_mad_i32_i24 v102, v174, v179, v102
	s_delay_alu instid0(VALU_DEP_1)
	v_add3_u32 v108, v102, v103, v104
	ds_load_2addr_b32 v[102:103], v165 offset1:1
	ds_load_2addr_b32 v[104:105], v166 offset1:1
	ds_load_u16 v111, v167 offset:19952
	s_wait_dscnt 0x1
	v_dual_ashrrev_i32 v102, s17, v102 :: v_dual_ashrrev_i32 v104, s17, v104
	s_wait_dscnt 0x0
	v_lshrrev_b16 v112, 8, v111
	v_bfe_u32 v114, v111, 4, 4
	s_delay_alu instid0(VALU_DEP_3) | instskip(SKIP_1) | instid1(VALU_DEP_4)
	v_dual_ashrrev_i32 v105, s17, v105 :: v_dual_bitop2_b32 v115, 3, v102 bitop3:0x40
	v_lshrrev_b32_e32 v118, 8, v102
	v_and_b32_e32 v113, 0xffff, v112
	v_dual_lshrrev_b32 v119, 16, v104 :: v_dual_bitop2_b32 v116, 3, v104 bitop3:0x40
	v_lshrrev_b32_e32 v117, 8, v104
	v_mul_i32_i24_e32 v115, v115, v198
	s_delay_alu instid0(VALU_DEP_4) | instskip(SKIP_3) | instid1(VALU_DEP_4)
	v_lshrrev_b32_e32 v113, 4, v113
	v_mul_lo_u32 v114, 0x1010101, v114
	v_dual_lshrrev_b32 v104, 24, v104 :: v_dual_bitop2_b32 v118, 3, v118 bitop3:0x40
	v_dual_lshrrev_b32 v120, 16, v102 :: v_dual_bitop2_b32 v117, 3, v117 bitop3:0x40
	v_mul_lo_u32 v113, 0x1010101, v113
	v_dual_lshrrev_b32 v102, 24, v102 :: v_dual_bitop2_b32 v119, 3, v119 bitop3:0x40
	v_add3_u32 v106, v107, v115, v106
	s_delay_alu instid0(VALU_DEP_4) | instskip(SKIP_1) | instid1(VALU_DEP_4)
	v_dual_lshrrev_b32 v123, 8, v105 :: v_dual_bitop2_b32 v120, 3, v120 bitop3:0x40
	v_mul_i32_i24_e32 v77, v118, v196
	v_dual_lshrrev_b32 v125, 16, v105 :: v_dual_bitop2_b32 v102, 3, v102 bitop3:0x40
	s_delay_alu instid0(VALU_DEP_4)
	v_add3_u32 v72, v106, v73, v72
	v_ashrrev_i32_e32 v103, s17, v103
	v_dual_lshrrev_b32 v127, 24, v113 :: v_dual_bitop2_b32 v123, 3, v123 bitop3:0x40
	v_lshrrev_b16 v128, 8, v114
	v_mul_i32_i24_e32 v118, v120, v197
	v_mul_i32_i24_e32 v102, v102, v195
	v_add3_u32 v107, v108, v109, v110
	v_add3_u32 v71, v72, v71, v77
	v_dual_lshrrev_b32 v124, 8, v103 :: v_dual_bitop2_b32 v104, 3, v104 bitop3:0x40
	v_and_b32_e32 v125, 3, v125
	v_bfe_i32 v129, v114, 0, 8
	v_bfe_i32 v130, v114, 16, 8
	v_lshrrev_b32_e32 v114, 24, v114
	v_bfe_i32 v131, v113, 16, 8
	v_bfe_i32 v132, v113, 8, 8
	v_bfe_i32 v113, v113, 0, 8
	v_bfe_i32 v128, v128, 0, 8
	v_mul_i32_i24_e32 v116, v116, v200
	v_mul_i32_i24_e32 v117, v117, v201
	v_add3_u32 v75, v107, v76, v75
	v_add3_u32 v71, v71, v118, v102
	v_mul_i32_i24_e32 v102, v213, v127
	v_dual_lshrrev_b32 v126, 16, v103 :: v_dual_bitop2_b32 v121, 3, v105 bitop3:0x40
	v_dual_lshrrev_b32 v105, 24, v105 :: v_dual_bitop2_b32 v122, 3, v103 bitop3:0x40
	v_dual_lshrrev_b32 v103, 24, v103 :: v_dual_bitop2_b32 v124, 3, v124 bitop3:0x40
	v_add3_u32 v72, v75, v116, v117
	v_mul_i32_i24_e32 v73, v210, v128
	v_mul_i32_i24_e32 v75, v214, v113
	;; [unrolled: 1-line block ×4, first 2 shown]
	v_mad_i32_i24 v102, v211, v114, v102
	v_and_b32_e32 v126, 3, v126
	v_and_b32_e32 v103, 3, v103
	v_mul_i32_i24_e32 v120, v122, v206
	v_mul_i32_i24_e32 v122, v124, v204
	v_mad_i32_i24 v77, v217, v130, v77
	v_mad_i32_i24 v75, v216, v129, v75
	v_add3_u32 v73, v73, v76, v102
	v_mul_i32_i24_e32 v124, v126, v205
	v_mul_i32_i24_e32 v103, v103, v203
	v_add3_u32 v71, v71, v120, v122
	v_mul_i32_i24_e32 v119, v119, v199
	v_add3_u32 v75, v75, v77, v73
	v_and_b32_e32 v73, 15, v111
	v_mul_i32_i24_e32 v104, v104, v194
	v_add3_u32 v71, v71, v124, v103
	v_and_b32_e32 v105, 3, v105
	v_mul_i32_i24_e32 v121, v121, v208
	v_and_b32_e32 v73, 0xffff, v73
	v_mul_i32_i24_e32 v123, v123, v209
	v_add3_u32 v72, v72, v119, v104
	v_mul_i32_i24_e32 v125, v125, v207
	v_mul_i32_i24_e32 v105, v105, v202
	v_mul_lo_u32 v71, v71, v73
	v_and_b32_e32 v76, 15, v112
	v_add3_u32 v72, v72, v121, v123
	v_cvt_f32_i32_e32 v77, v75
	s_add_co_i32 s17, s1, 2
	s_cmp_lt_u32 s1, 30
	v_and_b32_e32 v76, 0xffff, v76
	v_add3_u32 v72, v72, v125, v105
	s_mov_b32 s1, s17
	s_delay_alu instid0(VALU_DEP_1) | instskip(SKIP_2) | instid1(VALU_DEP_1)
	v_mad_u32 v71, v72, v76, v71
	v_cvt_f32_f16_e32 v72, v69
	v_lshrrev_b32_e32 v69, 16, v69
	v_cvt_f32_f16_e32 v73, v69
	s_delay_alu instid0(VALU_DEP_4) | instskip(NEXT) | instid1(VALU_DEP_1)
	v_cvt_f32_i32_e32 v76, v71
	v_pk_mul_f32 v[72:73], v[72:73], v[76:77]
	s_delay_alu instid0(VALU_DEP_1) | instskip(NEXT) | instid1(VALU_DEP_1)
	v_dual_mov_b32 v69, v72 :: v_dual_mov_b32 v71, v73
	v_pk_add_f32 v[4:5], v[68:69], v[70:71] neg_lo:[0,1] neg_hi:[0,1]
	s_delay_alu instid0(VALU_DEP_1)
	v_pk_fma_f32 v[20:21], v[0:1], v[4:5], v[20:21] op_sel_hi:[0,1,1]
	v_add_nc_u32_e32 v1, 32, v1
	s_cbranch_scc1 .LBB207_35
; %bb.36:                               ;   in Loop: Header=BB207_5 Depth=1
	s_barrier_signal -1
	s_barrier_wait -1
	s_branch .LBB207_4
.LBB207_37:
	v_mov_b32_e32 v22, 0
	s_delay_alu instid0(VALU_DEP_1)
	v_dual_mov_b32 v23, v22 :: v_dual_mov_b32 v20, v22
	v_mov_b32_e32 v21, v22
.LBB207_38:
	s_mul_i32 s0, s7, s4
	s_wait_loadcnt 0x0
	v_cmp_gt_i32_e32 vcc_lo, s0, v9
	s_wait_xcnt 0x0
	s_and_saveexec_b32 s0, vcc_lo
	s_cbranch_execz .LBB207_47
; %bb.39:
	v_mul_lo_u32 v0, v9, s6
	v_add_nc_u32_e32 v1, s18, v13
	s_mov_b32 s0, exec_lo
	s_delay_alu instid0(VALU_DEP_1)
	v_cmpx_gt_u32_e64 s6, v1
	s_cbranch_execz .LBB207_41
; %bb.40:
	s_delay_alu instid0(VALU_DEP_3)
	v_add_nc_u32_e32 v2, v0, v1
	v_cvt_f16_f32_e32 v3, v22
	global_store_b16 v2, v3, s[8:9] scale_offset
.LBB207_41:
	s_wait_xcnt 0x0
	s_or_b32 exec_lo, exec_lo, s0
	v_add_nc_u32_e32 v2, 32, v1
	s_mov_b32 s0, exec_lo
	s_delay_alu instid0(VALU_DEP_1)
	v_cmpx_gt_u32_e64 s6, v2
	s_cbranch_execz .LBB207_43
; %bb.42:
	v_add_nc_u32_e32 v2, v0, v2
	v_cvt_f16_f32_e32 v3, v23
	global_store_b16 v2, v3, s[8:9] scale_offset
.LBB207_43:
	s_wait_xcnt 0x0
	s_or_b32 exec_lo, exec_lo, s0
	v_add_nc_u32_e32 v2, 64, v1
	s_mov_b32 s0, exec_lo
	s_delay_alu instid0(VALU_DEP_1)
	v_cmpx_gt_u32_e64 s6, v2
	s_cbranch_execz .LBB207_45
; %bb.44:
	v_add_nc_u32_e32 v2, v0, v2
	v_cvt_f16_f32_e32 v3, v20
	global_store_b16 v2, v3, s[8:9] scale_offset
.LBB207_45:
	s_wait_xcnt 0x0
	s_or_b32 exec_lo, exec_lo, s0
	v_add_nc_u32_e32 v1, 0x60, v1
	s_delay_alu instid0(VALU_DEP_1)
	v_cmp_gt_u32_e32 vcc_lo, s6, v1
	s_and_b32 exec_lo, exec_lo, vcc_lo
	s_cbranch_execz .LBB207_47
; %bb.46:
	v_add_nc_u32_e32 v0, v0, v1
	v_cvt_f16_f32_e32 v1, v21
	global_store_b16 v0, v1, s[8:9] scale_offset
.LBB207_47:
	s_sendmsg sendmsg(MSG_DEALLOC_VGPRS)
	s_endpgm
	.section	.rodata,"a",@progbits
	.p2align	6, 0x0
	.amdhsa_kernel _ZL8moe_q2_KIN3c104HalfELb0EEvPKvS3_PT_PKiS7_S7_iiiiiii
		.amdhsa_group_segment_fixed_size 23328
		.amdhsa_private_segment_fixed_size 0
		.amdhsa_kernarg_size 76
		.amdhsa_user_sgpr_count 2
		.amdhsa_user_sgpr_dispatch_ptr 0
		.amdhsa_user_sgpr_queue_ptr 0
		.amdhsa_user_sgpr_kernarg_segment_ptr 1
		.amdhsa_user_sgpr_dispatch_id 0
		.amdhsa_user_sgpr_kernarg_preload_length 0
		.amdhsa_user_sgpr_kernarg_preload_offset 0
		.amdhsa_user_sgpr_private_segment_size 0
		.amdhsa_wavefront_size32 1
		.amdhsa_uses_dynamic_stack 0
		.amdhsa_enable_private_segment 0
		.amdhsa_system_sgpr_workgroup_id_x 1
		.amdhsa_system_sgpr_workgroup_id_y 1
		.amdhsa_system_sgpr_workgroup_id_z 0
		.amdhsa_system_sgpr_workgroup_info 0
		.amdhsa_system_vgpr_workitem_id 1
		.amdhsa_next_free_vgpr 249
		.amdhsa_next_free_sgpr 24
		.amdhsa_named_barrier_count 0
		.amdhsa_reserve_vcc 1
		.amdhsa_float_round_mode_32 0
		.amdhsa_float_round_mode_16_64 0
		.amdhsa_float_denorm_mode_32 3
		.amdhsa_float_denorm_mode_16_64 3
		.amdhsa_fp16_overflow 0
		.amdhsa_memory_ordered 1
		.amdhsa_forward_progress 1
		.amdhsa_inst_pref_size 160
		.amdhsa_round_robin_scheduling 0
		.amdhsa_exception_fp_ieee_invalid_op 0
		.amdhsa_exception_fp_denorm_src 0
		.amdhsa_exception_fp_ieee_div_zero 0
		.amdhsa_exception_fp_ieee_overflow 0
		.amdhsa_exception_fp_ieee_underflow 0
		.amdhsa_exception_fp_ieee_inexact 0
		.amdhsa_exception_int_div_zero 0
	.end_amdhsa_kernel
	.section	.text._ZL8moe_q2_KIN3c104HalfELb0EEvPKvS3_PT_PKiS7_S7_iiiiiii,"axG",@progbits,_ZL8moe_q2_KIN3c104HalfELb0EEvPKvS3_PT_PKiS7_S7_iiiiiii,comdat
.Lfunc_end207:
	.size	_ZL8moe_q2_KIN3c104HalfELb0EEvPKvS3_PT_PKiS7_S7_iiiiiii, .Lfunc_end207-_ZL8moe_q2_KIN3c104HalfELb0EEvPKvS3_PT_PKiS7_S7_iiiiiii
                                        ; -- End function
	.set _ZL8moe_q2_KIN3c104HalfELb0EEvPKvS3_PT_PKiS7_S7_iiiiiii.num_vgpr, 249
	.set _ZL8moe_q2_KIN3c104HalfELb0EEvPKvS3_PT_PKiS7_S7_iiiiiii.num_agpr, 0
	.set _ZL8moe_q2_KIN3c104HalfELb0EEvPKvS3_PT_PKiS7_S7_iiiiiii.numbered_sgpr, 24
	.set _ZL8moe_q2_KIN3c104HalfELb0EEvPKvS3_PT_PKiS7_S7_iiiiiii.num_named_barrier, 0
	.set _ZL8moe_q2_KIN3c104HalfELb0EEvPKvS3_PT_PKiS7_S7_iiiiiii.private_seg_size, 0
	.set _ZL8moe_q2_KIN3c104HalfELb0EEvPKvS3_PT_PKiS7_S7_iiiiiii.uses_vcc, 1
	.set _ZL8moe_q2_KIN3c104HalfELb0EEvPKvS3_PT_PKiS7_S7_iiiiiii.uses_flat_scratch, 0
	.set _ZL8moe_q2_KIN3c104HalfELb0EEvPKvS3_PT_PKiS7_S7_iiiiiii.has_dyn_sized_stack, 0
	.set _ZL8moe_q2_KIN3c104HalfELb0EEvPKvS3_PT_PKiS7_S7_iiiiiii.has_recursion, 0
	.set _ZL8moe_q2_KIN3c104HalfELb0EEvPKvS3_PT_PKiS7_S7_iiiiiii.has_indirect_call, 0
	.section	.AMDGPU.csdata,"",@progbits
; Kernel info:
; codeLenInByte = 20384
; TotalNumSgprs: 26
; NumVgprs: 249
; ScratchSize: 0
; MemoryBound: 0
; FloatMode: 240
; IeeeMode: 1
; LDSByteSize: 23328 bytes/workgroup (compile time only)
; SGPRBlocks: 0
; VGPRBlocks: 15
; NumSGPRsForWavesPerEU: 26
; NumVGPRsForWavesPerEU: 249
; NamedBarCnt: 0
; Occupancy: 4
; WaveLimiterHint : 1
; COMPUTE_PGM_RSRC2:SCRATCH_EN: 0
; COMPUTE_PGM_RSRC2:USER_SGPR: 2
; COMPUTE_PGM_RSRC2:TRAP_HANDLER: 0
; COMPUTE_PGM_RSRC2:TGID_X_EN: 1
; COMPUTE_PGM_RSRC2:TGID_Y_EN: 1
; COMPUTE_PGM_RSRC2:TGID_Z_EN: 0
; COMPUTE_PGM_RSRC2:TIDIG_COMP_CNT: 1
	.section	.text._ZL8moe_q2_KIN3c104HalfELb1EEvPKvS3_PT_PKiS7_S7_iiiiiii,"axG",@progbits,_ZL8moe_q2_KIN3c104HalfELb1EEvPKvS3_PT_PKiS7_S7_iiiiiii,comdat
	.globl	_ZL8moe_q2_KIN3c104HalfELb1EEvPKvS3_PT_PKiS7_S7_iiiiiii ; -- Begin function _ZL8moe_q2_KIN3c104HalfELb1EEvPKvS3_PT_PKiS7_S7_iiiiiii
	.p2align	8
	.type	_ZL8moe_q2_KIN3c104HalfELb1EEvPKvS3_PT_PKiS7_S7_iiiiiii,@function
_ZL8moe_q2_KIN3c104HalfELb1EEvPKvS3_PT_PKiS7_S7_iiiiiii: ; @_ZL8moe_q2_KIN3c104HalfELb1EEvPKvS3_PT_PKiS7_S7_iiiiiii
; %bb.0:
	s_load_b128 s[4:7], s[0:1], 0x18
	s_bfe_u32 s2, ttmp6, 0x40010
	s_bfe_u32 s8, ttmp6, 0x40004
	s_add_co_i32 s2, s2, 1
	s_delay_alu instid0(SALU_CYCLE_1)
	s_mul_i32 s3, ttmp7, s2
	s_getreg_b32 s2, hwreg(HW_REG_IB_STS2, 6, 4)
	s_add_co_i32 s8, s8, s3
	s_cmp_eq_u32 s2, 0
	s_cselect_b32 s3, ttmp7, s8
	s_wait_kmcnt 0x0
	s_load_b32 s14, s[6:7], s3 offset:0x0 scale_offset
	s_wait_kmcnt 0x0
	s_cmp_gt_u32 s14, 0xff
	s_cbranch_scc1 .LBB208_47
; %bb.1:
	s_load_b64 s[6:7], s[0:1], 0x28
	s_lshl_b32 s3, s3, 3
	s_wait_kmcnt 0x0
	s_load_b32 s6, s[6:7], 0x0
	s_wait_kmcnt 0x0
	s_cmp_gt_u32 s3, s6
	s_cbranch_scc1 .LBB208_47
; %bb.2:
	v_bfe_u32 v1, v0, 10, 10
	s_and_b32 s11, ttmp6, 15
	v_and_b32_e32 v23, 0x3ff, v0
	s_mov_b32 s15, 0
	s_delay_alu instid0(VALU_DEP_2) | instskip(SKIP_1) | instid1(SALU_CYCLE_1)
	v_add_nc_u32_e32 v2, s3, v1
	s_bfe_u32 s3, ttmp6, 0x4000c
	s_add_co_i32 s3, s3, 1
	s_delay_alu instid0(SALU_CYCLE_1)
	s_mul_i32 s3, ttmp9, s3
	global_load_b32 v11, v2, s[4:5] scale_offset
	s_wait_xcnt 0x0
	s_clause 0x2
	s_load_b128 s[4:7], s[0:1], 0x30
	s_load_b64 s[12:13], s[0:1], 0x10
	s_load_b96 s[8:10], s[0:1], 0x40
	s_add_co_i32 s11, s11, s3
	s_cmp_eq_u32 s2, 0
	s_cselect_b32 s2, ttmp9, s11
	s_delay_alu instid0(SALU_CYCLE_1)
	s_lshl_b32 s11, s2, 7
	s_wait_kmcnt 0x0
	s_cmp_lt_i32 s5, 0x100
	s_cbranch_scc1 .LBB208_37
; %bb.3:
	s_load_b128 s[0:3], s[0:1], 0x0
	s_mul_i32 s18, s14, s4
	s_not_b32 s4, s11
	v_dual_mov_b32 v9, 0 :: v_dual_lshlrev_b32 v4, 2, v23
	s_add_co_i32 s14, s6, s4
	s_delay_alu instid0(SALU_CYCLE_1) | instskip(SKIP_1) | instid1(VALU_DEP_3)
	v_dual_lshlrev_b32 v14, 4, v1 :: v_dual_min_i32 v5, s14, v1
	v_bfe_u32 v2, v0, 1, 9
	v_and_b32_e32 v8, 60, v4
	s_ashr_i32 s19, s18, 31
	s_ashr_i32 s17, s8, 31
	v_bfe_u32 v45, v0, 3, 7
	v_add_nc_u32_e32 v2, v2, v14
	s_lshr_b32 s17, s17, 27
	v_and_b32_e32 v10, 1, v0
	s_add_co_i32 s6, s8, s17
	v_lshl_add_u32 v15, v1, 2, v45
	v_and_b32_e32 v2, 0x7f, v2
	v_and_b32_e32 v26, 0xfc, v0
	s_wait_kmcnt 0x0
	s_add_nc_u64 s[18:19], s[0:1], s[18:19]
	s_abs_i32 s0, s10
	v_dual_lshlrev_b32 v13, 2, v10 :: v_dual_min_i32 v58, s14, v15
	s_cvt_f32_u32 s1, s0
	v_min_i32_e32 v56, s14, v2
	s_sub_co_i32 s8, 0, s0
	v_add_min_i32_e64 v60, v15, 32, s14
	v_rcp_iflag_f32_e32 v2, s1
	s_delay_alu instid0(VALU_DEP_2) | instskip(SKIP_1) | instid1(VALU_DEP_3)
	v_dual_ashrrev_i32 v12, 31, v58 :: v_dual_ashrrev_i32 v3, 31, v56
	v_add_min_i32_e64 v62, v15, 64, s14
	v_ashrrev_i32_e32 v17, 31, v60
	v_and_b32_e32 v66, 7, v0
	s_delay_alu instid0(VALU_DEP_4) | instskip(NEXT) | instid1(TRANS32_DEP_1)
	v_lshrrev_b32_e32 v12, 30, v12
	v_readfirstlane_b32 s1, v2
	s_delay_alu instid0(VALU_DEP_4)
	v_dual_lshrrev_b32 v2, 28, v3 :: v_dual_lshrrev_b32 v17, 30, v17
	v_lshlrev_b32_e32 v18, 3, v56
	v_add_min_i32_e64 v64, 0x60, v15, s14
	s_mul_f32 s1, s1, 0x4f7ffffe
	s_wait_loadcnt 0x0
	v_dual_add_nc_u32 v2, v56, v2 :: v_dual_sub_nc_u32 v3, 0, v11
	v_add_nc_u32_e32 v17, v60, v17
	s_cvt_u32_f32 s1, s1
	v_lshlrev_b32_e32 v21, 2, v66
	s_delay_alu instid0(VALU_DEP_3) | instskip(NEXT) | instid1(SALU_CYCLE_1)
	v_dual_ashrrev_i32 v2, 4, v2 :: v_dual_max_i32 v3, v11, v3
	s_mul_i32 s8, s8, s1
	v_lshl_add_u32 v61, v1, 7, 0x56a0
	s_mul_hi_u32 s8, s1, s8
	s_delay_alu instid0(VALU_DEP_2)
	v_lshlrev_b32_e32 v2, 2, v2
	s_add_co_i32 s1, s1, s8
	v_ashrrev_i32_e32 v15, 31, v62
	v_mul_hi_u32 v16, v3, s1
	v_and_b32_e32 v17, -4, v17
	v_add3_u32 v2, v2, v13, 0x5280
	v_dual_mov_b32 v13, v9 :: v_dual_add_nc_u32 v20, v58, v12
	v_lshrrev_b32_e32 v15, 30, v15
	v_add_nc_u32_e32 v78, 0x5aa0, v14
	s_ashr_i32 s16, s5, 31
	s_ashr_i32 s6, s6, 5
	v_and_b32_e32 v20, -4, v20
	s_lshr_b32 s16, s16, 24
	v_mul_lo_u32 v19, v16, s0
	v_and_b32_e32 v12, 12, v4
	v_add_min_i32_e64 v6, v1, 8, s14
	v_add_min_i32_e64 v7, v1, 16, s14
	;; [unrolled: 1-line block ×9, first 2 shown]
	v_dual_sub_nc_u32 v3, v3, v19 :: v_dual_add_nc_u32 v19, 1, v16
	v_add3_u32 v17, v17, v21, 0x4200
	v_add_min_i32_e64 v44, 0x50, v1, s14
	v_add_min_i32_e64 v46, 0x58, v1, s14
	s_delay_alu instid0(VALU_DEP_4) | instskip(SKIP_4) | instid1(VALU_DEP_3)
	v_subrev_nc_u32_e32 v24, s0, v3
	v_cmp_le_u32_e32 vcc_lo, s0, v3
	v_dual_ashrrev_i32 v22, 31, v64 :: v_dual_add_nc_u32 v15, v62, v15
	v_add_min_i32_e64 v48, 0x60, v1, s14
	v_add_min_i32_e64 v50, 0x68, v1, s14
	v_dual_cndmask_b32 v16, v16, v19 :: v_dual_lshrrev_b32 v19, 30, v22
	v_dual_cndmask_b32 v3, v3, v24, vcc_lo :: v_dual_bitop2_b32 v22, s10, v11 bitop3:0x14
	s_delay_alu instid0(VALU_DEP_2) | instskip(NEXT) | instid1(VALU_DEP_2)
	v_dual_add_nc_u32 v24, 1, v16 :: v_dual_bitop2_b32 v15, -4, v15 bitop3:0x40
	v_dual_add_nc_u32 v19, v64, v19 :: v_dual_ashrrev_i32 v22, 31, v22
	s_delay_alu instid0(VALU_DEP_3) | instskip(NEXT) | instid1(VALU_DEP_3)
	v_cmp_le_u32_e32 vcc_lo, s0, v3
	v_add3_u32 v15, v15, v21, 0x4200
	v_add_min_i32_e64 v52, 0x70, v1, s14
	v_add_min_i32_e64 v54, 0x78, v1, s14
	s_add_co_i32 s4, s5, s16
	v_dual_cndmask_b32 v3, v16, v24, vcc_lo :: v_dual_bitop2_b32 v16, -4, v19 bitop3:0x40
	v_add3_u32 v19, v20, v21, 0x4200
	v_add_nc_u32_e32 v20, 32, v23
	v_add_nc_u32_e32 v24, 0x60, v23
	s_delay_alu instid0(VALU_DEP_4)
	v_xor_b32_e32 v3, v3, v22
	v_add3_u32 v16, v16, v21, 0x4200
	v_add_nc_u32_e32 v21, 64, v23
	v_and_b32_e32 v28, 0x1fc, v20
	v_and_b32_e32 v53, 0x1fc, v24
	v_dual_sub_nc_u32 v22, v3, v22 :: v_dual_lshlrev_b32 v3, 5, v23
	v_lshlrev_b32_e32 v57, 5, v58
	v_and_b32_e32 v51, 0x1fc, v21
	v_add_nc_u32_e32 v55, v2, v18
	v_lshlrev_b32_e32 v2, 5, v62
	v_dual_add_nc_u32 v47, v3, v26 :: v_dual_add_nc_u32 v49, v3, v28
	s_delay_alu instid0(VALU_DEP_4) | instskip(SKIP_1) | instid1(VALU_DEP_4)
	v_dual_add_nc_u32 v51, v3, v51 :: v_dual_add_nc_u32 v53, v3, v53
	v_dual_lshlrev_b32 v3, 5, v60 :: v_dual_add_nc_u32 v57, v19, v57
	v_dual_lshlrev_b32 v18, 5, v64 :: v_dual_add_nc_u32 v63, v15, v2
	s_delay_alu instid0(VALU_DEP_2) | instskip(NEXT) | instid1(VALU_DEP_2)
	v_dual_lshlrev_b32 v1, 1, v20 :: v_dual_add_nc_u32 v59, v17, v3
	v_dual_add_nc_u32 v65, v16, v18 :: v_dual_bitop2_b32 v17, 31, v0 bitop3:0x40
	v_and_b32_e32 v2, 28, v4
	v_dual_lshrrev_b32 v86, 3, v20 :: v_dual_lshrrev_b32 v28, 4, v21
	s_delay_alu instid0(VALU_DEP_3)
	v_lshl_add_u32 v67, v17, 2, v61
	v_mul_lo_u32 v18, v22, s6
	v_dual_mov_b32 v17, v9 :: v_dual_lshlrev_b32 v26, 1, v21
	v_dual_add_nc_u32 v85, v78, v4 :: v_dual_mov_b32 v3, v9
	v_lshrrev_b32_e32 v87, 3, v21
	v_cmp_gt_i32_e64 s0, s7, v22
	v_mul_u32_u24_e32 v14, 33, v23
	v_lshlrev_b32_e32 v22, 1, v24
	s_ashr_i32 s4, s4, 8
	v_mad_u32 v25, 0x84, v5, v4
	v_mad_u32 v27, 0x84, v6, v4
	;; [unrolled: 1-line block ×16, first 2 shown]
	v_lshrrev_b32_e32 v4, 4, v20
	v_dual_lshrrev_b32 v68, 4, v24 :: v_dual_lshrrev_b32 v88, 3, v24
	v_dual_lshlrev_b32 v92, 2, v1 :: v_dual_lshlrev_b32 v93, 2, v28
	s_delay_alu instid0(VALU_DEP_2)
	v_dual_lshlrev_b32 v94, 2, v26 :: v_dual_lshlrev_b32 v95, 2, v68
	v_mul_lo_u32 v24, v5, s4
	v_mul_lo_u32 v26, v6, s4
	;; [unrolled: 1-line block ×21, first 2 shown]
	v_add_nc_u64_e32 v[20:21], s[2:3], v[2:3]
	v_dual_lshlrev_b32 v89, 2, v14 :: v_dual_lshlrev_b32 v2, 1, v23
	v_lshlrev_b32_e32 v96, 2, v22
	v_bfe_u32 v22, v0, 4, 6
	v_cmp_lt_u32_e64 s1, 3, v66
	s_mul_i32 s16, s4, s11
	v_cmp_gt_u32_e32 vcc_lo, 4, v23
	s_ashr_i32 s17, s16, 31
	v_dual_mov_b32 v16, v9 :: v_dual_ashrrev_i32 v19, 31, v18
	v_dual_mov_b32 v14, v9 :: v_dual_mov_b32 v15, v9
	v_dual_lshlrev_b32 v90, 2, v2 :: v_dual_lshlrev_b32 v91, 2, v4
	v_add_nc_u32_e32 v97, 0x4200, v47
	v_add_nc_u32_e32 v98, 0x4600, v49
	;; [unrolled: 1-line block ×4, first 2 shown]
	v_lshlrev_b32_e32 v101, 2, v22
	v_cndmask_b32_e64 v66, 0, 1, s1
	s_mul_u64 s[16:17], s[16:17], 0x54
	s_and_b32 s8, vcc_lo, s0
	s_add_nc_u64 s[16:17], s[18:19], s[16:17]
	s_mov_b32 s14, s15
	s_branch .LBB208_5
.LBB208_4:                              ;   in Loop: Header=BB208_5 Depth=1
	s_add_co_i32 s14, s14, 2
	s_delay_alu instid0(SALU_CYCLE_1)
	s_cmp_ge_i32 s14, s4
	s_cbranch_scc1 .LBB208_38
.LBB208_5:                              ; =>This Loop Header: Depth=1
                                        ;     Child Loop BB208_11 Depth 2
                                        ;     Child Loop BB208_19 Depth 2
	;; [unrolled: 1-line block ×4, first 2 shown]
	s_mul_u64 s[18:19], s[14:15], 0x54
	s_delay_alu instid0(SALU_CYCLE_1)
	s_add_nc_u64 s[18:19], s[16:17], s[18:19]
	s_wait_xcnt 0x5
	v_mad_nc_u64_u32 v[0:1], 0x54, v22, s[18:19]
	s_wait_xcnt 0x0
	v_mad_nc_u64_u32 v[4:5], 0x54, v66, s[18:19]
	v_mad_nc_i64_i32 v[2:3], 0x54, v56, s[18:19]
	s_lshl_b32 s18, s14, 8
	s_delay_alu instid0(SALU_CYCLE_1) | instskip(NEXT) | instid1(VALU_DEP_3)
	s_cmp_lt_i32 s18, s5
	v_mad_nc_i64_i32 v[6:7], 0x54, v24, v[0:1]
	v_mad_nc_i64_i32 v[68:69], 0x54, v26, v[0:1]
	;; [unrolled: 1-line block ×14, first 2 shown]
	v_add_nc_u64_e32 v[6:7], v[6:7], v[8:9]
	v_mad_nc_i64_i32 v[118:119], 0x54, v52, v[0:1]
	v_add_nc_u64_e32 v[68:69], v[68:69], v[8:9]
	v_mad_nc_i64_i32 v[0:1], 0x54, v54, v[0:1]
	v_add_nc_u64_e32 v[70:71], v[70:71], v[8:9]
	v_add_nc_u64_e32 v[72:73], v[72:73], v[8:9]
	;; [unrolled: 1-line block ×8, first 2 shown]
	s_clause 0x7
	global_load_b32 v120, v[6:7], off offset:16
	global_load_b32 v121, v[68:69], off offset:16
	;; [unrolled: 1-line block ×8, first 2 shown]
	s_wait_xcnt 0x7
	v_add_nc_u64_e32 v[6:7], v[108:109], v[8:9]
	s_wait_xcnt 0x6
	v_add_nc_u64_e32 v[68:69], v[110:111], v[8:9]
	;; [unrolled: 2-line block ×4, first 2 shown]
	v_mad_nc_u64_u32 v[2:3], 0x54, v10, v[2:3]
	s_wait_xcnt 0x3
	v_add_nc_u64_e32 v[74:75], v[116:117], v[8:9]
	s_wait_xcnt 0x1
	v_mad_nc_i64_i32 v[102:103], 0x54, v58, v[4:5]
	v_add_nc_u64_e32 v[76:77], v[118:119], v[8:9]
	s_wait_xcnt 0x0
	v_mad_nc_i64_i32 v[104:105], 0x54, v60, v[4:5]
	v_add_nc_u64_e32 v[0:1], v[0:1], v[8:9]
	v_mad_nc_i64_i32 v[108:109], 0x54, v62, v[4:5]
	v_mad_nc_i64_i32 v[4:5], 0x54, v64, v[4:5]
	s_clause 0xc
	global_load_b32 v110, v[106:107], off offset:16
	global_load_b32 v111, v[6:7], off offset:16
	;; [unrolled: 1-line block ×9, first 2 shown]
	global_load_b32 v119, v[102:103], off
	global_load_b32 v128, v[104:105], off
	;; [unrolled: 1-line block ×4, first 2 shown]
	s_wait_loadcnt 0x14
	ds_store_b32 v25, v120
	s_wait_loadcnt 0x13
	ds_store_b32 v27, v121
	;; [unrolled: 2-line block ×21, first 2 shown]
	s_cbranch_scc0 .LBB208_4
; %bb.6:                                ;   in Loop: Header=BB208_5 Depth=1
	s_lshl_b32 s19, s14, 3
	s_wait_xcnt 0x5
	v_add_nc_u32_e32 v0, s19, v45
	s_delay_alu instid0(VALU_DEP_1)
	v_cmp_gt_i32_e64 s1, s6, v0
	s_and_b32 s20, s0, s1
	s_wait_xcnt 0x0
	s_and_saveexec_b32 s1, s20
	s_cbranch_execz .LBB208_8
; %bb.7:                                ;   in Loop: Header=BB208_5 Depth=1
	v_add_nc_u32_e32 v0, v18, v0
	s_delay_alu instid0(VALU_DEP_1)
	v_mad_nc_i64_i32 v[0:1], v0, 36, v[20:21]
	global_load_b32 v0, v[0:1], off offset:4
	s_wait_loadcnt 0x0
	ds_store_b32 v67, v0
.LBB208_8:                              ;   in Loop: Header=BB208_5 Depth=1
	s_or_b32 exec_lo, exec_lo, s1
	v_add_nc_u32_e32 v68, s19, v23
	s_delay_alu instid0(VALU_DEP_1) | instskip(SKIP_1) | instid1(SALU_CYCLE_1)
	v_cmp_gt_i32_e64 s1, s6, v68
	s_and_b32 s20, s8, s1
	s_and_saveexec_b32 s1, s20
	s_cbranch_execz .LBB208_10
; %bb.9:                                ;   in Loop: Header=BB208_5 Depth=1
	v_add_nc_u32_e32 v0, v18, v68
	s_delay_alu instid0(VALU_DEP_1)
	v_mad_nc_i64_i32 v[0:1], v0, 36, s[2:3]
	global_load_b32 v0, v[0:1], off
	s_wait_loadcnt 0x0
	v_cvt_f32_f16_e32 v0, v0
	ds_store_b32 v85, v0
.LBB208_10:                             ;   in Loop: Header=BB208_5 Depth=1
	s_or_b32 exec_lo, exec_lo, s1
	v_dual_mov_b32 v69, v78 :: v_dual_mov_b32 v71, v61
	s_mov_b32 s1, 0
	s_wait_dscnt 0x0
	s_barrier_signal -1
	s_barrier_wait -1
.LBB208_11:                             ;   Parent Loop BB208_5 Depth=1
                                        ; =>  This Inner Loop Header: Depth=2
	s_and_b32 s21, s1, 0x3ffffff8
	ds_load_b32 v70, v69
	ds_load_b128 v[4:7], v71
	ds_load_b128 v[0:3], v71 offset:16
	v_lshl_add_u32 v74, s21, 2, v89
	s_lshr_b32 s22, s1, 2
	s_and_b32 s20, s1, -16
	s_and_b32 s21, s22, 0x3ffffffc
	s_add_co_i32 s20, s1, s20
	ds_load_2addr_b32 v[72:73], v74 offset0:4 offset1:7
	s_addk_co_i32 s21, 0x5280
	v_dual_add_nc_u32 v75, s20, v97 :: v_dual_add_nc_u32 v76, s20, v98
	v_dual_add_nc_u32 v124, s20, v99 :: v_dual_add_nc_u32 v77, s20, v100
	v_add3_u32 v108, s21, v101, v90
	v_add3_u32 v109, s21, v91, v92
	;; [unrolled: 1-line block ×4, first 2 shown]
	v_add_nc_u32_e32 v112, 0x1080, v74
	v_add_nc_u32_e32 v113, 0x1088, v74
	;; [unrolled: 1-line block ×12, first 2 shown]
	ds_load_2addr_b32 v[102:103], v74 offset1:1
	ds_load_2addr_b32 v[104:105], v74 offset0:2 offset1:3
	ds_load_2addr_b32 v[106:107], v74 offset0:5 offset1:6
	ds_load_u16 v132, v75
	ds_load_b32 v133, v108
	ds_load_b32 v134, v109
	;; [unrolled: 1-line block ×4, first 2 shown]
	ds_load_u16 v77, v77
	ds_load_2addr_b32 v[108:109], v114 offset0:36 offset1:39
	ds_load_2addr_b32 v[110:111], v112 offset1:1
	ds_load_2addr_b32 v[112:113], v113 offset1:1
	;; [unrolled: 1-line block ×5, first 2 shown]
	ds_load_u16 v75, v76
	ds_load_2addr_b32 v[120:121], v120 offset1:1
	ds_load_2addr_b32 v[122:123], v122 offset1:1
	ds_load_u16 v76, v124
	ds_load_2addr_b32 v[124:125], v125 offset1:1
	ds_load_2addr_b32 v[126:127], v126 offset1:1
	;; [unrolled: 1-line block ×4, first 2 shown]
	s_wait_dscnt 0x15
	v_dual_ashrrev_i32 v103, s1, v103 :: v_dual_ashrrev_i32 v105, s1, v105
	v_lshrrev_b16 v136, 8, v0
	v_dual_ashrrev_i32 v137, 24, v4 :: v_dual_ashrrev_i32 v144, 24, v5
	v_dual_ashrrev_i32 v138, 24, v0 :: v_dual_ashrrev_i32 v145, 24, v1
	v_bfe_i32 v140, v0, 0, 8
	v_bfe_i32 v141, v0, 16, 8
	;; [unrolled: 1-line block ×4, first 2 shown]
	v_lshrrev_b16 v0, 8, v1
	v_bfe_i32 v146, v4, 8, 8
	v_bfe_i32 v4, v1, 0, 8
	;; [unrolled: 1-line block ×4, first 2 shown]
	v_and_b32_e32 v168, 3, v103
	v_bfe_u32 v169, v103, 8, 2
	v_bfe_u32 v170, v103, 16, 2
	v_lshrrev_b32_e32 v103, 24, v103
	v_bfe_i32 v139, v5, 8, 8
	v_bfe_i32 v5, v5, 16, 8
	v_dual_ashrrev_i32 v72, s1, v72 :: v_dual_ashrrev_i32 v73, s1, v73
	v_mul_i32_i24_e32 v168, v168, v1
	s_wait_dscnt 0x9
	v_dual_ashrrev_i32 v117, s1, v117 :: v_dual_bitop2_b32 v103, 3, v103 bitop3:0x40
	v_dual_ashrrev_i32 v149, 24, v2 :: v_dual_ashrrev_i32 v156, 24, v3
	v_bfe_i32 v160, v3, 16, 8
	v_bfe_i32 v161, v3, 0, 8
	;; [unrolled: 1-line block ×4, first 2 shown]
	v_dual_ashrrev_i32 v107, s1, v107 :: v_dual_bitop2_b32 v171, 3, v72 bitop3:0x40
	v_bfe_u32 v172, v72, 8, 2
	v_bfe_u32 v173, v72, 16, 2
	v_dual_lshrrev_b32 v72, 24, v72 :: v_dual_ashrrev_i32 v111, s1, v111
	v_mad_i32_i24 v168, v169, v139, v168
	v_mul_i32_i24_e32 v169, v170, v5
	v_mul_i32_i24_e32 v103, v103, v144
	s_delay_alu instid0(VALU_DEP_4) | instskip(SKIP_2) | instid1(VALU_DEP_4)
	v_and_b32_e32 v72, 3, v72
	v_lshrrev_b16 v148, 8, v6
	v_dual_ashrrev_i32 v150, 24, v6 :: v_dual_ashrrev_i32 v157, 24, v7
	v_add3_u32 v103, v168, v169, v103
	v_mul_i32_i24_e32 v169, v172, v3
	v_bfe_i32 v151, v6, 16, 8
	v_bfe_i32 v152, v6, 0, 8
	v_dual_add_nc_u32 v6, v146, v139 :: v_dual_ashrrev_i32 v102, s1, v102
	s_wait_dscnt 0x3
	v_ashrrev_i32_e32 v125, s1, v125
	v_mad_i32_i24 v169, v171, v140, v169
	v_mul_i32_i24_e32 v171, v173, v141
	v_mul_i32_i24_e32 v72, v72, v138
	v_dual_ashrrev_i32 v104, s1, v104 :: v_dual_ashrrev_i32 v106, s1, v106
	v_and_b32_e32 v168, 3, v102
	v_dual_ashrrev_i32 v108, s1, v108 :: v_dual_bitop2_b32 v170, 3, v111 bitop3:0x40
	s_delay_alu instid0(VALU_DEP_4) | instskip(SKIP_4) | instid1(VALU_DEP_4)
	v_add3_u32 v72, v169, v171, v72
	v_and_b32_e32 v169, 3, v117
	v_dual_add_nc_u32 v165, v1, v142 :: v_dual_bitop2_b32 v171, 3, v125 bitop3:0x40
	v_add_nc_u32_e32 v167, v4, v140
	v_mul_i32_i24_e32 v170, v170, v1
	v_mul_i32_i24_e32 v169, v169, v1
	s_delay_alu instid0(VALU_DEP_4)
	v_mul_i32_i24_e32 v1, v171, v1
	v_bfe_u32 v171, v111, 8, 2
	v_mul_i32_i24_e32 v168, v142, v168
	v_bfe_i32 v136, v0, 0, 8
	v_ashrrev_i32_e32 v110, s1, v110
	v_bfe_i32 v153, v2, 16, 8
	v_mad_i32_i24 v170, v171, v139, v170
	v_bfe_u32 v171, v117, 8, 2
	v_bfe_i32 v154, v2, 0, 8
	v_bfe_i32 v155, v2, 8, 8
	v_lshrrev_b16 v2, 8, v7
	v_add_nc_u32_e32 v0, v145, v138
	v_mad_i32_i24 v169, v171, v139, v169
	v_bfe_u32 v171, v125, 8, 2
	v_ashrrev_i32_e32 v116, s1, v116
	v_bfe_i32 v163, v2, 0, 8
	v_dual_add_nc_u32 v2, v144, v137 :: v_dual_add_nc_u32 v164, v5, v143
	v_add_nc_u32_e32 v166, v147, v141
	v_mad_i32_i24 v139, v171, v139, v1
	v_dual_lshrrev_b32 v171, 24, v111 :: v_dual_bitop2_b32 v1, 3, v104 bitop3:0x40
	v_bfe_u32 v111, v111, 16, 2
	v_bfe_i32 v148, v148, 0, 8
	v_ashrrev_i32_e32 v112, s1, v112
	s_delay_alu instid0(VALU_DEP_4) | instskip(SKIP_3) | instid1(VALU_DEP_4)
	v_mul_i32_i24_e32 v1, v1, v152
	v_and_b32_e32 v171, 3, v171
	v_mul_i32_i24_e32 v111, v111, v5
	v_dual_ashrrev_i32 v124, s1, v124 :: v_dual_ashrrev_i32 v118, s1, v118
	v_add3_u32 v103, v103, v1, v168
	v_and_b32_e32 v1, 3, v108
	v_bfe_u32 v168, v108, 8, 2
	v_bfe_i32 v158, v7, 16, 8
	v_bfe_i32 v159, v7, 0, 8
	v_lshrrev_b16 v7, 8, v132
	v_mul_i32_i24_e32 v1, v1, v140
	v_lshrrev_b32_e32 v172, 24, v104
	v_add3_u32 v164, v164, v151, v158
	v_add3_u32 v165, v165, v152, v159
	v_dual_ashrrev_i32 v122, s1, v122 :: v_dual_lshrrev_b32 v174, 24, v105
	v_mad_i32_i24 v1, v168, v3, v1
	v_lshrrev_b32_e32 v168, 24, v108
	v_bfe_u32 v108, v108, 16, 2
	v_dual_lshrrev_b32 v175, 24, v73 :: v_dual_ashrrev_i32 v119, s1, v119
	v_add3_u32 v167, v167, v154, v161
	s_delay_alu instid0(VALU_DEP_4) | instskip(NEXT) | instid1(VALU_DEP_4)
	v_and_b32_e32 v168, 3, v168
	v_mul_i32_i24_e32 v108, v108, v141
	s_wait_dscnt 0x1
	v_dual_ashrrev_i32 v121, s1, v121 :: v_dual_ashrrev_i32 v128, s1, v128
	v_ashrrev_i32_e32 v129, s1, v129
	v_mul_i32_i24_e32 v168, v168, v138
	v_ashrrev_i32_e32 v114, s1, v114
	v_lshrrev_b16 v176, 8, v76
	v_add3_u32 v166, v166, v153, v160
	s_add_co_i32 s20, s1, 2
	v_add3_u32 v108, v1, v108, v168
	v_ashrrev_i32_e32 v1, s1, v120
	v_mul_i32_i24_e32 v171, v171, v144
	v_and_b32_e32 v120, 3, v106
	s_cmp_lt_u32 s1, 6
	v_dual_ashrrev_i32 v127, s1, v127 :: v_dual_ashrrev_i32 v109, s1, v109
	s_delay_alu instid0(VALU_DEP_3) | instskip(SKIP_4) | instid1(VALU_DEP_4)
	v_add3_u32 v111, v170, v111, v171
	v_lshrrev_b32_e32 v170, 8, v106
	v_mul_i32_i24_e32 v120, v120, v4
	v_lshrrev_b16 v171, 8, v77
	v_dual_ashrrev_i32 v113, s1, v113 :: v_dual_ashrrev_i32 v115, s1, v115
	v_and_b32_e32 v168, 3, v170
	v_add3_u32 v170, v2, v150, v157
	v_bfe_u32 v2, v125, 16, 2
	v_lshrrev_b32_e32 v173, 16, v107
	v_ashrrev_i32_e32 v123, s1, v123
	v_mul_i32_i24_e32 v168, v168, v136
	v_add_nc_u32_e32 v71, 32, v71
	v_mul_i32_i24_e32 v2, v2, v5
	v_add_nc_u32_e32 v69, 4, v69
	s_delay_alu instid0(VALU_DEP_4) | instskip(SKIP_3) | instid1(VALU_DEP_3)
	v_add3_u32 v72, v72, v120, v168
	v_ashrrev_i32_e32 v120, s1, v126
	v_bfe_u32 v126, v117, 16, 2
	v_bfe_u32 v117, v117, 24, 2
	v_and_b32_e32 v168, 3, v120
	s_delay_alu instid0(VALU_DEP_3) | instskip(NEXT) | instid1(VALU_DEP_3)
	v_mul_i32_i24_e32 v126, v126, v5
	v_mul_i32_i24_e32 v117, v117, v144
	v_bfe_u32 v5, v125, 24, 2
	v_bfe_u32 v125, v120, 16, 2
	s_delay_alu instid0(VALU_DEP_3) | instskip(SKIP_1) | instid1(VALU_DEP_4)
	v_add3_u32 v117, v169, v126, v117
	v_and_b32_e32 v126, 3, v1
	v_mul_i32_i24_e32 v5, v5, v144
	v_add3_u32 v169, v6, v148, v163
	v_add3_u32 v6, v0, v149, v156
	v_bfe_u32 v0, v1, 16, 2
	v_mul_i32_i24_e32 v126, v126, v140
	v_add3_u32 v5, v139, v2, v5
	v_cvt_f32_f16_e64 v2, v135
	v_lshrrev_b32_e32 v135, 16, v135
	v_mul_i32_i24_e32 v140, v168, v140
	v_bfe_u32 v168, v1, 8, 2
	v_bfe_u32 v1, v1, 24, 2
	v_mul_i32_i24_e32 v125, v125, v141
	v_mul_i32_i24_e32 v0, v0, v141
	v_lshrrev_b32_e32 v144, 16, v73
	v_mad_i32_i24 v126, v168, v3, v126
	v_bfe_u32 v168, v120, 8, 2
	v_bfe_u32 v120, v120, 24, 2
	v_mul_i32_i24_e32 v1, v1, v138
	v_bfe_u32 v139, v105, 8, 2
	v_bfe_u32 v141, v77, 4, 4
	v_mad_i32_i24 v140, v168, v3, v140
	v_mul_i32_i24_e32 v120, v120, v138
	v_bfe_u32 v168, v132, 4, 4
	v_and_b32_e32 v132, 15, v132
	v_add3_u32 v126, v126, v0, v1
	v_add_nc_u32_e32 v3, v136, v3
	v_add3_u32 v120, v140, v125, v120
	v_and_b32_e32 v125, 3, v110
	v_and_b32_e32 v138, 3, v112
	;; [unrolled: 1-line block ×3, first 2 shown]
	v_add3_u32 v177, v3, v155, v162
	v_cvt_f32_f16_e64 v1, v134
	v_mul_i32_i24_e32 v125, v142, v125
	v_mul_i32_i24_e32 v138, v138, v152
	v_dual_lshrrev_b32 v134, 16, v134 :: v_dual_bitop2_b32 v144, 3, v144 bitop3:0x40
	v_cvt_f32_f16_e64 v3, v135
	v_bfe_u32 v135, v113, 8, 2
	s_delay_alu instid0(VALU_DEP_4)
	v_add3_u32 v111, v111, v138, v125
	v_bfe_u32 v125, v102, 8, 2
	v_bfe_u32 v138, v102, 16, 2
	v_cvt_f32_f16_e64 v0, v133
	v_lshrrev_b32_e32 v133, 16, v133
	v_mul_i32_i24_e32 v139, v139, v163
	v_mul_i32_i24_e32 v125, v146, v125
	;; [unrolled: 1-line block ×4, first 2 shown]
	v_and_b32_e32 v77, 15, v77
	v_and_b32_e32 v132, 0xffff, v132
	s_delay_alu instid0(VALU_DEP_4) | instskip(SKIP_1) | instid1(VALU_DEP_4)
	v_add3_u32 v103, v103, v125, v138
	v_dual_lshrrev_b32 v125, 8, v114 :: v_dual_bitop2_b32 v138, 3, v114 bitop3:0x40
	v_and_b32_e32 v77, 0xffff, v77
	s_delay_alu instid0(VALU_DEP_2) | instskip(NEXT) | instid1(VALU_DEP_3)
	v_and_b32_e32 v125, 3, v125
	v_mul_i32_i24_e32 v138, v138, v4
	s_delay_alu instid0(VALU_DEP_2) | instskip(NEXT) | instid1(VALU_DEP_1)
	v_mul_i32_i24_e32 v125, v125, v136
	v_add3_u32 v108, v108, v138, v125
	v_dual_lshrrev_b32 v125, 16, v106 :: v_dual_bitop2_b32 v138, 3, v105 bitop3:0x40
	s_delay_alu instid0(VALU_DEP_1) | instskip(NEXT) | instid1(VALU_DEP_1)
	v_dual_lshrrev_b32 v106, 24, v106 :: v_dual_bitop2_b32 v125, 3, v125 bitop3:0x40
	v_and_b32_e32 v106, 3, v106
	s_delay_alu instid0(VALU_DEP_2) | instskip(NEXT) | instid1(VALU_DEP_2)
	v_mul_i32_i24_e32 v125, v125, v147
	v_mul_i32_i24_e32 v106, v106, v145
	s_delay_alu instid0(VALU_DEP_1) | instskip(SKIP_2) | instid1(VALU_DEP_2)
	v_add3_u32 v72, v72, v125, v106
	v_and_b32_e32 v106, 3, v116
	v_and_b32_e32 v125, 3, v118
	v_mul_i32_i24_e32 v106, v142, v106
	s_delay_alu instid0(VALU_DEP_2) | instskip(NEXT) | instid1(VALU_DEP_1)
	v_mul_i32_i24_e32 v125, v125, v152
	v_add3_u32 v106, v117, v125, v106
	v_and_b32_e32 v117, 3, v121
	v_bfe_u32 v125, v121, 8, 2
	s_delay_alu instid0(VALU_DEP_2) | instskip(NEXT) | instid1(VALU_DEP_2)
	v_mul_i32_i24_e32 v117, v117, v4
	v_mul_i32_i24_e32 v125, v125, v136
	s_delay_alu instid0(VALU_DEP_1) | instskip(SKIP_2) | instid1(VALU_DEP_1)
	v_add3_u32 v117, v126, v117, v125
	s_wait_dscnt 0x0
	v_dual_ashrrev_i32 v125, s1, v130 :: v_dual_bitop2_b32 v126, 3, v124 bitop3:0x40
	v_and_b32_e32 v130, 3, v125
	s_delay_alu instid0(VALU_DEP_2)
	v_mul_i32_i24_e32 v126, v142, v126
	v_bfe_u32 v142, v73, 8, 2
	v_bfe_u32 v73, v76, 4, 4
	v_and_b32_e32 v76, 15, v76
	v_mul_i32_i24_e32 v130, v130, v152
	v_and_b32_e32 v152, 3, v127
	v_mul_i32_i24_e32 v142, v142, v162
	v_mul_lo_u32 v73, 0x1010101, v73
	v_and_b32_e32 v76, 0xffff, v76
	v_add3_u32 v126, v5, v130, v126
	v_mul_i32_i24_e32 v4, v152, v4
	v_bfe_u32 v152, v127, 8, 2
	v_bfe_u32 v5, v102, 24, 2
	v_dual_lshrrev_b32 v102, 8, v104 :: v_dual_lshrrev_b32 v130, 16, v105
	v_bfe_u32 v105, v121, 24, 2
	s_delay_alu instid0(VALU_DEP_4)
	v_mul_i32_i24_e32 v136, v152, v136
	v_lshrrev_b32_e32 v152, 16, v104
	v_mul_lo_u32 v104, 0x1010101, v168
	v_and_b32_e32 v102, 3, v102
	v_mul_i32_i24_e32 v5, v137, v5
	v_add3_u32 v120, v120, v4, v136
	v_mul_i32_i24_e32 v105, v105, v145
	v_and_b32_e32 v130, 3, v130
	v_mul_i32_i24_e32 v102, v102, v148
	v_bfe_i32 v4, v104, 0, 8
	v_bfe_i32 v136, v104, 8, 8
	s_delay_alu instid0(VALU_DEP_3) | instskip(SKIP_1) | instid1(VALU_DEP_4)
	v_add3_u32 v168, v103, v5, v102
	v_dual_lshrrev_b32 v5, 16, v114 :: v_dual_lshrrev_b32 v102, 24, v114
	v_mul_i32_i24_e32 v4, v165, v4
	v_bfe_u32 v103, v121, 16, 2
	v_and_b32_e32 v121, 3, v113
	s_delay_alu instid0(VALU_DEP_4)
	v_and_b32_e32 v5, 3, v5
	v_and_b32_e32 v102, 3, v102
	v_mad_i32_i24 v4, v169, v136, v4
	v_bfe_i32 v136, v104, 16, 8
	v_lshrrev_b32_e32 v104, 24, v104
	v_mul_i32_i24_e32 v103, v103, v147
	v_mul_i32_i24_e32 v5, v5, v147
	;; [unrolled: 1-line block ×5, first 2 shown]
	v_add3_u32 v117, v117, v103, v105
	v_bfe_u32 v103, v116, 8, 2
	v_bfe_u32 v105, v116, 16, 2
	v_add3_u32 v108, v108, v5, v102
	v_add3_u32 v104, v4, v136, v104
	v_bfe_u32 v4, v110, 8, 2
	v_bfe_u32 v136, v110, 16, 2
	v_mul_i32_i24_e32 v103, v103, v146
	v_mul_i32_i24_e32 v105, v105, v143
	v_bfe_u32 v102, v75, 4, 4
	v_mul_i32_i24_e32 v4, v146, v4
	v_mul_i32_i24_e32 v136, v143, v136
	v_bfe_u32 v110, v110, 24, 2
	v_add3_u32 v106, v106, v103, v105
	v_bfe_u32 v103, v127, 16, 2
	v_bfe_u32 v105, v127, 24, 2
	v_add3_u32 v111, v111, v4, v136
	v_dual_lshrrev_b32 v136, 8, v107 :: v_dual_bitop2_b32 v4, 3, v107 bitop3:0x40
	v_lshrrev_b32_e32 v107, 24, v107
	v_ashrrev_i32_e32 v131, s1, v131
	v_mul_lo_u32 v102, 0x1010101, v102
	s_delay_alu instid0(VALU_DEP_4)
	v_mul_i32_i24_e32 v4, v4, v154
	v_and_b32_e32 v5, 3, v136
	v_mul_i32_i24_e32 v103, v103, v147
	v_bfe_u32 v127, v124, 8, 2
	v_mul_i32_i24_e32 v105, v105, v145
	v_mul_i32_i24_e32 v110, v137, v110
	;; [unrolled: 1-line block ×3, first 2 shown]
	v_lshrrev_b32_e32 v147, 16, v115
	v_and_b32_e32 v107, 3, v107
	v_add3_u32 v120, v120, v103, v105
	v_bfe_u32 v103, v124, 16, 2
	v_add3_u32 v136, v72, v4, v5
	v_and_b32_e32 v72, 0xffff, v7
	v_mul_i32_i24_e32 v105, v127, v146
	v_and_b32_e32 v127, 3, v109
	v_mul_i32_i24_e32 v103, v103, v143
	s_delay_alu instid0(VALU_DEP_4) | instskip(SKIP_2) | instid1(VALU_DEP_4)
	v_dual_lshrrev_b32 v146, 16, v109 :: v_dual_lshrrev_b32 v72, 4, v72
	v_cvt_f32_f16_e64 v5, v134
	v_mul_lo_u32 v134, 0x1010101, v141
	v_add3_u32 v126, v126, v105, v103
	v_bfe_i32 v103, v102, 8, 8
	v_mul_lo_u32 v145, 0x1010101, v72
	v_bfe_i32 v72, v102, 0, 8
	v_dual_lshrrev_b32 v105, 8, v112 :: v_dual_lshrrev_b32 v141, 16, v113
	v_bfe_u32 v116, v116, 24, 2
	v_lshrrev_b32_e32 v113, 24, v113
	s_delay_alu instid0(VALU_DEP_4) | instskip(NEXT) | instid1(VALU_DEP_4)
	v_mul_i32_i24_e32 v72, v165, v72
	v_and_b32_e32 v105, 3, v105
	v_mul_i32_i24_e32 v107, v107, v149
	v_mul_i32_i24_e32 v116, v116, v137
	v_bfe_u32 v124, v124, 24, 2
	v_mad_i32_i24 v72, v169, v103, v72
	v_lshrrev_b32_e32 v103, 24, v102
	v_bfe_i32 v102, v102, 16, 8
	v_mul_i32_i24_e32 v105, v105, v148
	v_bfe_u32 v143, v109, 8, 2
	v_lshrrev_b32_e32 v109, 24, v109
	v_mul_i32_i24_e32 v103, v170, v103
	v_mul_i32_i24_e32 v102, v164, v102
	v_add3_u32 v105, v111, v110, v105
	v_dual_lshrrev_b32 v110, 16, v112 :: v_dual_lshrrev_b32 v111, 24, v112
	v_and_b32_e32 v112, 3, v115
	s_delay_alu instid0(VALU_DEP_4)
	v_add3_u32 v72, v72, v102, v103
	v_bfe_i32 v102, v73, 0, 8
	v_bfe_i32 v103, v73, 8, 8
	v_mul_i32_i24_e32 v124, v124, v137
	v_mul_i32_i24_e32 v112, v112, v154
	v_and_b32_e32 v137, 3, v128
	v_mul_i32_i24_e32 v102, v165, v102
	v_mul_i32_i24_e32 v121, v121, v159
	;; [unrolled: 1-line block ×3, first 2 shown]
	v_and_b32_e32 v147, 3, v147
	v_mul_i32_i24_e32 v137, v137, v154
	v_mad_i32_i24 v102, v169, v103, v102
	v_bfe_i32 v103, v73, 16, 8
	v_lshrrev_b32_e32 v73, 24, v73
	v_cvt_f32_f16_e64 v4, v133
	v_and_b32_e32 v133, 0xffff, v171
	v_lshrrev_b16 v114, 8, v75
	v_mul_i32_i24_e32 v103, v164, v103
	v_mul_i32_i24_e32 v73, v170, v73
	s_delay_alu instid0(VALU_DEP_4) | instskip(SKIP_2) | instid1(VALU_DEP_4)
	v_dual_lshrrev_b32 v133, 4, v133 :: v_dual_bitop2_b32 v111, 3, v111 bitop3:0x40
	v_and_b32_e32 v110, 3, v110
	v_mul_i32_i24_e32 v143, v143, v162
	v_add3_u32 v73, v102, v103, v73
	v_bfe_i32 v102, v145, 0, 8
	v_bfe_i32 v103, v145, 8, 8
	v_mul_lo_u32 v133, 0x1010101, v133
	v_mul_i32_i24_e32 v110, v110, v151
	v_and_b32_e32 v146, 3, v146
	v_mul_i32_i24_e32 v102, v167, v102
	v_mul_i32_i24_e32 v103, v177, v103
	v_and_b32_e32 v7, 15, v7
	v_and_b32_e32 v75, 15, v75
	;; [unrolled: 1-line block ×3, first 2 shown]
	s_mov_b32 s1, s20
	v_add3_u32 v102, v104, v102, v103
	v_mul_i32_i24_e32 v103, v138, v159
	v_mul_i32_i24_e32 v104, v140, v161
	v_and_b32_e32 v138, 3, v152
	v_and_b32_e32 v140, 3, v172
	v_dual_lshrrev_b32 v172, 8, v118 :: v_dual_bitop2_b32 v152, 3, v173 bitop3:0x40
	v_cvt_f32_f16_e64 v173, v74
	s_delay_alu instid0(VALU_DEP_4) | instskip(NEXT) | instid1(VALU_DEP_4)
	v_mul_i32_i24_e32 v138, v138, v151
	v_mul_i32_i24_e32 v140, v140, v150
	s_delay_alu instid0(VALU_DEP_4) | instskip(SKIP_2) | instid1(VALU_DEP_4)
	v_dual_lshrrev_b32 v74, 16, v74 :: v_dual_bitop2_b32 v172, 3, v172 bitop3:0x40
	v_mul_i32_i24_e32 v144, v144, v160
	v_and_b32_e32 v75, 0xffff, v75
	v_add3_u32 v138, v168, v138, v140
	v_dual_lshrrev_b32 v140, 8, v115 :: v_dual_lshrrev_b32 v115, 24, v115
	v_mul_i32_i24_e32 v152, v152, v153
	v_and_b32_e32 v168, 3, v175
	v_mul_i32_i24_e32 v172, v172, v148
	s_delay_alu instid0(VALU_DEP_4)
	v_and_b32_e32 v140, 3, v140
	v_and_b32_e32 v115, 3, v115
	v_add3_u32 v107, v136, v152, v107
	v_lshrrev_b32_e32 v152, 8, v122
	v_add3_u32 v106, v106, v116, v172
	v_dual_lshrrev_b32 v172, 16, v122 :: v_dual_bitop2_b32 v116, 3, v122 bitop3:0x40
	s_delay_alu instid0(VALU_DEP_3) | instskip(SKIP_1) | instid1(VALU_DEP_3)
	v_dual_lshrrev_b32 v122, 24, v122 :: v_dual_bitop2_b32 v152, 3, v152 bitop3:0x40
	v_mul_i32_i24_e32 v140, v140, v155
	v_mul_i32_i24_e32 v116, v116, v154
	s_delay_alu instid0(VALU_DEP_3) | instskip(NEXT) | instid1(VALU_DEP_4)
	v_dual_lshrrev_b32 v154, 8, v123 :: v_dual_bitop2_b32 v122, 3, v122 bitop3:0x40
	v_mul_i32_i24_e32 v152, v152, v155
	s_delay_alu instid0(VALU_DEP_4)
	v_add3_u32 v108, v108, v112, v140
	v_and_b32_e32 v140, 3, v174
	v_mul_i32_i24_e32 v115, v115, v149
	v_mul_i32_i24_e32 v122, v122, v149
	v_add3_u32 v116, v117, v116, v152
	v_dual_lshrrev_b32 v152, 8, v125 :: v_dual_lshrrev_b32 v117, 16, v118
	v_lshrrev_b32_e32 v118, 24, v118
	v_and_b32_e32 v112, 0xffff, v114
	v_and_b32_e32 v172, 3, v172
	s_delay_alu instid0(VALU_DEP_4)
	v_and_b32_e32 v152, 3, v152
	v_and_b32_e32 v154, 3, v154
	;; [unrolled: 1-line block ×5, first 2 shown]
	v_mul_i32_i24_e32 v148, v152, v148
	v_lshrrev_b32_e32 v152, 8, v128
	v_mul_i32_i24_e32 v118, v118, v150
	v_mul_i32_i24_e32 v154, v154, v162
	v_lshrrev_b32_e32 v112, 4, v112
	v_add3_u32 v124, v126, v124, v148
	v_and_b32_e32 v152, 3, v152
	v_and_b32_e32 v126, 3, v123
	v_dual_lshrrev_b32 v136, 4, v136 :: v_dual_bitop2_b32 v148, 3, v119 bitop3:0x40
	v_mul_lo_u32 v112, 0x1010101, v112
	s_delay_alu instid0(VALU_DEP_4)
	v_mul_i32_i24_e32 v152, v152, v155
	v_and_b32_e32 v155, 3, v131
	v_and_b32_e32 v141, 3, v141
	v_mul_i32_i24_e32 v130, v130, v158
	v_cvt_f32_f16_e32 v74, v74
	v_add3_u32 v120, v120, v137, v152
	v_dual_lshrrev_b32 v137, 8, v119 :: v_dual_bitop2_b32 v152, 3, v129 bitop3:0x40
	v_mul_i32_i24_e32 v148, v148, v159
	v_mul_i32_i24_e32 v155, v155, v159
	v_lshrrev_b32_e32 v159, 16, v125
	v_mul_i32_i24_e32 v126, v126, v161
	v_mul_i32_i24_e32 v152, v152, v161
	v_dual_lshrrev_b32 v161, 16, v128 :: v_dual_lshrrev_b32 v128, 24, v128
	s_delay_alu instid0(VALU_DEP_4) | instskip(SKIP_1) | instid1(VALU_DEP_3)
	v_dual_lshrrev_b32 v125, 24, v125 :: v_dual_bitop2_b32 v159, 3, v159 bitop3:0x40
	v_mul_i32_i24_e32 v147, v147, v153
	v_and_b32_e32 v161, 3, v161
	s_delay_alu instid0(VALU_DEP_4)
	v_and_b32_e32 v128, 3, v128
	v_and_b32_e32 v137, 3, v137
	;; [unrolled: 1-line block ×4, first 2 shown]
	v_mul_i32_i24_e32 v141, v141, v158
	v_mul_i32_i24_e32 v128, v128, v149
	v_lshrrev_b32_e32 v149, 8, v129
	v_mul_i32_i24_e32 v111, v111, v150
	v_mul_i32_i24_e32 v125, v125, v150
	v_lshrrev_b32_e32 v150, 8, v131
	v_mul_i32_i24_e32 v172, v172, v153
	v_and_b32_e32 v149, 3, v149
	v_mul_i32_i24_e32 v137, v137, v163
	v_mul_i32_i24_e32 v168, v168, v156
	v_and_b32_e32 v150, 3, v150
	v_mul_i32_i24_e32 v109, v109, v156
	v_mul_i32_i24_e32 v149, v149, v162
	v_lshrrev_b32_e32 v162, 16, v131
	v_mul_i32_i24_e32 v153, v161, v153
	v_dual_lshrrev_b32 v161, 16, v119 :: v_dual_lshrrev_b32 v119, 24, v119
	v_mul_i32_i24_e32 v117, v117, v151
	v_mul_i32_i24_e32 v151, v159, v151
	v_dual_lshrrev_b32 v159, 16, v123 :: v_dual_lshrrev_b32 v123, 24, v123
	v_mul_i32_i24_e32 v150, v150, v163
	v_dual_lshrrev_b32 v163, 16, v129 :: v_dual_lshrrev_b32 v129, 24, v129
	v_and_b32_e32 v161, 3, v161
	v_dual_lshrrev_b32 v131, 24, v131 :: v_dual_bitop2_b32 v162, 3, v162 bitop3:0x40
	v_and_b32_e32 v123, 3, v123
	s_delay_alu instid0(VALU_DEP_4) | instskip(NEXT) | instid1(VALU_DEP_4)
	v_and_b32_e32 v129, 3, v129
	v_mul_i32_i24_e32 v161, v161, v158
	s_delay_alu instid0(VALU_DEP_4)
	v_mul_i32_i24_e32 v158, v162, v158
	v_lshrrev_b16 v162, 8, v134
	v_and_b32_e32 v159, 3, v159
	v_and_b32_e32 v119, 3, v119
	;; [unrolled: 1-line block ×4, first 2 shown]
	v_mul_lo_u32 v136, 0x1010101, v136
	v_and_b32_e32 v113, 3, v113
	v_mul_i32_i24_e32 v123, v123, v156
	v_mul_i32_i24_e32 v129, v129, v156
	v_bfe_i32 v156, v162, 0, 8
	v_lshrrev_b32_e32 v162, 24, v133
	v_mul_i32_i24_e32 v140, v140, v157
	v_mul_i32_i24_e32 v113, v113, v157
	v_mul_i32_i24_e32 v159, v159, v160
	v_mul_i32_i24_e32 v119, v119, v157
	v_mul_i32_i24_e32 v131, v131, v157
	v_bfe_i32 v157, v134, 16, 8
	v_mul_i32_i24_e32 v162, v6, v162
	v_and_b32_e32 v175, 0xffff, v7
	v_lshrrev_b32_e32 v7, 24, v145
	v_mul_i32_i24_e32 v146, v146, v160
	v_mul_i32_i24_e32 v160, v163, v160
	v_bfe_i32 v163, v134, 0, 8
	v_lshrrev_b32_e32 v134, 24, v134
	v_mul_i32_i24_e32 v156, v169, v156
	v_bfe_i32 v169, v133, 8, 8
	v_mul_i32_i24_e32 v7, v6, v7
	v_add3_u32 v106, v106, v117, v118
	v_mad_i32_i24 v134, v170, v134, v162
	v_bfe_i32 v170, v133, 16, 8
	v_bfe_i32 v133, v133, 0, 8
	;; [unrolled: 1-line block ×3, first 2 shown]
	v_add3_u32 v106, v106, v148, v137
	v_add3_u32 v103, v138, v103, v139
	v_mul_i32_i24_e32 v170, v166, v170
	v_mul_i32_i24_e32 v133, v167, v133
	;; [unrolled: 1-line block ×3, first 2 shown]
	v_add3_u32 v104, v107, v104, v142
	v_add3_u32 v107, v116, v172, v122
	v_mad_i32_i24 v157, v164, v157, v170
	v_bfe_i32 v164, v112, 16, 8
	v_bfe_i32 v170, v136, 16, 8
	v_mad_i32_i24 v133, v165, v163, v133
	v_bfe_i32 v163, v112, 0, 8
	v_bfe_i32 v165, v136, 0, 8
	v_mul_i32_i24_e32 v164, v166, v164
	v_mul_i32_i24_e32 v166, v166, v170
	v_bfe_i32 v170, v112, 8, 8
	v_mul_i32_i24_e32 v163, v167, v163
	v_mul_i32_i24_e32 v165, v167, v165
	v_bfe_i32 v167, v136, 8, 8
	v_lshrrev_b32_e32 v112, 24, v112
	v_mul_i32_i24_e32 v170, v177, v170
	v_lshrrev_b32_e32 v136, 24, v136
	v_add3_u32 v7, v102, v162, v7
	v_mul_i32_i24_e32 v167, v177, v167
	v_mul_i32_i24_e32 v112, v6, v112
	v_add3_u32 v72, v72, v163, v170
	v_add3_u32 v102, v105, v110, v111
	;; [unrolled: 1-line block ×3, first 2 shown]
	v_mul_i32_i24_e32 v6, v6, v136
	v_add3_u32 v73, v73, v165, v167
	v_add3_u32 v72, v72, v164, v112
	;; [unrolled: 1-line block ×6, first 2 shown]
	v_cvt_f32_i32_e32 v6, v7
	v_cvt_f32_i32_e32 v7, v72
	v_add3_u32 v72, v110, v158, v131
	v_add3_u32 v108, v120, v153, v128
	v_cvt_f32_i32_e32 v110, v73
	v_add3_u32 v73, v102, v141, v113
	v_add3_u32 v102, v106, v161, v119
	v_mul_lo_u32 v72, v72, v77
	v_add3_u32 v103, v103, v130, v140
	v_add3_u32 v108, v108, v152, v149
	v_and_b32_e32 v174, 15, v176
	v_mul_lo_u32 v76, v102, v76
	v_and_b32_e32 v171, 0xffff, v171
	v_add3_u32 v107, v107, v126, v154
	v_mul_lo_u32 v77, v103, v132
	v_add3_u32 v103, v108, v160, v129
	v_mul_i32_i24_e32 v169, v177, v169
	v_mul_lo_u32 v75, v73, v75
	v_and_b32_e32 v114, 15, v114
	v_and_b32_e32 v174, 0xffff, v174
	v_add3_u32 v105, v105, v127, v143
	v_add3_u32 v102, v107, v159, v123
	v_mad_u32 v72, v103, v171, v72
	v_add3_u32 v111, v156, v169, v134
	v_and_b32_e32 v114, 0xffff, v114
	v_add3_u32 v104, v104, v144, v168
	v_add3_u32 v103, v105, v146, v109
	v_mad_u32 v76, v102, v174, v76
	v_add3_u32 v111, v133, v157, v111
	v_pk_mul_f32 v[4:5], v[4:5], v[6:7]
	v_mad_u32 v77, v104, v175, v77
	v_mad_u32 v75, v103, v114, v75
	v_mul_f32_e32 v6, v74, v110
	v_cvt_f32_i32_e32 v73, v111
	v_cvt_f32_i32_e32 v72, v72
	;; [unrolled: 1-line block ×3, first 2 shown]
	s_delay_alu instid0(VALU_DEP_2) | instskip(SKIP_2) | instid1(VALU_DEP_3)
	v_pk_mul_f32 v[2:3], v[2:3], v[72:73]
	v_cvt_f32_i32_e32 v72, v77
	v_cvt_f32_i32_e32 v73, v75
	v_dual_mul_f32 v74, v173, v7 :: v_dual_mov_b32 v75, v2
	s_delay_alu instid0(VALU_DEP_4) | instskip(NEXT) | instid1(VALU_DEP_3)
	v_mov_b32_e32 v7, v3
	v_pk_fma_f32 v[0:1], v[0:1], v[72:73], v[4:5] neg_lo:[0,0,1] neg_hi:[0,0,1]
	s_delay_alu instid0(VALU_DEP_2) | instskip(NEXT) | instid1(VALU_DEP_2)
	v_pk_add_f32 v[2:3], v[74:75], v[6:7] neg_lo:[0,1] neg_hi:[0,1]
	v_pk_fma_f32 v[16:17], v[70:71], v[0:1], v[16:17] op_sel_hi:[0,1,1]
	s_delay_alu instid0(VALU_DEP_2)
	v_pk_fma_f32 v[14:15], v[70:71], v[2:3], v[14:15] op_sel_hi:[0,1,1]
	s_cbranch_scc1 .LBB208_11
; %bb.12:                               ;   in Loop: Header=BB208_5 Depth=1
	s_or_b32 s1, s18, 0x80
	s_delay_alu instid0(SALU_CYCLE_1)
	s_cmp_ge_i32 s1, s5
	s_barrier_signal -1
	s_barrier_wait -1
	s_cbranch_scc1 .LBB208_4
; %bb.13:                               ;   in Loop: Header=BB208_5 Depth=1
	v_add_nc_u32_e32 v0, s19, v86
	s_delay_alu instid0(VALU_DEP_1) | instskip(SKIP_1) | instid1(SALU_CYCLE_1)
	v_cmp_gt_i32_e64 s1, s6, v0
	s_and_b32 s20, s0, s1
	s_and_saveexec_b32 s1, s20
	s_cbranch_execz .LBB208_15
; %bb.14:                               ;   in Loop: Header=BB208_5 Depth=1
	v_add_nc_u32_e32 v0, v18, v0
	s_delay_alu instid0(VALU_DEP_1)
	v_mad_nc_i64_i32 v[0:1], v0, 36, v[20:21]
	global_load_b32 v0, v[0:1], off offset:4
	s_wait_loadcnt 0x0
	ds_store_b32 v67, v0
.LBB208_15:                             ;   in Loop: Header=BB208_5 Depth=1
	s_or_b32 exec_lo, exec_lo, s1
	s_and_saveexec_b32 s20, vcc_lo
	s_cbranch_execz .LBB208_18
; %bb.16:                               ;   in Loop: Header=BB208_5 Depth=1
	v_or_b32_e32 v0, 4, v68
	s_delay_alu instid0(VALU_DEP_1) | instskip(SKIP_1) | instid1(SALU_CYCLE_1)
	v_cmp_gt_i32_e64 s1, s6, v0
	s_and_b32 s1, s0, s1
	s_and_b32 exec_lo, exec_lo, s1
	s_cbranch_execz .LBB208_18
; %bb.17:                               ;   in Loop: Header=BB208_5 Depth=1
	v_ashrrev_i32_e32 v69, 31, v68
	s_delay_alu instid0(VALU_DEP_1) | instskip(NEXT) | instid1(VALU_DEP_1)
	v_add_nc_u64_e32 v[0:1], v[18:19], v[68:69]
	v_mad_nc_u64_u32 v[2:3], v0, 36, s[2:3]
	s_delay_alu instid0(VALU_DEP_1)
	v_mad_i32_i24 v3, v1, 36, v3
	global_load_b32 v0, v[2:3], off offset:144
	s_wait_loadcnt 0x0
	v_cvt_f32_f16_e32 v0, v0
	ds_store_b32 v85, v0
.LBB208_18:                             ;   in Loop: Header=BB208_5 Depth=1
	s_or_b32 exec_lo, exec_lo, s20
	v_dual_mov_b32 v69, v61 :: v_dual_mov_b32 v71, v78
	s_mov_b32 s1, 8
	s_wait_dscnt 0x0
	s_barrier_signal -1
	s_barrier_wait -1
.LBB208_19:                             ;   Parent Loop BB208_5 Depth=1
                                        ; =>  This Inner Loop Header: Depth=2
	s_and_b32 s22, s1, 0x3ffffff8
	ds_load_b32 v70, v71
	ds_load_b128 v[4:7], v69
	ds_load_b128 v[0:3], v69 offset:16
	v_lshl_add_u32 v102, s22, 2, v89
	s_lshr_b32 s23, s1, 2
	s_and_b32 s21, s1, -16
	s_and_b32 s22, s23, 0x3ffffffc
	s_add_co_i32 s21, s1, s21
	ds_load_2addr_b32 v[72:73], v102 offset0:4 offset1:7
	s_addk_co_i32 s22, 0x5280
	v_dual_add_nc_u32 v103, s21, v47 :: v_dual_add_nc_u32 v104, s21, v49
	v_dual_add_nc_u32 v105, s21, v51 :: v_dual_add_nc_u32 v108, s21, v53
	v_add3_u32 v109, s22, v101, v90
	v_add3_u32 v110, s22, v91, v92
	;; [unrolled: 1-line block ×4, first 2 shown]
	v_add_nc_u32_e32 v113, 0x1080, v102
	v_add_nc_u32_e32 v114, 0x1088, v102
	;; [unrolled: 1-line block ×12, first 2 shown]
	ds_load_2addr_b32 v[76:77], v102 offset1:1
	ds_load_2addr_b32 v[74:75], v102 offset0:2 offset1:3
	ds_load_2addr_b32 v[106:107], v102 offset0:5 offset1:6
	ds_load_u16 v132, v103 offset:16896
	ds_load_u16 v133, v108 offset:19968
	ds_load_u16 v134, v104 offset:17920
	ds_load_u16 v105, v105 offset:18944
	ds_load_b32 v135, v109
	ds_load_b32 v136, v110
	;; [unrolled: 1-line block ×4, first 2 shown]
	ds_load_2addr_b32 v[108:109], v115 offset0:36 offset1:39
	ds_load_2addr_b32 v[110:111], v113 offset1:1
	ds_load_2addr_b32 v[112:113], v114 offset1:1
	;; [unrolled: 1-line block ×11, first 2 shown]
	s_wait_dscnt 0x18
	v_lshrrev_b16 v139, 8, v0
	v_dual_ashrrev_i32 v140, 24, v4 :: v_dual_ashrrev_i32 v147, 24, v5
	v_dual_ashrrev_i32 v141, 24, v0 :: v_dual_ashrrev_i32 v148, 24, v1
	v_bfe_i32 v142, v5, 8, 8
	v_bfe_i32 v143, v0, 0, 8
	;; [unrolled: 1-line block ×5, first 2 shown]
	v_lshrrev_b16 v0, 8, v1
	v_bfe_i32 v149, v4, 8, 8
	v_bfe_i32 v150, v1, 0, 8
	;; [unrolled: 1-line block ×5, first 2 shown]
	v_lshrrev_b16 v1, 8, v6
	v_dual_ashrrev_i32 v154, 24, v2 :: v_dual_ashrrev_i32 v102, 24, v3
	v_bfe_i32 v158, v2, 16, 8
	v_bfe_i32 v159, v2, 0, 8
	;; [unrolled: 1-line block ×3, first 2 shown]
	v_lshrrev_b16 v2, 8, v7
	s_add_co_i32 s20, s1, -8
	v_dual_ashrrev_i32 v155, 24, v6 :: v_dual_ashrrev_i32 v103, 24, v7
	v_bfe_i32 v156, v6, 16, 8
	v_bfe_i32 v157, v6, 0, 8
	;; [unrolled: 1-line block ×10, first 2 shown]
	v_dual_add_nc_u32 v0, v148, v141 :: v_dual_add_nc_u32 v1, v147, v140
	v_dual_add_nc_u32 v2, v153, v146 :: v_dual_add_nc_u32 v3, v152, v145
	;; [unrolled: 1-line block ×3, first 2 shown]
	s_wait_dscnt 0x16
	v_dual_add_nc_u32 v6, v149, v142 :: v_dual_ashrrev_i32 v76, s20, v76
	s_wait_dscnt 0x15
	v_dual_ashrrev_i32 v77, s20, v77 :: v_dual_ashrrev_i32 v75, s20, v75
	v_dual_ashrrev_i32 v72, s20, v72 :: v_dual_ashrrev_i32 v73, s20, v73
	v_bfe_i32 v139, v139, 0, 8
	s_wait_dscnt 0x11
	v_lshrrev_b16 v171, 8, v134
	v_bfe_u32 v172, v134, 4, 4
	v_and_b32_e32 v134, 15, v134
	s_wait_dscnt 0x10
	v_lshrrev_b16 v173, 8, v105
	v_bfe_u32 v174, v105, 4, 4
	v_and_b32_e32 v105, 15, v105
	v_add3_u32 v176, v6, v165, v166
	v_add3_u32 v177, v1, v155, v103
	;; [unrolled: 1-line block ×6, first 2 shown]
	s_wait_dscnt 0xd
	v_cvt_f32_f16_e64 v6, v137
	v_lshrrev_b32_e32 v3, 16, v137
	v_cvt_f32_f16_e64 v1, v136
	v_cvt_f32_f16_e64 v0, v135
	v_dual_lshrrev_b32 v4, 16, v136 :: v_dual_lshrrev_b32 v135, 16, v135
	s_wait_dscnt 0xc
	v_lshrrev_b32_e32 v136, 16, v138
	v_cvt_f32_f16_e64 v2, v138
	v_and_b32_e32 v137, 3, v77
	v_bfe_u32 v138, v77, 8, 2
	v_bfe_u32 v183, v77, 16, 2
	v_dual_lshrrev_b32 v77, 24, v77 :: v_dual_bitop2_b32 v187, 3, v72 bitop3:0x40
	v_bfe_u32 v188, v72, 8, 2
	v_bfe_u32 v189, v72, 16, 2
	v_dual_lshrrev_b32 v72, 24, v72 :: v_dual_ashrrev_i32 v74, s20, v74
	v_ashrrev_i32_e32 v107, s20, v107
	v_dual_lshrrev_b32 v186, 16, v75 :: v_dual_bitop2_b32 v184, 3, v75 bitop3:0x40
	v_bfe_u32 v185, v75, 8, 2
	s_wait_dscnt 0x9
	v_dual_ashrrev_i32 v113, s20, v113 :: v_dual_ashrrev_i32 v108, s20, v108
	s_wait_dscnt 0x5
	v_dual_ashrrev_i32 v117, s20, v117 :: v_dual_ashrrev_i32 v120, s20, v120
	;; [unrolled: 2-line block ×3, first 2 shown]
	v_dual_lshrrev_b32 v75, 24, v75 :: v_dual_ashrrev_i32 v122, s20, v122
	v_dual_ashrrev_i32 v118, s20, v118 :: v_dual_ashrrev_i32 v123, s20, v123
	v_mul_i32_i24_e32 v137, v137, v152
	v_mul_i32_i24_e32 v188, v188, v139
	v_and_b32_e32 v77, 3, v77
	v_dual_ashrrev_i32 v106, s20, v106 :: v_dual_bitop2_b32 v72, 3, v72 bitop3:0x40
	v_dual_ashrrev_i32 v110, s20, v110 :: v_dual_ashrrev_i32 v111, s20, v111
	v_lshrrev_b16 v167, 8, v132
	v_dual_ashrrev_i32 v109, s20, v109 :: v_dual_ashrrev_i32 v116, s20, v116
	v_dual_lshrrev_b32 v198, 16, v74 :: v_dual_bitop2_b32 v196, 3, v74 bitop3:0x40
	v_dual_ashrrev_i32 v114, s20, v114 :: v_dual_bitop2_b32 v202, 3, v107 bitop3:0x40
	v_and_b32_e32 v214, 3, v108
	v_and_b32_e32 v226, 3, v120
	;; [unrolled: 1-line block ×3, first 2 shown]
	v_mad_i32_i24 v137, v138, v142, v137
	v_mul_i32_i24_e32 v183, v183, v153
	v_mul_i32_i24_e32 v77, v77, v147
	v_mad_i32_i24 v187, v187, v143, v188
	v_mul_i32_i24_e32 v189, v189, v144
	v_mul_i32_i24_e32 v72, v72, v141
	v_bfe_u32 v168, v132, 4, 4
	v_and_b32_e32 v132, 15, v132
	v_bfe_u32 v170, v133, 4, 4
	v_add3_u32 v179, v5, v159, v162
	v_dual_ashrrev_i32 v121, s20, v121 :: v_dual_ashrrev_i32 v124, s20, v124
	v_dual_ashrrev_i32 v127, s20, v127 :: v_dual_ashrrev_i32 v112, s20, v112
	v_dual_lshrrev_b32 v197, 8, v74 :: v_dual_bitop2_b32 v193, 3, v76 bitop3:0x40
	v_dual_lshrrev_b32 v74, 24, v74 :: v_dual_ashrrev_i32 v115, s20, v115
	v_dual_lshrrev_b32 v200, 8, v106 :: v_dual_bitop2_b32 v199, 3, v106 bitop3:0x40
	v_and_b32_e32 v207, 0xffff, v171
	v_and_b32_e32 v171, 15, v171
	v_cvt_f32_f16_e32 v5, v4
	v_cvt_f32_f16_e64 v4, v135
	v_dual_lshrrev_b32 v219, 16, v109 :: v_dual_bitop2_b32 v135, 3, v111 bitop3:0x40
	v_bfe_u32 v215, v108, 8, 2
	v_bfe_u32 v216, v108, 16, 2
	v_dual_lshrrev_b32 v108, 24, v108 :: v_dual_bitop2_b32 v223, 3, v117 bitop3:0x40
	v_dual_ashrrev_i32 v119, s20, v119 :: v_dual_bitop2_b32 v235, 3, v125 bitop3:0x40
	s_wait_dscnt 0x1
	v_ashrrev_i32_e32 v128, s20, v128
	v_and_b32_e32 v205, 0xffff, v167
	v_dual_lshrrev_b32 v213, 16, v113 :: v_dual_bitop2_b32 v167, 15, v167 bitop3:0x40
	v_dual_lshrrev_b32 v138, 8, v112 :: v_dual_bitop2_b32 v211, 3, v113 bitop3:0x40
	v_bfe_u32 v212, v113, 8, 2
	v_and_b32_e32 v220, 3, v116
	v_bfe_u32 v227, v120, 8, 2
	v_bfe_u32 v239, v126, 8, 2
	v_add3_u32 v77, v137, v183, v77
	v_and_b32_e32 v183, 3, v198
	v_dual_lshrrev_b32 v188, 8, v114 :: v_dual_bitop2_b32 v198, 3, v114 bitop3:0x40
	v_add3_u32 v72, v187, v189, v72
	v_dual_lshrrev_b32 v187, 16, v114 :: v_dual_lshrrev_b32 v114, 24, v114
	v_lshrrev_b32_e32 v113, 24, v113
	v_mul_i32_i24_e32 v214, v214, v143
	v_mul_i32_i24_e32 v226, v226, v143
	;; [unrolled: 1-line block ×3, first 2 shown]
	v_lshrrev_b16 v169, 8, v133
	v_dual_lshrrev_b32 v192, 16, v73 :: v_dual_bitop2_b32 v190, 3, v73 bitop3:0x40
	v_bfe_u32 v191, v73, 8, 2
	v_bfe_u32 v194, v76, 8, 2
	v_bfe_u32 v195, v76, 24, 2
	v_bfe_u32 v76, v76, 16, 2
	v_dual_lshrrev_b32 v201, 16, v106 :: v_dual_lshrrev_b32 v106, 24, v106
	v_dual_lshrrev_b32 v203, 8, v107 :: v_dual_lshrrev_b32 v204, 16, v107
	;; [unrolled: 1-line block ×3, first 2 shown]
	s_wait_dscnt 0x0
	v_dual_ashrrev_i32 v130, s20, v130 :: v_dual_ashrrev_i32 v129, s20, v129
	v_ashrrev_i32_e32 v131, s20, v131
	v_mul_lo_u32 v170, 0x1010101, v170
	v_and_b32_e32 v208, 0xffff, v173
	v_and_b32_e32 v173, 15, v173
	v_cvt_f32_f16_e64 v209, v3
	v_cvt_f32_f16_e64 v3, v136
	v_bfe_u32 v136, v111, 8, 2
	v_bfe_u32 v210, v111, 16, 2
	v_dual_lshrrev_b32 v111, 24, v111 :: v_dual_bitop2_b32 v217, 3, v109 bitop3:0x40
	v_lshrrev_b32_e32 v137, 16, v112
	v_bfe_u32 v221, v116, 8, 2
	v_bfe_u32 v222, v116, 16, 2
	;; [unrolled: 1-line block ×8, first 2 shown]
	v_and_b32_e32 v232, 3, v124
	v_bfe_u32 v233, v124, 8, 2
	v_bfe_u32 v234, v124, 16, 2
	;; [unrolled: 1-line block ×8, first 2 shown]
	v_and_b32_e32 v244, 3, v110
	v_bfe_u32 v245, v110, 8, 2
	v_bfe_u32 v246, v110, 24, 2
	;; [unrolled: 1-line block ×3, first 2 shown]
	v_dual_lshrrev_b32 v238, 8, v118 :: v_dual_bitop2_b32 v247, 3, v112 bitop3:0x40
	v_lshrrev_b32_e32 v112, 24, v112
	v_and_b32_e32 v200, 3, v200
	v_mul_i32_i24_e32 v135, v135, v152
	v_mul_i32_i24_e32 v223, v223, v152
	;; [unrolled: 1-line block ×3, first 2 shown]
	v_and_b32_e32 v108, 3, v108
	v_dual_add_nc_u32 v175, v164, v139 :: v_dual_bitop2_b32 v133, 15, v133 bitop3:0x40
	v_mul_lo_u32 v168, 0x1010101, v168
	v_mul_lo_u32 v172, 0x1010101, v172
	v_mad_i32_i24 v214, v215, v139, v214
	v_mad_i32_i24 v226, v227, v139, v226
	;; [unrolled: 1-line block ×3, first 2 shown]
	v_dual_lshrrev_b32 v205, 4, v205 :: v_dual_bitop2_b32 v239, 3, v119 bitop3:0x40
	v_and_b32_e32 v206, 0xffff, v169
	v_and_b32_e32 v169, 15, v169
	v_mul_lo_u32 v174, 0x1010101, v174
	v_dual_lshrrev_b32 v235, 8, v115 :: v_dual_bitop2_b32 v229, 3, v121 bitop3:0x40
	v_bfe_u32 v230, v121, 8, 2
	v_and_b32_e32 v241, 3, v127
	v_bfe_u32 v242, v127, 8, 2
	v_dual_lshrrev_b32 v215, 16, v122 :: v_dual_bitop2_b32 v197, 3, v197 bitop3:0x40
	v_mul_i32_i24_e32 v193, v145, v193
	v_mul_i32_i24_e32 v76, v146, v76
	;; [unrolled: 1-line block ×4, first 2 shown]
	v_and_b32_e32 v189, 3, v201
	v_and_b32_e32 v106, 3, v106
	v_and_b32_e32 v201, 3, v115
	v_mad_i32_i24 v135, v136, v142, v135
	v_lshrrev_b32_e32 v136, 16, v115
	v_mul_i32_i24_e32 v199, v199, v150
	v_and_b32_e32 v73, 3, v73
	v_mad_i32_i24 v223, v224, v142, v223
	v_and_b32_e32 v224, 3, v118
	v_mad_i32_i24 v142, v236, v142, v152
	v_dual_lshrrev_b32 v236, 8, v122 :: v_dual_bitop2_b32 v152, 3, v122 bitop3:0x40
	v_lshrrev_b32_e32 v122, 24, v122
	v_mul_i32_i24_e32 v244, v145, v244
	v_mul_i32_i24_e32 v220, v145, v220
	;; [unrolled: 1-line block ×3, first 2 shown]
	v_lshrrev_b32_e32 v232, 8, v123
	v_mul_i32_i24_e32 v210, v210, v153
	v_mul_i32_i24_e32 v225, v225, v153
	;; [unrolled: 1-line block ×3, first 2 shown]
	v_and_b32_e32 v237, 3, v130
	v_mul_i32_i24_e32 v216, v216, v144
	v_mul_i32_i24_e32 v110, v146, v110
	;; [unrolled: 1-line block ×4, first 2 shown]
	v_dual_lshrrev_b32 v206, 4, v206 :: v_dual_bitop2_b32 v234, 3, v131 bitop3:0x40
	v_mul_i32_i24_e32 v246, v140, v246
	v_mul_i32_i24_e32 v116, v116, v140
	;; [unrolled: 1-line block ×3, first 2 shown]
	v_dual_lshrrev_b32 v140, 8, v128 :: v_dual_bitop2_b32 v111, 3, v111 bitop3:0x40
	v_lshrrev_b32_e32 v208, 4, v208
	v_mul_i32_i24_e32 v117, v117, v147
	v_mul_i32_i24_e32 v125, v125, v147
	;; [unrolled: 1-line block ×5, first 2 shown]
	v_dual_lshrrev_b32 v141, 8, v129 :: v_dual_bitop2_b32 v188, 3, v188 bitop3:0x40
	v_mul_i32_i24_e32 v200, v200, v164
	v_mul_lo_u32 v205, 0x1010101, v205
	v_bfe_u32 v218, v109, 8, 2
	v_bfe_u32 v231, v121, 16, 2
	;; [unrolled: 1-line block ×3, first 2 shown]
	v_mul_i32_i24_e32 v184, v184, v161
	v_and_b32_e32 v74, 3, v74
	v_mul_i32_i24_e32 v194, v149, v194
	v_dual_lshrrev_b32 v109, 24, v109 :: v_dual_bitop2_b32 v203, 3, v203 bitop3:0x40
	v_dual_lshrrev_b32 v227, 16, v118 :: v_dual_lshrrev_b32 v118, 24, v118
	v_and_b32_e32 v143, 3, v123
	v_mul_i32_i24_e32 v229, v229, v150
	v_mul_i32_i24_e32 v247, v247, v157
	;; [unrolled: 1-line block ×4, first 2 shown]
	v_lshrrev_b32_e32 v237, 16, v119
	v_mul_i32_i24_e32 v198, v198, v150
	v_mul_i32_i24_e32 v150, v241, v150
	v_dual_lshrrev_b32 v241, 16, v123 :: v_dual_lshrrev_b32 v123, 24, v123
	v_mul_i32_i24_e32 v211, v211, v161
	v_mul_i32_i24_e32 v239, v239, v161
	;; [unrolled: 1-line block ×3, first 2 shown]
	v_lshrrev_b32_e32 v234, 8, v130
	v_mul_i32_i24_e32 v230, v230, v164
	v_mul_i32_i24_e32 v242, v242, v164
	;; [unrolled: 1-line block ×3, first 2 shown]
	v_lshrrev_b32_e32 v188, 8, v131
	v_and_b32_e32 v187, 3, v187
	v_mul_i32_i24_e32 v189, v189, v151
	v_and_b32_e32 v114, 3, v114
	v_mul_i32_i24_e32 v106, v106, v148
	v_mul_i32_i24_e32 v248, v73, v102
	v_and_b32_e32 v73, 3, v236
	v_and_b32_e32 v232, 3, v232
	;; [unrolled: 1-line block ×4, first 2 shown]
	v_mul_lo_u32 v208, 0x1010101, v208
	v_and_b32_e32 v235, 3, v235
	v_add3_u32 v77, v77, v196, v193
	v_add3_u32 v108, v214, v216, v108
	v_add3_u32 v72, v72, v199, v200
	v_add3_u32 v117, v223, v225, v117
	v_add3_u32 v125, v142, v153, v125
	v_bfe_u32 v121, v121, 24, 2
	v_bfe_u32 v127, v127, 24, 2
	v_mul_i32_i24_e32 v245, v149, v245
	v_mul_i32_i24_e32 v221, v221, v149
	;; [unrolled: 1-line block ×3, first 2 shown]
	v_and_b32_e32 v233, 3, v128
	v_add3_u32 v175, v175, v160, v163
	v_and_b32_e32 v75, 3, v75
	v_and_b32_e32 v192, 3, v192
	v_mul_i32_i24_e32 v191, v191, v163
	v_mul_i32_i24_e32 v111, v111, v147
	v_dual_lshrrev_b32 v147, 16, v130 :: v_dual_lshrrev_b32 v130, 24, v130
	v_mul_i32_i24_e32 v231, v231, v151
	v_mul_i32_i24_e32 v243, v243, v151
	v_dual_lshrrev_b32 v142, 24, v205 :: v_dual_bitop2_b32 v138, 3, v138 bitop3:0x40
	v_mul_i32_i24_e32 v197, v197, v165
	v_mul_i32_i24_e32 v203, v203, v160
	;; [unrolled: 1-line block ×3, first 2 shown]
	v_and_b32_e32 v236, 3, v238
	v_and_b32_e32 v234, 3, v234
	v_mul_i32_i24_e32 v235, v235, v160
	v_mul_i32_i24_e32 v73, v73, v160
	;; [unrolled: 1-line block ×3, first 2 shown]
	v_lshrrev_b32_e32 v160, 24, v168
	v_mul_i32_i24_e32 v151, v187, v151
	v_mul_i32_i24_e32 v232, v232, v163
	;; [unrolled: 1-line block ×3, first 2 shown]
	v_lshrrev_b32_e32 v163, 24, v172
	v_mul_i32_i24_e32 v114, v114, v148
	v_add3_u32 v76, v77, v194, v76
	v_add3_u32 v77, v108, v198, v164
	;; [unrolled: 1-line block ×5, first 2 shown]
	v_mul_i32_i24_e32 v228, v228, v144
	v_mul_i32_i24_e32 v144, v240, v144
	;; [unrolled: 1-line block ×4, first 2 shown]
	v_lshrrev_b32_e32 v187, 16, v129
	v_mul_i32_i24_e32 v152, v152, v159
	v_mul_i32_i24_e32 v121, v121, v148
	;; [unrolled: 1-line block ×3, first 2 shown]
	v_dual_lshrrev_b32 v148, 16, v131 :: v_dual_lshrrev_b32 v131, 24, v131
	v_mul_i32_i24_e32 v159, v233, v159
	v_dual_lshrrev_b32 v207, 4, v207 :: v_dual_bitop2_b32 v233, 3, v129 bitop3:0x40
	v_lshrrev_b32_e32 v240, 8, v119
	v_mul_i32_i24_e32 v183, v183, v156
	v_mul_i32_i24_e32 v74, v74, v155
	v_and_b32_e32 v227, 3, v227
	v_and_b32_e32 v147, 3, v147
	;; [unrolled: 1-line block ×3, first 2 shown]
	v_mul_lo_u32 v206, 0x1010101, v206
	v_and_b32_e32 v137, 3, v137
	v_mul_i32_i24_e32 v138, v138, v165
	v_mul_i32_i24_e32 v236, v236, v165
	;; [unrolled: 1-line block ×3, first 2 shown]
	v_add3_u32 v111, v135, v210, v111
	v_add3_u32 v76, v76, v195, v197
	;; [unrolled: 1-line block ×7, first 2 shown]
	v_mul_lo_u32 v207, 0x1010101, v207
	v_dual_lshrrev_b32 v119, 24, v119 :: v_dual_bitop2_b32 v204, 3, v204 bitop3:0x40
	v_and_b32_e32 v186, 3, v186
	v_mul_i32_i24_e32 v185, v185, v166
	v_and_b32_e32 v118, 3, v118
	v_and_b32_e32 v238, 3, v240
	;; [unrolled: 1-line block ×3, first 2 shown]
	v_bfe_i32 v234, v168, 16, 8
	v_mul_i32_i24_e32 v137, v137, v156
	v_mul_i32_i24_e32 v227, v227, v156
	;; [unrolled: 1-line block ×3, first 2 shown]
	v_bfe_i32 v156, v168, 8, 8
	v_bfe_i32 v168, v168, 0, 8
	v_mul_i32_i24_e32 v130, v130, v155
	v_add3_u32 v111, v111, v247, v244
	v_add3_u32 v74, v76, v183, v74
	;; [unrolled: 1-line block ×5, first 2 shown]
	v_mul_i32_i24_e32 v190, v190, v162
	v_and_b32_e32 v107, 3, v107
	v_mul_i32_i24_e32 v217, v217, v162
	v_lshrrev_b32_e32 v129, 24, v129
	v_mul_i32_i24_e32 v143, v143, v162
	v_mul_i32_i24_e32 v162, v233, v162
	v_dual_lshrrev_b32 v233, 16, v128 :: v_dual_lshrrev_b32 v128, 24, v128
	v_add3_u32 v108, v120, v229, v230
	v_add3_u32 v120, v126, v150, v242
	v_and_b32_e32 v112, 3, v112
	v_and_b32_e32 v213, 3, v213
	;; [unrolled: 1-line block ×3, first 2 shown]
	v_mul_i32_i24_e32 v212, v212, v166
	v_mul_i32_i24_e32 v186, v186, v104
	;; [unrolled: 1-line block ×3, first 2 shown]
	v_and_b32_e32 v237, 3, v237
	v_and_b32_e32 v119, 3, v119
	;; [unrolled: 1-line block ×4, first 2 shown]
	v_mul_i32_i24_e32 v118, v118, v155
	v_mul_i32_i24_e32 v238, v238, v166
	;; [unrolled: 1-line block ×4, first 2 shown]
	v_add3_u32 v110, v111, v245, v110
	v_add3_u32 v74, v74, v184, v185
	;; [unrolled: 1-line block ×3, first 2 shown]
	v_dual_lshrrev_b32 v115, 24, v115 :: v_dual_bitop2_b32 v136, 3, v136 bitop3:0x40
	v_add_nc_u32_e32 v71, 4, v71
	v_mul_i32_i24_e32 v204, v204, v158
	v_mul_i32_i24_e32 v107, v107, v154
	v_and_b32_e32 v215, 3, v215
	v_and_b32_e32 v233, 3, v233
	;; [unrolled: 1-line block ×3, first 2 shown]
	v_add3_u32 v72, v72, v202, v203
	v_add3_u32 v111, v120, v243, v127
	v_mul_i32_i24_e32 v213, v213, v104
	v_mul_i32_i24_e32 v237, v237, v104
	;; [unrolled: 1-line block ×6, first 2 shown]
	v_mad_i32_i24 v153, v176, v156, v168
	v_lshrrev_b32_e32 v156, 24, v206
	v_bfe_i32 v168, v206, 16, 8
	v_bfe_i32 v193, v206, 8, 8
	;; [unrolled: 1-line block ×3, first 2 shown]
	v_lshrrev_b32_e32 v206, 24, v207
	v_mul_i32_i24_e32 v112, v112, v155
	v_add3_u32 v110, v110, v246, v138
	v_add3_u32 v77, v77, v227, v118
	;; [unrolled: 1-line block ×4, first 2 shown]
	v_dual_add_nc_u32 v69, 32, v69 :: v_dual_bitop2_b32 v115, 3, v115 bitop3:0x40
	v_and_b32_e32 v122, 3, v122
	v_mul_i32_i24_e32 v136, v136, v158
	v_mul_i32_i24_e32 v215, v215, v158
	;; [unrolled: 1-line block ×4, first 2 shown]
	v_add3_u32 v108, v108, v231, v121
	v_add3_u32 v72, v72, v204, v107
	;; [unrolled: 1-line block ×3, first 2 shown]
	v_and_b32_e32 v219, 3, v219
	v_and_b32_e32 v109, 3, v109
	;; [unrolled: 1-line block ×7, first 2 shown]
	v_add3_u32 v110, v110, v137, v112
	v_add3_u32 v77, v77, v239, v238
	;; [unrolled: 1-line block ×3, first 2 shown]
	v_mul_i32_i24_e32 v115, v115, v154
	v_mul_i32_i24_e32 v122, v122, v154
	v_add3_u32 v73, v108, v152, v73
	v_add3_u32 v107, v107, v158, v128
	v_mul_i32_i24_e32 v192, v192, v7
	v_lshrrev_b16 v233, 8, v170
	v_bfe_i32 v188, v172, 16, 8
	v_bfe_i32 v148, v172, 8, 8
	;; [unrolled: 1-line block ×3, first 2 shown]
	v_mul_i32_i24_e32 v219, v219, v7
	v_mul_i32_i24_e32 v240, v240, v7
	;; [unrolled: 1-line block ×3, first 2 shown]
	v_lshrrev_b32_e32 v187, 24, v174
	v_bfe_i32 v131, v174, 16, 8
	v_mul_i32_i24_e32 v109, v109, v102
	v_mul_i32_i24_e32 v123, v123, v102
	;; [unrolled: 1-line block ×3, first 2 shown]
	v_bfe_i32 v129, v174, 8, 8
	v_bfe_i32 v174, v174, 0, 8
	v_mul_i32_i24_e32 v234, v182, v234
	v_mul_i32_i24_e32 v160, v177, v160
	v_bfe_i32 v135, v205, 0, 8
	v_bfe_i32 v139, v205, 8, 8
	v_and_b32_e32 v105, 0xffff, v105
	v_add3_u32 v110, v110, v211, v212
	v_add3_u32 v77, v77, v237, v119
	v_mul_lo_u32 v75, v75, v133
	v_add3_u32 v76, v76, v136, v115
	v_add3_u32 v112, v72, v190, v191
	;; [unrolled: 1-line block ×4, first 2 shown]
	v_bfe_i32 v155, v170, 0, 8
	v_bfe_i32 v154, v170, 16, 8
	v_lshrrev_b32_e32 v170, 24, v170
	v_bfe_i32 v233, v233, 0, 8
	v_mul_i32_i24_e32 v172, v181, v172
	v_mul_i32_i24_e32 v174, v181, v174
	v_bfe_i32 v144, v205, 16, 8
	v_mul_i32_i24_e32 v125, v178, v142
	v_mul_i32_i24_e32 v135, v179, v135
	;; [unrolled: 1-line block ×3, first 2 shown]
	v_add3_u32 v142, v153, v234, v160
	v_mul_i32_i24_e32 v153, v178, v156
	v_and_b32_e32 v132, 0xffff, v132
	v_and_b32_e32 v134, 0xffff, v134
	v_add3_u32 v104, v110, v213, v113
	v_mul_lo_u32 v77, v77, v105
	v_and_b32_e32 v169, 0xffff, v169
	v_add3_u32 v106, v112, v192, v248
	v_add3_u32 v112, v115, v143, v232
	;; [unrolled: 1-line block ×3, first 2 shown]
	v_mul_i32_i24_e32 v163, v177, v163
	v_mul_i32_i24_e32 v188, v182, v188
	;; [unrolled: 1-line block ×5, first 2 shown]
	v_bfe_i32 v200, v207, 0, 8
	v_bfe_i32 v205, v207, 8, 8
	v_mad_i32_i24 v148, v176, v148, v172
	v_lshrrev_b32_e32 v172, 24, v208
	v_bfe_i32 v210, v208, 16, 8
	v_bfe_i32 v214, v208, 8, 8
	;; [unrolled: 1-line block ×3, first 2 shown]
	v_mad_i32_i24 v129, v176, v129, v174
	v_mul_i32_i24_e32 v126, v180, v144
	v_mul_i32_i24_e32 v144, v179, v196
	v_mul_i32_i24_e32 v145, v175, v193
	v_mul_i32_i24_e32 v150, v180, v168
	v_add3_u32 v117, v142, v135, v139
	v_mad_i32_i24 v120, v177, v170, v153
	v_mul_lo_u32 v74, v74, v132
	v_mul_lo_u32 v103, v104, v134
	v_and_b32_e32 v173, 0xffff, v173
	v_add3_u32 v76, v76, v217, v218
	v_add3_u32 v102, v112, v240, v123
	v_mad_u32 v7, v7, v169, v75
	v_bfe_i32 v207, v207, 16, 8
	v_mul_i32_i24_e32 v160, v179, v200
	v_mul_i32_i24_e32 v164, v175, v205
	v_add3_u32 v148, v148, v188, v163
	v_mul_i32_i24_e32 v168, v178, v172
	v_mul_i32_i24_e32 v172, v179, v208
	;; [unrolled: 1-line block ×3, first 2 shown]
	v_add3_u32 v129, v129, v131, v187
	v_mad_i32_i24 v121, v182, v154, v150
	v_mad_i32_i24 v127, v181, v155, v144
	v_add3_u32 v108, v117, v126, v125
	v_add3_u32 v111, v199, v145, v120
	v_and_b32_e32 v167, 0xffff, v167
	v_and_b32_e32 v171, 0xffff, v171
	v_add3_u32 v76, v76, v219, v109
	v_mad_u32 v77, v102, v173, v77
	v_mul_i32_i24_e32 v156, v178, v206
	v_mul_i32_i24_e32 v157, v180, v207
	;; [unrolled: 1-line block ×3, first 2 shown]
	v_add3_u32 v131, v148, v160, v164
	v_add3_u32 v129, v129, v172, v174
	v_cvt_f32_i32_e32 v72, v108
	v_add3_u32 v108, v127, v121, v111
	v_mad_u32 v102, v106, v167, v74
	v_mad_u32 v76, v76, v171, v103
	v_add3_u32 v114, v131, v157, v156
	v_add3_u32 v116, v129, v163, v168
	v_cvt_f32_i32_e32 v75, v108
	v_cvt_f32_i32_e32 v74, v7
	;; [unrolled: 1-line block ×5, first 2 shown]
	s_add_co_i32 s20, s1, 2
	v_pk_mul_f32 v[2:3], v[2:3], v[74:75]
	v_cvt_f32_i32_e32 v74, v102
	v_pk_mul_f32 v[4:5], v[4:5], v[72:73]
	v_mul_f32_e32 v72, v209, v111
	v_cvt_f32_i32_e32 v75, v76
	v_mul_f32_e32 v6, v6, v7
	v_dual_mov_b32 v7, v2 :: v_dual_mov_b32 v73, v3
	s_cmp_lt_u32 s1, 14
	s_delay_alu instid0(VALU_DEP_3) | instskip(SKIP_1) | instid1(VALU_DEP_2)
	v_pk_fma_f32 v[0:1], v[0:1], v[74:75], v[4:5] neg_lo:[0,0,1] neg_hi:[0,0,1]
	s_mov_b32 s1, s20
	v_pk_add_f32 v[2:3], v[6:7], v[72:73] neg_lo:[0,1] neg_hi:[0,1]
	s_delay_alu instid0(VALU_DEP_2) | instskip(NEXT) | instid1(VALU_DEP_2)
	v_pk_fma_f32 v[16:17], v[70:71], v[0:1], v[16:17] op_sel_hi:[0,1,1]
	v_pk_fma_f32 v[14:15], v[70:71], v[2:3], v[14:15] op_sel_hi:[0,1,1]
	s_cbranch_scc1 .LBB208_19
; %bb.20:                               ;   in Loop: Header=BB208_5 Depth=1
	s_or_b32 s1, s18, 0x100
	s_delay_alu instid0(SALU_CYCLE_1)
	s_cmp_ge_i32 s1, s5
	s_barrier_signal -1
	s_barrier_wait -1
	s_cbranch_scc1 .LBB208_4
; %bb.21:                               ;   in Loop: Header=BB208_5 Depth=1
	v_add_nc_u32_e32 v0, s19, v87
	s_delay_alu instid0(VALU_DEP_1) | instskip(SKIP_1) | instid1(SALU_CYCLE_1)
	v_cmp_gt_i32_e64 s1, s6, v0
	s_and_b32 s20, s0, s1
	s_and_saveexec_b32 s1, s20
	s_cbranch_execz .LBB208_23
; %bb.22:                               ;   in Loop: Header=BB208_5 Depth=1
	v_add_nc_u32_e32 v0, v18, v0
	s_delay_alu instid0(VALU_DEP_1)
	v_mad_nc_i64_i32 v[0:1], v0, 36, v[20:21]
	global_load_b32 v0, v[0:1], off offset:4
	s_wait_loadcnt 0x0
	ds_store_b32 v67, v0
.LBB208_23:                             ;   in Loop: Header=BB208_5 Depth=1
	s_or_b32 exec_lo, exec_lo, s1
	s_and_saveexec_b32 s20, vcc_lo
	s_cbranch_execz .LBB208_26
; %bb.24:                               ;   in Loop: Header=BB208_5 Depth=1
	v_or_b32_e32 v0, 8, v68
	s_delay_alu instid0(VALU_DEP_1) | instskip(SKIP_1) | instid1(SALU_CYCLE_1)
	v_cmp_gt_i32_e64 s1, s6, v0
	s_and_b32 s1, s0, s1
	s_and_b32 exec_lo, exec_lo, s1
	s_cbranch_execz .LBB208_26
; %bb.25:                               ;   in Loop: Header=BB208_5 Depth=1
	v_ashrrev_i32_e32 v69, 31, v68
	s_delay_alu instid0(VALU_DEP_1) | instskip(NEXT) | instid1(VALU_DEP_1)
	v_add_nc_u64_e32 v[0:1], v[18:19], v[68:69]
	v_mad_nc_u64_u32 v[2:3], v0, 36, s[2:3]
	s_delay_alu instid0(VALU_DEP_1)
	v_mad_i32_i24 v3, v1, 36, v3
	global_load_b32 v0, v[2:3], off offset:288
	s_wait_loadcnt 0x0
	v_cvt_f32_f16_e32 v0, v0
	ds_store_b32 v85, v0
.LBB208_26:                             ;   in Loop: Header=BB208_5 Depth=1
	s_or_b32 exec_lo, exec_lo, s20
	v_dual_mov_b32 v1, v61 :: v_dual_mov_b32 v69, v78
	s_mov_b32 s1, 16
	s_wait_dscnt 0x0
	s_barrier_signal -1
	s_barrier_wait -1
.LBB208_27:                             ;   Parent Loop BB208_5 Depth=1
                                        ; =>  This Inner Loop Header: Depth=2
	s_and_b32 s22, s1, 0x3ffffff8
	s_add_co_i32 s20, s1, -16
	v_lshl_add_u32 v72, s22, 2, v89
	s_lshr_b32 s22, s1, 2
	s_and_b32 s21, s1, -16
	s_and_b32 s22, s22, 0x3ffffffc
	s_add_co_i32 s21, s1, s21
	ds_load_2addr_b32 v[2:3], v72 offset1:1
	s_addk_co_i32 s22, 0x5280
	ds_load_2addr_b32 v[6:7], v72 offset0:2 offset1:3
	ds_load_b32 v0, v69
	v_add_nc_u32_e32 v146, 0x2118, v72
	v_add_nc_u32_e32 v166, 0x3188, v72
	;; [unrolled: 1-line block ×4, first 2 shown]
	s_wait_dscnt 0x2
	v_dual_add_nc_u32 v69, 4, v69 :: v_dual_ashrrev_i32 v103, s20, v2
	v_ashrrev_i32_e32 v4, s20, v3
	ds_load_2addr_b32 v[2:3], v72 offset0:4 offset1:7
	v_dual_add_nc_u32 v109, s21, v47 :: v_dual_lshrrev_b32 v114, 24, v4
	v_and_b32_e32 v111, 3, v4
	v_bfe_u32 v112, v4, 8, 2
	v_bfe_u32 v113, v4, 16, 2
	s_wait_dscnt 0x0
	v_dual_ashrrev_i32 v2, s20, v2 :: v_dual_ashrrev_i32 v108, s20, v3
	v_add3_u32 v3, s22, v101, v90
	s_delay_alu instid0(VALU_DEP_2)
	v_dual_lshrrev_b32 v121, 24, v2 :: v_dual_bitop2_b32 v118, 3, v2 bitop3:0x40
	v_bfe_u32 v119, v2, 8, 2
	v_bfe_u32 v120, v2, 16, 2
	v_add_nc_u32_e32 v2, 0x1080, v72
	ds_load_b32 v110, v3
	v_dual_lshrrev_b32 v124, 16, v108 :: v_dual_bitop2_b32 v122, 3, v108 bitop3:0x40
	v_bfe_u32 v123, v108, 8, 2
	ds_load_2addr_b32 v[2:3], v2 offset1:1
	s_wait_dscnt 0x0
	v_dual_ashrrev_i32 v125, s20, v2 :: v_dual_bitop2_b32 v124, 3, v124 bitop3:0x40
	v_ashrrev_i32_e32 v4, s20, v3
	v_add_nc_u32_e32 v2, 0x1088, v72
	s_delay_alu instid0(VALU_DEP_2)
	v_dual_lshrrev_b32 v134, 24, v4 :: v_dual_bitop2_b32 v131, 3, v4 bitop3:0x40
	ds_load_2addr_b32 v[70:71], v2 offset1:1
	v_add_nc_u32_e32 v2, 0x1000, v72
	v_bfe_u32 v132, v4, 8, 2
	v_bfe_u32 v133, v4, 16, 2
	ds_load_2addr_b32 v[2:3], v2 offset0:36 offset1:39
	s_wait_dscnt 0x1
	v_ashrrev_i32_e32 v126, s20, v71
	v_add3_u32 v71, s22, v93, v94
	ds_load_b32 v71, v71
	s_wait_dscnt 0x1
	v_dual_ashrrev_i32 v7, s20, v7 :: v_dual_ashrrev_i32 v2, s20, v2
	v_ashrrev_i32_e32 v128, s20, v3
	v_add3_u32 v3, s22, v91, v92
	v_dual_lshrrev_b32 v137, 16, v126 :: v_dual_bitop2_b32 v135, 3, v126 bitop3:0x40
	s_delay_alu instid0(VALU_DEP_4)
	v_dual_lshrrev_b32 v141, 24, v2 :: v_dual_bitop2_b32 v138, 3, v2 bitop3:0x40
	v_bfe_u32 v139, v2, 8, 2
	v_bfe_u32 v140, v2, 16, 2
	v_add_nc_u32_e32 v2, 0x2100, v72
	ds_load_b32 v130, v3
	v_dual_lshrrev_b32 v117, 16, v7 :: v_dual_bitop2_b32 v115, 3, v7 bitop3:0x40
	v_bfe_u32 v116, v7, 8, 2
	ds_load_2addr_b32 v[2:3], v2 offset1:1
	v_lshrrev_b32_e32 v7, 24, v7
	v_bfe_u32 v136, v126, 8, 2
	v_dual_lshrrev_b32 v144, 16, v128 :: v_dual_bitop2_b32 v142, 3, v128 bitop3:0x40
	s_wait_dscnt 0x2
	v_cvt_f32_f16_e64 v164, v71
	v_add_nc_u32_e32 v127, 0x1094, v72
	v_bfe_u32 v143, v128, 8, 2
	s_wait_dscnt 0x0
	v_dual_ashrrev_i32 v4, s20, v2 :: v_dual_ashrrev_i32 v5, s20, v3
	v_add_nc_u32_e32 v2, 0x2110, v72
	s_delay_alu instid0(VALU_DEP_2) | instskip(NEXT) | instid1(VALU_DEP_3)
	v_dual_add_nc_u32 v147, s21, v51 :: v_dual_bitop2_b32 v148, 3, v4 bitop3:0x40
	v_and_b32_e32 v152, 3, v5
	ds_load_2addr_b32 v[2:3], v2 offset1:1
	v_bfe_u32 v149, v4, 8, 2
	v_bfe_u32 v150, v4, 16, 2
	;; [unrolled: 1-line block ×6, first 2 shown]
	s_wait_dscnt 0x0
	v_dual_ashrrev_i32 v2, s20, v2 :: v_dual_ashrrev_i32 v3, s20, v3
	s_delay_alu instid0(VALU_DEP_1)
	v_and_b32_e32 v156, 3, v2
	v_bfe_u32 v157, v2, 8, 2
	v_bfe_u32 v158, v2, 16, 2
	;; [unrolled: 1-line block ×3, first 2 shown]
	v_lshrrev_b32_e32 v2, 16, v71
	v_and_b32_e32 v160, 3, v3
	v_bfe_u32 v161, v3, 8, 2
	v_bfe_u32 v162, v3, 16, 2
	;; [unrolled: 1-line block ×3, first 2 shown]
	v_cvt_f32_f16_e64 v165, v2
	v_add_nc_u32_e32 v2, 0x3180, v72
	v_add3_u32 v71, s22, v95, v96
	v_add_nc_u32_e32 v145, 0x2108, v72
	ds_load_2addr_b32 v[2:3], v2 offset1:1
	ds_load_b32 v71, v71
	s_wait_dscnt 0x1
	v_ashrrev_i32_e32 v4, s20, v2
	v_add_nc_u32_e32 v2, 0x3190, v72
	v_dual_ashrrev_i32 v5, s20, v3 :: v_dual_add_nc_u32 v168, s21, v53
	s_delay_alu instid0(VALU_DEP_3)
	v_and_b32_e32 v169, 3, v4
	ds_load_2addr_b32 v[2:3], v2 offset1:1
	v_bfe_u32 v75, v4, 8, 2
	v_bfe_u32 v74, v4, 16, 2
	;; [unrolled: 1-line block ×3, first 2 shown]
	v_and_b32_e32 v170, 3, v5
	v_bfe_u32 v171, v5, 8, 2
	v_bfe_u32 v172, v5, 16, 2
	;; [unrolled: 1-line block ×3, first 2 shown]
	s_wait_dscnt 0x0
	v_dual_ashrrev_i32 v2, s20, v2 :: v_dual_ashrrev_i32 v3, s20, v3
	s_delay_alu instid0(VALU_DEP_1)
	v_and_b32_e32 v174, 3, v2
	v_bfe_u32 v175, v2, 8, 2
	v_bfe_u32 v176, v2, 16, 2
	;; [unrolled: 1-line block ×3, first 2 shown]
	v_and_b32_e32 v178, 3, v3
	v_bfe_u32 v179, v3, 8, 2
	v_bfe_u32 v77, v3, 16, 2
	;; [unrolled: 1-line block ×3, first 2 shown]
	ds_load_b128 v[2:5], v1
	ds_load_b128 v[104:107], v1 offset:16
	s_wait_dscnt 0x1
	v_ashrrev_i32_e32 v102, 24, v2
	v_bfe_i32 v185, v2, 0, 8
	v_bfe_i32 v186, v2, 16, 8
	;; [unrolled: 1-line block ×3, first 2 shown]
	v_lshrrev_b16 v2, 8, v4
	s_wait_dscnt 0x0
	v_lshrrev_b16 v180, 8, v104
	v_ashrrev_i32_e32 v181, 24, v104
	v_bfe_i32 v183, v104, 0, 8
	v_bfe_i32 v184, v104, 16, 8
	v_lshrrev_b16 v104, 8, v105
	v_dual_ashrrev_i32 v187, 24, v3 :: v_dual_ashrrev_i32 v189, 24, v105
	v_ashrrev_i32_e32 v195, 24, v106
	v_bfe_i32 v197, v2, 0, 8
	v_lshrrev_b16 v2, 8, v5
	v_bfe_i32 v180, v180, 0, 8
	v_bfe_i32 v182, v3, 8, 8
	;; [unrolled: 1-line block ×4, first 2 shown]
	v_dual_ashrrev_i32 v196, 24, v4 :: v_dual_ashrrev_i32 v203, 24, v107
	v_bfe_i32 v198, v4, 16, 8
	v_bfe_i32 v199, v4, 0, 8
	v_ashrrev_i32_e32 v204, 24, v5
	v_bfe_i32 v205, v2, 0, 8
	v_dual_add_nc_u32 v2, v189, v181 :: v_dual_add_nc_u32 v4, v187, v102
	v_bfe_i32 v193, v3, 0, 8
	v_bfe_i32 v202, v106, 8, 8
	;; [unrolled: 1-line block ×7, first 2 shown]
	v_dual_add_nc_u32 v3, v188, v180 :: v_dual_add_nc_u32 v5, v194, v186
	v_dual_add_nc_u32 v104, v193, v185 :: v_dual_add_nc_u32 v107, v190, v182
	v_add3_u32 v212, v4, v196, v204
	v_ashrrev_i32_e32 v4, s20, v6
	v_bfe_i32 v191, v105, 0, 8
	v_bfe_i32 v192, v105, 16, 8
	v_add3_u32 v213, v3, v202, v210
	v_add3_u32 v214, v2, v195, v203
	;; [unrolled: 1-line block ×3, first 2 shown]
	v_mul_i32_i24_e32 v2, v111, v193
	v_mul_i32_i24_e32 v3, v131, v193
	v_dual_ashrrev_i32 v5, s20, v70 :: v_dual_bitop2_b32 v6, 3, v125 bitop3:0x40
	v_add3_u32 v211, v107, v197, v205
	v_mul_i32_i24_e32 v107, v135, v207
	v_and_b32_e32 v70, 3, v103
	v_dual_lshrrev_b32 v219, 8, v4 :: v_dual_bitop2_b32 v131, 3, v134 bitop3:0x40
	v_and_b32_e32 v135, 3, v4
	v_dual_lshrrev_b32 v220, 8, v5 :: v_dual_bitop2_b32 v114, 3, v114 bitop3:0x40
	v_bfe_i32 v200, v106, 16, 8
	v_bfe_i32 v201, v106, 0, 8
	v_dual_add_nc_u32 v105, v192, v184 :: v_dual_add_nc_u32 v106, v191, v183
	v_dual_lshrrev_b32 v221, 16, v4 :: v_dual_bitop2_b32 v134, 3, v5 bitop3:0x40
	v_mul_i32_i24_e32 v113, v113, v194
	v_mul_i32_i24_e32 v133, v133, v194
	;; [unrolled: 1-line block ×4, first 2 shown]
	v_mad_i32_i24 v3, v132, v182, v3
	v_mad_i32_i24 v2, v112, v182, v2
	v_add3_u32 v215, v106, v201, v209
	v_add3_u32 v216, v105, v200, v208
	;; [unrolled: 1-line block ×3, first 2 shown]
	v_mul_i32_i24_e32 v104, v115, v207
	v_mul_i32_i24_e32 v105, v119, v180
	;; [unrolled: 1-line block ×3, first 2 shown]
	v_bfe_u32 v111, v125, 8, 2
	v_bfe_u32 v115, v103, 8, 2
	;; [unrolled: 1-line block ×6, first 2 shown]
	v_dual_lshrrev_b32 v222, 16, v5 :: v_dual_bitop2_b32 v220, 3, v220 bitop3:0x40
	v_mul_i32_i24_e32 v70, v185, v70
	v_mul_i32_i24_e32 v6, v185, v6
	v_mul_i32_i24_e32 v135, v135, v199
	v_mul_i32_i24_e32 v134, v134, v199
	v_add3_u32 v2, v2, v113, v114
	v_add3_u32 v3, v3, v133, v131
	v_dual_lshrrev_b32 v4, 24, v4 :: v_dual_bitop2_b32 v219, 3, v219 bitop3:0x40
	v_dual_lshrrev_b32 v5, 24, v5 :: v_dual_bitop2_b32 v222, 3, v222 bitop3:0x40
	v_mul_i32_i24_e32 v115, v190, v115
	v_mul_i32_i24_e32 v111, v190, v111
	;; [unrolled: 1-line block ×4, first 2 shown]
	v_add3_u32 v3, v3, v134, v6
	v_add3_u32 v2, v2, v135, v70
	v_and_b32_e32 v221, 3, v221
	v_and_b32_e32 v5, 3, v5
	;; [unrolled: 1-line block ×3, first 2 shown]
	v_mul_i32_i24_e32 v122, v102, v122
	v_mul_i32_i24_e32 v119, v102, v119
	;; [unrolled: 1-line block ×4, first 2 shown]
	v_add3_u32 v2, v2, v115, v103
	v_add3_u32 v3, v3, v111, v125
	v_mul_i32_i24_e32 v221, v221, v198
	v_mul_i32_i24_e32 v222, v222, v198
	;; [unrolled: 1-line block ×4, first 2 shown]
	v_add3_u32 v3, v3, v119, v220
	v_add3_u32 v2, v2, v122, v219
	v_mul_i32_i24_e32 v6, v138, v183
	v_mul_i32_i24_e32 v120, v120, v184
	;; [unrolled: 1-line block ×3, first 2 shown]
	v_add3_u32 v103, v3, v222, v5
	v_add3_u32 v70, v2, v221, v4
	ds_load_2addr_b32 v[2:3], v72 offset0:5 offset1:6
	ds_load_2addr_b32 v[4:5], v127 offset1:1
	v_mad_i32_i24 v105, v118, v183, v105
	v_mad_i32_i24 v6, v139, v180, v6
	v_mul_i32_i24_e32 v111, v142, v209
	v_mul_i32_i24_e32 v75, v75, v190
	;; [unrolled: 1-line block ×6, first 2 shown]
	s_wait_dscnt 0x0
	v_dual_ashrrev_i32 v2, s20, v2 :: v_dual_ashrrev_i32 v4, s20, v4
	v_and_b32_e32 v112, 3, v121
	v_dual_ashrrev_i32 v3, s20, v3 :: v_dual_bitop2_b32 v72, 3, v141 bitop3:0x40
	s_delay_alu instid0(VALU_DEP_3) | instskip(SKIP_3) | instid1(VALU_DEP_4)
	v_dual_lshrrev_b32 v115, 8, v2 :: v_dual_lshrrev_b32 v119, 8, v4
	v_dual_lshrrev_b32 v122, 16, v4 :: v_dual_ashrrev_i32 v5, s20, v5
	v_and_b32_e32 v113, 3, v4
	v_dual_lshrrev_b32 v121, 16, v2 :: v_dual_bitop2_b32 v114, 3, v2 bitop3:0x40
	v_and_b32_e32 v119, 3, v119
	v_dual_lshrrev_b32 v2, 24, v2 :: v_dual_bitop2_b32 v115, 3, v115 bitop3:0x40
	v_dual_lshrrev_b32 v4, 24, v4 :: v_dual_bitop2_b32 v122, 3, v122 bitop3:0x40
	v_mul_i32_i24_e32 v112, v112, v181
	v_mul_i32_i24_e32 v72, v72, v181
	v_dual_lshrrev_b32 v131, 8, v3 :: v_dual_bitop2_b32 v121, 3, v121 bitop3:0x40
	s_delay_alu instid0(VALU_DEP_4) | instskip(SKIP_1) | instid1(VALU_DEP_4)
	v_dual_lshrrev_b32 v132, 8, v5 :: v_dual_bitop2_b32 v4, 3, v4 bitop3:0x40
	v_dual_lshrrev_b32 v133, 16, v3 :: v_dual_bitop2_b32 v2, 3, v2 bitop3:0x40
	v_add3_u32 v6, v6, v135, v72
	v_add3_u32 v72, v105, v120, v112
	v_mul_i32_i24_e32 v105, v114, v191
	v_mul_i32_i24_e32 v112, v113, v191
	;; [unrolled: 1-line block ×4, first 2 shown]
	v_dual_lshrrev_b32 v134, 16, v5 :: v_dual_bitop2_b32 v125, 3, v5 bitop3:0x40
	v_dual_lshrrev_b32 v3, 24, v3 :: v_dual_bitop2_b32 v127, 3, v3 bitop3:0x40
	v_dual_lshrrev_b32 v5, 24, v5 :: v_dual_bitop2_b32 v132, 3, v132 bitop3:0x40
	v_and_b32_e32 v131, 3, v131
	v_mul_i32_i24_e32 v115, v121, v192
	v_mul_i32_i24_e32 v118, v122, v192
	;; [unrolled: 1-line block ×4, first 2 shown]
	v_add3_u32 v72, v72, v105, v113
	v_add3_u32 v6, v6, v112, v114
	v_and_b32_e32 v134, 3, v134
	v_and_b32_e32 v133, 3, v133
	;; [unrolled: 1-line block ×4, first 2 shown]
	v_mul_i32_i24_e32 v119, v127, v201
	v_mul_i32_i24_e32 v120, v125, v201
	;; [unrolled: 1-line block ×4, first 2 shown]
	v_add3_u32 v4, v6, v118, v4
	v_add3_u32 v2, v72, v115, v2
	v_mul_i32_i24_e32 v125, v133, v200
	v_mul_i32_i24_e32 v127, v134, v200
	;; [unrolled: 1-line block ×3, first 2 shown]
	v_add3_u32 v4, v4, v120, v122
	v_add3_u32 v2, v2, v119, v121
	v_lshrrev_b32_e32 v121, 24, v126
	v_mul_i32_i24_e32 v3, v3, v195
	ds_load_u16 v6, v129 offset:17904
	v_add3_u32 v4, v4, v127, v5
	v_and_b32_e32 v135, 3, v144
	v_and_b32_e32 v121, 3, v121
	v_add3_u32 v5, v2, v125, v3
	ds_load_u16 v2, v109 offset:16880
	s_wait_dscnt 0x1
	v_lshrrev_b16 v72, 8, v6
	v_bfe_u32 v114, v6, 4, 4
	v_and_b32_e32 v6, 15, v6
	s_wait_dscnt 0x0
	v_lshrrev_b16 v3, 8, v2
	v_bfe_u32 v105, v2, 4, 4
	v_and_b32_e32 v112, 0xffff, v72
	v_and_b32_e32 v2, 15, v2
	;; [unrolled: 1-line block ×4, first 2 shown]
	v_lshrrev_b32_e32 v6, 24, v108
	v_mul_lo_u32 v105, 0x1010101, v105
	v_and_b32_e32 v125, 0xffff, v2
	v_lshrrev_b32_e32 v2, 4, v112
	v_and_b32_e32 v113, 0xffff, v3
	v_mul_lo_u32 v114, 0x1010101, v114
	v_mul_i32_i24_e32 v120, v120, v206
	s_delay_alu instid0(VALU_DEP_4) | instskip(SKIP_4) | instid1(VALU_DEP_3)
	v_mul_lo_u32 v2, 0x1010101, v2
	v_and_b32_e32 v117, 3, v117
	v_lshrrev_b32_e32 v113, 4, v113
	v_bfe_i32 v109, v105, 16, 8
	v_lshrrev_b32_e32 v119, 24, v105
	v_mul_lo_u32 v113, 0x1010101, v113
	v_dual_lshrrev_b32 v118, 24, v114 :: v_dual_bitop2_b32 v122, 3, v7 bitop3:0x40
	v_bfe_i32 v115, v114, 16, 8
	v_bfe_i32 v112, v2, 0, 8
	;; [unrolled: 1-line block ×3, first 2 shown]
	v_lshrrev_b32_e32 v132, 24, v2
	v_bfe_i32 v134, v2, 16, 8
	v_dual_lshrrev_b32 v2, 24, v128 :: v_dual_bitop2_b32 v128, 3, v6 bitop3:0x40
	v_dual_lshrrev_b32 v6, 16, v130 :: v_dual_lshrrev_b32 v133, 24, v113
	v_mul_i32_i24_e32 v117, v117, v206
	s_delay_alu instid0(VALU_DEP_3) | instskip(SKIP_1) | instid1(VALU_DEP_4)
	v_and_b32_e32 v108, 3, v2
	v_and_b32_e32 v2, 15, v3
	v_cvt_f32_f16_e32 v7, v6
	v_mul_i32_i24_e32 v122, v122, v204
	v_mul_i32_i24_e32 v121, v121, v204
	;; [unrolled: 1-line block ×3, first 2 shown]
	v_and_b32_e32 v137, 0xffff, v2
	v_cvt_f32_f16_e32 v2, v110
	v_lshrrev_b32_e32 v110, 16, v110
	v_bfe_i32 v127, v113, 0, 8
	v_bfe_i32 v131, v113, 8, 8
	;; [unrolled: 1-line block ×3, first 2 shown]
	v_mul_i32_i24_e32 v109, v218, v109
	v_cvt_f32_f16_e32 v6, v110
	v_bfe_i32 v110, v105, 8, 8
	v_bfe_i32 v105, v105, 0, 8
	v_mul_i32_i24_e32 v115, v218, v115
	v_and_b32_e32 v3, 15, v72
	s_delay_alu instid0(VALU_DEP_3) | instskip(NEXT) | instid1(VALU_DEP_2)
	v_mul_i32_i24_e32 v105, v217, v105
	v_and_b32_e32 v72, 0xffff, v3
	v_cvt_f32_f16_e64 v3, v130
	v_mul_i32_i24_e32 v130, v151, v102
	s_delay_alu instid0(VALU_DEP_4) | instskip(SKIP_2) | instid1(VALU_DEP_2)
	v_mad_i32_i24 v105, v211, v110, v105
	v_mul_i32_i24_e32 v110, v116, v205
	v_mul_i32_i24_e32 v116, v136, v205
	v_add3_u32 v70, v70, v104, v110
	v_mul_i32_i24_e32 v104, v123, v210
	v_mul_i32_i24_e32 v110, v124, v208
	s_delay_alu instid0(VALU_DEP_4)
	v_add3_u32 v103, v103, v107, v116
	v_mul_i32_i24_e32 v107, v143, v210
	v_add3_u32 v70, v70, v117, v122
	v_mul_i32_i24_e32 v117, v128, v203
	;; [unrolled: 2-line block ×3, first 2 shown]
	v_add3_u32 v4, v4, v111, v107
	v_add3_u32 v103, v103, v120, v121
	v_mul_i32_i24_e32 v107, v216, v113
	v_add3_u32 v5, v5, v110, v117
	v_mul_i32_i24_e32 v117, v212, v118
	v_bfe_i32 v118, v114, 8, 8
	v_bfe_i32 v114, v114, 0, 8
	v_add3_u32 v4, v4, v116, v108
	v_mul_i32_i24_e32 v116, v212, v119
	v_mul_i32_i24_e32 v110, v215, v127
	;; [unrolled: 1-line block ×6, first 2 shown]
	v_add3_u32 v105, v105, v109, v116
	v_mul_lo_u32 v103, v103, v126
	v_mad_i32_i24 v114, v211, v118, v114
	v_mul_i32_i24_e32 v104, v214, v133
	v_mul_i32_i24_e32 v106, v214, v132
	;; [unrolled: 1-line block ×3, first 2 shown]
	v_add3_u32 v105, v105, v110, v112
	v_add3_u32 v109, v114, v115, v117
	v_mul_lo_u32 v70, v70, v125
	v_mul_i32_i24_e32 v126, v149, v190
	v_mul_i32_i24_e32 v128, v150, v186
	v_add3_u32 v104, v105, v107, v104
	v_add3_u32 v109, v109, v111, v113
	v_mad_u32 v4, v4, v72, v103
	v_mul_i32_i24_e32 v72, v152, v193
	v_mul_i32_i24_e32 v103, v154, v194
	v_cvt_f32_i32_e32 v104, v104
	v_add3_u32 v105, v109, v108, v106
	v_mul_i32_i24_e32 v108, v160, v191
	v_mad_i32_i24 v72, v153, v182, v72
	v_mad_u32 v70, v5, v137, v70
	v_mul_i32_i24_e32 v109, v161, v188
	v_cvt_f32_i32_e32 v105, v105
	v_mul_i32_i24_e32 v127, v162, v192
	v_cvt_f32_i32_e32 v5, v4
	v_mul_i32_i24_e32 v129, v163, v189
	s_delay_alu instid0(VALU_DEP_4) | instskip(SKIP_4) | instid1(VALU_DEP_4)
	v_pk_mul_f32 v[6:7], v[6:7], v[104:105]
	v_mul_i32_i24_e32 v104, v155, v187
	v_mul_i32_i24_e32 v105, v159, v181
	v_cvt_f32_i32_e32 v4, v70
	v_mul_i32_i24_e32 v70, v185, v148
	v_add3_u32 v72, v72, v103, v104
	v_mul_i32_i24_e32 v103, v156, v183
	v_mul_i32_i24_e32 v104, v158, v184
	v_pk_fma_f32 v[2:3], v[2:3], v[4:5], v[6:7] neg_lo:[0,0,1] neg_hi:[0,0,1]
	s_delay_alu instid0(VALU_DEP_3) | instskip(NEXT) | instid1(VALU_DEP_2)
	v_mad_i32_i24 v103, v157, v180, v103
	v_pk_fma_f32 v[16:17], v[0:1], v[2:3], v[16:17] op_sel_hi:[0,1,1]
	s_delay_alu instid0(VALU_DEP_2)
	v_add3_u32 v103, v103, v104, v105
	ds_load_2addr_b32 v[104:105], v145 offset1:1
	ds_load_2addr_b32 v[106:107], v146 offset1:1
	ds_load_u16 v110, v147 offset:18928
	s_wait_dscnt 0x1
	v_dual_ashrrev_i32 v104, s20, v104 :: v_dual_ashrrev_i32 v106, s20, v106
	s_wait_dscnt 0x0
	v_lshrrev_b16 v111, 8, v110
	v_dual_ashrrev_i32 v105, s20, v105 :: v_dual_ashrrev_i32 v107, s20, v107
	s_delay_alu instid0(VALU_DEP_3) | instskip(SKIP_1) | instid1(VALU_DEP_4)
	v_dual_lshrrev_b32 v117, 8, v104 :: v_dual_bitop2_b32 v114, 3, v104 bitop3:0x40
	v_dual_lshrrev_b32 v116, 8, v106 :: v_dual_lshrrev_b32 v118, 16, v106
	v_and_b32_e32 v112, 0xffff, v111
	s_delay_alu instid0(VALU_DEP_3) | instskip(NEXT) | instid1(VALU_DEP_4)
	v_mul_i32_i24_e32 v114, v114, v199
	v_dual_lshrrev_b32 v119, 16, v104 :: v_dual_bitop2_b32 v117, 3, v117 bitop3:0x40
	s_delay_alu instid0(VALU_DEP_4) | instskip(SKIP_1) | instid1(VALU_DEP_4)
	v_and_b32_e32 v116, 3, v116
	v_dual_lshrrev_b32 v104, 24, v104 :: v_dual_bitop2_b32 v118, 3, v118 bitop3:0x40
	v_add3_u32 v70, v72, v114, v70
	v_dual_lshrrev_b32 v112, 4, v112 :: v_dual_bitop2_b32 v115, 3, v106 bitop3:0x40
	v_dual_lshrrev_b32 v106, 24, v106 :: v_dual_bitop2_b32 v119, 3, v119 bitop3:0x40
	s_delay_alu instid0(VALU_DEP_4)
	v_dual_lshrrev_b32 v123, 8, v105 :: v_dual_bitop2_b32 v104, 3, v104 bitop3:0x40
	v_mul_i32_i24_e32 v117, v117, v197
	v_add3_u32 v72, v103, v108, v109
	v_add3_u32 v70, v70, v126, v128
	v_bfe_u32 v113, v110, 4, 4
	v_mul_lo_u32 v112, 0x1010101, v112
	v_dual_lshrrev_b32 v122, 8, v107 :: v_dual_bitop2_b32 v106, 3, v106 bitop3:0x40
	v_dual_lshrrev_b32 v125, 16, v105 :: v_dual_bitop2_b32 v121, 3, v105 bitop3:0x40
	;; [unrolled: 1-line block ×3, first 2 shown]
	v_mul_i32_i24_e32 v115, v115, v201
	v_mul_i32_i24_e32 v116, v116, v202
	;; [unrolled: 1-line block ×4, first 2 shown]
	v_add3_u32 v72, v72, v127, v129
	v_add3_u32 v70, v70, v130, v117
	v_mul_lo_u32 v113, 0x1010101, v113
	v_dual_lshrrev_b32 v124, 16, v107 :: v_dual_bitop2_b32 v120, 3, v107 bitop3:0x40
	v_dual_lshrrev_b32 v107, 24, v107 :: v_dual_bitop2_b32 v122, 3, v122 bitop3:0x40
	;; [unrolled: 1-line block ×3, first 2 shown]
	v_and_b32_e32 v105, 3, v105
	v_mul_i32_i24_e32 v118, v118, v200
	v_mul_i32_i24_e32 v106, v106, v195
	;; [unrolled: 1-line block ×4, first 2 shown]
	v_add3_u32 v72, v72, v115, v116
	v_add3_u32 v70, v70, v119, v104
	v_and_b32_e32 v124, 3, v124
	v_and_b32_e32 v107, 3, v107
	v_mul_i32_i24_e32 v120, v120, v209
	v_mul_i32_i24_e32 v122, v122, v210
	;; [unrolled: 1-line block ×4, first 2 shown]
	v_add3_u32 v72, v72, v118, v106
	v_add3_u32 v70, v70, v121, v123
	v_mul_i32_i24_e32 v124, v124, v208
	v_mul_i32_i24_e32 v107, v107, v203
	v_bfe_i32 v104, v112, 16, 8
	v_add3_u32 v72, v72, v120, v122
	v_add3_u32 v70, v70, v125, v105
	v_bfe_i32 v105, v112, 8, 8
	v_bfe_i32 v106, v112, 0, 8
	;; [unrolled: 1-line block ×3, first 2 shown]
	v_add3_u32 v72, v72, v124, v107
	v_lshrrev_b32_e32 v107, 24, v113
	v_bfe_i32 v108, v113, 16, 8
	v_bfe_i32 v109, v113, 8, 8
	v_mul_i32_i24_e32 v112, v217, v112
	v_mul_i32_i24_e32 v106, v215, v106
	;; [unrolled: 1-line block ×5, first 2 shown]
	v_mad_i32_i24 v109, v211, v109, v112
	v_mul_i32_i24_e32 v104, v216, v104
	v_mul_i32_i24_e32 v103, v214, v103
	s_delay_alu instid0(VALU_DEP_3) | instskip(NEXT) | instid1(VALU_DEP_1)
	v_add3_u32 v107, v109, v108, v107
	v_add3_u32 v105, v107, v106, v105
	v_mul_i32_i24_e32 v106, v173, v187
	s_delay_alu instid0(VALU_DEP_2) | instskip(SKIP_2) | instid1(VALU_DEP_2)
	v_add3_u32 v103, v105, v104, v103
	v_mul_i32_i24_e32 v104, v170, v193
	v_mul_i32_i24_e32 v105, v172, v194
	v_mad_i32_i24 v104, v171, v182, v104
	s_delay_alu instid0(VALU_DEP_1) | instskip(SKIP_3) | instid1(VALU_DEP_3)
	v_add3_u32 v108, v104, v105, v106
	v_mul_i32_i24_e32 v104, v174, v183
	v_mul_i32_i24_e32 v105, v176, v184
	;; [unrolled: 1-line block ×3, first 2 shown]
	v_mad_i32_i24 v104, v175, v180, v104
	s_delay_alu instid0(VALU_DEP_1)
	v_add3_u32 v109, v104, v105, v106
	ds_load_2addr_b32 v[104:105], v166 offset1:1
	ds_load_2addr_b32 v[106:107], v167 offset1:1
	ds_load_u16 v112, v168 offset:19952
	v_and_b32_e32 v110, 15, v110
	s_wait_dscnt 0x2
	v_dual_ashrrev_i32 v105, s20, v105 :: v_dual_bitop2_b32 v111, 15, v111 bitop3:0x40
	v_ashrrev_i32_e32 v104, s20, v104
	s_wait_dscnt 0x0
	v_lshrrev_b16 v113, 8, v112
	v_ashrrev_i32_e32 v107, s20, v107
	v_and_b32_e32 v110, 0xffff, v110
	v_ashrrev_i32_e32 v106, s20, v106
	v_bfe_u32 v115, v112, 4, 4
	v_and_b32_e32 v114, 0xffff, v113
	v_and_b32_e32 v116, 3, v104
	v_mul_lo_u32 v70, v70, v110
	v_dual_lshrrev_b32 v118, 8, v106 :: v_dual_bitop2_b32 v117, 3, v106 bitop3:0x40
	s_delay_alu instid0(VALU_DEP_4) | instskip(SKIP_2) | instid1(VALU_DEP_4)
	v_dual_lshrrev_b32 v114, 4, v114 :: v_dual_lshrrev_b32 v119, 8, v104
	v_mul_lo_u32 v115, 0x1010101, v115
	v_and_b32_e32 v111, 0xffff, v111
	v_and_b32_e32 v118, 3, v118
	s_delay_alu instid0(VALU_DEP_4)
	v_mul_lo_u32 v114, 0x1010101, v114
	v_dual_lshrrev_b32 v120, 16, v106 :: v_dual_bitop2_b32 v119, 3, v119 bitop3:0x40
	v_dual_lshrrev_b32 v121, 16, v104 :: v_dual_lshrrev_b32 v106, 24, v106
	v_mad_u32 v70, v72, v111, v70
	v_cvt_f32_i32_e32 v72, v103
	v_mul_i32_i24_e32 v103, v185, v169
	v_mul_i32_i24_e32 v110, v178, v191
	;; [unrolled: 1-line block ×3, first 2 shown]
	v_dual_lshrrev_b32 v104, 24, v104 :: v_dual_bitop2_b32 v121, 3, v121 bitop3:0x40
	v_dual_lshrrev_b32 v125, 8, v105 :: v_dual_bitop2_b32 v106, 3, v106 bitop3:0x40
	v_mul_i32_i24_e32 v116, v116, v199
	s_delay_alu instid0(VALU_DEP_3) | instskip(NEXT) | instid1(VALU_DEP_3)
	v_dual_lshrrev_b32 v126, 16, v107 :: v_dual_bitop2_b32 v104, 3, v104 bitop3:0x40
	v_dual_lshrrev_b32 v128, 24, v114 :: v_dual_bitop2_b32 v125, 3, v125 bitop3:0x40
	v_lshrrev_b16 v129, 8, v115
	s_delay_alu instid0(VALU_DEP_4)
	v_add3_u32 v103, v108, v116, v103
	v_add3_u32 v108, v109, v110, v111
	v_dual_lshrrev_b32 v124, 8, v107 :: v_dual_bitop2_b32 v120, 3, v120 bitop3:0x40
	v_and_b32_e32 v126, 3, v126
	v_bfe_i32 v130, v115, 0, 8
	v_bfe_i32 v131, v115, 16, 8
	v_lshrrev_b32_e32 v115, 24, v115
	v_bfe_i32 v132, v114, 16, 8
	v_bfe_i32 v133, v114, 8, 8
	;; [unrolled: 1-line block ×4, first 2 shown]
	v_mul_i32_i24_e32 v117, v117, v201
	v_mul_i32_i24_e32 v102, v119, v197
	;; [unrolled: 1-line block ×3, first 2 shown]
	v_add3_u32 v76, v108, v77, v76
	v_add3_u32 v74, v103, v75, v74
	v_mul_i32_i24_e32 v103, v214, v128
	v_dual_lshrrev_b32 v127, 16, v105 :: v_dual_bitop2_b32 v122, 3, v107 bitop3:0x40
	v_dual_lshrrev_b32 v107, 24, v107 :: v_dual_bitop2_b32 v123, 3, v105 bitop3:0x40
	;; [unrolled: 1-line block ×3, first 2 shown]
	v_mul_i32_i24_e32 v119, v121, v198
	v_mul_i32_i24_e32 v104, v104, v196
	v_add3_u32 v73, v74, v73, v102
	v_add3_u32 v74, v76, v117, v118
	v_mul_i32_i24_e32 v75, v211, v129
	v_mul_i32_i24_e32 v76, v215, v114
	v_mul_i32_i24_e32 v77, v213, v133
	v_mul_i32_i24_e32 v102, v216, v132
	v_mad_i32_i24 v103, v212, v115, v103
	v_and_b32_e32 v127, 3, v127
	v_and_b32_e32 v105, 3, v105
	v_mul_i32_i24_e32 v121, v123, v207
	v_mul_i32_i24_e32 v123, v125, v205
	v_add3_u32 v73, v73, v119, v104
	v_mad_i32_i24 v102, v218, v131, v102
	v_mad_i32_i24 v76, v217, v130, v76
	v_add3_u32 v75, v75, v77, v103
	v_mul_i32_i24_e32 v125, v127, v206
	v_mul_i32_i24_e32 v105, v105, v204
	v_add3_u32 v73, v73, v121, v123
	v_mul_i32_i24_e32 v120, v120, v200
	v_add3_u32 v77, v76, v102, v75
	v_and_b32_e32 v75, 15, v112
	v_mul_i32_i24_e32 v106, v106, v195
	v_add3_u32 v73, v73, v125, v105
	v_and_b32_e32 v107, 3, v107
	v_mul_i32_i24_e32 v122, v122, v209
	v_and_b32_e32 v75, 0xffff, v75
	v_mul_i32_i24_e32 v124, v124, v210
	v_add3_u32 v74, v74, v120, v106
	v_mul_i32_i24_e32 v126, v126, v208
	v_mul_i32_i24_e32 v107, v107, v203
	v_mul_lo_u32 v73, v73, v75
	v_and_b32_e32 v76, 15, v113
	v_add3_u32 v74, v74, v122, v124
	v_cvt_f32_i32_e32 v77, v77
	v_cvt_f32_i32_e32 v70, v70
	v_mul_f32_e32 v72, v165, v72
	v_and_b32_e32 v76, 0xffff, v76
	v_add3_u32 v74, v74, v126, v107
	s_add_co_i32 s20, s1, 2
	v_mul_f32_e32 v70, v164, v70
	s_cmp_lt_u32 s1, 22
	s_mov_b32 s1, s20
	v_mad_u32 v73, v74, v76, v73
	v_cvt_f32_f16_e32 v74, v71
	v_lshrrev_b32_e32 v71, 16, v71
	s_delay_alu instid0(VALU_DEP_1) | instskip(NEXT) | instid1(VALU_DEP_4)
	v_cvt_f32_f16_e32 v75, v71
	v_cvt_f32_i32_e32 v76, v73
	s_delay_alu instid0(VALU_DEP_1) | instskip(NEXT) | instid1(VALU_DEP_1)
	v_pk_mul_f32 v[74:75], v[74:75], v[76:77]
	v_dual_mov_b32 v71, v74 :: v_dual_mov_b32 v73, v75
	s_delay_alu instid0(VALU_DEP_1) | instskip(NEXT) | instid1(VALU_DEP_1)
	v_pk_add_f32 v[4:5], v[70:71], v[72:73] neg_lo:[0,1] neg_hi:[0,1]
	v_pk_fma_f32 v[14:15], v[0:1], v[4:5], v[14:15] op_sel_hi:[0,1,1]
	v_add_nc_u32_e32 v1, 32, v1
	s_cbranch_scc1 .LBB208_27
; %bb.28:                               ;   in Loop: Header=BB208_5 Depth=1
	s_or_b32 s1, s18, 0x180
	s_delay_alu instid0(SALU_CYCLE_1)
	s_cmp_ge_i32 s1, s5
	s_barrier_signal -1
	s_barrier_wait -1
	s_cbranch_scc1 .LBB208_4
; %bb.29:                               ;   in Loop: Header=BB208_5 Depth=1
	v_add_nc_u32_e32 v0, s19, v88
	s_delay_alu instid0(VALU_DEP_1) | instskip(SKIP_1) | instid1(SALU_CYCLE_1)
	v_cmp_gt_i32_e64 s1, s6, v0
	s_and_b32 s18, s0, s1
	s_and_saveexec_b32 s1, s18
	s_cbranch_execz .LBB208_31
; %bb.30:                               ;   in Loop: Header=BB208_5 Depth=1
	v_add_nc_u32_e32 v0, v18, v0
	s_delay_alu instid0(VALU_DEP_1)
	v_mad_nc_i64_i32 v[0:1], v0, 36, v[20:21]
	global_load_b32 v0, v[0:1], off offset:4
	s_wait_loadcnt 0x0
	ds_store_b32 v67, v0
.LBB208_31:                             ;   in Loop: Header=BB208_5 Depth=1
	s_or_b32 exec_lo, exec_lo, s1
	s_and_saveexec_b32 s18, vcc_lo
	s_cbranch_execz .LBB208_34
; %bb.32:                               ;   in Loop: Header=BB208_5 Depth=1
	v_or_b32_e32 v0, 12, v68
	s_delay_alu instid0(VALU_DEP_1) | instskip(SKIP_1) | instid1(SALU_CYCLE_1)
	v_cmp_gt_i32_e64 s1, s6, v0
	s_and_b32 s1, s0, s1
	s_and_b32 exec_lo, exec_lo, s1
	s_cbranch_execz .LBB208_34
; %bb.33:                               ;   in Loop: Header=BB208_5 Depth=1
	v_ashrrev_i32_e32 v69, 31, v68
	s_delay_alu instid0(VALU_DEP_1) | instskip(NEXT) | instid1(VALU_DEP_1)
	v_add_nc_u64_e32 v[0:1], v[18:19], v[68:69]
	v_mad_nc_u64_u32 v[2:3], v0, 36, s[2:3]
	s_delay_alu instid0(VALU_DEP_1)
	v_mad_i32_i24 v3, v1, 36, v3
	global_load_b32 v0, v[2:3], off offset:432
	s_wait_loadcnt 0x0
	v_cvt_f32_f16_e32 v0, v0
	ds_store_b32 v85, v0
.LBB208_34:                             ;   in Loop: Header=BB208_5 Depth=1
	s_or_b32 exec_lo, exec_lo, s18
	v_dual_mov_b32 v1, v61 :: v_dual_mov_b32 v74, v78
	s_mov_b32 s1, 24
	s_wait_dscnt 0x0
	s_barrier_signal -1
	s_barrier_wait -1
.LBB208_35:                             ;   Parent Loop BB208_5 Depth=1
                                        ; =>  This Inner Loop Header: Depth=2
	s_and_b32 s20, s1, 0x3ffffff8
	s_sub_co_i32 s18, s1, 24
	v_lshl_add_u32 v70, s20, 2, v89
	s_lshr_b32 s20, s1, 2
	s_and_b32 s19, s1, -16
	s_and_b32 s20, s20, 0x3ffffffc
	s_add_co_i32 s19, s1, s19
	ds_load_2addr_b32 v[2:3], v70 offset1:1
	s_addk_co_i32 s20, 0x5280
	ds_load_2addr_b32 v[6:7], v70 offset0:2 offset1:3
	ds_load_b32 v0, v74
	v_add_nc_u32_e32 v126, 0x1094, v70
	v_add_nc_u32_e32 v144, 0x2108, v70
	;; [unrolled: 1-line block ×3, first 2 shown]
	v_dual_add_nc_u32 v128, s19, v49 :: v_dual_add_nc_u32 v74, 4, v74
	s_wait_dscnt 0x2
	v_dual_ashrrev_i32 v106, s18, v2 :: v_dual_ashrrev_i32 v4, s18, v3
	ds_load_2addr_b32 v[2:3], v70 offset0:4 offset1:7
	v_dual_add_nc_u32 v108, s19, v47 :: v_dual_lshrrev_b32 v113, 24, v4
	v_and_b32_e32 v110, 3, v4
	v_bfe_u32 v111, v4, 8, 2
	v_bfe_u32 v112, v4, 16, 2
	s_wait_dscnt 0x0
	v_dual_ashrrev_i32 v2, s18, v2 :: v_dual_ashrrev_i32 v107, s18, v3
	v_add3_u32 v3, s20, v101, v90
	s_delay_alu instid0(VALU_DEP_2)
	v_dual_lshrrev_b32 v120, 24, v2 :: v_dual_bitop2_b32 v117, 3, v2 bitop3:0x40
	v_bfe_u32 v118, v2, 8, 2
	v_bfe_u32 v119, v2, 16, 2
	v_add_nc_u32_e32 v2, 0x1080, v70
	ds_load_b32 v109, v3
	v_dual_lshrrev_b32 v123, 16, v107 :: v_dual_bitop2_b32 v121, 3, v107 bitop3:0x40
	v_bfe_u32 v122, v107, 8, 2
	ds_load_2addr_b32 v[2:3], v2 offset1:1
	v_ashrrev_i32_e32 v7, s18, v7
	v_and_b32_e32 v123, 3, v123
	s_delay_alu instid0(VALU_DEP_2) | instskip(SKIP_1) | instid1(VALU_DEP_2)
	v_dual_lshrrev_b32 v116, 16, v7 :: v_dual_bitop2_b32 v114, 3, v7 bitop3:0x40
	v_bfe_u32 v115, v7, 8, 2
	v_dual_lshrrev_b32 v7, 24, v7 :: v_dual_bitop2_b32 v116, 3, v116 bitop3:0x40
	s_wait_dscnt 0x0
	v_dual_ashrrev_i32 v124, s18, v2 :: v_dual_ashrrev_i32 v4, s18, v3
	v_add_nc_u32_e32 v2, 0x1088, v70
	s_delay_alu instid0(VALU_DEP_2)
	v_dual_lshrrev_b32 v133, 24, v4 :: v_dual_bitop2_b32 v130, 3, v4 bitop3:0x40
	ds_load_2addr_b32 v[68:69], v2 offset1:1
	v_add_nc_u32_e32 v2, 0x1000, v70
	v_bfe_u32 v131, v4, 8, 2
	v_bfe_u32 v132, v4, 16, 2
	ds_load_2addr_b32 v[2:3], v2 offset0:36 offset1:39
	s_wait_dscnt 0x1
	v_ashrrev_i32_e32 v125, s18, v69
	v_add3_u32 v69, s20, v93, v94
	s_wait_dscnt 0x0
	v_dual_ashrrev_i32 v2, s18, v2 :: v_dual_ashrrev_i32 v127, s18, v3
	v_add3_u32 v3, s20, v91, v92
	ds_load_b32 v69, v69
	v_dual_lshrrev_b32 v136, 16, v125 :: v_dual_bitop2_b32 v134, 3, v125 bitop3:0x40
	v_dual_lshrrev_b32 v140, 24, v2 :: v_dual_bitop2_b32 v137, 3, v2 bitop3:0x40
	v_bfe_u32 v138, v2, 8, 2
	v_bfe_u32 v139, v2, 16, 2
	v_add_nc_u32_e32 v2, 0x2100, v70
	ds_load_b32 v129, v3
	v_bfe_u32 v135, v125, 8, 2
	v_dual_lshrrev_b32 v143, 16, v127 :: v_dual_bitop2_b32 v141, 3, v127 bitop3:0x40
	ds_load_2addr_b32 v[2:3], v2 offset1:1
	v_bfe_u32 v142, v127, 8, 2
	s_wait_dscnt 0x2
	v_cvt_f32_f16_e64 v163, v69
	v_add_nc_u32_e32 v145, 0x2118, v70
	s_wait_dscnt 0x0
	v_dual_ashrrev_i32 v4, s18, v2 :: v_dual_ashrrev_i32 v5, s18, v3
	v_add_nc_u32_e32 v2, 0x2110, v70
	s_delay_alu instid0(VALU_DEP_2)
	v_dual_add_nc_u32 v146, s19, v51 :: v_dual_bitop2_b32 v147, 3, v4 bitop3:0x40
	v_bfe_u32 v148, v4, 8, 2
	ds_load_2addr_b32 v[2:3], v2 offset1:1
	v_bfe_u32 v149, v4, 16, 2
	v_bfe_u32 v150, v4, 24, 2
	;; [unrolled: 1-line block ×5, first 2 shown]
	s_wait_dscnt 0x0
	v_dual_ashrrev_i32 v2, s18, v2 :: v_dual_ashrrev_i32 v3, s18, v3
	s_delay_alu instid0(VALU_DEP_1)
	v_and_b32_e32 v155, 3, v2
	v_bfe_u32 v156, v2, 8, 2
	v_bfe_u32 v157, v2, 16, 2
	;; [unrolled: 1-line block ×3, first 2 shown]
	v_dual_lshrrev_b32 v2, 16, v69 :: v_dual_bitop2_b32 v159, 3, v3 bitop3:0x40
	v_bfe_u32 v160, v3, 8, 2
	v_bfe_u32 v161, v3, 16, 2
	;; [unrolled: 1-line block ×3, first 2 shown]
	s_delay_alu instid0(VALU_DEP_4)
	v_cvt_f32_f16_e64 v164, v2
	v_add_nc_u32_e32 v2, 0x3180, v70
	v_add3_u32 v69, s20, v95, v96
	v_add_nc_u32_e32 v165, 0x3188, v70
	ds_load_2addr_b32 v[2:3], v2 offset1:1
	ds_load_b32 v69, v69
	s_wait_dscnt 0x1
	v_dual_ashrrev_i32 v4, s18, v2 :: v_dual_bitop2_b32 v151, 3, v5 bitop3:0x40
	v_add_nc_u32_e32 v2, 0x3190, v70
	v_dual_ashrrev_i32 v5, s18, v3 :: v_dual_add_nc_u32 v167, s19, v53
	s_delay_alu instid0(VALU_DEP_3)
	v_and_b32_e32 v168, 3, v4
	ds_load_2addr_b32 v[2:3], v2 offset1:1
	v_bfe_u32 v73, v4, 8, 2
	v_bfe_u32 v72, v4, 16, 2
	;; [unrolled: 1-line block ×3, first 2 shown]
	v_and_b32_e32 v169, 3, v5
	v_bfe_u32 v170, v5, 8, 2
	v_bfe_u32 v171, v5, 16, 2
	;; [unrolled: 1-line block ×3, first 2 shown]
	s_wait_dscnt 0x0
	v_dual_ashrrev_i32 v2, s18, v2 :: v_dual_ashrrev_i32 v3, s18, v3
	s_delay_alu instid0(VALU_DEP_1)
	v_and_b32_e32 v173, 3, v2
	v_bfe_u32 v174, v2, 8, 2
	v_bfe_u32 v175, v2, 16, 2
	;; [unrolled: 1-line block ×3, first 2 shown]
	v_and_b32_e32 v177, 3, v3
	v_bfe_u32 v178, v3, 8, 2
	v_bfe_u32 v76, v3, 16, 2
	;; [unrolled: 1-line block ×3, first 2 shown]
	ds_load_b128 v[2:5], v1
	ds_load_b128 v[102:105], v1 offset:16
	s_wait_dscnt 0x1
	v_ashrrev_i32_e32 v77, 24, v2
	s_wait_dscnt 0x0
	v_lshrrev_b16 v179, 8, v102
	v_ashrrev_i32_e32 v180, 24, v102
	v_bfe_i32 v182, v102, 0, 8
	v_bfe_i32 v183, v102, 16, 8
	;; [unrolled: 1-line block ×4, first 2 shown]
	v_lshrrev_b16 v102, 8, v103
	v_bfe_i32 v189, v2, 8, 8
	v_lshrrev_b16 v2, 8, v4
	v_bfe_i32 v179, v179, 0, 8
	v_ashrrev_i32_e32 v186, 24, v3
	v_bfe_i32 v187, v102, 0, 8
	v_dual_ashrrev_i32 v188, 24, v103 :: v_dual_ashrrev_i32 v194, 24, v104
	v_bfe_i32 v193, v3, 16, 8
	v_bfe_i32 v196, v2, 0, 8
	v_lshrrev_b16 v2, 8, v5
	v_bfe_i32 v181, v3, 8, 8
	v_bfe_i32 v192, v3, 0, 8
	v_dual_ashrrev_i32 v195, 24, v4 :: v_dual_ashrrev_i32 v202, 24, v105
	v_bfe_i32 v197, v4, 16, 8
	v_bfe_i32 v198, v4, 0, 8
	;; [unrolled: 1-line block ×3, first 2 shown]
	v_ashrrev_i32_e32 v203, 24, v5
	v_bfe_i32 v204, v2, 0, 8
	v_bfe_i32 v205, v5, 16, 8
	;; [unrolled: 1-line block ×4, first 2 shown]
	v_dual_add_nc_u32 v2, v188, v180 :: v_dual_add_nc_u32 v3, v187, v179
	v_add_nc_u32_e32 v4, v186, v77
	v_dual_add_nc_u32 v5, v193, v185 :: v_dual_add_nc_u32 v102, v192, v184
	v_bfe_i32 v190, v103, 0, 8
	v_bfe_i32 v191, v103, 16, 8
	;; [unrolled: 1-line block ×4, first 2 shown]
	v_add_nc_u32_e32 v105, v189, v181
	v_add3_u32 v211, v4, v195, v203
	v_add3_u32 v212, v3, v201, v209
	;; [unrolled: 1-line block ×4, first 2 shown]
	v_mul_i32_i24_e32 v2, v110, v192
	v_mul_i32_i24_e32 v3, v130, v192
	v_dual_ashrrev_i32 v4, s18, v6 :: v_dual_ashrrev_i32 v5, s18, v68
	v_and_b32_e32 v68, 3, v106
	v_and_b32_e32 v130, 3, v133
	s_delay_alu instid0(VALU_DEP_3)
	v_dual_lshrrev_b32 v220, 16, v4 :: v_dual_bitop2_b32 v113, 3, v113 bitop3:0x40
	v_bfe_i32 v199, v104, 16, 8
	v_bfe_i32 v200, v104, 0, 8
	v_dual_add_nc_u32 v103, v191, v183 :: v_dual_add_nc_u32 v104, v190, v182
	v_add3_u32 v210, v105, v196, v204
	v_mul_i32_i24_e32 v105, v134, v206
	v_dual_lshrrev_b32 v219, 8, v5 :: v_dual_bitop2_b32 v6, 3, v124 bitop3:0x40
	v_dual_lshrrev_b32 v221, 16, v5 :: v_dual_bitop2_b32 v133, 3, v5 bitop3:0x40
	;; [unrolled: 1-line block ×3, first 2 shown]
	v_mul_i32_i24_e32 v112, v112, v193
	v_mul_i32_i24_e32 v132, v132, v193
	;; [unrolled: 1-line block ×4, first 2 shown]
	v_mad_i32_i24 v3, v131, v181, v3
	v_mad_i32_i24 v2, v111, v181, v2
	v_add3_u32 v214, v104, v200, v208
	v_add3_u32 v215, v103, v199, v207
	;; [unrolled: 1-line block ×3, first 2 shown]
	v_mul_i32_i24_e32 v102, v114, v206
	v_mul_i32_i24_e32 v103, v118, v179
	;; [unrolled: 1-line block ×3, first 2 shown]
	v_bfe_u32 v110, v124, 8, 2
	v_bfe_u32 v114, v106, 8, 2
	;; [unrolled: 1-line block ×6, first 2 shown]
	v_lshrrev_b32_e32 v4, 24, v4
	v_mul_i32_i24_e32 v68, v184, v68
	v_mul_i32_i24_e32 v6, v184, v6
	;; [unrolled: 1-line block ×4, first 2 shown]
	v_add3_u32 v2, v2, v112, v113
	v_add3_u32 v3, v3, v132, v130
	v_dual_lshrrev_b32 v5, 24, v5 :: v_dual_bitop2_b32 v219, 3, v219 bitop3:0x40
	v_and_b32_e32 v218, 3, v218
	v_mul_i32_i24_e32 v114, v189, v114
	v_mul_i32_i24_e32 v110, v189, v110
	;; [unrolled: 1-line block ×4, first 2 shown]
	v_add3_u32 v3, v3, v133, v6
	v_add3_u32 v2, v2, v134, v68
	v_and_b32_e32 v221, 3, v221
	v_and_b32_e32 v220, 3, v220
	;; [unrolled: 1-line block ×4, first 2 shown]
	v_mul_i32_i24_e32 v121, v77, v121
	v_mul_i32_i24_e32 v118, v77, v118
	;; [unrolled: 1-line block ×4, first 2 shown]
	v_add3_u32 v2, v2, v114, v106
	v_add3_u32 v3, v3, v110, v124
	v_mul_i32_i24_e32 v220, v220, v197
	v_mul_i32_i24_e32 v221, v221, v197
	;; [unrolled: 1-line block ×4, first 2 shown]
	v_add3_u32 v3, v3, v118, v219
	v_add3_u32 v2, v2, v121, v218
	v_mul_i32_i24_e32 v6, v137, v182
	v_mul_i32_i24_e32 v119, v119, v183
	;; [unrolled: 1-line block ×3, first 2 shown]
	v_add3_u32 v106, v3, v221, v5
	v_add3_u32 v68, v2, v220, v4
	ds_load_2addr_b32 v[2:3], v70 offset0:5 offset1:6
	ds_load_2addr_b32 v[4:5], v126 offset1:1
	v_mad_i32_i24 v103, v117, v182, v103
	v_mad_i32_i24 v6, v138, v179, v6
	v_mul_i32_i24_e32 v110, v141, v208
	v_mul_i32_i24_e32 v73, v73, v189
	;; [unrolled: 1-line block ×6, first 2 shown]
	s_wait_dscnt 0x0
	v_dual_ashrrev_i32 v2, s18, v2 :: v_dual_ashrrev_i32 v4, s18, v4
	v_and_b32_e32 v70, 3, v140
	v_dual_ashrrev_i32 v3, s18, v3 :: v_dual_bitop2_b32 v111, 3, v120 bitop3:0x40
	s_delay_alu instid0(VALU_DEP_3) | instskip(SKIP_2) | instid1(VALU_DEP_3)
	v_dual_lshrrev_b32 v114, 8, v2 :: v_dual_bitop2_b32 v112, 3, v4 bitop3:0x40
	v_dual_lshrrev_b32 v118, 8, v4 :: v_dual_ashrrev_i32 v5, s18, v5
	v_dual_lshrrev_b32 v121, 16, v4 :: v_dual_bitop2_b32 v113, 3, v2 bitop3:0x40
	v_dual_lshrrev_b32 v130, 8, v3 :: v_dual_bitop2_b32 v114, 3, v114 bitop3:0x40
	s_delay_alu instid0(VALU_DEP_3) | instskip(SKIP_4) | instid1(VALU_DEP_4)
	v_dual_lshrrev_b32 v4, 24, v4 :: v_dual_bitop2_b32 v118, 3, v118 bitop3:0x40
	v_dual_lshrrev_b32 v120, 16, v2 :: v_dual_lshrrev_b32 v2, 24, v2
	v_mul_i32_i24_e32 v111, v111, v180
	v_mul_i32_i24_e32 v70, v70, v180
	v_dual_lshrrev_b32 v132, 16, v3 :: v_dual_bitop2_b32 v121, 3, v121 bitop3:0x40
	v_dual_lshrrev_b32 v131, 8, v5 :: v_dual_bitop2_b32 v120, 3, v120 bitop3:0x40
	v_dual_lshrrev_b32 v133, 16, v5 :: v_dual_bitop2_b32 v4, 3, v4 bitop3:0x40
	v_and_b32_e32 v2, 3, v2
	v_add3_u32 v6, v6, v134, v70
	v_add3_u32 v70, v103, v119, v111
	v_mul_i32_i24_e32 v103, v113, v190
	v_mul_i32_i24_e32 v111, v112, v190
	;; [unrolled: 1-line block ×4, first 2 shown]
	v_dual_lshrrev_b32 v5, 24, v5 :: v_dual_bitop2_b32 v124, 3, v5 bitop3:0x40
	v_and_b32_e32 v126, 3, v3
	v_and_b32_e32 v131, 3, v131
	v_dual_lshrrev_b32 v3, 24, v3 :: v_dual_bitop2_b32 v130, 3, v130 bitop3:0x40
	v_mul_i32_i24_e32 v114, v120, v191
	v_mul_i32_i24_e32 v117, v121, v191
	;; [unrolled: 1-line block ×4, first 2 shown]
	v_add3_u32 v70, v70, v103, v112
	v_add3_u32 v6, v6, v111, v113
	v_and_b32_e32 v133, 3, v133
	v_and_b32_e32 v132, 3, v132
	;; [unrolled: 1-line block ×4, first 2 shown]
	v_mul_i32_i24_e32 v118, v126, v200
	v_mul_i32_i24_e32 v119, v124, v200
	;; [unrolled: 1-line block ×4, first 2 shown]
	v_add3_u32 v4, v6, v117, v4
	v_add3_u32 v2, v70, v114, v2
	v_mul_i32_i24_e32 v126, v133, v199
	v_mul_i32_i24_e32 v3, v3, v194
	;; [unrolled: 1-line block ×3, first 2 shown]
	v_add3_u32 v4, v4, v119, v121
	v_add3_u32 v2, v2, v118, v120
	v_lshrrev_b32_e32 v120, 24, v125
	v_mul_i32_i24_e32 v124, v132, v199
	ds_load_u16 v6, v128 offset:17904
	v_add3_u32 v4, v4, v126, v5
	v_and_b32_e32 v119, 3, v136
	v_and_b32_e32 v120, 3, v120
	v_add3_u32 v5, v2, v124, v3
	ds_load_u16 v2, v108 offset:16880
	v_and_b32_e32 v134, 3, v143
	s_wait_dscnt 0x1
	v_lshrrev_b16 v70, 8, v6
	v_bfe_u32 v113, v6, 4, 4
	v_and_b32_e32 v6, 15, v6
	s_wait_dscnt 0x0
	v_lshrrev_b16 v3, 8, v2
	v_bfe_u32 v103, v2, 4, 4
	v_and_b32_e32 v111, 0xffff, v70
	v_and_b32_e32 v2, 15, v2
	;; [unrolled: 1-line block ×4, first 2 shown]
	v_mul_lo_u32 v103, 0x1010101, v103
	v_lshrrev_b32_e32 v6, 24, v107
	v_and_b32_e32 v124, 0xffff, v2
	s_delay_alu instid0(VALU_DEP_4) | instskip(SKIP_2) | instid1(VALU_DEP_3)
	v_dual_lshrrev_b32 v2, 4, v111 :: v_dual_lshrrev_b32 v112, 4, v112
	v_mul_lo_u32 v113, 0x1010101, v113
	v_mul_i32_i24_e32 v116, v116, v205
	v_mul_lo_u32 v2, 0x1010101, v2
	s_delay_alu instid0(VALU_DEP_4) | instskip(SKIP_4) | instid1(VALU_DEP_3)
	v_mul_lo_u32 v112, 0x1010101, v112
	v_and_b32_e32 v121, 3, v7
	v_bfe_i32 v108, v103, 16, 8
	v_dual_lshrrev_b32 v118, 24, v103 :: v_dual_lshrrev_b32 v117, 24, v113
	v_bfe_i32 v114, v113, 16, 8
	v_mul_i32_i24_e32 v108, v217, v108
	v_bfe_i32 v111, v2, 0, 8
	v_bfe_i32 v128, v2, 8, 8
	v_lshrrev_b32_e32 v131, 24, v2
	v_bfe_i32 v133, v2, 16, 8
	v_dual_lshrrev_b32 v2, 24, v127 :: v_dual_bitop2_b32 v127, 3, v6 bitop3:0x40
	v_lshrrev_b32_e32 v6, 16, v129
	v_mul_i32_i24_e32 v119, v119, v205
	v_mul_i32_i24_e32 v120, v120, v203
	s_delay_alu instid0(VALU_DEP_4)
	v_and_b32_e32 v107, 3, v2
	v_and_b32_e32 v2, 15, v3
	v_cvt_f32_f16_e32 v7, v6
	v_lshrrev_b32_e32 v132, 24, v112
	v_mul_i32_i24_e32 v121, v121, v203
	v_mul_i32_i24_e32 v107, v107, v202
	v_and_b32_e32 v136, 0xffff, v2
	v_cvt_f32_f16_e32 v2, v109
	v_lshrrev_b32_e32 v109, 16, v109
	v_bfe_i32 v126, v112, 0, 8
	v_bfe_i32 v130, v112, 8, 8
	;; [unrolled: 1-line block ×3, first 2 shown]
	v_mul_i32_i24_e32 v114, v217, v114
	v_cvt_f32_f16_e32 v6, v109
	v_bfe_i32 v109, v103, 8, 8
	v_bfe_i32 v103, v103, 0, 8
	v_and_b32_e32 v3, 15, v70
	s_delay_alu instid0(VALU_DEP_2) | instskip(NEXT) | instid1(VALU_DEP_2)
	v_mul_i32_i24_e32 v103, v216, v103
	v_and_b32_e32 v70, 0xffff, v3
	v_cvt_f32_f16_e64 v3, v129
	v_mul_i32_i24_e32 v129, v150, v77
	s_delay_alu instid0(VALU_DEP_4) | instskip(SKIP_2) | instid1(VALU_DEP_2)
	v_mad_i32_i24 v103, v210, v109, v103
	v_mul_i32_i24_e32 v109, v115, v204
	v_mul_i32_i24_e32 v115, v135, v204
	v_add3_u32 v68, v68, v102, v109
	s_delay_alu instid0(VALU_DEP_2)
	v_add3_u32 v105, v106, v105, v115
	v_mul_i32_i24_e32 v109, v123, v207
	v_mul_i32_i24_e32 v106, v142, v209
	;; [unrolled: 1-line block ×3, first 2 shown]
	v_add3_u32 v68, v68, v116, v121
	v_add3_u32 v102, v105, v119, v120
	v_mul_i32_i24_e32 v105, v122, v209
	v_mul_i32_i24_e32 v116, v127, v202
	v_add3_u32 v4, v4, v110, v106
	v_mul_i32_i24_e32 v106, v215, v112
	v_mul_i32_i24_e32 v110, v214, v111
	v_add3_u32 v5, v5, v104, v105
	v_mul_i32_i24_e32 v111, v212, v130
	v_add3_u32 v4, v4, v115, v107
	v_mul_i32_i24_e32 v115, v211, v118
	v_mul_i32_i24_e32 v112, v212, v128
	v_add3_u32 v5, v5, v109, v116
	v_mul_i32_i24_e32 v116, v211, v117
	v_bfe_i32 v117, v113, 8, 8
	v_bfe_i32 v113, v113, 0, 8
	v_mul_i32_i24_e32 v109, v214, v126
	v_add3_u32 v103, v103, v108, v115
	v_mul_lo_u32 v102, v102, v125
	v_mul_i32_i24_e32 v104, v213, v132
	v_mul_i32_i24_e32 v113, v216, v113
	;; [unrolled: 1-line block ×4, first 2 shown]
	v_add3_u32 v103, v103, v109, v111
	v_mul_lo_u32 v68, v68, v124
	v_mad_i32_i24 v113, v210, v117, v113
	v_mul_i32_i24_e32 v125, v148, v189
	v_mul_i32_i24_e32 v126, v161, v191
	v_add3_u32 v104, v103, v106, v104
	v_mad_u32 v4, v4, v70, v102
	v_add3_u32 v108, v113, v114, v116
	v_mul_i32_i24_e32 v70, v151, v192
	v_mul_i32_i24_e32 v127, v149, v185
	v_cvt_f32_i32_e32 v102, v104
	v_mul_i32_i24_e32 v104, v158, v180
	v_add3_u32 v108, v108, v110, v112
	v_mad_i32_i24 v70, v152, v181, v70
	v_mad_u32 v68, v5, v136, v68
	v_mul_i32_i24_e32 v128, v162, v188
	s_delay_alu instid0(VALU_DEP_4) | instskip(SKIP_3) | instid1(VALU_DEP_4)
	v_add3_u32 v103, v108, v107, v105
	v_cvt_f32_i32_e32 v5, v4
	v_mul_i32_i24_e32 v107, v159, v190
	v_mul_i32_i24_e32 v108, v160, v187
	v_cvt_f32_i32_e32 v103, v103
	v_cvt_f32_i32_e32 v4, v68
	v_mul_i32_i24_e32 v68, v184, v147
	s_delay_alu instid0(VALU_DEP_3) | instskip(SKIP_2) | instid1(VALU_DEP_3)
	v_pk_mul_f32 v[6:7], v[6:7], v[102:103]
	v_mul_i32_i24_e32 v102, v153, v193
	v_mul_i32_i24_e32 v103, v154, v186
	v_pk_fma_f32 v[2:3], v[2:3], v[4:5], v[6:7] neg_lo:[0,0,1] neg_hi:[0,0,1]
	s_delay_alu instid0(VALU_DEP_2) | instskip(SKIP_2) | instid1(VALU_DEP_4)
	v_add3_u32 v70, v70, v102, v103
	v_mul_i32_i24_e32 v102, v155, v182
	v_mul_i32_i24_e32 v103, v157, v183
	v_pk_fma_f32 v[16:17], v[0:1], v[2:3], v[16:17] op_sel_hi:[0,1,1]
	s_delay_alu instid0(VALU_DEP_3) | instskip(NEXT) | instid1(VALU_DEP_1)
	v_mad_i32_i24 v102, v156, v179, v102
	v_add3_u32 v106, v102, v103, v104
	ds_load_2addr_b32 v[102:103], v144 offset1:1
	ds_load_2addr_b32 v[104:105], v145 offset1:1
	ds_load_u16 v109, v146 offset:18928
	s_wait_dscnt 0x1
	v_dual_ashrrev_i32 v102, s18, v102 :: v_dual_ashrrev_i32 v104, s18, v104
	s_wait_dscnt 0x0
	v_lshrrev_b16 v110, 8, v109
	v_bfe_u32 v112, v109, 4, 4
	s_delay_alu instid0(VALU_DEP_3) | instskip(SKIP_1) | instid1(VALU_DEP_4)
	v_dual_ashrrev_i32 v105, s18, v105 :: v_dual_bitop2_b32 v113, 3, v102 bitop3:0x40
	v_lshrrev_b32_e32 v116, 8, v102
	v_and_b32_e32 v111, 0xffff, v110
	v_dual_lshrrev_b32 v115, 8, v104 :: v_dual_ashrrev_i32 v103, s18, v103
	s_delay_alu instid0(VALU_DEP_4) | instskip(SKIP_1) | instid1(VALU_DEP_4)
	v_mul_i32_i24_e32 v113, v113, v198
	v_dual_lshrrev_b32 v118, 16, v102 :: v_dual_bitop2_b32 v114, 3, v104 bitop3:0x40
	v_lshrrev_b32_e32 v111, 4, v111
	s_delay_alu instid0(VALU_DEP_4)
	v_and_b32_e32 v115, 3, v115
	v_dual_lshrrev_b32 v102, 24, v102 :: v_dual_bitop2_b32 v116, 3, v116 bitop3:0x40
	v_dual_lshrrev_b32 v117, 16, v104 :: v_dual_lshrrev_b32 v104, 24, v104
	v_add3_u32 v68, v70, v113, v68
	v_add3_u32 v70, v106, v107, v108
	v_mul_lo_u32 v112, 0x1010101, v112
	v_mul_lo_u32 v111, 0x1010101, v111
	v_dual_lshrrev_b32 v122, 8, v103 :: v_dual_bitop2_b32 v117, 3, v117 bitop3:0x40
	v_dual_lshrrev_b32 v121, 8, v105 :: v_dual_bitop2_b32 v118, 3, v118 bitop3:0x40
	;; [unrolled: 1-line block ×4, first 2 shown]
	v_mul_i32_i24_e32 v114, v114, v200
	v_mul_i32_i24_e32 v116, v116, v196
	;; [unrolled: 1-line block ×3, first 2 shown]
	v_add3_u32 v70, v70, v126, v128
	v_add3_u32 v68, v68, v125, v127
	v_dual_lshrrev_b32 v105, 24, v105 :: v_dual_bitop2_b32 v119, 3, v105 bitop3:0x40
	v_dual_lshrrev_b32 v103, 24, v103 :: v_dual_bitop2_b32 v120, 3, v103 bitop3:0x40
	v_and_b32_e32 v121, 3, v121
	v_dual_lshrrev_b32 v106, 24, v112 :: v_dual_bitop2_b32 v122, 3, v122 bitop3:0x40
	v_mul_i32_i24_e32 v118, v118, v197
	v_mul_i32_i24_e32 v117, v117, v199
	;; [unrolled: 1-line block ×4, first 2 shown]
	v_add3_u32 v68, v68, v129, v116
	v_add3_u32 v70, v70, v114, v115
	v_and_b32_e32 v123, 3, v123
	v_and_b32_e32 v124, 3, v124
	;; [unrolled: 1-line block ×4, first 2 shown]
	v_mul_i32_i24_e32 v120, v120, v206
	v_mul_i32_i24_e32 v119, v119, v208
	;; [unrolled: 1-line block ×3, first 2 shown]
	v_add3_u32 v70, v70, v117, v104
	v_add3_u32 v68, v68, v118, v102
	v_lshrrev_b32_e32 v102, 24, v111
	v_mul_i32_i24_e32 v121, v121, v209
	v_mul_i32_i24_e32 v124, v124, v205
	;; [unrolled: 1-line block ×5, first 2 shown]
	v_add3_u32 v68, v68, v120, v122
	v_add3_u32 v70, v70, v119, v121
	v_bfe_i32 v104, v111, 8, 8
	v_bfe_i32 v107, v112, 16, 8
	;; [unrolled: 1-line block ×3, first 2 shown]
	v_add3_u32 v68, v68, v124, v103
	v_add3_u32 v70, v70, v123, v105
	v_bfe_i32 v103, v111, 16, 8
	v_bfe_i32 v105, v111, 0, 8
	;; [unrolled: 1-line block ×3, first 2 shown]
	v_and_b32_e32 v109, 15, v109
	v_mul_i32_i24_e32 v107, v217, v107
	v_mul_i32_i24_e32 v106, v211, v106
	;; [unrolled: 1-line block ×4, first 2 shown]
	v_and_b32_e32 v109, 0xffff, v109
	v_mul_i32_i24_e32 v104, v212, v104
	v_and_b32_e32 v110, 15, v110
	v_mul_i32_i24_e32 v103, v215, v103
	v_mad_i32_i24 v108, v210, v108, v111
	v_mul_lo_u32 v68, v68, v109
	v_mul_i32_i24_e32 v102, v213, v102
	v_and_b32_e32 v110, 0xffff, v110
	v_mul_i32_i24_e32 v109, v177, v190
	v_add3_u32 v106, v108, v107, v106
	s_delay_alu instid0(VALU_DEP_1) | instskip(SKIP_3) | instid1(VALU_DEP_4)
	v_add3_u32 v104, v106, v105, v104
	v_mul_i32_i24_e32 v106, v184, v168
	v_mad_u32 v68, v70, v110, v68
	v_mul_i32_i24_e32 v110, v178, v187
	v_add3_u32 v102, v104, v103, v102
	v_mul_i32_i24_e32 v103, v171, v193
	v_mul_i32_i24_e32 v104, v172, v186
	s_delay_alu instid0(VALU_DEP_3) | instskip(SKIP_2) | instid1(VALU_DEP_3)
	v_cvt_f32_i32_e32 v70, v102
	v_mul_i32_i24_e32 v102, v169, v192
	v_cvt_f32_i32_e32 v68, v68
	v_mul_f32_e32 v70, v164, v70
	s_delay_alu instid0(VALU_DEP_3) | instskip(NEXT) | instid1(VALU_DEP_3)
	v_mad_i32_i24 v102, v170, v181, v102
	v_mul_f32_e32 v68, v163, v68
	s_delay_alu instid0(VALU_DEP_2) | instskip(SKIP_3) | instid1(VALU_DEP_3)
	v_add3_u32 v107, v102, v103, v104
	v_mul_i32_i24_e32 v102, v173, v182
	v_mul_i32_i24_e32 v103, v175, v183
	;; [unrolled: 1-line block ×3, first 2 shown]
	v_mad_i32_i24 v102, v174, v179, v102
	s_delay_alu instid0(VALU_DEP_1)
	v_add3_u32 v108, v102, v103, v104
	ds_load_2addr_b32 v[102:103], v165 offset1:1
	ds_load_2addr_b32 v[104:105], v166 offset1:1
	ds_load_u16 v111, v167 offset:19952
	s_wait_dscnt 0x1
	v_dual_ashrrev_i32 v102, s18, v102 :: v_dual_ashrrev_i32 v104, s18, v104
	s_wait_dscnt 0x0
	v_lshrrev_b16 v112, 8, v111
	v_bfe_u32 v114, v111, 4, 4
	s_delay_alu instid0(VALU_DEP_3) | instskip(SKIP_1) | instid1(VALU_DEP_4)
	v_dual_ashrrev_i32 v105, s18, v105 :: v_dual_bitop2_b32 v115, 3, v102 bitop3:0x40
	v_lshrrev_b32_e32 v118, 8, v102
	v_and_b32_e32 v113, 0xffff, v112
	v_dual_lshrrev_b32 v119, 16, v104 :: v_dual_bitop2_b32 v116, 3, v104 bitop3:0x40
	v_lshrrev_b32_e32 v117, 8, v104
	v_mul_i32_i24_e32 v115, v115, v198
	s_delay_alu instid0(VALU_DEP_4) | instskip(SKIP_3) | instid1(VALU_DEP_4)
	v_lshrrev_b32_e32 v113, 4, v113
	v_mul_lo_u32 v114, 0x1010101, v114
	v_dual_lshrrev_b32 v104, 24, v104 :: v_dual_bitop2_b32 v118, 3, v118 bitop3:0x40
	v_dual_lshrrev_b32 v120, 16, v102 :: v_dual_bitop2_b32 v117, 3, v117 bitop3:0x40
	v_mul_lo_u32 v113, 0x1010101, v113
	v_dual_lshrrev_b32 v102, 24, v102 :: v_dual_bitop2_b32 v119, 3, v119 bitop3:0x40
	v_add3_u32 v106, v107, v115, v106
	s_delay_alu instid0(VALU_DEP_4) | instskip(SKIP_1) | instid1(VALU_DEP_4)
	v_dual_lshrrev_b32 v123, 8, v105 :: v_dual_bitop2_b32 v120, 3, v120 bitop3:0x40
	v_mul_i32_i24_e32 v77, v118, v196
	v_dual_lshrrev_b32 v125, 16, v105 :: v_dual_bitop2_b32 v102, 3, v102 bitop3:0x40
	s_delay_alu instid0(VALU_DEP_4)
	v_add3_u32 v72, v106, v73, v72
	v_ashrrev_i32_e32 v103, s18, v103
	v_dual_lshrrev_b32 v127, 24, v113 :: v_dual_bitop2_b32 v123, 3, v123 bitop3:0x40
	v_lshrrev_b16 v128, 8, v114
	v_mul_i32_i24_e32 v118, v120, v197
	v_mul_i32_i24_e32 v102, v102, v195
	v_add3_u32 v107, v108, v109, v110
	v_add3_u32 v71, v72, v71, v77
	v_dual_lshrrev_b32 v124, 8, v103 :: v_dual_bitop2_b32 v104, 3, v104 bitop3:0x40
	v_and_b32_e32 v125, 3, v125
	v_bfe_i32 v129, v114, 0, 8
	v_bfe_i32 v130, v114, 16, 8
	v_lshrrev_b32_e32 v114, 24, v114
	v_bfe_i32 v131, v113, 16, 8
	v_bfe_i32 v132, v113, 8, 8
	;; [unrolled: 1-line block ×4, first 2 shown]
	v_mul_i32_i24_e32 v116, v116, v200
	v_mul_i32_i24_e32 v117, v117, v201
	v_add3_u32 v75, v107, v76, v75
	v_add3_u32 v71, v71, v118, v102
	v_mul_i32_i24_e32 v102, v213, v127
	v_dual_lshrrev_b32 v126, 16, v103 :: v_dual_bitop2_b32 v121, 3, v105 bitop3:0x40
	v_dual_lshrrev_b32 v105, 24, v105 :: v_dual_bitop2_b32 v122, 3, v103 bitop3:0x40
	;; [unrolled: 1-line block ×3, first 2 shown]
	v_add3_u32 v72, v75, v116, v117
	v_mul_i32_i24_e32 v73, v210, v128
	v_mul_i32_i24_e32 v75, v214, v113
	;; [unrolled: 1-line block ×4, first 2 shown]
	v_mad_i32_i24 v102, v211, v114, v102
	v_and_b32_e32 v126, 3, v126
	v_and_b32_e32 v103, 3, v103
	v_mul_i32_i24_e32 v120, v122, v206
	v_mul_i32_i24_e32 v122, v124, v204
	v_mad_i32_i24 v77, v217, v130, v77
	v_mad_i32_i24 v75, v216, v129, v75
	v_add3_u32 v73, v73, v76, v102
	v_mul_i32_i24_e32 v124, v126, v205
	v_mul_i32_i24_e32 v103, v103, v203
	v_add3_u32 v71, v71, v120, v122
	v_mul_i32_i24_e32 v119, v119, v199
	v_add3_u32 v75, v75, v77, v73
	v_and_b32_e32 v73, 15, v111
	v_mul_i32_i24_e32 v104, v104, v194
	v_add3_u32 v71, v71, v124, v103
	v_and_b32_e32 v105, 3, v105
	v_mul_i32_i24_e32 v121, v121, v208
	v_and_b32_e32 v73, 0xffff, v73
	v_mul_i32_i24_e32 v123, v123, v209
	v_add3_u32 v72, v72, v119, v104
	v_mul_i32_i24_e32 v125, v125, v207
	v_mul_i32_i24_e32 v105, v105, v202
	v_mul_lo_u32 v71, v71, v73
	v_and_b32_e32 v76, 15, v112
	v_add3_u32 v72, v72, v121, v123
	v_cvt_f32_i32_e32 v77, v75
	s_add_co_i32 s18, s1, 2
	s_cmp_lt_u32 s1, 30
	v_and_b32_e32 v76, 0xffff, v76
	v_add3_u32 v72, v72, v125, v105
	s_mov_b32 s1, s18
	s_delay_alu instid0(VALU_DEP_1) | instskip(SKIP_2) | instid1(VALU_DEP_1)
	v_mad_u32 v71, v72, v76, v71
	v_cvt_f32_f16_e32 v72, v69
	v_lshrrev_b32_e32 v69, 16, v69
	v_cvt_f32_f16_e32 v73, v69
	s_delay_alu instid0(VALU_DEP_4) | instskip(NEXT) | instid1(VALU_DEP_1)
	v_cvt_f32_i32_e32 v76, v71
	v_pk_mul_f32 v[72:73], v[72:73], v[76:77]
	s_delay_alu instid0(VALU_DEP_1) | instskip(NEXT) | instid1(VALU_DEP_1)
	v_dual_mov_b32 v69, v72 :: v_dual_mov_b32 v71, v73
	v_pk_add_f32 v[4:5], v[68:69], v[70:71] neg_lo:[0,1] neg_hi:[0,1]
	s_delay_alu instid0(VALU_DEP_1)
	v_pk_fma_f32 v[14:15], v[0:1], v[4:5], v[14:15] op_sel_hi:[0,1,1]
	v_add_nc_u32_e32 v1, 32, v1
	s_cbranch_scc1 .LBB208_35
; %bb.36:                               ;   in Loop: Header=BB208_5 Depth=1
	s_barrier_signal -1
	s_barrier_wait -1
	s_branch .LBB208_4
.LBB208_37:
	v_mov_b32_e32 v16, 0
	s_delay_alu instid0(VALU_DEP_1)
	v_dual_mov_b32 v17, v16 :: v_dual_mov_b32 v14, v16
	v_mov_b32_e32 v15, v16
.LBB208_38:
	s_mul_i32 s0, s10, s7
	s_wait_loadcnt 0x0
	v_cmp_gt_i32_e32 vcc_lo, s0, v11
	s_wait_xcnt 0x0
	s_and_saveexec_b32 s0, vcc_lo
	s_cbranch_execz .LBB208_47
; %bb.39:
	v_mul_lo_u32 v0, v11, s9
	v_add_nc_u32_e32 v1, s11, v23
	s_mov_b32 s0, exec_lo
	s_delay_alu instid0(VALU_DEP_1)
	v_cmpx_gt_u32_e64 s9, v1
	s_cbranch_execz .LBB208_41
; %bb.40:
	s_delay_alu instid0(VALU_DEP_3)
	v_add_nc_u32_e32 v2, v0, v1
	v_cvt_f16_f32_e32 v3, v16
	global_store_b16 v2, v3, s[12:13] scale_offset
.LBB208_41:
	s_wait_xcnt 0x0
	s_or_b32 exec_lo, exec_lo, s0
	v_add_nc_u32_e32 v2, 32, v1
	s_mov_b32 s0, exec_lo
	s_delay_alu instid0(VALU_DEP_1)
	v_cmpx_gt_u32_e64 s9, v2
	s_cbranch_execz .LBB208_43
; %bb.42:
	v_add_nc_u32_e32 v2, v0, v2
	v_cvt_f16_f32_e32 v3, v17
	global_store_b16 v2, v3, s[12:13] scale_offset
.LBB208_43:
	s_wait_xcnt 0x0
	s_or_b32 exec_lo, exec_lo, s0
	v_add_nc_u32_e32 v2, 64, v1
	s_mov_b32 s0, exec_lo
	s_delay_alu instid0(VALU_DEP_1)
	v_cmpx_gt_u32_e64 s9, v2
	s_cbranch_execz .LBB208_45
; %bb.44:
	v_add_nc_u32_e32 v2, v0, v2
	v_cvt_f16_f32_e32 v3, v14
	global_store_b16 v2, v3, s[12:13] scale_offset
.LBB208_45:
	s_wait_xcnt 0x0
	s_or_b32 exec_lo, exec_lo, s0
	v_add_nc_u32_e32 v1, 0x60, v1
	s_delay_alu instid0(VALU_DEP_1)
	v_cmp_gt_u32_e32 vcc_lo, s9, v1
	s_and_b32 exec_lo, exec_lo, vcc_lo
	s_cbranch_execz .LBB208_47
; %bb.46:
	v_add_nc_u32_e32 v0, v0, v1
	v_cvt_f16_f32_e32 v1, v15
	global_store_b16 v0, v1, s[12:13] scale_offset
.LBB208_47:
	s_sendmsg sendmsg(MSG_DEALLOC_VGPRS)
	s_endpgm
	.section	.rodata,"a",@progbits
	.p2align	6, 0x0
	.amdhsa_kernel _ZL8moe_q2_KIN3c104HalfELb1EEvPKvS3_PT_PKiS7_S7_iiiiiii
		.amdhsa_group_segment_fixed_size 23328
		.amdhsa_private_segment_fixed_size 0
		.amdhsa_kernarg_size 76
		.amdhsa_user_sgpr_count 2
		.amdhsa_user_sgpr_dispatch_ptr 0
		.amdhsa_user_sgpr_queue_ptr 0
		.amdhsa_user_sgpr_kernarg_segment_ptr 1
		.amdhsa_user_sgpr_dispatch_id 0
		.amdhsa_user_sgpr_kernarg_preload_length 0
		.amdhsa_user_sgpr_kernarg_preload_offset 0
		.amdhsa_user_sgpr_private_segment_size 0
		.amdhsa_wavefront_size32 1
		.amdhsa_uses_dynamic_stack 0
		.amdhsa_enable_private_segment 0
		.amdhsa_system_sgpr_workgroup_id_x 1
		.amdhsa_system_sgpr_workgroup_id_y 1
		.amdhsa_system_sgpr_workgroup_id_z 0
		.amdhsa_system_sgpr_workgroup_info 0
		.amdhsa_system_vgpr_workitem_id 1
		.amdhsa_next_free_vgpr 249
		.amdhsa_next_free_sgpr 24
		.amdhsa_named_barrier_count 0
		.amdhsa_reserve_vcc 1
		.amdhsa_float_round_mode_32 0
		.amdhsa_float_round_mode_16_64 0
		.amdhsa_float_denorm_mode_32 3
		.amdhsa_float_denorm_mode_16_64 3
		.amdhsa_fp16_overflow 0
		.amdhsa_memory_ordered 1
		.amdhsa_forward_progress 1
		.amdhsa_inst_pref_size 163
		.amdhsa_round_robin_scheduling 0
		.amdhsa_exception_fp_ieee_invalid_op 0
		.amdhsa_exception_fp_denorm_src 0
		.amdhsa_exception_fp_ieee_div_zero 0
		.amdhsa_exception_fp_ieee_overflow 0
		.amdhsa_exception_fp_ieee_underflow 0
		.amdhsa_exception_fp_ieee_inexact 0
		.amdhsa_exception_int_div_zero 0
	.end_amdhsa_kernel
	.section	.text._ZL8moe_q2_KIN3c104HalfELb1EEvPKvS3_PT_PKiS7_S7_iiiiiii,"axG",@progbits,_ZL8moe_q2_KIN3c104HalfELb1EEvPKvS3_PT_PKiS7_S7_iiiiiii,comdat
.Lfunc_end208:
	.size	_ZL8moe_q2_KIN3c104HalfELb1EEvPKvS3_PT_PKiS7_S7_iiiiiii, .Lfunc_end208-_ZL8moe_q2_KIN3c104HalfELb1EEvPKvS3_PT_PKiS7_S7_iiiiiii
                                        ; -- End function
	.set _ZL8moe_q2_KIN3c104HalfELb1EEvPKvS3_PT_PKiS7_S7_iiiiiii.num_vgpr, 249
	.set _ZL8moe_q2_KIN3c104HalfELb1EEvPKvS3_PT_PKiS7_S7_iiiiiii.num_agpr, 0
	.set _ZL8moe_q2_KIN3c104HalfELb1EEvPKvS3_PT_PKiS7_S7_iiiiiii.numbered_sgpr, 24
	.set _ZL8moe_q2_KIN3c104HalfELb1EEvPKvS3_PT_PKiS7_S7_iiiiiii.num_named_barrier, 0
	.set _ZL8moe_q2_KIN3c104HalfELb1EEvPKvS3_PT_PKiS7_S7_iiiiiii.private_seg_size, 0
	.set _ZL8moe_q2_KIN3c104HalfELb1EEvPKvS3_PT_PKiS7_S7_iiiiiii.uses_vcc, 1
	.set _ZL8moe_q2_KIN3c104HalfELb1EEvPKvS3_PT_PKiS7_S7_iiiiiii.uses_flat_scratch, 0
	.set _ZL8moe_q2_KIN3c104HalfELb1EEvPKvS3_PT_PKiS7_S7_iiiiiii.has_dyn_sized_stack, 0
	.set _ZL8moe_q2_KIN3c104HalfELb1EEvPKvS3_PT_PKiS7_S7_iiiiiii.has_recursion, 0
	.set _ZL8moe_q2_KIN3c104HalfELb1EEvPKvS3_PT_PKiS7_S7_iiiiiii.has_indirect_call, 0
	.section	.AMDGPU.csdata,"",@progbits
; Kernel info:
; codeLenInByte = 20760
; TotalNumSgprs: 26
; NumVgprs: 249
; ScratchSize: 0
; MemoryBound: 0
; FloatMode: 240
; IeeeMode: 1
; LDSByteSize: 23328 bytes/workgroup (compile time only)
; SGPRBlocks: 0
; VGPRBlocks: 15
; NumSGPRsForWavesPerEU: 26
; NumVGPRsForWavesPerEU: 249
; NamedBarCnt: 0
; Occupancy: 4
; WaveLimiterHint : 1
; COMPUTE_PGM_RSRC2:SCRATCH_EN: 0
; COMPUTE_PGM_RSRC2:USER_SGPR: 2
; COMPUTE_PGM_RSRC2:TRAP_HANDLER: 0
; COMPUTE_PGM_RSRC2:TGID_X_EN: 1
; COMPUTE_PGM_RSRC2:TGID_Y_EN: 1
; COMPUTE_PGM_RSRC2:TGID_Z_EN: 0
; COMPUTE_PGM_RSRC2:TIDIG_COMP_CNT: 1
	.section	.text._ZL8moe_q3_KIN3c104HalfELb0EEvPKvS3_PT_PKiS7_S7_iiiiiii,"axG",@progbits,_ZL8moe_q3_KIN3c104HalfELb0EEvPKvS3_PT_PKiS7_S7_iiiiiii,comdat
	.globl	_ZL8moe_q3_KIN3c104HalfELb0EEvPKvS3_PT_PKiS7_S7_iiiiiii ; -- Begin function _ZL8moe_q3_KIN3c104HalfELb0EEvPKvS3_PT_PKiS7_S7_iiiiiii
	.p2align	8
	.type	_ZL8moe_q3_KIN3c104HalfELb0EEvPKvS3_PT_PKiS7_S7_iiiiiii,@function
_ZL8moe_q3_KIN3c104HalfELb0EEvPKvS3_PT_PKiS7_S7_iiiiiii: ; @_ZL8moe_q3_KIN3c104HalfELb0EEvPKvS3_PT_PKiS7_S7_iiiiiii
; %bb.0:
	s_load_b128 s[4:7], s[0:1], 0x18
	s_bfe_u32 s2, ttmp6, 0x40010
	s_bfe_u32 s8, ttmp6, 0x40004
	s_add_co_i32 s2, s2, 1
	s_delay_alu instid0(SALU_CYCLE_1)
	s_mul_i32 s3, ttmp7, s2
	s_getreg_b32 s2, hwreg(HW_REG_IB_STS2, 6, 4)
	s_add_co_i32 s8, s8, s3
	s_cmp_eq_u32 s2, 0
	s_cselect_b32 s3, ttmp7, s8
	s_wait_kmcnt 0x0
	s_load_b32 s12, s[6:7], s3 offset:0x0 scale_offset
	s_wait_kmcnt 0x0
	s_cmp_gt_u32 s12, 0xff
	s_cbranch_scc1 .LBB209_47
; %bb.1:
	s_load_b64 s[6:7], s[0:1], 0x28
	s_lshl_b32 s3, s3, 3
	s_wait_kmcnt 0x0
	s_load_b32 s6, s[6:7], 0x0
	s_wait_kmcnt 0x0
	s_cmp_gt_u32 s3, s6
	s_cbranch_scc1 .LBB209_47
; %bb.2:
	v_bfe_u32 v1, v0, 10, 10
	s_and_b32 s13, ttmp6, 15
	v_and_b32_e32 v11, 0x3ff, v0
	s_delay_alu instid0(VALU_DEP_2) | instskip(SKIP_1) | instid1(SALU_CYCLE_1)
	v_add_nc_u32_e32 v2, s3, v1
	s_bfe_u32 s3, ttmp6, 0x4000c
	s_add_co_i32 s3, s3, 1
	s_delay_alu instid0(SALU_CYCLE_1)
	s_mul_i32 s3, ttmp9, s3
	global_load_b32 v9, v2, s[4:5] scale_offset
	s_clause 0x2
	s_load_b64 s[10:11], s[0:1], 0x30
	s_load_b64 s[8:9], s[0:1], 0x10
	s_load_b128 s[4:7], s[0:1], 0x3c
	s_add_co_i32 s13, s13, s3
	s_cmp_eq_u32 s2, 0
	s_cselect_b32 s2, ttmp9, s13
	s_mov_b32 s13, 0
	s_lshl_b32 s18, s2, 7
	s_wait_kmcnt 0x0
	s_cmp_lt_i32 s11, 0x100
	s_cbranch_scc1 .LBB209_37
; %bb.3:
	v_bfe_u32 v8, v0, 4, 6
	v_dual_lshlrev_b32 v5, 4, v1 :: v_dual_bitop2_b32 v4, 15, v0 bitop3:0x40
	v_dual_lshlrev_b32 v2, 1, v1 :: v_dual_bitop2_b32 v10, 1, v0 bitop3:0x40
	v_bfe_u32 v6, v0, 1, 9
	s_load_b128 s[0:3], s[0:1], 0x0
	v_dual_mov_b32 v13, 0 :: v_dual_lshlrev_b32 v7, 2, v11
	s_delay_alu instid0(VALU_DEP_2)
	v_dual_lshlrev_b32 v15, 2, v10 :: v_dual_add_nc_u32 v3, v6, v5
	v_add_nc_u16 v14, v8, v2
	v_lshlrev_b32_e32 v12, 2, v4
	s_mul_i32 s16, s12, s10
	v_dual_add_nc_u32 v64, 64, v11 :: v_dual_add_nc_u32 v66, 32, v11
	v_and_b32_e32 v58, 0x7f, v3
	v_lshrrev_b32_e32 v3, 2, v3
	v_lshrrev_b16 v14, 1, v14
	v_add_nc_u32_e32 v60, v8, v2
	s_ashr_i32 s17, s16, 31
	v_lshl_or_b32 v2, v58, 3, v15
	v_and_b32_e32 v3, 28, v3
	v_and_b32_e32 v15, 0xffff, v14
	v_dual_add_nc_u32 v16, 16, v60 :: v_dual_add_nc_u32 v17, 32, v60
	v_and_b32_e32 v84, 7, v0
	s_delay_alu instid0(VALU_DEP_4) | instskip(NEXT) | instid1(VALU_DEP_4)
	v_add3_u32 v29, v2, v3, 0x7380
	v_dual_lshlrev_b32 v2, 2, v15 :: v_dual_add_nc_u32 v18, 48, v60
	s_delay_alu instid0(VALU_DEP_4)
	v_lshlrev_b32_e32 v3, 1, v16
	s_wait_kmcnt 0x0
	s_add_nc_u64 s[16:17], s[0:1], s[16:17]
	s_abs_i32 s0, s7
	v_add3_u32 v19, v2, v12, 0x4200
	v_lshlrev_b32_e32 v21, 1, v18
	v_and_b32_e32 v2, 0x3ffc, v3
	v_dual_lshlrev_b32 v3, 1, v17 :: v_dual_lshlrev_b32 v20, 6, v60
	v_dual_lshlrev_b32 v23, 6, v16 :: v_dual_lshlrev_b32 v26, 6, v17
	s_delay_alu instid0(VALU_DEP_3) | instskip(NEXT) | instid1(VALU_DEP_3)
	v_add3_u32 v22, v2, v12, 0x4200
	v_and_b32_e32 v2, 0x3ffc, v3
	v_and_b32_e32 v3, 0x3ffc, v21
	v_add_nc_u32_e32 v16, 64, v60
	v_add_nc_u32_e32 v21, 0x50, v60
	s_cvt_f32_u32 s19, s0
	v_add3_u32 v24, v2, v12, 0x4200
	v_add3_u32 v27, v3, v12, 0x4200
	s_delay_alu instid0(VALU_DEP_3) | instskip(SKIP_3) | instid1(VALU_DEP_3)
	v_dual_lshlrev_b32 v2, 1, v16 :: v_dual_lshlrev_b32 v3, 1, v21
	v_rcp_iflag_f32_e32 v28, s19
	v_add_nc_u32_e32 v17, 0x60, v60
	v_lshlrev_b32_e32 v18, 6, v18
	v_and_b32_e32 v2, 0x3ffc, v2
	v_and_b32_e32 v3, 0x3ffc, v3
	s_sub_co_i32 s20, 0, s0
	v_lshlrev_b32_e32 v30, 1, v17
	v_readfirstlane_b32 s19, v28
	v_and_b32_e32 v28, 3, v0
	v_add3_u32 v36, v3, v12, 0x4200
	v_add3_u32 v32, v2, v12, 0x4200
	v_and_b32_e32 v3, 0x3ffc, v30
	s_mul_f32 s19, s19, 0x4f7ffffe
	v_cmp_gt_u32_e32 vcc_lo, 2, v28
	v_add_nc_u32_e32 v2, 0x70, v60
	v_lshlrev_b32_e32 v34, 6, v16
	v_add3_u32 v30, v3, v12, 0x4200
	v_add_nc_u16 v3, v28, -2
	s_wait_loadcnt 0x0
	v_sub_nc_u32_e32 v31, 0, v9
	s_cvt_u32_f32 s19, s19
	v_dual_lshlrev_b32 v16, 1, v2 :: v_dual_lshlrev_b32 v14, 2, v84
	v_mov_b32_e32 v15, v13
	s_delay_alu instid0(SALU_CYCLE_1)
	s_mul_i32 s20, s20, s19
	v_dual_cndmask_b32 v3, v3, v28, vcc_lo :: v_dual_max_i32 v35, v9, v31
	s_mul_hi_u32 s20, s19, s20
	v_bfe_u32 v31, v0, 3, 7
	s_add_co_i32 s19, s19, s20
	v_and_b32_e32 v16, 0x3ffc, v16
	v_mul_hi_u32 v37, v35, s19
	v_and_b32_e32 v3, 0xff, v3
	v_lshl_add_u32 v68, v1, 2, v31
	v_lshlrev_b32_e32 v42, 6, v2
	v_add3_u32 v40, v16, v12, 0x4200
	s_ashr_i32 s14, s11, 31
	v_lshlrev_b32_e32 v16, 2, v3
	v_and_b32_e32 v2, 0x1ffc, v68
	v_add_nc_u32_e32 v3, 32, v68
	v_add_nc_u32_e32 v41, 0x60, v68
	v_dual_lshlrev_b32 v46, 5, v68 :: v_dual_lshlrev_b32 v49, 5, v11
	v_add_nc_u32_e32 v51, v19, v20
	v_add3_u32 v44, v2, v14, 0x6300
	v_add_nc_u32_e32 v2, 64, v68
	v_dual_lshlrev_b32 v33, 1, v28 :: v_dual_lshlrev_b32 v50, 5, v3
	v_mul_lo_u32 v28, v37, s0
	v_and_b32_e32 v39, 0x3ffc, v3
	s_delay_alu instid0(VALU_DEP_4)
	v_and_b32_e32 v43, 0x3ffc, v2
	v_lshlrev_b32_e32 v54, 5, v2
	v_and_b32_e32 v45, 0x1fc, v64
	s_lshr_b32 s10, s14, 24
	v_add3_u32 v48, v39, v14, 0x6300
	v_xor_b32_e32 v39, s7, v9
	v_add3_u32 v52, v43, v14, 0x6300
	s_add_co_i32 s10, s11, s10
	v_dual_add_nc_u32 v45, v49, v45 :: v_dual_sub_nc_u32 v28, v35, v28
	v_add_nc_u32_e32 v35, 1, v37
	s_ashr_i32 s10, s10, 8
	s_ashr_i32 s15, s5, 31
	s_lshl_b32 s1, s10, 3
	v_subrev_nc_u32_e32 v2, s0, v28
	v_cmp_le_u32_e32 vcc_lo, s0, v28
	s_lshr_b32 s12, s15, 27
	v_dual_add_nc_u32 v55, v24, v26 :: v_dual_lshlrev_b32 v76, 4, v64
	v_mad_i32_i24 v24, s10, v1, s1
	v_dual_cndmask_b32 v28, v28, v2 :: v_dual_lshlrev_b32 v21, 6, v21
	v_dual_mov_b32 v18, v13 :: v_dual_add_nc_u32 v57, v27, v18
	v_and_b32_e32 v3, 0x3ffc, v41
	v_lshlrev_b32_e32 v62, 5, v41
	s_add_co_i32 s5, s5, s12
	v_mad_u32_u24 v25, 0x84, v1, v7
	s_ashr_i32 s5, s5, 5
	v_add3_u32 v56, v3, v14, 0x6300
	v_dual_cndmask_b32 v3, v37, v35, vcc_lo :: v_dual_bitop2_b32 v37, 31, v0 bitop3:0x40
	v_cmp_le_u32_e32 vcc_lo, s0, v28
	v_dual_add_nc_u32 v53, v22, v23 :: v_dual_lshrrev_b32 v70, 1, v66
	s_delay_alu instid0(VALU_DEP_3) | instskip(SKIP_1) | instid1(VALU_DEP_2)
	v_dual_add_nc_u32 v41, 1, v3 :: v_dual_add_nc_u32 v65, v40, v42
	v_dual_mov_b32 v19, v13 :: v_dual_lshrrev_b32 v40, 4, v64
	v_dual_mov_b32 v20, v13 :: v_dual_cndmask_b32 v28, v3, v41, vcc_lo
	v_dual_mov_b32 v3, v13 :: v_dual_ashrrev_i32 v43, 31, v39
	v_add_nc_u32_e32 v39, 0x7ba0, v5
	v_dual_lshlrev_b32 v38, 6, v17 :: v_dual_bitop2_b32 v2, 28, v7 bitop3:0x40
	v_add_nc_u32_e32 v59, v32, v34
	s_delay_alu instid0(VALU_DEP_4) | instskip(SKIP_2) | instid1(VALU_DEP_3)
	v_xor_b32_e32 v5, v28, v43
	v_add_nc_u32_e32 v28, 0x60, v11
	v_dual_add_nc_u32 v41, v39, v7 :: v_dual_lshlrev_b32 v7, 4, v66
	v_dual_add_nc_u32 v67, v44, v46 :: v_dual_sub_nc_u32 v5, v5, v43
	s_delay_alu instid0(VALU_DEP_3)
	v_and_b32_e32 v43, 0x1fc, v28
	v_dual_lshlrev_b32 v42, 4, v28 :: v_dual_add_nc_u32 v69, v48, v50
	v_dual_lshrrev_b32 v44, 1, v28 :: v_dual_add_nc_u32 v71, v52, v54
	v_lshlrev_b32_e32 v46, 1, v28
	v_mul_lo_u32 v22, v5, s5
	v_dual_add_nc_u32 v73, v56, v62 :: v_dual_lshrrev_b32 v48, 4, v28
	v_lshrrev_b32_e32 v79, 3, v28
	v_dual_add_nc_u32 v28, s1, v24 :: v_dual_add_nc_u32 v63, v30, v38
	v_lshlrev_b32_e32 v38, 1, v64
	v_add_nc_u64_e32 v[26:27], s[2:3], v[2:3]
	s_delay_alu instid0(VALU_DEP_3) | instskip(SKIP_2) | instid1(VALU_DEP_3)
	v_dual_lshlrev_b32 v2, 1, v11 :: v_dual_add_nc_u32 v30, s1, v28
	v_dual_add_nc_u32 v61, v36, v21 :: v_dual_mov_b32 v21, v13
	v_dual_lshrrev_b32 v36, 1, v64 :: v_dual_lshlrev_b32 v98, 2, v7
	v_add_nc_u32_e32 v32, s1, v30
	v_dual_lshlrev_b32 v97, 2, v70 :: v_dual_lshlrev_b32 v102, 2, v76
	v_dual_lshlrev_b32 v104, 2, v38 :: v_dual_lshlrev_b32 v103, 2, v40
	s_delay_alu instid0(VALU_DEP_3) | instskip(SKIP_3) | instid1(VALU_DEP_3)
	v_dual_lshlrev_b32 v106, 2, v42 :: v_dual_add_nc_u32 v34, s1, v32
	v_lshlrev_b32_e32 v101, 2, v36
	v_dual_lshlrev_b32 v105, 2, v44 :: v_dual_lshlrev_b32 v108, 2, v46
	s_lshl_b32 s12, s10, 4
	v_add_nc_u32_e32 v36, s1, v34
	v_mad_i32_i24 v46, s10, v60, s12
	v_and_b32_e32 v47, 0x1fc, v66
	v_dual_lshlrev_b32 v72, 1, v66 :: v_dual_lshrrev_b32 v74, 4, v66
	s_delay_alu instid0(VALU_DEP_4) | instskip(NEXT) | instid1(VALU_DEP_4)
	v_add_nc_u32_e32 v38, s1, v36
	v_dual_lshlrev_b32 v107, 2, v48 :: v_dual_add_nc_u32 v50, s12, v46
	v_dual_lshrrev_b32 v75, 3, v66 :: v_dual_lshrrev_b32 v77, 3, v64
	s_delay_alu instid0(VALU_DEP_3) | instskip(SKIP_1) | instid1(VALU_DEP_3)
	v_add_nc_u32_e32 v42, s1, v38
	s_lshl_b32 s19, s10, 5
	v_add_nc_u32_e32 v54, s12, v50
	v_and_b32_e32 v0, 0xfc, v0
	v_dual_lshlrev_b32 v99, 2, v74 :: v_dual_lshlrev_b32 v100, 2, v72
	v_add_nc_u32_e32 v44, s1, v42
	s_delay_alu instid0(VALU_DEP_4) | instskip(SKIP_2) | instid1(VALU_DEP_4)
	v_add_nc_u32_e32 v62, s12, v54
	v_mul_i32_i24_e32 v64, s10, v68
	v_mad_i32_i24 v68, s10, v68, s19
	v_dual_add_nc_u32 v43, v49, v43 :: v_dual_add_nc_u32 v48, s1, v44
	s_delay_alu instid0(VALU_DEP_4) | instskip(SKIP_2) | instid1(VALU_DEP_4)
	v_dual_add_nc_u32 v70, s12, v62 :: v_dual_add_nc_u32 v47, v49, v47
	v_add_nc_u32_e32 v49, v49, v0
	v_mul_u32_u24_e32 v0, 33, v11
	v_add_nc_u32_e32 v52, s1, v48
	s_delay_alu instid0(VALU_DEP_4) | instskip(SKIP_2) | instid1(VALU_DEP_4)
	v_dual_lshlrev_b32 v127, 2, v8 :: v_dual_add_nc_u32 v74, s12, v70
	v_add_nc_u32_e32 v76, s19, v68
	v_lshl_add_u32 v35, v1, 7, 0x77a0
	v_add_nc_u32_e32 v56, s1, v52
	v_dual_lshlrev_b32 v81, 2, v0 :: v_dual_lshlrev_b32 v0, 4, v11
	s_mul_i32 s14, s10, s18
	v_cmp_gt_u32_e32 vcc_lo, 4, v11
	s_delay_alu instid0(VALU_DEP_3)
	v_add_nc_u32_e32 v66, s1, v56
	v_cmp_gt_i32_e64 s0, s4, v5
	s_ashr_i32 s15, s14, 31
	v_mov_b32_e32 v17, v13
	v_lshl_add_u32 v37, v37, 2, v35
	v_add_nc_u32_e32 v72, s1, v66
	v_ashrrev_i32_e32 v23, 31, v22
	v_dual_lshlrev_b32 v83, 2, v6 :: v_dual_lshlrev_b32 v85, 2, v0
	v_dual_lshlrev_b32 v96, 2, v2 :: v_dual_bitop2_b32 v87, 4, v2 bitop3:0x40
	s_delay_alu instid0(VALU_DEP_4)
	v_dual_add_nc_u32 v78, s1, v72 :: v_dual_add_nc_u32 v82, s12, v74
	v_cmp_lt_u32_e64 s1, 7, v4
	v_mul_i32_i24_e32 v40, s10, v1
	v_add_nc_u32_e32 v109, 0x420, v25
	v_add_nc_u32_e32 v110, 0x840, v25
	;; [unrolled: 1-line block ×3, first 2 shown]
	v_cndmask_b32_e64 v80, 0, 1, s1
	v_cmp_lt_u32_e64 s1, 3, v84
	v_add_nc_u32_e32 v112, 0x1080, v25
	v_add_nc_u32_e32 v113, 0x14a0, v25
	;; [unrolled: 1-line block ×12, first 2 shown]
	v_mul_i32_i24_e32 v58, s10, v58
	v_mul_i32_i24_e32 v60, s10, v60
	v_add_nc_u32_e32 v124, 0x6f00, v43
	v_add_nc_u32_e32 v125, 0x6700, v47
	;; [unrolled: 1-line block ×3, first 2 shown]
	v_cndmask_b32_e64 v84, 0, 1, s1
	v_add_nc_u32_e32 v86, s19, v76
	s_mul_u64 s[14:15], s[14:15], 0x6e
	s_and_b32 s19, vcc_lo, s0
	s_add_nc_u64 s[14:15], s[16:17], s[14:15]
	s_mov_b32 s12, s13
	s_branch .LBB209_5
.LBB209_4:                              ;   in Loop: Header=BB209_5 Depth=1
	s_add_co_i32 s12, s12, 2
	s_delay_alu instid0(SALU_CYCLE_1)
	s_cmp_ge_i32 s12, s10
	s_cbranch_scc1 .LBB209_38
.LBB209_5:                              ; =>This Loop Header: Depth=1
                                        ;     Child Loop BB209_11 Depth 2
                                        ;     Child Loop BB209_19 Depth 2
	;; [unrolled: 1-line block ×4, first 2 shown]
	s_mul_u64 s[16:17], s[12:13], 0x6e
	s_delay_alu instid0(SALU_CYCLE_1) | instskip(NEXT) | instid1(SALU_CYCLE_1)
	s_add_nc_u64 s[16:17], s[14:15], s[16:17]
	v_mad_nc_u64_u32 v[0:1], 0x6e, v8, s[16:17]
	v_mad_nc_u64_u32 v[2:3], 0x6e, v58, s[16:17]
	;; [unrolled: 1-line block ×4, first 2 shown]
	s_lshl_b32 s16, s12, 8
	s_delay_alu instid0(SALU_CYCLE_1) | instskip(NEXT) | instid1(VALU_DEP_4)
	s_cmp_lt_i32 s16, s11
	v_mad_nc_u64_u32 v[88:89], 0x6e, v40, v[0:1]
	v_mad_nc_u64_u32 v[90:91], 0x6e, v24, v[0:1]
	;; [unrolled: 1-line block ×11, first 2 shown]
	v_add_nc_u64_e32 v[88:89], v[88:89], v[12:13]
	v_add_nc_u64_e32 v[90:91], v[90:91], v[12:13]
	;; [unrolled: 1-line block ×3, first 2 shown]
	v_mad_nc_u64_u32 v[140:141], 0x6e, v48, v[0:1]
	v_add_nc_u64_e32 v[94:95], v[94:95], v[12:13]
	v_mad_nc_u64_u32 v[142:143], 0x6e, v52, v[0:1]
	v_add_nc_u64_e32 v[128:129], v[128:129], v[12:13]
	v_add_nc_u64_e32 v[130:131], v[130:131], v[12:13]
	;; [unrolled: 1-line block ×5, first 2 shown]
	s_clause 0x7
	global_load_b32 v152, v[88:89], off offset:32
	global_load_b32 v153, v[90:91], off offset:32
	;; [unrolled: 1-line block ×8, first 2 shown]
	s_wait_xcnt 0x6
	v_mad_nc_u64_u32 v[90:91], 0x6e, v56, v[0:1]
	s_wait_xcnt 0x5
	v_mad_nc_u64_u32 v[92:93], 0x6e, v66, v[0:1]
	;; [unrolled: 2-line block ×3, first 2 shown]
	v_mad_nc_u64_u32 v[0:1], 0x6e, v78, v[0:1]
	s_wait_xcnt 0x0
	v_mad_nc_u64_u32 v[134:135], 0x6e, v76, v[6:7]
	v_mad_nc_u64_u32 v[148:149], 0x6e, v64, v[6:7]
	v_add_nc_u64_e32 v[88:89], v[136:137], v[12:13]
	v_mad_nc_u64_u32 v[136:137], 0x6e, v86, v[6:7]
	global_load_u16 v160, v[2:3], off offset:108
	s_wait_xcnt 0x0
	v_mad_nc_u64_u32 v[2:3], 0x6e, v60, v[4:5]
	v_add_nc_u64_e32 v[128:129], v[138:139], v[12:13]
	v_mad_nc_u64_u32 v[138:139], 0x6e, v46, v[4:5]
	v_mad_nc_u64_u32 v[6:7], 0x6e, v68, v[6:7]
	v_add_nc_u64_e32 v[130:131], v[140:141], v[12:13]
	v_mad_nc_u64_u32 v[140:141], 0x6e, v50, v[4:5]
	v_add_nc_u64_e32 v[132:133], v[142:143], v[12:13]
	v_mad_nc_u64_u32 v[142:143], 0x6e, v54, v[4:5]
	v_mad_nc_u64_u32 v[144:145], 0x6e, v62, v[4:5]
	;; [unrolled: 1-line block ×3, first 2 shown]
	v_add_nc_u64_e32 v[90:91], v[90:91], v[12:13]
	v_mad_nc_u64_u32 v[150:151], 0x6e, v74, v[4:5]
	v_add_nc_u64_e32 v[92:93], v[92:93], v[12:13]
	v_add_nc_u64_e32 v[94:95], v[94:95], v[12:13]
	;; [unrolled: 1-line block ×3, first 2 shown]
	s_clause 0x9
	global_load_b32 v161, v[134:135], off offset:104
	global_load_b32 v162, v[136:137], off offset:104
	;; [unrolled: 1-line block ×10, first 2 shown]
	s_wait_xcnt 0x0
	v_add_nc_u64_e32 v[0:1], v[148:149], v[16:17]
	v_add_nc_u64_e32 v[90:91], v[134:135], v[16:17]
	s_clause 0x6
	global_load_b32 v92, v[2:3], off
	global_load_b32 v93, v[138:139], off
	;; [unrolled: 1-line block ×7, first 2 shown]
	s_wait_xcnt 0x6
	v_mad_nc_u64_u32 v[2:3], 0x6e, v82, v[4:5]
	v_add_nc_u64_e32 v[88:89], v[6:7], v[16:17]
	v_add_nc_u64_e32 v[4:5], v[136:137], v[16:17]
	s_clause 0x6
	global_load_b32 v131, v[0:1], off offset:96
	global_load_b32 v132, v[6:7], off offset:104
	;; [unrolled: 1-line block ×6, first 2 shown]
	global_load_b32 v137, v[2:3], off
	s_wait_loadcnt 0x20
	ds_store_b32 v25, v152
	s_wait_loadcnt 0x1f
	ds_store_b32 v109, v153
	;; [unrolled: 2-line block ×16, first 2 shown]
	s_wait_xcnt 0x0
	v_cvt_f32_f16_e64 v2, v160
	s_wait_loadcnt 0xd
	v_not_b32_e32 v3, v92
	s_wait_loadcnt 0x6
	v_ashrrev_i32_e32 v90, v87, v131
	v_not_b32_e32 v4, v93
	s_wait_loadcnt 0x3
	v_dual_ashrrev_i32 v93, v33, v132 :: v_dual_ashrrev_i32 v92, v87, v134
	s_wait_loadcnt 0x2
	v_dual_ashrrev_i32 v91, v33, v135 :: v_dual_ashrrev_i32 v0, v33, v161
	v_ashrrev_i32_e32 v1, v33, v162
	v_not_b32_e32 v5, v94
	v_ashrrev_i32_e32 v94, v87, v133
	v_not_b32_e32 v6, v95
	s_wait_loadcnt 0x1
	v_ashrrev_i32_e32 v95, v87, v136
	v_not_b32_e32 v7, v128
	ds_store_b32 v29, v2
	ds_store_b32 v51, v3
	;; [unrolled: 1-line block ×6, first 2 shown]
	v_and_b32_e32 v2, 0xf0f0f0f, v90
	v_dual_lshlrev_b32 v3, 4, v91 :: v_dual_lshlrev_b32 v5, 4, v93
	v_and_b32_e32 v4, 0xf0f0f0f, v92
	v_dual_lshlrev_b32 v0, 4, v0 :: v_dual_lshlrev_b32 v1, 4, v1
	v_and_b32_e32 v6, 0xf0f0f0f, v94
	v_and_b32_e32 v7, 0xf0f0f0f, v95
	v_and_or_b32 v2, 0x30303030, v3, v2
	v_and_or_b32 v3, 0x30303030, v5, v4
	v_not_b32_e32 v88, v129
	v_and_or_b32 v0, 0x30303030, v0, v6
	v_and_or_b32 v1, 0x30303030, v1, v7
	v_lshlrev_b16 v4, 8, v2
	v_dual_lshrrev_b32 v5, 16, v2 :: v_dual_lshrrev_b32 v7, 16, v3
	v_lshlrev_b16 v6, 8, v3
	ds_store_b32 v61, v88
	v_lshlrev_b16 v88, 8, v0
	v_dual_lshrrev_b32 v90, 16, v0 :: v_dual_lshrrev_b32 v92, 16, v1
	v_add_nc_u16 v4, 0xe000, v4
	v_lshlrev_b16 v93, 8, v5
	v_add_nc_u16 v6, 0xe000, v6
	v_lshlrev_b16 v94, 8, v7
	;; [unrolled: 2-line block ×3, first 2 shown]
	v_lshlrev_b16 v91, 8, v1
	v_lshlrev_b16 v129, 8, v92
	v_lshrrev_b16 v4, 8, v4
	v_add_nc_u16 v93, 0xe000, v93
	v_lshrrev_b16 v6, 8, v6
	v_add_nc_u16 v94, 0xe000, v94
	;; [unrolled: 2-line block ×3, first 2 shown]
	v_add_nc_u16 v91, 0xe000, v91
	v_add_nc_u16 v129, 0xe000, v129
	v_bitop3_b16 v2, v2, v4, 0x3f00 bitop3:0xec
	v_lshrrev_b16 v4, 8, v93
	v_bitop3_b16 v3, v3, v6, 0x3f00 bitop3:0xec
	v_lshrrev_b16 v6, 8, v94
	;; [unrolled: 2-line block ×3, first 2 shown]
	v_lshrrev_b16 v91, 8, v91
	v_lshrrev_b16 v93, 8, v129
	v_bitop3_b16 v4, v5, v4, 0x3f00 bitop3:0xec
	v_bitop3_b16 v5, v7, v6, 0x3f00 bitop3:0xec
	;; [unrolled: 1-line block ×5, first 2 shown]
	v_add_nc_u16 v2, 0xe000, v2
	v_add_nc_u16 v4, 0xe000, v4
	;; [unrolled: 1-line block ×8, first 2 shown]
	v_and_b32_e32 v2, 0xffff, v2
	v_dual_lshlrev_b32 v4, 16, v4 :: v_dual_lshlrev_b32 v5, 16, v5
	v_and_b32_e32 v3, 0xffff, v3
	v_and_b32_e32 v0, 0xffff, v0
	v_dual_lshlrev_b32 v6, 16, v6 :: v_dual_lshlrev_b32 v7, 16, v7
	v_and_b32_e32 v1, 0xffff, v1
	v_not_b32_e32 v89, v130
	s_wait_loadcnt 0x0
	v_not_b32_e32 v128, v137
	v_or_b32_e32 v2, v2, v4
	v_or_b32_e32 v3, v3, v5
	;; [unrolled: 1-line block ×4, first 2 shown]
	ds_store_b32 v63, v89
	ds_store_b32 v65, v128
	;; [unrolled: 1-line block ×6, first 2 shown]
	s_cbranch_scc0 .LBB209_4
; %bb.6:                                ;   in Loop: Header=BB209_5 Depth=1
	s_lshl_b32 s17, s12, 3
	s_delay_alu instid0(SALU_CYCLE_1) | instskip(NEXT) | instid1(VALU_DEP_1)
	v_add_nc_u32_e32 v0, s17, v31
	v_cmp_gt_i32_e64 s1, s5, v0
	s_and_b32 s20, s0, s1
	s_delay_alu instid0(SALU_CYCLE_1)
	s_and_saveexec_b32 s1, s20
	s_cbranch_execz .LBB209_8
; %bb.7:                                ;   in Loop: Header=BB209_5 Depth=1
	v_add_nc_u32_e32 v0, v22, v0
	s_delay_alu instid0(VALU_DEP_1)
	v_mad_nc_i64_i32 v[0:1], v0, 36, v[26:27]
	global_load_b32 v0, v[0:1], off offset:4
	s_wait_loadcnt 0x0
	ds_store_b32 v37, v0
.LBB209_8:                              ;   in Loop: Header=BB209_5 Depth=1
	s_or_b32 exec_lo, exec_lo, s1
	v_add_nc_u32_e32 v88, s17, v11
	s_delay_alu instid0(VALU_DEP_1) | instskip(SKIP_1) | instid1(SALU_CYCLE_1)
	v_cmp_gt_i32_e64 s1, s5, v88
	s_and_b32 s20, s19, s1
	s_and_saveexec_b32 s1, s20
	s_cbranch_execz .LBB209_10
; %bb.9:                                ;   in Loop: Header=BB209_5 Depth=1
	v_add_nc_u32_e32 v0, v22, v88
	s_delay_alu instid0(VALU_DEP_1)
	v_mad_nc_i64_i32 v[0:1], v0, 36, s[2:3]
	global_load_b32 v0, v[0:1], off
	s_wait_loadcnt 0x0
	v_cvt_f32_f16_e32 v0, v0
	ds_store_b32 v41, v0
.LBB209_10:                             ;   in Loop: Header=BB209_5 Depth=1
	s_or_b32 exec_lo, exec_lo, s1
	v_dual_mov_b32 v89, v39 :: v_dual_mov_b32 v91, v35
	s_mov_b32 s22, -2
	s_mov_b32 s1, 0
	s_mov_b32 s20, 0
	s_wait_dscnt 0x0
	s_barrier_signal -1
	s_barrier_wait -1
.LBB209_11:                             ;   Parent Loop BB209_5 Depth=1
                                        ; =>  This Inner Loop Header: Depth=2
	s_add_co_i32 s21, s22, 2
	s_and_b32 s23, s20, -16
	s_and_b32 s25, s21, 0x3ffffff8
	s_lshr_b32 s24, s21, 4
	s_add_co_i32 s22, s22, s23
	v_lshl_add_u32 v92, s25, 2, v81
	s_lshl_b32 s23, s24, 5
	v_dual_add_nc_u32 v93, s22, v125 :: v_dual_add_nc_u32 v94, s22, v124
	s_lshl_b32 s24, s24, 2
	v_dual_add_nc_u32 v95, s22, v45 :: v_dual_add_nc_u32 v128, s22, v126
	s_addk_co_i32 s23, 0x4200
	s_addk_co_i32 s24, 0x7380
	v_add3_u32 v129, s23, v83, v85
	v_add_nc_u32_e32 v194, 0x2118, v92
	v_add_nc_u32_e32 v196, 0x3180, v92
	;; [unrolled: 1-line block ×5, first 2 shown]
	ds_load_b128 v[4:7], v91
	ds_load_b128 v[0:3], v91 offset:16
	ds_load_b32 v90, v89
	v_add3_u32 v130, s24, v127, v96
	v_add3_u32 v131, s23, v97, v98
	v_add3_u32 v132, s24, v99, v100
	v_add3_u32 v133, s23, v101, v102
	v_add3_u32 v134, s24, v103, v104
	v_add3_u32 v135, s23, v105, v106
	v_add3_u32 v136, s24, v107, v108
	ds_load_2addr_b32 v[144:145], v92 offset1:1
	ds_load_2addr_b32 v[146:147], v92 offset0:2 offset1:3
	ds_load_2addr_b32 v[148:149], v92 offset0:4 offset1:5
	;; [unrolled: 1-line block ×3, first 2 shown]
	v_add_nc_u32_e32 v137, 0x1080, v92
	v_add_nc_u32_e32 v138, 0x1088, v92
	;; [unrolled: 1-line block ×7, first 2 shown]
	ds_load_u16 v208, v93 offset:2
	ds_load_u16 v209, v94 offset:2
	;; [unrolled: 1-line block ×4, first 2 shown]
	ds_load_2addr_b32 v[152:153], v129 offset1:1
	ds_load_2addr_b32 v[154:155], v129 offset0:2 offset1:3
	ds_load_2addr_b32 v[156:157], v129 offset0:4 offset1:5
	;; [unrolled: 1-line block ×5, first 2 shown]
	ds_load_b32 v95, v132
	ds_load_b32 v92, v134
	ds_load_2addr_b32 v[164:165], v135 offset0:2 offset1:3
	ds_load_2addr_b32 v[166:167], v135 offset0:4 offset1:5
	ds_load_b32 v93, v136
	ds_load_b32 v94, v130
	ds_load_2addr_b32 v[168:169], v131 offset1:1
	ds_load_2addr_b32 v[170:171], v131 offset0:6 offset1:7
	ds_load_2addr_b32 v[172:173], v133 offset1:1
	ds_load_2addr_b32 v[174:175], v133 offset0:2 offset1:3
	ds_load_2addr_b32 v[176:177], v133 offset0:4 offset1:5
	;; [unrolled: 1-line block ×3, first 2 shown]
	ds_load_2addr_b32 v[180:181], v135 offset1:1
	ds_load_2addr_b32 v[182:183], v135 offset0:6 offset1:7
	ds_load_2addr_b32 v[184:185], v137 offset1:1
	ds_load_2addr_b32 v[186:187], v138 offset1:1
	;; [unrolled: 1-line block ×12, first 2 shown]
	s_wait_dscnt 0x16
	v_dual_ashrrev_i32 v166, s1, v166 :: v_dual_ashrrev_i32 v167, s1, v167
	v_dual_ashrrev_i32 v152, s1, v152 :: v_dual_ashrrev_i32 v153, s1, v153
	;; [unrolled: 1-line block ×3, first 2 shown]
	s_delay_alu instid0(VALU_DEP_3) | instskip(SKIP_3) | instid1(VALU_DEP_3)
	v_dual_lshlrev_b32 v166, 2, v166 :: v_dual_lshlrev_b32 v167, 2, v167
	s_wait_dscnt 0xd
	v_dual_ashrrev_i32 v180, s1, v180 :: v_dual_ashrrev_i32 v181, s1, v181
	v_dual_lshlrev_b32 v152, 2, v152 :: v_dual_lshlrev_b32 v153, 2, v153
	v_and_b32_e32 v167, 0x4040404, v167
	v_and_b32_e32 v166, 0x4040404, v166
	s_wait_dscnt 0x5
	v_dual_ashrrev_i32 v196, s21, v196 :: v_dual_ashrrev_i32 v197, s21, v197
	v_dual_lshlrev_b32 v180, 2, v180 :: v_dual_lshlrev_b32 v181, 2, v181
	s_wait_dscnt 0x1
	v_dual_ashrrev_i32 v204, s21, v204 :: v_dual_ashrrev_i32 v205, s21, v205
	s_set_vgpr_msb 64                       ;  msbs: dst=1 src0=0 src1=0 src2=0
	v_bfe_u32 v19 /*v275*/, v197, 24, 2
	s_set_vgpr_msb 0                        ;  msbs: dst=0 src0=0 src1=0 src2=0
	v_and_b32_e32 v197, 0x3030303, v197
	s_set_vgpr_msb 64                       ;  msbs: dst=1 src0=0 src1=0 src2=0
	v_lshrrev_b32_e32 v69 /*v325*/, 24, v167
	v_and_b32_e32 v15 /*v271*/, 0x3030303, v204
	v_bfe_u32 v16 /*v272*/, v205, 24, 2
	s_set_vgpr_msb 0                        ;  msbs: dst=0 src0=0 src1=0 src2=0
	v_and_b32_e32 v205, 0x3030303, v205
	v_bfe_u32 v204, v204, 24, 2
	s_set_vgpr_msb 64                       ;  msbs: dst=1 src0=0 src1=0 src2=0
	v_lshrrev_b32_e32 v33 /*v289*/, 16, v197
	s_set_vgpr_msb 0                        ;  msbs: dst=0 src0=0 src1=0 src2=0
	v_and_b32_e32 v152, 0x4040404, v152
	s_set_vgpr_msb 0x45                     ;  msbs: dst=1 src0=1 src1=1 src2=0
	v_sub_nc_u16 v16 /*v272*/, v16 /*v272*/, v69 /*v325*/
	s_set_vgpr_msb 64                       ;  msbs: dst=1 src0=0 src1=0 src2=0
	v_dual_lshrrev_b32 v31 /*v287*/, 16, v205 :: v_dual_lshrrev_b32 v69 /*v325*/, 24, v166
	s_set_vgpr_msb 0                        ;  msbs: dst=0 src0=0 src1=0 src2=0
	v_dual_ashrrev_i32 v156, s1, v156 :: v_dual_ashrrev_i32 v157, s1, v157
	v_dual_lshlrev_b32 v158, 2, v158 :: v_dual_lshlrev_b32 v159, 2, v159
	s_set_vgpr_msb 4                        ;  msbs: dst=0 src0=0 src1=1 src2=0
	v_sub_nc_u16 v204, v204, v69 /*v325*/
	s_set_vgpr_msb 64                       ;  msbs: dst=1 src0=0 src1=0 src2=0
	v_lshrrev_b32_e32 v69 /*v325*/, 16, v167
	v_and_b32_e32 v14 /*v270*/, 0x3030303, v196
	s_set_vgpr_msb 0                        ;  msbs: dst=0 src0=0 src1=0 src2=0
	v_and_b32_e32 v181, 0x4040404, v181
	s_set_vgpr_msb 0x44                     ;  msbs: dst=1 src0=0 src1=1 src2=0
	v_lshrrev_b32_e32 v30 /*v286*/, 16, v15 /*v271*/
	s_set_vgpr_msb 0                        ;  msbs: dst=0 src0=0 src1=0 src2=0
	v_dual_lshlrev_b32 v156, 2, v156 :: v_dual_lshlrev_b32 v157, 2, v157
	s_set_vgpr_msb 0x45                     ;  msbs: dst=1 src0=1 src1=1 src2=0
	v_sub_nc_u16 v31 /*v287*/, v31 /*v287*/, v69 /*v325*/
	s_set_vgpr_msb 64                       ;  msbs: dst=1 src0=0 src1=0 src2=0
	v_lshrrev_b32_e32 v69 /*v325*/, 16, v166
	s_set_vgpr_msb 0                        ;  msbs: dst=0 src0=0 src1=0 src2=0
	v_and_b32_e32 v180, 0x4040404, v180
	v_and_b32_e32 v158, 0x4040404, v158
	s_set_vgpr_msb 0x44                     ;  msbs: dst=1 src0=0 src1=1 src2=0
	v_lshrrev_b32_e32 v32 /*v288*/, 16, v14 /*v270*/
	s_set_vgpr_msb 0                        ;  msbs: dst=0 src0=0 src1=0 src2=0
	v_bfe_u32 v196, v196, 24, 2
	s_set_vgpr_msb 0x45                     ;  msbs: dst=1 src0=1 src1=1 src2=0
	v_sub_nc_u16 v30 /*v286*/, v30 /*v286*/, v69 /*v325*/
	s_set_vgpr_msb 64                       ;  msbs: dst=1 src0=0 src1=0 src2=0
	v_lshrrev_b32_e32 v69 /*v325*/, 24, v181
	s_set_vgpr_msb 0                        ;  msbs: dst=0 src0=0 src1=0 src2=0
	v_and_b32_e32 v157, 0x4040404, v157
	v_dual_ashrrev_i32 v144, s21, v144 :: v_dual_ashrrev_i32 v145, s21, v145
	v_and_b32_e32 v159, 0x4040404, v159
	s_set_vgpr_msb 0x45                     ;  msbs: dst=1 src0=1 src1=1 src2=0
	v_sub_nc_u16 v19 /*v275*/, v19 /*v275*/, v69 /*v325*/
	s_set_vgpr_msb 64                       ;  msbs: dst=1 src0=0 src1=0 src2=0
	v_lshrrev_b32_e32 v69 /*v325*/, 24, v180
	s_set_vgpr_msb 0                        ;  msbs: dst=0 src0=0 src1=0 src2=0
	v_and_b32_e32 v238, 0x3030303, v144
	s_set_vgpr_msb 0x44                     ;  msbs: dst=1 src0=0 src1=1 src2=0
	v_lshrrev_b16 v34 /*v290*/, 8, v14 /*v270*/
	s_set_vgpr_msb 0x41                     ;  msbs: dst=1 src0=1 src1=0 src2=0
	v_sub_nc_u16 v14 /*v270*/, v14 /*v270*/, v180
	s_set_vgpr_msb 0                        ;  msbs: dst=0 src0=0 src1=0 src2=0
	v_dual_ashrrev_i32 v148, s21, v148 :: v_dual_ashrrev_i32 v149, s21, v149
	s_set_vgpr_msb 4                        ;  msbs: dst=0 src0=0 src1=1 src2=0
	v_sub_nc_u16 v196, v196, v69 /*v325*/
	s_set_vgpr_msb 64                       ;  msbs: dst=1 src0=0 src1=0 src2=0
	v_lshrrev_b32_e32 v69 /*v325*/, 16, v181
	s_set_vgpr_msb 0                        ;  msbs: dst=0 src0=0 src1=0 src2=0
	v_and_b32_e32 v239, 0x3030303, v145
	v_lshrrev_b32_e32 v247, 16, v238
	v_dual_ashrrev_i32 v154, s1, v154 :: v_dual_ashrrev_i32 v155, s1, v155
	s_set_vgpr_msb 0x45                     ;  msbs: dst=1 src0=1 src1=1 src2=0
	v_sub_nc_u16 v33 /*v289*/, v33 /*v289*/, v69 /*v325*/
	s_set_vgpr_msb 64                       ;  msbs: dst=1 src0=0 src1=0 src2=0
	v_lshrrev_b32_e32 v69 /*v325*/, 16, v180
	s_set_vgpr_msb 1                        ;  msbs: dst=0 src0=1 src1=0 src2=0
	v_lshrrev_b16 v180, 8, v180
	v_and_b32_e32 v242, 0x3030303, v148
	v_lshrrev_b16 v246, 8, v238
	v_lshrrev_b32_e32 v249, 16, v239
	v_and_b32_e32 v153, 0x4040404, v153
	v_sub_nc_u16 v180, v34 /*v290*/, v180
	s_set_vgpr_msb 64                       ;  msbs: dst=1 src0=0 src1=0 src2=0
	v_lshrrev_b32_e32 v34 /*v290*/, 16, v152
	s_set_vgpr_msb 0                        ;  msbs: dst=0 src0=0 src1=0 src2=0
	v_sub_nc_u16 v238, v238, v152
	v_dual_ashrrev_i32 v146, s21, v146 :: v_dual_ashrrev_i32 v147, s21, v147
	v_dual_lshlrev_b32 v154, 2, v154 :: v_dual_lshlrev_b32 v155, 2, v155
	s_set_vgpr_msb 4                        ;  msbs: dst=0 src0=0 src1=1 src2=0
	v_sub_nc_u16 v247, v247, v34 /*v290*/
	s_set_vgpr_msb 64                       ;  msbs: dst=1 src0=0 src1=0 src2=0
	v_lshrrev_b32_e32 v34 /*v290*/, 24, v152
	s_set_vgpr_msb 0                        ;  msbs: dst=0 src0=0 src1=0 src2=0
	v_lshrrev_b16 v152, 8, v152
	v_lshrrev_b32_e32 v255, 16, v242
	v_and_b32_e32 v240, 0x3030303, v146
	v_lshrrev_b16 v248, 8, v239
	v_and_b32_e32 v154, 0x4040404, v154
	v_sub_nc_u16 v152, v246, v152
	v_lshrrev_b32_e32 v246, 16, v153
	v_sub_nc_u16 v239, v239, v153
	v_lshrrev_b16 v251, 8, v240
	v_and_b32_e32 v241, 0x3030303, v147
	v_lshrrev_b32_e32 v250, 16, v240
	v_sub_nc_u16 v246, v249, v246
	v_lshrrev_b32_e32 v249, 24, v153
	v_lshrrev_b16 v153, 8, v153
	v_and_b32_e32 v155, 0x4040404, v155
	v_sub_nc_u16 v240, v240, v154
	v_lshrrev_b32_e32 v253, 16, v241
	v_lshrrev_b16 v252, 8, v241
	v_sub_nc_u16 v153, v248, v153
	v_lshrrev_b16 v248, 8, v154
	v_and_b32_e32 v156, 0x4040404, v156
	v_sub_nc_u16 v241, v241, v155
	v_dual_ashrrev_i32 v150, s21, v150 :: v_dual_ashrrev_i32 v151, s21, v151
	s_delay_alu instid0(VALU_DEP_4)
	v_sub_nc_u16 v248, v251, v248
	v_dual_lshrrev_b32 v251, 24, v154 :: v_dual_lshrrev_b32 v154, 16, v154
	v_and_b32_e32 v243, 0x3030303, v149
	v_lshrrev_b16 v254, 8, v242
	v_sub_nc_u16 v242, v242, v156
	v_and_b32_e32 v244, 0x3030303, v150
	v_sub_nc_u16 v154, v250, v154
	v_lshrrev_b32_e32 v250, 16, v155
	s_set_vgpr_msb 64                       ;  msbs: dst=1 src0=0 src1=0 src2=0
	v_lshrrev_b32_e32 v1 /*v257*/, 16, v243
	s_set_vgpr_msb 0                        ;  msbs: dst=0 src0=0 src1=0 src2=0
	v_dual_ashrrev_i32 v160, s1, v160 :: v_dual_ashrrev_i32 v161, s1, v161
	s_set_vgpr_msb 64                       ;  msbs: dst=1 src0=0 src1=0 src2=0
	v_lshrrev_b16 v0 /*v256*/, 8, v243
	s_set_vgpr_msb 0                        ;  msbs: dst=0 src0=0 src1=0 src2=0
	v_sub_nc_u16 v250, v253, v250
	v_lshrrev_b32_e32 v253, 24, v155
	v_lshrrev_b16 v155, 8, v155
	s_set_vgpr_msb 64                       ;  msbs: dst=1 src0=0 src1=0 src2=0
	v_lshrrev_b32_e32 v2 /*v258*/, 16, v244
	s_set_vgpr_msb 0                        ;  msbs: dst=0 src0=0 src1=0 src2=0
	v_sub_nc_u16 v243, v243, v157
	v_dual_lshlrev_b32 v160, 2, v160 :: v_dual_lshlrev_b32 v161, 2, v161
	v_sub_nc_u16 v155, v252, v155
	v_lshrrev_b32_e32 v252, 16, v156
	s_set_vgpr_msb 64                       ;  msbs: dst=1 src0=0 src1=0 src2=0
	v_lshrrev_b16 v3 /*v259*/, 8, v244
	s_set_vgpr_msb 0                        ;  msbs: dst=0 src0=0 src1=0 src2=0
	v_and_b32_e32 v245, 0x3030303, v151
	v_dual_ashrrev_i32 v198, s21, v198 :: v_dual_ashrrev_i32 v199, s21, v199
	v_sub_nc_u16 v252, v255, v252
	v_lshrrev_b32_e32 v255, 24, v156
	v_lshrrev_b16 v156, 8, v156
	v_and_b32_e32 v160, 0x4040404, v160
	v_sub_nc_u16 v244, v244, v158
	v_dual_ashrrev_i32 v186, s21, v186 :: v_dual_ashrrev_i32 v187, s21, v187
	s_delay_alu instid0(VALU_DEP_4)
	v_sub_nc_u16 v156, v254, v156
	v_lshrrev_b32_e32 v254, 16, v157
	s_set_vgpr_msb 64                       ;  msbs: dst=1 src0=0 src1=0 src2=0
	v_bfe_u32 v24 /*v280*/, v199, 24, 2
	s_set_vgpr_msb 0                        ;  msbs: dst=0 src0=0 src1=0 src2=0
	v_and_b32_e32 v199, 0x3030303, v199
	s_set_vgpr_msb 64                       ;  msbs: dst=1 src0=0 src1=0 src2=0
	v_lshrrev_b32_e32 v5 /*v261*/, 16, v245
	s_set_vgpr_msb 1                        ;  msbs: dst=0 src0=1 src1=0 src2=0
	v_dual_ashrrev_i32 v162, s1, v162 :: v_dual_ashrrev_i32 v163, s1, v163
	v_sub_nc_u16 v254, v1 /*v257*/, v254
	s_set_vgpr_msb 64                       ;  msbs: dst=1 src0=0 src1=0 src2=0
	v_lshrrev_b32_e32 v1 /*v257*/, 24, v157
	s_set_vgpr_msb 0                        ;  msbs: dst=0 src0=0 src1=0 src2=0
	v_lshrrev_b16 v157, 8, v157
	v_bfe_u32 v151, v151, 24, 2
	v_dual_ashrrev_i32 v184, s21, v184 :: v_dual_ashrrev_i32 v185, s21, v185
	s_set_vgpr_msb 64                       ;  msbs: dst=1 src0=0 src1=0 src2=0
	v_lshrrev_b16 v4 /*v260*/, 8, v245
	s_set_vgpr_msb 1                        ;  msbs: dst=0 src0=1 src1=0 src2=0
	v_sub_nc_u16 v157, v0 /*v256*/, v157
	s_set_vgpr_msb 64                       ;  msbs: dst=1 src0=0 src1=0 src2=0
	v_lshrrev_b16 v0 /*v256*/, 8, v158
	v_and_b32_e32 v8 /*v264*/, 0x3030303, v186
	v_lshrrev_b32_e32 v49 /*v305*/, 16, v199
	s_set_vgpr_msb 0                        ;  msbs: dst=0 src0=0 src1=0 src2=0
	v_sub_nc_u16 v245, v245, v159
	v_dual_ashrrev_i32 v164, s1, v164 :: v_dual_ashrrev_i32 v165, s1, v165
	s_set_vgpr_msb 0x45                     ;  msbs: dst=1 src0=1 src1=1 src2=0
	v_sub_nc_u16 v0 /*v256*/, v3 /*v259*/, v0 /*v256*/
	s_set_vgpr_msb 64                       ;  msbs: dst=1 src0=0 src1=0 src2=0
	v_lshrrev_b32_e32 v3 /*v259*/, 24, v158
	s_set_vgpr_msb 1                        ;  msbs: dst=0 src0=1 src1=0 src2=0
	v_dual_lshrrev_b32 v158, 16, v158 :: v_dual_ashrrev_i32 v168, s1, v168
	v_dual_ashrrev_i32 v169, s1, v169 :: v_dual_ashrrev_i32 v200, s21, v200
	v_ashrrev_i32_e32 v201, s21, v201
	s_delay_alu instid0(VALU_DEP_3)
	v_sub_nc_u16 v158, v2 /*v258*/, v158
	s_set_vgpr_msb 64                       ;  msbs: dst=1 src0=0 src1=0 src2=0
	v_lshrrev_b32_e32 v2 /*v258*/, 16, v159
	s_set_vgpr_msb 0                        ;  msbs: dst=0 src0=0 src1=0 src2=0
	v_dual_lshlrev_b32 v162, 2, v162 :: v_dual_lshlrev_b32 v163, 2, v163
	s_set_vgpr_msb 64                       ;  msbs: dst=1 src0=0 src1=0 src2=0
	v_and_b32_e32 v6 /*v262*/, 0x3030303, v184
	s_set_vgpr_msb 0                        ;  msbs: dst=0 src0=0 src1=0 src2=0
	v_bfe_u32 v186, v186, 24, 2
	s_set_vgpr_msb 0x45                     ;  msbs: dst=1 src0=1 src1=1 src2=0
	v_sub_nc_u16 v2 /*v258*/, v5 /*v261*/, v2 /*v258*/
	s_set_vgpr_msb 64                       ;  msbs: dst=1 src0=0 src1=0 src2=0
	v_lshrrev_b32_e32 v5 /*v261*/, 24, v159
	s_set_vgpr_msb 0                        ;  msbs: dst=0 src0=0 src1=0 src2=0
	v_lshrrev_b16 v159, 8, v159
	s_set_vgpr_msb 64                       ;  msbs: dst=1 src0=0 src1=0 src2=0
	v_and_b32_e32 v9 /*v265*/, 0x3030303, v187
	s_set_vgpr_msb 0                        ;  msbs: dst=0 src0=0 src1=0 src2=0
	v_and_b32_e32 v161, 0x4040404, v161
	s_set_vgpr_msb 0x44                     ;  msbs: dst=1 src0=0 src1=1 src2=0
	v_lshrrev_b16 v41 /*v297*/, 8, v8 /*v264*/
	s_set_vgpr_msb 4                        ;  msbs: dst=0 src0=0 src1=1 src2=0
	v_sub_nc_u16 v151, v151, v5 /*v261*/
	s_set_vgpr_msb 64                       ;  msbs: dst=1 src0=0 src1=0 src2=0
	v_lshrrev_b32_e32 v5 /*v261*/, 24, v160
	s_set_vgpr_msb 1                        ;  msbs: dst=0 src0=1 src1=0 src2=0
	v_sub_nc_u16 v159, v4 /*v260*/, v159
	s_set_vgpr_msb 64                       ;  msbs: dst=1 src0=0 src1=0 src2=0
	v_lshrrev_b16 v4 /*v260*/, 8, v160
	s_set_vgpr_msb 0                        ;  msbs: dst=0 src0=0 src1=0 src2=0
	v_dual_ashrrev_i32 v170, s1, v170 :: v_dual_ashrrev_i32 v171, s1, v171
	v_dual_ashrrev_i32 v172, s1, v172 :: v_dual_ashrrev_i32 v173, s1, v173
	v_bfe_u32 v144, v144, 24, 2
	v_dual_lshlrev_b32 v164, 2, v164 :: v_dual_lshlrev_b32 v165, 2, v165
	v_dual_lshlrev_b32 v168, 2, v168 :: v_dual_lshlrev_b32 v169, 2, v169
	v_bfe_u32 v187, v187, 24, 2
	s_set_vgpr_msb 64                       ;  msbs: dst=1 src0=0 src1=0 src2=0
	v_and_b32_e32 v10 /*v266*/, 0x3030303, v200
	v_and_b32_e32 v11 /*v267*/, 0x3030303, v201
	s_set_vgpr_msb 0                        ;  msbs: dst=0 src0=0 src1=0 src2=0
	v_and_b32_e32 v162, 0x4040404, v162
	v_and_b32_e32 v163, 0x4040404, v163
	s_set_vgpr_msb 0x44                     ;  msbs: dst=1 src0=0 src1=1 src2=0
	v_dual_lshrrev_b32 v38 /*v294*/, 16, v6 /*v262*/ :: v_dual_lshrrev_b32 v40 /*v296*/, 16, v8 /*v264*/
	v_lshrrev_b16 v42 /*v298*/, 8, v9 /*v265*/
	v_dual_lshrrev_b32 v43 /*v299*/, 16, v9 /*v265*/ :: v_dual_lshrrev_b32 v45 /*v301*/, 16, v10 /*v266*/
	s_set_vgpr_msb 0x41                     ;  msbs: dst=1 src0=1 src1=0 src2=0
	v_sub_nc_u16 v8 /*v264*/, v8 /*v264*/, v160
	s_set_vgpr_msb 0                        ;  msbs: dst=0 src0=0 src1=0 src2=0
	v_lshrrev_b32_e32 v160, 16, v160
	s_set_vgpr_msb 0x45                     ;  msbs: dst=1 src0=1 src1=1 src2=0
	v_sub_nc_u16 v4 /*v260*/, v41 /*v297*/, v4 /*v260*/
	s_set_vgpr_msb 64                       ;  msbs: dst=1 src0=0 src1=0 src2=0
	v_lshrrev_b32_e32 v41 /*v297*/, 24, v161
	s_set_vgpr_msb 4                        ;  msbs: dst=0 src0=0 src1=1 src2=0
	v_sub_nc_u16 v186, v186, v5 /*v261*/
	s_set_vgpr_msb 0x41                     ;  msbs: dst=1 src0=1 src1=0 src2=0
	v_lshrrev_b32_e32 v5 /*v261*/, 16, v161
	v_sub_nc_u16 v9 /*v265*/, v9 /*v265*/, v161
	s_set_vgpr_msb 0                        ;  msbs: dst=0 src0=0 src1=0 src2=0
	v_lshrrev_b16 v161, 8, v161
	v_dual_ashrrev_i32 v174, s1, v174 :: v_dual_ashrrev_i32 v175, s1, v175
	v_dual_ashrrev_i32 v176, s1, v176 :: v_dual_ashrrev_i32 v177, s1, v177
	;; [unrolled: 1-line block ×6, first 2 shown]
	v_dual_lshlrev_b32 v170, 2, v170 :: v_dual_lshlrev_b32 v171, 2, v171
	v_dual_lshlrev_b32 v172, 2, v172 :: v_dual_lshlrev_b32 v173, 2, v173
	v_bfe_u32 v200, v200, 24, 2
	v_bfe_u32 v201, v201, 24, 2
	s_set_vgpr_msb 64                       ;  msbs: dst=1 src0=0 src1=0 src2=0
	v_and_b32_e32 v20 /*v276*/, 0x3030303, v198
	s_set_vgpr_msb 0                        ;  msbs: dst=0 src0=0 src1=0 src2=0
	v_and_b32_e32 v164, 0x4040404, v164
	v_and_b32_e32 v165, 0x4040404, v165
	;; [unrolled: 1-line block ×3, first 2 shown]
	s_set_vgpr_msb 0x44                     ;  msbs: dst=1 src0=0 src1=1 src2=0
	v_lshrrev_b16 v44 /*v300*/, 8, v10 /*v266*/
	v_dual_lshrrev_b32 v47 /*v303*/, 16, v11 /*v267*/ :: v_dual_lshrrev_b32 v48 /*v304*/, 16, v20 /*v276*/
	s_set_vgpr_msb 4                        ;  msbs: dst=0 src0=0 src1=1 src2=0
	v_sub_nc_u16 v144, v144, v34 /*v290*/
	s_set_vgpr_msb 1                        ;  msbs: dst=0 src0=1 src1=0 src2=0
	v_sub_nc_u16 v160, v40 /*v296*/, v160
	s_set_vgpr_msb 64                       ;  msbs: dst=1 src0=0 src1=0 src2=0
	v_lshrrev_b32_e32 v40 /*v296*/, 16, v162
	s_set_vgpr_msb 0x45                     ;  msbs: dst=1 src0=1 src1=1 src2=0
	v_sub_nc_u16 v5 /*v261*/, v43 /*v299*/, v5 /*v261*/
	s_set_vgpr_msb 0x41                     ;  msbs: dst=1 src0=1 src1=0 src2=0
	v_lshrrev_b32_e32 v43 /*v299*/, 24, v162
	v_sub_nc_u16 v10 /*v266*/, v10 /*v266*/, v162
	s_set_vgpr_msb 0                        ;  msbs: dst=0 src0=0 src1=0 src2=0
	v_lshrrev_b16 v162, 8, v162
	s_set_vgpr_msb 4                        ;  msbs: dst=0 src0=0 src1=1 src2=0
	v_sub_nc_u16 v187, v187, v41 /*v297*/
	s_set_vgpr_msb 64                       ;  msbs: dst=1 src0=0 src1=0 src2=0
	v_lshrrev_b32_e32 v41 /*v297*/, 16, v163
	s_set_vgpr_msb 1                        ;  msbs: dst=0 src0=1 src1=0 src2=0
	v_sub_nc_u16 v161, v42 /*v298*/, v161
	s_set_vgpr_msb 64                       ;  msbs: dst=1 src0=0 src1=0 src2=0
	v_lshrrev_b32_e32 v42 /*v298*/, 24, v163
	s_set_vgpr_msb 0                        ;  msbs: dst=0 src0=0 src1=0 src2=0
	v_dual_ashrrev_i32 v190, s21, v190 :: v_dual_ashrrev_i32 v191, s21, v191
	v_dual_ashrrev_i32 v192, s21, v192 :: v_dual_ashrrev_i32 v193, s21, v193
	;; [unrolled: 1-line block ×3, first 2 shown]
	s_wait_dscnt 0x0
	v_dual_ashrrev_i32 v206, s21, v206 :: v_dual_ashrrev_i32 v207, s21, v207
	v_dual_lshlrev_b32 v182, 2, v182 :: v_dual_lshlrev_b32 v183, 2, v183
	v_dual_lshlrev_b32 v174, 2, v174 :: v_dual_lshlrev_b32 v175, 2, v175
	;; [unrolled: 1-line block ×4, first 2 shown]
	v_bfe_u32 v184, v184, 24, 2
	s_set_vgpr_msb 64                       ;  msbs: dst=1 src0=0 src1=0 src2=0
	v_and_b32_e32 v7 /*v263*/, 0x3030303, v185
	v_and_b32_e32 v12 /*v268*/, 0x3030303, v202
	;; [unrolled: 1-line block ×5, first 2 shown]
	s_set_vgpr_msb 0                        ;  msbs: dst=0 src0=0 src1=0 src2=0
	v_bfe_u32 v198, v198, 24, 2
	v_and_b32_e32 v169, 0x4040404, v169
	v_and_b32_e32 v170, 0x4040404, v170
	;; [unrolled: 1-line block ×5, first 2 shown]
	s_set_vgpr_msb 0x44                     ;  msbs: dst=1 src0=0 src1=1 src2=0
	v_lshrrev_b16 v36 /*v292*/, 8, v20 /*v276*/
	v_lshrrev_b16 v46 /*v302*/, 8, v11 /*v267*/
	s_set_vgpr_msb 64                       ;  msbs: dst=1 src0=0 src1=0 src2=0
	v_lshrrev_b16 v50 /*v306*/, 8, v199
	s_set_vgpr_msb 0x44                     ;  msbs: dst=1 src0=0 src1=1 src2=0
	v_lshrrev_b16 v53 /*v309*/, 8, v15 /*v271*/
	s_set_vgpr_msb 64                       ;  msbs: dst=1 src0=0 src1=0 src2=0
	v_lshrrev_b16 v55 /*v311*/, 8, v205
	s_set_vgpr_msb 0x45                     ;  msbs: dst=1 src0=1 src1=1 src2=0
	v_sub_nc_u16 v32 /*v288*/, v32 /*v288*/, v69 /*v325*/
	s_set_vgpr_msb 64                       ;  msbs: dst=1 src0=0 src1=0 src2=0
	v_lshrrev_b16 v69 /*v325*/, 8, v164
	s_set_vgpr_msb 0                        ;  msbs: dst=0 src0=0 src1=0 src2=0
	v_sub_nc_u16 v205, v205, v167
	s_set_vgpr_msb 0x41                     ;  msbs: dst=1 src0=1 src1=0 src2=0
	v_sub_nc_u16 v15 /*v271*/, v15 /*v271*/, v166
	v_sub_nc_u16 v11 /*v267*/, v11 /*v267*/, v163
	s_set_vgpr_msb 0                        ;  msbs: dst=0 src0=0 src1=0 src2=0
	v_lshrrev_b16 v163, 8, v163
	s_set_vgpr_msb 0x45                     ;  msbs: dst=1 src0=1 src1=1 src2=0
	v_sub_nc_u16 v40 /*v296*/, v45 /*v301*/, v40 /*v296*/
	s_set_vgpr_msb 0x41                     ;  msbs: dst=1 src0=1 src1=0 src2=0
	v_lshrrev_b32_e32 v45 /*v301*/, 16, v164
	v_sub_nc_u16 v20 /*v276*/, v20 /*v276*/, v164
	s_set_vgpr_msb 0                        ;  msbs: dst=0 src0=0 src1=0 src2=0
	v_lshrrev_b32_e32 v164, 24, v164
	s_set_vgpr_msb 4                        ;  msbs: dst=0 src0=0 src1=1 src2=0
	v_sub_nc_u16 v200, v200, v43 /*v299*/
	s_set_vgpr_msb 64                       ;  msbs: dst=1 src0=0 src1=0 src2=0
	v_lshrrev_b16 v43 /*v299*/, 8, v165
	s_set_vgpr_msb 1                        ;  msbs: dst=0 src0=1 src1=0 src2=0
	v_sub_nc_u16 v162, v44 /*v300*/, v162
	s_set_vgpr_msb 64                       ;  msbs: dst=1 src0=0 src1=0 src2=0
	v_lshrrev_b32_e32 v44 /*v300*/, 16, v165
	s_set_vgpr_msb 0                        ;  msbs: dst=0 src0=0 src1=0 src2=0
	v_sub_nc_u16 v199, v199, v165
	v_lshrrev_b32_e32 v165, 24, v165
	v_lshrrev_b16 v166, 8, v166
	v_lshrrev_b16 v167, 8, v167
	s_set_vgpr_msb 0x45                     ;  msbs: dst=1 src0=1 src1=1 src2=0
	v_sub_nc_u16 v41 /*v297*/, v47 /*v303*/, v41 /*v297*/
	s_set_vgpr_msb 64                       ;  msbs: dst=1 src0=0 src1=0 src2=0
	v_lshrrev_b32_e32 v47 /*v303*/, 16, v168
	s_set_vgpr_msb 4                        ;  msbs: dst=0 src0=0 src1=1 src2=0
	v_sub_nc_u16 v201, v201, v42 /*v298*/
	s_set_vgpr_msb 64                       ;  msbs: dst=1 src0=0 src1=0 src2=0
	v_lshrrev_b32_e32 v42 /*v298*/, 24, v168
	s_set_vgpr_msb 0                        ;  msbs: dst=0 src0=0 src1=0 src2=0
	v_lshlrev_b16 v144, 8, v144
	v_lshlrev_b16 v153, 8, v153
	v_bfe_u32 v145, v145, 24, 2
	v_bfe_u32 v146, v146, 24, 2
	;; [unrolled: 1-line block ×7, first 2 shown]
	s_set_vgpr_msb 64                       ;  msbs: dst=1 src0=0 src1=0 src2=0
	v_and_b32_e32 v17 /*v273*/, 0x3030303, v206
	v_and_b32_e32 v18 /*v274*/, 0x3030303, v207
	s_set_vgpr_msb 0                        ;  msbs: dst=0 src0=0 src1=0 src2=0
	v_bfe_u32 v188, v188, 24, 2
	v_bfe_u32 v189, v189, 24, 2
	s_set_vgpr_msb 64                       ;  msbs: dst=1 src0=0 src1=0 src2=0
	v_and_b32_e32 v23 /*v279*/, 0x3030303, v190
	v_and_b32_e32 v25 /*v281*/, 0x3030303, v191
	v_and_b32_e32 v26 /*v282*/, 0x3030303, v192
	v_and_b32_e32 v29 /*v285*/, 0x3030303, v195
	s_set_vgpr_msb 0                        ;  msbs: dst=0 src0=0 src1=0 src2=0
	v_and_b32_e32 v182, 0x4040404, v182
	v_and_b32_e32 v183, 0x4040404, v183
	;; [unrolled: 1-line block ×6, first 2 shown]
	s_set_vgpr_msb 0x44                     ;  msbs: dst=1 src0=0 src1=1 src2=0
	v_lshrrev_b16 v37 /*v293*/, 8, v6 /*v262*/
	v_lshrrev_b16 v39 /*v295*/, 8, v7 /*v263*/
	v_dual_lshrrev_b32 v51 /*v307*/, 16, v7 /*v263*/ :: v_dual_lshrrev_b32 v52 /*v308*/, 16, v12 /*v268*/
	v_lshrrev_b16 v54 /*v310*/, 8, v12 /*v268*/
	v_dual_lshrrev_b32 v57 /*v313*/, 16, v13 /*v269*/ :: v_dual_lshrrev_b32 v60 /*v316*/, 16, v22 /*v278*/
	;; [unrolled: 2-line block ×3, first 2 shown]
	v_lshrrev_b16 v61 /*v317*/, 8, v22 /*v278*/
	s_set_vgpr_msb 0x41                     ;  msbs: dst=1 src0=1 src1=0 src2=0
	v_sub_nc_u16 v6 /*v262*/, v6 /*v262*/, v168
	s_set_vgpr_msb 1                        ;  msbs: dst=0 src0=1 src1=0 src2=0
	v_lshrrev_b16 v168, 8, v168
	v_sub_nc_u16 v163, v46 /*v302*/, v163
	s_set_vgpr_msb 64                       ;  msbs: dst=1 src0=0 src1=0 src2=0
	v_lshrrev_b32_e32 v46 /*v302*/, 16, v169
	s_set_vgpr_msb 0x45                     ;  msbs: dst=1 src0=1 src1=1 src2=0
	v_sub_nc_u16 v45 /*v301*/, v48 /*v304*/, v45 /*v301*/
	s_set_vgpr_msb 0x41                     ;  msbs: dst=1 src0=1 src1=0 src2=0
	v_lshrrev_b32_e32 v48 /*v304*/, 24, v169
	v_sub_nc_u16 v7 /*v263*/, v7 /*v263*/, v169
	s_set_vgpr_msb 0                        ;  msbs: dst=0 src0=0 src1=0 src2=0
	v_lshrrev_b16 v169, 8, v169
	v_sub_nc_u16 v164, v198, v164
	v_lshrrev_b32_e32 v198, 24, v170
	s_set_vgpr_msb 0x45                     ;  msbs: dst=1 src0=1 src1=1 src2=0
	v_sub_nc_u16 v43 /*v299*/, v50 /*v306*/, v43 /*v299*/
	s_set_vgpr_msb 64                       ;  msbs: dst=1 src0=0 src1=0 src2=0
	v_lshrrev_b16 v50 /*v306*/, 8, v170
	s_set_vgpr_msb 1                        ;  msbs: dst=0 src0=1 src1=0 src2=0
	v_sub_nc_u16 v165, v24 /*v280*/, v165
	s_set_vgpr_msb 64                       ;  msbs: dst=1 src0=0 src1=0 src2=0
	v_lshrrev_b32_e32 v24 /*v280*/, 24, v171
	s_set_vgpr_msb 1                        ;  msbs: dst=0 src0=1 src1=0 src2=0
	v_sub_nc_u16 v166, v53 /*v309*/, v166
	s_set_vgpr_msb 64                       ;  msbs: dst=1 src0=0 src1=0 src2=0
	v_lshrrev_b32_e32 v53 /*v309*/, 16, v172
	s_set_vgpr_msb 1                        ;  msbs: dst=0 src0=1 src1=0 src2=0
	v_sub_nc_u16 v167, v55 /*v311*/, v167
	s_set_vgpr_msb 0x41                     ;  msbs: dst=1 src0=1 src1=0 src2=0
	v_lshrrev_b32_e32 v55 /*v311*/, 24, v172
	v_sub_nc_u16 v21 /*v277*/, v21 /*v277*/, v172
	s_set_vgpr_msb 0                        ;  msbs: dst=0 src0=0 src1=0 src2=0
	v_lshrrev_b16 v172, 8, v172
	s_set_vgpr_msb 0x45                     ;  msbs: dst=1 src0=1 src1=1 src2=0
	v_sub_nc_u16 v38 /*v294*/, v38 /*v294*/, v47 /*v303*/
	s_set_vgpr_msb 64                       ;  msbs: dst=1 src0=0 src1=0 src2=0
	v_lshrrev_b32_e32 v47 /*v303*/, 16, v173
	s_set_vgpr_msb 4                        ;  msbs: dst=0 src0=0 src1=1 src2=0
	v_sub_nc_u16 v184, v184, v42 /*v298*/
	s_set_vgpr_msb 0x41                     ;  msbs: dst=1 src0=1 src1=0 src2=0
	v_lshrrev_b32_e32 v42 /*v298*/, 24, v173
	v_sub_nc_u16 v22 /*v278*/, v22 /*v278*/, v173
	s_set_vgpr_msb 0                        ;  msbs: dst=0 src0=0 src1=0 src2=0
	v_lshrrev_b16 v173, 8, v173
	v_bitop3_b16 v144, v247, v144, 0xff bitop3:0xec
	v_bitop3_b16 v153, v239, v153, 0xff bitop3:0xec
	v_bfe_u32 v185, v185, 24, 2
	v_bfe_u32 v192, v192, 24, 2
	;; [unrolled: 1-line block ×4, first 2 shown]
	v_and_b32_e32 v177, 0x4040404, v177
	s_set_vgpr_msb 0x44                     ;  msbs: dst=1 src0=0 src1=1 src2=0
	v_dual_lshrrev_b32 v64 /*v320*/, 16, v25 /*v281*/ :: v_dual_lshrrev_b32 v66 /*v322*/, 16, v26 /*v282*/
	v_lshrrev_b16 v67 /*v323*/, 8, v26 /*v282*/
	s_set_vgpr_msb 0                        ;  msbs: dst=0 src0=0 src1=0 src2=0
	v_sub_nc_u16 v145, v145, v249
	s_set_vgpr_msb 4                        ;  msbs: dst=0 src0=0 src1=1 src2=0
	v_lshrrev_b32_e32 v249, 16, v29 /*v285*/
	s_set_vgpr_msb 0                        ;  msbs: dst=0 src0=0 src1=0 src2=0
	v_sub_nc_u16 v146, v146, v251
	s_set_vgpr_msb 4                        ;  msbs: dst=0 src0=0 src1=1 src2=0
	v_lshrrev_b16 v251, 8, v29 /*v285*/
	s_set_vgpr_msb 0                        ;  msbs: dst=0 src0=0 src1=0 src2=0
	v_sub_nc_u16 v147, v147, v253
	s_set_vgpr_msb 4                        ;  msbs: dst=0 src0=0 src1=1 src2=0
	v_lshrrev_b16 v253, 8, v17 /*v273*/
	s_set_vgpr_msb 0                        ;  msbs: dst=0 src0=0 src1=0 src2=0
	v_sub_nc_u16 v148, v148, v255
	s_set_vgpr_msb 4                        ;  msbs: dst=0 src0=0 src1=1 src2=0
	v_lshrrev_b32_e32 v255, 16, v17 /*v273*/
	v_sub_nc_u16 v149, v149, v1 /*v257*/
	s_set_vgpr_msb 0x44                     ;  msbs: dst=1 src0=0 src1=1 src2=0
	v_lshrrev_b16 v1 /*v257*/, 8, v18 /*v274*/
	s_set_vgpr_msb 4                        ;  msbs: dst=0 src0=0 src1=1 src2=0
	v_sub_nc_u16 v150, v150, v3 /*v259*/
	s_set_vgpr_msb 0x44                     ;  msbs: dst=1 src0=0 src1=1 src2=0
	v_lshrrev_b32_e32 v3 /*v259*/, 16, v18 /*v274*/
	s_set_vgpr_msb 0x41                     ;  msbs: dst=1 src0=1 src1=0 src2=0
	v_sub_nc_u16 v17 /*v273*/, v17 /*v273*/, v182
	v_sub_nc_u16 v18 /*v274*/, v18 /*v274*/, v183
	;; [unrolled: 1-line block ×3, first 2 shown]
	s_set_vgpr_msb 0                        ;  msbs: dst=0 src0=0 src1=0 src2=0
	v_lshrrev_b32_e32 v170, 16, v170
	s_set_vgpr_msb 0x45                     ;  msbs: dst=1 src0=1 src1=1 src2=0
	v_sub_nc_u16 v44 /*v300*/, v49 /*v305*/, v44 /*v300*/
	s_set_vgpr_msb 64                       ;  msbs: dst=1 src0=0 src1=0 src2=0
	v_lshrrev_b32_e32 v49 /*v305*/, 16, v171
	s_set_vgpr_msb 1                        ;  msbs: dst=0 src0=1 src1=0 src2=0
	v_sub_nc_u16 v168, v37 /*v293*/, v168
	s_set_vgpr_msb 64                       ;  msbs: dst=1 src0=0 src1=0 src2=0
	v_lshrrev_b32_e32 v37 /*v293*/, 16, v174
	s_set_vgpr_msb 1                        ;  msbs: dst=0 src0=1 src1=0 src2=0
	v_sub_nc_u16 v169, v39 /*v295*/, v169
	s_set_vgpr_msb 64                       ;  msbs: dst=1 src0=0 src1=0 src2=0
	v_lshrrev_b32_e32 v39 /*v295*/, 24, v175
	s_set_vgpr_msb 0                        ;  msbs: dst=0 src0=0 src1=0 src2=0
	v_sub_nc_u16 v198, v202, v198
	v_lshrrev_b32_e32 v202, 16, v176
	s_set_vgpr_msb 0x45                     ;  msbs: dst=1 src0=1 src1=1 src2=0
	v_sub_nc_u16 v50 /*v306*/, v54 /*v310*/, v50 /*v306*/
	s_set_vgpr_msb 0x41                     ;  msbs: dst=1 src0=1 src1=0 src2=0
	v_lshrrev_b32_e32 v54 /*v310*/, 24, v176
	v_sub_nc_u16 v26 /*v282*/, v26 /*v282*/, v176
	s_set_vgpr_msb 0                        ;  msbs: dst=0 src0=0 src1=0 src2=0
	v_lshrrev_b16 v176, 8, v176
	s_set_vgpr_msb 0x45                     ;  msbs: dst=1 src0=1 src1=1 src2=0
	v_sub_nc_u16 v53 /*v309*/, v59 /*v315*/, v53 /*v309*/
	s_set_vgpr_msb 64                       ;  msbs: dst=1 src0=0 src1=0 src2=0
	v_lshrrev_b32_e32 v59 /*v315*/, 16, v179
	s_set_vgpr_msb 4                        ;  msbs: dst=0 src0=0 src1=1 src2=0
	v_sub_nc_u16 v188, v188, v55 /*v311*/
	s_set_vgpr_msb 0x41                     ;  msbs: dst=1 src0=1 src1=0 src2=0
	v_lshrrev_b32_e32 v55 /*v311*/, 24, v179
	v_sub_nc_u16 v29 /*v285*/, v29 /*v285*/, v179
	s_set_vgpr_msb 1                        ;  msbs: dst=0 src0=1 src1=0 src2=0
	v_lshrrev_b16 v179, 8, v179
	v_sub_nc_u16 v172, v58 /*v314*/, v172
	s_set_vgpr_msb 64                       ;  msbs: dst=1 src0=0 src1=0 src2=0
	v_lshrrev_b16 v58 /*v314*/, 8, v182
	s_set_vgpr_msb 0x45                     ;  msbs: dst=1 src0=1 src1=1 src2=0
	v_sub_nc_u16 v47 /*v303*/, v60 /*v316*/, v47 /*v303*/
	s_set_vgpr_msb 64                       ;  msbs: dst=1 src0=0 src1=0 src2=0
	v_lshrrev_b32_e32 v60 /*v316*/, 16, v182
	s_set_vgpr_msb 0                        ;  msbs: dst=0 src0=0 src1=0 src2=0
	v_lshrrev_b32_e32 v182, 24, v182
	s_set_vgpr_msb 4                        ;  msbs: dst=0 src0=0 src1=1 src2=0
	v_sub_nc_u16 v189, v189, v42 /*v298*/
	s_set_vgpr_msb 64                       ;  msbs: dst=1 src0=0 src1=0 src2=0
	v_lshrrev_b16 v42 /*v298*/, 8, v183
	s_set_vgpr_msb 1                        ;  msbs: dst=0 src0=1 src1=0 src2=0
	v_sub_nc_u16 v173, v61 /*v317*/, v173
	s_set_vgpr_msb 64                       ;  msbs: dst=1 src0=0 src1=0 src2=0
	v_lshrrev_b32_e32 v61 /*v317*/, 16, v183
	s_set_vgpr_msb 0                        ;  msbs: dst=0 src0=0 src1=0 src2=0
	v_perm_b32 v144, v144, v247, 0xc0c0500
	v_perm_b32 v153, v153, v239, 0x5000c0c
	v_lshrrev_b32_e32 v183, 24, v183
	v_lshrrev_b16 v141, 8, v4
	v_dual_ashrrev_i32 v217, 24, v0 :: v_dual_ashrrev_i32 v219, 24, v1
	v_lshrrev_b16 v224, 8, v1
	v_bfe_i32 v134, v4, 0, 8
	v_lshrrev_b16 v229, 8, v0
	v_lshrrev_b16 v231, 8, v2
	s_set_vgpr_msb 64                       ;  msbs: dst=1 src0=0 src1=0 src2=0
	v_and_b32_e32 v27 /*v283*/, 0x3030303, v193
	s_set_vgpr_msb 0                        ;  msbs: dst=0 src0=0 src1=0 src2=0
	v_bfe_u32 v193, v193, 24, 2
	s_set_vgpr_msb 64                       ;  msbs: dst=1 src0=0 src1=0 src2=0
	v_lshrrev_b16 v35 /*v291*/, 8, v197
	s_set_vgpr_msb 0                        ;  msbs: dst=0 src0=0 src1=0 src2=0
	v_sub_nc_u16 v197, v197, v181
	v_lshrrev_b16 v181, 8, v181
	s_set_vgpr_msb 4                        ;  msbs: dst=0 src0=0 src1=1 src2=0
	v_sub_nc_u16 v185, v185, v48 /*v304*/
	s_set_vgpr_msb 1                        ;  msbs: dst=0 src0=1 src1=0 src2=0
	v_sub_nc_u16 v170, v52 /*v308*/, v170
	s_set_vgpr_msb 64                       ;  msbs: dst=1 src0=0 src1=0 src2=0
	v_lshrrev_b32_e32 v52 /*v308*/, 16, v177
	s_set_vgpr_msb 0x45                     ;  msbs: dst=1 src0=1 src1=1 src2=0
	v_sub_nc_u16 v49 /*v305*/, v57 /*v313*/, v49 /*v305*/
	s_set_vgpr_msb 64                       ;  msbs: dst=1 src0=0 src1=0 src2=0
	v_lshrrev_b32_e32 v57 /*v313*/, 24, v177
	s_set_vgpr_msb 4                        ;  msbs: dst=0 src0=0 src1=1 src2=0
	v_sub_nc_u16 v192, v192, v54 /*v310*/
	s_set_vgpr_msb 1                        ;  msbs: dst=0 src0=1 src1=0 src2=0
	v_sub_nc_u16 v176, v67 /*v323*/, v176
	s_set_vgpr_msb 0                        ;  msbs: dst=0 src0=0 src1=0 src2=0
	v_sub_nc_u16 v179, v251, v179
	s_set_vgpr_msb 4                        ;  msbs: dst=0 src0=0 src1=1 src2=0
	v_sub_nc_u16 v251, v253, v58 /*v314*/
	s_set_vgpr_msb 0                        ;  msbs: dst=0 src0=0 src1=0 src2=0
	v_sub_nc_u16 v182, v206, v182
	s_set_vgpr_msb 5                        ;  msbs: dst=0 src0=1 src1=1 src2=0
	v_sub_nc_u16 v206, v1 /*v257*/, v42 /*v298*/
	s_set_vgpr_msb 0x41                     ;  msbs: dst=1 src0=1 src1=0 src2=0
	v_bfe_i32 v1 /*v257*/, v10 /*v266*/, 0, 8
	v_bfe_i32 v10 /*v266*/, v21 /*v277*/, 0, 8
	;; [unrolled: 1-line block ×4, first 2 shown]
	s_set_vgpr_msb 0                        ;  msbs: dst=0 src0=0 src1=0 src2=0
	v_lshlrev_b16 v152, 8, v152
	v_lshlrev_b16 v155, 8, v155
	;; [unrolled: 1-line block ×8, first 2 shown]
	v_or_b32_e32 v144, v153, v144
	v_sub_nc_u16 v183, v207, v183
	v_lshrrev_b16 v143, 8, v5
	v_lshrrev_b16 v212, 8, v6
	v_dual_ashrrev_i32 v213, 24, v4 :: v_dual_ashrrev_i32 v215, 24, v5
	v_bfe_i32 v131, v0, 0, 8
	v_lshrrev_b16 v225, 8, v3
	v_dual_ashrrev_i32 v227, 24, v3 :: v_dual_ashrrev_i32 v232, 24, v2
	v_bfe_i32 v234, v141, 0, 8
	v_bfe_i32 v224, v224, 0, 8
	;; [unrolled: 1-line block ×4, first 2 shown]
	v_bfe_u32 v190, v190, 24, 2
	v_bfe_u32 v191, v191, 24, 2
	s_set_vgpr_msb 64                       ;  msbs: dst=1 src0=0 src1=0 src2=0
	v_and_b32_e32 v28 /*v284*/, 0x3030303, v194
	s_set_vgpr_msb 0                        ;  msbs: dst=0 src0=0 src1=0 src2=0
	v_and_b32_e32 v178, 0x4040404, v178
	s_set_vgpr_msb 0x45                     ;  msbs: dst=1 src0=1 src1=1 src2=0
	v_lshrrev_b32_e32 v68 /*v324*/, 16, v27 /*v283*/
	v_sub_nc_u16 v36 /*v292*/, v36 /*v292*/, v69 /*v325*/
	v_lshrrev_b16 v69 /*v325*/, 8, v27 /*v283*/
	s_set_vgpr_msb 1                        ;  msbs: dst=0 src0=1 src1=0 src2=0
	v_sub_nc_u16 v181, v35 /*v291*/, v181
	s_set_vgpr_msb 0x45                     ;  msbs: dst=1 src0=1 src1=1 src2=0
	v_sub_nc_u16 v46 /*v302*/, v51 /*v307*/, v46 /*v302*/
	s_set_vgpr_msb 0x41                     ;  msbs: dst=1 src0=1 src1=0 src2=0
	v_dual_lshrrev_b32 v51 /*v307*/, 24, v174 :: v_dual_lshrrev_b32 v48 /*v304*/, 16, v175
	v_sub_nc_u16 v27 /*v283*/, v27 /*v283*/, v177
	s_set_vgpr_msb 1                        ;  msbs: dst=0 src0=1 src1=0 src2=0
	v_lshrrev_b16 v177, 8, v177
	v_sub_nc_u16 v202, v66 /*v322*/, v202
	s_set_vgpr_msb 4                        ;  msbs: dst=0 src0=0 src1=1 src2=0
	v_sub_nc_u16 v193, v193, v57 /*v313*/
	s_set_vgpr_msb 1                        ;  msbs: dst=0 src0=1 src1=0 src2=0
	v_bfe_i32 v207, v14 /*v270*/, 0, 8
	s_set_vgpr_msb 0x41                     ;  msbs: dst=1 src0=1 src1=0 src2=0
	v_bfe_i32 v14 /*v270*/, v26 /*v282*/, 0, 8
	s_set_vgpr_msb 0                        ;  msbs: dst=0 src0=0 src1=0 src2=0
	v_bfe_i32 v204, v204, 0, 16
	s_set_vgpr_msb 0x41                     ;  msbs: dst=1 src0=1 src1=0 src2=0
	v_bfe_i32 v19 /*v275*/, v19 /*v275*/, 0, 16
	s_set_vgpr_msb 0                        ;  msbs: dst=0 src0=0 src1=0 src2=0
	v_bfe_i32 v167, v167, 0, 16
	v_bfe_i32 v183, v183, 0, 16
	v_lshlrev_b16 v162, 8, v162
	v_lshlrev_b16 v200, 8, v200
	s_set_vgpr_msb 0x44                     ;  msbs: dst=1 src0=0 src1=1 src2=0
	v_mul_i32_i24_e32 v10 /*v266*/, v134, v10 /*v266*/
	s_set_vgpr_msb 0                        ;  msbs: dst=0 src0=0 src1=0 src2=0
	v_lshlrev_b16 v189, 8, v189
	s_set_vgpr_msb 0x44                     ;  msbs: dst=1 src0=0 src1=1 src2=0
	v_mul_i32_i24_e32 v6 /*v262*/, v134, v6 /*v262*/
	s_set_vgpr_msb 0                        ;  msbs: dst=0 src0=0 src1=0 src2=0
	v_lshlrev_b16 v185, 8, v185
	v_lshlrev_b16 v176, 8, v176
	;; [unrolled: 1-line block ×3, first 2 shown]
	v_bfe_i32 v251, v251, 0, 16
	v_lshlrev_b16 v161, 8, v161
	v_bfe_i32 v166, v166, 0, 16
	v_bfe_i32 v182, v182, 0, 16
	s_set_vgpr_msb 1                        ;  msbs: dst=0 src0=1 src1=0 src2=0
	v_mul_i32_i24_e32 v219, v16 /*v272*/, v219
	s_set_vgpr_msb 0                        ;  msbs: dst=0 src0=0 src1=0 src2=0
	v_bitop3_b16 v152, v238, v152, 0xff bitop3:0xec
	v_bitop3_b16 v155, v241, v155, 0xff bitop3:0xec
	;; [unrolled: 1-line block ×3, first 2 shown]
	s_set_vgpr_msb 1                        ;  msbs: dst=0 src0=1 src1=0 src2=0
	v_bitop3_b16 v187, v5 /*v261*/, v187, 0xff bitop3:0xec
	s_set_vgpr_msb 0                        ;  msbs: dst=0 src0=0 src1=0 src2=0
	v_bfe_i32 v172, v172, 8, 8
	s_set_vgpr_msb 1                        ;  msbs: dst=0 src0=1 src1=0 src2=0
	v_bitop3_b16 v188, v53 /*v309*/, v188, 0xff bitop3:0xec
	s_set_vgpr_msb 0                        ;  msbs: dst=0 src0=0 src1=0 src2=0
	v_bfe_i32 v168, v168, 8, 8
	s_set_vgpr_msb 1                        ;  msbs: dst=0 src0=1 src1=0 src2=0
	v_bitop3_b16 v184, v38 /*v294*/, v184, 0xff bitop3:0xec
	v_lshrrev_b16 v221, 8, v7
	v_dual_ashrrev_i32 v223, 24, v7 :: v_dual_ashrrev_i32 v230, 24, v6
	s_set_vgpr_msb 0                        ;  msbs: dst=0 src0=0 src1=0 src2=0
	v_perm_b32 v138, v4, v4, 0xc0c0302
	v_bfe_i32 v143, v143, 0, 8
	v_bfe_i32 v212, v212, 0, 8
	;; [unrolled: 1-line block ×3, first 2 shown]
	s_set_vgpr_msb 0x44                     ;  msbs: dst=1 src0=0 src1=1 src2=0
	v_lshrrev_b16 v63 /*v319*/, 8, v23 /*v279*/
	v_lshrrev_b16 v65 /*v321*/, 8, v25 /*v281*/
	v_lshrrev_b32_e32 v35 /*v291*/, 16, v28 /*v284*/
	v_lshrrev_b16 v34 /*v290*/, 8, v28 /*v284*/
	s_set_vgpr_msb 0x41                     ;  msbs: dst=1 src0=1 src1=0 src2=0
	v_sub_nc_u16 v23 /*v279*/, v23 /*v279*/, v174
	s_set_vgpr_msb 0                        ;  msbs: dst=0 src0=0 src1=0 src2=0
	v_lshrrev_b16 v174, 8, v174
	s_set_vgpr_msb 0x41                     ;  msbs: dst=1 src0=1 src1=0 src2=0
	v_sub_nc_u16 v25 /*v281*/, v25 /*v281*/, v175
	v_sub_nc_u16 v28 /*v284*/, v28 /*v284*/, v178
	s_set_vgpr_msb 4                        ;  msbs: dst=0 src0=0 src1=1 src2=0
	v_sub_nc_u16 v190, v190, v51 /*v307*/
	v_sub_nc_u16 v191, v191, v39 /*v295*/
	s_set_vgpr_msb 0x45                     ;  msbs: dst=1 src0=1 src1=1 src2=0
	v_sub_nc_u16 v39 /*v295*/, v68 /*v324*/, v52 /*v308*/
	s_set_vgpr_msb 1                        ;  msbs: dst=0 src0=1 src1=0 src2=0
	v_sub_nc_u16 v177, v69 /*v325*/, v177
	s_set_vgpr_msb 0x41                     ;  msbs: dst=1 src0=1 src1=0 src2=0
	v_bfe_i32 v21 /*v277*/, v27 /*v283*/, 0, 8
	v_bfe_i32 v27 /*v283*/, v31 /*v287*/, 0, 8
	s_set_vgpr_msb 0                        ;  msbs: dst=0 src0=0 src1=0 src2=0
	v_bfe_i32 v196, v196, 0, 16
	v_bfe_i32 v181, v181, 0, 16
	s_set_vgpr_msb 0x41                     ;  msbs: dst=1 src0=1 src1=0 src2=0
	v_bfe_i32 v31 /*v287*/, v36 /*v292*/, 0, 16
	s_set_vgpr_msb 0                        ;  msbs: dst=0 src0=0 src1=0 src2=0
	v_bfe_i32 v180, v180, 0, 16
	v_bfe_i32 v165, v165, 0, 16
	v_bfe_i32 v158, v158, 0, 8
	v_bfe_i32 v170, v170, 0, 8
	v_bfe_i32 v206, v206, 0, 16
	s_set_vgpr_msb 0x44                     ;  msbs: dst=1 src0=0 src1=1 src2=0
	v_mul_i32_i24_e32 v1 /*v257*/, v131, v1 /*v257*/
	s_set_vgpr_msb 0                        ;  msbs: dst=0 src0=0 src1=0 src2=0
	v_lshlrev_b16 v148, 8, v148
	v_lshlrev_b16 v157, 8, v157
	;; [unrolled: 1-line block ×3, first 2 shown]
	v_bfe_i32 v164, v164, 0, 16
	s_set_vgpr_msb 0x44                     ;  msbs: dst=1 src0=0 src1=1 src2=0
	v_mul_i32_i24_e32 v14 /*v270*/, v131, v14 /*v270*/
	s_set_vgpr_msb 1                        ;  msbs: dst=0 src0=1 src1=0 src2=0
	v_lshlrev_b16 v193, 8, v193
	v_lshlrev_b16 v169, 8, v169
	;; [unrolled: 1-line block ×3, first 2 shown]
	v_mul_i32_i24_e32 v215, v19 /*v275*/, v215
	s_set_vgpr_msb 0                        ;  msbs: dst=0 src0=0 src1=0 src2=0
	v_mul_i32_i24_e32 v167, v167, v224
	v_mul_i32_i24_e32 v183, v183, v227
	v_bfe_i32 v162, v162, 8, 8
	s_set_vgpr_msb 1                        ;  msbs: dst=0 src0=1 src1=0 src2=0
	v_bitop3_b16 v200, v40 /*v296*/, v200, 0xff bitop3:0xec
	v_bitop3_b16 v189, v47 /*v303*/, v189, 0xff bitop3:0xec
	;; [unrolled: 1-line block ×3, first 2 shown]
	s_set_vgpr_msb 0                        ;  msbs: dst=0 src0=0 src1=0 src2=0
	v_bfe_i32 v176, v176, 8, 8
	v_bitop3_b16 v192, v202, v192, 0xff bitop3:0xec
	v_mul_i32_i24_e32 v227, v251, v231
	v_mul_i32_i24_e32 v166, v166, v229
	v_perm_b32 v161, v161, v161, 0xc0c0c01
	v_mul_i32_i24_e32 v182, v182, v232
	v_mad_i32_i24 v204, v204, v217, v219
	v_perm_b32 v155, v155, v241, 0xc0c0500
	v_perm_b32 v147, v147, v250, 0x5000c0c
	s_set_vgpr_msb 4                        ;  msbs: dst=0 src0=0 src1=1 src2=0
	v_perm_b32 v187, v187, v5 /*v261*/, 0xc05000c
	s_set_vgpr_msb 16                       ;  msbs: dst=0 src0=0 src1=0 src2=1
	v_mad_i32_i24 v172, v234, v172, v10 /*v266*/
	s_set_vgpr_msb 4                        ;  msbs: dst=0 src0=0 src1=1 src2=0
	v_perm_b32 v188, v188, v53 /*v309*/, 0xc0c0500
	s_set_vgpr_msb 16                       ;  msbs: dst=0 src0=0 src1=0 src2=1
	v_mad_i32_i24 v168, v234, v168, v6 /*v262*/
	s_set_vgpr_msb 4                        ;  msbs: dst=0 src0=0 src1=1 src2=0
	v_perm_b32 v184, v184, v38 /*v294*/, 0xc0c0500
	s_set_vgpr_msb 0                        ;  msbs: dst=0 src0=0 src1=0 src2=0
	v_and_b32_e32 v152, 0xffff, v152
	v_bfe_u32 v203, v203, 24, 2
	s_set_vgpr_msb 0x44                     ;  msbs: dst=1 src0=0 src1=1 src2=0
	v_lshrrev_b16 v56 /*v312*/, 8, v13 /*v269*/
	s_set_vgpr_msb 0x41                     ;  msbs: dst=1 src0=1 src1=0 src2=0
	v_sub_nc_u16 v13 /*v269*/, v13 /*v269*/, v171
	s_set_vgpr_msb 0                        ;  msbs: dst=0 src0=0 src1=0 src2=0
	v_lshrrev_b16 v171, 8, v171
	v_lshlrev_b16 v156, 8, v156
	v_bfe_i32 v135, v5, 0, 8
	v_perm_b32 v142, v0, v0, 0xc0c0302
	v_bfe_i32 v221, v221, 0, 8
	s_set_vgpr_msb 0x45                     ;  msbs: dst=1 src0=1 src1=1 src2=0
	v_sub_nc_u16 v37 /*v293*/, v62 /*v318*/, v37 /*v293*/
	s_set_vgpr_msb 1                        ;  msbs: dst=0 src0=1 src1=0 src2=0
	v_sub_nc_u16 v174, v63 /*v319*/, v174
	s_set_vgpr_msb 4                        ;  msbs: dst=0 src0=0 src1=1 src2=0
	v_sub_nc_u16 v253, v255, v60 /*v316*/
	s_set_vgpr_msb 5                        ;  msbs: dst=0 src0=1 src1=1 src2=0
	v_sub_nc_u16 v255, v3 /*v259*/, v61 /*v317*/
	s_set_vgpr_msb 0                        ;  msbs: dst=0 src0=0 src1=0 src2=0
	v_bfe_i32 v197, v197, 0, 8
	s_set_vgpr_msb 0x41                     ;  msbs: dst=1 src0=1 src1=0 src2=0
	v_bfe_i32 v3 /*v259*/, v20 /*v276*/, 0, 8
	v_bfe_i32 v20 /*v276*/, v22 /*v278*/, 0, 8
	;; [unrolled: 1-line block ×8, first 2 shown]
	s_set_vgpr_msb 0                        ;  msbs: dst=0 src0=0 src1=0 src2=0
	v_bfe_i32 v154, v154, 0, 8
	v_bfe_i32 v160, v160, 0, 8
	s_set_vgpr_msb 0x41                     ;  msbs: dst=1 src0=1 src1=0 src2=0
	v_bfe_i32 v32 /*v288*/, v43 /*v299*/, 0, 16
	s_set_vgpr_msb 0                        ;  msbs: dst=0 src0=0 src1=0 src2=0
	v_lshlrev_b16 v145, 8, v145
	v_lshlrev_b16 v248, 8, v248
	;; [unrolled: 1-line block ×5, first 2 shown]
	v_mul_i32_i24_e32 v143, v181, v143
	s_set_vgpr_msb 1                        ;  msbs: dst=0 src0=1 src1=0 src2=0
	v_mul_i32_i24_e32 v181, v31 /*v287*/, v212
	s_set_vgpr_msb 0                        ;  msbs: dst=0 src0=0 src1=0 src2=0
	v_mul_i32_i24_e32 v180, v180, v234
	v_mul_i32_i24_e32 v165, v165, v223
	v_perm_b32 v158, v170, v158, 0x5040100
	v_mul_i32_i24_e32 v170, v206, v225
	v_bitop3_b16 v148, v252, v148, 0xff bitop3:0xec
	v_bitop3_b16 v157, v243, v157, 0xff bitop3:0xec
	s_set_vgpr_msb 1                        ;  msbs: dst=0 src0=1 src1=0 src2=0
	v_bitop3_b16 v201, v41 /*v297*/, v201, 0xff bitop3:0xec
	s_set_vgpr_msb 0                        ;  msbs: dst=0 src0=0 src1=0 src2=0
	v_mul_i32_i24_e32 v164, v164, v230
	s_set_vgpr_msb 1                        ;  msbs: dst=0 src0=1 src1=0 src2=0
	v_bitop3_b16 v193, v39 /*v295*/, v193, 0xff bitop3:0xec
	s_set_vgpr_msb 0                        ;  msbs: dst=0 src0=0 src1=0 src2=0
	v_perm_b32 v173, v173, v173, 0xc0c0c01
	v_perm_b32 v169, v169, v169, 0xc0c0c01
	v_mad_i32_i24 v196, v196, v213, v215
	s_set_vgpr_msb 16                       ;  msbs: dst=0 src0=0 src1=0 src2=1
	v_mad_i32_i24 v162, v229, v162, v1 /*v257*/
	s_set_vgpr_msb 4                        ;  msbs: dst=0 src0=0 src1=1 src2=0
	v_perm_b32 v200, v200, v40 /*v296*/, 0xc0c0500
	v_perm_b32 v189, v189, v47 /*v303*/, 0xc05000c
	v_perm_b32 v185, v185, v46 /*v302*/, 0xc05000c
	s_set_vgpr_msb 16                       ;  msbs: dst=0 src0=0 src1=0 src2=1
	v_mad_i32_i24 v176, v229, v176, v14 /*v270*/
	v_perm_b32 v192, v192, v202, 0xc0c0500
	s_set_vgpr_msb 0                        ;  msbs: dst=0 src0=0 src1=0 src2=0
	v_add3_u32 v166, v166, v167, v227
	v_bfe_i32 v167, v152, 8, 8
	v_or_b32_e32 v147, v147, v155
	v_or_b32_e32 v155, v187, v161
	v_add3_u32 v161, v204, v182, v183
	v_dot4_i32_iu8 v172, v138, v188, v172 neg_lo:[1,1,0]
	v_dot4_i32_iu8 v138, v138, v184, v168 neg_lo:[1,1,0]
	v_bfe_u32 v194, v194, 24, 2
	s_set_vgpr_msb 4                        ;  msbs: dst=0 src0=0 src1=1 src2=0
	v_sub_nc_u16 v203, v203, v24 /*v280*/
	s_set_vgpr_msb 64                       ;  msbs: dst=1 src0=0 src1=0 src2=0
	v_lshrrev_b32_e32 v24 /*v280*/, 16, v178
	s_set_vgpr_msb 1                        ;  msbs: dst=0 src0=1 src1=0 src2=0
	v_sub_nc_u16 v171, v56 /*v312*/, v171
	s_set_vgpr_msb 64                       ;  msbs: dst=1 src0=0 src1=0 src2=0
	v_lshrrev_b32_e32 v56 /*v312*/, 24, v178
	s_set_vgpr_msb 0                        ;  msbs: dst=0 src0=0 src1=0 src2=0
	v_bitop3_b16 v156, v242, v156, 0xff bitop3:0xec
	v_bfe_i32 v132, v1, 0, 8
	v_bfe_i32 v222, v7, 16, 8
	;; [unrolled: 1-line block ×3, first 2 shown]
	v_perm_b32 v136, v5, v5, 0xc030201
	v_bfe_i32 v233, v2, 16, 8
	v_lshrrev_b16 v175, 8, v175
	v_bfe_i32 v205, v205, 0, 8
	s_set_vgpr_msb 0x41                     ;  msbs: dst=1 src0=1 src1=0 src2=0
	v_bfe_i32 v11 /*v267*/, v11 /*v267*/, 0, 8
	v_bfe_i32 v26 /*v282*/, v29 /*v285*/, 0, 8
	;; [unrolled: 1-line block ×4, first 2 shown]
	s_set_vgpr_msb 0                        ;  msbs: dst=0 src0=0 src1=0 src2=0
	v_mul_i32_i24_e32 v197, v197, v135
	s_set_vgpr_msb 0x44                     ;  msbs: dst=1 src0=0 src1=1 src2=0
	v_lshlrev_b16 v4 /*v260*/, 8, v4 /*v260*/
	s_set_vgpr_msb 0                        ;  msbs: dst=0 src0=0 src1=0 src2=0
	v_lshlrev_b16 v174, 8, v174
	v_perm_b32 v154, v160, v154, 0x5040100
	s_set_vgpr_msb 1                        ;  msbs: dst=0 src0=1 src1=0 src2=0
	v_mul_i32_i24_e32 v160, v32 /*v288*/, v221
	s_set_vgpr_msb 0                        ;  msbs: dst=0 src0=0 src1=0 src2=0
	v_bitop3_b16 v145, v246, v145, 0xff bitop3:0xec
	v_bitop3_b16 v223, v240, v248, 0xff bitop3:0xec
	s_set_vgpr_msb 1                        ;  msbs: dst=0 src0=1 src1=0 src2=0
	v_bitop3_b16 v190, v37 /*v293*/, v190, 0xff bitop3:0xec
	s_set_vgpr_msb 0                        ;  msbs: dst=0 src0=0 src1=0 src2=0
	v_perm_b32 v163, v163, v163, 0xc0c0c01
	v_perm_b32 v177, v177, v177, 0xc0c0c01
	v_add3_u32 v143, v180, v143, v181
	v_perm_b32 v148, v148, v252, 0xc0c0500
	v_perm_b32 v157, v157, v243, 0x5000c0c
	s_set_vgpr_msb 4                        ;  msbs: dst=0 src0=0 src1=1 src2=0
	v_perm_b32 v201, v201, v41 /*v297*/, 0xc05000c
	v_perm_b32 v193, v193, v39 /*v295*/, 0xc05000c
	v_bfe_i32 v152, v152, 0, 8
	s_set_vgpr_msb 0                        ;  msbs: dst=0 src0=0 src1=0 src2=0
	v_dot4_i32_iu8 v162, v142, v200, v162 neg_lo:[1,1,0]
	v_or_b32_e32 v173, v189, v173
	v_or_b32_e32 v168, v185, v169
	v_add3_u32 v164, v196, v164, v165
	v_dot4_i32_iu8 v142, v142, v192, v176 neg_lo:[1,1,0]
	v_mul_i32_i24_e32 v167, v234, v167
	v_add3_u32 v161, v166, v170, v161
	s_set_vgpr_msb 4                        ;  msbs: dst=0 src0=0 src1=1 src2=0
	v_mad_i32_i24 v166, v135, v20 /*v276*/, v172
	v_mad_i32_i24 v135, v135, v7 /*v263*/, v138
	s_set_vgpr_msb 0                        ;  msbs: dst=0 src0=0 src1=0 src2=0
	v_lshrrev_b16 v178, 8, v178
	s_set_vgpr_msb 4                        ;  msbs: dst=0 src0=0 src1=1 src2=0
	v_sub_nc_u16 v194, v194, v56 /*v312*/
	s_set_vgpr_msb 0                        ;  msbs: dst=0 src0=0 src1=0 src2=0
	v_and_b32_e32 v156, 0xffff, v156
	v_bfe_i32 v216, v5, 16, 8
	v_bfe_i32 v133, v6, 0, 8
	v_perm_b32 v137, v5, v4, 0x5040302
	v_perm_b32 v139, v1, v1, 0xc030201
	s_set_vgpr_msb 0x45                     ;  msbs: dst=1 src0=1 src1=1 src2=0
	v_sub_nc_u16 v48 /*v304*/, v64 /*v320*/, v48 /*v304*/
	s_set_vgpr_msb 1                        ;  msbs: dst=0 src0=1 src1=0 src2=0
	v_sub_nc_u16 v175, v65 /*v321*/, v175
	s_set_vgpr_msb 0x41                     ;  msbs: dst=1 src0=1 src1=0 src2=0
	v_bfe_i32 v8 /*v264*/, v8 /*v264*/, 0, 8
	s_set_vgpr_msb 0                        ;  msbs: dst=0 src0=0 src1=0 src2=0
	v_mul_i32_i24_e32 v205, v205, v132
	v_lshlrev_b16 v146, 8, v146
	v_lshlrev_b16 v186, 8, v186
	;; [unrolled: 1-line block ×3, first 2 shown]
	s_set_vgpr_msb 1                        ;  msbs: dst=0 src0=1 src1=0 src2=0
	v_mul_i32_i24_e32 v221, v33 /*v289*/, v222
	s_set_vgpr_msb 0                        ;  msbs: dst=0 src0=0 src1=0 src2=0
	v_mad_i32_i24 v197, v207, v134, v197
	s_set_vgpr_msb 1                        ;  msbs: dst=0 src0=1 src1=0 src2=0
	v_bfe_i32 v222, v4 /*v260*/, 8, 8
	s_set_vgpr_msb 0                        ;  msbs: dst=0 src0=0 src1=0 src2=0
	v_perm_b32 v174, v174, v174, 0xc0c0c01
	v_pk_mul_lo_u16 v154, v154, v228 op_sel_hi:[1,0]
	v_perm_b32 v145, v145, v246, 0xc0c0500
	v_perm_b32 v181, v223, v240, 0x5000c0c
	s_set_vgpr_msb 4                        ;  msbs: dst=0 src0=0 src1=1 src2=0
	v_perm_b32 v190, v190, v37 /*v293*/, 0xc05000c
	s_set_vgpr_msb 0                        ;  msbs: dst=0 src0=0 src1=0 src2=0
	v_pk_mul_lo_u16 v158, v158, v233 op_sel_hi:[1,0]
	v_or_b32_e32 v148, v157, v148
	v_dual_add_nc_u32 v89, 4, v89 :: v_dual_bitop2_b32 v157, v201, v163 bitop3:0x54
	v_or_b32_e32 v165, v193, v177
	s_set_vgpr_msb 4                        ;  msbs: dst=0 src0=0 src1=1 src2=0
	v_mad_i32_i24 v162, v132, v11 /*v267*/, v162
	s_set_vgpr_msb 0                        ;  msbs: dst=0 src0=0 src1=0 src2=0
	v_add3_u32 v138, v143, v160, v164
	s_set_vgpr_msb 4                        ;  msbs: dst=0 src0=0 src1=1 src2=0
	v_mad_i32_i24 v132, v132, v21 /*v277*/, v142
	s_set_vgpr_msb 0                        ;  msbs: dst=0 src0=0 src1=0 src2=0
	v_mad_i32_i24 v134, v134, v152, v167
	v_dot4_i32_iu8 v143, v136, v173, v166 neg_lo:[1,1,0]
	v_dot4_i32_iu8 v135, v136, v168, v135 neg_lo:[1,1,0]
	v_bfe_i32 v130, v7, 0, 8
	v_bfe_u32 v195, v195, 24, 2
	s_set_vgpr_msb 0x45                     ;  msbs: dst=1 src0=1 src1=1 src2=0
	v_sub_nc_u16 v24 /*v280*/, v35 /*v291*/, v24 /*v280*/
	s_set_vgpr_msb 1                        ;  msbs: dst=0 src0=1 src1=0 src2=0
	v_sub_nc_u16 v178, v34 /*v290*/, v178
	s_set_vgpr_msb 0                        ;  msbs: dst=0 src0=0 src1=0 src2=0
	v_bfe_i32 v199, v199, 0, 8
	v_lshlrev_b16 v149, 8, v149
	s_set_vgpr_msb 0x44                     ;  msbs: dst=1 src0=0 src1=1 src2=0
	v_lshlrev_b16 v0 /*v256*/, 8, v0 /*v256*/
	s_set_vgpr_msb 0                        ;  msbs: dst=0 src0=0 src1=0 src2=0
	v_lshlrev_b16 v194, 8, v194
	v_bfe_i32 v153, v156, 8, 8
	v_bfe_i32 v214, v4, 16, 8
	;; [unrolled: 1-line block ×3, first 2 shown]
	v_perm_b32 v5, v6, v5, 0x5040302
	v_perm_b32 v6, v6, v6, 0xc030201
	s_set_vgpr_msb 0x41                     ;  msbs: dst=1 src0=1 src1=0 src2=0
	v_bfe_i32 v17 /*v273*/, v17 /*v273*/, 0, 8
	v_bfe_i32 v9 /*v265*/, v9 /*v265*/, 0, 8
	v_bfe_i32 v12 /*v268*/, v12 /*v268*/, 0, 8
	v_bfe_i32 v34 /*v290*/, v45 /*v301*/, 0, 8
	v_mul_i32_i24_e32 v3 /*v259*/, v3 /*v259*/, v133
	s_set_vgpr_msb 1                        ;  msbs: dst=0 src0=1 src1=0 src2=0
	v_lshlrev_b16 v175, 8, v175
	v_mul_i32_i24_e32 v216, v29 /*v285*/, v216
	s_set_vgpr_msb 0                        ;  msbs: dst=0 src0=0 src1=0 src2=0
	v_bfe_i32 v146, v146, 8, 8
	v_bfe_i32 v186, v186, 8, 8
	s_set_vgpr_msb 1                        ;  msbs: dst=0 src0=1 src1=0 src2=0
	v_bitop3_b16 v191, v48 /*v304*/, v191, 0xff bitop3:0xec
	s_set_vgpr_msb 0                        ;  msbs: dst=0 src0=0 src1=0 src2=0
	v_mul_i32_i24_e32 v180, v212, v222
	v_or_b32_e32 v145, v181, v145
	v_bfe_i32 v163, v154, 0, 16
	v_ashrrev_i32_e32 v154, 16, v154
	v_or_b32_e32 v169, v190, v174
	v_dot4_i32_iu8 v142, v139, v157, v162 neg_lo:[1,1,0]
	v_dot4_i32_iu8 v132, v139, v165, v132 neg_lo:[1,1,0]
	;; [unrolled: 1-line block ×3, first 2 shown]
	s_set_vgpr_msb 4                        ;  msbs: dst=0 src0=0 src1=1 src2=0
	v_mad_i32_i24 v137, v133, v22 /*v278*/, v143
	v_mad_i32_i24 v133, v133, v8 /*v264*/, v135
	v_bfe_i32 v226, v3, 16, 8
	s_set_vgpr_msb 0x41                     ;  msbs: dst=1 src0=1 src1=0 src2=0
	v_bfe_i32 v15 /*v271*/, v15 /*v271*/, 0, 8
	s_set_vgpr_msb 4                        ;  msbs: dst=0 src0=0 src1=1 src2=0
	v_sub_nc_u16 v195, v195, v55 /*v311*/
	v_bfe_i32 v255, v255, 0, 8
	s_set_vgpr_msb 0                        ;  msbs: dst=0 src0=0 src1=0 src2=0
	v_mul_i32_i24_e32 v199, v199, v130
	s_set_vgpr_msb 0x44                     ;  msbs: dst=1 src0=0 src1=1 src2=0
	v_lshlrev_b16 v35 /*v291*/, 8, v50 /*v306*/
	s_set_vgpr_msb 0                        ;  msbs: dst=0 src0=0 src1=0 src2=0
	v_lshlrev_b16 v178, 8, v178
	v_bitop3_b16 v149, v254, v149, 0xff bitop3:0xec
	s_set_vgpr_msb 4                        ;  msbs: dst=0 src0=0 src1=1 src2=0
	v_bitop3_b16 v224, v244, v0 /*v256*/, 0xff bitop3:0xec
	s_set_vgpr_msb 1                        ;  msbs: dst=0 src0=1 src1=0 src2=0
	v_bitop3_b16 v194, v24 /*v280*/, v194, 0xff bitop3:0xec
	s_set_vgpr_msb 0                        ;  msbs: dst=0 src0=0 src1=0 src2=0
	v_bfe_i32 v156, v156, 0, 8
	v_mul_i32_i24_e32 v153, v229, v153
	s_set_vgpr_msb 0x41                     ;  msbs: dst=1 src0=1 src1=0 src2=0
	v_mul_i32_i24_e32 v17 /*v273*/, v17 /*v273*/, v129
	s_set_vgpr_msb 0x44                     ;  msbs: dst=1 src0=0 src1=1 src2=0
	v_mul_i32_i24_e32 v9 /*v265*/, v130, v9 /*v265*/
	s_set_vgpr_msb 1                        ;  msbs: dst=0 src0=1 src1=0 src2=0
	v_mul_i32_i24_e32 v207, v34 /*v290*/, v228
	s_set_vgpr_msb 0                        ;  msbs: dst=0 src0=0 src1=0 src2=0
	v_perm_b32 v175, v175, v175, 0xc0c0c01
	s_set_vgpr_msb 1                        ;  msbs: dst=0 src0=1 src1=0 src2=0
	v_mad_i32_i24 v213, v30 /*v286*/, v214, v216
	s_set_vgpr_msb 0                        ;  msbs: dst=0 src0=0 src1=0 src2=0
	v_mul_i32_i24_e32 v146, v230, v146
	v_mul_i32_i24_e32 v186, v230, v186
	s_set_vgpr_msb 4                        ;  msbs: dst=0 src0=0 src1=1 src2=0
	v_perm_b32 v191, v191, v48 /*v304*/, 0xc05000c
	v_mad_i32_i24 v135, v129, v12 /*v268*/, v142
	v_mad_i32_i24 v129, v129, v25 /*v281*/, v132
	s_set_vgpr_msb 0                        ;  msbs: dst=0 src0=0 src1=0 src2=0
	v_dot4_i32_iu8 v5, v5, v145, v134 neg_lo:[1,1,0]
	v_dot4_i32_iu8 v6, v6, v169, v137 neg_lo:[1,1,0]
	v_add3_u32 v132, v133, v180, v154
	v_bfe_i32 v220, v1, 16, 8
	v_perm_b32 v140, v1, v0, 0x5040302
	s_set_vgpr_msb 4                        ;  msbs: dst=0 src0=0 src1=1 src2=0
	v_sub_nc_u16 v249, v249, v59 /*v315*/
	s_set_vgpr_msb 1                        ;  msbs: dst=0 src0=1 src1=0 src2=0
	v_lshlrev_b16 v159, 8, v159
	v_lshlrev_b16 v151, 8, v151
	;; [unrolled: 1-line block ×6, first 2 shown]
	v_mad_i32_i24 v205, v15 /*v271*/, v131, v205
	s_set_vgpr_msb 0                        ;  msbs: dst=0 src0=0 src1=0 src2=0
	v_mul_i32_i24_e32 v206, v255, v226
	s_set_vgpr_msb 1                        ;  msbs: dst=0 src0=1 src1=0 src2=0
	v_bfe_i32 v226, v35 /*v291*/, 8, 8
	s_set_vgpr_msb 0                        ;  msbs: dst=0 src0=0 src1=0 src2=0
	v_perm_b32 v178, v178, v178, 0xc0c0c01
	s_set_vgpr_msb 4                        ;  msbs: dst=0 src0=0 src1=1 src2=0
	v_add3_u32 v197, v197, v3 /*v259*/, v199
	s_set_vgpr_msb 0                        ;  msbs: dst=0 src0=0 src1=0 src2=0
	v_perm_b32 v149, v149, v254, 0xc0c0500
	v_perm_b32 v199, v224, v244, 0x5000c0c
	s_set_vgpr_msb 4                        ;  msbs: dst=0 src0=0 src1=1 src2=0
	v_perm_b32 v194, v194, v24 /*v280*/, 0xc05000c
	s_set_vgpr_msb 0                        ;  msbs: dst=0 src0=0 src1=0 src2=0
	v_mad_i32_i24 v131, v131, v156, v153
	v_perm_b32 v4, v7, v7, 0xc030201
	v_or_b32_e32 v174, v191, v175
	v_add3_u32 v175, v213, v207, v221
	v_add3_u32 v5, v5, v163, v146
	s_set_vgpr_msb 4                        ;  msbs: dst=0 src0=0 src1=1 src2=0
	v_mad_i32_i24 v6, v130, v23 /*v279*/, v6
	s_set_vgpr_msb 16                       ;  msbs: dst=0 src0=0 src1=0 src2=1
	v_add3_u32 v130, v132, v186, v9 /*v265*/
	v_bfe_i32 v218, v0, 16, 8
	v_bfe_i32 v128, v3, 0, 8
	v_perm_b32 v1, v2, v1, 0x5040302
	v_perm_b32 v2, v2, v2, 0xc030201
	s_set_vgpr_msb 0x41                     ;  msbs: dst=1 src0=1 src1=0 src2=0
	v_bfe_i32 v18 /*v274*/, v18 /*v274*/, 0, 8
	v_bfe_i32 v13 /*v269*/, v13 /*v269*/, 0, 8
	s_set_vgpr_msb 0                        ;  msbs: dst=0 src0=0 src1=0 src2=0
	v_bfe_i32 v253, v253, 0, 8
	v_lshlrev_b16 v171, 8, v171
	v_lshlrev_b16 v179, 8, v179
	s_set_vgpr_msb 1                        ;  msbs: dst=0 src0=1 src1=0 src2=0
	v_mul_i32_i24_e32 v220, v27 /*v283*/, v220
	s_set_vgpr_msb 0                        ;  msbs: dst=0 src0=0 src1=0 src2=0
	v_bitop3_b16 v159, v245, v159, 0xff bitop3:0xec
	s_set_vgpr_msb 1                        ;  msbs: dst=0 src0=1 src1=0 src2=0
	v_bitop3_b16 v151, v2 /*v258*/, v151, 0xff bitop3:0xec
	s_set_vgpr_msb 0                        ;  msbs: dst=0 src0=0 src1=0 src2=0
	v_bfe_i32 v150, v150, 8, 8
	s_set_vgpr_msb 1                        ;  msbs: dst=0 src0=1 src1=0 src2=0
	v_bitop3_b16 v203, v49 /*v305*/, v203, 0xff bitop3:0xec
	s_set_vgpr_msb 0                        ;  msbs: dst=0 src0=0 src1=0 src2=0
	v_bitop3_b16 v195, v249, v195, 0xff bitop3:0xec
	v_bfe_i32 v198, v198, 8, 8
	v_mul_i32_i24_e32 v202, v231, v226
	v_or_b32_e32 v149, v199, v149
	v_or_b32_e32 v176, v194, v178
	v_bfe_i32 v177, v158, 0, 16
	v_ashrrev_i32_e32 v158, 16, v158
	v_dot4_i32_iu8 v131, v140, v148, v131 neg_lo:[1,1,0]
	v_lshrrev_b16 v235, 8, v210
	v_bfe_i32 v141, v210, 0, 8
	v_lshrrev_b16 v210, 8, v211
	v_lshrrev_b16 v236, 8, v208
	v_bfe_i32 v208, v208, 0, 8
	v_bfe_i32 v211, v211, 0, 8
	v_lshrrev_b16 v237, 8, v209
	v_bfe_i32 v209, v209, 0, 8
	v_add3_u32 v136, v197, v175, v138
	v_dot4_i32_iu8 v5, v7, v147, v5 neg_lo:[1,1,0]
	v_dot4_i32_iu8 v6, v4, v174, v6 neg_lo:[1,1,0]
	;; [unrolled: 1-line block ×3, first 2 shown]
	s_set_vgpr_msb 0x41                     ;  msbs: dst=1 src0=1 src1=0 src2=0
	v_mul_i32_i24_e32 v18 /*v274*/, v18 /*v274*/, v128
	s_set_vgpr_msb 0x44                     ;  msbs: dst=1 src0=0 src1=1 src2=0
	v_mul_i32_i24_e32 v13 /*v269*/, v128, v13 /*v269*/
	s_set_vgpr_msb 0                        ;  msbs: dst=0 src0=0 src1=0 src2=0
	v_mul_i32_i24_e32 v225, v253, v233
	v_perm_b32 v171, v171, v171, 0xc0c0c01
	v_perm_b32 v179, v179, v179, 0xc0c0c01
	s_set_vgpr_msb 1                        ;  msbs: dst=0 src0=1 src1=0 src2=0
	v_mad_i32_i24 v217, v28 /*v284*/, v218, v220
	s_set_vgpr_msb 0                        ;  msbs: dst=0 src0=0 src1=0 src2=0
	v_perm_b32 v159, v159, v245, 0xc0c0500
	s_set_vgpr_msb 4                        ;  msbs: dst=0 src0=0 src1=1 src2=0
	v_perm_b32 v151, v151, v2 /*v258*/, 0x5000c0c
	s_set_vgpr_msb 0                        ;  msbs: dst=0 src0=0 src1=0 src2=0
	v_mul_i32_i24_e32 v150, v232, v150
	v_mul_i32_i24_e32 v198, v232, v198
	s_set_vgpr_msb 4                        ;  msbs: dst=0 src0=0 src1=1 src2=0
	v_perm_b32 v203, v203, v49 /*v305*/, 0xc05000c
	s_set_vgpr_msb 0                        ;  msbs: dst=0 src0=0 src1=0 src2=0
	v_perm_b32 v195, v195, v249, 0xc05000c
	v_dot4_i32_iu8 v1, v1, v149, v131 neg_lo:[1,1,0]
	v_add3_u32 v131, v135, v202, v158
	v_dot4_i32_iu8 v2, v2, v176, v129 neg_lo:[1,1,0]
	v_mul_lo_u32 v133, v136, v209
	v_mul_lo_u32 v5, v5, v211
	;; [unrolled: 1-line block ×4, first 2 shown]
	v_perm_b32 v0, v3, v3, 0xc030201
	s_set_vgpr_msb 20                       ;  msbs: dst=0 src0=0 src1=1 src2=1
	v_add3_u32 v205, v205, v17 /*v273*/, v18 /*v274*/
	s_set_vgpr_msb 0                        ;  msbs: dst=0 src0=0 src1=0 src2=0
	v_or_b32_e32 v151, v151, v159
	v_add3_u32 v159, v217, v225, v206
	v_or_b32_e32 v171, v203, v171
	v_or_b32_e32 v178, v195, v179
	v_add3_u32 v1, v1, v177, v150
	s_set_vgpr_msb 4                        ;  msbs: dst=0 src0=0 src1=1 src2=0
	v_mad_i32_i24 v2, v128, v26 /*v282*/, v2
	s_set_vgpr_msb 16                       ;  msbs: dst=0 src0=0 src1=0 src2=1
	v_add3_u32 v7, v131, v198, v13 /*v269*/
	v_bfe_i32 v235, v235, 0, 8
	v_bfe_i32 v236, v236, 0, 8
	;; [unrolled: 1-line block ×4, first 2 shown]
	s_set_vgpr_msb 0                        ;  msbs: dst=0 src0=0 src1=0 src2=0
	v_add3_u32 v129, v205, v159, v161
	v_dot4_i32_iu8 v1, v3, v151, v1 neg_lo:[1,1,0]
	v_dot4_i32_iu8 v2, v0, v178, v2 neg_lo:[1,1,0]
	;; [unrolled: 1-line block ×3, first 2 shown]
	s_add_co_i32 s20, s20, 2
	v_mad_u32 v7, v129, v128, v133
	v_mad_u32 v128, v1, v210, v5
	;; [unrolled: 1-line block ×4, first 2 shown]
	v_pk_mul_f32 v[0:1], v[90:91], v[94:95] op_sel_hi:[0,1]
	v_pk_mul_f32 v[2:3], v[90:91], v[92:93] op_sel_hi:[0,1]
	v_add_nc_u32_e32 v91, 32, v91
	s_add_co_i32 s1, s1, 1
	s_cmp_lt_u32 s21, 6
	s_mov_b32 s22, s21
	v_cvt_f32_i32_e32 v5, v7
	v_cvt_f32_i32_e32 v6, v128
	;; [unrolled: 1-line block ×4, first 2 shown]
	s_delay_alu instid0(VALU_DEP_2) | instskip(NEXT) | instid1(VALU_DEP_2)
	v_pk_fma_f32 v[20:21], v[2:3], v[4:5], v[20:21]
	v_pk_fma_f32 v[18:19], v[0:1], v[6:7], v[18:19]
	s_cbranch_scc1 .LBB209_11
; %bb.12:                               ;   in Loop: Header=BB209_5 Depth=1
	s_or_b32 s1, s16, 0x80
	s_delay_alu instid0(SALU_CYCLE_1)
	s_cmp_ge_i32 s1, s11
	s_barrier_signal -1
	s_barrier_wait -1
	s_cbranch_scc1 .LBB209_4
; %bb.13:                               ;   in Loop: Header=BB209_5 Depth=1
	v_add_nc_u32_e32 v0, s17, v75
	s_delay_alu instid0(VALU_DEP_1) | instskip(SKIP_1) | instid1(SALU_CYCLE_1)
	v_cmp_gt_i32_e64 s1, s5, v0
	s_and_b32 s20, s0, s1
	s_and_saveexec_b32 s1, s20
	s_cbranch_execz .LBB209_15
; %bb.14:                               ;   in Loop: Header=BB209_5 Depth=1
	v_add_nc_u32_e32 v0, v22, v0
	s_delay_alu instid0(VALU_DEP_1)
	v_mad_nc_i64_i32 v[0:1], v0, 36, v[26:27]
	global_load_b32 v0, v[0:1], off offset:4
	s_wait_loadcnt 0x0
	ds_store_b32 v37, v0
.LBB209_15:                             ;   in Loop: Header=BB209_5 Depth=1
	s_or_b32 exec_lo, exec_lo, s1
	s_and_saveexec_b32 s20, vcc_lo
	s_cbranch_execz .LBB209_18
; %bb.16:                               ;   in Loop: Header=BB209_5 Depth=1
	v_or_b32_e32 v0, 4, v88
	s_delay_alu instid0(VALU_DEP_1) | instskip(SKIP_1) | instid1(SALU_CYCLE_1)
	v_cmp_gt_i32_e64 s1, s5, v0
	s_and_b32 s1, s0, s1
	s_and_b32 exec_lo, exec_lo, s1
	s_cbranch_execz .LBB209_18
; %bb.17:                               ;   in Loop: Header=BB209_5 Depth=1
	v_ashrrev_i32_e32 v89, 31, v88
	s_delay_alu instid0(VALU_DEP_1) | instskip(NEXT) | instid1(VALU_DEP_1)
	v_add_nc_u64_e32 v[0:1], v[22:23], v[88:89]
	v_mad_nc_u64_u32 v[2:3], v0, 36, s[2:3]
	s_delay_alu instid0(VALU_DEP_1)
	v_mad_i32_i24 v3, v1, 36, v3
	global_load_b32 v0, v[2:3], off offset:144
	s_wait_loadcnt 0x0
	v_cvt_f32_f16_e32 v0, v0
	ds_store_b32 v41, v0
.LBB209_18:                             ;   in Loop: Header=BB209_5 Depth=1
	s_or_b32 exec_lo, exec_lo, s20
	v_dual_mov_b32 v89, v35 :: v_dual_mov_b32 v91, v39
	s_mov_b32 s1, 8
	s_mov_b32 s24, 6
	;; [unrolled: 1-line block ×3, first 2 shown]
	s_wait_dscnt 0x0
	s_barrier_signal -1
	s_barrier_wait -1
.LBB209_19:                             ;   Parent Loop BB209_5 Depth=1
                                        ; =>  This Inner Loop Header: Depth=2
	s_add_co_i32 s21, s24, 2
	s_add_co_i32 s22, s24, -6
	s_lshr_b32 s26, s21, 4
	s_and_b32 s23, s21, 0x3ffffff8
	s_and_b32 s25, s1, -16
	v_lshl_add_u32 v4, s23, 2, v81
	s_lshl_b32 s23, s26, 5
	s_add_co_i32 s24, s24, s25
	s_addk_co_i32 s23, 0x4200
	s_lshl_b32 s25, s26, 2
	v_add3_u32 v92, s23, v83, v85
	ds_load_2addr_b32 v[0:1], v4 offset1:1
	s_addk_co_i32 s25, 0x7380
	ds_load_b32 v90, v91
	s_add_co_i32 s1, s1, 2
	ds_load_2addr_b32 v[2:3], v92 offset1:1
	s_wait_dscnt 0x2
	v_dual_add_nc_u32 v139, s24, v49 :: v_dual_ashrrev_i32 v0, s22, v0
	s_wait_dscnt 0x0
	v_ashrrev_i32_e32 v2, s20, v2
	s_delay_alu instid0(VALU_DEP_2) | instskip(NEXT) | instid1(VALU_DEP_2)
	v_and_b32_e32 v5, 0x3030303, v0
	v_dual_ashrrev_i32 v3, s20, v3 :: v_dual_lshlrev_b32 v2, 2, v2
	s_delay_alu instid0(VALU_DEP_2) | instskip(SKIP_2) | instid1(VALU_DEP_4)
	v_lshrrev_b32_e32 v7, 16, v5
	v_bfe_u32 v0, v0, 24, 2
	v_lshrrev_b16 v6, 8, v5
	v_lshlrev_b32_e32 v3, 2, v3
	v_and_b32_e32 v2, 0x4040404, v2
	s_delay_alu instid0(VALU_DEP_2) | instskip(NEXT) | instid1(VALU_DEP_2)
	v_and_b32_e32 v3, 0x4040404, v3
	v_dual_lshrrev_b32 v94, 24, v2 :: v_dual_lshrrev_b32 v95, 16, v2
	v_lshrrev_b16 v93, 8, v2
	s_delay_alu instid0(VALU_DEP_2) | instskip(NEXT) | instid1(VALU_DEP_3)
	v_sub_nc_u16 v0, v0, v94
	v_sub_nc_u16 v163, v7, v95
	v_lshrrev_b32_e32 v7, 24, v3
	s_delay_alu instid0(VALU_DEP_3) | instskip(NEXT) | instid1(VALU_DEP_1)
	v_lshlrev_b16 v0, 8, v0
	v_bitop3_b16 v164, v163, v0, 0xff bitop3:0xec
	v_sub_nc_u16 v0, v5, v2
	v_sub_nc_u16 v2, v6, v93
	v_lshrrev_b32_e32 v93, 16, v3
	v_lshrrev_b16 v6, 8, v3
	v_perm_b32 v163, v164, v163, 0xc0c0500
	s_delay_alu instid0(VALU_DEP_4) | instskip(NEXT) | instid1(VALU_DEP_1)
	v_lshlrev_b16 v2, 8, v2
	v_bitop3_b16 v0, v0, v2, 0xff bitop3:0xec
	s_delay_alu instid0(VALU_DEP_1) | instskip(SKIP_1) | instid1(VALU_DEP_1)
	v_and_b32_e32 v167, 0xffff, v0
	v_ashrrev_i32_e32 v0, s22, v1
	v_and_b32_e32 v1, 0x3030303, v0
	v_bfe_u32 v0, v0, 24, 2
	s_delay_alu instid0(VALU_DEP_2) | instskip(NEXT) | instid1(VALU_DEP_2)
	v_lshrrev_b32_e32 v5, 16, v1
	v_sub_nc_u16 v0, v0, v7
	v_lshrrev_b16 v2, 8, v1
	v_sub_nc_u16 v168, v1, v3
	s_delay_alu instid0(VALU_DEP_4) | instskip(NEXT) | instid1(VALU_DEP_4)
	v_sub_nc_u16 v165, v5, v93
	v_lshlrev_b16 v0, 8, v0
	s_delay_alu instid0(VALU_DEP_1) | instskip(SKIP_4) | instid1(VALU_DEP_1)
	v_bitop3_b16 v166, v165, v0, 0xff bitop3:0xec
	v_sub_nc_u16 v0, v2, v6
	ds_load_2addr_b32 v[2:3], v92 offset0:2 offset1:3
	v_perm_b32 v165, v166, v165, 0xc0c0500
	v_lshlrev_b16 v0, 8, v0
	v_bitop3_b16 v169, v168, v0, 0xff bitop3:0xec
	ds_load_2addr_b32 v[0:1], v4 offset0:2 offset1:3
	v_perm_b32 v164, v169, v168, 0x5000c0c
	s_wait_dscnt 0x1
	s_delay_alu instid0(VALU_DEP_1) | instskip(NEXT) | instid1(VALU_DEP_1)
	v_dual_ashrrev_i32 v2, s20, v2 :: v_dual_bitop2_b32 v163, v164, v163 bitop3:0x54
	v_dual_ashrrev_i32 v3, s20, v3 :: v_dual_lshlrev_b32 v2, 2, v2
	s_wait_dscnt 0x0
	s_delay_alu instid0(VALU_DEP_1) | instskip(NEXT) | instid1(VALU_DEP_2)
	v_dual_lshlrev_b32 v3, 2, v3 :: v_dual_ashrrev_i32 v0, s22, v0
	v_and_b32_e32 v2, 0x4040404, v2
	s_delay_alu instid0(VALU_DEP_2) | instskip(NEXT) | instid1(VALU_DEP_3)
	v_and_b32_e32 v3, 0x4040404, v3
	v_and_b32_e32 v5, 0x3030303, v0
	v_bfe_u32 v0, v0, 24, 2
	s_delay_alu instid0(VALU_DEP_4) | instskip(SKIP_1) | instid1(VALU_DEP_4)
	v_dual_lshrrev_b32 v93, 16, v2 :: v_dual_lshrrev_b32 v94, 24, v2
	v_lshrrev_b16 v95, 8, v2
	v_lshrrev_b16 v7, 8, v5
	v_lshrrev_b32_e32 v6, 16, v5
	v_sub_nc_u16 v171, v5, v2
	v_sub_nc_u16 v0, v0, v94
	s_delay_alu instid0(VALU_DEP_4) | instskip(SKIP_2) | instid1(VALU_DEP_4)
	v_sub_nc_u16 v2, v7, v95
	v_lshrrev_b32_e32 v7, 24, v3
	v_sub_nc_u16 v174, v6, v93
	v_lshlrev_b16 v129, 8, v0
	v_ashrrev_i32_e32 v0, s22, v1
	v_lshlrev_b16 v2, 8, v2
	v_lshrrev_b32_e32 v93, 16, v3
	v_lshrrev_b16 v6, 8, v3
	v_bfe_i32 v174, v174, 0, 8
	v_and_b32_e32 v1, 0x3030303, v0
	v_bfe_u32 v0, v0, 24, 2
	v_bitop3_b16 v172, v171, v2, 0xff bitop3:0xec
	v_bfe_i32 v129, v129, 8, 8
	s_delay_alu instid0(VALU_DEP_4) | instskip(NEXT) | instid1(VALU_DEP_4)
	v_lshrrev_b32_e32 v5, 16, v1
	v_sub_nc_u16 v0, v0, v7
	v_lshrrev_b16 v2, 8, v1
	v_sub_nc_u16 v132, v1, v3
	v_perm_b32 v166, v172, v171, 0x5000c0c
	v_sub_nc_u16 v130, v5, v93
	v_lshlrev_b16 v0, 8, v0
	s_delay_alu instid0(VALU_DEP_1) | instskip(SKIP_4) | instid1(VALU_DEP_1)
	v_bitop3_b16 v131, v130, v0, 0xff bitop3:0xec
	v_sub_nc_u16 v0, v2, v6
	ds_load_2addr_b32 v[2:3], v92 offset0:4 offset1:5
	v_perm_b32 v130, v131, v130, 0x5000c0c
	v_lshlrev_b16 v0, 8, v0
	v_bitop3_b16 v133, v132, v0, 0xff bitop3:0xec
	ds_load_2addr_b32 v[0:1], v4 offset0:4 offset1:5
	v_perm_b32 v132, v133, v132, 0xc0c0500
	s_wait_dscnt 0x1
	s_delay_alu instid0(VALU_DEP_1) | instskip(NEXT) | instid1(VALU_DEP_1)
	v_dual_ashrrev_i32 v2, s20, v2 :: v_dual_bitop2_b32 v130, v130, v132 bitop3:0x54
	v_dual_ashrrev_i32 v3, s20, v3 :: v_dual_lshlrev_b32 v2, 2, v2
	s_wait_dscnt 0x0
	s_delay_alu instid0(VALU_DEP_1) | instskip(NEXT) | instid1(VALU_DEP_2)
	v_dual_lshlrev_b32 v3, 2, v3 :: v_dual_ashrrev_i32 v0, s22, v0
	v_and_b32_e32 v2, 0x4040404, v2
	s_delay_alu instid0(VALU_DEP_2) | instskip(NEXT) | instid1(VALU_DEP_3)
	v_and_b32_e32 v3, 0x4040404, v3
	v_and_b32_e32 v5, 0x3030303, v0
	v_bfe_u32 v0, v0, 24, 2
	s_delay_alu instid0(VALU_DEP_4) | instskip(SKIP_1) | instid1(VALU_DEP_4)
	v_dual_lshrrev_b32 v94, 24, v2 :: v_dual_lshrrev_b32 v95, 16, v2
	v_lshrrev_b16 v93, 8, v2
	v_lshrrev_b32_e32 v7, 16, v5
	v_lshrrev_b16 v6, 8, v5
	s_delay_alu instid0(VALU_DEP_4) | instskip(NEXT) | instid1(VALU_DEP_3)
	v_sub_nc_u16 v0, v0, v94
	v_sub_nc_u16 v151, v7, v95
	v_lshrrev_b32_e32 v7, 24, v3
	s_delay_alu instid0(VALU_DEP_3) | instskip(NEXT) | instid1(VALU_DEP_1)
	v_lshlrev_b16 v0, 8, v0
	v_bitop3_b16 v152, v151, v0, 0xff bitop3:0xec
	v_sub_nc_u16 v0, v5, v2
	v_sub_nc_u16 v2, v6, v93
	v_lshrrev_b32_e32 v93, 16, v3
	v_lshrrev_b16 v6, 8, v3
	v_perm_b32 v151, v152, v151, 0xc0c0500
	s_delay_alu instid0(VALU_DEP_4) | instskip(NEXT) | instid1(VALU_DEP_1)
	v_lshlrev_b16 v2, 8, v2
	v_bitop3_b16 v0, v0, v2, 0xff bitop3:0xec
	s_delay_alu instid0(VALU_DEP_1) | instskip(SKIP_1) | instid1(VALU_DEP_1)
	v_and_b32_e32 v158, 0xffff, v0
	v_ashrrev_i32_e32 v0, s22, v1
	v_and_b32_e32 v1, 0x3030303, v0
	v_bfe_u32 v0, v0, 24, 2
	s_delay_alu instid0(VALU_DEP_2) | instskip(NEXT) | instid1(VALU_DEP_2)
	v_lshrrev_b32_e32 v5, 16, v1
	v_sub_nc_u16 v0, v0, v7
	v_lshrrev_b16 v2, 8, v1
	v_sub_nc_u16 v159, v1, v3
	s_delay_alu instid0(VALU_DEP_4) | instskip(NEXT) | instid1(VALU_DEP_4)
	v_sub_nc_u16 v153, v5, v93
	v_lshlrev_b16 v0, 8, v0
	s_delay_alu instid0(VALU_DEP_1) | instskip(SKIP_3) | instid1(VALU_DEP_1)
	v_bitop3_b16 v154, v153, v0, 0xff bitop3:0xec
	v_sub_nc_u16 v0, v2, v6
	ds_load_2addr_b32 v[2:3], v92 offset0:6 offset1:7
	v_lshlrev_b16 v0, 8, v0
	v_bitop3_b16 v160, v159, v0, 0xff bitop3:0xec
	ds_load_2addr_b32 v[0:1], v4 offset0:6 offset1:7
	v_perm_b32 v152, v160, v159, 0x5000c0c
	s_wait_dscnt 0x1
	v_dual_ashrrev_i32 v2, s20, v2 :: v_dual_ashrrev_i32 v3, s20, v3
	s_delay_alu instid0(VALU_DEP_1) | instskip(SKIP_2) | instid1(VALU_DEP_2)
	v_dual_lshlrev_b32 v2, 2, v2 :: v_dual_lshlrev_b32 v3, 2, v3
	s_wait_dscnt 0x0
	v_ashrrev_i32_e32 v0, s22, v0
	v_and_b32_e32 v2, 0x4040404, v2
	s_delay_alu instid0(VALU_DEP_3) | instskip(NEXT) | instid1(VALU_DEP_3)
	v_and_b32_e32 v3, 0x4040404, v3
	v_and_b32_e32 v5, 0x3030303, v0
	v_bfe_u32 v0, v0, 24, 2
	s_delay_alu instid0(VALU_DEP_4) | instskip(SKIP_1) | instid1(VALU_DEP_4)
	v_dual_lshrrev_b32 v92, 16, v2 :: v_dual_lshrrev_b32 v93, 24, v2
	v_lshrrev_b16 v94, 8, v2
	v_lshrrev_b16 v7, 8, v5
	v_lshrrev_b32_e32 v6, 16, v5
	v_sub_nc_u16 v161, v5, v2
	v_sub_nc_u16 v0, v0, v93
	v_add3_u32 v93, s23, v97, v98
	v_sub_nc_u16 v2, v7, v94
	v_lshrrev_b32_e32 v7, 24, v3
	v_sub_nc_u16 v170, v6, v92
	v_lshlrev_b16 v134, 8, v0
	v_ashrrev_i32_e32 v0, s22, v1
	v_lshlrev_b16 v2, 8, v2
	v_lshrrev_b32_e32 v92, 16, v3
	v_lshrrev_b16 v6, 8, v3
	v_bfe_i32 v170, v170, 0, 8
	v_and_b32_e32 v1, 0x3030303, v0
	v_bfe_u32 v0, v0, 24, 2
	v_bitop3_b16 v162, v161, v2, 0xff bitop3:0xec
	v_bfe_i32 v131, v134, 8, 8
	s_delay_alu instid0(VALU_DEP_4) | instskip(NEXT) | instid1(VALU_DEP_4)
	v_lshrrev_b32_e32 v5, 16, v1
	v_sub_nc_u16 v0, v0, v7
	v_lshrrev_b16 v2, 8, v1
	v_sub_nc_u16 v137, v1, v3
	s_delay_alu instid0(VALU_DEP_4) | instskip(NEXT) | instid1(VALU_DEP_4)
	v_sub_nc_u16 v135, v5, v92
	v_lshlrev_b16 v0, 8, v0
	s_delay_alu instid0(VALU_DEP_1) | instskip(SKIP_3) | instid1(VALU_DEP_1)
	v_bitop3_b16 v136, v135, v0, 0xff bitop3:0xec
	v_sub_nc_u16 v0, v2, v6
	ds_load_2addr_b32 v[2:3], v93 offset1:1
	v_lshlrev_b16 v0, 8, v0
	v_bitop3_b16 v138, v137, v0, 0xff bitop3:0xec
	v_add3_u32 v0, s25, v127, v96
	ds_load_b32 v92, v0
	v_add_nc_u32_e32 v0, 0x1080, v4
	s_wait_dscnt 0x1
	v_ashrrev_i32_e32 v2, s20, v2
	ds_load_2addr_b32 v[0:1], v0 offset1:1
	v_dual_ashrrev_i32 v3, s20, v3 :: v_dual_lshlrev_b32 v2, 2, v2
	s_delay_alu instid0(VALU_DEP_1) | instskip(NEXT) | instid1(VALU_DEP_2)
	v_lshlrev_b32_e32 v3, 2, v3
	v_and_b32_e32 v2, 0x4040404, v2
	s_delay_alu instid0(VALU_DEP_2) | instskip(NEXT) | instid1(VALU_DEP_2)
	v_and_b32_e32 v3, 0x4040404, v3
	v_dual_lshrrev_b32 v95, 24, v2 :: v_dual_lshrrev_b32 v128, 16, v2
	v_lshrrev_b16 v94, 8, v2
	s_wait_dscnt 0x0
	v_ashrrev_i32_e32 v0, s22, v0
	s_delay_alu instid0(VALU_DEP_1) | instskip(SKIP_1) | instid1(VALU_DEP_2)
	v_and_b32_e32 v5, 0x3030303, v0
	v_bfe_u32 v0, v0, 24, 2
	v_lshrrev_b32_e32 v7, 16, v5
	s_delay_alu instid0(VALU_DEP_2) | instskip(SKIP_2) | instid1(VALU_DEP_4)
	v_sub_nc_u16 v0, v0, v95
	v_lshrrev_b16 v6, 8, v5
	v_sub_nc_u16 v195, v5, v2
	v_sub_nc_u16 v187, v7, v128
	s_delay_alu instid0(VALU_DEP_4) | instskip(SKIP_1) | instid1(VALU_DEP_4)
	v_lshlrev_b16 v0, 8, v0
	v_lshrrev_b32_e32 v7, 24, v3
	v_bfe_i32 v195, v195, 0, 8
	s_delay_alu instid0(VALU_DEP_3) | instskip(SKIP_3) | instid1(VALU_DEP_4)
	v_bitop3_b16 v188, v187, v0, 0xff bitop3:0xec
	v_sub_nc_u16 v0, v6, v94
	v_lshrrev_b32_e32 v94, 16, v3
	v_lshrrev_b16 v6, 8, v3
	v_perm_b32 v187, v188, v187, 0xc0c0500
	s_delay_alu instid0(VALU_DEP_4) | instskip(SKIP_1) | instid1(VALU_DEP_2)
	v_lshlrev_b16 v192, 8, v0
	v_ashrrev_i32_e32 v0, s22, v1
	v_bfe_i32 v192, v192, 8, 8
	s_delay_alu instid0(VALU_DEP_2) | instskip(SKIP_1) | instid1(VALU_DEP_2)
	v_and_b32_e32 v1, 0x3030303, v0
	v_bfe_u32 v0, v0, 24, 2
	v_lshrrev_b32_e32 v5, 16, v1
	s_delay_alu instid0(VALU_DEP_2) | instskip(SKIP_2) | instid1(VALU_DEP_4)
	v_sub_nc_u16 v0, v0, v7
	v_lshrrev_b16 v2, 8, v1
	v_sub_nc_u16 v197, v1, v3
	v_sub_nc_u16 v191, v5, v94
	s_delay_alu instid0(VALU_DEP_4) | instskip(NEXT) | instid1(VALU_DEP_3)
	v_lshlrev_b16 v0, 8, v0
	v_bfe_i32 v197, v197, 0, 8
	s_delay_alu instid0(VALU_DEP_2) | instskip(SKIP_4) | instid1(VALU_DEP_2)
	v_bitop3_b16 v193, v191, v0, 0xff bitop3:0xec
	v_sub_nc_u16 v0, v2, v6
	ds_load_2addr_b32 v[2:3], v93 offset0:2 offset1:3
	v_lshlrev_b16 v194, 8, v0
	v_add_nc_u32_e32 v0, 0x1088, v4
	v_perm_b32 v164, v194, v194, 0xc0c0c01
	ds_load_2addr_b32 v[0:1], v0 offset1:1
	s_wait_dscnt 0x1
	v_dual_ashrrev_i32 v2, s20, v2 :: v_dual_ashrrev_i32 v3, s20, v3
	s_delay_alu instid0(VALU_DEP_1) | instskip(SKIP_2) | instid1(VALU_DEP_2)
	v_dual_lshlrev_b32 v2, 2, v2 :: v_dual_lshlrev_b32 v3, 2, v3
	s_wait_dscnt 0x0
	v_ashrrev_i32_e32 v0, s22, v0
	v_and_b32_e32 v2, 0x4040404, v2
	s_delay_alu instid0(VALU_DEP_3) | instskip(NEXT) | instid1(VALU_DEP_3)
	v_and_b32_e32 v3, 0x4040404, v3
	v_and_b32_e32 v5, 0x3030303, v0
	v_bfe_u32 v0, v0, 24, 2
	s_delay_alu instid0(VALU_DEP_4) | instskip(SKIP_1) | instid1(VALU_DEP_4)
	v_dual_lshrrev_b32 v94, 16, v2 :: v_dual_lshrrev_b32 v128, 24, v2
	v_lshrrev_b16 v95, 8, v2
	v_lshrrev_b32_e32 v6, 16, v5
	v_lshrrev_b16 v7, 8, v5
	v_sub_nc_u16 v199, v5, v2
	v_sub_nc_u16 v0, v0, v128
	s_delay_alu instid0(VALU_DEP_4) | instskip(SKIP_2) | instid1(VALU_DEP_4)
	v_sub_nc_u16 v200, v6, v94
	v_lshrrev_b32_e32 v94, 16, v3
	v_lshrrev_b16 v6, 8, v3
	v_lshlrev_b16 v140, 8, v0
	v_sub_nc_u16 v0, v7, v95
	v_lshrrev_b32_e32 v7, 24, v3
	v_bfe_i32 v200, v200, 0, 8
	v_bfe_i32 v199, v199, 0, 8
	;; [unrolled: 1-line block ×3, first 2 shown]
	v_lshlrev_b16 v198, 8, v0
	v_ashrrev_i32_e32 v0, s22, v1
	v_perm_b32 v174, v200, v174, 0x5040100
	s_delay_alu instid0(VALU_DEP_3) | instskip(NEXT) | instid1(VALU_DEP_3)
	v_bfe_i32 v198, v198, 8, 8
	v_and_b32_e32 v1, 0x3030303, v0
	v_bfe_u32 v0, v0, 24, 2
	s_delay_alu instid0(VALU_DEP_2) | instskip(NEXT) | instid1(VALU_DEP_2)
	v_lshrrev_b32_e32 v5, 16, v1
	v_sub_nc_u16 v0, v0, v7
	v_lshrrev_b16 v2, 8, v1
	v_sub_nc_u16 v144, v1, v3
	s_delay_alu instid0(VALU_DEP_4) | instskip(NEXT) | instid1(VALU_DEP_4)
	v_sub_nc_u16 v141, v5, v94
	v_lshlrev_b16 v0, 8, v0
	s_delay_alu instid0(VALU_DEP_3) | instskip(NEXT) | instid1(VALU_DEP_2)
	v_bfe_i32 v144, v144, 0, 8
	v_bitop3_b16 v142, v141, v0, 0xff bitop3:0xec
	v_sub_nc_u16 v0, v2, v6
	ds_load_2addr_b32 v[2:3], v93 offset0:4 offset1:5
	v_lshlrev_b16 v143, 8, v0
	v_add_nc_u32_e32 v0, 0x1090, v4
	ds_load_2addr_b32 v[0:1], v0 offset1:1
	s_wait_dscnt 0x1
	v_dual_ashrrev_i32 v2, s20, v2 :: v_dual_ashrrev_i32 v3, s20, v3
	s_delay_alu instid0(VALU_DEP_1) | instskip(SKIP_2) | instid1(VALU_DEP_2)
	v_dual_lshlrev_b32 v2, 2, v2 :: v_dual_lshlrev_b32 v3, 2, v3
	s_wait_dscnt 0x0
	v_ashrrev_i32_e32 v0, s22, v0
	v_and_b32_e32 v2, 0x4040404, v2
	s_delay_alu instid0(VALU_DEP_3) | instskip(NEXT) | instid1(VALU_DEP_3)
	v_and_b32_e32 v3, 0x4040404, v3
	v_and_b32_e32 v5, 0x3030303, v0
	v_bfe_u32 v0, v0, 24, 2
	s_delay_alu instid0(VALU_DEP_4) | instskip(SKIP_1) | instid1(VALU_DEP_4)
	v_dual_lshrrev_b32 v95, 24, v2 :: v_dual_lshrrev_b32 v128, 16, v2
	v_lshrrev_b16 v94, 8, v2
	v_lshrrev_b32_e32 v7, 16, v5
	v_lshrrev_b16 v6, 8, v5
	s_delay_alu instid0(VALU_DEP_4) | instskip(SKIP_1) | instid1(VALU_DEP_4)
	v_sub_nc_u16 v0, v0, v95
	v_sub_nc_u16 v185, v5, v2
	;; [unrolled: 1-line block ×3, first 2 shown]
	v_lshrrev_b32_e32 v7, 24, v3
	s_delay_alu instid0(VALU_DEP_4) | instskip(NEXT) | instid1(VALU_DEP_4)
	v_lshlrev_b16 v0, 8, v0
	v_bfe_i32 v185, v185, 0, 8
	s_delay_alu instid0(VALU_DEP_2) | instskip(SKIP_3) | instid1(VALU_DEP_4)
	v_bitop3_b16 v180, v179, v0, 0xff bitop3:0xec
	v_sub_nc_u16 v0, v6, v94
	v_lshrrev_b32_e32 v94, 16, v3
	v_lshrrev_b16 v6, 8, v3
	v_perm_b32 v179, v180, v179, 0xc0c0500
	s_delay_alu instid0(VALU_DEP_4) | instskip(SKIP_1) | instid1(VALU_DEP_2)
	v_lshlrev_b16 v182, 8, v0
	v_ashrrev_i32_e32 v0, s22, v1
	v_bfe_i32 v182, v182, 8, 8
	s_delay_alu instid0(VALU_DEP_2) | instskip(SKIP_1) | instid1(VALU_DEP_2)
	v_and_b32_e32 v1, 0x3030303, v0
	v_bfe_u32 v0, v0, 24, 2
	v_lshrrev_b32_e32 v5, 16, v1
	s_delay_alu instid0(VALU_DEP_2) | instskip(SKIP_2) | instid1(VALU_DEP_4)
	v_sub_nc_u16 v0, v0, v7
	v_lshrrev_b16 v2, 8, v1
	v_sub_nc_u16 v186, v1, v3
	v_sub_nc_u16 v181, v5, v94
	s_delay_alu instid0(VALU_DEP_4) | instskip(NEXT) | instid1(VALU_DEP_3)
	v_lshlrev_b16 v0, 8, v0
	v_bfe_i32 v186, v186, 0, 8
	s_delay_alu instid0(VALU_DEP_2)
	v_bitop3_b16 v183, v181, v0, 0xff bitop3:0xec
	v_sub_nc_u16 v0, v2, v6
	ds_load_2addr_b32 v[2:3], v93 offset0:6 offset1:7
	v_lshlrev_b16 v184, 8, v0
	v_add_nc_u32_e32 v0, 0x1098, v4
	ds_load_2addr_b32 v[0:1], v0 offset1:1
	s_wait_dscnt 0x1
	v_dual_ashrrev_i32 v2, s20, v2 :: v_dual_ashrrev_i32 v3, s20, v3
	s_delay_alu instid0(VALU_DEP_1) | instskip(SKIP_2) | instid1(VALU_DEP_2)
	v_dual_lshlrev_b32 v2, 2, v2 :: v_dual_lshlrev_b32 v3, 2, v3
	s_wait_dscnt 0x0
	v_ashrrev_i32_e32 v0, s22, v0
	v_and_b32_e32 v2, 0x4040404, v2
	s_delay_alu instid0(VALU_DEP_3) | instskip(NEXT) | instid1(VALU_DEP_3)
	v_and_b32_e32 v3, 0x4040404, v3
	v_and_b32_e32 v5, 0x3030303, v0
	v_bfe_u32 v0, v0, 24, 2
	s_delay_alu instid0(VALU_DEP_4) | instskip(SKIP_1) | instid1(VALU_DEP_4)
	v_dual_lshrrev_b32 v93, 16, v2 :: v_dual_lshrrev_b32 v95, 24, v2
	v_lshrrev_b16 v94, 8, v2
	v_lshrrev_b32_e32 v6, 16, v5
	v_lshrrev_b16 v7, 8, v5
	v_sub_nc_u16 v190, v5, v2
	v_sub_nc_u16 v0, v0, v95
	s_delay_alu instid0(VALU_DEP_4) | instskip(SKIP_2) | instid1(VALU_DEP_4)
	v_sub_nc_u16 v196, v6, v93
	v_lshrrev_b32_e32 v93, 16, v3
	v_lshrrev_b16 v6, 8, v3
	v_lshlrev_b16 v145, 8, v0
	v_sub_nc_u16 v0, v7, v94
	v_lshrrev_b32_e32 v7, 24, v3
	v_add3_u32 v94, s23, v101, v102
	v_bfe_i32 v196, v196, 0, 8
	v_bfe_i32 v190, v190, 0, 8
	v_lshlrev_b16 v189, 8, v0
	v_ashrrev_i32_e32 v0, s22, v1
	s_delay_alu instid0(VALU_DEP_4) | instskip(NEXT) | instid1(VALU_DEP_3)
	v_perm_b32 v170, v196, v170, 0x5040100
	v_bfe_i32 v189, v189, 8, 8
	s_delay_alu instid0(VALU_DEP_3) | instskip(SKIP_1) | instid1(VALU_DEP_2)
	v_and_b32_e32 v1, 0x3030303, v0
	v_bfe_u32 v0, v0, 24, 2
	v_lshrrev_b32_e32 v5, 16, v1
	s_delay_alu instid0(VALU_DEP_2) | instskip(SKIP_2) | instid1(VALU_DEP_4)
	v_sub_nc_u16 v0, v0, v7
	v_lshrrev_b16 v2, 8, v1
	v_sub_nc_u16 v149, v1, v3
	v_sub_nc_u16 v146, v5, v93
	s_delay_alu instid0(VALU_DEP_4) | instskip(NEXT) | instid1(VALU_DEP_3)
	v_lshlrev_b16 v0, 8, v0
	v_bfe_i32 v149, v149, 0, 8
	s_delay_alu instid0(VALU_DEP_2)
	v_bitop3_b16 v147, v146, v0, 0xff bitop3:0xec
	v_sub_nc_u16 v0, v2, v6
	ds_load_2addr_b32 v[2:3], v94 offset1:1
	v_lshlrev_b16 v148, 8, v0
	v_add3_u32 v0, s25, v99, v100
	ds_load_b32 v93, v0
	v_add_nc_u32_e32 v0, 0x2100, v4
	ds_load_2addr_b32 v[0:1], v0 offset1:1
	s_wait_dscnt 0x2
	v_dual_ashrrev_i32 v2, s20, v2 :: v_dual_ashrrev_i32 v3, s20, v3
	s_delay_alu instid0(VALU_DEP_1) | instskip(NEXT) | instid1(VALU_DEP_1)
	v_dual_lshlrev_b32 v2, 2, v2 :: v_dual_lshlrev_b32 v3, 2, v3
	v_and_b32_e32 v2, 0x4040404, v2
	s_delay_alu instid0(VALU_DEP_2) | instskip(NEXT) | instid1(VALU_DEP_2)
	v_and_b32_e32 v3, 0x4040404, v3
	v_dual_lshrrev_b32 v128, 24, v2 :: v_dual_lshrrev_b32 v155, 16, v2
	s_wait_dscnt 0x0
	v_ashrrev_i32_e32 v0, s22, v0
	v_lshrrev_b16 v95, 8, v2
	s_delay_alu instid0(VALU_DEP_2) | instskip(SKIP_1) | instid1(VALU_DEP_2)
	v_and_b32_e32 v5, 0x3030303, v0
	v_bfe_u32 v0, v0, 24, 2
	v_dual_add_nc_u32 v150, s24, v47 :: v_dual_lshrrev_b32 v7, 16, v5
	s_delay_alu instid0(VALU_DEP_2)
	v_sub_nc_u16 v0, v0, v128
	v_lshrrev_b16 v6, 8, v5
	v_lshrrev_b32_e32 v128, 24, v3
	v_sub_nc_u16 v5, v5, v2
	v_sub_nc_u16 v201, v7, v155
	v_lshlrev_b16 v0, 8, v0
	v_lshrrev_b32_e32 v155, 16, v3
	s_delay_alu instid0(VALU_DEP_4) | instskip(NEXT) | instid1(VALU_DEP_3)
	v_bfe_i32 v224, v5, 0, 8
	v_bitop3_b16 v202, v201, v0, 0xff bitop3:0xec
	v_sub_nc_u16 v0, v6, v95
	v_lshrrev_b16 v95, 8, v3
	s_delay_alu instid0(VALU_DEP_3) | instskip(NEXT) | instid1(VALU_DEP_3)
	v_perm_b32 v201, v202, v201, 0xc0c0500
	v_lshlrev_b16 v6, 8, v0
	v_ashrrev_i32_e32 v0, s22, v1
	s_delay_alu instid0(VALU_DEP_2) | instskip(NEXT) | instid1(VALU_DEP_2)
	v_bfe_i32 v225, v6, 8, 8
	v_and_b32_e32 v1, 0x3030303, v0
	v_bfe_u32 v0, v0, 24, 2
	s_delay_alu instid0(VALU_DEP_2) | instskip(NEXT) | instid1(VALU_DEP_2)
	v_lshrrev_b32_e32 v7, 16, v1
	v_sub_nc_u16 v0, v0, v128
	v_lshrrev_b16 v2, 8, v1
	s_delay_alu instid0(VALU_DEP_3) | instskip(NEXT) | instid1(VALU_DEP_3)
	v_sub_nc_u16 v203, v7, v155
	v_lshlrev_b16 v0, 8, v0
	v_sub_nc_u16 v7, v1, v3
	s_delay_alu instid0(VALU_DEP_2)
	v_bitop3_b16 v204, v203, v0, 0xff bitop3:0xec
	v_sub_nc_u16 v0, v2, v95
	ds_load_2addr_b32 v[2:3], v94 offset0:2 offset1:3
	v_bfe_i32 v226, v7, 0, 8
	v_perm_b32 v203, v204, v203, 0xc05000c
	v_lshlrev_b16 v205, 8, v0
	v_add_nc_u32_e32 v0, 0x2108, v4
	s_delay_alu instid0(VALU_DEP_2) | instskip(SKIP_3) | instid1(VALU_DEP_1)
	v_perm_b32 v204, v205, v205, 0xc0c0c01
	ds_load_2addr_b32 v[0:1], v0 offset1:1
	s_wait_dscnt 0x1
	v_dual_ashrrev_i32 v2, s20, v2 :: v_dual_bitop2_b32 v203, v203, v204 bitop3:0x54
	v_dual_ashrrev_i32 v3, s20, v3 :: v_dual_lshlrev_b32 v2, 2, v2
	s_wait_dscnt 0x0
	s_delay_alu instid0(VALU_DEP_1) | instskip(NEXT) | instid1(VALU_DEP_2)
	v_dual_lshlrev_b32 v3, 2, v3 :: v_dual_ashrrev_i32 v0, s22, v0
	v_and_b32_e32 v2, 0x4040404, v2
	s_delay_alu instid0(VALU_DEP_2) | instskip(NEXT) | instid1(VALU_DEP_3)
	v_and_b32_e32 v3, 0x4040404, v3
	v_and_b32_e32 v95, 0x3030303, v0
	v_bfe_u32 v0, v0, 24, 2
	s_delay_alu instid0(VALU_DEP_4) | instskip(SKIP_1) | instid1(VALU_DEP_4)
	v_dual_lshrrev_b32 v157, 24, v2 :: v_dual_lshrrev_b32 v173, 16, v2
	v_lshrrev_b16 v156, 8, v2
	v_lshrrev_b32_e32 v155, 16, v95
	v_lshrrev_b16 v128, 8, v95
	s_delay_alu instid0(VALU_DEP_4) | instskip(SKIP_1) | instid1(VALU_DEP_4)
	v_sub_nc_u16 v0, v0, v157
	v_sub_nc_u16 v209, v95, v2
	;; [unrolled: 1-line block ×3, first 2 shown]
	v_lshrrev_b32_e32 v155, 24, v3
	s_delay_alu instid0(VALU_DEP_4) | instskip(NEXT) | instid1(VALU_DEP_4)
	v_lshlrev_b16 v0, 8, v0
	v_bfe_i32 v200, v209, 0, 8
	v_bfe_i32 v209, v167, 8, 8
	v_bfe_i32 v167, v167, 0, 8
	s_delay_alu instid0(VALU_DEP_4) | instskip(SKIP_3) | instid1(VALU_DEP_3)
	v_bitop3_b16 v207, v206, v0, 0xff bitop3:0xec
	v_sub_nc_u16 v0, v128, v156
	v_lshrrev_b32_e32 v156, 16, v3
	v_lshrrev_b16 v128, 8, v3
	v_lshlrev_b16 v208, 8, v0
	v_ashrrev_i32_e32 v0, s22, v1
	s_delay_alu instid0(VALU_DEP_1) | instskip(NEXT) | instid1(VALU_DEP_1)
	v_and_b32_e32 v1, 0x3030303, v0
	v_lshrrev_b32_e32 v95, 16, v1
	v_bfe_u32 v0, v0, 24, 2
	v_lshrrev_b16 v2, 8, v1
	v_sub_nc_u16 v213, v1, v3
	s_delay_alu instid0(VALU_DEP_4) | instskip(NEXT) | instid1(VALU_DEP_4)
	v_sub_nc_u16 v210, v95, v156
	v_sub_nc_u16 v0, v0, v155
	s_delay_alu instid0(VALU_DEP_1) | instskip(NEXT) | instid1(VALU_DEP_1)
	v_lshlrev_b16 v0, 8, v0
	v_bitop3_b16 v211, v210, v0, 0xff bitop3:0xec
	v_sub_nc_u16 v0, v2, v128
	ds_load_2addr_b32 v[2:3], v94 offset0:4 offset1:5
	v_lshlrev_b16 v212, 8, v0
	v_add_nc_u32_e32 v0, 0x2110, v4
	s_delay_alu instid0(VALU_DEP_2) | instskip(SKIP_3) | instid1(VALU_DEP_1)
	v_perm_b32 v188, v212, v212, 0xc0c0c01
	ds_load_2addr_b32 v[0:1], v0 offset1:1
	s_wait_dscnt 0x1
	v_dual_ashrrev_i32 v2, s20, v2 :: v_dual_ashrrev_i32 v3, s20, v3
	v_dual_lshlrev_b32 v2, 2, v2 :: v_dual_lshlrev_b32 v3, 2, v3
	s_wait_dscnt 0x0
	v_ashrrev_i32_e32 v0, s22, v0
	s_delay_alu instid0(VALU_DEP_2) | instskip(NEXT) | instid1(VALU_DEP_3)
	v_and_b32_e32 v2, 0x4040404, v2
	v_and_b32_e32 v3, 0x4040404, v3
	s_delay_alu instid0(VALU_DEP_3) | instskip(SKIP_1) | instid1(VALU_DEP_4)
	v_and_b32_e32 v95, 0x3030303, v0
	v_bfe_u32 v0, v0, 24, 2
	v_dual_lshrrev_b32 v157, 24, v2 :: v_dual_lshrrev_b32 v173, 16, v2
	v_lshrrev_b16 v156, 8, v2
	s_delay_alu instid0(VALU_DEP_4) | instskip(SKIP_1) | instid1(VALU_DEP_4)
	v_lshrrev_b32_e32 v155, 16, v95
	v_lshrrev_b16 v128, 8, v95
	v_sub_nc_u16 v0, v0, v157
	v_lshrrev_b32_e32 v157, 24, v3
	v_sub_nc_u16 v95, v95, v2
	v_sub_nc_u16 v214, v155, v173
	v_lshrrev_b32_e32 v173, 16, v3
	v_lshlrev_b16 v0, 8, v0
	s_delay_alu instid0(VALU_DEP_4) | instskip(SKIP_1) | instid1(VALU_DEP_3)
	v_bfe_i32 v228, v95, 0, 8
	v_add3_u32 v95, s23, v105, v106
	v_bitop3_b16 v215, v214, v0, 0xff bitop3:0xec
	v_sub_nc_u16 v0, v128, v156
	v_lshrrev_b16 v156, 8, v3
	s_delay_alu instid0(VALU_DEP_2) | instskip(SKIP_1) | instid1(VALU_DEP_2)
	v_lshlrev_b16 v128, 8, v0
	v_ashrrev_i32_e32 v0, s22, v1
	v_bfe_i32 v229, v128, 8, 8
	s_delay_alu instid0(VALU_DEP_2) | instskip(NEXT) | instid1(VALU_DEP_1)
	v_and_b32_e32 v1, 0x3030303, v0
	v_lshrrev_b32_e32 v155, 16, v1
	v_bfe_u32 v0, v0, 24, 2
	v_lshrrev_b16 v2, 8, v1
	s_delay_alu instid0(VALU_DEP_3) | instskip(NEXT) | instid1(VALU_DEP_3)
	v_sub_nc_u16 v216, v155, v173
	v_sub_nc_u16 v0, v0, v157
	;; [unrolled: 1-line block ×3, first 2 shown]
	s_delay_alu instid0(VALU_DEP_2) | instskip(NEXT) | instid1(VALU_DEP_2)
	v_lshlrev_b16 v0, 8, v0
	v_bfe_i32 v230, v173, 0, 8
	s_delay_alu instid0(VALU_DEP_2)
	v_bitop3_b16 v217, v216, v0, 0xff bitop3:0xec
	v_sub_nc_u16 v0, v2, v156
	ds_load_2addr_b32 v[2:3], v94 offset0:6 offset1:7
	v_lshlrev_b16 v218, 8, v0
	v_add_nc_u32_e32 v0, 0x2118, v4
	ds_load_2addr_b32 v[0:1], v0 offset1:1
	s_wait_dscnt 0x1
	v_dual_ashrrev_i32 v2, s20, v2 :: v_dual_ashrrev_i32 v3, s20, v3
	s_delay_alu instid0(VALU_DEP_1) | instskip(SKIP_2) | instid1(VALU_DEP_2)
	v_dual_lshlrev_b32 v2, 2, v2 :: v_dual_lshlrev_b32 v3, 2, v3
	s_wait_dscnt 0x0
	v_ashrrev_i32_e32 v0, s22, v0
	v_and_b32_e32 v2, 0x4040404, v2
	s_delay_alu instid0(VALU_DEP_3) | instskip(NEXT) | instid1(VALU_DEP_3)
	v_and_b32_e32 v3, 0x4040404, v3
	v_and_b32_e32 v155, 0x3030303, v0
	v_bfe_u32 v0, v0, 24, 2
	s_delay_alu instid0(VALU_DEP_4) | instskip(SKIP_1) | instid1(VALU_DEP_4)
	v_dual_lshrrev_b32 v175, 24, v2 :: v_dual_lshrrev_b32 v176, 16, v2
	v_lshrrev_b16 v94, 8, v2
	v_lshrrev_b32_e32 v157, 16, v155
	v_lshrrev_b16 v156, 8, v155
	s_delay_alu instid0(VALU_DEP_4)
	v_sub_nc_u16 v0, v0, v175
	v_sub_nc_u16 v222, v155, v2
	v_lshrrev_b32_e32 v155, 16, v3
	v_sub_nc_u16 v219, v157, v176
	v_lshrrev_b16 v157, 8, v3
	v_lshlrev_b16 v0, 8, v0
	v_bfe_i32 v196, v222, 0, 8
	s_delay_alu instid0(VALU_DEP_2) | instskip(SKIP_2) | instid1(VALU_DEP_2)
	v_bitop3_b16 v220, v219, v0, 0xff bitop3:0xec
	v_sub_nc_u16 v0, v156, v94
	v_lshrrev_b32_e32 v156, 24, v3
	v_lshlrev_b16 v221, 8, v0
	v_ashrrev_i32_e32 v0, s22, v1
	s_delay_alu instid0(VALU_DEP_1) | instskip(NEXT) | instid1(VALU_DEP_1)
	v_and_b32_e32 v1, 0x3030303, v0
	v_lshrrev_b32_e32 v94, 16, v1
	v_bfe_u32 v0, v0, 24, 2
	v_lshrrev_b16 v2, 8, v1
	v_sub_nc_u16 v223, v1, v3
	v_add3_u32 v1, s25, v103, v104
	v_sub_nc_u16 v155, v94, v155
	v_sub_nc_u16 v0, v0, v156
	ds_load_b32 v94, v1
	v_lshlrev_b16 v0, 8, v0
	s_delay_alu instid0(VALU_DEP_1)
	v_bitop3_b16 v156, v155, v0, 0xff bitop3:0xec
	v_sub_nc_u16 v0, v2, v157
	ds_load_2addr_b32 v[2:3], v95 offset1:1
	v_lshlrev_b16 v157, 8, v0
	v_add_nc_u32_e32 v0, s24, v45
	ds_load_u16 v0, v0 offset:27394
	s_wait_dscnt 0x1
	v_dual_ashrrev_i32 v2, s20, v2 :: v_dual_ashrrev_i32 v3, s20, v3
	s_delay_alu instid0(VALU_DEP_1)
	v_lshlrev_b32_e32 v3, 2, v3
	s_wait_dscnt 0x0
	v_lshrrev_b16 v1, 8, v0
	v_bfe_i32 v227, v0, 0, 8
	v_add_nc_u32_e32 v0, 0x3180, v4
	v_and_b32_e32 v3, 0x4040404, v3
	s_delay_alu instid0(VALU_DEP_4) | instskip(SKIP_2) | instid1(VALU_DEP_1)
	v_bfe_i32 v128, v1, 0, 8
	ds_load_2addr_b32 v[0:1], v0 offset1:1
	v_lshlrev_b32_e32 v2, 2, v2
	v_and_b32_e32 v2, 0x4040404, v2
	s_delay_alu instid0(VALU_DEP_1) | instskip(SKIP_3) | instid1(VALU_DEP_1)
	v_dual_lshrrev_b32 v173, 16, v2 :: v_dual_lshrrev_b32 v175, 24, v2
	v_lshrrev_b16 v176, 8, v2
	s_wait_dscnt 0x0
	v_ashrrev_i32_e32 v0, s22, v0
	v_and_b32_e32 v5, 0x3030303, v0
	v_bfe_u32 v0, v0, 24, 2
	s_delay_alu instid0(VALU_DEP_2) | instskip(NEXT) | instid1(VALU_DEP_2)
	v_lshrrev_b32_e32 v6, 16, v5
	v_sub_nc_u16 v232, v0, v175
	v_ashrrev_i32_e32 v0, s22, v1
	v_sub_nc_u16 v234, v5, v2
	v_lshrrev_b16 v7, 8, v5
	v_sub_nc_u16 v233, v6, v173
	v_lshrrev_b32_e32 v6, 24, v3
	v_bfe_u32 v1, v0, 24, 2
	v_and_b32_e32 v0, 0x3030303, v0
	v_sub_nc_u16 v231, v7, v176
	v_lshrrev_b32_e32 v7, 16, v3
	v_lshrrev_b16 v173, 8, v3
	v_sub_nc_u16 v238, v1, v6
	v_lshrrev_b32_e32 v2, 16, v0
	v_lshrrev_b16 v5, 8, v0
	v_sub_nc_u16 v235, v0, v3
	v_add_nc_u32_e32 v0, 0x3188, v4
	v_bfe_i32 v232, v232, 0, 16
	v_sub_nc_u16 v237, v2, v7
	ds_load_2addr_b32 v[2:3], v95 offset0:2 offset1:3
	v_sub_nc_u16 v236, v5, v173
	ds_load_2addr_b32 v[0:1], v0 offset1:1
	v_bfe_i32 v231, v231, 0, 16
	v_bfe_i32 v205, v237, 0, 8
	;; [unrolled: 1-line block ×3, first 2 shown]
	s_wait_dscnt 0x1
	v_dual_ashrrev_i32 v2, s20, v2 :: v_dual_ashrrev_i32 v3, s20, v3
	s_wait_dscnt 0x0
	s_delay_alu instid0(VALU_DEP_1) | instskip(NEXT) | instid1(VALU_DEP_2)
	v_dual_ashrrev_i32 v0, s22, v0 :: v_dual_lshlrev_b32 v2, 2, v2
	v_lshlrev_b32_e32 v3, 2, v3
	s_delay_alu instid0(VALU_DEP_2) | instskip(SKIP_1) | instid1(VALU_DEP_4)
	v_bfe_u32 v5, v0, 24, 2
	v_and_b32_e32 v0, 0x3030303, v0
	v_and_b32_e32 v2, 0x4040404, v2
	s_delay_alu instid0(VALU_DEP_4) | instskip(NEXT) | instid1(VALU_DEP_3)
	v_and_b32_e32 v3, 0x4040404, v3
	v_lshrrev_b32_e32 v6, 16, v0
	v_lshrrev_b16 v7, 8, v0
	s_delay_alu instid0(VALU_DEP_4) | instskip(SKIP_3) | instid1(VALU_DEP_3)
	v_sub_nc_u16 v239, v0, v2
	v_dual_ashrrev_i32 v0, s22, v1 :: v_dual_lshrrev_b32 v173, 24, v2
	v_lshrrev_b32_e32 v175, 16, v2
	v_lshrrev_b16 v176, 8, v2
	v_bfe_u32 v1, v0, 24, 2
	v_and_b32_e32 v0, 0x3030303, v0
	s_delay_alu instid0(VALU_DEP_4)
	v_sub_nc_u16 v241, v6, v175
	v_sub_nc_u16 v242, v5, v173
	v_lshrrev_b32_e32 v6, 24, v3
	v_sub_nc_u16 v240, v7, v176
	v_lshrrev_b32_e32 v2, 16, v0
	v_lshrrev_b16 v5, 8, v0
	v_sub_nc_u16 v243, v0, v3
	v_add_nc_u32_e32 v0, 0x3190, v4
	v_lshrrev_b32_e32 v7, 16, v3
	v_sub_nc_u16 v246, v1, v6
	v_lshrrev_b16 v173, 8, v3
	ds_load_2addr_b32 v[0:1], v0 offset1:1
	v_sub_nc_u16 v245, v2, v7
	ds_load_2addr_b32 v[2:3], v95 offset0:4 offset1:5
	v_sub_nc_u16 v244, v5, v173
	s_wait_dscnt 0x0
	v_dual_ashrrev_i32 v0, s22, v0 :: v_dual_ashrrev_i32 v2, s20, v2
	v_ashrrev_i32_e32 v3, s20, v3
	s_delay_alu instid0(VALU_DEP_2) | instskip(SKIP_1) | instid1(VALU_DEP_3)
	v_and_b32_e32 v5, 0x3030303, v0
	v_bfe_u32 v0, v0, 24, 2
	v_dual_lshlrev_b32 v2, 2, v2 :: v_dual_lshlrev_b32 v3, 2, v3
	s_delay_alu instid0(VALU_DEP_3) | instskip(SKIP_1) | instid1(VALU_DEP_3)
	v_lshrrev_b32_e32 v6, 16, v5
	v_lshrrev_b16 v7, 8, v5
	v_and_b32_e32 v2, 0x4040404, v2
	s_delay_alu instid0(VALU_DEP_4) | instskip(NEXT) | instid1(VALU_DEP_2)
	v_and_b32_e32 v3, 0x4040404, v3
	v_dual_lshrrev_b32 v173, 16, v2 :: v_dual_lshrrev_b32 v175, 24, v2
	v_lshrrev_b16 v176, 8, v2
	v_sub_nc_u16 v250, v5, v2
	s_delay_alu instid0(VALU_DEP_3) | instskip(NEXT) | instid1(VALU_DEP_4)
	v_sub_nc_u16 v249, v6, v173
	v_sub_nc_u16 v248, v0, v175
	v_dual_ashrrev_i32 v0, s22, v1 :: v_dual_lshrrev_b32 v6, 24, v3
	v_sub_nc_u16 v247, v7, v176
	v_lshrrev_b32_e32 v7, 16, v3
	v_lshrrev_b16 v173, 8, v3
	s_delay_alu instid0(VALU_DEP_4) | instskip(SKIP_2) | instid1(VALU_DEP_3)
	v_bfe_u32 v1, v0, 24, 2
	v_and_b32_e32 v0, 0x3030303, v0
	v_bfe_i32 v194, v249, 0, 8
	v_sub_nc_u16 v254, v1, v6
	s_delay_alu instid0(VALU_DEP_3) | instskip(SKIP_3) | instid1(VALU_DEP_4)
	v_lshrrev_b32_e32 v2, 16, v0
	v_lshrrev_b16 v5, 8, v0
	v_sub_nc_u16 v251, v0, v3
	v_add_nc_u32_e32 v0, 0x3198, v4
	v_sub_nc_u16 v253, v2, v7
	ds_load_2addr_b32 v[2:3], v95 offset0:6 offset1:7
	v_sub_nc_u16 v252, v5, v173
	ds_load_2addr_b32 v[0:1], v0 offset1:1
	s_wait_dscnt 0x1
	v_dual_ashrrev_i32 v2, s20, v2 :: v_dual_ashrrev_i32 v3, s20, v3
	s_wait_dscnt 0x0
	v_ashrrev_i32_e32 v0, s22, v0
	s_add_co_i32 s20, s20, 1
	s_cmp_lt_u32 s21, 14
	v_dual_lshlrev_b32 v2, 2, v2 :: v_dual_lshlrev_b32 v3, 2, v3
	s_delay_alu instid0(VALU_DEP_2) | instskip(SKIP_1) | instid1(VALU_DEP_3)
	v_bfe_u32 v4, v0, 24, 2
	v_and_b32_e32 v0, 0x3030303, v0
	v_and_b32_e32 v2, 0x4040404, v2
	s_delay_alu instid0(VALU_DEP_4) | instskip(NEXT) | instid1(VALU_DEP_3)
	v_and_b32_e32 v3, 0x4040404, v3
	v_lshrrev_b32_e32 v5, 16, v0
	v_lshrrev_b16 v6, 8, v0
	s_delay_alu instid0(VALU_DEP_4) | instskip(SKIP_3) | instid1(VALU_DEP_3)
	v_sub_nc_u16 v255, v0, v2
	v_dual_ashrrev_i32 v0, s22, v1 :: v_dual_lshrrev_b32 v7, 24, v2
	v_lshrrev_b32_e32 v95, 16, v2
	v_lshrrev_b16 v173, 8, v2
	v_bfe_u32 v1, v0, 24, 2
	v_and_b32_e32 v0, 0x3030303, v0
	s_set_vgpr_msb 64                       ;  msbs: dst=1 src0=0 src1=0 src2=0
	v_sub_nc_u16 v1 /*v257*/, v5, v95
	v_sub_nc_u16 v0 /*v256*/, v6, v173
	;; [unrolled: 1-line block ×3, first 2 shown]
	s_set_vgpr_msb 0                        ;  msbs: dst=0 src0=0 src1=0 src2=0
	v_dual_lshrrev_b32 v5, 24, v3 :: v_dual_lshrrev_b32 v6, 16, v3
	v_lshrrev_b32_e32 v2, 16, v0
	v_lshrrev_b16 v4, 8, v0
	v_lshrrev_b16 v7, 8, v3
	v_sub_nc_u16 v175, v0, v3
	v_add3_u32 v0, s25, v107, v108
	v_sub_nc_u16 v177, v2, v6
	v_sub_nc_u16 v178, v1, v5
	;; [unrolled: 1-line block ×3, first 2 shown]
	ds_load_b32 v95, v0
	ds_load_b128 v[4:7], v89
	ds_load_b128 v[0:3], v89 offset:16
	v_dual_add_nc_u32 v173, s24, v43 :: v_dual_bitop2_b32 v165, v166, v165 bitop3:0x54
	v_perm_b32 v166, v208, v208, 0xc0c0c01
	v_add_nc_u32_e32 v89, 32, v89
	ds_load_u16 v139, v139 offset:25346
	ds_load_u16 v150, v150 offset:26370
	s_mov_b32 s24, s21
	s_wait_dscnt 0x3
	s_set_vgpr_msb 64                       ;  msbs: dst=1 src0=0 src1=0 src2=0
	v_lshrrev_b16 v3 /*v259*/, 8, v4
	v_bfe_i32 v9 /*v265*/, v4, 0, 8
	s_set_vgpr_msb 0                        ;  msbs: dst=0 src0=0 src1=0 src2=0
	v_perm_b32 v202, v4, v4, 0xc0c0302
	s_set_vgpr_msb 64                       ;  msbs: dst=1 src0=0 src1=0 src2=0
	v_bfe_i32 v10 /*v266*/, v5, 0, 8
	s_set_vgpr_msb 0                        ;  msbs: dst=0 src0=0 src1=0 src2=0
	v_perm_b32 v204, v5, v5, 0xc030201
	s_set_vgpr_msb 0x41                     ;  msbs: dst=1 src0=1 src1=0 src2=0
	v_bfe_i32 v3 /*v259*/, v3 /*v259*/, 0, 8
	s_set_vgpr_msb 1                        ;  msbs: dst=0 src0=1 src1=0 src2=0
	v_mul_i32_i24_e32 v224, v9 /*v265*/, v224
	s_set_vgpr_msb 64                       ;  msbs: dst=1 src0=0 src1=0 src2=0
	v_lshrrev_b16 v4 /*v260*/, 8, v5
	v_ashrrev_i32_e32 v7 /*v263*/, 24, v4
	v_bfe_i32 v8 /*v264*/, v4, 16, 8
	s_set_vgpr_msb 1                        ;  msbs: dst=0 src0=1 src1=0 src2=0
	v_mul_i32_i24_e32 v209, v3 /*v259*/, v209
	v_mad_i32_i24 v224, v3 /*v259*/, v225, v224
	s_set_vgpr_msb 0                        ;  msbs: dst=0 src0=0 src1=0 src2=0
	v_bfe_i32 v225, v233, 0, 8
	v_ashrrev_i32_e32 v233, 24, v5
	s_set_vgpr_msb 1                        ;  msbs: dst=0 src0=1 src1=0 src2=0
	v_mul_i32_i24_e32 v195, v9 /*v265*/, v195
	v_mad_i32_i24 v167, v9 /*v265*/, v167, v209
	s_set_vgpr_msb 0                        ;  msbs: dst=0 src0=0 src1=0 src2=0
	v_dot4_i32_iu8 v201, v202, v201, v224 neg_lo:[1,1,0]
	v_perm_b32 v4, v5, v4, 0x5040302
	v_bfe_i32 v224, v234, 0, 8
	s_set_vgpr_msb 1                        ;  msbs: dst=0 src0=1 src1=0 src2=0
	v_bfe_i32 v234, v4 /*v260*/, 0, 8
	s_set_vgpr_msb 64                       ;  msbs: dst=1 src0=0 src1=0 src2=0
	v_bfe_i32 v4 /*v260*/, v5, 16, 8
	s_set_vgpr_msb 1                        ;  msbs: dst=0 src0=1 src1=0 src2=0
	v_mad_i32_i24 v201, v10 /*v266*/, v226, v201
	v_mad_i32_i24 v192, v3 /*v259*/, v192, v195
	s_set_vgpr_msb 0                        ;  msbs: dst=0 src0=0 src1=0 src2=0
	v_perm_b32 v5, v6, v5, 0x5040302
	s_set_vgpr_msb 64                       ;  msbs: dst=1 src0=0 src1=0 src2=0
	v_lshrrev_b16 v5 /*v261*/, 8, v6
	s_set_vgpr_msb 0                        ;  msbs: dst=0 src0=0 src1=0 src2=0
	v_bfe_i32 v226, v236, 0, 16
	v_dot4_i32_iu8 v201, v204, v203, v201 neg_lo:[1,1,0]
	v_bfe_i32 v203, v238, 0, 16
	v_bfe_i32 v236, v6, 0, 8
	v_dot4_i32_iu8 v187, v202, v187, v192 neg_lo:[1,1,0]
	v_mul_i32_i24_e32 v226, v226, v234
	s_set_vgpr_msb 1                        ;  msbs: dst=0 src0=1 src1=0 src2=0
	v_bfe_i32 v234, v5 /*v261*/, 0, 8
	s_set_vgpr_msb 0                        ;  msbs: dst=0 src0=0 src1=0 src2=0
	v_mul_i32_i24_e32 v203, v203, v233
	v_ashrrev_i32_e32 v233, 24, v6
	v_bfe_i32 v237, v6, 16, 8
	s_set_vgpr_msb 1                        ;  msbs: dst=0 src0=1 src1=0 src2=0
	v_mad_i32_i24 v187, v10 /*v266*/, v197, v187
	s_set_vgpr_msb 0                        ;  msbs: dst=0 src0=0 src1=0 src2=0
	v_perm_b32 v6, v6, v6, 0xc030201
	v_bfe_i32 v172, v7, 0, 8
	s_set_vgpr_msb 64                       ;  msbs: dst=1 src0=0 src1=0 src2=0
	v_lshrrev_b16 v6 /*v262*/, 8, v7
	s_set_vgpr_msb 4                        ;  msbs: dst=0 src0=0 src1=1 src2=0
	v_mul_i32_i24_e32 v231, v231, v3 /*v259*/
	v_mul_i32_i24_e32 v235, v235, v10 /*v266*/
	;; [unrolled: 1-line block ×3, first 2 shown]
	v_bfe_i32 v171, v7, 16, 8
	s_set_vgpr_msb 1                        ;  msbs: dst=0 src0=1 src1=0 src2=0
	v_bfe_i32 v169, v6 /*v262*/, 0, 8
	s_set_vgpr_msb 0                        ;  msbs: dst=0 src0=0 src1=0 src2=0
	v_bfe_i32 v192, v244, 0, 16
	v_bfe_i32 v197, v247, 0, 16
	v_pk_mul_lo_u16 v174, v174, v237 op_sel_hi:[1,0]
	v_perm_b32 v202, v218, v218, 0xc0c0c01
	v_or_b32_e32 v151, v152, v151
	v_mul_i32_i24_e32 v169, v192, v169
	s_set_vgpr_msb 4                        ;  msbs: dst=0 src0=0 src1=1 src2=0
	v_mad_i32_i24 v192, v224, v9 /*v265*/, v235
	s_set_vgpr_msb 0                        ;  msbs: dst=0 src0=0 src1=0 src2=0
	v_perm_b32 v152, v184, v184, 0xc0c0c01
	s_wait_dscnt 0x2
	v_bfe_i32 v160, v3, 16, 8
	v_bfe_i32 v195, v248, 0, 16
	v_mul_i32_i24_e32 v144, v172, v144
	v_dot4_i32_iu8 v4, v4, v163, v167 neg_lo:[1,1,0]
	v_perm_b32 v163, v193, v191, 0xc05000c
	v_bfe_i32 v167, v239, 0, 8
	v_bfe_i32 v191, v245, 0, 8
	;; [unrolled: 1-line block ×3, first 2 shown]
	v_mul_i32_i24_e32 v129, v233, v129
	v_mul_i32_i24_e32 v140, v233, v140
	v_dot4_i32_iu8 v165, v5, v165, v4 neg_lo:[1,1,0]
	v_perm_b32 v5, v207, v206, 0xc05000c
	v_dual_ashrrev_i32 v168, 24, v7 :: v_dual_bitop2_b32 v163, v163, v164 bitop3:0x54
	v_mad_i32_i24 v4, v236, v200, v201
	v_mul_i32_i24_e32 v164, v234, v198
	v_mul_i32_i24_e32 v167, v167, v236
	;; [unrolled: 1-line block ×4, first 2 shown]
	s_set_vgpr_msb 4                        ;  msbs: dst=0 src0=0 src1=1 src2=0
	v_mad_i32_i24 v191, v225, v8 /*v264*/, v205
	v_bfe_i32 v206, v158, 8, 8
	v_bfe_i32 v158, v158, 0, 8
	;; [unrolled: 1-line block ×3, first 2 shown]
	s_set_vgpr_msb 0                        ;  msbs: dst=0 src0=0 src1=0 src2=0
	v_perm_b32 v201, v217, v216, 0xc05000c
	v_bfe_i32 v205, v251, 0, 8
	v_dual_ashrrev_i32 v198, 24, v1 :: v_dual_bitop2_b32 v5, v5, v166 bitop3:0x54
	v_dot4_i32_iu8 v163, v204, v163, v187 neg_lo:[1,1,0]
	v_bfe_i32 v187, v213, 0, 8
	v_bfe_i32 v166, v240, 0, 16
	v_add3_u32 v167, v192, v167, v193
	v_perm_b32 v192, v215, v214, 0xc0c0500
	v_perm_b32 v193, v0, v0, 0xc0c0302
	v_bfe_i32 v204, v252, 0, 16
	v_or_b32_e32 v201, v201, v202
	v_perm_b32 v202, v1, v1, 0xc030201
	v_mul_i32_i24_e32 v205, v205, v200
	v_dot4_i32_iu8 v4, v6, v5, v4 neg_lo:[1,1,0]
	v_bfe_i32 v5, v242, 0, 16
	v_bfe_i32 v6, v241, 0, 8
	v_mul_i32_i24_e32 v166, v166, v234
	v_mad_i32_i24 v163, v236, v199, v163
	v_bfe_i32 v199, v1, 16, 8
	v_mad_i32_i24 v4, v172, v187, v4
	v_perm_b32 v187, v211, v210, 0xc05000c
	v_mul_i32_i24_e32 v5, v5, v233
	v_mul_i32_i24_e32 v6, v6, v237
	v_add3_u32 v166, v231, v226, v166
	s_delay_alu instid0(VALU_DEP_4) | instskip(SKIP_1) | instid1(VALU_DEP_4)
	v_or_b32_e32 v187, v187, v188
	v_perm_b32 v188, v7, v7, 0xc030201
	v_add3_u32 v6, v191, v6, v171
	v_bfe_i32 v171, v0, 16, 8
	s_delay_alu instid0(VALU_DEP_3) | instskip(SKIP_1) | instid1(VALU_DEP_2)
	v_dot4_i32_iu8 v4, v188, v187, v4 neg_lo:[1,1,0]
	v_bfe_i32 v187, v246, 0, 16
	v_mul_lo_u32 v4, v4, v227
	s_delay_alu instid0(VALU_DEP_2) | instskip(SKIP_4) | instid1(VALU_DEP_2)
	v_mul_i32_i24_e32 v168, v187, v168
	s_set_vgpr_msb 4                        ;  msbs: dst=0 src0=0 src1=1 src2=0
	v_mad_i32_i24 v187, v232, v7 /*v263*/, v203
	v_bfe_i32 v203, v253, 0, 8
	s_set_vgpr_msb 0                        ;  msbs: dst=0 src0=0 src1=0 src2=0
	v_add3_u32 v5, v187, v5, v168
	v_bfe_i32 v187, v0, 0, 8
	s_delay_alu instid0(VALU_DEP_3)
	v_mul_i32_i24_e32 v199, v203, v199
	v_bfe_i32 v203, v2, 0, 8
	v_lshrrev_b16 v168, 8, v3
	v_add3_u32 v5, v166, v169, v5
	v_mul_i32_i24_e32 v191, v187, v228
	v_lshrrev_b16 v166, 8, v1
	v_mul_i32_i24_e32 v185, v187, v185
	v_ashrrev_i32_e32 v169, 24, v0
	v_bfe_i32 v159, v168, 0, 8
	v_mad_i32_i24 v134, v194, v171, v199
	v_add3_u32 v5, v167, v6, v5
	v_lshrrev_b16 v6, 8, v0
	v_bfe_i32 v166, v166, 0, 8
	v_perm_b32 v0, v1, v0, 0x5040302
	v_lshrrev_b16 v167, 8, v2
	v_perm_b32 v1, v2, v1, 0x5040302
	v_bfe_i32 v6, v6, 0, 8
	v_mul_i32_i24_e32 v166, v204, v166
	v_bfe_i32 v204, v2, 16, 8
	v_bfe_i32 v167, v167, 0, 8
	s_delay_alu instid0(VALU_DEP_4)
	v_mad_i32_i24 v191, v6, v229, v191
	v_mul_i32_i24_e32 v206, v6, v206
	v_mul_i32_i24_e32 v197, v197, v6
	v_mad_i32_i24 v6, v6, v182, v185
	v_pk_mul_lo_u16 v170, v170, v204 op_sel_hi:[1,0]
	v_dot4_i32_iu8 v191, v193, v192, v191 neg_lo:[1,1,0]
	v_mad_i32_i24 v158, v187, v158, v206
	v_bfe_i32 v192, v250, 0, 8
	v_dot4_i32_iu8 v6, v193, v179, v6 neg_lo:[1,1,0]
	v_bfe_i32 v179, v174, 0, 16
	v_ashrrev_i32_e32 v174, 16, v174
	v_bfe_i32 v132, v170, 0, 16
	v_mad_i32_i24 v191, v200, v230, v191
	v_dot4_i32_iu8 v0, v0, v151, v158 neg_lo:[1,1,0]
	v_perm_b32 v151, v183, v181, 0xc05000c
	v_mad_i32_i24 v6, v200, v186, v6
	v_ashrrev_i32_e32 v158, 24, v3
	v_add3_u32 v129, v165, v179, v129
	v_add3_u32 v163, v163, v164, v174
	v_dot4_i32_iu8 v191, v202, v201, v191 neg_lo:[1,1,0]
	v_bfe_i32 v201, v254, 0, 16
	v_dual_ashrrev_i32 v133, 16, v170 :: v_dual_bitop2_b32 v151, v151, v152 bitop3:0x54
	v_perm_b32 v152, v154, v153, 0xc0c0500
	v_perm_b32 v153, v162, v161, 0x5000c0c
	v_dot4_i32_iu8 v7, v7, v130, v129 neg_lo:[1,1,0]
	v_perm_b32 v129, v142, v141, 0xc05000c
	v_perm_b32 v130, v143, v143, 0xc0c0c01
	v_bfe_i32 v161, v3, 0, 8
	v_bfe_i32 v162, v223, 0, 8
	;; [unrolled: 1-line block ×3, first 2 shown]
	v_add3_u32 v140, v163, v140, v144
	v_mul_i32_i24_e32 v198, v201, v198
	v_ashrrev_i32_e32 v201, 24, v2
	v_dot4_i32_iu8 v6, v202, v151, v6 neg_lo:[1,1,0]
	v_or_b32_e32 v152, v153, v152
	v_mul_i32_i24_e32 v151, v167, v189
	v_or_b32_e32 v129, v129, v130
	v_bfe_i32 v130, v145, 8, 8
	v_perm_b32 v153, v221, v221, 0xc0c0c01
	v_perm_b32 v2, v2, v2, 0xc030201
	v_mul_i32_i24_e32 v154, v154, v203
	v_mad_i32_i24 v6, v203, v190, v6
	v_dot4_i32_iu8 v0, v1, v152, v0 neg_lo:[1,1,0]
	v_mul_i32_i24_e32 v131, v201, v131
	v_mul_i32_i24_e32 v130, v201, v130
	v_perm_b32 v152, v220, v219, 0xc05000c
	v_mad_i32_i24 v1, v203, v196, v191
	v_dot4_i32_iu8 v129, v188, v129, v140 neg_lo:[1,1,0]
	v_add3_u32 v6, v6, v151, v133
	v_add3_u32 v0, v0, v132, v131
	v_mul_i32_i24_e32 v131, v161, v149
	v_or_b32_e32 v152, v152, v153
	s_set_vgpr_msb 1                        ;  msbs: dst=0 src0=1 src1=0 src2=0
	v_bfe_i32 v153, v0 /*v256*/, 0, 16
	s_set_vgpr_msb 0                        ;  msbs: dst=0 src0=0 src1=0 src2=0
	v_bfe_i32 v132, v175, 0, 8
	v_mad_i32_i24 v133, v195, v169, v198
	v_add3_u32 v6, v6, v130, v131
	v_perm_b32 v130, v138, v137, 0xc0c0500
	v_perm_b32 v131, v136, v135, 0x5000c0c
	v_dot4_i32_iu8 v1, v2, v152, v1 neg_lo:[1,1,0]
	s_set_vgpr_msb 1                        ;  msbs: dst=0 src0=1 src1=0 src2=0
	v_bfe_i32 v2, v2 /*v258*/, 0, 16
	v_bfe_i32 v152, v1 /*v257*/, 0, 8
	s_set_vgpr_msb 0                        ;  msbs: dst=0 src0=0 src1=0 src2=0
	v_mul_i32_i24_e32 v153, v153, v167
	v_mul_i32_i24_e32 v132, v132, v161
	v_mad_i32_i24 v135, v192, v187, v205
	v_or_b32_e32 v130, v131, v130
	v_perm_b32 v131, v148, v148, 0xc0c0c01
	v_mul_i32_i24_e32 v2, v2, v201
	v_mul_i32_i24_e32 v152, v152, v204
	v_add3_u32 v136, v197, v166, v153
	v_add3_u32 v132, v135, v154, v132
	v_dot4_i32_iu8 v130, v3, v130, v0 neg_lo:[1,1,0]
	v_perm_b32 v0, v147, v146, 0xc05000c
	v_perm_b32 v3, v3, v3, 0xc030201
	s_delay_alu instid0(VALU_DEP_2) | instskip(SKIP_1) | instid1(VALU_DEP_2)
	v_or_b32_e32 v0, v0, v131
	v_perm_b32 v131, v157, v157, 0xc0c0c01
	v_dot4_i32_iu8 v6, v3, v0, v6 neg_lo:[1,1,0]
	v_mad_i32_i24 v0, v161, v162, v1
	v_perm_b32 v1, v156, v155, 0xc05000c
	s_delay_alu instid0(VALU_DEP_1) | instskip(NEXT) | instid1(VALU_DEP_1)
	v_or_b32_e32 v1, v1, v131
	v_dot4_i32_iu8 v131, v3, v1, v0 neg_lo:[1,1,0]
	v_bfe_i32 v0, v178, 0, 16
	v_bfe_i32 v1, v177, 0, 8
	;; [unrolled: 1-line block ×3, first 2 shown]
	s_delay_alu instid0(VALU_DEP_3) | instskip(NEXT) | instid1(VALU_DEP_3)
	v_mul_i32_i24_e32 v0, v0, v158
	v_mul_i32_i24_e32 v1, v1, v160
	s_delay_alu instid0(VALU_DEP_3) | instskip(NEXT) | instid1(VALU_DEP_3)
	v_mul_i32_i24_e32 v3, v3, v159
	v_add3_u32 v0, v133, v2, v0
	s_delay_alu instid0(VALU_DEP_3) | instskip(NEXT) | instid1(VALU_DEP_2)
	v_add3_u32 v1, v134, v152, v1
	v_add3_u32 v0, v136, v3, v0
	v_pk_mul_f32 v[2:3], v[90:91], v[94:95] op_sel_hi:[0,1]
	s_delay_alu instid0(VALU_DEP_2)
	v_add3_u32 v132, v132, v1, v0
	ds_load_u16 v0, v173 offset:28418
	s_wait_dscnt 0x2
	v_lshrrev_b16 v167, 8, v139
	s_wait_dscnt 0x1
	v_lshrrev_b16 v168, 8, v150
	v_bfe_i32 v150, v150, 0, 8
	v_bfe_i32 v139, v139, 0, 8
	;; [unrolled: 1-line block ×3, first 2 shown]
	s_delay_alu instid0(VALU_DEP_4) | instskip(NEXT) | instid1(VALU_DEP_4)
	v_bfe_i32 v168, v168, 0, 8
	v_mul_lo_u32 v129, v129, v150
	s_delay_alu instid0(VALU_DEP_4) | instskip(NEXT) | instid1(VALU_DEP_2)
	v_mul_lo_u32 v7, v7, v139
	v_mad_u32 v6, v6, v168, v129
	s_delay_alu instid0(VALU_DEP_2) | instskip(SKIP_3) | instid1(VALU_DEP_2)
	v_mad_u32 v7, v130, v167, v7
	s_wait_dscnt 0x0
	v_lshrrev_b16 v1, 8, v0
	v_bfe_i32 v0, v0, 0, 8
	v_bfe_i32 v133, v1, 0, 8
	s_delay_alu instid0(VALU_DEP_2)
	v_mul_lo_u32 v5, v5, v0
	v_pk_mul_f32 v[0:1], v[90:91], v[92:93] op_sel_hi:[0,1]
	v_mad_u32 v90, v131, v128, v4
	v_add_nc_u32_e32 v91, 4, v91
	v_cvt_f32_i32_e32 v4, v7
	v_mad_u32 v92, v132, v133, v5
	v_cvt_f32_i32_e32 v5, v6
	v_cvt_f32_i32_e32 v6, v90
	s_delay_alu instid0(VALU_DEP_2) | instskip(NEXT) | instid1(VALU_DEP_4)
	v_pk_fma_f32 v[18:19], v[0:1], v[4:5], v[18:19]
	v_cvt_f32_i32_e32 v7, v92
	s_delay_alu instid0(VALU_DEP_1)
	v_pk_fma_f32 v[20:21], v[2:3], v[6:7], v[20:21]
	s_cbranch_scc1 .LBB209_19
; %bb.20:                               ;   in Loop: Header=BB209_5 Depth=1
	s_or_b32 s1, s16, 0x100
	s_delay_alu instid0(SALU_CYCLE_1)
	s_cmp_ge_i32 s1, s11
	s_barrier_signal -1
	s_barrier_wait -1
	s_cbranch_scc1 .LBB209_4
; %bb.21:                               ;   in Loop: Header=BB209_5 Depth=1
	v_add_nc_u32_e32 v0, s17, v77
	s_delay_alu instid0(VALU_DEP_1) | instskip(SKIP_1) | instid1(SALU_CYCLE_1)
	v_cmp_gt_i32_e64 s1, s5, v0
	s_and_b32 s20, s0, s1
	s_and_saveexec_b32 s1, s20
	s_cbranch_execz .LBB209_23
; %bb.22:                               ;   in Loop: Header=BB209_5 Depth=1
	v_add_nc_u32_e32 v0, v22, v0
	s_delay_alu instid0(VALU_DEP_1)
	v_mad_nc_i64_i32 v[0:1], v0, 36, v[26:27]
	global_load_b32 v0, v[0:1], off offset:4
	s_wait_loadcnt 0x0
	ds_store_b32 v37, v0
.LBB209_23:                             ;   in Loop: Header=BB209_5 Depth=1
	s_or_b32 exec_lo, exec_lo, s1
	s_and_saveexec_b32 s20, vcc_lo
	s_cbranch_execz .LBB209_26
; %bb.24:                               ;   in Loop: Header=BB209_5 Depth=1
	v_or_b32_e32 v0, 8, v88
	s_delay_alu instid0(VALU_DEP_1) | instskip(SKIP_1) | instid1(SALU_CYCLE_1)
	v_cmp_gt_i32_e64 s1, s5, v0
	s_and_b32 s1, s0, s1
	s_and_b32 exec_lo, exec_lo, s1
	s_cbranch_execz .LBB209_26
; %bb.25:                               ;   in Loop: Header=BB209_5 Depth=1
	v_ashrrev_i32_e32 v89, 31, v88
	s_delay_alu instid0(VALU_DEP_1) | instskip(NEXT) | instid1(VALU_DEP_1)
	v_add_nc_u64_e32 v[0:1], v[22:23], v[88:89]
	v_mad_nc_u64_u32 v[2:3], v0, 36, s[2:3]
	s_delay_alu instid0(VALU_DEP_1)
	v_mad_i32_i24 v3, v1, 36, v3
	global_load_b32 v0, v[2:3], off offset:288
	s_wait_loadcnt 0x0
	v_cvt_f32_f16_e32 v0, v0
	ds_store_b32 v41, v0
.LBB209_26:                             ;   in Loop: Header=BB209_5 Depth=1
	s_or_b32 exec_lo, exec_lo, s20
	v_dual_mov_b32 v89, v35 :: v_dual_mov_b32 v91, v39
	s_mov_b32 s1, 16
	s_mov_b32 s24, 14
	;; [unrolled: 1-line block ×3, first 2 shown]
	s_wait_dscnt 0x0
	s_barrier_signal -1
	s_barrier_wait -1
.LBB209_27:                             ;   Parent Loop BB209_5 Depth=1
                                        ; =>  This Inner Loop Header: Depth=2
	s_add_co_i32 s21, s24, 2
	s_add_co_i32 s22, s24, -14
	s_lshr_b32 s26, s21, 4
	s_and_b32 s23, s21, 0x3ffffff8
	s_and_b32 s25, s1, -16
	v_lshl_add_u32 v4, s23, 2, v81
	s_lshl_b32 s23, s26, 5
	s_add_co_i32 s24, s24, s25
	s_addk_co_i32 s23, 0x4200
	s_lshl_b32 s25, s26, 2
	v_add3_u32 v92, s23, v83, v85
	ds_load_2addr_b32 v[0:1], v4 offset1:1
	s_addk_co_i32 s25, 0x7380
	ds_load_b32 v90, v91
	s_add_co_i32 s1, s1, 2
	ds_load_2addr_b32 v[2:3], v92 offset1:1
	s_wait_dscnt 0x2
	v_dual_add_nc_u32 v139, s24, v49 :: v_dual_ashrrev_i32 v0, s22, v0
	s_wait_dscnt 0x0
	v_ashrrev_i32_e32 v2, s20, v2
	s_delay_alu instid0(VALU_DEP_2) | instskip(NEXT) | instid1(VALU_DEP_2)
	v_and_b32_e32 v5, 0x3030303, v0
	v_dual_ashrrev_i32 v3, s20, v3 :: v_dual_lshlrev_b32 v2, 2, v2
	s_delay_alu instid0(VALU_DEP_2) | instskip(SKIP_2) | instid1(VALU_DEP_4)
	v_lshrrev_b32_e32 v7, 16, v5
	v_bfe_u32 v0, v0, 24, 2
	v_lshrrev_b16 v6, 8, v5
	v_lshlrev_b32_e32 v3, 2, v3
	v_and_b32_e32 v2, 0x4040404, v2
	s_delay_alu instid0(VALU_DEP_2) | instskip(NEXT) | instid1(VALU_DEP_2)
	v_and_b32_e32 v3, 0x4040404, v3
	v_dual_lshrrev_b32 v94, 24, v2 :: v_dual_lshrrev_b32 v95, 16, v2
	v_lshrrev_b16 v93, 8, v2
	s_delay_alu instid0(VALU_DEP_2) | instskip(NEXT) | instid1(VALU_DEP_3)
	v_sub_nc_u16 v0, v0, v94
	v_sub_nc_u16 v163, v7, v95
	v_lshrrev_b32_e32 v7, 24, v3
	s_delay_alu instid0(VALU_DEP_3) | instskip(NEXT) | instid1(VALU_DEP_1)
	v_lshlrev_b16 v0, 8, v0
	v_bitop3_b16 v164, v163, v0, 0xff bitop3:0xec
	v_sub_nc_u16 v0, v5, v2
	v_sub_nc_u16 v2, v6, v93
	v_lshrrev_b32_e32 v93, 16, v3
	v_lshrrev_b16 v6, 8, v3
	v_perm_b32 v163, v164, v163, 0xc0c0500
	s_delay_alu instid0(VALU_DEP_4) | instskip(NEXT) | instid1(VALU_DEP_1)
	v_lshlrev_b16 v2, 8, v2
	v_bitop3_b16 v0, v0, v2, 0xff bitop3:0xec
	s_delay_alu instid0(VALU_DEP_1) | instskip(SKIP_1) | instid1(VALU_DEP_1)
	v_and_b32_e32 v167, 0xffff, v0
	v_ashrrev_i32_e32 v0, s22, v1
	v_and_b32_e32 v1, 0x3030303, v0
	v_bfe_u32 v0, v0, 24, 2
	s_delay_alu instid0(VALU_DEP_2) | instskip(NEXT) | instid1(VALU_DEP_2)
	v_lshrrev_b32_e32 v5, 16, v1
	v_sub_nc_u16 v0, v0, v7
	v_lshrrev_b16 v2, 8, v1
	v_sub_nc_u16 v168, v1, v3
	s_delay_alu instid0(VALU_DEP_4) | instskip(NEXT) | instid1(VALU_DEP_4)
	v_sub_nc_u16 v165, v5, v93
	v_lshlrev_b16 v0, 8, v0
	s_delay_alu instid0(VALU_DEP_1) | instskip(SKIP_4) | instid1(VALU_DEP_1)
	v_bitop3_b16 v166, v165, v0, 0xff bitop3:0xec
	v_sub_nc_u16 v0, v2, v6
	ds_load_2addr_b32 v[2:3], v92 offset0:2 offset1:3
	v_perm_b32 v165, v166, v165, 0xc0c0500
	v_lshlrev_b16 v0, 8, v0
	v_bitop3_b16 v169, v168, v0, 0xff bitop3:0xec
	ds_load_2addr_b32 v[0:1], v4 offset0:2 offset1:3
	v_perm_b32 v164, v169, v168, 0x5000c0c
	s_wait_dscnt 0x1
	s_delay_alu instid0(VALU_DEP_1) | instskip(NEXT) | instid1(VALU_DEP_1)
	v_dual_ashrrev_i32 v2, s20, v2 :: v_dual_bitop2_b32 v163, v164, v163 bitop3:0x54
	v_dual_ashrrev_i32 v3, s20, v3 :: v_dual_lshlrev_b32 v2, 2, v2
	s_wait_dscnt 0x0
	s_delay_alu instid0(VALU_DEP_1) | instskip(NEXT) | instid1(VALU_DEP_2)
	v_dual_lshlrev_b32 v3, 2, v3 :: v_dual_ashrrev_i32 v0, s22, v0
	v_and_b32_e32 v2, 0x4040404, v2
	s_delay_alu instid0(VALU_DEP_2) | instskip(NEXT) | instid1(VALU_DEP_3)
	v_and_b32_e32 v3, 0x4040404, v3
	v_and_b32_e32 v5, 0x3030303, v0
	v_bfe_u32 v0, v0, 24, 2
	s_delay_alu instid0(VALU_DEP_4) | instskip(SKIP_1) | instid1(VALU_DEP_4)
	v_dual_lshrrev_b32 v93, 16, v2 :: v_dual_lshrrev_b32 v94, 24, v2
	v_lshrrev_b16 v95, 8, v2
	v_lshrrev_b16 v7, 8, v5
	v_lshrrev_b32_e32 v6, 16, v5
	v_sub_nc_u16 v171, v5, v2
	v_sub_nc_u16 v0, v0, v94
	s_delay_alu instid0(VALU_DEP_4) | instskip(SKIP_2) | instid1(VALU_DEP_4)
	v_sub_nc_u16 v2, v7, v95
	v_lshrrev_b32_e32 v7, 24, v3
	v_sub_nc_u16 v174, v6, v93
	v_lshlrev_b16 v129, 8, v0
	v_ashrrev_i32_e32 v0, s22, v1
	v_lshlrev_b16 v2, 8, v2
	v_lshrrev_b32_e32 v93, 16, v3
	v_lshrrev_b16 v6, 8, v3
	v_bfe_i32 v174, v174, 0, 8
	v_and_b32_e32 v1, 0x3030303, v0
	v_bfe_u32 v0, v0, 24, 2
	v_bitop3_b16 v172, v171, v2, 0xff bitop3:0xec
	v_bfe_i32 v129, v129, 8, 8
	s_delay_alu instid0(VALU_DEP_4) | instskip(NEXT) | instid1(VALU_DEP_4)
	v_lshrrev_b32_e32 v5, 16, v1
	v_sub_nc_u16 v0, v0, v7
	v_lshrrev_b16 v2, 8, v1
	v_sub_nc_u16 v132, v1, v3
	v_perm_b32 v166, v172, v171, 0x5000c0c
	v_sub_nc_u16 v130, v5, v93
	v_lshlrev_b16 v0, 8, v0
	s_delay_alu instid0(VALU_DEP_1) | instskip(SKIP_4) | instid1(VALU_DEP_1)
	v_bitop3_b16 v131, v130, v0, 0xff bitop3:0xec
	v_sub_nc_u16 v0, v2, v6
	ds_load_2addr_b32 v[2:3], v92 offset0:4 offset1:5
	v_perm_b32 v130, v131, v130, 0x5000c0c
	v_lshlrev_b16 v0, 8, v0
	v_bitop3_b16 v133, v132, v0, 0xff bitop3:0xec
	ds_load_2addr_b32 v[0:1], v4 offset0:4 offset1:5
	v_perm_b32 v132, v133, v132, 0xc0c0500
	s_wait_dscnt 0x1
	s_delay_alu instid0(VALU_DEP_1) | instskip(NEXT) | instid1(VALU_DEP_1)
	v_dual_ashrrev_i32 v2, s20, v2 :: v_dual_bitop2_b32 v130, v130, v132 bitop3:0x54
	v_dual_ashrrev_i32 v3, s20, v3 :: v_dual_lshlrev_b32 v2, 2, v2
	s_wait_dscnt 0x0
	s_delay_alu instid0(VALU_DEP_1) | instskip(NEXT) | instid1(VALU_DEP_2)
	v_dual_lshlrev_b32 v3, 2, v3 :: v_dual_ashrrev_i32 v0, s22, v0
	v_and_b32_e32 v2, 0x4040404, v2
	s_delay_alu instid0(VALU_DEP_2) | instskip(NEXT) | instid1(VALU_DEP_3)
	v_and_b32_e32 v3, 0x4040404, v3
	v_and_b32_e32 v5, 0x3030303, v0
	v_bfe_u32 v0, v0, 24, 2
	s_delay_alu instid0(VALU_DEP_4) | instskip(SKIP_1) | instid1(VALU_DEP_4)
	v_dual_lshrrev_b32 v94, 24, v2 :: v_dual_lshrrev_b32 v95, 16, v2
	v_lshrrev_b16 v93, 8, v2
	v_lshrrev_b32_e32 v7, 16, v5
	v_lshrrev_b16 v6, 8, v5
	s_delay_alu instid0(VALU_DEP_4) | instskip(NEXT) | instid1(VALU_DEP_3)
	v_sub_nc_u16 v0, v0, v94
	v_sub_nc_u16 v151, v7, v95
	v_lshrrev_b32_e32 v7, 24, v3
	s_delay_alu instid0(VALU_DEP_3) | instskip(NEXT) | instid1(VALU_DEP_1)
	v_lshlrev_b16 v0, 8, v0
	v_bitop3_b16 v152, v151, v0, 0xff bitop3:0xec
	v_sub_nc_u16 v0, v5, v2
	v_sub_nc_u16 v2, v6, v93
	v_lshrrev_b32_e32 v93, 16, v3
	v_lshrrev_b16 v6, 8, v3
	v_perm_b32 v151, v152, v151, 0xc0c0500
	s_delay_alu instid0(VALU_DEP_4) | instskip(NEXT) | instid1(VALU_DEP_1)
	v_lshlrev_b16 v2, 8, v2
	v_bitop3_b16 v0, v0, v2, 0xff bitop3:0xec
	s_delay_alu instid0(VALU_DEP_1) | instskip(SKIP_1) | instid1(VALU_DEP_1)
	v_and_b32_e32 v158, 0xffff, v0
	v_ashrrev_i32_e32 v0, s22, v1
	v_and_b32_e32 v1, 0x3030303, v0
	v_bfe_u32 v0, v0, 24, 2
	s_delay_alu instid0(VALU_DEP_2) | instskip(NEXT) | instid1(VALU_DEP_2)
	v_lshrrev_b32_e32 v5, 16, v1
	v_sub_nc_u16 v0, v0, v7
	v_lshrrev_b16 v2, 8, v1
	v_sub_nc_u16 v159, v1, v3
	s_delay_alu instid0(VALU_DEP_4) | instskip(NEXT) | instid1(VALU_DEP_4)
	v_sub_nc_u16 v153, v5, v93
	v_lshlrev_b16 v0, 8, v0
	s_delay_alu instid0(VALU_DEP_1) | instskip(SKIP_3) | instid1(VALU_DEP_1)
	v_bitop3_b16 v154, v153, v0, 0xff bitop3:0xec
	v_sub_nc_u16 v0, v2, v6
	ds_load_2addr_b32 v[2:3], v92 offset0:6 offset1:7
	v_lshlrev_b16 v0, 8, v0
	v_bitop3_b16 v160, v159, v0, 0xff bitop3:0xec
	ds_load_2addr_b32 v[0:1], v4 offset0:6 offset1:7
	v_perm_b32 v152, v160, v159, 0x5000c0c
	s_wait_dscnt 0x1
	v_dual_ashrrev_i32 v2, s20, v2 :: v_dual_ashrrev_i32 v3, s20, v3
	s_delay_alu instid0(VALU_DEP_1) | instskip(SKIP_2) | instid1(VALU_DEP_2)
	v_dual_lshlrev_b32 v2, 2, v2 :: v_dual_lshlrev_b32 v3, 2, v3
	s_wait_dscnt 0x0
	v_ashrrev_i32_e32 v0, s22, v0
	v_and_b32_e32 v2, 0x4040404, v2
	s_delay_alu instid0(VALU_DEP_3) | instskip(NEXT) | instid1(VALU_DEP_3)
	v_and_b32_e32 v3, 0x4040404, v3
	v_and_b32_e32 v5, 0x3030303, v0
	v_bfe_u32 v0, v0, 24, 2
	s_delay_alu instid0(VALU_DEP_4) | instskip(SKIP_1) | instid1(VALU_DEP_4)
	v_dual_lshrrev_b32 v92, 16, v2 :: v_dual_lshrrev_b32 v93, 24, v2
	v_lshrrev_b16 v94, 8, v2
	v_lshrrev_b16 v7, 8, v5
	v_lshrrev_b32_e32 v6, 16, v5
	v_sub_nc_u16 v161, v5, v2
	v_sub_nc_u16 v0, v0, v93
	v_add3_u32 v93, s23, v97, v98
	v_sub_nc_u16 v2, v7, v94
	v_lshrrev_b32_e32 v7, 24, v3
	v_sub_nc_u16 v170, v6, v92
	v_lshlrev_b16 v134, 8, v0
	v_ashrrev_i32_e32 v0, s22, v1
	v_lshlrev_b16 v2, 8, v2
	v_lshrrev_b32_e32 v92, 16, v3
	v_lshrrev_b16 v6, 8, v3
	v_bfe_i32 v170, v170, 0, 8
	v_and_b32_e32 v1, 0x3030303, v0
	v_bfe_u32 v0, v0, 24, 2
	v_bitop3_b16 v162, v161, v2, 0xff bitop3:0xec
	v_bfe_i32 v131, v134, 8, 8
	s_delay_alu instid0(VALU_DEP_4) | instskip(NEXT) | instid1(VALU_DEP_4)
	v_lshrrev_b32_e32 v5, 16, v1
	v_sub_nc_u16 v0, v0, v7
	v_lshrrev_b16 v2, 8, v1
	v_sub_nc_u16 v137, v1, v3
	s_delay_alu instid0(VALU_DEP_4) | instskip(NEXT) | instid1(VALU_DEP_4)
	v_sub_nc_u16 v135, v5, v92
	v_lshlrev_b16 v0, 8, v0
	s_delay_alu instid0(VALU_DEP_1) | instskip(SKIP_3) | instid1(VALU_DEP_1)
	v_bitop3_b16 v136, v135, v0, 0xff bitop3:0xec
	v_sub_nc_u16 v0, v2, v6
	ds_load_2addr_b32 v[2:3], v93 offset1:1
	v_lshlrev_b16 v0, 8, v0
	v_bitop3_b16 v138, v137, v0, 0xff bitop3:0xec
	v_add3_u32 v0, s25, v127, v96
	ds_load_b32 v92, v0
	v_add_nc_u32_e32 v0, 0x1080, v4
	s_wait_dscnt 0x1
	v_ashrrev_i32_e32 v2, s20, v2
	ds_load_2addr_b32 v[0:1], v0 offset1:1
	v_dual_ashrrev_i32 v3, s20, v3 :: v_dual_lshlrev_b32 v2, 2, v2
	s_delay_alu instid0(VALU_DEP_1) | instskip(NEXT) | instid1(VALU_DEP_2)
	v_lshlrev_b32_e32 v3, 2, v3
	v_and_b32_e32 v2, 0x4040404, v2
	s_delay_alu instid0(VALU_DEP_2) | instskip(NEXT) | instid1(VALU_DEP_2)
	v_and_b32_e32 v3, 0x4040404, v3
	v_dual_lshrrev_b32 v95, 24, v2 :: v_dual_lshrrev_b32 v128, 16, v2
	v_lshrrev_b16 v94, 8, v2
	s_wait_dscnt 0x0
	v_ashrrev_i32_e32 v0, s22, v0
	s_delay_alu instid0(VALU_DEP_1) | instskip(SKIP_1) | instid1(VALU_DEP_2)
	v_and_b32_e32 v5, 0x3030303, v0
	v_bfe_u32 v0, v0, 24, 2
	v_lshrrev_b32_e32 v7, 16, v5
	s_delay_alu instid0(VALU_DEP_2) | instskip(SKIP_2) | instid1(VALU_DEP_4)
	v_sub_nc_u16 v0, v0, v95
	v_lshrrev_b16 v6, 8, v5
	v_sub_nc_u16 v195, v5, v2
	v_sub_nc_u16 v187, v7, v128
	s_delay_alu instid0(VALU_DEP_4) | instskip(SKIP_1) | instid1(VALU_DEP_4)
	v_lshlrev_b16 v0, 8, v0
	v_lshrrev_b32_e32 v7, 24, v3
	v_bfe_i32 v195, v195, 0, 8
	s_delay_alu instid0(VALU_DEP_3) | instskip(SKIP_3) | instid1(VALU_DEP_4)
	v_bitop3_b16 v188, v187, v0, 0xff bitop3:0xec
	v_sub_nc_u16 v0, v6, v94
	v_lshrrev_b32_e32 v94, 16, v3
	v_lshrrev_b16 v6, 8, v3
	v_perm_b32 v187, v188, v187, 0xc0c0500
	s_delay_alu instid0(VALU_DEP_4) | instskip(SKIP_1) | instid1(VALU_DEP_2)
	v_lshlrev_b16 v192, 8, v0
	v_ashrrev_i32_e32 v0, s22, v1
	v_bfe_i32 v192, v192, 8, 8
	s_delay_alu instid0(VALU_DEP_2) | instskip(SKIP_1) | instid1(VALU_DEP_2)
	v_and_b32_e32 v1, 0x3030303, v0
	v_bfe_u32 v0, v0, 24, 2
	v_lshrrev_b32_e32 v5, 16, v1
	s_delay_alu instid0(VALU_DEP_2) | instskip(SKIP_2) | instid1(VALU_DEP_4)
	v_sub_nc_u16 v0, v0, v7
	v_lshrrev_b16 v2, 8, v1
	v_sub_nc_u16 v197, v1, v3
	v_sub_nc_u16 v191, v5, v94
	s_delay_alu instid0(VALU_DEP_4) | instskip(NEXT) | instid1(VALU_DEP_3)
	v_lshlrev_b16 v0, 8, v0
	v_bfe_i32 v197, v197, 0, 8
	s_delay_alu instid0(VALU_DEP_2) | instskip(SKIP_4) | instid1(VALU_DEP_2)
	v_bitop3_b16 v193, v191, v0, 0xff bitop3:0xec
	v_sub_nc_u16 v0, v2, v6
	ds_load_2addr_b32 v[2:3], v93 offset0:2 offset1:3
	v_lshlrev_b16 v194, 8, v0
	v_add_nc_u32_e32 v0, 0x1088, v4
	v_perm_b32 v164, v194, v194, 0xc0c0c01
	ds_load_2addr_b32 v[0:1], v0 offset1:1
	s_wait_dscnt 0x1
	v_dual_ashrrev_i32 v2, s20, v2 :: v_dual_ashrrev_i32 v3, s20, v3
	s_delay_alu instid0(VALU_DEP_1) | instskip(SKIP_2) | instid1(VALU_DEP_2)
	v_dual_lshlrev_b32 v2, 2, v2 :: v_dual_lshlrev_b32 v3, 2, v3
	s_wait_dscnt 0x0
	v_ashrrev_i32_e32 v0, s22, v0
	v_and_b32_e32 v2, 0x4040404, v2
	s_delay_alu instid0(VALU_DEP_3) | instskip(NEXT) | instid1(VALU_DEP_3)
	v_and_b32_e32 v3, 0x4040404, v3
	v_and_b32_e32 v5, 0x3030303, v0
	v_bfe_u32 v0, v0, 24, 2
	s_delay_alu instid0(VALU_DEP_4) | instskip(SKIP_1) | instid1(VALU_DEP_4)
	v_dual_lshrrev_b32 v94, 16, v2 :: v_dual_lshrrev_b32 v128, 24, v2
	v_lshrrev_b16 v95, 8, v2
	v_lshrrev_b32_e32 v6, 16, v5
	v_lshrrev_b16 v7, 8, v5
	v_sub_nc_u16 v199, v5, v2
	v_sub_nc_u16 v0, v0, v128
	s_delay_alu instid0(VALU_DEP_4) | instskip(SKIP_2) | instid1(VALU_DEP_4)
	v_sub_nc_u16 v200, v6, v94
	v_lshrrev_b32_e32 v94, 16, v3
	v_lshrrev_b16 v6, 8, v3
	v_lshlrev_b16 v140, 8, v0
	v_sub_nc_u16 v0, v7, v95
	v_lshrrev_b32_e32 v7, 24, v3
	v_bfe_i32 v200, v200, 0, 8
	v_bfe_i32 v199, v199, 0, 8
	;; [unrolled: 1-line block ×3, first 2 shown]
	v_lshlrev_b16 v198, 8, v0
	v_ashrrev_i32_e32 v0, s22, v1
	v_perm_b32 v174, v200, v174, 0x5040100
	s_delay_alu instid0(VALU_DEP_3) | instskip(NEXT) | instid1(VALU_DEP_3)
	v_bfe_i32 v198, v198, 8, 8
	v_and_b32_e32 v1, 0x3030303, v0
	v_bfe_u32 v0, v0, 24, 2
	s_delay_alu instid0(VALU_DEP_2) | instskip(NEXT) | instid1(VALU_DEP_2)
	v_lshrrev_b32_e32 v5, 16, v1
	v_sub_nc_u16 v0, v0, v7
	v_lshrrev_b16 v2, 8, v1
	v_sub_nc_u16 v144, v1, v3
	s_delay_alu instid0(VALU_DEP_4) | instskip(NEXT) | instid1(VALU_DEP_4)
	v_sub_nc_u16 v141, v5, v94
	v_lshlrev_b16 v0, 8, v0
	s_delay_alu instid0(VALU_DEP_3) | instskip(NEXT) | instid1(VALU_DEP_2)
	v_bfe_i32 v144, v144, 0, 8
	v_bitop3_b16 v142, v141, v0, 0xff bitop3:0xec
	v_sub_nc_u16 v0, v2, v6
	ds_load_2addr_b32 v[2:3], v93 offset0:4 offset1:5
	v_lshlrev_b16 v143, 8, v0
	v_add_nc_u32_e32 v0, 0x1090, v4
	ds_load_2addr_b32 v[0:1], v0 offset1:1
	s_wait_dscnt 0x1
	v_dual_ashrrev_i32 v2, s20, v2 :: v_dual_ashrrev_i32 v3, s20, v3
	s_delay_alu instid0(VALU_DEP_1) | instskip(SKIP_2) | instid1(VALU_DEP_2)
	v_dual_lshlrev_b32 v2, 2, v2 :: v_dual_lshlrev_b32 v3, 2, v3
	s_wait_dscnt 0x0
	v_ashrrev_i32_e32 v0, s22, v0
	v_and_b32_e32 v2, 0x4040404, v2
	s_delay_alu instid0(VALU_DEP_3) | instskip(NEXT) | instid1(VALU_DEP_3)
	v_and_b32_e32 v3, 0x4040404, v3
	v_and_b32_e32 v5, 0x3030303, v0
	v_bfe_u32 v0, v0, 24, 2
	s_delay_alu instid0(VALU_DEP_4) | instskip(SKIP_1) | instid1(VALU_DEP_4)
	v_dual_lshrrev_b32 v95, 24, v2 :: v_dual_lshrrev_b32 v128, 16, v2
	v_lshrrev_b16 v94, 8, v2
	v_lshrrev_b32_e32 v7, 16, v5
	v_lshrrev_b16 v6, 8, v5
	s_delay_alu instid0(VALU_DEP_4) | instskip(SKIP_1) | instid1(VALU_DEP_4)
	v_sub_nc_u16 v0, v0, v95
	v_sub_nc_u16 v185, v5, v2
	;; [unrolled: 1-line block ×3, first 2 shown]
	v_lshrrev_b32_e32 v7, 24, v3
	s_delay_alu instid0(VALU_DEP_4) | instskip(NEXT) | instid1(VALU_DEP_4)
	v_lshlrev_b16 v0, 8, v0
	v_bfe_i32 v185, v185, 0, 8
	s_delay_alu instid0(VALU_DEP_2) | instskip(SKIP_3) | instid1(VALU_DEP_4)
	v_bitop3_b16 v180, v179, v0, 0xff bitop3:0xec
	v_sub_nc_u16 v0, v6, v94
	v_lshrrev_b32_e32 v94, 16, v3
	v_lshrrev_b16 v6, 8, v3
	v_perm_b32 v179, v180, v179, 0xc0c0500
	s_delay_alu instid0(VALU_DEP_4) | instskip(SKIP_1) | instid1(VALU_DEP_2)
	v_lshlrev_b16 v182, 8, v0
	v_ashrrev_i32_e32 v0, s22, v1
	v_bfe_i32 v182, v182, 8, 8
	s_delay_alu instid0(VALU_DEP_2) | instskip(SKIP_1) | instid1(VALU_DEP_2)
	v_and_b32_e32 v1, 0x3030303, v0
	v_bfe_u32 v0, v0, 24, 2
	v_lshrrev_b32_e32 v5, 16, v1
	s_delay_alu instid0(VALU_DEP_2) | instskip(SKIP_2) | instid1(VALU_DEP_4)
	v_sub_nc_u16 v0, v0, v7
	v_lshrrev_b16 v2, 8, v1
	v_sub_nc_u16 v186, v1, v3
	v_sub_nc_u16 v181, v5, v94
	s_delay_alu instid0(VALU_DEP_4) | instskip(NEXT) | instid1(VALU_DEP_3)
	v_lshlrev_b16 v0, 8, v0
	v_bfe_i32 v186, v186, 0, 8
	s_delay_alu instid0(VALU_DEP_2)
	v_bitop3_b16 v183, v181, v0, 0xff bitop3:0xec
	v_sub_nc_u16 v0, v2, v6
	ds_load_2addr_b32 v[2:3], v93 offset0:6 offset1:7
	v_lshlrev_b16 v184, 8, v0
	v_add_nc_u32_e32 v0, 0x1098, v4
	ds_load_2addr_b32 v[0:1], v0 offset1:1
	s_wait_dscnt 0x1
	v_dual_ashrrev_i32 v2, s20, v2 :: v_dual_ashrrev_i32 v3, s20, v3
	s_delay_alu instid0(VALU_DEP_1) | instskip(SKIP_2) | instid1(VALU_DEP_2)
	v_dual_lshlrev_b32 v2, 2, v2 :: v_dual_lshlrev_b32 v3, 2, v3
	s_wait_dscnt 0x0
	v_ashrrev_i32_e32 v0, s22, v0
	v_and_b32_e32 v2, 0x4040404, v2
	s_delay_alu instid0(VALU_DEP_3) | instskip(NEXT) | instid1(VALU_DEP_3)
	v_and_b32_e32 v3, 0x4040404, v3
	v_and_b32_e32 v5, 0x3030303, v0
	v_bfe_u32 v0, v0, 24, 2
	s_delay_alu instid0(VALU_DEP_4) | instskip(SKIP_1) | instid1(VALU_DEP_4)
	v_dual_lshrrev_b32 v93, 16, v2 :: v_dual_lshrrev_b32 v95, 24, v2
	v_lshrrev_b16 v94, 8, v2
	v_lshrrev_b32_e32 v6, 16, v5
	v_lshrrev_b16 v7, 8, v5
	v_sub_nc_u16 v190, v5, v2
	v_sub_nc_u16 v0, v0, v95
	s_delay_alu instid0(VALU_DEP_4) | instskip(SKIP_2) | instid1(VALU_DEP_4)
	v_sub_nc_u16 v196, v6, v93
	v_lshrrev_b32_e32 v93, 16, v3
	v_lshrrev_b16 v6, 8, v3
	v_lshlrev_b16 v145, 8, v0
	v_sub_nc_u16 v0, v7, v94
	v_lshrrev_b32_e32 v7, 24, v3
	v_add3_u32 v94, s23, v101, v102
	v_bfe_i32 v196, v196, 0, 8
	v_bfe_i32 v190, v190, 0, 8
	v_lshlrev_b16 v189, 8, v0
	v_ashrrev_i32_e32 v0, s22, v1
	s_delay_alu instid0(VALU_DEP_4) | instskip(NEXT) | instid1(VALU_DEP_3)
	v_perm_b32 v170, v196, v170, 0x5040100
	v_bfe_i32 v189, v189, 8, 8
	s_delay_alu instid0(VALU_DEP_3) | instskip(SKIP_1) | instid1(VALU_DEP_2)
	v_and_b32_e32 v1, 0x3030303, v0
	v_bfe_u32 v0, v0, 24, 2
	v_lshrrev_b32_e32 v5, 16, v1
	s_delay_alu instid0(VALU_DEP_2) | instskip(SKIP_2) | instid1(VALU_DEP_4)
	v_sub_nc_u16 v0, v0, v7
	v_lshrrev_b16 v2, 8, v1
	v_sub_nc_u16 v149, v1, v3
	v_sub_nc_u16 v146, v5, v93
	s_delay_alu instid0(VALU_DEP_4) | instskip(NEXT) | instid1(VALU_DEP_3)
	v_lshlrev_b16 v0, 8, v0
	v_bfe_i32 v149, v149, 0, 8
	s_delay_alu instid0(VALU_DEP_2)
	v_bitop3_b16 v147, v146, v0, 0xff bitop3:0xec
	v_sub_nc_u16 v0, v2, v6
	ds_load_2addr_b32 v[2:3], v94 offset1:1
	v_lshlrev_b16 v148, 8, v0
	v_add3_u32 v0, s25, v99, v100
	ds_load_b32 v93, v0
	v_add_nc_u32_e32 v0, 0x2100, v4
	ds_load_2addr_b32 v[0:1], v0 offset1:1
	s_wait_dscnt 0x2
	v_dual_ashrrev_i32 v2, s20, v2 :: v_dual_ashrrev_i32 v3, s20, v3
	s_delay_alu instid0(VALU_DEP_1) | instskip(NEXT) | instid1(VALU_DEP_1)
	v_dual_lshlrev_b32 v2, 2, v2 :: v_dual_lshlrev_b32 v3, 2, v3
	v_and_b32_e32 v2, 0x4040404, v2
	s_delay_alu instid0(VALU_DEP_2) | instskip(NEXT) | instid1(VALU_DEP_2)
	v_and_b32_e32 v3, 0x4040404, v3
	v_dual_lshrrev_b32 v128, 24, v2 :: v_dual_lshrrev_b32 v155, 16, v2
	s_wait_dscnt 0x0
	v_ashrrev_i32_e32 v0, s22, v0
	v_lshrrev_b16 v95, 8, v2
	s_delay_alu instid0(VALU_DEP_2) | instskip(SKIP_1) | instid1(VALU_DEP_2)
	v_and_b32_e32 v5, 0x3030303, v0
	v_bfe_u32 v0, v0, 24, 2
	v_dual_add_nc_u32 v150, s24, v47 :: v_dual_lshrrev_b32 v7, 16, v5
	s_delay_alu instid0(VALU_DEP_2)
	v_sub_nc_u16 v0, v0, v128
	v_lshrrev_b16 v6, 8, v5
	v_lshrrev_b32_e32 v128, 24, v3
	v_sub_nc_u16 v5, v5, v2
	v_sub_nc_u16 v201, v7, v155
	v_lshlrev_b16 v0, 8, v0
	v_lshrrev_b32_e32 v155, 16, v3
	s_delay_alu instid0(VALU_DEP_4) | instskip(NEXT) | instid1(VALU_DEP_3)
	v_bfe_i32 v224, v5, 0, 8
	v_bitop3_b16 v202, v201, v0, 0xff bitop3:0xec
	v_sub_nc_u16 v0, v6, v95
	v_lshrrev_b16 v95, 8, v3
	s_delay_alu instid0(VALU_DEP_3) | instskip(NEXT) | instid1(VALU_DEP_3)
	v_perm_b32 v201, v202, v201, 0xc0c0500
	v_lshlrev_b16 v6, 8, v0
	v_ashrrev_i32_e32 v0, s22, v1
	s_delay_alu instid0(VALU_DEP_2) | instskip(NEXT) | instid1(VALU_DEP_2)
	v_bfe_i32 v225, v6, 8, 8
	v_and_b32_e32 v1, 0x3030303, v0
	v_bfe_u32 v0, v0, 24, 2
	s_delay_alu instid0(VALU_DEP_2) | instskip(NEXT) | instid1(VALU_DEP_2)
	v_lshrrev_b32_e32 v7, 16, v1
	v_sub_nc_u16 v0, v0, v128
	v_lshrrev_b16 v2, 8, v1
	s_delay_alu instid0(VALU_DEP_3) | instskip(NEXT) | instid1(VALU_DEP_3)
	v_sub_nc_u16 v203, v7, v155
	v_lshlrev_b16 v0, 8, v0
	v_sub_nc_u16 v7, v1, v3
	s_delay_alu instid0(VALU_DEP_2)
	v_bitop3_b16 v204, v203, v0, 0xff bitop3:0xec
	v_sub_nc_u16 v0, v2, v95
	ds_load_2addr_b32 v[2:3], v94 offset0:2 offset1:3
	v_bfe_i32 v226, v7, 0, 8
	v_perm_b32 v203, v204, v203, 0xc05000c
	v_lshlrev_b16 v205, 8, v0
	v_add_nc_u32_e32 v0, 0x2108, v4
	s_delay_alu instid0(VALU_DEP_2) | instskip(SKIP_3) | instid1(VALU_DEP_1)
	v_perm_b32 v204, v205, v205, 0xc0c0c01
	ds_load_2addr_b32 v[0:1], v0 offset1:1
	s_wait_dscnt 0x1
	v_dual_ashrrev_i32 v2, s20, v2 :: v_dual_bitop2_b32 v203, v203, v204 bitop3:0x54
	v_dual_ashrrev_i32 v3, s20, v3 :: v_dual_lshlrev_b32 v2, 2, v2
	s_wait_dscnt 0x0
	s_delay_alu instid0(VALU_DEP_1) | instskip(NEXT) | instid1(VALU_DEP_2)
	v_dual_lshlrev_b32 v3, 2, v3 :: v_dual_ashrrev_i32 v0, s22, v0
	v_and_b32_e32 v2, 0x4040404, v2
	s_delay_alu instid0(VALU_DEP_2) | instskip(NEXT) | instid1(VALU_DEP_3)
	v_and_b32_e32 v3, 0x4040404, v3
	v_and_b32_e32 v95, 0x3030303, v0
	v_bfe_u32 v0, v0, 24, 2
	s_delay_alu instid0(VALU_DEP_4) | instskip(SKIP_1) | instid1(VALU_DEP_4)
	v_dual_lshrrev_b32 v157, 24, v2 :: v_dual_lshrrev_b32 v173, 16, v2
	v_lshrrev_b16 v156, 8, v2
	v_lshrrev_b32_e32 v155, 16, v95
	v_lshrrev_b16 v128, 8, v95
	s_delay_alu instid0(VALU_DEP_4) | instskip(SKIP_1) | instid1(VALU_DEP_4)
	v_sub_nc_u16 v0, v0, v157
	v_sub_nc_u16 v209, v95, v2
	;; [unrolled: 1-line block ×3, first 2 shown]
	v_lshrrev_b32_e32 v155, 24, v3
	s_delay_alu instid0(VALU_DEP_4) | instskip(NEXT) | instid1(VALU_DEP_4)
	v_lshlrev_b16 v0, 8, v0
	v_bfe_i32 v200, v209, 0, 8
	v_bfe_i32 v209, v167, 8, 8
	;; [unrolled: 1-line block ×3, first 2 shown]
	s_delay_alu instid0(VALU_DEP_4) | instskip(SKIP_3) | instid1(VALU_DEP_3)
	v_bitop3_b16 v207, v206, v0, 0xff bitop3:0xec
	v_sub_nc_u16 v0, v128, v156
	v_lshrrev_b32_e32 v156, 16, v3
	v_lshrrev_b16 v128, 8, v3
	v_lshlrev_b16 v208, 8, v0
	v_ashrrev_i32_e32 v0, s22, v1
	s_delay_alu instid0(VALU_DEP_1) | instskip(NEXT) | instid1(VALU_DEP_1)
	v_and_b32_e32 v1, 0x3030303, v0
	v_lshrrev_b32_e32 v95, 16, v1
	v_bfe_u32 v0, v0, 24, 2
	v_lshrrev_b16 v2, 8, v1
	v_sub_nc_u16 v213, v1, v3
	s_delay_alu instid0(VALU_DEP_4) | instskip(NEXT) | instid1(VALU_DEP_4)
	v_sub_nc_u16 v210, v95, v156
	v_sub_nc_u16 v0, v0, v155
	s_delay_alu instid0(VALU_DEP_1) | instskip(NEXT) | instid1(VALU_DEP_1)
	v_lshlrev_b16 v0, 8, v0
	v_bitop3_b16 v211, v210, v0, 0xff bitop3:0xec
	v_sub_nc_u16 v0, v2, v128
	ds_load_2addr_b32 v[2:3], v94 offset0:4 offset1:5
	v_lshlrev_b16 v212, 8, v0
	v_add_nc_u32_e32 v0, 0x2110, v4
	s_delay_alu instid0(VALU_DEP_2) | instskip(SKIP_3) | instid1(VALU_DEP_1)
	v_perm_b32 v188, v212, v212, 0xc0c0c01
	ds_load_2addr_b32 v[0:1], v0 offset1:1
	s_wait_dscnt 0x1
	v_dual_ashrrev_i32 v2, s20, v2 :: v_dual_ashrrev_i32 v3, s20, v3
	v_dual_lshlrev_b32 v2, 2, v2 :: v_dual_lshlrev_b32 v3, 2, v3
	s_wait_dscnt 0x0
	v_ashrrev_i32_e32 v0, s22, v0
	s_delay_alu instid0(VALU_DEP_2) | instskip(NEXT) | instid1(VALU_DEP_3)
	v_and_b32_e32 v2, 0x4040404, v2
	v_and_b32_e32 v3, 0x4040404, v3
	s_delay_alu instid0(VALU_DEP_3) | instskip(SKIP_1) | instid1(VALU_DEP_4)
	v_and_b32_e32 v95, 0x3030303, v0
	v_bfe_u32 v0, v0, 24, 2
	v_dual_lshrrev_b32 v157, 24, v2 :: v_dual_lshrrev_b32 v173, 16, v2
	v_lshrrev_b16 v156, 8, v2
	s_delay_alu instid0(VALU_DEP_4) | instskip(SKIP_1) | instid1(VALU_DEP_4)
	v_lshrrev_b32_e32 v155, 16, v95
	v_lshrrev_b16 v128, 8, v95
	v_sub_nc_u16 v0, v0, v157
	v_lshrrev_b32_e32 v157, 24, v3
	v_sub_nc_u16 v95, v95, v2
	v_sub_nc_u16 v214, v155, v173
	v_lshrrev_b32_e32 v173, 16, v3
	v_lshlrev_b16 v0, 8, v0
	s_delay_alu instid0(VALU_DEP_4) | instskip(SKIP_1) | instid1(VALU_DEP_3)
	v_bfe_i32 v228, v95, 0, 8
	v_add3_u32 v95, s23, v105, v106
	v_bitop3_b16 v215, v214, v0, 0xff bitop3:0xec
	v_sub_nc_u16 v0, v128, v156
	v_lshrrev_b16 v156, 8, v3
	s_delay_alu instid0(VALU_DEP_2) | instskip(SKIP_1) | instid1(VALU_DEP_2)
	v_lshlrev_b16 v128, 8, v0
	v_ashrrev_i32_e32 v0, s22, v1
	v_bfe_i32 v229, v128, 8, 8
	s_delay_alu instid0(VALU_DEP_2) | instskip(NEXT) | instid1(VALU_DEP_1)
	v_and_b32_e32 v1, 0x3030303, v0
	v_lshrrev_b32_e32 v155, 16, v1
	v_bfe_u32 v0, v0, 24, 2
	v_lshrrev_b16 v2, 8, v1
	s_delay_alu instid0(VALU_DEP_3) | instskip(NEXT) | instid1(VALU_DEP_3)
	v_sub_nc_u16 v216, v155, v173
	v_sub_nc_u16 v0, v0, v157
	;; [unrolled: 1-line block ×3, first 2 shown]
	s_delay_alu instid0(VALU_DEP_2) | instskip(NEXT) | instid1(VALU_DEP_2)
	v_lshlrev_b16 v0, 8, v0
	v_bfe_i32 v230, v173, 0, 8
	s_delay_alu instid0(VALU_DEP_2)
	v_bitop3_b16 v217, v216, v0, 0xff bitop3:0xec
	v_sub_nc_u16 v0, v2, v156
	ds_load_2addr_b32 v[2:3], v94 offset0:6 offset1:7
	v_lshlrev_b16 v218, 8, v0
	v_add_nc_u32_e32 v0, 0x2118, v4
	ds_load_2addr_b32 v[0:1], v0 offset1:1
	s_wait_dscnt 0x1
	v_dual_ashrrev_i32 v2, s20, v2 :: v_dual_ashrrev_i32 v3, s20, v3
	s_delay_alu instid0(VALU_DEP_1) | instskip(SKIP_2) | instid1(VALU_DEP_2)
	v_dual_lshlrev_b32 v2, 2, v2 :: v_dual_lshlrev_b32 v3, 2, v3
	s_wait_dscnt 0x0
	v_ashrrev_i32_e32 v0, s22, v0
	v_and_b32_e32 v2, 0x4040404, v2
	s_delay_alu instid0(VALU_DEP_3) | instskip(NEXT) | instid1(VALU_DEP_3)
	v_and_b32_e32 v3, 0x4040404, v3
	v_and_b32_e32 v155, 0x3030303, v0
	v_bfe_u32 v0, v0, 24, 2
	s_delay_alu instid0(VALU_DEP_4) | instskip(SKIP_1) | instid1(VALU_DEP_4)
	v_dual_lshrrev_b32 v175, 24, v2 :: v_dual_lshrrev_b32 v176, 16, v2
	v_lshrrev_b16 v94, 8, v2
	v_lshrrev_b32_e32 v157, 16, v155
	v_lshrrev_b16 v156, 8, v155
	s_delay_alu instid0(VALU_DEP_4)
	v_sub_nc_u16 v0, v0, v175
	v_sub_nc_u16 v222, v155, v2
	v_lshrrev_b32_e32 v155, 16, v3
	v_sub_nc_u16 v219, v157, v176
	v_lshrrev_b16 v157, 8, v3
	v_lshlrev_b16 v0, 8, v0
	v_bfe_i32 v196, v222, 0, 8
	s_delay_alu instid0(VALU_DEP_2) | instskip(SKIP_2) | instid1(VALU_DEP_2)
	v_bitop3_b16 v220, v219, v0, 0xff bitop3:0xec
	v_sub_nc_u16 v0, v156, v94
	v_lshrrev_b32_e32 v156, 24, v3
	v_lshlrev_b16 v221, 8, v0
	v_ashrrev_i32_e32 v0, s22, v1
	s_delay_alu instid0(VALU_DEP_1) | instskip(NEXT) | instid1(VALU_DEP_1)
	v_and_b32_e32 v1, 0x3030303, v0
	v_lshrrev_b32_e32 v94, 16, v1
	v_bfe_u32 v0, v0, 24, 2
	v_lshrrev_b16 v2, 8, v1
	v_sub_nc_u16 v223, v1, v3
	v_add3_u32 v1, s25, v103, v104
	v_sub_nc_u16 v155, v94, v155
	v_sub_nc_u16 v0, v0, v156
	ds_load_b32 v94, v1
	v_lshlrev_b16 v0, 8, v0
	s_delay_alu instid0(VALU_DEP_1)
	v_bitop3_b16 v156, v155, v0, 0xff bitop3:0xec
	v_sub_nc_u16 v0, v2, v157
	ds_load_2addr_b32 v[2:3], v95 offset1:1
	v_lshlrev_b16 v157, 8, v0
	v_add_nc_u32_e32 v0, s24, v45
	ds_load_u16 v0, v0 offset:27378
	s_wait_dscnt 0x1
	v_dual_ashrrev_i32 v2, s20, v2 :: v_dual_ashrrev_i32 v3, s20, v3
	s_delay_alu instid0(VALU_DEP_1)
	v_lshlrev_b32_e32 v3, 2, v3
	s_wait_dscnt 0x0
	v_lshrrev_b16 v1, 8, v0
	v_bfe_i32 v227, v0, 0, 8
	v_add_nc_u32_e32 v0, 0x3180, v4
	v_and_b32_e32 v3, 0x4040404, v3
	s_delay_alu instid0(VALU_DEP_4) | instskip(SKIP_2) | instid1(VALU_DEP_1)
	v_bfe_i32 v128, v1, 0, 8
	ds_load_2addr_b32 v[0:1], v0 offset1:1
	v_lshlrev_b32_e32 v2, 2, v2
	v_and_b32_e32 v2, 0x4040404, v2
	s_delay_alu instid0(VALU_DEP_1) | instskip(SKIP_3) | instid1(VALU_DEP_1)
	v_dual_lshrrev_b32 v173, 16, v2 :: v_dual_lshrrev_b32 v175, 24, v2
	v_lshrrev_b16 v176, 8, v2
	s_wait_dscnt 0x0
	v_ashrrev_i32_e32 v0, s22, v0
	v_and_b32_e32 v5, 0x3030303, v0
	v_bfe_u32 v0, v0, 24, 2
	s_delay_alu instid0(VALU_DEP_2) | instskip(NEXT) | instid1(VALU_DEP_2)
	v_lshrrev_b32_e32 v6, 16, v5
	v_sub_nc_u16 v232, v0, v175
	v_ashrrev_i32_e32 v0, s22, v1
	v_sub_nc_u16 v234, v5, v2
	v_lshrrev_b16 v7, 8, v5
	v_sub_nc_u16 v233, v6, v173
	v_lshrrev_b32_e32 v6, 24, v3
	v_bfe_u32 v1, v0, 24, 2
	v_and_b32_e32 v0, 0x3030303, v0
	v_sub_nc_u16 v231, v7, v176
	v_lshrrev_b32_e32 v7, 16, v3
	v_lshrrev_b16 v173, 8, v3
	v_sub_nc_u16 v238, v1, v6
	v_lshrrev_b32_e32 v2, 16, v0
	v_lshrrev_b16 v5, 8, v0
	v_sub_nc_u16 v235, v0, v3
	v_add_nc_u32_e32 v0, 0x3188, v4
	v_bfe_i32 v232, v232, 0, 16
	v_sub_nc_u16 v237, v2, v7
	ds_load_2addr_b32 v[2:3], v95 offset0:2 offset1:3
	v_sub_nc_u16 v236, v5, v173
	ds_load_2addr_b32 v[0:1], v0 offset1:1
	v_bfe_i32 v231, v231, 0, 16
	v_bfe_i32 v205, v237, 0, 8
	;; [unrolled: 1-line block ×3, first 2 shown]
	s_wait_dscnt 0x1
	v_dual_ashrrev_i32 v2, s20, v2 :: v_dual_ashrrev_i32 v3, s20, v3
	s_wait_dscnt 0x0
	s_delay_alu instid0(VALU_DEP_1) | instskip(NEXT) | instid1(VALU_DEP_2)
	v_dual_ashrrev_i32 v0, s22, v0 :: v_dual_lshlrev_b32 v2, 2, v2
	v_lshlrev_b32_e32 v3, 2, v3
	s_delay_alu instid0(VALU_DEP_2) | instskip(SKIP_1) | instid1(VALU_DEP_4)
	v_bfe_u32 v5, v0, 24, 2
	v_and_b32_e32 v0, 0x3030303, v0
	v_and_b32_e32 v2, 0x4040404, v2
	s_delay_alu instid0(VALU_DEP_4) | instskip(NEXT) | instid1(VALU_DEP_3)
	v_and_b32_e32 v3, 0x4040404, v3
	v_lshrrev_b32_e32 v6, 16, v0
	v_lshrrev_b16 v7, 8, v0
	s_delay_alu instid0(VALU_DEP_4) | instskip(SKIP_3) | instid1(VALU_DEP_3)
	v_sub_nc_u16 v239, v0, v2
	v_dual_ashrrev_i32 v0, s22, v1 :: v_dual_lshrrev_b32 v173, 24, v2
	v_lshrrev_b32_e32 v175, 16, v2
	v_lshrrev_b16 v176, 8, v2
	v_bfe_u32 v1, v0, 24, 2
	v_and_b32_e32 v0, 0x3030303, v0
	s_delay_alu instid0(VALU_DEP_4)
	v_sub_nc_u16 v241, v6, v175
	v_sub_nc_u16 v242, v5, v173
	v_lshrrev_b32_e32 v6, 24, v3
	v_sub_nc_u16 v240, v7, v176
	v_lshrrev_b32_e32 v2, 16, v0
	v_lshrrev_b16 v5, 8, v0
	v_sub_nc_u16 v243, v0, v3
	v_add_nc_u32_e32 v0, 0x3190, v4
	v_lshrrev_b32_e32 v7, 16, v3
	v_sub_nc_u16 v246, v1, v6
	v_lshrrev_b16 v173, 8, v3
	ds_load_2addr_b32 v[0:1], v0 offset1:1
	v_sub_nc_u16 v245, v2, v7
	ds_load_2addr_b32 v[2:3], v95 offset0:4 offset1:5
	v_sub_nc_u16 v244, v5, v173
	s_wait_dscnt 0x0
	v_dual_ashrrev_i32 v0, s22, v0 :: v_dual_ashrrev_i32 v2, s20, v2
	v_ashrrev_i32_e32 v3, s20, v3
	s_delay_alu instid0(VALU_DEP_2) | instskip(SKIP_1) | instid1(VALU_DEP_3)
	v_and_b32_e32 v5, 0x3030303, v0
	v_bfe_u32 v0, v0, 24, 2
	v_dual_lshlrev_b32 v2, 2, v2 :: v_dual_lshlrev_b32 v3, 2, v3
	s_delay_alu instid0(VALU_DEP_3) | instskip(SKIP_1) | instid1(VALU_DEP_3)
	v_lshrrev_b32_e32 v6, 16, v5
	v_lshrrev_b16 v7, 8, v5
	v_and_b32_e32 v2, 0x4040404, v2
	s_delay_alu instid0(VALU_DEP_4) | instskip(NEXT) | instid1(VALU_DEP_2)
	v_and_b32_e32 v3, 0x4040404, v3
	v_dual_lshrrev_b32 v173, 16, v2 :: v_dual_lshrrev_b32 v175, 24, v2
	v_lshrrev_b16 v176, 8, v2
	v_sub_nc_u16 v250, v5, v2
	s_delay_alu instid0(VALU_DEP_3) | instskip(NEXT) | instid1(VALU_DEP_4)
	v_sub_nc_u16 v249, v6, v173
	v_sub_nc_u16 v248, v0, v175
	v_dual_ashrrev_i32 v0, s22, v1 :: v_dual_lshrrev_b32 v6, 24, v3
	v_sub_nc_u16 v247, v7, v176
	v_lshrrev_b32_e32 v7, 16, v3
	v_lshrrev_b16 v173, 8, v3
	s_delay_alu instid0(VALU_DEP_4) | instskip(SKIP_2) | instid1(VALU_DEP_3)
	v_bfe_u32 v1, v0, 24, 2
	v_and_b32_e32 v0, 0x3030303, v0
	v_bfe_i32 v194, v249, 0, 8
	v_sub_nc_u16 v254, v1, v6
	s_delay_alu instid0(VALU_DEP_3) | instskip(SKIP_3) | instid1(VALU_DEP_4)
	v_lshrrev_b32_e32 v2, 16, v0
	v_lshrrev_b16 v5, 8, v0
	v_sub_nc_u16 v251, v0, v3
	v_add_nc_u32_e32 v0, 0x3198, v4
	v_sub_nc_u16 v253, v2, v7
	ds_load_2addr_b32 v[2:3], v95 offset0:6 offset1:7
	v_sub_nc_u16 v252, v5, v173
	ds_load_2addr_b32 v[0:1], v0 offset1:1
	s_wait_dscnt 0x1
	v_dual_ashrrev_i32 v2, s20, v2 :: v_dual_ashrrev_i32 v3, s20, v3
	s_wait_dscnt 0x0
	v_ashrrev_i32_e32 v0, s22, v0
	s_add_co_i32 s20, s20, 1
	s_cmp_lt_u32 s21, 22
	v_dual_lshlrev_b32 v2, 2, v2 :: v_dual_lshlrev_b32 v3, 2, v3
	s_delay_alu instid0(VALU_DEP_2) | instskip(SKIP_1) | instid1(VALU_DEP_3)
	v_bfe_u32 v4, v0, 24, 2
	v_and_b32_e32 v0, 0x3030303, v0
	v_and_b32_e32 v2, 0x4040404, v2
	s_delay_alu instid0(VALU_DEP_4) | instskip(NEXT) | instid1(VALU_DEP_3)
	v_and_b32_e32 v3, 0x4040404, v3
	v_lshrrev_b32_e32 v5, 16, v0
	v_lshrrev_b16 v6, 8, v0
	s_delay_alu instid0(VALU_DEP_4) | instskip(SKIP_3) | instid1(VALU_DEP_3)
	v_sub_nc_u16 v255, v0, v2
	v_dual_ashrrev_i32 v0, s22, v1 :: v_dual_lshrrev_b32 v7, 24, v2
	v_lshrrev_b32_e32 v95, 16, v2
	v_lshrrev_b16 v173, 8, v2
	v_bfe_u32 v1, v0, 24, 2
	v_and_b32_e32 v0, 0x3030303, v0
	s_set_vgpr_msb 64                       ;  msbs: dst=1 src0=0 src1=0 src2=0
	v_sub_nc_u16 v1 /*v257*/, v5, v95
	v_sub_nc_u16 v0 /*v256*/, v6, v173
	;; [unrolled: 1-line block ×3, first 2 shown]
	s_set_vgpr_msb 0                        ;  msbs: dst=0 src0=0 src1=0 src2=0
	v_dual_lshrrev_b32 v5, 24, v3 :: v_dual_lshrrev_b32 v6, 16, v3
	v_lshrrev_b32_e32 v2, 16, v0
	v_lshrrev_b16 v4, 8, v0
	v_lshrrev_b16 v7, 8, v3
	v_sub_nc_u16 v175, v0, v3
	v_add3_u32 v0, s25, v107, v108
	v_sub_nc_u16 v177, v2, v6
	v_sub_nc_u16 v178, v1, v5
	;; [unrolled: 1-line block ×3, first 2 shown]
	ds_load_b32 v95, v0
	ds_load_b128 v[4:7], v89
	ds_load_b128 v[0:3], v89 offset:16
	v_dual_add_nc_u32 v173, s24, v43 :: v_dual_bitop2_b32 v165, v166, v165 bitop3:0x54
	v_perm_b32 v166, v208, v208, 0xc0c0c01
	v_add_nc_u32_e32 v89, 32, v89
	ds_load_u16 v139, v139 offset:25330
	ds_load_u16 v150, v150 offset:26354
	s_mov_b32 s24, s21
	s_wait_dscnt 0x3
	s_set_vgpr_msb 64                       ;  msbs: dst=1 src0=0 src1=0 src2=0
	v_lshrrev_b16 v3 /*v259*/, 8, v4
	v_bfe_i32 v9 /*v265*/, v4, 0, 8
	s_set_vgpr_msb 0                        ;  msbs: dst=0 src0=0 src1=0 src2=0
	v_perm_b32 v202, v4, v4, 0xc0c0302
	s_set_vgpr_msb 64                       ;  msbs: dst=1 src0=0 src1=0 src2=0
	v_bfe_i32 v10 /*v266*/, v5, 0, 8
	s_set_vgpr_msb 0                        ;  msbs: dst=0 src0=0 src1=0 src2=0
	v_perm_b32 v204, v5, v5, 0xc030201
	s_set_vgpr_msb 0x41                     ;  msbs: dst=1 src0=1 src1=0 src2=0
	v_bfe_i32 v3 /*v259*/, v3 /*v259*/, 0, 8
	s_set_vgpr_msb 1                        ;  msbs: dst=0 src0=1 src1=0 src2=0
	v_mul_i32_i24_e32 v224, v9 /*v265*/, v224
	s_set_vgpr_msb 64                       ;  msbs: dst=1 src0=0 src1=0 src2=0
	v_lshrrev_b16 v4 /*v260*/, 8, v5
	v_ashrrev_i32_e32 v7 /*v263*/, 24, v4
	v_bfe_i32 v8 /*v264*/, v4, 16, 8
	s_set_vgpr_msb 1                        ;  msbs: dst=0 src0=1 src1=0 src2=0
	v_mul_i32_i24_e32 v209, v3 /*v259*/, v209
	v_mad_i32_i24 v224, v3 /*v259*/, v225, v224
	s_set_vgpr_msb 0                        ;  msbs: dst=0 src0=0 src1=0 src2=0
	v_bfe_i32 v225, v233, 0, 8
	v_ashrrev_i32_e32 v233, 24, v5
	s_set_vgpr_msb 1                        ;  msbs: dst=0 src0=1 src1=0 src2=0
	v_mul_i32_i24_e32 v195, v9 /*v265*/, v195
	v_mad_i32_i24 v167, v9 /*v265*/, v167, v209
	s_set_vgpr_msb 0                        ;  msbs: dst=0 src0=0 src1=0 src2=0
	v_dot4_i32_iu8 v201, v202, v201, v224 neg_lo:[1,1,0]
	v_perm_b32 v4, v5, v4, 0x5040302
	v_bfe_i32 v224, v234, 0, 8
	s_set_vgpr_msb 1                        ;  msbs: dst=0 src0=1 src1=0 src2=0
	v_bfe_i32 v234, v4 /*v260*/, 0, 8
	s_set_vgpr_msb 64                       ;  msbs: dst=1 src0=0 src1=0 src2=0
	v_bfe_i32 v4 /*v260*/, v5, 16, 8
	s_set_vgpr_msb 1                        ;  msbs: dst=0 src0=1 src1=0 src2=0
	v_mad_i32_i24 v201, v10 /*v266*/, v226, v201
	v_mad_i32_i24 v192, v3 /*v259*/, v192, v195
	s_set_vgpr_msb 0                        ;  msbs: dst=0 src0=0 src1=0 src2=0
	v_perm_b32 v5, v6, v5, 0x5040302
	s_set_vgpr_msb 64                       ;  msbs: dst=1 src0=0 src1=0 src2=0
	v_lshrrev_b16 v5 /*v261*/, 8, v6
	s_set_vgpr_msb 0                        ;  msbs: dst=0 src0=0 src1=0 src2=0
	v_bfe_i32 v226, v236, 0, 16
	v_dot4_i32_iu8 v201, v204, v203, v201 neg_lo:[1,1,0]
	v_bfe_i32 v203, v238, 0, 16
	v_bfe_i32 v236, v6, 0, 8
	v_dot4_i32_iu8 v187, v202, v187, v192 neg_lo:[1,1,0]
	v_mul_i32_i24_e32 v226, v226, v234
	s_set_vgpr_msb 1                        ;  msbs: dst=0 src0=1 src1=0 src2=0
	v_bfe_i32 v234, v5 /*v261*/, 0, 8
	s_set_vgpr_msb 0                        ;  msbs: dst=0 src0=0 src1=0 src2=0
	v_mul_i32_i24_e32 v203, v203, v233
	v_ashrrev_i32_e32 v233, 24, v6
	v_bfe_i32 v237, v6, 16, 8
	s_set_vgpr_msb 1                        ;  msbs: dst=0 src0=1 src1=0 src2=0
	v_mad_i32_i24 v187, v10 /*v266*/, v197, v187
	s_set_vgpr_msb 0                        ;  msbs: dst=0 src0=0 src1=0 src2=0
	v_perm_b32 v6, v6, v6, 0xc030201
	v_bfe_i32 v172, v7, 0, 8
	s_set_vgpr_msb 64                       ;  msbs: dst=1 src0=0 src1=0 src2=0
	v_lshrrev_b16 v6 /*v262*/, 8, v7
	s_set_vgpr_msb 4                        ;  msbs: dst=0 src0=0 src1=1 src2=0
	v_mul_i32_i24_e32 v231, v231, v3 /*v259*/
	v_mul_i32_i24_e32 v235, v235, v10 /*v266*/
	;; [unrolled: 1-line block ×3, first 2 shown]
	v_bfe_i32 v171, v7, 16, 8
	s_set_vgpr_msb 1                        ;  msbs: dst=0 src0=1 src1=0 src2=0
	v_bfe_i32 v169, v6 /*v262*/, 0, 8
	s_set_vgpr_msb 0                        ;  msbs: dst=0 src0=0 src1=0 src2=0
	v_bfe_i32 v192, v244, 0, 16
	v_bfe_i32 v197, v247, 0, 16
	v_pk_mul_lo_u16 v174, v174, v237 op_sel_hi:[1,0]
	v_perm_b32 v202, v218, v218, 0xc0c0c01
	v_or_b32_e32 v151, v152, v151
	v_mul_i32_i24_e32 v169, v192, v169
	s_set_vgpr_msb 4                        ;  msbs: dst=0 src0=0 src1=1 src2=0
	v_mad_i32_i24 v192, v224, v9 /*v265*/, v235
	s_set_vgpr_msb 0                        ;  msbs: dst=0 src0=0 src1=0 src2=0
	v_perm_b32 v152, v184, v184, 0xc0c0c01
	s_wait_dscnt 0x2
	v_bfe_i32 v160, v3, 16, 8
	v_bfe_i32 v195, v248, 0, 16
	v_mul_i32_i24_e32 v144, v172, v144
	v_dot4_i32_iu8 v4, v4, v163, v167 neg_lo:[1,1,0]
	v_perm_b32 v163, v193, v191, 0xc05000c
	v_bfe_i32 v167, v239, 0, 8
	v_bfe_i32 v191, v245, 0, 8
	;; [unrolled: 1-line block ×3, first 2 shown]
	v_mul_i32_i24_e32 v129, v233, v129
	v_mul_i32_i24_e32 v140, v233, v140
	v_dot4_i32_iu8 v165, v5, v165, v4 neg_lo:[1,1,0]
	v_perm_b32 v5, v207, v206, 0xc05000c
	v_dual_ashrrev_i32 v168, 24, v7 :: v_dual_bitop2_b32 v163, v163, v164 bitop3:0x54
	v_mad_i32_i24 v4, v236, v200, v201
	v_mul_i32_i24_e32 v164, v234, v198
	v_mul_i32_i24_e32 v167, v167, v236
	;; [unrolled: 1-line block ×4, first 2 shown]
	s_set_vgpr_msb 4                        ;  msbs: dst=0 src0=0 src1=1 src2=0
	v_mad_i32_i24 v191, v225, v8 /*v264*/, v205
	v_bfe_i32 v206, v158, 8, 8
	v_bfe_i32 v158, v158, 0, 8
	;; [unrolled: 1-line block ×3, first 2 shown]
	s_set_vgpr_msb 0                        ;  msbs: dst=0 src0=0 src1=0 src2=0
	v_perm_b32 v201, v217, v216, 0xc05000c
	v_bfe_i32 v205, v251, 0, 8
	v_dual_ashrrev_i32 v198, 24, v1 :: v_dual_bitop2_b32 v5, v5, v166 bitop3:0x54
	v_dot4_i32_iu8 v163, v204, v163, v187 neg_lo:[1,1,0]
	v_bfe_i32 v187, v213, 0, 8
	v_bfe_i32 v166, v240, 0, 16
	v_add3_u32 v167, v192, v167, v193
	v_perm_b32 v192, v215, v214, 0xc0c0500
	v_perm_b32 v193, v0, v0, 0xc0c0302
	v_bfe_i32 v204, v252, 0, 16
	v_or_b32_e32 v201, v201, v202
	v_perm_b32 v202, v1, v1, 0xc030201
	v_mul_i32_i24_e32 v205, v205, v200
	v_dot4_i32_iu8 v4, v6, v5, v4 neg_lo:[1,1,0]
	v_bfe_i32 v5, v242, 0, 16
	v_bfe_i32 v6, v241, 0, 8
	v_mul_i32_i24_e32 v166, v166, v234
	v_mad_i32_i24 v163, v236, v199, v163
	v_bfe_i32 v199, v1, 16, 8
	v_mad_i32_i24 v4, v172, v187, v4
	v_perm_b32 v187, v211, v210, 0xc05000c
	v_mul_i32_i24_e32 v5, v5, v233
	v_mul_i32_i24_e32 v6, v6, v237
	v_add3_u32 v166, v231, v226, v166
	s_delay_alu instid0(VALU_DEP_4) | instskip(SKIP_1) | instid1(VALU_DEP_4)
	v_or_b32_e32 v187, v187, v188
	v_perm_b32 v188, v7, v7, 0xc030201
	v_add3_u32 v6, v191, v6, v171
	v_bfe_i32 v171, v0, 16, 8
	s_delay_alu instid0(VALU_DEP_3) | instskip(SKIP_1) | instid1(VALU_DEP_2)
	v_dot4_i32_iu8 v4, v188, v187, v4 neg_lo:[1,1,0]
	v_bfe_i32 v187, v246, 0, 16
	v_mul_lo_u32 v4, v4, v227
	s_delay_alu instid0(VALU_DEP_2) | instskip(SKIP_4) | instid1(VALU_DEP_2)
	v_mul_i32_i24_e32 v168, v187, v168
	s_set_vgpr_msb 4                        ;  msbs: dst=0 src0=0 src1=1 src2=0
	v_mad_i32_i24 v187, v232, v7 /*v263*/, v203
	v_bfe_i32 v203, v253, 0, 8
	s_set_vgpr_msb 0                        ;  msbs: dst=0 src0=0 src1=0 src2=0
	v_add3_u32 v5, v187, v5, v168
	v_bfe_i32 v187, v0, 0, 8
	s_delay_alu instid0(VALU_DEP_3)
	v_mul_i32_i24_e32 v199, v203, v199
	v_bfe_i32 v203, v2, 0, 8
	v_lshrrev_b16 v168, 8, v3
	v_add3_u32 v5, v166, v169, v5
	v_mul_i32_i24_e32 v191, v187, v228
	v_lshrrev_b16 v166, 8, v1
	v_mul_i32_i24_e32 v185, v187, v185
	v_ashrrev_i32_e32 v169, 24, v0
	v_bfe_i32 v159, v168, 0, 8
	v_mad_i32_i24 v134, v194, v171, v199
	v_add3_u32 v5, v167, v6, v5
	v_lshrrev_b16 v6, 8, v0
	v_bfe_i32 v166, v166, 0, 8
	v_perm_b32 v0, v1, v0, 0x5040302
	v_lshrrev_b16 v167, 8, v2
	v_perm_b32 v1, v2, v1, 0x5040302
	v_bfe_i32 v6, v6, 0, 8
	v_mul_i32_i24_e32 v166, v204, v166
	v_bfe_i32 v204, v2, 16, 8
	v_bfe_i32 v167, v167, 0, 8
	s_delay_alu instid0(VALU_DEP_4)
	v_mad_i32_i24 v191, v6, v229, v191
	v_mul_i32_i24_e32 v206, v6, v206
	v_mul_i32_i24_e32 v197, v197, v6
	v_mad_i32_i24 v6, v6, v182, v185
	v_pk_mul_lo_u16 v170, v170, v204 op_sel_hi:[1,0]
	v_dot4_i32_iu8 v191, v193, v192, v191 neg_lo:[1,1,0]
	v_mad_i32_i24 v158, v187, v158, v206
	v_bfe_i32 v192, v250, 0, 8
	v_dot4_i32_iu8 v6, v193, v179, v6 neg_lo:[1,1,0]
	v_bfe_i32 v179, v174, 0, 16
	v_ashrrev_i32_e32 v174, 16, v174
	v_bfe_i32 v132, v170, 0, 16
	v_mad_i32_i24 v191, v200, v230, v191
	v_dot4_i32_iu8 v0, v0, v151, v158 neg_lo:[1,1,0]
	v_perm_b32 v151, v183, v181, 0xc05000c
	v_mad_i32_i24 v6, v200, v186, v6
	v_ashrrev_i32_e32 v158, 24, v3
	v_add3_u32 v129, v165, v179, v129
	v_add3_u32 v163, v163, v164, v174
	v_dot4_i32_iu8 v191, v202, v201, v191 neg_lo:[1,1,0]
	v_bfe_i32 v201, v254, 0, 16
	v_dual_ashrrev_i32 v133, 16, v170 :: v_dual_bitop2_b32 v151, v151, v152 bitop3:0x54
	v_perm_b32 v152, v154, v153, 0xc0c0500
	v_perm_b32 v153, v162, v161, 0x5000c0c
	v_dot4_i32_iu8 v7, v7, v130, v129 neg_lo:[1,1,0]
	v_perm_b32 v129, v142, v141, 0xc05000c
	v_perm_b32 v130, v143, v143, 0xc0c0c01
	v_bfe_i32 v161, v3, 0, 8
	v_bfe_i32 v162, v223, 0, 8
	;; [unrolled: 1-line block ×3, first 2 shown]
	v_add3_u32 v140, v163, v140, v144
	v_mul_i32_i24_e32 v198, v201, v198
	v_ashrrev_i32_e32 v201, 24, v2
	v_dot4_i32_iu8 v6, v202, v151, v6 neg_lo:[1,1,0]
	v_or_b32_e32 v152, v153, v152
	v_mul_i32_i24_e32 v151, v167, v189
	v_or_b32_e32 v129, v129, v130
	v_bfe_i32 v130, v145, 8, 8
	v_perm_b32 v153, v221, v221, 0xc0c0c01
	v_perm_b32 v2, v2, v2, 0xc030201
	v_mul_i32_i24_e32 v154, v154, v203
	v_mad_i32_i24 v6, v203, v190, v6
	v_dot4_i32_iu8 v0, v1, v152, v0 neg_lo:[1,1,0]
	v_mul_i32_i24_e32 v131, v201, v131
	v_mul_i32_i24_e32 v130, v201, v130
	v_perm_b32 v152, v220, v219, 0xc05000c
	v_mad_i32_i24 v1, v203, v196, v191
	v_dot4_i32_iu8 v129, v188, v129, v140 neg_lo:[1,1,0]
	v_add3_u32 v6, v6, v151, v133
	v_add3_u32 v0, v0, v132, v131
	v_mul_i32_i24_e32 v131, v161, v149
	v_or_b32_e32 v152, v152, v153
	s_set_vgpr_msb 1                        ;  msbs: dst=0 src0=1 src1=0 src2=0
	v_bfe_i32 v153, v0 /*v256*/, 0, 16
	s_set_vgpr_msb 0                        ;  msbs: dst=0 src0=0 src1=0 src2=0
	v_bfe_i32 v132, v175, 0, 8
	v_mad_i32_i24 v133, v195, v169, v198
	v_add3_u32 v6, v6, v130, v131
	v_perm_b32 v130, v138, v137, 0xc0c0500
	v_perm_b32 v131, v136, v135, 0x5000c0c
	v_dot4_i32_iu8 v1, v2, v152, v1 neg_lo:[1,1,0]
	s_set_vgpr_msb 1                        ;  msbs: dst=0 src0=1 src1=0 src2=0
	v_bfe_i32 v2, v2 /*v258*/, 0, 16
	v_bfe_i32 v152, v1 /*v257*/, 0, 8
	s_set_vgpr_msb 0                        ;  msbs: dst=0 src0=0 src1=0 src2=0
	v_mul_i32_i24_e32 v153, v153, v167
	v_mul_i32_i24_e32 v132, v132, v161
	v_mad_i32_i24 v135, v192, v187, v205
	v_or_b32_e32 v130, v131, v130
	v_perm_b32 v131, v148, v148, 0xc0c0c01
	v_mul_i32_i24_e32 v2, v2, v201
	v_mul_i32_i24_e32 v152, v152, v204
	v_add3_u32 v136, v197, v166, v153
	v_add3_u32 v132, v135, v154, v132
	v_dot4_i32_iu8 v130, v3, v130, v0 neg_lo:[1,1,0]
	v_perm_b32 v0, v147, v146, 0xc05000c
	v_perm_b32 v3, v3, v3, 0xc030201
	s_delay_alu instid0(VALU_DEP_2) | instskip(SKIP_1) | instid1(VALU_DEP_2)
	v_or_b32_e32 v0, v0, v131
	v_perm_b32 v131, v157, v157, 0xc0c0c01
	v_dot4_i32_iu8 v6, v3, v0, v6 neg_lo:[1,1,0]
	v_mad_i32_i24 v0, v161, v162, v1
	v_perm_b32 v1, v156, v155, 0xc05000c
	s_delay_alu instid0(VALU_DEP_1) | instskip(NEXT) | instid1(VALU_DEP_1)
	v_or_b32_e32 v1, v1, v131
	v_dot4_i32_iu8 v131, v3, v1, v0 neg_lo:[1,1,0]
	v_bfe_i32 v0, v178, 0, 16
	v_bfe_i32 v1, v177, 0, 8
	;; [unrolled: 1-line block ×3, first 2 shown]
	s_delay_alu instid0(VALU_DEP_3) | instskip(NEXT) | instid1(VALU_DEP_3)
	v_mul_i32_i24_e32 v0, v0, v158
	v_mul_i32_i24_e32 v1, v1, v160
	s_delay_alu instid0(VALU_DEP_3) | instskip(NEXT) | instid1(VALU_DEP_3)
	v_mul_i32_i24_e32 v3, v3, v159
	v_add3_u32 v0, v133, v2, v0
	s_delay_alu instid0(VALU_DEP_3) | instskip(NEXT) | instid1(VALU_DEP_2)
	v_add3_u32 v1, v134, v152, v1
	v_add3_u32 v0, v136, v3, v0
	v_pk_mul_f32 v[2:3], v[90:91], v[94:95] op_sel_hi:[0,1]
	s_delay_alu instid0(VALU_DEP_2)
	v_add3_u32 v132, v132, v1, v0
	ds_load_u16 v0, v173 offset:28402
	s_wait_dscnt 0x2
	v_lshrrev_b16 v167, 8, v139
	s_wait_dscnt 0x1
	v_lshrrev_b16 v168, 8, v150
	v_bfe_i32 v150, v150, 0, 8
	v_bfe_i32 v139, v139, 0, 8
	;; [unrolled: 1-line block ×3, first 2 shown]
	s_delay_alu instid0(VALU_DEP_4) | instskip(NEXT) | instid1(VALU_DEP_4)
	v_bfe_i32 v168, v168, 0, 8
	v_mul_lo_u32 v129, v129, v150
	s_delay_alu instid0(VALU_DEP_4) | instskip(NEXT) | instid1(VALU_DEP_2)
	v_mul_lo_u32 v7, v7, v139
	v_mad_u32 v6, v6, v168, v129
	s_delay_alu instid0(VALU_DEP_2) | instskip(SKIP_3) | instid1(VALU_DEP_2)
	v_mad_u32 v7, v130, v167, v7
	s_wait_dscnt 0x0
	v_lshrrev_b16 v1, 8, v0
	v_bfe_i32 v0, v0, 0, 8
	v_bfe_i32 v133, v1, 0, 8
	s_delay_alu instid0(VALU_DEP_2)
	v_mul_lo_u32 v5, v5, v0
	v_pk_mul_f32 v[0:1], v[90:91], v[92:93] op_sel_hi:[0,1]
	v_mad_u32 v90, v131, v128, v4
	v_add_nc_u32_e32 v91, 4, v91
	v_cvt_f32_i32_e32 v4, v7
	v_mad_u32 v92, v132, v133, v5
	v_cvt_f32_i32_e32 v5, v6
	v_cvt_f32_i32_e32 v6, v90
	s_delay_alu instid0(VALU_DEP_2) | instskip(NEXT) | instid1(VALU_DEP_4)
	v_pk_fma_f32 v[18:19], v[0:1], v[4:5], v[18:19]
	v_cvt_f32_i32_e32 v7, v92
	s_delay_alu instid0(VALU_DEP_1)
	v_pk_fma_f32 v[20:21], v[2:3], v[6:7], v[20:21]
	s_cbranch_scc1 .LBB209_27
; %bb.28:                               ;   in Loop: Header=BB209_5 Depth=1
	s_or_b32 s1, s16, 0x180
	s_delay_alu instid0(SALU_CYCLE_1)
	s_cmp_ge_i32 s1, s11
	s_barrier_signal -1
	s_barrier_wait -1
	s_cbranch_scc1 .LBB209_4
; %bb.29:                               ;   in Loop: Header=BB209_5 Depth=1
	v_add_nc_u32_e32 v0, s17, v79
	s_delay_alu instid0(VALU_DEP_1) | instskip(SKIP_1) | instid1(SALU_CYCLE_1)
	v_cmp_gt_i32_e64 s1, s5, v0
	s_and_b32 s16, s0, s1
	s_and_saveexec_b32 s1, s16
	s_cbranch_execz .LBB209_31
; %bb.30:                               ;   in Loop: Header=BB209_5 Depth=1
	v_add_nc_u32_e32 v0, v22, v0
	s_delay_alu instid0(VALU_DEP_1)
	v_mad_nc_i64_i32 v[0:1], v0, 36, v[26:27]
	global_load_b32 v0, v[0:1], off offset:4
	s_wait_loadcnt 0x0
	ds_store_b32 v37, v0
.LBB209_31:                             ;   in Loop: Header=BB209_5 Depth=1
	s_or_b32 exec_lo, exec_lo, s1
	s_and_saveexec_b32 s16, vcc_lo
	s_cbranch_execz .LBB209_34
; %bb.32:                               ;   in Loop: Header=BB209_5 Depth=1
	v_or_b32_e32 v0, 12, v88
	s_delay_alu instid0(VALU_DEP_1) | instskip(SKIP_1) | instid1(SALU_CYCLE_1)
	v_cmp_gt_i32_e64 s1, s5, v0
	s_and_b32 s1, s0, s1
	s_and_b32 exec_lo, exec_lo, s1
	s_cbranch_execz .LBB209_34
; %bb.33:                               ;   in Loop: Header=BB209_5 Depth=1
	v_ashrrev_i32_e32 v89, 31, v88
	s_delay_alu instid0(VALU_DEP_1) | instskip(NEXT) | instid1(VALU_DEP_1)
	v_add_nc_u64_e32 v[0:1], v[22:23], v[88:89]
	v_mad_nc_u64_u32 v[2:3], v0, 36, s[2:3]
	s_delay_alu instid0(VALU_DEP_1)
	v_mad_i32_i24 v3, v1, 36, v3
	global_load_b32 v0, v[2:3], off offset:432
	s_wait_loadcnt 0x0
	v_cvt_f32_f16_e32 v0, v0
	ds_store_b32 v41, v0
.LBB209_34:                             ;   in Loop: Header=BB209_5 Depth=1
	s_or_b32 exec_lo, exec_lo, s16
	v_dual_mov_b32 v89, v35 :: v_dual_mov_b32 v94, v39
	s_mov_b32 s1, 24
	s_mov_b32 s22, 22
	;; [unrolled: 1-line block ×3, first 2 shown]
	s_wait_dscnt 0x0
	s_barrier_signal -1
	s_barrier_wait -1
.LBB209_35:                             ;   Parent Loop BB209_5 Depth=1
                                        ; =>  This Inner Loop Header: Depth=2
	s_add_co_i32 s17, s22, 2
	s_sub_co_i32 s20, s22, 22
	s_lshr_b32 s24, s17, 4
	s_and_b32 s21, s17, 0x3ffffff8
	s_and_b32 s23, s1, -16
	v_lshl_add_u32 v4, s21, 2, v81
	s_lshl_b32 s21, s24, 5
	s_add_co_i32 s22, s22, s23
	s_addk_co_i32 s21, 0x4200
	s_lshl_b32 s23, s24, 2
	v_add3_u32 v90, s21, v83, v85
	ds_load_2addr_b32 v[0:1], v4 offset1:1
	s_addk_co_i32 s23, 0x7380
	ds_load_b32 v88, v94
	s_add_co_i32 s1, s1, 2
	ds_load_2addr_b32 v[2:3], v90 offset1:1
	v_dual_add_nc_u32 v138, s22, v49 :: v_dual_add_nc_u32 v94, 4, v94
	s_wait_dscnt 0x0
	v_dual_ashrrev_i32 v0, s20, v0 :: v_dual_ashrrev_i32 v2, s16, v2
	s_delay_alu instid0(VALU_DEP_1) | instskip(NEXT) | instid1(VALU_DEP_2)
	v_and_b32_e32 v5, 0x3030303, v0
	v_dual_ashrrev_i32 v3, s16, v3 :: v_dual_lshlrev_b32 v2, 2, v2
	s_delay_alu instid0(VALU_DEP_2) | instskip(SKIP_2) | instid1(VALU_DEP_4)
	v_lshrrev_b32_e32 v7, 16, v5
	v_bfe_u32 v0, v0, 24, 2
	v_lshrrev_b16 v6, 8, v5
	v_lshlrev_b32_e32 v3, 2, v3
	v_and_b32_e32 v2, 0x4040404, v2
	s_delay_alu instid0(VALU_DEP_2) | instskip(NEXT) | instid1(VALU_DEP_2)
	v_and_b32_e32 v3, 0x4040404, v3
	v_dual_lshrrev_b32 v92, 24, v2 :: v_dual_lshrrev_b32 v93, 16, v2
	v_lshrrev_b16 v91, 8, v2
	s_delay_alu instid0(VALU_DEP_2) | instskip(NEXT) | instid1(VALU_DEP_3)
	v_sub_nc_u16 v0, v0, v92
	v_sub_nc_u16 v162, v7, v93
	v_lshrrev_b32_e32 v7, 24, v3
	s_delay_alu instid0(VALU_DEP_3) | instskip(NEXT) | instid1(VALU_DEP_1)
	v_lshlrev_b16 v0, 8, v0
	v_bitop3_b16 v163, v162, v0, 0xff bitop3:0xec
	v_sub_nc_u16 v0, v5, v2
	v_sub_nc_u16 v2, v6, v91
	v_lshrrev_b32_e32 v91, 16, v3
	v_lshrrev_b16 v6, 8, v3
	v_perm_b32 v162, v163, v162, 0xc0c0500
	s_delay_alu instid0(VALU_DEP_4) | instskip(NEXT) | instid1(VALU_DEP_1)
	v_lshlrev_b16 v2, 8, v2
	v_bitop3_b16 v0, v0, v2, 0xff bitop3:0xec
	s_delay_alu instid0(VALU_DEP_1) | instskip(SKIP_1) | instid1(VALU_DEP_1)
	v_and_b32_e32 v166, 0xffff, v0
	v_ashrrev_i32_e32 v0, s20, v1
	v_and_b32_e32 v1, 0x3030303, v0
	v_bfe_u32 v0, v0, 24, 2
	s_delay_alu instid0(VALU_DEP_2) | instskip(NEXT) | instid1(VALU_DEP_2)
	v_lshrrev_b32_e32 v5, 16, v1
	v_sub_nc_u16 v0, v0, v7
	v_lshrrev_b16 v2, 8, v1
	v_sub_nc_u16 v167, v1, v3
	s_delay_alu instid0(VALU_DEP_4) | instskip(NEXT) | instid1(VALU_DEP_4)
	v_sub_nc_u16 v164, v5, v91
	v_lshlrev_b16 v0, 8, v0
	s_delay_alu instid0(VALU_DEP_1) | instskip(SKIP_4) | instid1(VALU_DEP_1)
	v_bitop3_b16 v165, v164, v0, 0xff bitop3:0xec
	v_sub_nc_u16 v0, v2, v6
	ds_load_2addr_b32 v[2:3], v90 offset0:2 offset1:3
	v_perm_b32 v164, v165, v164, 0xc0c0500
	v_lshlrev_b16 v0, 8, v0
	v_bitop3_b16 v168, v167, v0, 0xff bitop3:0xec
	ds_load_2addr_b32 v[0:1], v4 offset0:2 offset1:3
	v_perm_b32 v163, v168, v167, 0x5000c0c
	s_wait_dscnt 0x1
	v_dual_ashrrev_i32 v2, s16, v2 :: v_dual_ashrrev_i32 v3, s16, v3
	s_delay_alu instid0(VALU_DEP_1) | instskip(SKIP_2) | instid1(VALU_DEP_2)
	v_dual_lshlrev_b32 v2, 2, v2 :: v_dual_lshlrev_b32 v3, 2, v3
	s_wait_dscnt 0x0
	v_ashrrev_i32_e32 v0, s20, v0
	v_and_b32_e32 v2, 0x4040404, v2
	s_delay_alu instid0(VALU_DEP_3) | instskip(NEXT) | instid1(VALU_DEP_3)
	v_and_b32_e32 v3, 0x4040404, v3
	v_and_b32_e32 v5, 0x3030303, v0
	v_bfe_u32 v0, v0, 24, 2
	s_delay_alu instid0(VALU_DEP_4) | instskip(SKIP_1) | instid1(VALU_DEP_4)
	v_dual_lshrrev_b32 v91, 16, v2 :: v_dual_lshrrev_b32 v92, 24, v2
	v_lshrrev_b16 v93, 8, v2
	v_lshrrev_b16 v7, 8, v5
	v_lshrrev_b32_e32 v6, 16, v5
	v_sub_nc_u16 v170, v5, v2
	v_sub_nc_u16 v0, v0, v92
	s_delay_alu instid0(VALU_DEP_4) | instskip(SKIP_2) | instid1(VALU_DEP_4)
	v_sub_nc_u16 v2, v7, v93
	v_lshrrev_b32_e32 v7, 24, v3
	v_sub_nc_u16 v173, v6, v91
	v_lshlrev_b16 v128, 8, v0
	v_ashrrev_i32_e32 v0, s20, v1
	v_lshlrev_b16 v2, 8, v2
	v_lshrrev_b32_e32 v91, 16, v3
	v_lshrrev_b16 v6, 8, v3
	v_bfe_i32 v173, v173, 0, 8
	v_and_b32_e32 v1, 0x3030303, v0
	v_bfe_u32 v0, v0, 24, 2
	v_bitop3_b16 v171, v170, v2, 0xff bitop3:0xec
	v_bfe_i32 v128, v128, 8, 8
	s_delay_alu instid0(VALU_DEP_4) | instskip(NEXT) | instid1(VALU_DEP_4)
	v_lshrrev_b32_e32 v5, 16, v1
	v_sub_nc_u16 v0, v0, v7
	v_lshrrev_b16 v2, 8, v1
	v_sub_nc_u16 v131, v1, v3
	v_perm_b32 v165, v171, v170, 0x5000c0c
	v_sub_nc_u16 v129, v5, v91
	v_lshlrev_b16 v0, 8, v0
	s_delay_alu instid0(VALU_DEP_1) | instskip(SKIP_4) | instid1(VALU_DEP_1)
	v_bitop3_b16 v130, v129, v0, 0xff bitop3:0xec
	v_sub_nc_u16 v0, v2, v6
	ds_load_2addr_b32 v[2:3], v90 offset0:4 offset1:5
	v_perm_b32 v129, v130, v129, 0x5000c0c
	v_lshlrev_b16 v0, 8, v0
	v_bitop3_b16 v132, v131, v0, 0xff bitop3:0xec
	ds_load_2addr_b32 v[0:1], v4 offset0:4 offset1:5
	v_perm_b32 v131, v132, v131, 0xc0c0500
	s_wait_dscnt 0x1
	s_delay_alu instid0(VALU_DEP_1) | instskip(NEXT) | instid1(VALU_DEP_1)
	v_dual_ashrrev_i32 v2, s16, v2 :: v_dual_bitop2_b32 v129, v129, v131 bitop3:0x54
	v_dual_ashrrev_i32 v3, s16, v3 :: v_dual_lshlrev_b32 v2, 2, v2
	s_wait_dscnt 0x0
	s_delay_alu instid0(VALU_DEP_1) | instskip(NEXT) | instid1(VALU_DEP_2)
	v_dual_lshlrev_b32 v3, 2, v3 :: v_dual_ashrrev_i32 v0, s20, v0
	v_and_b32_e32 v2, 0x4040404, v2
	s_delay_alu instid0(VALU_DEP_2) | instskip(NEXT) | instid1(VALU_DEP_3)
	v_and_b32_e32 v3, 0x4040404, v3
	v_and_b32_e32 v5, 0x3030303, v0
	v_bfe_u32 v0, v0, 24, 2
	s_delay_alu instid0(VALU_DEP_4) | instskip(SKIP_1) | instid1(VALU_DEP_4)
	v_dual_lshrrev_b32 v92, 24, v2 :: v_dual_lshrrev_b32 v93, 16, v2
	v_lshrrev_b16 v91, 8, v2
	v_lshrrev_b32_e32 v7, 16, v5
	v_lshrrev_b16 v6, 8, v5
	s_delay_alu instid0(VALU_DEP_4) | instskip(NEXT) | instid1(VALU_DEP_3)
	v_sub_nc_u16 v0, v0, v92
	v_sub_nc_u16 v150, v7, v93
	v_lshrrev_b32_e32 v7, 24, v3
	s_delay_alu instid0(VALU_DEP_3) | instskip(NEXT) | instid1(VALU_DEP_1)
	v_lshlrev_b16 v0, 8, v0
	v_bitop3_b16 v151, v150, v0, 0xff bitop3:0xec
	v_sub_nc_u16 v0, v5, v2
	v_sub_nc_u16 v2, v6, v91
	v_lshrrev_b32_e32 v91, 16, v3
	v_lshrrev_b16 v6, 8, v3
	v_perm_b32 v150, v151, v150, 0xc0c0500
	s_delay_alu instid0(VALU_DEP_4) | instskip(NEXT) | instid1(VALU_DEP_1)
	v_lshlrev_b16 v2, 8, v2
	v_bitop3_b16 v0, v0, v2, 0xff bitop3:0xec
	s_delay_alu instid0(VALU_DEP_1) | instskip(SKIP_1) | instid1(VALU_DEP_1)
	v_and_b32_e32 v157, 0xffff, v0
	v_ashrrev_i32_e32 v0, s20, v1
	v_and_b32_e32 v1, 0x3030303, v0
	v_bfe_u32 v0, v0, 24, 2
	s_delay_alu instid0(VALU_DEP_2) | instskip(NEXT) | instid1(VALU_DEP_2)
	v_lshrrev_b32_e32 v5, 16, v1
	v_sub_nc_u16 v0, v0, v7
	v_lshrrev_b16 v2, 8, v1
	v_sub_nc_u16 v158, v1, v3
	s_delay_alu instid0(VALU_DEP_4) | instskip(NEXT) | instid1(VALU_DEP_4)
	v_sub_nc_u16 v152, v5, v91
	v_lshlrev_b16 v0, 8, v0
	s_delay_alu instid0(VALU_DEP_1) | instskip(SKIP_3) | instid1(VALU_DEP_1)
	v_bitop3_b16 v153, v152, v0, 0xff bitop3:0xec
	v_sub_nc_u16 v0, v2, v6
	ds_load_2addr_b32 v[2:3], v90 offset0:6 offset1:7
	v_lshlrev_b16 v0, 8, v0
	v_bitop3_b16 v159, v158, v0, 0xff bitop3:0xec
	ds_load_2addr_b32 v[0:1], v4 offset0:6 offset1:7
	v_perm_b32 v151, v159, v158, 0x5000c0c
	s_wait_dscnt 0x1
	v_dual_ashrrev_i32 v2, s16, v2 :: v_dual_ashrrev_i32 v3, s16, v3
	s_delay_alu instid0(VALU_DEP_1) | instskip(SKIP_2) | instid1(VALU_DEP_2)
	v_dual_lshlrev_b32 v2, 2, v2 :: v_dual_lshlrev_b32 v3, 2, v3
	s_wait_dscnt 0x0
	v_ashrrev_i32_e32 v0, s20, v0
	v_and_b32_e32 v2, 0x4040404, v2
	s_delay_alu instid0(VALU_DEP_3) | instskip(NEXT) | instid1(VALU_DEP_3)
	v_and_b32_e32 v3, 0x4040404, v3
	v_and_b32_e32 v5, 0x3030303, v0
	v_bfe_u32 v0, v0, 24, 2
	s_delay_alu instid0(VALU_DEP_4) | instskip(SKIP_1) | instid1(VALU_DEP_4)
	v_dual_lshrrev_b32 v90, 16, v2 :: v_dual_lshrrev_b32 v91, 24, v2
	v_lshrrev_b16 v92, 8, v2
	v_lshrrev_b16 v7, 8, v5
	v_lshrrev_b32_e32 v6, 16, v5
	v_sub_nc_u16 v160, v5, v2
	v_sub_nc_u16 v0, v0, v91
	v_add3_u32 v91, s21, v97, v98
	v_sub_nc_u16 v2, v7, v92
	v_lshrrev_b32_e32 v7, 24, v3
	v_sub_nc_u16 v169, v6, v90
	v_lshlrev_b16 v133, 8, v0
	v_ashrrev_i32_e32 v0, s20, v1
	v_lshlrev_b16 v2, 8, v2
	v_lshrrev_b32_e32 v90, 16, v3
	v_lshrrev_b16 v6, 8, v3
	v_bfe_i32 v169, v169, 0, 8
	v_and_b32_e32 v1, 0x3030303, v0
	v_bfe_u32 v0, v0, 24, 2
	v_bitop3_b16 v161, v160, v2, 0xff bitop3:0xec
	v_bfe_i32 v130, v133, 8, 8
	s_delay_alu instid0(VALU_DEP_4) | instskip(NEXT) | instid1(VALU_DEP_4)
	v_lshrrev_b32_e32 v5, 16, v1
	v_sub_nc_u16 v0, v0, v7
	v_lshrrev_b16 v2, 8, v1
	v_sub_nc_u16 v136, v1, v3
	s_delay_alu instid0(VALU_DEP_4) | instskip(NEXT) | instid1(VALU_DEP_4)
	v_sub_nc_u16 v134, v5, v90
	v_lshlrev_b16 v0, 8, v0
	s_delay_alu instid0(VALU_DEP_1) | instskip(SKIP_3) | instid1(VALU_DEP_1)
	v_bitop3_b16 v135, v134, v0, 0xff bitop3:0xec
	v_sub_nc_u16 v0, v2, v6
	ds_load_2addr_b32 v[2:3], v91 offset1:1
	v_lshlrev_b16 v0, 8, v0
	v_bitop3_b16 v137, v136, v0, 0xff bitop3:0xec
	v_add3_u32 v0, s23, v127, v96
	ds_load_b32 v90, v0
	v_add_nc_u32_e32 v0, 0x1080, v4
	s_wait_dscnt 0x1
	v_ashrrev_i32_e32 v2, s16, v2
	ds_load_2addr_b32 v[0:1], v0 offset1:1
	v_dual_ashrrev_i32 v3, s16, v3 :: v_dual_lshlrev_b32 v2, 2, v2
	s_delay_alu instid0(VALU_DEP_1) | instskip(NEXT) | instid1(VALU_DEP_2)
	v_lshlrev_b32_e32 v3, 2, v3
	v_and_b32_e32 v2, 0x4040404, v2
	s_delay_alu instid0(VALU_DEP_2) | instskip(NEXT) | instid1(VALU_DEP_2)
	v_and_b32_e32 v3, 0x4040404, v3
	v_dual_lshrrev_b32 v93, 24, v2 :: v_dual_lshrrev_b32 v95, 16, v2
	v_lshrrev_b16 v92, 8, v2
	s_wait_dscnt 0x0
	v_ashrrev_i32_e32 v0, s20, v0
	s_delay_alu instid0(VALU_DEP_1) | instskip(SKIP_1) | instid1(VALU_DEP_2)
	v_and_b32_e32 v5, 0x3030303, v0
	v_bfe_u32 v0, v0, 24, 2
	v_lshrrev_b32_e32 v7, 16, v5
	s_delay_alu instid0(VALU_DEP_2) | instskip(SKIP_2) | instid1(VALU_DEP_4)
	v_sub_nc_u16 v0, v0, v93
	v_lshrrev_b16 v6, 8, v5
	v_sub_nc_u16 v194, v5, v2
	v_sub_nc_u16 v186, v7, v95
	s_delay_alu instid0(VALU_DEP_4) | instskip(SKIP_1) | instid1(VALU_DEP_4)
	v_lshlrev_b16 v0, 8, v0
	v_lshrrev_b32_e32 v7, 24, v3
	v_bfe_i32 v194, v194, 0, 8
	s_delay_alu instid0(VALU_DEP_3) | instskip(SKIP_3) | instid1(VALU_DEP_4)
	v_bitop3_b16 v187, v186, v0, 0xff bitop3:0xec
	v_sub_nc_u16 v0, v6, v92
	v_lshrrev_b32_e32 v92, 16, v3
	v_lshrrev_b16 v6, 8, v3
	v_perm_b32 v186, v187, v186, 0xc0c0500
	s_delay_alu instid0(VALU_DEP_4) | instskip(SKIP_1) | instid1(VALU_DEP_2)
	v_lshlrev_b16 v191, 8, v0
	v_ashrrev_i32_e32 v0, s20, v1
	v_bfe_i32 v191, v191, 8, 8
	s_delay_alu instid0(VALU_DEP_2) | instskip(SKIP_1) | instid1(VALU_DEP_2)
	v_and_b32_e32 v1, 0x3030303, v0
	v_bfe_u32 v0, v0, 24, 2
	v_lshrrev_b32_e32 v5, 16, v1
	s_delay_alu instid0(VALU_DEP_2) | instskip(SKIP_2) | instid1(VALU_DEP_4)
	v_sub_nc_u16 v0, v0, v7
	v_lshrrev_b16 v2, 8, v1
	v_sub_nc_u16 v196, v1, v3
	v_sub_nc_u16 v190, v5, v92
	s_delay_alu instid0(VALU_DEP_4) | instskip(NEXT) | instid1(VALU_DEP_3)
	v_lshlrev_b16 v0, 8, v0
	v_bfe_i32 v196, v196, 0, 8
	s_delay_alu instid0(VALU_DEP_2)
	v_bitop3_b16 v192, v190, v0, 0xff bitop3:0xec
	v_sub_nc_u16 v0, v2, v6
	ds_load_2addr_b32 v[2:3], v91 offset0:2 offset1:3
	v_lshlrev_b16 v193, 8, v0
	v_add_nc_u32_e32 v0, 0x1088, v4
	ds_load_2addr_b32 v[0:1], v0 offset1:1
	s_wait_dscnt 0x1
	v_dual_ashrrev_i32 v2, s16, v2 :: v_dual_ashrrev_i32 v3, s16, v3
	s_delay_alu instid0(VALU_DEP_1) | instskip(SKIP_2) | instid1(VALU_DEP_2)
	v_dual_lshlrev_b32 v2, 2, v2 :: v_dual_lshlrev_b32 v3, 2, v3
	s_wait_dscnt 0x0
	v_ashrrev_i32_e32 v0, s20, v0
	v_and_b32_e32 v2, 0x4040404, v2
	s_delay_alu instid0(VALU_DEP_3) | instskip(NEXT) | instid1(VALU_DEP_3)
	v_and_b32_e32 v3, 0x4040404, v3
	v_and_b32_e32 v5, 0x3030303, v0
	v_bfe_u32 v0, v0, 24, 2
	s_delay_alu instid0(VALU_DEP_4) | instskip(SKIP_1) | instid1(VALU_DEP_4)
	v_dual_lshrrev_b32 v92, 16, v2 :: v_dual_lshrrev_b32 v95, 24, v2
	v_lshrrev_b16 v93, 8, v2
	v_lshrrev_b32_e32 v6, 16, v5
	v_lshrrev_b16 v7, 8, v5
	v_sub_nc_u16 v198, v5, v2
	v_sub_nc_u16 v0, v0, v95
	s_delay_alu instid0(VALU_DEP_4) | instskip(SKIP_2) | instid1(VALU_DEP_4)
	v_sub_nc_u16 v199, v6, v92
	v_lshrrev_b32_e32 v92, 16, v3
	v_lshrrev_b16 v6, 8, v3
	v_lshlrev_b16 v139, 8, v0
	v_sub_nc_u16 v0, v7, v93
	v_lshrrev_b32_e32 v7, 24, v3
	v_bfe_i32 v199, v199, 0, 8
	v_bfe_i32 v198, v198, 0, 8
	;; [unrolled: 1-line block ×3, first 2 shown]
	v_lshlrev_b16 v197, 8, v0
	v_ashrrev_i32_e32 v0, s20, v1
	v_perm_b32 v173, v199, v173, 0x5040100
	s_delay_alu instid0(VALU_DEP_3) | instskip(NEXT) | instid1(VALU_DEP_3)
	v_bfe_i32 v197, v197, 8, 8
	v_and_b32_e32 v1, 0x3030303, v0
	v_bfe_u32 v0, v0, 24, 2
	s_delay_alu instid0(VALU_DEP_2) | instskip(NEXT) | instid1(VALU_DEP_2)
	v_lshrrev_b32_e32 v5, 16, v1
	v_sub_nc_u16 v0, v0, v7
	v_lshrrev_b16 v2, 8, v1
	v_sub_nc_u16 v143, v1, v3
	s_delay_alu instid0(VALU_DEP_4) | instskip(NEXT) | instid1(VALU_DEP_4)
	v_sub_nc_u16 v140, v5, v92
	v_lshlrev_b16 v0, 8, v0
	s_delay_alu instid0(VALU_DEP_3) | instskip(NEXT) | instid1(VALU_DEP_2)
	v_bfe_i32 v143, v143, 0, 8
	v_bitop3_b16 v141, v140, v0, 0xff bitop3:0xec
	v_sub_nc_u16 v0, v2, v6
	ds_load_2addr_b32 v[2:3], v91 offset0:4 offset1:5
	v_lshlrev_b16 v142, 8, v0
	v_add_nc_u32_e32 v0, 0x1090, v4
	ds_load_2addr_b32 v[0:1], v0 offset1:1
	s_wait_dscnt 0x1
	v_dual_ashrrev_i32 v2, s16, v2 :: v_dual_ashrrev_i32 v3, s16, v3
	s_delay_alu instid0(VALU_DEP_1) | instskip(SKIP_2) | instid1(VALU_DEP_2)
	v_dual_lshlrev_b32 v2, 2, v2 :: v_dual_lshlrev_b32 v3, 2, v3
	s_wait_dscnt 0x0
	v_ashrrev_i32_e32 v0, s20, v0
	v_and_b32_e32 v2, 0x4040404, v2
	s_delay_alu instid0(VALU_DEP_3) | instskip(NEXT) | instid1(VALU_DEP_3)
	v_and_b32_e32 v3, 0x4040404, v3
	v_and_b32_e32 v5, 0x3030303, v0
	v_bfe_u32 v0, v0, 24, 2
	s_delay_alu instid0(VALU_DEP_4) | instskip(SKIP_1) | instid1(VALU_DEP_4)
	v_dual_lshrrev_b32 v93, 24, v2 :: v_dual_lshrrev_b32 v95, 16, v2
	v_lshrrev_b16 v92, 8, v2
	v_lshrrev_b32_e32 v7, 16, v5
	v_lshrrev_b16 v6, 8, v5
	s_delay_alu instid0(VALU_DEP_4) | instskip(SKIP_1) | instid1(VALU_DEP_4)
	v_sub_nc_u16 v0, v0, v93
	v_sub_nc_u16 v184, v5, v2
	;; [unrolled: 1-line block ×3, first 2 shown]
	v_lshrrev_b32_e32 v7, 24, v3
	s_delay_alu instid0(VALU_DEP_4) | instskip(NEXT) | instid1(VALU_DEP_4)
	v_lshlrev_b16 v0, 8, v0
	v_bfe_i32 v184, v184, 0, 8
	s_delay_alu instid0(VALU_DEP_2) | instskip(SKIP_3) | instid1(VALU_DEP_4)
	v_bitop3_b16 v179, v178, v0, 0xff bitop3:0xec
	v_sub_nc_u16 v0, v6, v92
	v_lshrrev_b32_e32 v92, 16, v3
	v_lshrrev_b16 v6, 8, v3
	v_perm_b32 v178, v179, v178, 0xc0c0500
	s_delay_alu instid0(VALU_DEP_4) | instskip(SKIP_1) | instid1(VALU_DEP_2)
	v_lshlrev_b16 v181, 8, v0
	v_ashrrev_i32_e32 v0, s20, v1
	v_bfe_i32 v181, v181, 8, 8
	s_delay_alu instid0(VALU_DEP_2) | instskip(SKIP_1) | instid1(VALU_DEP_2)
	v_and_b32_e32 v1, 0x3030303, v0
	v_bfe_u32 v0, v0, 24, 2
	v_lshrrev_b32_e32 v5, 16, v1
	s_delay_alu instid0(VALU_DEP_2) | instskip(SKIP_2) | instid1(VALU_DEP_4)
	v_sub_nc_u16 v0, v0, v7
	v_lshrrev_b16 v2, 8, v1
	v_sub_nc_u16 v185, v1, v3
	v_sub_nc_u16 v180, v5, v92
	s_delay_alu instid0(VALU_DEP_4) | instskip(NEXT) | instid1(VALU_DEP_3)
	v_lshlrev_b16 v0, 8, v0
	v_bfe_i32 v185, v185, 0, 8
	s_delay_alu instid0(VALU_DEP_2)
	v_bitop3_b16 v182, v180, v0, 0xff bitop3:0xec
	v_sub_nc_u16 v0, v2, v6
	ds_load_2addr_b32 v[2:3], v91 offset0:6 offset1:7
	v_lshlrev_b16 v183, 8, v0
	v_add_nc_u32_e32 v0, 0x1098, v4
	ds_load_2addr_b32 v[0:1], v0 offset1:1
	s_wait_dscnt 0x1
	v_dual_ashrrev_i32 v2, s16, v2 :: v_dual_ashrrev_i32 v3, s16, v3
	s_delay_alu instid0(VALU_DEP_1) | instskip(SKIP_2) | instid1(VALU_DEP_2)
	v_dual_lshlrev_b32 v2, 2, v2 :: v_dual_lshlrev_b32 v3, 2, v3
	s_wait_dscnt 0x0
	v_ashrrev_i32_e32 v0, s20, v0
	v_and_b32_e32 v2, 0x4040404, v2
	s_delay_alu instid0(VALU_DEP_3) | instskip(NEXT) | instid1(VALU_DEP_3)
	v_and_b32_e32 v3, 0x4040404, v3
	v_and_b32_e32 v5, 0x3030303, v0
	v_bfe_u32 v0, v0, 24, 2
	s_delay_alu instid0(VALU_DEP_4) | instskip(SKIP_1) | instid1(VALU_DEP_4)
	v_dual_lshrrev_b32 v91, 16, v2 :: v_dual_lshrrev_b32 v93, 24, v2
	v_lshrrev_b16 v92, 8, v2
	v_lshrrev_b32_e32 v6, 16, v5
	v_lshrrev_b16 v7, 8, v5
	v_sub_nc_u16 v189, v5, v2
	v_sub_nc_u16 v0, v0, v93
	s_delay_alu instid0(VALU_DEP_4) | instskip(SKIP_2) | instid1(VALU_DEP_4)
	v_sub_nc_u16 v195, v6, v91
	v_lshrrev_b32_e32 v91, 16, v3
	v_lshrrev_b16 v6, 8, v3
	v_lshlrev_b16 v144, 8, v0
	v_sub_nc_u16 v0, v7, v92
	v_lshrrev_b32_e32 v7, 24, v3
	v_add3_u32 v92, s21, v101, v102
	v_bfe_i32 v195, v195, 0, 8
	v_bfe_i32 v189, v189, 0, 8
	v_lshlrev_b16 v188, 8, v0
	v_ashrrev_i32_e32 v0, s20, v1
	s_delay_alu instid0(VALU_DEP_4) | instskip(NEXT) | instid1(VALU_DEP_3)
	v_perm_b32 v169, v195, v169, 0x5040100
	v_bfe_i32 v188, v188, 8, 8
	s_delay_alu instid0(VALU_DEP_3) | instskip(SKIP_1) | instid1(VALU_DEP_2)
	v_and_b32_e32 v1, 0x3030303, v0
	v_bfe_u32 v0, v0, 24, 2
	v_lshrrev_b32_e32 v5, 16, v1
	s_delay_alu instid0(VALU_DEP_2) | instskip(SKIP_2) | instid1(VALU_DEP_4)
	v_sub_nc_u16 v0, v0, v7
	v_lshrrev_b16 v2, 8, v1
	v_sub_nc_u16 v148, v1, v3
	v_sub_nc_u16 v145, v5, v91
	s_delay_alu instid0(VALU_DEP_4) | instskip(NEXT) | instid1(VALU_DEP_3)
	v_lshlrev_b16 v0, 8, v0
	v_bfe_i32 v148, v148, 0, 8
	s_delay_alu instid0(VALU_DEP_2)
	v_bitop3_b16 v146, v145, v0, 0xff bitop3:0xec
	v_sub_nc_u16 v0, v2, v6
	ds_load_2addr_b32 v[2:3], v92 offset1:1
	v_lshlrev_b16 v147, 8, v0
	v_add3_u32 v0, s23, v99, v100
	ds_load_b32 v91, v0
	v_add_nc_u32_e32 v0, 0x2100, v4
	ds_load_2addr_b32 v[0:1], v0 offset1:1
	s_wait_dscnt 0x2
	v_dual_ashrrev_i32 v2, s16, v2 :: v_dual_ashrrev_i32 v3, s16, v3
	s_delay_alu instid0(VALU_DEP_1) | instskip(NEXT) | instid1(VALU_DEP_1)
	v_dual_lshlrev_b32 v2, 2, v2 :: v_dual_lshlrev_b32 v3, 2, v3
	v_and_b32_e32 v2, 0x4040404, v2
	s_delay_alu instid0(VALU_DEP_2) | instskip(NEXT) | instid1(VALU_DEP_2)
	v_and_b32_e32 v3, 0x4040404, v3
	v_dual_lshrrev_b32 v95, 24, v2 :: v_dual_lshrrev_b32 v154, 16, v2
	s_wait_dscnt 0x0
	v_ashrrev_i32_e32 v0, s20, v0
	v_lshrrev_b16 v93, 8, v2
	s_delay_alu instid0(VALU_DEP_2) | instskip(SKIP_1) | instid1(VALU_DEP_2)
	v_and_b32_e32 v5, 0x3030303, v0
	v_bfe_u32 v0, v0, 24, 2
	v_dual_add_nc_u32 v149, s22, v47 :: v_dual_lshrrev_b32 v7, 16, v5
	s_delay_alu instid0(VALU_DEP_2)
	v_sub_nc_u16 v0, v0, v95
	v_lshrrev_b16 v6, 8, v5
	v_lshrrev_b32_e32 v95, 24, v3
	v_sub_nc_u16 v5, v5, v2
	v_sub_nc_u16 v200, v7, v154
	v_lshlrev_b16 v0, 8, v0
	v_lshrrev_b32_e32 v154, 16, v3
	s_delay_alu instid0(VALU_DEP_4) | instskip(NEXT) | instid1(VALU_DEP_3)
	v_bfe_i32 v223, v5, 0, 8
	v_bitop3_b16 v201, v200, v0, 0xff bitop3:0xec
	v_sub_nc_u16 v0, v6, v93
	v_lshrrev_b16 v93, 8, v3
	s_delay_alu instid0(VALU_DEP_3) | instskip(NEXT) | instid1(VALU_DEP_3)
	v_perm_b32 v200, v201, v200, 0xc0c0500
	v_lshlrev_b16 v6, 8, v0
	v_ashrrev_i32_e32 v0, s20, v1
	s_delay_alu instid0(VALU_DEP_2) | instskip(NEXT) | instid1(VALU_DEP_2)
	v_bfe_i32 v224, v6, 8, 8
	v_and_b32_e32 v1, 0x3030303, v0
	v_bfe_u32 v0, v0, 24, 2
	s_delay_alu instid0(VALU_DEP_2) | instskip(NEXT) | instid1(VALU_DEP_2)
	v_lshrrev_b32_e32 v7, 16, v1
	v_sub_nc_u16 v0, v0, v95
	v_lshrrev_b16 v2, 8, v1
	s_delay_alu instid0(VALU_DEP_3) | instskip(NEXT) | instid1(VALU_DEP_3)
	v_sub_nc_u16 v202, v7, v154
	v_lshlrev_b16 v0, 8, v0
	v_sub_nc_u16 v7, v1, v3
	s_delay_alu instid0(VALU_DEP_2)
	v_bitop3_b16 v203, v202, v0, 0xff bitop3:0xec
	v_sub_nc_u16 v0, v2, v93
	ds_load_2addr_b32 v[2:3], v92 offset0:2 offset1:3
	v_bfe_i32 v225, v7, 0, 8
	v_perm_b32 v202, v203, v202, 0xc05000c
	v_lshlrev_b16 v204, 8, v0
	v_add_nc_u32_e32 v0, 0x2108, v4
	s_delay_alu instid0(VALU_DEP_2) | instskip(SKIP_3) | instid1(VALU_DEP_1)
	v_perm_b32 v203, v204, v204, 0xc0c0c01
	ds_load_2addr_b32 v[0:1], v0 offset1:1
	s_wait_dscnt 0x1
	v_dual_ashrrev_i32 v2, s16, v2 :: v_dual_ashrrev_i32 v3, s16, v3
	v_dual_lshlrev_b32 v2, 2, v2 :: v_dual_lshlrev_b32 v3, 2, v3
	s_wait_dscnt 0x0
	v_ashrrev_i32_e32 v0, s20, v0
	s_delay_alu instid0(VALU_DEP_2) | instskip(NEXT) | instid1(VALU_DEP_3)
	v_and_b32_e32 v2, 0x4040404, v2
	v_and_b32_e32 v3, 0x4040404, v3
	s_delay_alu instid0(VALU_DEP_3) | instskip(SKIP_1) | instid1(VALU_DEP_4)
	v_and_b32_e32 v93, 0x3030303, v0
	v_bfe_u32 v0, v0, 24, 2
	v_dual_lshrrev_b32 v156, 24, v2 :: v_dual_lshrrev_b32 v172, 16, v2
	v_lshrrev_b16 v155, 8, v2
	s_delay_alu instid0(VALU_DEP_4) | instskip(SKIP_1) | instid1(VALU_DEP_4)
	v_lshrrev_b32_e32 v154, 16, v93
	v_lshrrev_b16 v95, 8, v93
	v_sub_nc_u16 v0, v0, v156
	v_sub_nc_u16 v208, v93, v2
	s_delay_alu instid0(VALU_DEP_4) | instskip(SKIP_1) | instid1(VALU_DEP_4)
	v_sub_nc_u16 v205, v154, v172
	v_lshrrev_b32_e32 v154, 24, v3
	v_lshlrev_b16 v0, 8, v0
	s_delay_alu instid0(VALU_DEP_4) | instskip(SKIP_2) | instid1(VALU_DEP_4)
	v_bfe_i32 v199, v208, 0, 8
	v_bfe_i32 v208, v166, 8, 8
	;; [unrolled: 1-line block ×3, first 2 shown]
	v_bitop3_b16 v206, v205, v0, 0xff bitop3:0xec
	v_sub_nc_u16 v0, v95, v155
	v_lshrrev_b32_e32 v155, 16, v3
	v_lshrrev_b16 v95, 8, v3
	s_delay_alu instid0(VALU_DEP_3) | instskip(SKIP_1) | instid1(VALU_DEP_1)
	v_lshlrev_b16 v207, 8, v0
	v_ashrrev_i32_e32 v0, s20, v1
	v_and_b32_e32 v1, 0x3030303, v0
	v_bfe_u32 v0, v0, 24, 2
	s_delay_alu instid0(VALU_DEP_2) | instskip(NEXT) | instid1(VALU_DEP_2)
	v_lshrrev_b32_e32 v93, 16, v1
	v_sub_nc_u16 v0, v0, v154
	v_lshrrev_b16 v2, 8, v1
	v_sub_nc_u16 v212, v1, v3
	s_delay_alu instid0(VALU_DEP_4) | instskip(NEXT) | instid1(VALU_DEP_4)
	v_sub_nc_u16 v209, v93, v155
	v_lshlrev_b16 v0, 8, v0
	s_delay_alu instid0(VALU_DEP_1) | instskip(SKIP_4) | instid1(VALU_DEP_2)
	v_bitop3_b16 v210, v209, v0, 0xff bitop3:0xec
	v_sub_nc_u16 v0, v2, v95
	ds_load_2addr_b32 v[2:3], v92 offset0:4 offset1:5
	v_lshlrev_b16 v211, 8, v0
	v_add_nc_u32_e32 v0, 0x2110, v4
	v_perm_b32 v187, v211, v211, 0xc0c0c01
	ds_load_2addr_b32 v[0:1], v0 offset1:1
	s_wait_dscnt 0x1
	v_dual_ashrrev_i32 v2, s16, v2 :: v_dual_ashrrev_i32 v3, s16, v3
	s_delay_alu instid0(VALU_DEP_1) | instskip(SKIP_2) | instid1(VALU_DEP_2)
	v_dual_lshlrev_b32 v2, 2, v2 :: v_dual_lshlrev_b32 v3, 2, v3
	s_wait_dscnt 0x0
	v_ashrrev_i32_e32 v0, s20, v0
	v_and_b32_e32 v2, 0x4040404, v2
	s_delay_alu instid0(VALU_DEP_3) | instskip(NEXT) | instid1(VALU_DEP_3)
	v_and_b32_e32 v3, 0x4040404, v3
	v_and_b32_e32 v93, 0x3030303, v0
	v_bfe_u32 v0, v0, 24, 2
	s_delay_alu instid0(VALU_DEP_4) | instskip(SKIP_1) | instid1(VALU_DEP_4)
	v_dual_lshrrev_b32 v156, 24, v2 :: v_dual_lshrrev_b32 v172, 16, v2
	v_lshrrev_b16 v155, 8, v2
	v_lshrrev_b32_e32 v154, 16, v93
	v_lshrrev_b16 v95, 8, v93
	s_delay_alu instid0(VALU_DEP_4)
	v_sub_nc_u16 v0, v0, v156
	v_lshrrev_b32_e32 v156, 24, v3
	v_sub_nc_u16 v93, v93, v2
	v_sub_nc_u16 v213, v154, v172
	v_lshrrev_b32_e32 v172, 16, v3
	v_lshlrev_b16 v0, 8, v0
	s_delay_alu instid0(VALU_DEP_4) | instskip(SKIP_1) | instid1(VALU_DEP_3)
	v_bfe_i32 v227, v93, 0, 8
	v_add3_u32 v93, s21, v105, v106
	v_bitop3_b16 v214, v213, v0, 0xff bitop3:0xec
	v_sub_nc_u16 v0, v95, v155
	v_lshrrev_b16 v155, 8, v3
	s_delay_alu instid0(VALU_DEP_2) | instskip(SKIP_1) | instid1(VALU_DEP_2)
	v_lshlrev_b16 v95, 8, v0
	v_ashrrev_i32_e32 v0, s20, v1
	v_bfe_i32 v228, v95, 8, 8
	s_delay_alu instid0(VALU_DEP_2) | instskip(SKIP_1) | instid1(VALU_DEP_2)
	v_and_b32_e32 v1, 0x3030303, v0
	v_bfe_u32 v0, v0, 24, 2
	v_lshrrev_b32_e32 v154, 16, v1
	s_delay_alu instid0(VALU_DEP_2) | instskip(SKIP_1) | instid1(VALU_DEP_3)
	v_sub_nc_u16 v0, v0, v156
	v_lshrrev_b16 v2, 8, v1
	v_sub_nc_u16 v215, v154, v172
	s_delay_alu instid0(VALU_DEP_3) | instskip(SKIP_1) | instid1(VALU_DEP_2)
	v_lshlrev_b16 v0, 8, v0
	v_sub_nc_u16 v172, v1, v3
	v_bitop3_b16 v216, v215, v0, 0xff bitop3:0xec
	v_sub_nc_u16 v0, v2, v155
	ds_load_2addr_b32 v[2:3], v92 offset0:6 offset1:7
	v_bfe_i32 v229, v172, 0, 8
	v_lshlrev_b16 v217, 8, v0
	v_add_nc_u32_e32 v0, 0x2118, v4
	ds_load_2addr_b32 v[0:1], v0 offset1:1
	s_wait_dscnt 0x1
	v_dual_ashrrev_i32 v2, s16, v2 :: v_dual_ashrrev_i32 v3, s16, v3
	s_delay_alu instid0(VALU_DEP_1) | instskip(SKIP_2) | instid1(VALU_DEP_2)
	v_dual_lshlrev_b32 v2, 2, v2 :: v_dual_lshlrev_b32 v3, 2, v3
	s_wait_dscnt 0x0
	v_ashrrev_i32_e32 v0, s20, v0
	v_and_b32_e32 v2, 0x4040404, v2
	s_delay_alu instid0(VALU_DEP_3) | instskip(NEXT) | instid1(VALU_DEP_3)
	v_and_b32_e32 v3, 0x4040404, v3
	v_and_b32_e32 v154, 0x3030303, v0
	v_bfe_u32 v0, v0, 24, 2
	s_delay_alu instid0(VALU_DEP_4) | instskip(SKIP_1) | instid1(VALU_DEP_4)
	v_dual_lshrrev_b32 v174, 24, v2 :: v_dual_lshrrev_b32 v175, 16, v2
	v_lshrrev_b16 v92, 8, v2
	v_lshrrev_b32_e32 v156, 16, v154
	v_lshrrev_b16 v155, 8, v154
	s_delay_alu instid0(VALU_DEP_4)
	v_sub_nc_u16 v0, v0, v174
	v_sub_nc_u16 v221, v154, v2
	v_lshrrev_b32_e32 v154, 16, v3
	v_sub_nc_u16 v218, v156, v175
	v_lshrrev_b16 v156, 8, v3
	v_lshlrev_b16 v0, 8, v0
	v_bfe_i32 v195, v221, 0, 8
	s_delay_alu instid0(VALU_DEP_2) | instskip(SKIP_2) | instid1(VALU_DEP_2)
	v_bitop3_b16 v219, v218, v0, 0xff bitop3:0xec
	v_sub_nc_u16 v0, v155, v92
	v_lshrrev_b32_e32 v155, 24, v3
	v_lshlrev_b16 v220, 8, v0
	v_ashrrev_i32_e32 v0, s20, v1
	s_delay_alu instid0(VALU_DEP_1) | instskip(SKIP_1) | instid1(VALU_DEP_2)
	v_and_b32_e32 v1, 0x3030303, v0
	v_bfe_u32 v0, v0, 24, 2
	v_lshrrev_b32_e32 v92, 16, v1
	s_delay_alu instid0(VALU_DEP_2)
	v_sub_nc_u16 v0, v0, v155
	v_lshrrev_b16 v2, 8, v1
	v_sub_nc_u16 v222, v1, v3
	v_add3_u32 v1, s23, v103, v104
	v_sub_nc_u16 v154, v92, v154
	v_lshlrev_b16 v0, 8, v0
	ds_load_b32 v92, v1
	v_bitop3_b16 v155, v154, v0, 0xff bitop3:0xec
	v_sub_nc_u16 v0, v2, v156
	ds_load_2addr_b32 v[2:3], v93 offset1:1
	v_lshlrev_b16 v156, 8, v0
	v_add_nc_u32_e32 v0, s22, v45
	ds_load_u16 v0, v0 offset:27378
	s_wait_dscnt 0x1
	v_dual_ashrrev_i32 v2, s16, v2 :: v_dual_ashrrev_i32 v3, s16, v3
	s_delay_alu instid0(VALU_DEP_1)
	v_lshlrev_b32_e32 v3, 2, v3
	s_wait_dscnt 0x0
	v_lshrrev_b16 v1, 8, v0
	v_bfe_i32 v226, v0, 0, 8
	v_add_nc_u32_e32 v0, 0x3180, v4
	v_and_b32_e32 v3, 0x4040404, v3
	s_delay_alu instid0(VALU_DEP_4) | instskip(SKIP_2) | instid1(VALU_DEP_1)
	v_bfe_i32 v95, v1, 0, 8
	ds_load_2addr_b32 v[0:1], v0 offset1:1
	v_lshlrev_b32_e32 v2, 2, v2
	v_and_b32_e32 v2, 0x4040404, v2
	s_delay_alu instid0(VALU_DEP_1) | instskip(SKIP_3) | instid1(VALU_DEP_1)
	v_dual_lshrrev_b32 v172, 16, v2 :: v_dual_lshrrev_b32 v174, 24, v2
	v_lshrrev_b16 v175, 8, v2
	s_wait_dscnt 0x0
	v_ashrrev_i32_e32 v0, s20, v0
	v_and_b32_e32 v5, 0x3030303, v0
	v_bfe_u32 v0, v0, 24, 2
	s_delay_alu instid0(VALU_DEP_2) | instskip(NEXT) | instid1(VALU_DEP_2)
	v_lshrrev_b32_e32 v6, 16, v5
	v_sub_nc_u16 v231, v0, v174
	v_ashrrev_i32_e32 v0, s20, v1
	v_sub_nc_u16 v233, v5, v2
	v_lshrrev_b16 v7, 8, v5
	v_sub_nc_u16 v232, v6, v172
	v_lshrrev_b32_e32 v6, 24, v3
	v_bfe_u32 v1, v0, 24, 2
	v_and_b32_e32 v0, 0x3030303, v0
	v_sub_nc_u16 v230, v7, v175
	v_lshrrev_b32_e32 v7, 16, v3
	v_lshrrev_b16 v172, 8, v3
	v_sub_nc_u16 v237, v1, v6
	v_lshrrev_b32_e32 v2, 16, v0
	v_lshrrev_b16 v5, 8, v0
	v_sub_nc_u16 v234, v0, v3
	v_add_nc_u32_e32 v0, 0x3188, v4
	v_bfe_i32 v231, v231, 0, 16
	v_sub_nc_u16 v236, v2, v7
	ds_load_2addr_b32 v[2:3], v93 offset0:2 offset1:3
	v_sub_nc_u16 v235, v5, v172
	ds_load_2addr_b32 v[0:1], v0 offset1:1
	v_bfe_i32 v230, v230, 0, 16
	v_bfe_i32 v204, v236, 0, 8
	;; [unrolled: 1-line block ×3, first 2 shown]
	s_wait_dscnt 0x1
	v_dual_ashrrev_i32 v2, s16, v2 :: v_dual_ashrrev_i32 v3, s16, v3
	s_wait_dscnt 0x0
	s_delay_alu instid0(VALU_DEP_1) | instskip(NEXT) | instid1(VALU_DEP_2)
	v_dual_ashrrev_i32 v0, s20, v0 :: v_dual_lshlrev_b32 v2, 2, v2
	v_lshlrev_b32_e32 v3, 2, v3
	s_delay_alu instid0(VALU_DEP_2) | instskip(SKIP_1) | instid1(VALU_DEP_4)
	v_bfe_u32 v5, v0, 24, 2
	v_and_b32_e32 v0, 0x3030303, v0
	v_and_b32_e32 v2, 0x4040404, v2
	s_delay_alu instid0(VALU_DEP_4) | instskip(NEXT) | instid1(VALU_DEP_3)
	v_and_b32_e32 v3, 0x4040404, v3
	v_lshrrev_b32_e32 v6, 16, v0
	v_lshrrev_b16 v7, 8, v0
	s_delay_alu instid0(VALU_DEP_4) | instskip(SKIP_3) | instid1(VALU_DEP_3)
	v_sub_nc_u16 v238, v0, v2
	v_dual_ashrrev_i32 v0, s20, v1 :: v_dual_lshrrev_b32 v172, 24, v2
	v_lshrrev_b32_e32 v174, 16, v2
	v_lshrrev_b16 v175, 8, v2
	v_bfe_u32 v1, v0, 24, 2
	v_and_b32_e32 v0, 0x3030303, v0
	s_delay_alu instid0(VALU_DEP_4)
	v_sub_nc_u16 v240, v6, v174
	v_sub_nc_u16 v241, v5, v172
	v_lshrrev_b32_e32 v6, 24, v3
	v_sub_nc_u16 v239, v7, v175
	v_lshrrev_b32_e32 v2, 16, v0
	v_lshrrev_b16 v5, 8, v0
	v_sub_nc_u16 v242, v0, v3
	v_add_nc_u32_e32 v0, 0x3190, v4
	v_lshrrev_b32_e32 v7, 16, v3
	v_sub_nc_u16 v245, v1, v6
	v_lshrrev_b16 v172, 8, v3
	ds_load_2addr_b32 v[0:1], v0 offset1:1
	v_sub_nc_u16 v244, v2, v7
	ds_load_2addr_b32 v[2:3], v93 offset0:4 offset1:5
	v_sub_nc_u16 v243, v5, v172
	s_wait_dscnt 0x0
	v_dual_ashrrev_i32 v0, s20, v0 :: v_dual_ashrrev_i32 v2, s16, v2
	v_ashrrev_i32_e32 v3, s16, v3
	s_delay_alu instid0(VALU_DEP_2) | instskip(SKIP_1) | instid1(VALU_DEP_3)
	v_and_b32_e32 v5, 0x3030303, v0
	v_bfe_u32 v0, v0, 24, 2
	v_dual_lshlrev_b32 v2, 2, v2 :: v_dual_lshlrev_b32 v3, 2, v3
	s_delay_alu instid0(VALU_DEP_3) | instskip(SKIP_1) | instid1(VALU_DEP_3)
	v_lshrrev_b32_e32 v6, 16, v5
	v_lshrrev_b16 v7, 8, v5
	v_and_b32_e32 v2, 0x4040404, v2
	s_delay_alu instid0(VALU_DEP_4) | instskip(NEXT) | instid1(VALU_DEP_2)
	v_and_b32_e32 v3, 0x4040404, v3
	v_dual_lshrrev_b32 v172, 16, v2 :: v_dual_lshrrev_b32 v174, 24, v2
	v_lshrrev_b16 v175, 8, v2
	v_sub_nc_u16 v249, v5, v2
	s_delay_alu instid0(VALU_DEP_3) | instskip(NEXT) | instid1(VALU_DEP_4)
	v_sub_nc_u16 v248, v6, v172
	v_sub_nc_u16 v247, v0, v174
	v_dual_ashrrev_i32 v0, s20, v1 :: v_dual_lshrrev_b32 v6, 24, v3
	v_sub_nc_u16 v246, v7, v175
	v_lshrrev_b32_e32 v7, 16, v3
	v_lshrrev_b16 v172, 8, v3
	s_delay_alu instid0(VALU_DEP_4) | instskip(SKIP_1) | instid1(VALU_DEP_2)
	v_bfe_u32 v1, v0, 24, 2
	v_and_b32_e32 v0, 0x3030303, v0
	v_sub_nc_u16 v253, v1, v6
	s_delay_alu instid0(VALU_DEP_2) | instskip(SKIP_3) | instid1(VALU_DEP_4)
	v_lshrrev_b32_e32 v2, 16, v0
	v_lshrrev_b16 v5, 8, v0
	v_sub_nc_u16 v250, v0, v3
	v_add_nc_u32_e32 v0, 0x3198, v4
	v_sub_nc_u16 v252, v2, v7
	ds_load_2addr_b32 v[2:3], v93 offset0:6 offset1:7
	v_sub_nc_u16 v251, v5, v172
	ds_load_2addr_b32 v[0:1], v0 offset1:1
	s_wait_dscnt 0x1
	v_dual_ashrrev_i32 v2, s16, v2 :: v_dual_ashrrev_i32 v3, s16, v3
	s_wait_dscnt 0x0
	v_ashrrev_i32_e32 v0, s20, v0
	s_add_co_i32 s16, s16, 1
	s_cmp_lt_u32 s17, 30
	v_dual_lshlrev_b32 v2, 2, v2 :: v_dual_lshlrev_b32 v3, 2, v3
	s_delay_alu instid0(VALU_DEP_2) | instskip(SKIP_1) | instid1(VALU_DEP_3)
	v_bfe_u32 v4, v0, 24, 2
	v_and_b32_e32 v0, 0x3030303, v0
	v_and_b32_e32 v2, 0x4040404, v2
	s_delay_alu instid0(VALU_DEP_4) | instskip(NEXT) | instid1(VALU_DEP_3)
	v_and_b32_e32 v3, 0x4040404, v3
	v_lshrrev_b32_e32 v5, 16, v0
	v_lshrrev_b16 v6, 8, v0
	s_delay_alu instid0(VALU_DEP_4) | instskip(SKIP_3) | instid1(VALU_DEP_3)
	v_sub_nc_u16 v254, v0, v2
	v_dual_ashrrev_i32 v0, s20, v1 :: v_dual_lshrrev_b32 v7, 24, v2
	v_lshrrev_b32_e32 v93, 16, v2
	v_lshrrev_b16 v172, 8, v2
	v_bfe_u32 v1, v0, 24, 2
	v_and_b32_e32 v0, 0x3030303, v0
	s_set_vgpr_msb 64                       ;  msbs: dst=1 src0=0 src1=0 src2=0
	v_sub_nc_u16 v0 /*v256*/, v5, v93
	s_set_vgpr_msb 0                        ;  msbs: dst=0 src0=0 src1=0 src2=0
	v_sub_nc_u16 v255, v6, v172
	s_set_vgpr_msb 64                       ;  msbs: dst=1 src0=0 src1=0 src2=0
	v_sub_nc_u16 v1 /*v257*/, v4, v7
	s_set_vgpr_msb 0                        ;  msbs: dst=0 src0=0 src1=0 src2=0
	v_dual_lshrrev_b32 v5, 24, v3 :: v_dual_lshrrev_b32 v6, 16, v3
	v_lshrrev_b32_e32 v2, 16, v0
	v_lshrrev_b16 v4, 8, v0
	v_lshrrev_b16 v7, 8, v3
	v_sub_nc_u16 v174, v0, v3
	v_add3_u32 v0, s23, v107, v108
	v_sub_nc_u16 v176, v2, v6
	v_sub_nc_u16 v177, v1, v5
	;; [unrolled: 1-line block ×3, first 2 shown]
	ds_load_b32 v93, v0
	ds_load_b128 v[4:7], v89
	ds_load_b128 v[0:3], v89 offset:16
	v_or_b32_e32 v162, v163, v162
	v_or_b32_e32 v202, v202, v203
	v_or_b32_e32 v164, v165, v164
	v_perm_b32 v163, v193, v193, 0xc0c0c01
	v_perm_b32 v165, v207, v207, 0xc0c0c01
	v_add_nc_u32_e32 v172, s22, v43
	v_bfe_i32 v193, v248, 0, 8
	ds_load_u16 v138, v138 offset:25330
	ds_load_u16 v149, v149 offset:26354
	s_mov_b32 s22, s17
	s_wait_dscnt 0x3
	s_set_vgpr_msb 64                       ;  msbs: dst=1 src0=0 src1=0 src2=0
	v_lshrrev_b16 v2 /*v258*/, 8, v4
	v_bfe_i32 v8 /*v264*/, v4, 0, 8
	s_set_vgpr_msb 0                        ;  msbs: dst=0 src0=0 src1=0 src2=0
	v_perm_b32 v201, v4, v4, 0xc0c0302
	s_set_vgpr_msb 0x41                     ;  msbs: dst=1 src0=1 src1=0 src2=0
	v_lshrrev_b16 v3 /*v259*/, 8, v5
	v_ashrrev_i32_e32 v6 /*v262*/, 24, v4
	v_bfe_i32 v2 /*v258*/, v2 /*v258*/, 0, 8
	s_set_vgpr_msb 1                        ;  msbs: dst=0 src0=1 src1=0 src2=0
	v_mul_i32_i24_e32 v223, v8 /*v264*/, v223
	s_set_vgpr_msb 64                       ;  msbs: dst=1 src0=0 src1=0 src2=0
	v_bfe_i32 v7 /*v263*/, v4, 16, 8
	v_bfe_i32 v9 /*v265*/, v5, 0, 8
	s_set_vgpr_msb 1                        ;  msbs: dst=0 src0=1 src1=0 src2=0
	v_mul_i32_i24_e32 v194, v8 /*v264*/, v194
	v_mul_i32_i24_e32 v208, v2 /*v258*/, v208
	v_mad_i32_i24 v223, v2 /*v258*/, v224, v223
	s_set_vgpr_msb 0                        ;  msbs: dst=0 src0=0 src1=0 src2=0
	v_perm_b32 v4, v5, v4, 0x5040302
	v_bfe_i32 v224, v232, 0, 8
	v_ashrrev_i32_e32 v232, 24, v5
	s_set_vgpr_msb 1                        ;  msbs: dst=0 src0=1 src1=0 src2=0
	v_mad_i32_i24 v166, v8 /*v264*/, v166, v208
	s_set_vgpr_msb 0                        ;  msbs: dst=0 src0=0 src1=0 src2=0
	v_dot4_i32_iu8 v200, v201, v200, v223 neg_lo:[1,1,0]
	v_bfe_i32 v223, v233, 0, 8
	s_set_vgpr_msb 1                        ;  msbs: dst=0 src0=1 src1=0 src2=0
	v_bfe_i32 v233, v3 /*v259*/, 0, 8
	s_set_vgpr_msb 64                       ;  msbs: dst=1 src0=0 src1=0 src2=0
	v_bfe_i32 v3 /*v259*/, v5, 16, 8
	s_set_vgpr_msb 0                        ;  msbs: dst=0 src0=0 src1=0 src2=0
	v_perm_b32 v203, v5, v5, 0xc030201
	s_set_vgpr_msb 1                        ;  msbs: dst=0 src0=1 src1=0 src2=0
	v_mad_i32_i24 v200, v9 /*v265*/, v225, v200
	v_mad_i32_i24 v191, v2 /*v258*/, v191, v194
	s_set_vgpr_msb 0                        ;  msbs: dst=0 src0=0 src1=0 src2=0
	v_perm_b32 v5, v6, v5, 0x5040302
	v_ashrrev_i32_e32 v167, 24, v7
	v_dot4_i32_iu8 v4, v4, v162, v166 neg_lo:[1,1,0]
	s_set_vgpr_msb 64                       ;  msbs: dst=1 src0=0 src1=0 src2=0
	v_lshrrev_b16 v4 /*v260*/, 8, v6
	s_set_vgpr_msb 0                        ;  msbs: dst=0 src0=0 src1=0 src2=0
	v_dot4_i32_iu8 v200, v203, v202, v200 neg_lo:[1,1,0]
	v_bfe_i32 v202, v237, 0, 16
	v_bfe_i32 v225, v235, 0, 16
	;; [unrolled: 1-line block ×3, first 2 shown]
	v_dot4_i32_iu8 v186, v201, v186, v191 neg_lo:[1,1,0]
	v_perm_b32 v162, v192, v190, 0xc05000c
	v_dot4_i32_iu8 v164, v5, v164, v4 neg_lo:[1,1,0]
	v_perm_b32 v5, v206, v205, 0xc05000c
	v_mul_i32_i24_e32 v225, v225, v233
	v_mul_i32_i24_e32 v202, v202, v232
	v_ashrrev_i32_e32 v232, 24, v6
	s_set_vgpr_msb 1                        ;  msbs: dst=0 src0=1 src1=0 src2=0
	v_bfe_i32 v233, v4 /*v260*/, 0, 8
	s_set_vgpr_msb 0                        ;  msbs: dst=0 src0=0 src1=0 src2=0
	v_bfe_i32 v236, v6, 16, 8
	s_set_vgpr_msb 1                        ;  msbs: dst=0 src0=1 src1=0 src2=0
	v_mad_i32_i24 v186, v9 /*v265*/, v196, v186
	s_set_vgpr_msb 0                        ;  msbs: dst=0 src0=0 src1=0 src2=0
	v_or_b32_e32 v162, v162, v163
	v_mad_i32_i24 v4, v235, v199, v200
	v_or_b32_e32 v5, v5, v165
	v_perm_b32 v6, v6, v6, 0xc030201
	v_mul_i32_i24_e32 v163, v233, v197
	v_bfe_i32 v171, v7, 0, 8
	s_wait_dscnt 0x2
	v_ashrrev_i32_e32 v197, 24, v1
	v_dot4_i32_iu8 v162, v203, v162, v186 neg_lo:[1,1,0]
	v_dot4_i32_iu8 v4, v6, v5, v4 neg_lo:[1,1,0]
	v_bfe_i32 v186, v212, 0, 8
	v_pk_mul_lo_u16 v173, v173, v236 op_sel_hi:[1,0]
	s_set_vgpr_msb 64                       ;  msbs: dst=1 src0=0 src1=0 src2=0
	v_lshrrev_b16 v5 /*v261*/, 8, v7
	s_set_vgpr_msb 4                        ;  msbs: dst=0 src0=0 src1=1 src2=0
	v_bfe_i32 v5, v241, 0, 16
	v_bfe_i32 v165, v239, 0, 16
	v_mul_i32_i24_e32 v230, v230, v2 /*v258*/
	v_mul_i32_i24_e32 v234, v234, v9 /*v265*/
	;; [unrolled: 1-line block ×3, first 2 shown]
	v_bfe_i32 v6, v240, 0, 8
	v_bfe_i32 v166, v238, 0, 8
	s_set_vgpr_msb 0                        ;  msbs: dst=0 src0=0 src1=0 src2=0
	v_mul_i32_i24_e32 v165, v165, v233
	s_set_vgpr_msb 1                        ;  msbs: dst=0 src0=1 src1=0 src2=0
	v_bfe_i32 v168, v5 /*v261*/, 0, 8
	s_set_vgpr_msb 0                        ;  msbs: dst=0 src0=0 src1=0 src2=0
	v_bfe_i32 v170, v7, 16, 8
	v_bfe_i32 v190, v244, 0, 8
	;; [unrolled: 1-line block ×4, first 2 shown]
	v_mul_i32_i24_e32 v166, v166, v235
	v_bfe_i32 v203, v251, 0, 16
	v_mul_i32_i24_e32 v170, v190, v170
	v_mul_i32_i24_e32 v168, v191, v168
	;; [unrolled: 1-line block ×3, first 2 shown]
	s_set_vgpr_msb 4                        ;  msbs: dst=0 src0=0 src1=1 src2=0
	v_mad_i32_i24 v190, v224, v7 /*v263*/, v204
	v_mad_i32_i24 v191, v223, v8 /*v264*/, v234
	v_bfe_i32 v205, v157, 8, 8
	v_bfe_i32 v196, v246, 0, 16
	;; [unrolled: 1-line block ×4, first 2 shown]
	s_set_vgpr_msb 0                        ;  msbs: dst=0 src0=0 src1=0 src2=0
	v_add3_u32 v166, v191, v166, v192
	v_perm_b32 v191, v214, v213, 0xc0c0500
	v_perm_b32 v192, v0, v0, 0xc0c0302
	;; [unrolled: 1-line block ×4, first 2 shown]
	v_mul_i32_i24_e32 v128, v232, v128
	v_mad_i32_i24 v162, v235, v198, v162
	v_bfe_i32 v198, v1, 16, 8
	v_bfe_i32 v159, v3, 16, 8
	v_or_b32_e32 v200, v200, v201
	v_perm_b32 v201, v1, v1, 0xc030201
	v_bfe_i32 v194, v247, 0, 16
	v_bfe_i32 v204, v250, 0, 8
	v_mul_i32_i24_e32 v139, v232, v139
	v_mul_i32_i24_e32 v143, v171, v143
	v_mad_i32_i24 v4, v171, v186, v4
	v_perm_b32 v186, v210, v209, 0xc05000c
	v_mul_i32_i24_e32 v5, v5, v232
	v_mul_i32_i24_e32 v6, v6, v236
	v_add3_u32 v165, v230, v225, v165
	v_mul_i32_i24_e32 v204, v204, v199
	v_or_b32_e32 v186, v186, v187
	v_perm_b32 v187, v7, v7, 0xc030201
	v_add3_u32 v6, v190, v6, v170
	v_bfe_i32 v170, v0, 16, 8
	s_delay_alu instid0(VALU_DEP_3) | instskip(SKIP_1) | instid1(VALU_DEP_2)
	v_dot4_i32_iu8 v4, v187, v186, v4 neg_lo:[1,1,0]
	v_bfe_i32 v186, v245, 0, 16
	v_mul_lo_u32 v4, v4, v226
	s_delay_alu instid0(VALU_DEP_2) | instskip(SKIP_4) | instid1(VALU_DEP_2)
	v_mul_i32_i24_e32 v167, v186, v167
	s_set_vgpr_msb 4                        ;  msbs: dst=0 src0=0 src1=1 src2=0
	v_mad_i32_i24 v186, v231, v6 /*v262*/, v202
	v_bfe_i32 v202, v252, 0, 8
	s_set_vgpr_msb 0                        ;  msbs: dst=0 src0=0 src1=0 src2=0
	v_add3_u32 v5, v186, v5, v167
	v_bfe_i32 v186, v0, 0, 8
	s_delay_alu instid0(VALU_DEP_3)
	v_mul_i32_i24_e32 v198, v202, v198
	v_bfe_i32 v202, v2, 0, 8
	v_lshrrev_b16 v167, 8, v3
	v_add3_u32 v5, v165, v168, v5
	v_lshrrev_b16 v165, 8, v1
	v_mul_i32_i24_e32 v190, v186, v227
	v_mul_i32_i24_e32 v184, v186, v184
	v_ashrrev_i32_e32 v168, 24, v0
	v_bfe_i32 v158, v167, 0, 8
	v_mad_i32_i24 v133, v193, v170, v198
	v_add3_u32 v5, v166, v6, v5
	v_lshrrev_b16 v6, 8, v0
	v_bfe_i32 v165, v165, 0, 8
	v_perm_b32 v0, v1, v0, 0x5040302
	v_lshrrev_b16 v166, 8, v2
	v_perm_b32 v1, v2, v1, 0x5040302
	v_bfe_i32 v6, v6, 0, 8
	v_mul_i32_i24_e32 v165, v203, v165
	v_bfe_i32 v203, v2, 16, 8
	v_bfe_i32 v166, v166, 0, 8
	s_delay_alu instid0(VALU_DEP_4)
	v_mad_i32_i24 v190, v6, v228, v190
	v_mul_i32_i24_e32 v205, v6, v205
	v_mul_i32_i24_e32 v196, v196, v6
	v_pk_mul_lo_u16 v169, v169, v203 op_sel_hi:[1,0]
	v_mad_i32_i24 v6, v6, v181, v184
	v_or_b32_e32 v150, v151, v150
	v_perm_b32 v151, v183, v183, 0xc0c0c01
	v_dot4_i32_iu8 v190, v192, v191, v190 neg_lo:[1,1,0]
	v_mad_i32_i24 v157, v186, v157, v205
	v_dot4_i32_iu8 v6, v192, v178, v6 neg_lo:[1,1,0]
	v_bfe_i32 v178, v173, 0, 16
	v_ashrrev_i32_e32 v132, 16, v169
	v_bfe_i32 v131, v169, 0, 16
	v_bfe_i32 v191, v249, 0, 8
	v_ashrrev_i32_e32 v173, 16, v173
	v_mad_i32_i24 v190, v199, v229, v190
	v_dot4_i32_iu8 v0, v0, v150, v157 neg_lo:[1,1,0]
	v_perm_b32 v150, v182, v180, 0xc05000c
	v_mad_i32_i24 v6, v199, v185, v6
	v_add3_u32 v128, v164, v178, v128
	v_ashrrev_i32_e32 v157, 24, v3
	v_add3_u32 v162, v162, v163, v173
	v_dot4_i32_iu8 v190, v201, v200, v190 neg_lo:[1,1,0]
	v_bfe_i32 v200, v253, 0, 16
	v_or_b32_e32 v150, v150, v151
	v_perm_b32 v151, v153, v152, 0xc0c0500
	v_perm_b32 v152, v161, v160, 0x5000c0c
	v_dot4_i32_iu8 v7, v7, v129, v128 neg_lo:[1,1,0]
	v_perm_b32 v128, v141, v140, 0xc05000c
	v_perm_b32 v129, v142, v142, 0xc0c0c01
	v_bfe_i32 v160, v3, 0, 8
	v_bfe_i32 v161, v222, 0, 8
	;; [unrolled: 1-line block ×3, first 2 shown]
	v_add3_u32 v139, v162, v139, v143
	v_mul_i32_i24_e32 v197, v200, v197
	v_ashrrev_i32_e32 v200, 24, v2
	v_dot4_i32_iu8 v6, v201, v150, v6 neg_lo:[1,1,0]
	v_or_b32_e32 v151, v152, v151
	v_mul_i32_i24_e32 v150, v166, v188
	v_or_b32_e32 v128, v128, v129
	v_bfe_i32 v129, v144, 8, 8
	v_perm_b32 v152, v220, v220, 0xc0c0c01
	v_perm_b32 v2, v2, v2, 0xc030201
	v_mul_i32_i24_e32 v153, v153, v202
	v_mad_i32_i24 v6, v202, v189, v6
	v_dot4_i32_iu8 v0, v1, v151, v0 neg_lo:[1,1,0]
	v_mul_i32_i24_e32 v130, v200, v130
	v_mul_i32_i24_e32 v129, v200, v129
	v_perm_b32 v151, v219, v218, 0xc05000c
	v_mad_i32_i24 v1, v202, v195, v190
	v_dot4_i32_iu8 v128, v187, v128, v139 neg_lo:[1,1,0]
	v_add3_u32 v6, v6, v150, v132
	v_add3_u32 v0, v0, v131, v130
	v_mul_i32_i24_e32 v130, v160, v148
	v_or_b32_e32 v151, v151, v152
	v_bfe_i32 v152, v255, 0, 16
	v_bfe_i32 v131, v174, 0, 8
	v_mad_i32_i24 v132, v194, v168, v197
	v_add3_u32 v6, v6, v129, v130
	v_perm_b32 v129, v137, v136, 0xc0c0500
	v_perm_b32 v130, v135, v134, 0x5000c0c
	v_dot4_i32_iu8 v1, v2, v151, v1 neg_lo:[1,1,0]
	s_set_vgpr_msb 1                        ;  msbs: dst=0 src0=1 src1=0 src2=0
	v_bfe_i32 v2, v1 /*v257*/, 0, 16
	v_bfe_i32 v151, v0 /*v256*/, 0, 8
	s_set_vgpr_msb 0                        ;  msbs: dst=0 src0=0 src1=0 src2=0
	v_mul_i32_i24_e32 v152, v152, v166
	v_mul_i32_i24_e32 v131, v131, v160
	v_mad_i32_i24 v134, v191, v186, v204
	v_or_b32_e32 v129, v130, v129
	v_perm_b32 v130, v147, v147, 0xc0c0c01
	v_mul_i32_i24_e32 v2, v2, v200
	v_mul_i32_i24_e32 v151, v151, v203
	v_add3_u32 v135, v196, v165, v152
	v_add3_u32 v131, v134, v153, v131
	v_dot4_i32_iu8 v129, v3, v129, v0 neg_lo:[1,1,0]
	v_perm_b32 v0, v146, v145, 0xc05000c
	v_perm_b32 v3, v3, v3, 0xc030201
	s_delay_alu instid0(VALU_DEP_2) | instskip(SKIP_1) | instid1(VALU_DEP_2)
	v_or_b32_e32 v0, v0, v130
	v_perm_b32 v130, v156, v156, 0xc0c0c01
	v_dot4_i32_iu8 v6, v3, v0, v6 neg_lo:[1,1,0]
	v_mad_i32_i24 v0, v160, v161, v1
	v_perm_b32 v1, v155, v154, 0xc05000c
	s_delay_alu instid0(VALU_DEP_1) | instskip(NEXT) | instid1(VALU_DEP_1)
	v_or_b32_e32 v1, v1, v130
	v_dot4_i32_iu8 v130, v3, v1, v0 neg_lo:[1,1,0]
	v_bfe_i32 v0, v177, 0, 16
	v_bfe_i32 v1, v176, 0, 8
	v_bfe_i32 v3, v175, 0, 16
	s_delay_alu instid0(VALU_DEP_3) | instskip(NEXT) | instid1(VALU_DEP_3)
	v_mul_i32_i24_e32 v0, v0, v157
	v_mul_i32_i24_e32 v1, v1, v159
	s_delay_alu instid0(VALU_DEP_3) | instskip(NEXT) | instid1(VALU_DEP_3)
	v_mul_i32_i24_e32 v3, v3, v158
	v_add3_u32 v0, v132, v2, v0
	s_delay_alu instid0(VALU_DEP_3) | instskip(NEXT) | instid1(VALU_DEP_2)
	v_add3_u32 v1, v133, v151, v1
	v_add3_u32 v0, v135, v3, v0
	v_pk_mul_f32 v[2:3], v[88:89], v[92:93] op_sel_hi:[0,1]
	s_delay_alu instid0(VALU_DEP_2)
	v_add3_u32 v131, v131, v1, v0
	ds_load_u16 v0, v172 offset:28402
	s_wait_dscnt 0x2
	v_lshrrev_b16 v166, 8, v138
	s_wait_dscnt 0x1
	v_lshrrev_b16 v167, 8, v149
	v_bfe_i32 v149, v149, 0, 8
	v_bfe_i32 v138, v138, 0, 8
	;; [unrolled: 1-line block ×3, first 2 shown]
	s_delay_alu instid0(VALU_DEP_4) | instskip(NEXT) | instid1(VALU_DEP_4)
	v_bfe_i32 v167, v167, 0, 8
	v_mul_lo_u32 v128, v128, v149
	s_delay_alu instid0(VALU_DEP_4) | instskip(NEXT) | instid1(VALU_DEP_2)
	v_mul_lo_u32 v7, v7, v138
	v_mad_u32 v6, v6, v167, v128
	s_delay_alu instid0(VALU_DEP_2) | instskip(SKIP_3) | instid1(VALU_DEP_2)
	v_mad_u32 v7, v129, v166, v7
	s_wait_dscnt 0x0
	v_lshrrev_b16 v1, 8, v0
	v_bfe_i32 v0, v0, 0, 8
	v_bfe_i32 v132, v1, 0, 8
	s_delay_alu instid0(VALU_DEP_2)
	v_mul_lo_u32 v5, v5, v0
	v_pk_mul_f32 v[0:1], v[88:89], v[90:91] op_sel_hi:[0,1]
	v_mad_u32 v88, v130, v95, v4
	v_add_nc_u32_e32 v89, 32, v89
	v_cvt_f32_i32_e32 v4, v7
	v_mad_u32 v90, v131, v132, v5
	v_cvt_f32_i32_e32 v5, v6
	v_cvt_f32_i32_e32 v6, v88
	s_delay_alu instid0(VALU_DEP_2) | instskip(NEXT) | instid1(VALU_DEP_4)
	v_pk_fma_f32 v[18:19], v[0:1], v[4:5], v[18:19]
	v_cvt_f32_i32_e32 v7, v90
	s_delay_alu instid0(VALU_DEP_1)
	v_pk_fma_f32 v[20:21], v[2:3], v[6:7], v[20:21]
	s_cbranch_scc1 .LBB209_35
; %bb.36:                               ;   in Loop: Header=BB209_5 Depth=1
	s_barrier_signal -1
	s_barrier_wait -1
	s_branch .LBB209_4
.LBB209_37:
	v_mov_b32_e32 v18, 0
	s_delay_alu instid0(VALU_DEP_1)
	v_dual_mov_b32 v19, v18 :: v_dual_mov_b32 v20, v18
	v_mov_b32_e32 v21, v18
.LBB209_38:
	s_mul_i32 s0, s7, s4
	s_wait_loadcnt 0x0
	v_cmp_gt_i32_e32 vcc_lo, s0, v9
	s_and_saveexec_b32 s0, vcc_lo
	s_cbranch_execz .LBB209_47
; %bb.39:
	v_mul_lo_u32 v0, v9, s6
	v_add_nc_u32_e32 v1, s18, v11
	s_mov_b32 s0, exec_lo
	s_delay_alu instid0(VALU_DEP_1)
	v_cmpx_gt_u32_e64 s6, v1
	s_cbranch_execz .LBB209_41
; %bb.40:
	s_delay_alu instid0(VALU_DEP_3)
	v_add_nc_u32_e32 v2, v0, v1
	v_cvt_f16_f32_e32 v3, v18
	global_store_b16 v2, v3, s[8:9] scale_offset
.LBB209_41:
	s_wait_xcnt 0x0
	s_or_b32 exec_lo, exec_lo, s0
	v_add_nc_u32_e32 v2, 32, v1
	s_mov_b32 s0, exec_lo
	s_delay_alu instid0(VALU_DEP_1)
	v_cmpx_gt_u32_e64 s6, v2
	s_cbranch_execz .LBB209_43
; %bb.42:
	v_add_nc_u32_e32 v2, v0, v2
	v_cvt_f16_f32_e32 v3, v19
	global_store_b16 v2, v3, s[8:9] scale_offset
.LBB209_43:
	s_wait_xcnt 0x0
	s_or_b32 exec_lo, exec_lo, s0
	v_add_nc_u32_e32 v2, 64, v1
	s_mov_b32 s0, exec_lo
	s_delay_alu instid0(VALU_DEP_1)
	v_cmpx_gt_u32_e64 s6, v2
	s_cbranch_execz .LBB209_45
; %bb.44:
	v_add_nc_u32_e32 v2, v0, v2
	v_cvt_f16_f32_e32 v3, v20
	global_store_b16 v2, v3, s[8:9] scale_offset
.LBB209_45:
	s_wait_xcnt 0x0
	s_or_b32 exec_lo, exec_lo, s0
	v_add_nc_u32_e32 v1, 0x60, v1
	s_delay_alu instid0(VALU_DEP_1)
	v_cmp_gt_u32_e32 vcc_lo, s6, v1
	s_and_b32 exec_lo, exec_lo, vcc_lo
	s_cbranch_execz .LBB209_47
; %bb.46:
	v_add_nc_u32_e32 v0, v0, v1
	v_cvt_f16_f32_e32 v1, v21
	global_store_b16 v0, v1, s[8:9] scale_offset
.LBB209_47:
	s_sendmsg sendmsg(MSG_DEALLOC_VGPRS)
	s_endpgm
	.section	.rodata,"a",@progbits
	.p2align	6, 0x0
	.amdhsa_kernel _ZL8moe_q3_KIN3c104HalfELb0EEvPKvS3_PT_PKiS7_S7_iiiiiii
		.amdhsa_group_segment_fixed_size 31776
		.amdhsa_private_segment_fixed_size 0
		.amdhsa_kernarg_size 76
		.amdhsa_user_sgpr_count 2
		.amdhsa_user_sgpr_dispatch_ptr 0
		.amdhsa_user_sgpr_queue_ptr 0
		.amdhsa_user_sgpr_kernarg_segment_ptr 1
		.amdhsa_user_sgpr_dispatch_id 0
		.amdhsa_user_sgpr_kernarg_preload_length 0
		.amdhsa_user_sgpr_kernarg_preload_offset 0
		.amdhsa_user_sgpr_private_segment_size 0
		.amdhsa_wavefront_size32 1
		.amdhsa_uses_dynamic_stack 0
		.amdhsa_enable_private_segment 0
		.amdhsa_system_sgpr_workgroup_id_x 1
		.amdhsa_system_sgpr_workgroup_id_y 1
		.amdhsa_system_sgpr_workgroup_id_z 0
		.amdhsa_system_sgpr_workgroup_info 0
		.amdhsa_system_vgpr_workitem_id 1
		.amdhsa_next_free_vgpr 326
		.amdhsa_next_free_sgpr 27
		.amdhsa_named_barrier_count 0
		.amdhsa_reserve_vcc 1
		.amdhsa_float_round_mode_32 0
		.amdhsa_float_round_mode_16_64 0
		.amdhsa_float_denorm_mode_32 3
		.amdhsa_float_denorm_mode_16_64 3
		.amdhsa_fp16_overflow 0
		.amdhsa_memory_ordered 1
		.amdhsa_forward_progress 1
		.amdhsa_inst_pref_size 255
		.amdhsa_round_robin_scheduling 0
		.amdhsa_exception_fp_ieee_invalid_op 0
		.amdhsa_exception_fp_denorm_src 0
		.amdhsa_exception_fp_ieee_div_zero 0
		.amdhsa_exception_fp_ieee_overflow 0
		.amdhsa_exception_fp_ieee_underflow 0
		.amdhsa_exception_fp_ieee_inexact 0
		.amdhsa_exception_int_div_zero 0
	.end_amdhsa_kernel
	.section	.text._ZL8moe_q3_KIN3c104HalfELb0EEvPKvS3_PT_PKiS7_S7_iiiiiii,"axG",@progbits,_ZL8moe_q3_KIN3c104HalfELb0EEvPKvS3_PT_PKiS7_S7_iiiiiii,comdat
.Lfunc_end209:
	.size	_ZL8moe_q3_KIN3c104HalfELb0EEvPKvS3_PT_PKiS7_S7_iiiiiii, .Lfunc_end209-_ZL8moe_q3_KIN3c104HalfELb0EEvPKvS3_PT_PKiS7_S7_iiiiiii
                                        ; -- End function
	.set _ZL8moe_q3_KIN3c104HalfELb0EEvPKvS3_PT_PKiS7_S7_iiiiiii.num_vgpr, 326
	.set _ZL8moe_q3_KIN3c104HalfELb0EEvPKvS3_PT_PKiS7_S7_iiiiiii.num_agpr, 0
	.set _ZL8moe_q3_KIN3c104HalfELb0EEvPKvS3_PT_PKiS7_S7_iiiiiii.numbered_sgpr, 27
	.set _ZL8moe_q3_KIN3c104HalfELb0EEvPKvS3_PT_PKiS7_S7_iiiiiii.num_named_barrier, 0
	.set _ZL8moe_q3_KIN3c104HalfELb0EEvPKvS3_PT_PKiS7_S7_iiiiiii.private_seg_size, 0
	.set _ZL8moe_q3_KIN3c104HalfELb0EEvPKvS3_PT_PKiS7_S7_iiiiiii.uses_vcc, 1
	.set _ZL8moe_q3_KIN3c104HalfELb0EEvPKvS3_PT_PKiS7_S7_iiiiiii.uses_flat_scratch, 0
	.set _ZL8moe_q3_KIN3c104HalfELb0EEvPKvS3_PT_PKiS7_S7_iiiiiii.has_dyn_sized_stack, 0
	.set _ZL8moe_q3_KIN3c104HalfELb0EEvPKvS3_PT_PKiS7_S7_iiiiiii.has_recursion, 0
	.set _ZL8moe_q3_KIN3c104HalfELb0EEvPKvS3_PT_PKiS7_S7_iiiiiii.has_indirect_call, 0
	.section	.AMDGPU.csdata,"",@progbits
; Kernel info:
; codeLenInByte = 37220
; TotalNumSgprs: 29
; NumVgprs: 326
; ScratchSize: 0
; MemoryBound: 0
; FloatMode: 240
; IeeeMode: 1
; LDSByteSize: 31776 bytes/workgroup (compile time only)
; SGPRBlocks: 0
; VGPRBlocks: 20
; NumSGPRsForWavesPerEU: 29
; NumVGPRsForWavesPerEU: 326
; NamedBarCnt: 0
; Occupancy: 3
; WaveLimiterHint : 1
; COMPUTE_PGM_RSRC2:SCRATCH_EN: 0
; COMPUTE_PGM_RSRC2:USER_SGPR: 2
; COMPUTE_PGM_RSRC2:TRAP_HANDLER: 0
; COMPUTE_PGM_RSRC2:TGID_X_EN: 1
; COMPUTE_PGM_RSRC2:TGID_Y_EN: 1
; COMPUTE_PGM_RSRC2:TGID_Z_EN: 0
; COMPUTE_PGM_RSRC2:TIDIG_COMP_CNT: 1
	.section	.text._ZL8moe_q3_KIN3c104HalfELb1EEvPKvS3_PT_PKiS7_S7_iiiiiii,"axG",@progbits,_ZL8moe_q3_KIN3c104HalfELb1EEvPKvS3_PT_PKiS7_S7_iiiiiii,comdat
	.globl	_ZL8moe_q3_KIN3c104HalfELb1EEvPKvS3_PT_PKiS7_S7_iiiiiii ; -- Begin function _ZL8moe_q3_KIN3c104HalfELb1EEvPKvS3_PT_PKiS7_S7_iiiiiii
	.p2align	8
	.type	_ZL8moe_q3_KIN3c104HalfELb1EEvPKvS3_PT_PKiS7_S7_iiiiiii,@function
_ZL8moe_q3_KIN3c104HalfELb1EEvPKvS3_PT_PKiS7_S7_iiiiiii: ; @_ZL8moe_q3_KIN3c104HalfELb1EEvPKvS3_PT_PKiS7_S7_iiiiiii
; %bb.0:
	s_load_b128 s[4:7], s[0:1], 0x18
	s_bfe_u32 s2, ttmp6, 0x40010
	s_bfe_u32 s8, ttmp6, 0x40004
	s_add_co_i32 s2, s2, 1
	s_delay_alu instid0(SALU_CYCLE_1)
	s_mul_i32 s3, ttmp7, s2
	s_getreg_b32 s2, hwreg(HW_REG_IB_STS2, 6, 4)
	s_add_co_i32 s8, s8, s3
	s_cmp_eq_u32 s2, 0
	s_cselect_b32 s3, ttmp7, s8
	s_wait_kmcnt 0x0
	s_load_b32 s14, s[6:7], s3 offset:0x0 scale_offset
	s_wait_kmcnt 0x0
	s_cmp_gt_u32 s14, 0xff
	s_cbranch_scc1 .LBB210_47
; %bb.1:
	s_load_b64 s[6:7], s[0:1], 0x28
	s_lshl_b32 s3, s3, 3
	s_wait_kmcnt 0x0
	s_load_b32 s6, s[6:7], 0x0
	s_wait_kmcnt 0x0
	s_cmp_gt_u32 s3, s6
	s_cbranch_scc1 .LBB210_47
; %bb.2:
	v_bfe_u32 v1, v0, 10, 10
	s_and_b32 s11, ttmp6, 15
	v_and_b32_e32 v13, 0x3ff, v0
	s_mov_b32 s15, 0
	s_delay_alu instid0(VALU_DEP_2) | instskip(SKIP_1) | instid1(SALU_CYCLE_1)
	v_add_nc_u32_e32 v2, s3, v1
	s_bfe_u32 s3, ttmp6, 0x4000c
	s_add_co_i32 s3, s3, 1
	s_delay_alu instid0(SALU_CYCLE_1)
	s_mul_i32 s3, ttmp9, s3
	global_load_b32 v9, v2, s[4:5] scale_offset
	s_wait_xcnt 0x0
	s_clause 0x2
	s_load_b128 s[4:7], s[0:1], 0x30
	s_load_b64 s[12:13], s[0:1], 0x10
	s_load_b96 s[8:10], s[0:1], 0x40
	s_add_co_i32 s11, s11, s3
	s_cmp_eq_u32 s2, 0
	s_cselect_b32 s2, ttmp9, s11
	s_delay_alu instid0(SALU_CYCLE_1)
	s_lshl_b32 s11, s2, 7
	s_wait_kmcnt 0x0
	s_cmp_lt_i32 s5, 0x100
	s_cbranch_scc1 .LBB210_37
; %bb.3:
	v_dual_lshlrev_b32 v2, 4, v1 :: v_dual_bitop2_b32 v5, 15, v0 bitop3:0x40
	v_bfe_u32 v3, v0, 1, 9
	s_load_b128 s[0:3], s[0:1], 0x0
	s_mul_i32 s18, s14, s4
	v_mov_b32_e32 v11, 0
	s_not_b32 s4, s11
	v_add_nc_u32_e32 v4, v3, v2
	s_add_co_i32 s14, s6, s4
	v_bfe_u32 v8, v0, 4, 6
	s_abs_i32 s20, s10
	s_ashr_i32 s19, s18, 31
	v_and_b32_e32 v4, 0x7f, v4
	v_add_nc_u32_e32 v52, 0x60, v13
	v_lshl_add_u32 v15, v1, 1, v8
	v_lshlrev_b32_e32 v10, 2, v5
	v_dual_add_nc_u32 v54, 64, v13 :: v_dual_add_nc_u32 v56, 32, v13
	v_min_i32_e32 v4, s14, v4
	s_delay_alu instid0(VALU_DEP_4)
	v_add_min_i32_e64 v62, v15, 16, s14
	v_min_i32_e32 v7, s14, v1
	v_add_min_i32_e64 v68, v15, 64, s14
	v_add_min_i32_e64 v64, v15, 32, s14
	v_ashrrev_i32_e32 v6, 31, v4
	v_and_b32_e32 v12, 1, v0
	s_wait_kmcnt 0x0
	s_add_nc_u64 s[18:19], s[0:1], s[18:19]
	s_cvt_f32_u32 s0, s20
	s_sub_co_i32 s1, 0, s20
	v_lshrrev_b32_e32 v6, 28, v6
	v_add_min_i32_e64 v66, v15, 48, s14
	v_rcp_iflag_f32_e32 v17, s0
	v_lshlrev_b32_e32 v14, 2, v12
	v_add_min_i32_e64 v70, 0x50, v15, s14
	v_add_nc_u32_e32 v6, v4, v6
	v_add_min_i32_e64 v72, 0x60, v15, s14
	v_dual_lshlrev_b32 v40, 6, v64 :: v_dual_min_i32 v60, s14, v15
	s_delay_alu instid0(VALU_DEP_4) | instskip(NEXT) | instid1(VALU_DEP_4)
	v_lshrrev_b32_e32 v26, 31, v70
	v_ashrrev_i32_e32 v6, 4, v6
	v_readfirstlane_b32 s0, v17
	s_delay_alu instid0(VALU_DEP_4)
	v_lshrrev_b32_e32 v16, 31, v60
	v_add_min_i32_e64 v74, 0x70, v15, s14
	v_add_lshl_u32 v26, v70, v26, 1
	v_lshlrev_b32_e32 v6, 2, v6
	s_mul_f32 s0, s0, 0x4f7ffffe
	v_add_lshl_u32 v16, v60, v16, 1
	v_and_b32_e32 v86, 7, v0
	v_dual_lshlrev_b32 v44, 6, v68 :: v_dual_bitop2_b32 v26, -4, v26 bitop3:0x40
	s_cvt_u32_f32 s0, s0
	s_wait_loadcnt 0x0
	v_dual_sub_nc_u32 v21, 0, v9 :: v_dual_bitop2_b32 v16, -4, v16 bitop3:0x40
	v_add3_u32 v6, v6, v14, 0x7380
	s_mul_i32 s1, s1, s0
	v_lshrrev_b32_e32 v14, 31, v62
	s_mul_hi_u32 s1, s0, s1
	v_dual_lshrrev_b32 v25, 31, v68 :: v_dual_max_i32 v21, v9, v21
	s_add_co_i32 s0, s0, s1
	s_delay_alu instid0(VALU_DEP_2) | instskip(SKIP_1) | instid1(VALU_DEP_3)
	v_add_lshl_u32 v19, v62, v14, 1
	v_lshrrev_b32_e32 v20, 31, v64
	v_mul_hi_u32 v23, v21, s0
	v_lshrrev_b32_e32 v22, 31, v66
	v_add3_u32 v15, v26, v10, 0x4200
	v_dual_lshlrev_b32 v19, 6, v60 :: v_dual_bitop2_b32 v17, -4, v19 bitop3:0x40
	v_lshrrev_b32_e32 v29, 31, v72
	s_delay_alu instid0(VALU_DEP_4) | instskip(SKIP_2) | instid1(VALU_DEP_4)
	v_add_lshl_u32 v22, v66, v22, 1
	v_dual_lshlrev_b32 v18, 3, v4 :: v_dual_lshlrev_b32 v14, 2, v86
	v_add_lshl_u32 v20, v64, v20, 1
	v_add_lshl_u32 v29, v72, v29, 1
	v_mul_lo_u32 v27, v23, s20
	v_and_b32_e32 v22, -4, v22
	v_add_lshl_u32 v25, v68, v25, 1
	v_and_b32_e32 v37, 0xfc, v0
	v_add3_u32 v16, v16, v10, 0x4200
	v_add3_u32 v17, v17, v10, 0x4200
	v_dual_lshlrev_b32 v24, 6, v62 :: v_dual_bitop2_b32 v20, -4, v20 bitop3:0x40
	v_dual_lshlrev_b32 v42, 6, v66 :: v_dual_bitop2_b32 v25, -4, v25 bitop3:0x40
	v_dual_sub_nc_u32 v21, v21, v27 :: v_dual_bitop2_b32 v26, -4, v29 bitop3:0x40
	v_dual_add_nc_u32 v27, 1, v23 :: v_dual_lshrrev_b32 v29, 31, v74
	s_delay_alu instid0(VALU_DEP_4) | instskip(SKIP_1) | instid1(VALU_DEP_4)
	v_add3_u32 v20, v20, v10, 0x4200
	v_add3_u32 v22, v22, v10, 0x4200
	v_cmp_le_u32_e32 vcc_lo, s20, v21
	v_lshlrev_b32_e32 v46, 6, v70
	v_subrev_nc_u32_e32 v31, s20, v21
	v_add3_u32 v25, v25, v10, 0x4200
	v_add3_u32 v26, v26, v10, 0x4200
	v_cndmask_b32_e32 v23, v23, v27, vcc_lo
	v_add_lshl_u32 v27, v74, v29, 1
	v_dual_cndmask_b32 v21, v21, v31, vcc_lo :: v_dual_bitop2_b32 v29, s10, v9 bitop3:0x14
	s_ashr_i32 s17, s8, 31
	s_delay_alu instid0(VALU_DEP_3) | instskip(NEXT) | instid1(VALU_DEP_3)
	v_add_nc_u32_e32 v31, 1, v23
	v_and_b32_e32 v33, -4, v27
	v_bfe_u32 v27, v0, 3, 7
	v_cmp_le_u32_e32 vcc_lo, s20, v21
	v_dual_ashrrev_i32 v29, 31, v29 :: v_dual_lshlrev_b32 v50, 6, v74
	s_lshr_b32 s6, s17, 27
	s_delay_alu instid0(VALU_DEP_3) | instskip(SKIP_3) | instid1(VALU_DEP_4)
	v_lshl_add_u32 v45, v1, 2, v27
	v_dual_cndmask_b32 v21, v23, v31, vcc_lo :: v_dual_lshlrev_b32 v23, 6, v72
	v_add3_u32 v48, v33, v10, 0x4200
	v_and_b32_e32 v31, 0x1fc, v54
	v_min_i32_e32 v76, s14, v45
	v_lshlrev_b32_e32 v35, 5, v13
	v_and_b32_e32 v33, 0x1fc, v56
	v_add_nc_u32_e32 v39, v16, v19
	v_add_min_i32_e64 v80, v45, 64, s14
	v_dual_ashrrev_i32 v41, 31, v76 :: v_dual_bitop2_b32 v21, v21, v29 bitop3:0x14
	s_delay_alu instid0(VALU_DEP_4) | instskip(SKIP_1) | instid1(VALU_DEP_3)
	v_dual_add_nc_u32 v31, v35, v31 :: v_dual_add_nc_u32 v33, v35, v33
	v_add_min_i32_e64 v82, 0x60, v45, s14
	v_dual_lshrrev_b32 v16, 30, v41 :: v_dual_add_nc_u32 v41, v17, v24
	s_delay_alu instid0(VALU_DEP_4) | instskip(SKIP_4) | instid1(VALU_DEP_3)
	v_sub_nc_u32_e32 v21, v21, v29
	v_and_b32_e32 v29, 0x1fc, v52
	v_ashrrev_i32_e32 v19, 31, v80
	v_add_nc_u32_e32 v47, v25, v44
	s_add_co_i32 s6, s8, s6
	v_dual_add_nc_u32 v43, v20, v40 :: v_dual_add_nc_u32 v29, v35, v29
	v_dual_add_nc_u32 v35, v35, v37 :: v_dual_add_nc_u32 v37, v6, v18
	v_add_min_i32_e64 v6, v45, 32, s14
	v_add_nc_u32_e32 v45, v22, v42
	v_dual_ashrrev_i32 v20, 31, v82 :: v_dual_bitop2_b32 v18, 3, v0 bitop3:0x40
	v_dual_add_nc_u32 v51, v26, v23 :: v_dual_lshlrev_b32 v22, 5, v76
	s_delay_alu instid0(VALU_DEP_4) | instskip(NEXT) | instid1(VALU_DEP_3)
	v_dual_ashrrev_i32 v17, 31, v6 :: v_dual_add_nc_u32 v16, v76, v16
	v_dual_lshrrev_b32 v19, 30, v19 :: v_dual_lshrrev_b32 v20, 30, v20
	s_delay_alu instid0(VALU_DEP_4) | instskip(NEXT) | instid1(VALU_DEP_3)
	v_cmp_gt_u32_e32 vcc_lo, 2, v18
	v_dual_lshrrev_b32 v17, 30, v17 :: v_dual_add_nc_u32 v49, v15, v46
	s_delay_alu instid0(VALU_DEP_3) | instskip(NEXT) | instid1(VALU_DEP_4)
	v_dual_add_nc_u32 v19, v80, v19 :: v_dual_bitop2_b32 v16, -4, v16 bitop3:0x40
	v_add_nc_u32_e32 v20, v82, v20
	s_delay_alu instid0(VALU_DEP_3) | instskip(SKIP_1) | instid1(VALU_DEP_4)
	v_add_nc_u32_e32 v17, v6, v17
	v_add_nc_u16 v15, v18, -2
	v_add3_u32 v16, v16, v14, 0x6300
	v_dual_add_nc_u32 v53, v48, v50 :: v_dual_bitop2_b32 v19, -4, v19 bitop3:0x40
	s_delay_alu instid0(VALU_DEP_4) | instskip(SKIP_2) | instid1(VALU_DEP_4)
	v_and_b32_e32 v17, -4, v17
	v_dual_lshlrev_b32 v23, 5, v6 :: v_dual_bitop2_b32 v20, -4, v20 bitop3:0x40
	v_cndmask_b32_e32 v15, v15, v18, vcc_lo
	v_add3_u32 v19, v19, v14, 0x6300
	s_delay_alu instid0(VALU_DEP_4) | instskip(SKIP_3) | instid1(VALU_DEP_4)
	v_add3_u32 v17, v17, v14, 0x6300
	v_dual_add_nc_u32 v55, v16, v22 :: v_dual_lshlrev_b32 v16, 5, v80
	v_add3_u32 v20, v20, v14, 0x6300
	v_and_b32_e32 v22, 0xff, v15
	v_dual_add_nc_u32 v57, v17, v23 :: v_dual_lshlrev_b32 v17, 5, v82
	s_delay_alu instid0(VALU_DEP_4) | instskip(SKIP_1) | instid1(VALU_DEP_3)
	v_dual_add_nc_u32 v59, v19, v16 :: v_dual_lshlrev_b32 v63, 1, v18
	v_dual_lshlrev_b32 v19, 2, v13 :: v_dual_bitop2_b32 v18, 31, v0 bitop3:0x40
	v_dual_add_nc_u32 v61, v20, v17 :: v_dual_mov_b32 v17, v11
	s_ashr_i32 s6, s6, 5
	v_add_min_i32_e64 v28, v1, 8, s14
	v_add_min_i32_e64 v30, v1, 16, s14
	;; [unrolled: 1-line block ×7, first 2 shown]
	v_dual_mov_b32 v15, v11 :: v_dual_lshlrev_b32 v16, 2, v22
	v_add_min_i32_e64 v42, v1, 64, s14
	v_add_min_i32_e64 v44, 0x48, v1, s14
	;; [unrolled: 1-line block ×6, first 2 shown]
	v_lshl_add_u32 v65, v1, 7, 0x77a0
	v_add_min_i32_e64 v78, 0x70, v1, s14
	v_add_min_i32_e64 v84, 0x78, v1, s14
	v_dual_mov_b32 v1, v11 :: v_dual_bitop2_b32 v0, 28, v19 bitop3:0x40
	v_dual_mov_b32 v20, v11 :: v_dual_add_nc_u32 v69, 0x7ba0, v2
	v_mul_lo_u32 v22, v21, s6
	s_ashr_i32 s16, s5, 31
	v_lshl_add_u32 v67, v18, 2, v65
	s_lshr_b32 s4, s16, 24
	v_dual_add_nc_u32 v103, v69, v19 :: v_dual_lshlrev_b32 v2, 4, v56
	v_dual_lshrrev_b32 v26, 1, v56 :: v_dual_lshlrev_b32 v88, 1, v56
	v_dual_lshrrev_b32 v89, 4, v56 :: v_dual_lshrrev_b32 v104, 3, v56
	v_dual_lshlrev_b32 v56, 4, v54 :: v_dual_lshrrev_b32 v90, 1, v54
	v_dual_lshlrev_b32 v91, 1, v54 :: v_dual_lshrrev_b32 v92, 4, v54
	v_dual_lshrrev_b32 v105, 3, v54 :: v_dual_lshlrev_b32 v54, 4, v52
	v_mul_u32_u24_e32 v18, 33, v13
	v_add_nc_u64_e32 v[24:25], s[2:3], v[0:1]
	v_lshlrev_b32_e32 v1, 1, v13
	s_add_co_i32 s4, s5, s4
	v_cmp_lt_u32_e64 s1, 7, v5
	s_ashr_i32 s4, s4, 8
	v_mad_u32 v71, 0x84, v7, v19
	v_mad_u32 v73, 0x84, v28, v19
	;; [unrolled: 1-line block ×16, first 2 shown]
	v_dual_lshrrev_b32 v93, 1, v52 :: v_dual_lshlrev_b32 v94, 1, v52
	v_dual_lshrrev_b32 v95, 4, v52 :: v_dual_lshrrev_b32 v106, 3, v52
	v_dual_mov_b32 v18, v11 :: v_dual_lshlrev_b32 v107, 2, v18
	v_dual_lshlrev_b32 v111, 2, v1 :: v_dual_lshlrev_b32 v112, 2, v26
	v_dual_lshlrev_b32 v117, 2, v56 :: v_dual_lshlrev_b32 v119, 2, v91
	s_delay_alu instid0(VALU_DEP_4)
	v_dual_lshlrev_b32 v121, 2, v54 :: v_dual_lshlrev_b32 v122, 2, v95
	v_mul_lo_u32 v26, v7, s4
	v_mul_lo_u32 v28, v28, s4
	;; [unrolled: 1-line block ×29, first 2 shown]
	v_dual_ashrrev_i32 v23, 31, v22 :: v_dual_lshlrev_b32 v0, 4, v13
	v_cndmask_b32_e64 v84, 0, 1, s1
	v_cmp_lt_u32_e64 s1, 3, v86
	s_mul_i32 s16, s4, s11
	v_cmp_gt_u32_e32 vcc_lo, 4, v13
	v_cmp_gt_i32_e64 s0, s7, v21
	s_ashr_i32 s17, s16, 31
	v_dual_mov_b32 v21, v11 :: v_dual_mov_b32 v19, v11
	v_dual_lshlrev_b32 v108, 2, v3 :: v_dual_lshlrev_b32 v109, 2, v0
	v_dual_lshlrev_b32 v113, 2, v2 :: v_dual_bitop2_b32 v110, 4, v1 bitop3:0x40
	v_dual_lshlrev_b32 v114, 2, v89 :: v_dual_lshlrev_b32 v115, 2, v88
	v_dual_lshlrev_b32 v116, 2, v90 :: v_dual_lshlrev_b32 v118, 2, v92
	;; [unrolled: 1-line block ×3, first 2 shown]
	v_lshlrev_b32_e32 v127, 2, v8
	v_add_nc_u32_e32 v124, 0x6f00, v29
	v_add_nc_u32_e32 v125, 0x6700, v33
	;; [unrolled: 1-line block ×3, first 2 shown]
	v_cndmask_b32_e64 v86, 0, 1, s1
	s_mul_u64 s[16:17], s[16:17], 0x6e
	s_and_b32 s8, vcc_lo, s0
	s_add_nc_u64 s[16:17], s[18:19], s[16:17]
	s_mov_b32 s14, s15
	s_branch .LBB210_5
.LBB210_4:                              ;   in Loop: Header=BB210_5 Depth=1
	s_add_co_i32 s14, s14, 2
	s_delay_alu instid0(SALU_CYCLE_1)
	s_cmp_ge_i32 s14, s4
	s_cbranch_scc1 .LBB210_38
.LBB210_5:                              ; =>This Loop Header: Depth=1
                                        ;     Child Loop BB210_11 Depth 2
                                        ;     Child Loop BB210_19 Depth 2
	;; [unrolled: 1-line block ×4, first 2 shown]
	s_mul_u64 s[18:19], s[14:15], 0x6e
	s_delay_alu instid0(SALU_CYCLE_1) | instskip(NEXT) | instid1(SALU_CYCLE_1)
	s_add_nc_u64 s[18:19], s[16:17], s[18:19]
	v_mad_nc_u64_u32 v[0:1], 0x6e, v8, s[18:19]
	v_mad_nc_i64_i32 v[2:3], 0x6e, v58, s[18:19]
	v_mad_nc_u64_u32 v[4:5], 0x6e, v84, s[18:19]
	v_mad_nc_u64_u32 v[6:7], 0x6e, v86, s[18:19]
	s_lshl_b32 s18, s14, 8
	s_delay_alu instid0(SALU_CYCLE_1) | instskip(NEXT) | instid1(VALU_DEP_4)
	s_cmp_lt_i32 s18, s5
	v_mad_nc_i64_i32 v[88:89], 0x6e, v26, v[0:1]
	v_mad_nc_i64_i32 v[90:91], 0x6e, v28, v[0:1]
	;; [unrolled: 1-line block ×9, first 2 shown]
	v_mad_nc_u64_u32 v[2:3], 0x6e, v12, v[2:3]
	v_mad_nc_i64_i32 v[138:139], 0x6e, v44, v[0:1]
	v_add_nc_u64_e32 v[88:89], v[88:89], v[10:11]
	v_add_nc_u64_e32 v[90:91], v[90:91], v[10:11]
	;; [unrolled: 1-line block ×3, first 2 shown]
	v_mad_nc_i64_i32 v[140:141], 0x6e, v46, v[0:1]
	v_add_nc_u64_e32 v[94:95], v[94:95], v[10:11]
	v_mad_nc_i64_i32 v[142:143], 0x6e, v48, v[0:1]
	v_add_nc_u64_e32 v[128:129], v[128:129], v[10:11]
	v_add_nc_u64_e32 v[130:131], v[130:131], v[10:11]
	v_add_nc_u64_e32 v[4:5], v[4:5], v[14:15]
	v_add_nc_u64_e32 v[132:133], v[132:133], v[10:11]
	v_add_nc_u64_e32 v[134:135], v[134:135], v[10:11]
	s_clause 0x7
	global_load_b32 v152, v[88:89], off offset:32
	global_load_b32 v153, v[90:91], off offset:32
	;; [unrolled: 1-line block ×8, first 2 shown]
	s_wait_xcnt 0x6
	v_mad_nc_i64_i32 v[90:91], 0x6e, v50, v[0:1]
	s_wait_xcnt 0x5
	v_mad_nc_i64_i32 v[92:93], 0x6e, v52, v[0:1]
	s_wait_xcnt 0x4
	v_mad_nc_i64_i32 v[94:95], 0x6e, v54, v[0:1]
	v_mad_nc_i64_i32 v[0:1], 0x6e, v56, v[0:1]
	s_wait_xcnt 0x0
	v_mad_nc_i64_i32 v[134:135], 0x6e, v80, v[6:7]
	v_mad_nc_i64_i32 v[148:149], 0x6e, v76, v[6:7]
	v_add_nc_u64_e32 v[88:89], v[136:137], v[10:11]
	v_mad_nc_i64_i32 v[136:137], 0x6e, v82, v[6:7]
	global_load_u16 v160, v[2:3], off offset:108
	s_wait_xcnt 0x0
	v_mad_nc_i64_i32 v[2:3], 0x6e, v60, v[4:5]
	v_add_nc_u64_e32 v[128:129], v[138:139], v[10:11]
	v_mad_nc_i64_i32 v[138:139], 0x6e, v62, v[4:5]
	v_mad_nc_i64_i32 v[6:7], 0x6e, v78, v[6:7]
	v_add_nc_u64_e32 v[130:131], v[140:141], v[10:11]
	v_mad_nc_i64_i32 v[140:141], 0x6e, v64, v[4:5]
	v_add_nc_u64_e32 v[132:133], v[142:143], v[10:11]
	v_mad_nc_i64_i32 v[142:143], 0x6e, v66, v[4:5]
	v_mad_nc_i64_i32 v[144:145], 0x6e, v68, v[4:5]
	;; [unrolled: 1-line block ×3, first 2 shown]
	v_add_nc_u64_e32 v[90:91], v[90:91], v[10:11]
	v_mad_nc_i64_i32 v[150:151], 0x6e, v72, v[4:5]
	v_add_nc_u64_e32 v[92:93], v[92:93], v[10:11]
	v_add_nc_u64_e32 v[94:95], v[94:95], v[10:11]
	;; [unrolled: 1-line block ×3, first 2 shown]
	s_clause 0x9
	global_load_b32 v161, v[134:135], off offset:104
	global_load_b32 v162, v[136:137], off offset:104
	;; [unrolled: 1-line block ×10, first 2 shown]
	s_wait_xcnt 0x0
	v_add_nc_u64_e32 v[0:1], v[148:149], v[16:17]
	v_add_nc_u64_e32 v[90:91], v[134:135], v[16:17]
	s_clause 0x6
	global_load_b32 v92, v[2:3], off
	global_load_b32 v93, v[138:139], off
	;; [unrolled: 1-line block ×7, first 2 shown]
	s_wait_xcnt 0x6
	v_mad_nc_i64_i32 v[2:3], 0x6e, v74, v[4:5]
	v_add_nc_u64_e32 v[88:89], v[6:7], v[16:17]
	v_add_nc_u64_e32 v[4:5], v[136:137], v[16:17]
	s_clause 0x6
	global_load_b32 v131, v[0:1], off offset:96
	global_load_b32 v132, v[6:7], off offset:104
	;; [unrolled: 1-line block ×6, first 2 shown]
	global_load_b32 v137, v[2:3], off
	s_wait_loadcnt 0x20
	ds_store_b32 v71, v152
	s_wait_loadcnt 0x1f
	ds_store_b32 v73, v153
	;; [unrolled: 2-line block ×16, first 2 shown]
	s_wait_xcnt 0x0
	v_cvt_f32_f16_e64 v2, v160
	s_wait_loadcnt 0xd
	v_not_b32_e32 v3, v92
	s_wait_loadcnt 0x6
	v_ashrrev_i32_e32 v90, v110, v131
	v_not_b32_e32 v4, v93
	s_wait_loadcnt 0x3
	v_dual_ashrrev_i32 v93, v63, v132 :: v_dual_ashrrev_i32 v92, v110, v134
	s_wait_loadcnt 0x2
	v_dual_ashrrev_i32 v91, v63, v135 :: v_dual_ashrrev_i32 v0, v63, v161
	v_ashrrev_i32_e32 v1, v63, v162
	v_not_b32_e32 v5, v94
	v_ashrrev_i32_e32 v94, v110, v133
	v_not_b32_e32 v6, v95
	s_wait_loadcnt 0x1
	v_ashrrev_i32_e32 v95, v110, v136
	v_not_b32_e32 v7, v128
	ds_store_b32 v37, v2
	ds_store_b32 v39, v3
	;; [unrolled: 1-line block ×6, first 2 shown]
	v_and_b32_e32 v2, 0xf0f0f0f, v90
	v_dual_lshlrev_b32 v3, 4, v91 :: v_dual_lshlrev_b32 v5, 4, v93
	v_and_b32_e32 v4, 0xf0f0f0f, v92
	v_dual_lshlrev_b32 v0, 4, v0 :: v_dual_lshlrev_b32 v1, 4, v1
	v_and_b32_e32 v6, 0xf0f0f0f, v94
	v_and_b32_e32 v7, 0xf0f0f0f, v95
	v_and_or_b32 v2, 0x30303030, v3, v2
	v_and_or_b32 v3, 0x30303030, v5, v4
	v_not_b32_e32 v88, v129
	v_and_or_b32 v0, 0x30303030, v0, v6
	v_and_or_b32 v1, 0x30303030, v1, v7
	v_lshlrev_b16 v4, 8, v2
	v_dual_lshrrev_b32 v5, 16, v2 :: v_dual_lshrrev_b32 v7, 16, v3
	v_lshlrev_b16 v6, 8, v3
	ds_store_b32 v49, v88
	v_lshlrev_b16 v88, 8, v0
	v_dual_lshrrev_b32 v90, 16, v0 :: v_dual_lshrrev_b32 v92, 16, v1
	v_add_nc_u16 v4, 0xe000, v4
	v_lshlrev_b16 v93, 8, v5
	v_add_nc_u16 v6, 0xe000, v6
	v_lshlrev_b16 v94, 8, v7
	;; [unrolled: 2-line block ×3, first 2 shown]
	v_lshlrev_b16 v91, 8, v1
	v_lshlrev_b16 v129, 8, v92
	v_lshrrev_b16 v4, 8, v4
	v_add_nc_u16 v93, 0xe000, v93
	v_lshrrev_b16 v6, 8, v6
	v_add_nc_u16 v94, 0xe000, v94
	;; [unrolled: 2-line block ×3, first 2 shown]
	v_add_nc_u16 v91, 0xe000, v91
	v_add_nc_u16 v129, 0xe000, v129
	v_bitop3_b16 v2, v2, v4, 0x3f00 bitop3:0xec
	v_lshrrev_b16 v4, 8, v93
	v_bitop3_b16 v3, v3, v6, 0x3f00 bitop3:0xec
	v_lshrrev_b16 v6, 8, v94
	;; [unrolled: 2-line block ×3, first 2 shown]
	v_lshrrev_b16 v91, 8, v91
	v_lshrrev_b16 v93, 8, v129
	v_bitop3_b16 v4, v5, v4, 0x3f00 bitop3:0xec
	v_bitop3_b16 v5, v7, v6, 0x3f00 bitop3:0xec
	;; [unrolled: 1-line block ×5, first 2 shown]
	v_add_nc_u16 v2, 0xe000, v2
	v_add_nc_u16 v4, 0xe000, v4
	;; [unrolled: 1-line block ×8, first 2 shown]
	v_and_b32_e32 v2, 0xffff, v2
	v_dual_lshlrev_b32 v4, 16, v4 :: v_dual_lshlrev_b32 v5, 16, v5
	v_and_b32_e32 v3, 0xffff, v3
	v_and_b32_e32 v0, 0xffff, v0
	v_dual_lshlrev_b32 v6, 16, v6 :: v_dual_lshlrev_b32 v7, 16, v7
	v_and_b32_e32 v1, 0xffff, v1
	v_not_b32_e32 v89, v130
	s_wait_loadcnt 0x0
	v_not_b32_e32 v128, v137
	v_or_b32_e32 v2, v2, v4
	v_or_b32_e32 v3, v3, v5
	v_or_b32_e32 v0, v0, v6
	v_or_b32_e32 v1, v1, v7
	ds_store_b32 v51, v89
	ds_store_b32 v53, v128
	;; [unrolled: 1-line block ×6, first 2 shown]
	s_cbranch_scc0 .LBB210_4
; %bb.6:                                ;   in Loop: Header=BB210_5 Depth=1
	s_lshl_b32 s19, s14, 3
	s_delay_alu instid0(SALU_CYCLE_1) | instskip(NEXT) | instid1(VALU_DEP_1)
	v_add_nc_u32_e32 v0, s19, v27
	v_cmp_gt_i32_e64 s1, s6, v0
	s_and_b32 s20, s0, s1
	s_delay_alu instid0(SALU_CYCLE_1)
	s_and_saveexec_b32 s1, s20
	s_cbranch_execz .LBB210_8
; %bb.7:                                ;   in Loop: Header=BB210_5 Depth=1
	v_add_nc_u32_e32 v0, v22, v0
	s_delay_alu instid0(VALU_DEP_1)
	v_mad_nc_i64_i32 v[0:1], v0, 36, v[24:25]
	global_load_b32 v0, v[0:1], off offset:4
	s_wait_loadcnt 0x0
	ds_store_b32 v67, v0
.LBB210_8:                              ;   in Loop: Header=BB210_5 Depth=1
	s_or_b32 exec_lo, exec_lo, s1
	v_add_nc_u32_e32 v88, s19, v13
	s_delay_alu instid0(VALU_DEP_1) | instskip(SKIP_1) | instid1(SALU_CYCLE_1)
	v_cmp_gt_i32_e64 s1, s6, v88
	s_and_b32 s20, s8, s1
	s_and_saveexec_b32 s1, s20
	s_cbranch_execz .LBB210_10
; %bb.9:                                ;   in Loop: Header=BB210_5 Depth=1
	v_add_nc_u32_e32 v0, v22, v88
	s_delay_alu instid0(VALU_DEP_1)
	v_mad_nc_i64_i32 v[0:1], v0, 36, s[2:3]
	global_load_b32 v0, v[0:1], off
	s_wait_loadcnt 0x0
	v_cvt_f32_f16_e32 v0, v0
	ds_store_b32 v103, v0
.LBB210_10:                             ;   in Loop: Header=BB210_5 Depth=1
	s_or_b32 exec_lo, exec_lo, s1
	v_dual_mov_b32 v89, v69 :: v_dual_mov_b32 v91, v65
	s_mov_b32 s22, -2
	s_mov_b32 s1, 0
	s_mov_b32 s20, 0
	s_wait_dscnt 0x0
	s_barrier_signal -1
	s_barrier_wait -1
.LBB210_11:                             ;   Parent Loop BB210_5 Depth=1
                                        ; =>  This Inner Loop Header: Depth=2
	s_add_co_i32 s21, s22, 2
	s_and_b32 s23, s20, -16
	s_and_b32 s25, s21, 0x3ffffff8
	s_lshr_b32 s24, s21, 4
	s_add_co_i32 s22, s22, s23
	v_lshl_add_u32 v92, s25, 2, v107
	s_lshl_b32 s23, s24, 5
	v_dual_add_nc_u32 v93, s22, v125 :: v_dual_add_nc_u32 v94, s22, v124
	s_lshl_b32 s24, s24, 2
	v_dual_add_nc_u32 v95, s22, v31 :: v_dual_add_nc_u32 v128, s22, v126
	s_addk_co_i32 s23, 0x4200
	s_addk_co_i32 s24, 0x7380
	v_add3_u32 v129, s23, v108, v109
	v_add_nc_u32_e32 v194, 0x2118, v92
	v_add_nc_u32_e32 v196, 0x3180, v92
	;; [unrolled: 1-line block ×5, first 2 shown]
	ds_load_b128 v[4:7], v91
	ds_load_b128 v[0:3], v91 offset:16
	ds_load_b32 v90, v89
	v_add3_u32 v130, s24, v127, v111
	v_add3_u32 v131, s23, v112, v113
	;; [unrolled: 1-line block ×7, first 2 shown]
	ds_load_2addr_b32 v[144:145], v92 offset1:1
	ds_load_2addr_b32 v[146:147], v92 offset0:2 offset1:3
	ds_load_2addr_b32 v[148:149], v92 offset0:4 offset1:5
	;; [unrolled: 1-line block ×3, first 2 shown]
	v_add_nc_u32_e32 v137, 0x1080, v92
	v_add_nc_u32_e32 v138, 0x1088, v92
	;; [unrolled: 1-line block ×7, first 2 shown]
	ds_load_u16 v208, v93 offset:2
	ds_load_u16 v209, v94 offset:2
	;; [unrolled: 1-line block ×4, first 2 shown]
	ds_load_2addr_b32 v[152:153], v129 offset1:1
	ds_load_2addr_b32 v[154:155], v129 offset0:2 offset1:3
	ds_load_2addr_b32 v[156:157], v129 offset0:4 offset1:5
	ds_load_2addr_b32 v[158:159], v129 offset0:6 offset1:7
	ds_load_2addr_b32 v[160:161], v131 offset0:2 offset1:3
	ds_load_2addr_b32 v[162:163], v131 offset0:4 offset1:5
	ds_load_b32 v95, v132
	ds_load_b32 v92, v134
	ds_load_2addr_b32 v[164:165], v135 offset0:2 offset1:3
	ds_load_2addr_b32 v[166:167], v135 offset0:4 offset1:5
	ds_load_b32 v93, v136
	ds_load_b32 v94, v130
	ds_load_2addr_b32 v[168:169], v131 offset1:1
	ds_load_2addr_b32 v[170:171], v131 offset0:6 offset1:7
	ds_load_2addr_b32 v[172:173], v133 offset1:1
	ds_load_2addr_b32 v[174:175], v133 offset0:2 offset1:3
	ds_load_2addr_b32 v[176:177], v133 offset0:4 offset1:5
	;; [unrolled: 1-line block ×3, first 2 shown]
	ds_load_2addr_b32 v[180:181], v135 offset1:1
	ds_load_2addr_b32 v[182:183], v135 offset0:6 offset1:7
	ds_load_2addr_b32 v[184:185], v137 offset1:1
	ds_load_2addr_b32 v[186:187], v138 offset1:1
	;; [unrolled: 1-line block ×12, first 2 shown]
	s_wait_dscnt 0x16
	v_dual_ashrrev_i32 v166, s1, v166 :: v_dual_ashrrev_i32 v167, s1, v167
	v_dual_ashrrev_i32 v152, s1, v152 :: v_dual_ashrrev_i32 v153, s1, v153
	;; [unrolled: 1-line block ×3, first 2 shown]
	s_delay_alu instid0(VALU_DEP_3) | instskip(SKIP_3) | instid1(VALU_DEP_3)
	v_dual_lshlrev_b32 v166, 2, v166 :: v_dual_lshlrev_b32 v167, 2, v167
	s_wait_dscnt 0xd
	v_dual_ashrrev_i32 v180, s1, v180 :: v_dual_ashrrev_i32 v181, s1, v181
	v_dual_lshlrev_b32 v152, 2, v152 :: v_dual_lshlrev_b32 v153, 2, v153
	v_and_b32_e32 v167, 0x4040404, v167
	v_and_b32_e32 v166, 0x4040404, v166
	s_wait_dscnt 0x5
	v_dual_ashrrev_i32 v196, s21, v196 :: v_dual_ashrrev_i32 v197, s21, v197
	v_dual_lshlrev_b32 v180, 2, v180 :: v_dual_lshlrev_b32 v181, 2, v181
	s_wait_dscnt 0x1
	v_dual_ashrrev_i32 v204, s21, v204 :: v_dual_ashrrev_i32 v205, s21, v205
	s_set_vgpr_msb 64                       ;  msbs: dst=1 src0=0 src1=0 src2=0
	v_bfe_u32 v19 /*v275*/, v197, 24, 2
	s_set_vgpr_msb 0                        ;  msbs: dst=0 src0=0 src1=0 src2=0
	v_and_b32_e32 v197, 0x3030303, v197
	s_set_vgpr_msb 64                       ;  msbs: dst=1 src0=0 src1=0 src2=0
	v_lshrrev_b32_e32 v69 /*v325*/, 24, v167
	v_and_b32_e32 v15 /*v271*/, 0x3030303, v204
	v_bfe_u32 v16 /*v272*/, v205, 24, 2
	s_set_vgpr_msb 0                        ;  msbs: dst=0 src0=0 src1=0 src2=0
	v_and_b32_e32 v205, 0x3030303, v205
	v_bfe_u32 v204, v204, 24, 2
	s_set_vgpr_msb 64                       ;  msbs: dst=1 src0=0 src1=0 src2=0
	v_lshrrev_b32_e32 v33 /*v289*/, 16, v197
	s_set_vgpr_msb 0                        ;  msbs: dst=0 src0=0 src1=0 src2=0
	v_and_b32_e32 v152, 0x4040404, v152
	s_set_vgpr_msb 0x45                     ;  msbs: dst=1 src0=1 src1=1 src2=0
	v_sub_nc_u16 v16 /*v272*/, v16 /*v272*/, v69 /*v325*/
	s_set_vgpr_msb 64                       ;  msbs: dst=1 src0=0 src1=0 src2=0
	v_dual_lshrrev_b32 v31 /*v287*/, 16, v205 :: v_dual_lshrrev_b32 v69 /*v325*/, 24, v166
	s_set_vgpr_msb 0                        ;  msbs: dst=0 src0=0 src1=0 src2=0
	v_dual_ashrrev_i32 v156, s1, v156 :: v_dual_ashrrev_i32 v157, s1, v157
	v_dual_lshlrev_b32 v158, 2, v158 :: v_dual_lshlrev_b32 v159, 2, v159
	s_set_vgpr_msb 4                        ;  msbs: dst=0 src0=0 src1=1 src2=0
	v_sub_nc_u16 v204, v204, v69 /*v325*/
	s_set_vgpr_msb 64                       ;  msbs: dst=1 src0=0 src1=0 src2=0
	v_lshrrev_b32_e32 v69 /*v325*/, 16, v167
	v_and_b32_e32 v14 /*v270*/, 0x3030303, v196
	s_set_vgpr_msb 0                        ;  msbs: dst=0 src0=0 src1=0 src2=0
	v_and_b32_e32 v181, 0x4040404, v181
	s_set_vgpr_msb 0x44                     ;  msbs: dst=1 src0=0 src1=1 src2=0
	v_lshrrev_b32_e32 v30 /*v286*/, 16, v15 /*v271*/
	s_set_vgpr_msb 0                        ;  msbs: dst=0 src0=0 src1=0 src2=0
	v_dual_lshlrev_b32 v156, 2, v156 :: v_dual_lshlrev_b32 v157, 2, v157
	s_set_vgpr_msb 0x45                     ;  msbs: dst=1 src0=1 src1=1 src2=0
	v_sub_nc_u16 v31 /*v287*/, v31 /*v287*/, v69 /*v325*/
	s_set_vgpr_msb 64                       ;  msbs: dst=1 src0=0 src1=0 src2=0
	v_lshrrev_b32_e32 v69 /*v325*/, 16, v166
	s_set_vgpr_msb 0                        ;  msbs: dst=0 src0=0 src1=0 src2=0
	v_and_b32_e32 v180, 0x4040404, v180
	v_and_b32_e32 v158, 0x4040404, v158
	s_set_vgpr_msb 0x44                     ;  msbs: dst=1 src0=0 src1=1 src2=0
	v_lshrrev_b32_e32 v32 /*v288*/, 16, v14 /*v270*/
	s_set_vgpr_msb 0                        ;  msbs: dst=0 src0=0 src1=0 src2=0
	v_bfe_u32 v196, v196, 24, 2
	s_set_vgpr_msb 0x45                     ;  msbs: dst=1 src0=1 src1=1 src2=0
	v_sub_nc_u16 v30 /*v286*/, v30 /*v286*/, v69 /*v325*/
	s_set_vgpr_msb 64                       ;  msbs: dst=1 src0=0 src1=0 src2=0
	v_lshrrev_b32_e32 v69 /*v325*/, 24, v181
	s_set_vgpr_msb 0                        ;  msbs: dst=0 src0=0 src1=0 src2=0
	v_and_b32_e32 v157, 0x4040404, v157
	v_dual_ashrrev_i32 v144, s21, v144 :: v_dual_ashrrev_i32 v145, s21, v145
	v_and_b32_e32 v159, 0x4040404, v159
	s_set_vgpr_msb 0x45                     ;  msbs: dst=1 src0=1 src1=1 src2=0
	v_sub_nc_u16 v19 /*v275*/, v19 /*v275*/, v69 /*v325*/
	s_set_vgpr_msb 64                       ;  msbs: dst=1 src0=0 src1=0 src2=0
	v_lshrrev_b32_e32 v69 /*v325*/, 24, v180
	s_set_vgpr_msb 0                        ;  msbs: dst=0 src0=0 src1=0 src2=0
	v_and_b32_e32 v238, 0x3030303, v144
	s_set_vgpr_msb 0x44                     ;  msbs: dst=1 src0=0 src1=1 src2=0
	v_lshrrev_b16 v34 /*v290*/, 8, v14 /*v270*/
	s_set_vgpr_msb 0x41                     ;  msbs: dst=1 src0=1 src1=0 src2=0
	v_sub_nc_u16 v14 /*v270*/, v14 /*v270*/, v180
	s_set_vgpr_msb 0                        ;  msbs: dst=0 src0=0 src1=0 src2=0
	v_dual_ashrrev_i32 v148, s21, v148 :: v_dual_ashrrev_i32 v149, s21, v149
	s_set_vgpr_msb 4                        ;  msbs: dst=0 src0=0 src1=1 src2=0
	v_sub_nc_u16 v196, v196, v69 /*v325*/
	s_set_vgpr_msb 64                       ;  msbs: dst=1 src0=0 src1=0 src2=0
	v_lshrrev_b32_e32 v69 /*v325*/, 16, v181
	s_set_vgpr_msb 0                        ;  msbs: dst=0 src0=0 src1=0 src2=0
	v_and_b32_e32 v239, 0x3030303, v145
	v_lshrrev_b32_e32 v247, 16, v238
	v_dual_ashrrev_i32 v154, s1, v154 :: v_dual_ashrrev_i32 v155, s1, v155
	s_set_vgpr_msb 0x45                     ;  msbs: dst=1 src0=1 src1=1 src2=0
	v_sub_nc_u16 v33 /*v289*/, v33 /*v289*/, v69 /*v325*/
	s_set_vgpr_msb 64                       ;  msbs: dst=1 src0=0 src1=0 src2=0
	v_lshrrev_b32_e32 v69 /*v325*/, 16, v180
	s_set_vgpr_msb 1                        ;  msbs: dst=0 src0=1 src1=0 src2=0
	v_lshrrev_b16 v180, 8, v180
	v_and_b32_e32 v242, 0x3030303, v148
	v_lshrrev_b16 v246, 8, v238
	v_lshrrev_b32_e32 v249, 16, v239
	v_and_b32_e32 v153, 0x4040404, v153
	v_sub_nc_u16 v180, v34 /*v290*/, v180
	s_set_vgpr_msb 64                       ;  msbs: dst=1 src0=0 src1=0 src2=0
	v_lshrrev_b32_e32 v34 /*v290*/, 16, v152
	s_set_vgpr_msb 0                        ;  msbs: dst=0 src0=0 src1=0 src2=0
	v_sub_nc_u16 v238, v238, v152
	v_dual_ashrrev_i32 v146, s21, v146 :: v_dual_ashrrev_i32 v147, s21, v147
	v_dual_lshlrev_b32 v154, 2, v154 :: v_dual_lshlrev_b32 v155, 2, v155
	s_set_vgpr_msb 4                        ;  msbs: dst=0 src0=0 src1=1 src2=0
	v_sub_nc_u16 v247, v247, v34 /*v290*/
	s_set_vgpr_msb 64                       ;  msbs: dst=1 src0=0 src1=0 src2=0
	v_lshrrev_b32_e32 v34 /*v290*/, 24, v152
	s_set_vgpr_msb 0                        ;  msbs: dst=0 src0=0 src1=0 src2=0
	v_lshrrev_b16 v152, 8, v152
	v_lshrrev_b32_e32 v255, 16, v242
	v_and_b32_e32 v240, 0x3030303, v146
	v_lshrrev_b16 v248, 8, v239
	v_and_b32_e32 v154, 0x4040404, v154
	v_sub_nc_u16 v152, v246, v152
	v_lshrrev_b32_e32 v246, 16, v153
	v_sub_nc_u16 v239, v239, v153
	v_lshrrev_b16 v251, 8, v240
	v_and_b32_e32 v241, 0x3030303, v147
	v_lshrrev_b32_e32 v250, 16, v240
	v_sub_nc_u16 v246, v249, v246
	v_lshrrev_b32_e32 v249, 24, v153
	v_lshrrev_b16 v153, 8, v153
	v_and_b32_e32 v155, 0x4040404, v155
	v_sub_nc_u16 v240, v240, v154
	v_lshrrev_b32_e32 v253, 16, v241
	v_lshrrev_b16 v252, 8, v241
	v_sub_nc_u16 v153, v248, v153
	v_lshrrev_b16 v248, 8, v154
	v_and_b32_e32 v156, 0x4040404, v156
	v_sub_nc_u16 v241, v241, v155
	v_dual_ashrrev_i32 v150, s21, v150 :: v_dual_ashrrev_i32 v151, s21, v151
	s_delay_alu instid0(VALU_DEP_4)
	v_sub_nc_u16 v248, v251, v248
	v_dual_lshrrev_b32 v251, 24, v154 :: v_dual_lshrrev_b32 v154, 16, v154
	v_and_b32_e32 v243, 0x3030303, v149
	v_lshrrev_b16 v254, 8, v242
	v_sub_nc_u16 v242, v242, v156
	v_and_b32_e32 v244, 0x3030303, v150
	v_sub_nc_u16 v154, v250, v154
	v_lshrrev_b32_e32 v250, 16, v155
	s_set_vgpr_msb 64                       ;  msbs: dst=1 src0=0 src1=0 src2=0
	v_lshrrev_b32_e32 v1 /*v257*/, 16, v243
	s_set_vgpr_msb 0                        ;  msbs: dst=0 src0=0 src1=0 src2=0
	v_dual_ashrrev_i32 v160, s1, v160 :: v_dual_ashrrev_i32 v161, s1, v161
	s_set_vgpr_msb 64                       ;  msbs: dst=1 src0=0 src1=0 src2=0
	v_lshrrev_b16 v0 /*v256*/, 8, v243
	s_set_vgpr_msb 0                        ;  msbs: dst=0 src0=0 src1=0 src2=0
	v_sub_nc_u16 v250, v253, v250
	v_lshrrev_b32_e32 v253, 24, v155
	v_lshrrev_b16 v155, 8, v155
	s_set_vgpr_msb 64                       ;  msbs: dst=1 src0=0 src1=0 src2=0
	v_lshrrev_b32_e32 v2 /*v258*/, 16, v244
	s_set_vgpr_msb 0                        ;  msbs: dst=0 src0=0 src1=0 src2=0
	v_sub_nc_u16 v243, v243, v157
	v_dual_lshlrev_b32 v160, 2, v160 :: v_dual_lshlrev_b32 v161, 2, v161
	v_sub_nc_u16 v155, v252, v155
	v_lshrrev_b32_e32 v252, 16, v156
	s_set_vgpr_msb 64                       ;  msbs: dst=1 src0=0 src1=0 src2=0
	v_lshrrev_b16 v3 /*v259*/, 8, v244
	s_set_vgpr_msb 0                        ;  msbs: dst=0 src0=0 src1=0 src2=0
	v_and_b32_e32 v245, 0x3030303, v151
	v_dual_ashrrev_i32 v198, s21, v198 :: v_dual_ashrrev_i32 v199, s21, v199
	v_sub_nc_u16 v252, v255, v252
	v_lshrrev_b32_e32 v255, 24, v156
	v_lshrrev_b16 v156, 8, v156
	v_and_b32_e32 v160, 0x4040404, v160
	v_sub_nc_u16 v244, v244, v158
	v_dual_ashrrev_i32 v186, s21, v186 :: v_dual_ashrrev_i32 v187, s21, v187
	s_delay_alu instid0(VALU_DEP_4)
	v_sub_nc_u16 v156, v254, v156
	v_lshrrev_b32_e32 v254, 16, v157
	s_set_vgpr_msb 64                       ;  msbs: dst=1 src0=0 src1=0 src2=0
	v_bfe_u32 v24 /*v280*/, v199, 24, 2
	s_set_vgpr_msb 0                        ;  msbs: dst=0 src0=0 src1=0 src2=0
	v_and_b32_e32 v199, 0x3030303, v199
	s_set_vgpr_msb 64                       ;  msbs: dst=1 src0=0 src1=0 src2=0
	v_lshrrev_b32_e32 v5 /*v261*/, 16, v245
	s_set_vgpr_msb 1                        ;  msbs: dst=0 src0=1 src1=0 src2=0
	v_dual_ashrrev_i32 v162, s1, v162 :: v_dual_ashrrev_i32 v163, s1, v163
	v_sub_nc_u16 v254, v1 /*v257*/, v254
	s_set_vgpr_msb 64                       ;  msbs: dst=1 src0=0 src1=0 src2=0
	v_lshrrev_b32_e32 v1 /*v257*/, 24, v157
	s_set_vgpr_msb 0                        ;  msbs: dst=0 src0=0 src1=0 src2=0
	v_lshrrev_b16 v157, 8, v157
	v_bfe_u32 v151, v151, 24, 2
	v_dual_ashrrev_i32 v184, s21, v184 :: v_dual_ashrrev_i32 v185, s21, v185
	s_set_vgpr_msb 64                       ;  msbs: dst=1 src0=0 src1=0 src2=0
	v_lshrrev_b16 v4 /*v260*/, 8, v245
	s_set_vgpr_msb 1                        ;  msbs: dst=0 src0=1 src1=0 src2=0
	v_sub_nc_u16 v157, v0 /*v256*/, v157
	s_set_vgpr_msb 64                       ;  msbs: dst=1 src0=0 src1=0 src2=0
	v_lshrrev_b16 v0 /*v256*/, 8, v158
	v_and_b32_e32 v8 /*v264*/, 0x3030303, v186
	v_lshrrev_b32_e32 v49 /*v305*/, 16, v199
	s_set_vgpr_msb 0                        ;  msbs: dst=0 src0=0 src1=0 src2=0
	v_sub_nc_u16 v245, v245, v159
	v_dual_ashrrev_i32 v164, s1, v164 :: v_dual_ashrrev_i32 v165, s1, v165
	s_set_vgpr_msb 0x45                     ;  msbs: dst=1 src0=1 src1=1 src2=0
	v_sub_nc_u16 v0 /*v256*/, v3 /*v259*/, v0 /*v256*/
	s_set_vgpr_msb 64                       ;  msbs: dst=1 src0=0 src1=0 src2=0
	v_lshrrev_b32_e32 v3 /*v259*/, 24, v158
	s_set_vgpr_msb 1                        ;  msbs: dst=0 src0=1 src1=0 src2=0
	v_dual_lshrrev_b32 v158, 16, v158 :: v_dual_ashrrev_i32 v168, s1, v168
	v_dual_ashrrev_i32 v169, s1, v169 :: v_dual_ashrrev_i32 v200, s21, v200
	v_ashrrev_i32_e32 v201, s21, v201
	s_delay_alu instid0(VALU_DEP_3)
	v_sub_nc_u16 v158, v2 /*v258*/, v158
	s_set_vgpr_msb 64                       ;  msbs: dst=1 src0=0 src1=0 src2=0
	v_lshrrev_b32_e32 v2 /*v258*/, 16, v159
	s_set_vgpr_msb 0                        ;  msbs: dst=0 src0=0 src1=0 src2=0
	v_dual_lshlrev_b32 v162, 2, v162 :: v_dual_lshlrev_b32 v163, 2, v163
	s_set_vgpr_msb 64                       ;  msbs: dst=1 src0=0 src1=0 src2=0
	v_and_b32_e32 v6 /*v262*/, 0x3030303, v184
	s_set_vgpr_msb 0                        ;  msbs: dst=0 src0=0 src1=0 src2=0
	v_bfe_u32 v186, v186, 24, 2
	s_set_vgpr_msb 0x45                     ;  msbs: dst=1 src0=1 src1=1 src2=0
	v_sub_nc_u16 v2 /*v258*/, v5 /*v261*/, v2 /*v258*/
	s_set_vgpr_msb 64                       ;  msbs: dst=1 src0=0 src1=0 src2=0
	v_lshrrev_b32_e32 v5 /*v261*/, 24, v159
	s_set_vgpr_msb 0                        ;  msbs: dst=0 src0=0 src1=0 src2=0
	v_lshrrev_b16 v159, 8, v159
	s_set_vgpr_msb 64                       ;  msbs: dst=1 src0=0 src1=0 src2=0
	v_and_b32_e32 v9 /*v265*/, 0x3030303, v187
	s_set_vgpr_msb 0                        ;  msbs: dst=0 src0=0 src1=0 src2=0
	v_and_b32_e32 v161, 0x4040404, v161
	s_set_vgpr_msb 0x44                     ;  msbs: dst=1 src0=0 src1=1 src2=0
	v_lshrrev_b16 v41 /*v297*/, 8, v8 /*v264*/
	s_set_vgpr_msb 4                        ;  msbs: dst=0 src0=0 src1=1 src2=0
	v_sub_nc_u16 v151, v151, v5 /*v261*/
	s_set_vgpr_msb 64                       ;  msbs: dst=1 src0=0 src1=0 src2=0
	v_lshrrev_b32_e32 v5 /*v261*/, 24, v160
	s_set_vgpr_msb 1                        ;  msbs: dst=0 src0=1 src1=0 src2=0
	v_sub_nc_u16 v159, v4 /*v260*/, v159
	s_set_vgpr_msb 64                       ;  msbs: dst=1 src0=0 src1=0 src2=0
	v_lshrrev_b16 v4 /*v260*/, 8, v160
	s_set_vgpr_msb 0                        ;  msbs: dst=0 src0=0 src1=0 src2=0
	v_dual_ashrrev_i32 v170, s1, v170 :: v_dual_ashrrev_i32 v171, s1, v171
	v_dual_ashrrev_i32 v172, s1, v172 :: v_dual_ashrrev_i32 v173, s1, v173
	v_bfe_u32 v144, v144, 24, 2
	v_dual_lshlrev_b32 v164, 2, v164 :: v_dual_lshlrev_b32 v165, 2, v165
	v_dual_lshlrev_b32 v168, 2, v168 :: v_dual_lshlrev_b32 v169, 2, v169
	v_bfe_u32 v187, v187, 24, 2
	s_set_vgpr_msb 64                       ;  msbs: dst=1 src0=0 src1=0 src2=0
	v_and_b32_e32 v10 /*v266*/, 0x3030303, v200
	v_and_b32_e32 v11 /*v267*/, 0x3030303, v201
	s_set_vgpr_msb 0                        ;  msbs: dst=0 src0=0 src1=0 src2=0
	v_and_b32_e32 v162, 0x4040404, v162
	v_and_b32_e32 v163, 0x4040404, v163
	s_set_vgpr_msb 0x44                     ;  msbs: dst=1 src0=0 src1=1 src2=0
	v_dual_lshrrev_b32 v38 /*v294*/, 16, v6 /*v262*/ :: v_dual_lshrrev_b32 v40 /*v296*/, 16, v8 /*v264*/
	v_lshrrev_b16 v42 /*v298*/, 8, v9 /*v265*/
	v_dual_lshrrev_b32 v43 /*v299*/, 16, v9 /*v265*/ :: v_dual_lshrrev_b32 v45 /*v301*/, 16, v10 /*v266*/
	s_set_vgpr_msb 0x41                     ;  msbs: dst=1 src0=1 src1=0 src2=0
	v_sub_nc_u16 v8 /*v264*/, v8 /*v264*/, v160
	s_set_vgpr_msb 0                        ;  msbs: dst=0 src0=0 src1=0 src2=0
	v_lshrrev_b32_e32 v160, 16, v160
	s_set_vgpr_msb 0x45                     ;  msbs: dst=1 src0=1 src1=1 src2=0
	v_sub_nc_u16 v4 /*v260*/, v41 /*v297*/, v4 /*v260*/
	s_set_vgpr_msb 64                       ;  msbs: dst=1 src0=0 src1=0 src2=0
	v_lshrrev_b32_e32 v41 /*v297*/, 24, v161
	s_set_vgpr_msb 4                        ;  msbs: dst=0 src0=0 src1=1 src2=0
	v_sub_nc_u16 v186, v186, v5 /*v261*/
	s_set_vgpr_msb 0x41                     ;  msbs: dst=1 src0=1 src1=0 src2=0
	v_lshrrev_b32_e32 v5 /*v261*/, 16, v161
	v_sub_nc_u16 v9 /*v265*/, v9 /*v265*/, v161
	s_set_vgpr_msb 0                        ;  msbs: dst=0 src0=0 src1=0 src2=0
	v_lshrrev_b16 v161, 8, v161
	v_dual_ashrrev_i32 v174, s1, v174 :: v_dual_ashrrev_i32 v175, s1, v175
	v_dual_ashrrev_i32 v176, s1, v176 :: v_dual_ashrrev_i32 v177, s1, v177
	;; [unrolled: 1-line block ×6, first 2 shown]
	v_dual_lshlrev_b32 v170, 2, v170 :: v_dual_lshlrev_b32 v171, 2, v171
	v_dual_lshlrev_b32 v172, 2, v172 :: v_dual_lshlrev_b32 v173, 2, v173
	v_bfe_u32 v200, v200, 24, 2
	v_bfe_u32 v201, v201, 24, 2
	s_set_vgpr_msb 64                       ;  msbs: dst=1 src0=0 src1=0 src2=0
	v_and_b32_e32 v20 /*v276*/, 0x3030303, v198
	s_set_vgpr_msb 0                        ;  msbs: dst=0 src0=0 src1=0 src2=0
	v_and_b32_e32 v164, 0x4040404, v164
	v_and_b32_e32 v165, 0x4040404, v165
	;; [unrolled: 1-line block ×3, first 2 shown]
	s_set_vgpr_msb 0x44                     ;  msbs: dst=1 src0=0 src1=1 src2=0
	v_lshrrev_b16 v44 /*v300*/, 8, v10 /*v266*/
	v_dual_lshrrev_b32 v47 /*v303*/, 16, v11 /*v267*/ :: v_dual_lshrrev_b32 v48 /*v304*/, 16, v20 /*v276*/
	s_set_vgpr_msb 4                        ;  msbs: dst=0 src0=0 src1=1 src2=0
	v_sub_nc_u16 v144, v144, v34 /*v290*/
	s_set_vgpr_msb 1                        ;  msbs: dst=0 src0=1 src1=0 src2=0
	v_sub_nc_u16 v160, v40 /*v296*/, v160
	s_set_vgpr_msb 64                       ;  msbs: dst=1 src0=0 src1=0 src2=0
	v_lshrrev_b32_e32 v40 /*v296*/, 16, v162
	s_set_vgpr_msb 0x45                     ;  msbs: dst=1 src0=1 src1=1 src2=0
	v_sub_nc_u16 v5 /*v261*/, v43 /*v299*/, v5 /*v261*/
	s_set_vgpr_msb 0x41                     ;  msbs: dst=1 src0=1 src1=0 src2=0
	v_lshrrev_b32_e32 v43 /*v299*/, 24, v162
	v_sub_nc_u16 v10 /*v266*/, v10 /*v266*/, v162
	s_set_vgpr_msb 0                        ;  msbs: dst=0 src0=0 src1=0 src2=0
	v_lshrrev_b16 v162, 8, v162
	s_set_vgpr_msb 4                        ;  msbs: dst=0 src0=0 src1=1 src2=0
	v_sub_nc_u16 v187, v187, v41 /*v297*/
	s_set_vgpr_msb 64                       ;  msbs: dst=1 src0=0 src1=0 src2=0
	v_lshrrev_b32_e32 v41 /*v297*/, 16, v163
	s_set_vgpr_msb 1                        ;  msbs: dst=0 src0=1 src1=0 src2=0
	v_sub_nc_u16 v161, v42 /*v298*/, v161
	s_set_vgpr_msb 64                       ;  msbs: dst=1 src0=0 src1=0 src2=0
	v_lshrrev_b32_e32 v42 /*v298*/, 24, v163
	s_set_vgpr_msb 0                        ;  msbs: dst=0 src0=0 src1=0 src2=0
	v_dual_ashrrev_i32 v190, s21, v190 :: v_dual_ashrrev_i32 v191, s21, v191
	v_dual_ashrrev_i32 v192, s21, v192 :: v_dual_ashrrev_i32 v193, s21, v193
	;; [unrolled: 1-line block ×3, first 2 shown]
	s_wait_dscnt 0x0
	v_dual_ashrrev_i32 v206, s21, v206 :: v_dual_ashrrev_i32 v207, s21, v207
	v_dual_lshlrev_b32 v182, 2, v182 :: v_dual_lshlrev_b32 v183, 2, v183
	v_dual_lshlrev_b32 v174, 2, v174 :: v_dual_lshlrev_b32 v175, 2, v175
	;; [unrolled: 1-line block ×4, first 2 shown]
	v_bfe_u32 v184, v184, 24, 2
	s_set_vgpr_msb 64                       ;  msbs: dst=1 src0=0 src1=0 src2=0
	v_and_b32_e32 v7 /*v263*/, 0x3030303, v185
	v_and_b32_e32 v12 /*v268*/, 0x3030303, v202
	v_and_b32_e32 v13 /*v269*/, 0x3030303, v203
	v_and_b32_e32 v21 /*v277*/, 0x3030303, v188
	v_and_b32_e32 v22 /*v278*/, 0x3030303, v189
	s_set_vgpr_msb 0                        ;  msbs: dst=0 src0=0 src1=0 src2=0
	v_bfe_u32 v198, v198, 24, 2
	v_and_b32_e32 v169, 0x4040404, v169
	v_and_b32_e32 v170, 0x4040404, v170
	;; [unrolled: 1-line block ×5, first 2 shown]
	s_set_vgpr_msb 0x44                     ;  msbs: dst=1 src0=0 src1=1 src2=0
	v_lshrrev_b16 v36 /*v292*/, 8, v20 /*v276*/
	v_lshrrev_b16 v46 /*v302*/, 8, v11 /*v267*/
	s_set_vgpr_msb 64                       ;  msbs: dst=1 src0=0 src1=0 src2=0
	v_lshrrev_b16 v50 /*v306*/, 8, v199
	s_set_vgpr_msb 0x44                     ;  msbs: dst=1 src0=0 src1=1 src2=0
	v_lshrrev_b16 v53 /*v309*/, 8, v15 /*v271*/
	s_set_vgpr_msb 64                       ;  msbs: dst=1 src0=0 src1=0 src2=0
	v_lshrrev_b16 v55 /*v311*/, 8, v205
	s_set_vgpr_msb 0x45                     ;  msbs: dst=1 src0=1 src1=1 src2=0
	v_sub_nc_u16 v32 /*v288*/, v32 /*v288*/, v69 /*v325*/
	s_set_vgpr_msb 64                       ;  msbs: dst=1 src0=0 src1=0 src2=0
	v_lshrrev_b16 v69 /*v325*/, 8, v164
	s_set_vgpr_msb 0                        ;  msbs: dst=0 src0=0 src1=0 src2=0
	v_sub_nc_u16 v205, v205, v167
	s_set_vgpr_msb 0x41                     ;  msbs: dst=1 src0=1 src1=0 src2=0
	v_sub_nc_u16 v15 /*v271*/, v15 /*v271*/, v166
	v_sub_nc_u16 v11 /*v267*/, v11 /*v267*/, v163
	s_set_vgpr_msb 0                        ;  msbs: dst=0 src0=0 src1=0 src2=0
	v_lshrrev_b16 v163, 8, v163
	s_set_vgpr_msb 0x45                     ;  msbs: dst=1 src0=1 src1=1 src2=0
	v_sub_nc_u16 v40 /*v296*/, v45 /*v301*/, v40 /*v296*/
	s_set_vgpr_msb 0x41                     ;  msbs: dst=1 src0=1 src1=0 src2=0
	v_lshrrev_b32_e32 v45 /*v301*/, 16, v164
	v_sub_nc_u16 v20 /*v276*/, v20 /*v276*/, v164
	s_set_vgpr_msb 0                        ;  msbs: dst=0 src0=0 src1=0 src2=0
	v_lshrrev_b32_e32 v164, 24, v164
	s_set_vgpr_msb 4                        ;  msbs: dst=0 src0=0 src1=1 src2=0
	v_sub_nc_u16 v200, v200, v43 /*v299*/
	s_set_vgpr_msb 64                       ;  msbs: dst=1 src0=0 src1=0 src2=0
	v_lshrrev_b16 v43 /*v299*/, 8, v165
	s_set_vgpr_msb 1                        ;  msbs: dst=0 src0=1 src1=0 src2=0
	v_sub_nc_u16 v162, v44 /*v300*/, v162
	s_set_vgpr_msb 64                       ;  msbs: dst=1 src0=0 src1=0 src2=0
	v_lshrrev_b32_e32 v44 /*v300*/, 16, v165
	s_set_vgpr_msb 0                        ;  msbs: dst=0 src0=0 src1=0 src2=0
	v_sub_nc_u16 v199, v199, v165
	v_lshrrev_b32_e32 v165, 24, v165
	v_lshrrev_b16 v166, 8, v166
	v_lshrrev_b16 v167, 8, v167
	s_set_vgpr_msb 0x45                     ;  msbs: dst=1 src0=1 src1=1 src2=0
	v_sub_nc_u16 v41 /*v297*/, v47 /*v303*/, v41 /*v297*/
	s_set_vgpr_msb 64                       ;  msbs: dst=1 src0=0 src1=0 src2=0
	v_lshrrev_b32_e32 v47 /*v303*/, 16, v168
	s_set_vgpr_msb 4                        ;  msbs: dst=0 src0=0 src1=1 src2=0
	v_sub_nc_u16 v201, v201, v42 /*v298*/
	s_set_vgpr_msb 64                       ;  msbs: dst=1 src0=0 src1=0 src2=0
	v_lshrrev_b32_e32 v42 /*v298*/, 24, v168
	s_set_vgpr_msb 0                        ;  msbs: dst=0 src0=0 src1=0 src2=0
	v_lshlrev_b16 v144, 8, v144
	v_lshlrev_b16 v153, 8, v153
	v_bfe_u32 v145, v145, 24, 2
	v_bfe_u32 v146, v146, 24, 2
	;; [unrolled: 1-line block ×7, first 2 shown]
	s_set_vgpr_msb 64                       ;  msbs: dst=1 src0=0 src1=0 src2=0
	v_and_b32_e32 v17 /*v273*/, 0x3030303, v206
	v_and_b32_e32 v18 /*v274*/, 0x3030303, v207
	s_set_vgpr_msb 0                        ;  msbs: dst=0 src0=0 src1=0 src2=0
	v_bfe_u32 v188, v188, 24, 2
	v_bfe_u32 v189, v189, 24, 2
	s_set_vgpr_msb 64                       ;  msbs: dst=1 src0=0 src1=0 src2=0
	v_and_b32_e32 v23 /*v279*/, 0x3030303, v190
	v_and_b32_e32 v25 /*v281*/, 0x3030303, v191
	;; [unrolled: 1-line block ×4, first 2 shown]
	s_set_vgpr_msb 0                        ;  msbs: dst=0 src0=0 src1=0 src2=0
	v_and_b32_e32 v182, 0x4040404, v182
	v_and_b32_e32 v183, 0x4040404, v183
	;; [unrolled: 1-line block ×6, first 2 shown]
	s_set_vgpr_msb 0x44                     ;  msbs: dst=1 src0=0 src1=1 src2=0
	v_lshrrev_b16 v37 /*v293*/, 8, v6 /*v262*/
	v_lshrrev_b16 v39 /*v295*/, 8, v7 /*v263*/
	v_dual_lshrrev_b32 v51 /*v307*/, 16, v7 /*v263*/ :: v_dual_lshrrev_b32 v52 /*v308*/, 16, v12 /*v268*/
	v_lshrrev_b16 v54 /*v310*/, 8, v12 /*v268*/
	v_dual_lshrrev_b32 v57 /*v313*/, 16, v13 /*v269*/ :: v_dual_lshrrev_b32 v60 /*v316*/, 16, v22 /*v278*/
	;; [unrolled: 2-line block ×3, first 2 shown]
	v_lshrrev_b16 v61 /*v317*/, 8, v22 /*v278*/
	s_set_vgpr_msb 0x41                     ;  msbs: dst=1 src0=1 src1=0 src2=0
	v_sub_nc_u16 v6 /*v262*/, v6 /*v262*/, v168
	s_set_vgpr_msb 1                        ;  msbs: dst=0 src0=1 src1=0 src2=0
	v_lshrrev_b16 v168, 8, v168
	v_sub_nc_u16 v163, v46 /*v302*/, v163
	s_set_vgpr_msb 64                       ;  msbs: dst=1 src0=0 src1=0 src2=0
	v_lshrrev_b32_e32 v46 /*v302*/, 16, v169
	s_set_vgpr_msb 0x45                     ;  msbs: dst=1 src0=1 src1=1 src2=0
	v_sub_nc_u16 v45 /*v301*/, v48 /*v304*/, v45 /*v301*/
	s_set_vgpr_msb 0x41                     ;  msbs: dst=1 src0=1 src1=0 src2=0
	v_lshrrev_b32_e32 v48 /*v304*/, 24, v169
	v_sub_nc_u16 v7 /*v263*/, v7 /*v263*/, v169
	s_set_vgpr_msb 0                        ;  msbs: dst=0 src0=0 src1=0 src2=0
	v_lshrrev_b16 v169, 8, v169
	v_sub_nc_u16 v164, v198, v164
	v_lshrrev_b32_e32 v198, 24, v170
	s_set_vgpr_msb 0x45                     ;  msbs: dst=1 src0=1 src1=1 src2=0
	v_sub_nc_u16 v43 /*v299*/, v50 /*v306*/, v43 /*v299*/
	s_set_vgpr_msb 64                       ;  msbs: dst=1 src0=0 src1=0 src2=0
	v_lshrrev_b16 v50 /*v306*/, 8, v170
	s_set_vgpr_msb 1                        ;  msbs: dst=0 src0=1 src1=0 src2=0
	v_sub_nc_u16 v165, v24 /*v280*/, v165
	s_set_vgpr_msb 64                       ;  msbs: dst=1 src0=0 src1=0 src2=0
	v_lshrrev_b32_e32 v24 /*v280*/, 24, v171
	s_set_vgpr_msb 1                        ;  msbs: dst=0 src0=1 src1=0 src2=0
	v_sub_nc_u16 v166, v53 /*v309*/, v166
	s_set_vgpr_msb 64                       ;  msbs: dst=1 src0=0 src1=0 src2=0
	v_lshrrev_b32_e32 v53 /*v309*/, 16, v172
	s_set_vgpr_msb 1                        ;  msbs: dst=0 src0=1 src1=0 src2=0
	v_sub_nc_u16 v167, v55 /*v311*/, v167
	s_set_vgpr_msb 0x41                     ;  msbs: dst=1 src0=1 src1=0 src2=0
	v_lshrrev_b32_e32 v55 /*v311*/, 24, v172
	v_sub_nc_u16 v21 /*v277*/, v21 /*v277*/, v172
	s_set_vgpr_msb 0                        ;  msbs: dst=0 src0=0 src1=0 src2=0
	v_lshrrev_b16 v172, 8, v172
	s_set_vgpr_msb 0x45                     ;  msbs: dst=1 src0=1 src1=1 src2=0
	v_sub_nc_u16 v38 /*v294*/, v38 /*v294*/, v47 /*v303*/
	s_set_vgpr_msb 64                       ;  msbs: dst=1 src0=0 src1=0 src2=0
	v_lshrrev_b32_e32 v47 /*v303*/, 16, v173
	s_set_vgpr_msb 4                        ;  msbs: dst=0 src0=0 src1=1 src2=0
	v_sub_nc_u16 v184, v184, v42 /*v298*/
	s_set_vgpr_msb 0x41                     ;  msbs: dst=1 src0=1 src1=0 src2=0
	v_lshrrev_b32_e32 v42 /*v298*/, 24, v173
	v_sub_nc_u16 v22 /*v278*/, v22 /*v278*/, v173
	s_set_vgpr_msb 0                        ;  msbs: dst=0 src0=0 src1=0 src2=0
	v_lshrrev_b16 v173, 8, v173
	v_bitop3_b16 v144, v247, v144, 0xff bitop3:0xec
	v_bitop3_b16 v153, v239, v153, 0xff bitop3:0xec
	v_bfe_u32 v185, v185, 24, 2
	v_bfe_u32 v192, v192, 24, 2
	;; [unrolled: 1-line block ×4, first 2 shown]
	v_and_b32_e32 v177, 0x4040404, v177
	s_set_vgpr_msb 0x44                     ;  msbs: dst=1 src0=0 src1=1 src2=0
	v_dual_lshrrev_b32 v64 /*v320*/, 16, v25 /*v281*/ :: v_dual_lshrrev_b32 v66 /*v322*/, 16, v26 /*v282*/
	v_lshrrev_b16 v67 /*v323*/, 8, v26 /*v282*/
	s_set_vgpr_msb 0                        ;  msbs: dst=0 src0=0 src1=0 src2=0
	v_sub_nc_u16 v145, v145, v249
	s_set_vgpr_msb 4                        ;  msbs: dst=0 src0=0 src1=1 src2=0
	v_lshrrev_b32_e32 v249, 16, v29 /*v285*/
	s_set_vgpr_msb 0                        ;  msbs: dst=0 src0=0 src1=0 src2=0
	v_sub_nc_u16 v146, v146, v251
	s_set_vgpr_msb 4                        ;  msbs: dst=0 src0=0 src1=1 src2=0
	v_lshrrev_b16 v251, 8, v29 /*v285*/
	s_set_vgpr_msb 0                        ;  msbs: dst=0 src0=0 src1=0 src2=0
	v_sub_nc_u16 v147, v147, v253
	s_set_vgpr_msb 4                        ;  msbs: dst=0 src0=0 src1=1 src2=0
	v_lshrrev_b16 v253, 8, v17 /*v273*/
	s_set_vgpr_msb 0                        ;  msbs: dst=0 src0=0 src1=0 src2=0
	v_sub_nc_u16 v148, v148, v255
	s_set_vgpr_msb 4                        ;  msbs: dst=0 src0=0 src1=1 src2=0
	v_lshrrev_b32_e32 v255, 16, v17 /*v273*/
	v_sub_nc_u16 v149, v149, v1 /*v257*/
	s_set_vgpr_msb 0x44                     ;  msbs: dst=1 src0=0 src1=1 src2=0
	v_lshrrev_b16 v1 /*v257*/, 8, v18 /*v274*/
	s_set_vgpr_msb 4                        ;  msbs: dst=0 src0=0 src1=1 src2=0
	v_sub_nc_u16 v150, v150, v3 /*v259*/
	s_set_vgpr_msb 0x44                     ;  msbs: dst=1 src0=0 src1=1 src2=0
	v_lshrrev_b32_e32 v3 /*v259*/, 16, v18 /*v274*/
	s_set_vgpr_msb 0x41                     ;  msbs: dst=1 src0=1 src1=0 src2=0
	v_sub_nc_u16 v17 /*v273*/, v17 /*v273*/, v182
	v_sub_nc_u16 v18 /*v274*/, v18 /*v274*/, v183
	;; [unrolled: 1-line block ×3, first 2 shown]
	s_set_vgpr_msb 0                        ;  msbs: dst=0 src0=0 src1=0 src2=0
	v_lshrrev_b32_e32 v170, 16, v170
	s_set_vgpr_msb 0x45                     ;  msbs: dst=1 src0=1 src1=1 src2=0
	v_sub_nc_u16 v44 /*v300*/, v49 /*v305*/, v44 /*v300*/
	s_set_vgpr_msb 64                       ;  msbs: dst=1 src0=0 src1=0 src2=0
	v_lshrrev_b32_e32 v49 /*v305*/, 16, v171
	s_set_vgpr_msb 1                        ;  msbs: dst=0 src0=1 src1=0 src2=0
	v_sub_nc_u16 v168, v37 /*v293*/, v168
	s_set_vgpr_msb 64                       ;  msbs: dst=1 src0=0 src1=0 src2=0
	v_lshrrev_b32_e32 v37 /*v293*/, 16, v174
	s_set_vgpr_msb 1                        ;  msbs: dst=0 src0=1 src1=0 src2=0
	v_sub_nc_u16 v169, v39 /*v295*/, v169
	s_set_vgpr_msb 64                       ;  msbs: dst=1 src0=0 src1=0 src2=0
	v_lshrrev_b32_e32 v39 /*v295*/, 24, v175
	s_set_vgpr_msb 0                        ;  msbs: dst=0 src0=0 src1=0 src2=0
	v_sub_nc_u16 v198, v202, v198
	v_lshrrev_b32_e32 v202, 16, v176
	s_set_vgpr_msb 0x45                     ;  msbs: dst=1 src0=1 src1=1 src2=0
	v_sub_nc_u16 v50 /*v306*/, v54 /*v310*/, v50 /*v306*/
	s_set_vgpr_msb 0x41                     ;  msbs: dst=1 src0=1 src1=0 src2=0
	v_lshrrev_b32_e32 v54 /*v310*/, 24, v176
	v_sub_nc_u16 v26 /*v282*/, v26 /*v282*/, v176
	s_set_vgpr_msb 0                        ;  msbs: dst=0 src0=0 src1=0 src2=0
	v_lshrrev_b16 v176, 8, v176
	s_set_vgpr_msb 0x45                     ;  msbs: dst=1 src0=1 src1=1 src2=0
	v_sub_nc_u16 v53 /*v309*/, v59 /*v315*/, v53 /*v309*/
	s_set_vgpr_msb 64                       ;  msbs: dst=1 src0=0 src1=0 src2=0
	v_lshrrev_b32_e32 v59 /*v315*/, 16, v179
	s_set_vgpr_msb 4                        ;  msbs: dst=0 src0=0 src1=1 src2=0
	v_sub_nc_u16 v188, v188, v55 /*v311*/
	s_set_vgpr_msb 0x41                     ;  msbs: dst=1 src0=1 src1=0 src2=0
	v_lshrrev_b32_e32 v55 /*v311*/, 24, v179
	v_sub_nc_u16 v29 /*v285*/, v29 /*v285*/, v179
	s_set_vgpr_msb 1                        ;  msbs: dst=0 src0=1 src1=0 src2=0
	v_lshrrev_b16 v179, 8, v179
	v_sub_nc_u16 v172, v58 /*v314*/, v172
	s_set_vgpr_msb 64                       ;  msbs: dst=1 src0=0 src1=0 src2=0
	v_lshrrev_b16 v58 /*v314*/, 8, v182
	s_set_vgpr_msb 0x45                     ;  msbs: dst=1 src0=1 src1=1 src2=0
	v_sub_nc_u16 v47 /*v303*/, v60 /*v316*/, v47 /*v303*/
	s_set_vgpr_msb 64                       ;  msbs: dst=1 src0=0 src1=0 src2=0
	v_lshrrev_b32_e32 v60 /*v316*/, 16, v182
	s_set_vgpr_msb 0                        ;  msbs: dst=0 src0=0 src1=0 src2=0
	v_lshrrev_b32_e32 v182, 24, v182
	s_set_vgpr_msb 4                        ;  msbs: dst=0 src0=0 src1=1 src2=0
	v_sub_nc_u16 v189, v189, v42 /*v298*/
	s_set_vgpr_msb 64                       ;  msbs: dst=1 src0=0 src1=0 src2=0
	v_lshrrev_b16 v42 /*v298*/, 8, v183
	s_set_vgpr_msb 1                        ;  msbs: dst=0 src0=1 src1=0 src2=0
	v_sub_nc_u16 v173, v61 /*v317*/, v173
	s_set_vgpr_msb 64                       ;  msbs: dst=1 src0=0 src1=0 src2=0
	v_lshrrev_b32_e32 v61 /*v317*/, 16, v183
	s_set_vgpr_msb 0                        ;  msbs: dst=0 src0=0 src1=0 src2=0
	v_perm_b32 v144, v144, v247, 0xc0c0500
	v_perm_b32 v153, v153, v239, 0x5000c0c
	v_lshrrev_b32_e32 v183, 24, v183
	v_lshrrev_b16 v141, 8, v4
	v_dual_ashrrev_i32 v217, 24, v0 :: v_dual_ashrrev_i32 v219, 24, v1
	v_lshrrev_b16 v224, 8, v1
	v_bfe_i32 v134, v4, 0, 8
	v_lshrrev_b16 v229, 8, v0
	v_lshrrev_b16 v231, 8, v2
	s_set_vgpr_msb 64                       ;  msbs: dst=1 src0=0 src1=0 src2=0
	v_and_b32_e32 v27 /*v283*/, 0x3030303, v193
	s_set_vgpr_msb 0                        ;  msbs: dst=0 src0=0 src1=0 src2=0
	v_bfe_u32 v193, v193, 24, 2
	s_set_vgpr_msb 64                       ;  msbs: dst=1 src0=0 src1=0 src2=0
	v_lshrrev_b16 v35 /*v291*/, 8, v197
	s_set_vgpr_msb 0                        ;  msbs: dst=0 src0=0 src1=0 src2=0
	v_sub_nc_u16 v197, v197, v181
	v_lshrrev_b16 v181, 8, v181
	s_set_vgpr_msb 4                        ;  msbs: dst=0 src0=0 src1=1 src2=0
	v_sub_nc_u16 v185, v185, v48 /*v304*/
	s_set_vgpr_msb 1                        ;  msbs: dst=0 src0=1 src1=0 src2=0
	v_sub_nc_u16 v170, v52 /*v308*/, v170
	s_set_vgpr_msb 64                       ;  msbs: dst=1 src0=0 src1=0 src2=0
	v_lshrrev_b32_e32 v52 /*v308*/, 16, v177
	s_set_vgpr_msb 0x45                     ;  msbs: dst=1 src0=1 src1=1 src2=0
	v_sub_nc_u16 v49 /*v305*/, v57 /*v313*/, v49 /*v305*/
	s_set_vgpr_msb 64                       ;  msbs: dst=1 src0=0 src1=0 src2=0
	v_lshrrev_b32_e32 v57 /*v313*/, 24, v177
	s_set_vgpr_msb 4                        ;  msbs: dst=0 src0=0 src1=1 src2=0
	v_sub_nc_u16 v192, v192, v54 /*v310*/
	s_set_vgpr_msb 1                        ;  msbs: dst=0 src0=1 src1=0 src2=0
	v_sub_nc_u16 v176, v67 /*v323*/, v176
	s_set_vgpr_msb 0                        ;  msbs: dst=0 src0=0 src1=0 src2=0
	v_sub_nc_u16 v179, v251, v179
	s_set_vgpr_msb 4                        ;  msbs: dst=0 src0=0 src1=1 src2=0
	v_sub_nc_u16 v251, v253, v58 /*v314*/
	s_set_vgpr_msb 0                        ;  msbs: dst=0 src0=0 src1=0 src2=0
	v_sub_nc_u16 v182, v206, v182
	s_set_vgpr_msb 5                        ;  msbs: dst=0 src0=1 src1=1 src2=0
	v_sub_nc_u16 v206, v1 /*v257*/, v42 /*v298*/
	s_set_vgpr_msb 0x41                     ;  msbs: dst=1 src0=1 src1=0 src2=0
	v_bfe_i32 v1 /*v257*/, v10 /*v266*/, 0, 8
	v_bfe_i32 v10 /*v266*/, v21 /*v277*/, 0, 8
	;; [unrolled: 1-line block ×4, first 2 shown]
	s_set_vgpr_msb 0                        ;  msbs: dst=0 src0=0 src1=0 src2=0
	v_lshlrev_b16 v152, 8, v152
	v_lshlrev_b16 v155, 8, v155
	;; [unrolled: 1-line block ×8, first 2 shown]
	v_or_b32_e32 v144, v153, v144
	v_sub_nc_u16 v183, v207, v183
	v_lshrrev_b16 v143, 8, v5
	v_lshrrev_b16 v212, 8, v6
	v_dual_ashrrev_i32 v213, 24, v4 :: v_dual_ashrrev_i32 v215, 24, v5
	v_bfe_i32 v131, v0, 0, 8
	v_lshrrev_b16 v225, 8, v3
	v_dual_ashrrev_i32 v227, 24, v3 :: v_dual_ashrrev_i32 v232, 24, v2
	v_bfe_i32 v234, v141, 0, 8
	v_bfe_i32 v224, v224, 0, 8
	;; [unrolled: 1-line block ×4, first 2 shown]
	v_bfe_u32 v190, v190, 24, 2
	v_bfe_u32 v191, v191, 24, 2
	s_set_vgpr_msb 64                       ;  msbs: dst=1 src0=0 src1=0 src2=0
	v_and_b32_e32 v28 /*v284*/, 0x3030303, v194
	s_set_vgpr_msb 0                        ;  msbs: dst=0 src0=0 src1=0 src2=0
	v_and_b32_e32 v178, 0x4040404, v178
	s_set_vgpr_msb 0x45                     ;  msbs: dst=1 src0=1 src1=1 src2=0
	v_lshrrev_b32_e32 v68 /*v324*/, 16, v27 /*v283*/
	v_sub_nc_u16 v36 /*v292*/, v36 /*v292*/, v69 /*v325*/
	v_lshrrev_b16 v69 /*v325*/, 8, v27 /*v283*/
	s_set_vgpr_msb 1                        ;  msbs: dst=0 src0=1 src1=0 src2=0
	v_sub_nc_u16 v181, v35 /*v291*/, v181
	s_set_vgpr_msb 0x45                     ;  msbs: dst=1 src0=1 src1=1 src2=0
	v_sub_nc_u16 v46 /*v302*/, v51 /*v307*/, v46 /*v302*/
	s_set_vgpr_msb 0x41                     ;  msbs: dst=1 src0=1 src1=0 src2=0
	v_dual_lshrrev_b32 v51 /*v307*/, 24, v174 :: v_dual_lshrrev_b32 v48 /*v304*/, 16, v175
	v_sub_nc_u16 v27 /*v283*/, v27 /*v283*/, v177
	s_set_vgpr_msb 1                        ;  msbs: dst=0 src0=1 src1=0 src2=0
	v_lshrrev_b16 v177, 8, v177
	v_sub_nc_u16 v202, v66 /*v322*/, v202
	s_set_vgpr_msb 4                        ;  msbs: dst=0 src0=0 src1=1 src2=0
	v_sub_nc_u16 v193, v193, v57 /*v313*/
	s_set_vgpr_msb 1                        ;  msbs: dst=0 src0=1 src1=0 src2=0
	v_bfe_i32 v207, v14 /*v270*/, 0, 8
	s_set_vgpr_msb 0x41                     ;  msbs: dst=1 src0=1 src1=0 src2=0
	v_bfe_i32 v14 /*v270*/, v26 /*v282*/, 0, 8
	s_set_vgpr_msb 0                        ;  msbs: dst=0 src0=0 src1=0 src2=0
	v_bfe_i32 v204, v204, 0, 16
	s_set_vgpr_msb 0x41                     ;  msbs: dst=1 src0=1 src1=0 src2=0
	v_bfe_i32 v19 /*v275*/, v19 /*v275*/, 0, 16
	s_set_vgpr_msb 0                        ;  msbs: dst=0 src0=0 src1=0 src2=0
	v_bfe_i32 v167, v167, 0, 16
	v_bfe_i32 v183, v183, 0, 16
	v_lshlrev_b16 v162, 8, v162
	v_lshlrev_b16 v200, 8, v200
	s_set_vgpr_msb 0x44                     ;  msbs: dst=1 src0=0 src1=1 src2=0
	v_mul_i32_i24_e32 v10 /*v266*/, v134, v10 /*v266*/
	s_set_vgpr_msb 0                        ;  msbs: dst=0 src0=0 src1=0 src2=0
	v_lshlrev_b16 v189, 8, v189
	s_set_vgpr_msb 0x44                     ;  msbs: dst=1 src0=0 src1=1 src2=0
	v_mul_i32_i24_e32 v6 /*v262*/, v134, v6 /*v262*/
	s_set_vgpr_msb 0                        ;  msbs: dst=0 src0=0 src1=0 src2=0
	v_lshlrev_b16 v185, 8, v185
	v_lshlrev_b16 v176, 8, v176
	;; [unrolled: 1-line block ×3, first 2 shown]
	v_bfe_i32 v251, v251, 0, 16
	v_lshlrev_b16 v161, 8, v161
	v_bfe_i32 v166, v166, 0, 16
	v_bfe_i32 v182, v182, 0, 16
	s_set_vgpr_msb 1                        ;  msbs: dst=0 src0=1 src1=0 src2=0
	v_mul_i32_i24_e32 v219, v16 /*v272*/, v219
	s_set_vgpr_msb 0                        ;  msbs: dst=0 src0=0 src1=0 src2=0
	v_bitop3_b16 v152, v238, v152, 0xff bitop3:0xec
	v_bitop3_b16 v155, v241, v155, 0xff bitop3:0xec
	;; [unrolled: 1-line block ×3, first 2 shown]
	s_set_vgpr_msb 1                        ;  msbs: dst=0 src0=1 src1=0 src2=0
	v_bitop3_b16 v187, v5 /*v261*/, v187, 0xff bitop3:0xec
	s_set_vgpr_msb 0                        ;  msbs: dst=0 src0=0 src1=0 src2=0
	v_bfe_i32 v172, v172, 8, 8
	s_set_vgpr_msb 1                        ;  msbs: dst=0 src0=1 src1=0 src2=0
	v_bitop3_b16 v188, v53 /*v309*/, v188, 0xff bitop3:0xec
	s_set_vgpr_msb 0                        ;  msbs: dst=0 src0=0 src1=0 src2=0
	v_bfe_i32 v168, v168, 8, 8
	s_set_vgpr_msb 1                        ;  msbs: dst=0 src0=1 src1=0 src2=0
	v_bitop3_b16 v184, v38 /*v294*/, v184, 0xff bitop3:0xec
	v_lshrrev_b16 v221, 8, v7
	v_dual_ashrrev_i32 v223, 24, v7 :: v_dual_ashrrev_i32 v230, 24, v6
	s_set_vgpr_msb 0                        ;  msbs: dst=0 src0=0 src1=0 src2=0
	v_perm_b32 v138, v4, v4, 0xc0c0302
	v_bfe_i32 v143, v143, 0, 8
	v_bfe_i32 v212, v212, 0, 8
	;; [unrolled: 1-line block ×3, first 2 shown]
	s_set_vgpr_msb 0x44                     ;  msbs: dst=1 src0=0 src1=1 src2=0
	v_lshrrev_b16 v63 /*v319*/, 8, v23 /*v279*/
	v_lshrrev_b16 v65 /*v321*/, 8, v25 /*v281*/
	v_lshrrev_b32_e32 v35 /*v291*/, 16, v28 /*v284*/
	v_lshrrev_b16 v34 /*v290*/, 8, v28 /*v284*/
	s_set_vgpr_msb 0x41                     ;  msbs: dst=1 src0=1 src1=0 src2=0
	v_sub_nc_u16 v23 /*v279*/, v23 /*v279*/, v174
	s_set_vgpr_msb 0                        ;  msbs: dst=0 src0=0 src1=0 src2=0
	v_lshrrev_b16 v174, 8, v174
	s_set_vgpr_msb 0x41                     ;  msbs: dst=1 src0=1 src1=0 src2=0
	v_sub_nc_u16 v25 /*v281*/, v25 /*v281*/, v175
	v_sub_nc_u16 v28 /*v284*/, v28 /*v284*/, v178
	s_set_vgpr_msb 4                        ;  msbs: dst=0 src0=0 src1=1 src2=0
	v_sub_nc_u16 v190, v190, v51 /*v307*/
	v_sub_nc_u16 v191, v191, v39 /*v295*/
	s_set_vgpr_msb 0x45                     ;  msbs: dst=1 src0=1 src1=1 src2=0
	v_sub_nc_u16 v39 /*v295*/, v68 /*v324*/, v52 /*v308*/
	s_set_vgpr_msb 1                        ;  msbs: dst=0 src0=1 src1=0 src2=0
	v_sub_nc_u16 v177, v69 /*v325*/, v177
	s_set_vgpr_msb 0x41                     ;  msbs: dst=1 src0=1 src1=0 src2=0
	v_bfe_i32 v21 /*v277*/, v27 /*v283*/, 0, 8
	v_bfe_i32 v27 /*v283*/, v31 /*v287*/, 0, 8
	s_set_vgpr_msb 0                        ;  msbs: dst=0 src0=0 src1=0 src2=0
	v_bfe_i32 v196, v196, 0, 16
	v_bfe_i32 v181, v181, 0, 16
	s_set_vgpr_msb 0x41                     ;  msbs: dst=1 src0=1 src1=0 src2=0
	v_bfe_i32 v31 /*v287*/, v36 /*v292*/, 0, 16
	s_set_vgpr_msb 0                        ;  msbs: dst=0 src0=0 src1=0 src2=0
	v_bfe_i32 v180, v180, 0, 16
	v_bfe_i32 v165, v165, 0, 16
	v_bfe_i32 v158, v158, 0, 8
	v_bfe_i32 v170, v170, 0, 8
	v_bfe_i32 v206, v206, 0, 16
	s_set_vgpr_msb 0x44                     ;  msbs: dst=1 src0=0 src1=1 src2=0
	v_mul_i32_i24_e32 v1 /*v257*/, v131, v1 /*v257*/
	s_set_vgpr_msb 0                        ;  msbs: dst=0 src0=0 src1=0 src2=0
	v_lshlrev_b16 v148, 8, v148
	v_lshlrev_b16 v157, 8, v157
	;; [unrolled: 1-line block ×3, first 2 shown]
	v_bfe_i32 v164, v164, 0, 16
	s_set_vgpr_msb 0x44                     ;  msbs: dst=1 src0=0 src1=1 src2=0
	v_mul_i32_i24_e32 v14 /*v270*/, v131, v14 /*v270*/
	s_set_vgpr_msb 1                        ;  msbs: dst=0 src0=1 src1=0 src2=0
	v_lshlrev_b16 v193, 8, v193
	v_lshlrev_b16 v169, 8, v169
	;; [unrolled: 1-line block ×3, first 2 shown]
	v_mul_i32_i24_e32 v215, v19 /*v275*/, v215
	s_set_vgpr_msb 0                        ;  msbs: dst=0 src0=0 src1=0 src2=0
	v_mul_i32_i24_e32 v167, v167, v224
	v_mul_i32_i24_e32 v183, v183, v227
	v_bfe_i32 v162, v162, 8, 8
	s_set_vgpr_msb 1                        ;  msbs: dst=0 src0=1 src1=0 src2=0
	v_bitop3_b16 v200, v40 /*v296*/, v200, 0xff bitop3:0xec
	v_bitop3_b16 v189, v47 /*v303*/, v189, 0xff bitop3:0xec
	;; [unrolled: 1-line block ×3, first 2 shown]
	s_set_vgpr_msb 0                        ;  msbs: dst=0 src0=0 src1=0 src2=0
	v_bfe_i32 v176, v176, 8, 8
	v_bitop3_b16 v192, v202, v192, 0xff bitop3:0xec
	v_mul_i32_i24_e32 v227, v251, v231
	v_mul_i32_i24_e32 v166, v166, v229
	v_perm_b32 v161, v161, v161, 0xc0c0c01
	v_mul_i32_i24_e32 v182, v182, v232
	v_mad_i32_i24 v204, v204, v217, v219
	v_perm_b32 v155, v155, v241, 0xc0c0500
	v_perm_b32 v147, v147, v250, 0x5000c0c
	s_set_vgpr_msb 4                        ;  msbs: dst=0 src0=0 src1=1 src2=0
	v_perm_b32 v187, v187, v5 /*v261*/, 0xc05000c
	s_set_vgpr_msb 16                       ;  msbs: dst=0 src0=0 src1=0 src2=1
	v_mad_i32_i24 v172, v234, v172, v10 /*v266*/
	s_set_vgpr_msb 4                        ;  msbs: dst=0 src0=0 src1=1 src2=0
	v_perm_b32 v188, v188, v53 /*v309*/, 0xc0c0500
	s_set_vgpr_msb 16                       ;  msbs: dst=0 src0=0 src1=0 src2=1
	v_mad_i32_i24 v168, v234, v168, v6 /*v262*/
	s_set_vgpr_msb 4                        ;  msbs: dst=0 src0=0 src1=1 src2=0
	v_perm_b32 v184, v184, v38 /*v294*/, 0xc0c0500
	s_set_vgpr_msb 0                        ;  msbs: dst=0 src0=0 src1=0 src2=0
	v_and_b32_e32 v152, 0xffff, v152
	v_bfe_u32 v203, v203, 24, 2
	s_set_vgpr_msb 0x44                     ;  msbs: dst=1 src0=0 src1=1 src2=0
	v_lshrrev_b16 v56 /*v312*/, 8, v13 /*v269*/
	s_set_vgpr_msb 0x41                     ;  msbs: dst=1 src0=1 src1=0 src2=0
	v_sub_nc_u16 v13 /*v269*/, v13 /*v269*/, v171
	s_set_vgpr_msb 0                        ;  msbs: dst=0 src0=0 src1=0 src2=0
	v_lshrrev_b16 v171, 8, v171
	v_lshlrev_b16 v156, 8, v156
	v_bfe_i32 v135, v5, 0, 8
	v_perm_b32 v142, v0, v0, 0xc0c0302
	v_bfe_i32 v221, v221, 0, 8
	s_set_vgpr_msb 0x45                     ;  msbs: dst=1 src0=1 src1=1 src2=0
	v_sub_nc_u16 v37 /*v293*/, v62 /*v318*/, v37 /*v293*/
	s_set_vgpr_msb 1                        ;  msbs: dst=0 src0=1 src1=0 src2=0
	v_sub_nc_u16 v174, v63 /*v319*/, v174
	s_set_vgpr_msb 4                        ;  msbs: dst=0 src0=0 src1=1 src2=0
	v_sub_nc_u16 v253, v255, v60 /*v316*/
	s_set_vgpr_msb 5                        ;  msbs: dst=0 src0=1 src1=1 src2=0
	v_sub_nc_u16 v255, v3 /*v259*/, v61 /*v317*/
	s_set_vgpr_msb 0                        ;  msbs: dst=0 src0=0 src1=0 src2=0
	v_bfe_i32 v197, v197, 0, 8
	s_set_vgpr_msb 0x41                     ;  msbs: dst=1 src0=1 src1=0 src2=0
	v_bfe_i32 v3 /*v259*/, v20 /*v276*/, 0, 8
	v_bfe_i32 v20 /*v276*/, v22 /*v278*/, 0, 8
	;; [unrolled: 1-line block ×8, first 2 shown]
	s_set_vgpr_msb 0                        ;  msbs: dst=0 src0=0 src1=0 src2=0
	v_bfe_i32 v154, v154, 0, 8
	v_bfe_i32 v160, v160, 0, 8
	s_set_vgpr_msb 0x41                     ;  msbs: dst=1 src0=1 src1=0 src2=0
	v_bfe_i32 v32 /*v288*/, v43 /*v299*/, 0, 16
	s_set_vgpr_msb 0                        ;  msbs: dst=0 src0=0 src1=0 src2=0
	v_lshlrev_b16 v145, 8, v145
	v_lshlrev_b16 v248, 8, v248
	;; [unrolled: 1-line block ×5, first 2 shown]
	v_mul_i32_i24_e32 v143, v181, v143
	s_set_vgpr_msb 1                        ;  msbs: dst=0 src0=1 src1=0 src2=0
	v_mul_i32_i24_e32 v181, v31 /*v287*/, v212
	s_set_vgpr_msb 0                        ;  msbs: dst=0 src0=0 src1=0 src2=0
	v_mul_i32_i24_e32 v180, v180, v234
	v_mul_i32_i24_e32 v165, v165, v223
	v_perm_b32 v158, v170, v158, 0x5040100
	v_mul_i32_i24_e32 v170, v206, v225
	v_bitop3_b16 v148, v252, v148, 0xff bitop3:0xec
	v_bitop3_b16 v157, v243, v157, 0xff bitop3:0xec
	s_set_vgpr_msb 1                        ;  msbs: dst=0 src0=1 src1=0 src2=0
	v_bitop3_b16 v201, v41 /*v297*/, v201, 0xff bitop3:0xec
	s_set_vgpr_msb 0                        ;  msbs: dst=0 src0=0 src1=0 src2=0
	v_mul_i32_i24_e32 v164, v164, v230
	s_set_vgpr_msb 1                        ;  msbs: dst=0 src0=1 src1=0 src2=0
	v_bitop3_b16 v193, v39 /*v295*/, v193, 0xff bitop3:0xec
	s_set_vgpr_msb 0                        ;  msbs: dst=0 src0=0 src1=0 src2=0
	v_perm_b32 v173, v173, v173, 0xc0c0c01
	v_perm_b32 v169, v169, v169, 0xc0c0c01
	v_mad_i32_i24 v196, v196, v213, v215
	s_set_vgpr_msb 16                       ;  msbs: dst=0 src0=0 src1=0 src2=1
	v_mad_i32_i24 v162, v229, v162, v1 /*v257*/
	s_set_vgpr_msb 4                        ;  msbs: dst=0 src0=0 src1=1 src2=0
	v_perm_b32 v200, v200, v40 /*v296*/, 0xc0c0500
	v_perm_b32 v189, v189, v47 /*v303*/, 0xc05000c
	;; [unrolled: 1-line block ×3, first 2 shown]
	s_set_vgpr_msb 16                       ;  msbs: dst=0 src0=0 src1=0 src2=1
	v_mad_i32_i24 v176, v229, v176, v14 /*v270*/
	v_perm_b32 v192, v192, v202, 0xc0c0500
	s_set_vgpr_msb 0                        ;  msbs: dst=0 src0=0 src1=0 src2=0
	v_add3_u32 v166, v166, v167, v227
	v_bfe_i32 v167, v152, 8, 8
	v_or_b32_e32 v147, v147, v155
	v_or_b32_e32 v155, v187, v161
	v_add3_u32 v161, v204, v182, v183
	v_dot4_i32_iu8 v172, v138, v188, v172 neg_lo:[1,1,0]
	v_dot4_i32_iu8 v138, v138, v184, v168 neg_lo:[1,1,0]
	v_bfe_u32 v194, v194, 24, 2
	s_set_vgpr_msb 4                        ;  msbs: dst=0 src0=0 src1=1 src2=0
	v_sub_nc_u16 v203, v203, v24 /*v280*/
	s_set_vgpr_msb 64                       ;  msbs: dst=1 src0=0 src1=0 src2=0
	v_lshrrev_b32_e32 v24 /*v280*/, 16, v178
	s_set_vgpr_msb 1                        ;  msbs: dst=0 src0=1 src1=0 src2=0
	v_sub_nc_u16 v171, v56 /*v312*/, v171
	s_set_vgpr_msb 64                       ;  msbs: dst=1 src0=0 src1=0 src2=0
	v_lshrrev_b32_e32 v56 /*v312*/, 24, v178
	s_set_vgpr_msb 0                        ;  msbs: dst=0 src0=0 src1=0 src2=0
	v_bitop3_b16 v156, v242, v156, 0xff bitop3:0xec
	v_bfe_i32 v132, v1, 0, 8
	v_bfe_i32 v222, v7, 16, 8
	;; [unrolled: 1-line block ×3, first 2 shown]
	v_perm_b32 v136, v5, v5, 0xc030201
	v_bfe_i32 v233, v2, 16, 8
	v_lshrrev_b16 v175, 8, v175
	v_bfe_i32 v205, v205, 0, 8
	s_set_vgpr_msb 0x41                     ;  msbs: dst=1 src0=1 src1=0 src2=0
	v_bfe_i32 v11 /*v267*/, v11 /*v267*/, 0, 8
	v_bfe_i32 v26 /*v282*/, v29 /*v285*/, 0, 8
	;; [unrolled: 1-line block ×4, first 2 shown]
	s_set_vgpr_msb 0                        ;  msbs: dst=0 src0=0 src1=0 src2=0
	v_mul_i32_i24_e32 v197, v197, v135
	s_set_vgpr_msb 0x44                     ;  msbs: dst=1 src0=0 src1=1 src2=0
	v_lshlrev_b16 v4 /*v260*/, 8, v4 /*v260*/
	s_set_vgpr_msb 0                        ;  msbs: dst=0 src0=0 src1=0 src2=0
	v_lshlrev_b16 v174, 8, v174
	v_perm_b32 v154, v160, v154, 0x5040100
	s_set_vgpr_msb 1                        ;  msbs: dst=0 src0=1 src1=0 src2=0
	v_mul_i32_i24_e32 v160, v32 /*v288*/, v221
	s_set_vgpr_msb 0                        ;  msbs: dst=0 src0=0 src1=0 src2=0
	v_bitop3_b16 v145, v246, v145, 0xff bitop3:0xec
	v_bitop3_b16 v223, v240, v248, 0xff bitop3:0xec
	s_set_vgpr_msb 1                        ;  msbs: dst=0 src0=1 src1=0 src2=0
	v_bitop3_b16 v190, v37 /*v293*/, v190, 0xff bitop3:0xec
	s_set_vgpr_msb 0                        ;  msbs: dst=0 src0=0 src1=0 src2=0
	v_perm_b32 v163, v163, v163, 0xc0c0c01
	v_perm_b32 v177, v177, v177, 0xc0c0c01
	v_add3_u32 v143, v180, v143, v181
	v_perm_b32 v148, v148, v252, 0xc0c0500
	v_perm_b32 v157, v157, v243, 0x5000c0c
	s_set_vgpr_msb 4                        ;  msbs: dst=0 src0=0 src1=1 src2=0
	v_perm_b32 v201, v201, v41 /*v297*/, 0xc05000c
	v_perm_b32 v193, v193, v39 /*v295*/, 0xc05000c
	v_bfe_i32 v152, v152, 0, 8
	s_set_vgpr_msb 0                        ;  msbs: dst=0 src0=0 src1=0 src2=0
	v_dot4_i32_iu8 v162, v142, v200, v162 neg_lo:[1,1,0]
	v_or_b32_e32 v173, v189, v173
	v_or_b32_e32 v168, v185, v169
	v_add3_u32 v164, v196, v164, v165
	v_dot4_i32_iu8 v142, v142, v192, v176 neg_lo:[1,1,0]
	v_mul_i32_i24_e32 v167, v234, v167
	v_add3_u32 v161, v166, v170, v161
	s_set_vgpr_msb 4                        ;  msbs: dst=0 src0=0 src1=1 src2=0
	v_mad_i32_i24 v166, v135, v20 /*v276*/, v172
	v_mad_i32_i24 v135, v135, v7 /*v263*/, v138
	s_set_vgpr_msb 0                        ;  msbs: dst=0 src0=0 src1=0 src2=0
	v_lshrrev_b16 v178, 8, v178
	s_set_vgpr_msb 4                        ;  msbs: dst=0 src0=0 src1=1 src2=0
	v_sub_nc_u16 v194, v194, v56 /*v312*/
	s_set_vgpr_msb 0                        ;  msbs: dst=0 src0=0 src1=0 src2=0
	v_and_b32_e32 v156, 0xffff, v156
	v_bfe_i32 v216, v5, 16, 8
	v_bfe_i32 v133, v6, 0, 8
	v_perm_b32 v137, v5, v4, 0x5040302
	v_perm_b32 v139, v1, v1, 0xc030201
	s_set_vgpr_msb 0x45                     ;  msbs: dst=1 src0=1 src1=1 src2=0
	v_sub_nc_u16 v48 /*v304*/, v64 /*v320*/, v48 /*v304*/
	s_set_vgpr_msb 1                        ;  msbs: dst=0 src0=1 src1=0 src2=0
	v_sub_nc_u16 v175, v65 /*v321*/, v175
	s_set_vgpr_msb 0x41                     ;  msbs: dst=1 src0=1 src1=0 src2=0
	v_bfe_i32 v8 /*v264*/, v8 /*v264*/, 0, 8
	s_set_vgpr_msb 0                        ;  msbs: dst=0 src0=0 src1=0 src2=0
	v_mul_i32_i24_e32 v205, v205, v132
	v_lshlrev_b16 v146, 8, v146
	v_lshlrev_b16 v186, 8, v186
	;; [unrolled: 1-line block ×3, first 2 shown]
	s_set_vgpr_msb 1                        ;  msbs: dst=0 src0=1 src1=0 src2=0
	v_mul_i32_i24_e32 v221, v33 /*v289*/, v222
	s_set_vgpr_msb 0                        ;  msbs: dst=0 src0=0 src1=0 src2=0
	v_mad_i32_i24 v197, v207, v134, v197
	s_set_vgpr_msb 1                        ;  msbs: dst=0 src0=1 src1=0 src2=0
	v_bfe_i32 v222, v4 /*v260*/, 8, 8
	s_set_vgpr_msb 0                        ;  msbs: dst=0 src0=0 src1=0 src2=0
	v_perm_b32 v174, v174, v174, 0xc0c0c01
	v_pk_mul_lo_u16 v154, v154, v228 op_sel_hi:[1,0]
	v_perm_b32 v145, v145, v246, 0xc0c0500
	v_perm_b32 v181, v223, v240, 0x5000c0c
	s_set_vgpr_msb 4                        ;  msbs: dst=0 src0=0 src1=1 src2=0
	v_perm_b32 v190, v190, v37 /*v293*/, 0xc05000c
	s_set_vgpr_msb 0                        ;  msbs: dst=0 src0=0 src1=0 src2=0
	v_pk_mul_lo_u16 v158, v158, v233 op_sel_hi:[1,0]
	v_or_b32_e32 v148, v157, v148
	v_dual_add_nc_u32 v89, 4, v89 :: v_dual_bitop2_b32 v157, v201, v163 bitop3:0x54
	v_or_b32_e32 v165, v193, v177
	s_set_vgpr_msb 4                        ;  msbs: dst=0 src0=0 src1=1 src2=0
	v_mad_i32_i24 v162, v132, v11 /*v267*/, v162
	s_set_vgpr_msb 0                        ;  msbs: dst=0 src0=0 src1=0 src2=0
	v_add3_u32 v138, v143, v160, v164
	s_set_vgpr_msb 4                        ;  msbs: dst=0 src0=0 src1=1 src2=0
	v_mad_i32_i24 v132, v132, v21 /*v277*/, v142
	s_set_vgpr_msb 0                        ;  msbs: dst=0 src0=0 src1=0 src2=0
	v_mad_i32_i24 v134, v134, v152, v167
	v_dot4_i32_iu8 v143, v136, v173, v166 neg_lo:[1,1,0]
	v_dot4_i32_iu8 v135, v136, v168, v135 neg_lo:[1,1,0]
	v_bfe_i32 v130, v7, 0, 8
	v_bfe_u32 v195, v195, 24, 2
	s_set_vgpr_msb 0x45                     ;  msbs: dst=1 src0=1 src1=1 src2=0
	v_sub_nc_u16 v24 /*v280*/, v35 /*v291*/, v24 /*v280*/
	s_set_vgpr_msb 1                        ;  msbs: dst=0 src0=1 src1=0 src2=0
	v_sub_nc_u16 v178, v34 /*v290*/, v178
	s_set_vgpr_msb 0                        ;  msbs: dst=0 src0=0 src1=0 src2=0
	v_bfe_i32 v199, v199, 0, 8
	v_lshlrev_b16 v149, 8, v149
	s_set_vgpr_msb 0x44                     ;  msbs: dst=1 src0=0 src1=1 src2=0
	v_lshlrev_b16 v0 /*v256*/, 8, v0 /*v256*/
	s_set_vgpr_msb 0                        ;  msbs: dst=0 src0=0 src1=0 src2=0
	v_lshlrev_b16 v194, 8, v194
	v_bfe_i32 v153, v156, 8, 8
	v_bfe_i32 v214, v4, 16, 8
	;; [unrolled: 1-line block ×3, first 2 shown]
	v_perm_b32 v5, v6, v5, 0x5040302
	v_perm_b32 v6, v6, v6, 0xc030201
	s_set_vgpr_msb 0x41                     ;  msbs: dst=1 src0=1 src1=0 src2=0
	v_bfe_i32 v17 /*v273*/, v17 /*v273*/, 0, 8
	v_bfe_i32 v9 /*v265*/, v9 /*v265*/, 0, 8
	;; [unrolled: 1-line block ×4, first 2 shown]
	v_mul_i32_i24_e32 v3 /*v259*/, v3 /*v259*/, v133
	s_set_vgpr_msb 1                        ;  msbs: dst=0 src0=1 src1=0 src2=0
	v_lshlrev_b16 v175, 8, v175
	v_mul_i32_i24_e32 v216, v29 /*v285*/, v216
	s_set_vgpr_msb 0                        ;  msbs: dst=0 src0=0 src1=0 src2=0
	v_bfe_i32 v146, v146, 8, 8
	v_bfe_i32 v186, v186, 8, 8
	s_set_vgpr_msb 1                        ;  msbs: dst=0 src0=1 src1=0 src2=0
	v_bitop3_b16 v191, v48 /*v304*/, v191, 0xff bitop3:0xec
	s_set_vgpr_msb 0                        ;  msbs: dst=0 src0=0 src1=0 src2=0
	v_mul_i32_i24_e32 v180, v212, v222
	v_or_b32_e32 v145, v181, v145
	v_bfe_i32 v163, v154, 0, 16
	v_ashrrev_i32_e32 v154, 16, v154
	v_or_b32_e32 v169, v190, v174
	v_dot4_i32_iu8 v142, v139, v157, v162 neg_lo:[1,1,0]
	v_dot4_i32_iu8 v132, v139, v165, v132 neg_lo:[1,1,0]
	;; [unrolled: 1-line block ×3, first 2 shown]
	s_set_vgpr_msb 4                        ;  msbs: dst=0 src0=0 src1=1 src2=0
	v_mad_i32_i24 v137, v133, v22 /*v278*/, v143
	v_mad_i32_i24 v133, v133, v8 /*v264*/, v135
	v_bfe_i32 v226, v3, 16, 8
	s_set_vgpr_msb 0x41                     ;  msbs: dst=1 src0=1 src1=0 src2=0
	v_bfe_i32 v15 /*v271*/, v15 /*v271*/, 0, 8
	s_set_vgpr_msb 4                        ;  msbs: dst=0 src0=0 src1=1 src2=0
	v_sub_nc_u16 v195, v195, v55 /*v311*/
	v_bfe_i32 v255, v255, 0, 8
	s_set_vgpr_msb 0                        ;  msbs: dst=0 src0=0 src1=0 src2=0
	v_mul_i32_i24_e32 v199, v199, v130
	s_set_vgpr_msb 0x44                     ;  msbs: dst=1 src0=0 src1=1 src2=0
	v_lshlrev_b16 v35 /*v291*/, 8, v50 /*v306*/
	s_set_vgpr_msb 0                        ;  msbs: dst=0 src0=0 src1=0 src2=0
	v_lshlrev_b16 v178, 8, v178
	v_bitop3_b16 v149, v254, v149, 0xff bitop3:0xec
	s_set_vgpr_msb 4                        ;  msbs: dst=0 src0=0 src1=1 src2=0
	v_bitop3_b16 v224, v244, v0 /*v256*/, 0xff bitop3:0xec
	s_set_vgpr_msb 1                        ;  msbs: dst=0 src0=1 src1=0 src2=0
	v_bitop3_b16 v194, v24 /*v280*/, v194, 0xff bitop3:0xec
	s_set_vgpr_msb 0                        ;  msbs: dst=0 src0=0 src1=0 src2=0
	v_bfe_i32 v156, v156, 0, 8
	v_mul_i32_i24_e32 v153, v229, v153
	s_set_vgpr_msb 0x41                     ;  msbs: dst=1 src0=1 src1=0 src2=0
	v_mul_i32_i24_e32 v17 /*v273*/, v17 /*v273*/, v129
	s_set_vgpr_msb 0x44                     ;  msbs: dst=1 src0=0 src1=1 src2=0
	v_mul_i32_i24_e32 v9 /*v265*/, v130, v9 /*v265*/
	s_set_vgpr_msb 1                        ;  msbs: dst=0 src0=1 src1=0 src2=0
	v_mul_i32_i24_e32 v207, v34 /*v290*/, v228
	s_set_vgpr_msb 0                        ;  msbs: dst=0 src0=0 src1=0 src2=0
	v_perm_b32 v175, v175, v175, 0xc0c0c01
	s_set_vgpr_msb 1                        ;  msbs: dst=0 src0=1 src1=0 src2=0
	v_mad_i32_i24 v213, v30 /*v286*/, v214, v216
	s_set_vgpr_msb 0                        ;  msbs: dst=0 src0=0 src1=0 src2=0
	v_mul_i32_i24_e32 v146, v230, v146
	v_mul_i32_i24_e32 v186, v230, v186
	s_set_vgpr_msb 4                        ;  msbs: dst=0 src0=0 src1=1 src2=0
	v_perm_b32 v191, v191, v48 /*v304*/, 0xc05000c
	v_mad_i32_i24 v135, v129, v12 /*v268*/, v142
	v_mad_i32_i24 v129, v129, v25 /*v281*/, v132
	s_set_vgpr_msb 0                        ;  msbs: dst=0 src0=0 src1=0 src2=0
	v_dot4_i32_iu8 v5, v5, v145, v134 neg_lo:[1,1,0]
	v_dot4_i32_iu8 v6, v6, v169, v137 neg_lo:[1,1,0]
	v_add3_u32 v132, v133, v180, v154
	v_bfe_i32 v220, v1, 16, 8
	v_perm_b32 v140, v1, v0, 0x5040302
	s_set_vgpr_msb 4                        ;  msbs: dst=0 src0=0 src1=1 src2=0
	v_sub_nc_u16 v249, v249, v59 /*v315*/
	s_set_vgpr_msb 1                        ;  msbs: dst=0 src0=1 src1=0 src2=0
	v_lshlrev_b16 v159, 8, v159
	v_lshlrev_b16 v151, 8, v151
	;; [unrolled: 1-line block ×6, first 2 shown]
	v_mad_i32_i24 v205, v15 /*v271*/, v131, v205
	s_set_vgpr_msb 0                        ;  msbs: dst=0 src0=0 src1=0 src2=0
	v_mul_i32_i24_e32 v206, v255, v226
	s_set_vgpr_msb 1                        ;  msbs: dst=0 src0=1 src1=0 src2=0
	v_bfe_i32 v226, v35 /*v291*/, 8, 8
	s_set_vgpr_msb 0                        ;  msbs: dst=0 src0=0 src1=0 src2=0
	v_perm_b32 v178, v178, v178, 0xc0c0c01
	s_set_vgpr_msb 4                        ;  msbs: dst=0 src0=0 src1=1 src2=0
	v_add3_u32 v197, v197, v3 /*v259*/, v199
	s_set_vgpr_msb 0                        ;  msbs: dst=0 src0=0 src1=0 src2=0
	v_perm_b32 v149, v149, v254, 0xc0c0500
	v_perm_b32 v199, v224, v244, 0x5000c0c
	s_set_vgpr_msb 4                        ;  msbs: dst=0 src0=0 src1=1 src2=0
	v_perm_b32 v194, v194, v24 /*v280*/, 0xc05000c
	s_set_vgpr_msb 0                        ;  msbs: dst=0 src0=0 src1=0 src2=0
	v_mad_i32_i24 v131, v131, v156, v153
	v_perm_b32 v4, v7, v7, 0xc030201
	v_or_b32_e32 v174, v191, v175
	v_add3_u32 v175, v213, v207, v221
	v_add3_u32 v5, v5, v163, v146
	s_set_vgpr_msb 4                        ;  msbs: dst=0 src0=0 src1=1 src2=0
	v_mad_i32_i24 v6, v130, v23 /*v279*/, v6
	s_set_vgpr_msb 16                       ;  msbs: dst=0 src0=0 src1=0 src2=1
	v_add3_u32 v130, v132, v186, v9 /*v265*/
	v_bfe_i32 v218, v0, 16, 8
	v_bfe_i32 v128, v3, 0, 8
	v_perm_b32 v1, v2, v1, 0x5040302
	v_perm_b32 v2, v2, v2, 0xc030201
	s_set_vgpr_msb 0x41                     ;  msbs: dst=1 src0=1 src1=0 src2=0
	v_bfe_i32 v18 /*v274*/, v18 /*v274*/, 0, 8
	v_bfe_i32 v13 /*v269*/, v13 /*v269*/, 0, 8
	s_set_vgpr_msb 0                        ;  msbs: dst=0 src0=0 src1=0 src2=0
	v_bfe_i32 v253, v253, 0, 8
	v_lshlrev_b16 v171, 8, v171
	v_lshlrev_b16 v179, 8, v179
	s_set_vgpr_msb 1                        ;  msbs: dst=0 src0=1 src1=0 src2=0
	v_mul_i32_i24_e32 v220, v27 /*v283*/, v220
	s_set_vgpr_msb 0                        ;  msbs: dst=0 src0=0 src1=0 src2=0
	v_bitop3_b16 v159, v245, v159, 0xff bitop3:0xec
	s_set_vgpr_msb 1                        ;  msbs: dst=0 src0=1 src1=0 src2=0
	v_bitop3_b16 v151, v2 /*v258*/, v151, 0xff bitop3:0xec
	s_set_vgpr_msb 0                        ;  msbs: dst=0 src0=0 src1=0 src2=0
	v_bfe_i32 v150, v150, 8, 8
	s_set_vgpr_msb 1                        ;  msbs: dst=0 src0=1 src1=0 src2=0
	v_bitop3_b16 v203, v49 /*v305*/, v203, 0xff bitop3:0xec
	s_set_vgpr_msb 0                        ;  msbs: dst=0 src0=0 src1=0 src2=0
	v_bitop3_b16 v195, v249, v195, 0xff bitop3:0xec
	v_bfe_i32 v198, v198, 8, 8
	v_mul_i32_i24_e32 v202, v231, v226
	v_or_b32_e32 v149, v199, v149
	v_or_b32_e32 v176, v194, v178
	v_bfe_i32 v177, v158, 0, 16
	v_ashrrev_i32_e32 v158, 16, v158
	v_dot4_i32_iu8 v131, v140, v148, v131 neg_lo:[1,1,0]
	v_lshrrev_b16 v235, 8, v210
	v_bfe_i32 v141, v210, 0, 8
	v_lshrrev_b16 v210, 8, v211
	v_lshrrev_b16 v236, 8, v208
	v_bfe_i32 v208, v208, 0, 8
	v_bfe_i32 v211, v211, 0, 8
	v_lshrrev_b16 v237, 8, v209
	v_bfe_i32 v209, v209, 0, 8
	v_add3_u32 v136, v197, v175, v138
	v_dot4_i32_iu8 v5, v7, v147, v5 neg_lo:[1,1,0]
	v_dot4_i32_iu8 v6, v4, v174, v6 neg_lo:[1,1,0]
	;; [unrolled: 1-line block ×3, first 2 shown]
	s_set_vgpr_msb 0x41                     ;  msbs: dst=1 src0=1 src1=0 src2=0
	v_mul_i32_i24_e32 v18 /*v274*/, v18 /*v274*/, v128
	s_set_vgpr_msb 0x44                     ;  msbs: dst=1 src0=0 src1=1 src2=0
	v_mul_i32_i24_e32 v13 /*v269*/, v128, v13 /*v269*/
	s_set_vgpr_msb 0                        ;  msbs: dst=0 src0=0 src1=0 src2=0
	v_mul_i32_i24_e32 v225, v253, v233
	v_perm_b32 v171, v171, v171, 0xc0c0c01
	v_perm_b32 v179, v179, v179, 0xc0c0c01
	s_set_vgpr_msb 1                        ;  msbs: dst=0 src0=1 src1=0 src2=0
	v_mad_i32_i24 v217, v28 /*v284*/, v218, v220
	s_set_vgpr_msb 0                        ;  msbs: dst=0 src0=0 src1=0 src2=0
	v_perm_b32 v159, v159, v245, 0xc0c0500
	s_set_vgpr_msb 4                        ;  msbs: dst=0 src0=0 src1=1 src2=0
	v_perm_b32 v151, v151, v2 /*v258*/, 0x5000c0c
	s_set_vgpr_msb 0                        ;  msbs: dst=0 src0=0 src1=0 src2=0
	v_mul_i32_i24_e32 v150, v232, v150
	v_mul_i32_i24_e32 v198, v232, v198
	s_set_vgpr_msb 4                        ;  msbs: dst=0 src0=0 src1=1 src2=0
	v_perm_b32 v203, v203, v49 /*v305*/, 0xc05000c
	s_set_vgpr_msb 0                        ;  msbs: dst=0 src0=0 src1=0 src2=0
	v_perm_b32 v195, v195, v249, 0xc05000c
	v_dot4_i32_iu8 v1, v1, v149, v131 neg_lo:[1,1,0]
	v_add3_u32 v131, v135, v202, v158
	v_dot4_i32_iu8 v2, v2, v176, v129 neg_lo:[1,1,0]
	v_mul_lo_u32 v133, v136, v209
	v_mul_lo_u32 v5, v5, v211
	;; [unrolled: 1-line block ×4, first 2 shown]
	v_perm_b32 v0, v3, v3, 0xc030201
	s_set_vgpr_msb 20                       ;  msbs: dst=0 src0=0 src1=1 src2=1
	v_add3_u32 v205, v205, v17 /*v273*/, v18 /*v274*/
	s_set_vgpr_msb 0                        ;  msbs: dst=0 src0=0 src1=0 src2=0
	v_or_b32_e32 v151, v151, v159
	v_add3_u32 v159, v217, v225, v206
	v_or_b32_e32 v171, v203, v171
	v_or_b32_e32 v178, v195, v179
	v_add3_u32 v1, v1, v177, v150
	s_set_vgpr_msb 4                        ;  msbs: dst=0 src0=0 src1=1 src2=0
	v_mad_i32_i24 v2, v128, v26 /*v282*/, v2
	s_set_vgpr_msb 16                       ;  msbs: dst=0 src0=0 src1=0 src2=1
	v_add3_u32 v7, v131, v198, v13 /*v269*/
	v_bfe_i32 v235, v235, 0, 8
	v_bfe_i32 v236, v236, 0, 8
	;; [unrolled: 1-line block ×4, first 2 shown]
	s_set_vgpr_msb 0                        ;  msbs: dst=0 src0=0 src1=0 src2=0
	v_add3_u32 v129, v205, v159, v161
	v_dot4_i32_iu8 v1, v3, v151, v1 neg_lo:[1,1,0]
	v_dot4_i32_iu8 v2, v0, v178, v2 neg_lo:[1,1,0]
	v_dot4_i32_iu8 v0, v0, v171, v7 neg_lo:[1,1,0]
	s_add_co_i32 s20, s20, 2
	v_mad_u32 v7, v129, v128, v133
	v_mad_u32 v128, v1, v210, v5
	;; [unrolled: 1-line block ×4, first 2 shown]
	v_pk_mul_f32 v[0:1], v[90:91], v[94:95] op_sel_hi:[0,1]
	v_pk_mul_f32 v[2:3], v[90:91], v[92:93] op_sel_hi:[0,1]
	v_add_nc_u32_e32 v91, 32, v91
	s_add_co_i32 s1, s1, 1
	s_cmp_lt_u32 s21, 6
	s_mov_b32 s22, s21
	v_cvt_f32_i32_e32 v5, v7
	v_cvt_f32_i32_e32 v6, v128
	;; [unrolled: 1-line block ×4, first 2 shown]
	s_delay_alu instid0(VALU_DEP_2) | instskip(NEXT) | instid1(VALU_DEP_2)
	v_pk_fma_f32 v[18:19], v[2:3], v[4:5], v[18:19]
	v_pk_fma_f32 v[20:21], v[0:1], v[6:7], v[20:21]
	s_cbranch_scc1 .LBB210_11
; %bb.12:                               ;   in Loop: Header=BB210_5 Depth=1
	s_or_b32 s1, s18, 0x80
	s_delay_alu instid0(SALU_CYCLE_1)
	s_cmp_ge_i32 s1, s5
	s_barrier_signal -1
	s_barrier_wait -1
	s_cbranch_scc1 .LBB210_4
; %bb.13:                               ;   in Loop: Header=BB210_5 Depth=1
	v_add_nc_u32_e32 v0, s19, v104
	s_delay_alu instid0(VALU_DEP_1) | instskip(SKIP_1) | instid1(SALU_CYCLE_1)
	v_cmp_gt_i32_e64 s1, s6, v0
	s_and_b32 s20, s0, s1
	s_and_saveexec_b32 s1, s20
	s_cbranch_execz .LBB210_15
; %bb.14:                               ;   in Loop: Header=BB210_5 Depth=1
	v_add_nc_u32_e32 v0, v22, v0
	s_delay_alu instid0(VALU_DEP_1)
	v_mad_nc_i64_i32 v[0:1], v0, 36, v[24:25]
	global_load_b32 v0, v[0:1], off offset:4
	s_wait_loadcnt 0x0
	ds_store_b32 v67, v0
.LBB210_15:                             ;   in Loop: Header=BB210_5 Depth=1
	s_or_b32 exec_lo, exec_lo, s1
	s_and_saveexec_b32 s20, vcc_lo
	s_cbranch_execz .LBB210_18
; %bb.16:                               ;   in Loop: Header=BB210_5 Depth=1
	v_or_b32_e32 v0, 4, v88
	s_delay_alu instid0(VALU_DEP_1) | instskip(SKIP_1) | instid1(SALU_CYCLE_1)
	v_cmp_gt_i32_e64 s1, s6, v0
	s_and_b32 s1, s0, s1
	s_and_b32 exec_lo, exec_lo, s1
	s_cbranch_execz .LBB210_18
; %bb.17:                               ;   in Loop: Header=BB210_5 Depth=1
	v_ashrrev_i32_e32 v89, 31, v88
	s_delay_alu instid0(VALU_DEP_1) | instskip(NEXT) | instid1(VALU_DEP_1)
	v_add_nc_u64_e32 v[0:1], v[22:23], v[88:89]
	v_mad_nc_u64_u32 v[2:3], v0, 36, s[2:3]
	s_delay_alu instid0(VALU_DEP_1)
	v_mad_i32_i24 v3, v1, 36, v3
	global_load_b32 v0, v[2:3], off offset:144
	s_wait_loadcnt 0x0
	v_cvt_f32_f16_e32 v0, v0
	ds_store_b32 v103, v0
.LBB210_18:                             ;   in Loop: Header=BB210_5 Depth=1
	s_or_b32 exec_lo, exec_lo, s20
	v_dual_mov_b32 v89, v65 :: v_dual_mov_b32 v91, v69
	s_mov_b32 s1, 8
	s_mov_b32 s24, 6
	;; [unrolled: 1-line block ×3, first 2 shown]
	s_wait_dscnt 0x0
	s_barrier_signal -1
	s_barrier_wait -1
.LBB210_19:                             ;   Parent Loop BB210_5 Depth=1
                                        ; =>  This Inner Loop Header: Depth=2
	s_add_co_i32 s21, s24, 2
	s_add_co_i32 s22, s24, -6
	s_lshr_b32 s26, s21, 4
	s_and_b32 s23, s21, 0x3ffffff8
	s_and_b32 s25, s1, -16
	v_lshl_add_u32 v4, s23, 2, v107
	s_lshl_b32 s23, s26, 5
	s_add_co_i32 s24, s24, s25
	s_addk_co_i32 s23, 0x4200
	s_lshl_b32 s25, s26, 2
	v_add3_u32 v92, s23, v108, v109
	ds_load_2addr_b32 v[0:1], v4 offset1:1
	s_addk_co_i32 s25, 0x7380
	ds_load_b32 v90, v91
	s_add_co_i32 s1, s1, 2
	ds_load_2addr_b32 v[2:3], v92 offset1:1
	s_wait_dscnt 0x2
	v_dual_add_nc_u32 v150, s24, v33 :: v_dual_ashrrev_i32 v0, s22, v0
	s_wait_dscnt 0x0
	v_ashrrev_i32_e32 v2, s20, v2
	s_delay_alu instid0(VALU_DEP_2) | instskip(NEXT) | instid1(VALU_DEP_2)
	v_and_b32_e32 v5, 0x3030303, v0
	v_dual_ashrrev_i32 v3, s20, v3 :: v_dual_lshlrev_b32 v2, 2, v2
	s_delay_alu instid0(VALU_DEP_2) | instskip(SKIP_2) | instid1(VALU_DEP_4)
	v_lshrrev_b32_e32 v7, 16, v5
	v_bfe_u32 v0, v0, 24, 2
	v_lshrrev_b16 v6, 8, v5
	v_lshlrev_b32_e32 v3, 2, v3
	v_and_b32_e32 v2, 0x4040404, v2
	s_delay_alu instid0(VALU_DEP_2) | instskip(NEXT) | instid1(VALU_DEP_2)
	v_and_b32_e32 v3, 0x4040404, v3
	v_dual_lshrrev_b32 v94, 24, v2 :: v_dual_lshrrev_b32 v95, 16, v2
	v_lshrrev_b16 v93, 8, v2
	s_delay_alu instid0(VALU_DEP_2) | instskip(NEXT) | instid1(VALU_DEP_3)
	v_sub_nc_u16 v0, v0, v94
	v_sub_nc_u16 v163, v7, v95
	v_lshrrev_b32_e32 v7, 24, v3
	s_delay_alu instid0(VALU_DEP_3) | instskip(NEXT) | instid1(VALU_DEP_1)
	v_lshlrev_b16 v0, 8, v0
	v_bitop3_b16 v164, v163, v0, 0xff bitop3:0xec
	v_sub_nc_u16 v0, v5, v2
	v_sub_nc_u16 v2, v6, v93
	v_lshrrev_b32_e32 v93, 16, v3
	v_lshrrev_b16 v6, 8, v3
	v_perm_b32 v163, v164, v163, 0xc0c0500
	s_delay_alu instid0(VALU_DEP_4) | instskip(NEXT) | instid1(VALU_DEP_1)
	v_lshlrev_b16 v2, 8, v2
	v_bitop3_b16 v0, v0, v2, 0xff bitop3:0xec
	s_delay_alu instid0(VALU_DEP_1) | instskip(SKIP_1) | instid1(VALU_DEP_1)
	v_and_b32_e32 v167, 0xffff, v0
	v_ashrrev_i32_e32 v0, s22, v1
	v_and_b32_e32 v1, 0x3030303, v0
	v_bfe_u32 v0, v0, 24, 2
	s_delay_alu instid0(VALU_DEP_2) | instskip(NEXT) | instid1(VALU_DEP_2)
	v_lshrrev_b32_e32 v5, 16, v1
	v_sub_nc_u16 v0, v0, v7
	v_lshrrev_b16 v2, 8, v1
	v_sub_nc_u16 v168, v1, v3
	s_delay_alu instid0(VALU_DEP_4) | instskip(NEXT) | instid1(VALU_DEP_4)
	v_sub_nc_u16 v165, v5, v93
	v_lshlrev_b16 v0, 8, v0
	s_delay_alu instid0(VALU_DEP_1) | instskip(SKIP_4) | instid1(VALU_DEP_1)
	v_bitop3_b16 v166, v165, v0, 0xff bitop3:0xec
	v_sub_nc_u16 v0, v2, v6
	ds_load_2addr_b32 v[2:3], v92 offset0:2 offset1:3
	v_perm_b32 v165, v166, v165, 0xc0c0500
	v_lshlrev_b16 v0, 8, v0
	v_bitop3_b16 v169, v168, v0, 0xff bitop3:0xec
	ds_load_2addr_b32 v[0:1], v4 offset0:2 offset1:3
	v_perm_b32 v164, v169, v168, 0x5000c0c
	s_wait_dscnt 0x1
	s_delay_alu instid0(VALU_DEP_1) | instskip(NEXT) | instid1(VALU_DEP_1)
	v_dual_ashrrev_i32 v2, s20, v2 :: v_dual_bitop2_b32 v163, v164, v163 bitop3:0x54
	v_dual_ashrrev_i32 v3, s20, v3 :: v_dual_lshlrev_b32 v2, 2, v2
	s_wait_dscnt 0x0
	s_delay_alu instid0(VALU_DEP_1) | instskip(NEXT) | instid1(VALU_DEP_2)
	v_dual_lshlrev_b32 v3, 2, v3 :: v_dual_ashrrev_i32 v0, s22, v0
	v_and_b32_e32 v2, 0x4040404, v2
	s_delay_alu instid0(VALU_DEP_2) | instskip(NEXT) | instid1(VALU_DEP_3)
	v_and_b32_e32 v3, 0x4040404, v3
	v_and_b32_e32 v5, 0x3030303, v0
	v_bfe_u32 v0, v0, 24, 2
	s_delay_alu instid0(VALU_DEP_4) | instskip(SKIP_1) | instid1(VALU_DEP_4)
	v_dual_lshrrev_b32 v93, 16, v2 :: v_dual_lshrrev_b32 v94, 24, v2
	v_lshrrev_b16 v95, 8, v2
	v_lshrrev_b16 v7, 8, v5
	v_lshrrev_b32_e32 v6, 16, v5
	v_sub_nc_u16 v171, v5, v2
	v_sub_nc_u16 v0, v0, v94
	s_delay_alu instid0(VALU_DEP_4) | instskip(SKIP_2) | instid1(VALU_DEP_4)
	v_sub_nc_u16 v2, v7, v95
	v_lshrrev_b32_e32 v7, 24, v3
	v_sub_nc_u16 v174, v6, v93
	v_lshlrev_b16 v129, 8, v0
	v_ashrrev_i32_e32 v0, s22, v1
	v_lshlrev_b16 v2, 8, v2
	v_lshrrev_b32_e32 v93, 16, v3
	v_lshrrev_b16 v6, 8, v3
	v_bfe_i32 v174, v174, 0, 8
	v_and_b32_e32 v1, 0x3030303, v0
	v_bfe_u32 v0, v0, 24, 2
	v_bitop3_b16 v172, v171, v2, 0xff bitop3:0xec
	v_bfe_i32 v129, v129, 8, 8
	s_delay_alu instid0(VALU_DEP_4) | instskip(NEXT) | instid1(VALU_DEP_4)
	v_lshrrev_b32_e32 v5, 16, v1
	v_sub_nc_u16 v0, v0, v7
	v_lshrrev_b16 v2, 8, v1
	v_sub_nc_u16 v132, v1, v3
	v_perm_b32 v166, v172, v171, 0x5000c0c
	v_sub_nc_u16 v130, v5, v93
	v_lshlrev_b16 v0, 8, v0
	s_delay_alu instid0(VALU_DEP_1) | instskip(SKIP_4) | instid1(VALU_DEP_1)
	v_bitop3_b16 v131, v130, v0, 0xff bitop3:0xec
	v_sub_nc_u16 v0, v2, v6
	ds_load_2addr_b32 v[2:3], v92 offset0:4 offset1:5
	v_perm_b32 v130, v131, v130, 0x5000c0c
	v_lshlrev_b16 v0, 8, v0
	v_bitop3_b16 v133, v132, v0, 0xff bitop3:0xec
	ds_load_2addr_b32 v[0:1], v4 offset0:4 offset1:5
	v_perm_b32 v132, v133, v132, 0xc0c0500
	s_wait_dscnt 0x1
	s_delay_alu instid0(VALU_DEP_1) | instskip(NEXT) | instid1(VALU_DEP_1)
	v_dual_ashrrev_i32 v2, s20, v2 :: v_dual_bitop2_b32 v130, v130, v132 bitop3:0x54
	v_dual_ashrrev_i32 v3, s20, v3 :: v_dual_lshlrev_b32 v2, 2, v2
	s_wait_dscnt 0x0
	s_delay_alu instid0(VALU_DEP_1) | instskip(NEXT) | instid1(VALU_DEP_2)
	v_dual_lshlrev_b32 v3, 2, v3 :: v_dual_ashrrev_i32 v0, s22, v0
	v_and_b32_e32 v2, 0x4040404, v2
	s_delay_alu instid0(VALU_DEP_2) | instskip(NEXT) | instid1(VALU_DEP_3)
	v_and_b32_e32 v3, 0x4040404, v3
	v_and_b32_e32 v5, 0x3030303, v0
	v_bfe_u32 v0, v0, 24, 2
	s_delay_alu instid0(VALU_DEP_4) | instskip(SKIP_1) | instid1(VALU_DEP_4)
	v_dual_lshrrev_b32 v94, 24, v2 :: v_dual_lshrrev_b32 v95, 16, v2
	v_lshrrev_b16 v93, 8, v2
	v_lshrrev_b32_e32 v7, 16, v5
	v_lshrrev_b16 v6, 8, v5
	s_delay_alu instid0(VALU_DEP_4) | instskip(NEXT) | instid1(VALU_DEP_3)
	v_sub_nc_u16 v0, v0, v94
	v_sub_nc_u16 v151, v7, v95
	v_lshrrev_b32_e32 v7, 24, v3
	s_delay_alu instid0(VALU_DEP_3) | instskip(NEXT) | instid1(VALU_DEP_1)
	v_lshlrev_b16 v0, 8, v0
	v_bitop3_b16 v152, v151, v0, 0xff bitop3:0xec
	v_sub_nc_u16 v0, v5, v2
	v_sub_nc_u16 v2, v6, v93
	v_lshrrev_b32_e32 v93, 16, v3
	v_lshrrev_b16 v6, 8, v3
	v_perm_b32 v151, v152, v151, 0xc0c0500
	s_delay_alu instid0(VALU_DEP_4) | instskip(NEXT) | instid1(VALU_DEP_1)
	v_lshlrev_b16 v2, 8, v2
	v_bitop3_b16 v0, v0, v2, 0xff bitop3:0xec
	s_delay_alu instid0(VALU_DEP_1) | instskip(SKIP_1) | instid1(VALU_DEP_1)
	v_and_b32_e32 v158, 0xffff, v0
	v_ashrrev_i32_e32 v0, s22, v1
	v_and_b32_e32 v1, 0x3030303, v0
	v_bfe_u32 v0, v0, 24, 2
	s_delay_alu instid0(VALU_DEP_2) | instskip(NEXT) | instid1(VALU_DEP_2)
	v_lshrrev_b32_e32 v5, 16, v1
	v_sub_nc_u16 v0, v0, v7
	v_lshrrev_b16 v2, 8, v1
	v_sub_nc_u16 v159, v1, v3
	s_delay_alu instid0(VALU_DEP_4) | instskip(NEXT) | instid1(VALU_DEP_4)
	v_sub_nc_u16 v153, v5, v93
	v_lshlrev_b16 v0, 8, v0
	s_delay_alu instid0(VALU_DEP_1) | instskip(SKIP_3) | instid1(VALU_DEP_1)
	v_bitop3_b16 v154, v153, v0, 0xff bitop3:0xec
	v_sub_nc_u16 v0, v2, v6
	ds_load_2addr_b32 v[2:3], v92 offset0:6 offset1:7
	v_lshlrev_b16 v0, 8, v0
	v_bitop3_b16 v160, v159, v0, 0xff bitop3:0xec
	ds_load_2addr_b32 v[0:1], v4 offset0:6 offset1:7
	v_perm_b32 v152, v160, v159, 0x5000c0c
	s_wait_dscnt 0x1
	v_dual_ashrrev_i32 v2, s20, v2 :: v_dual_ashrrev_i32 v3, s20, v3
	s_delay_alu instid0(VALU_DEP_1) | instskip(SKIP_2) | instid1(VALU_DEP_2)
	v_dual_lshlrev_b32 v2, 2, v2 :: v_dual_lshlrev_b32 v3, 2, v3
	s_wait_dscnt 0x0
	v_ashrrev_i32_e32 v0, s22, v0
	v_and_b32_e32 v2, 0x4040404, v2
	s_delay_alu instid0(VALU_DEP_3) | instskip(NEXT) | instid1(VALU_DEP_3)
	v_and_b32_e32 v3, 0x4040404, v3
	v_and_b32_e32 v5, 0x3030303, v0
	v_bfe_u32 v0, v0, 24, 2
	s_delay_alu instid0(VALU_DEP_4) | instskip(SKIP_1) | instid1(VALU_DEP_4)
	v_dual_lshrrev_b32 v92, 16, v2 :: v_dual_lshrrev_b32 v93, 24, v2
	v_lshrrev_b16 v94, 8, v2
	v_lshrrev_b16 v7, 8, v5
	v_lshrrev_b32_e32 v6, 16, v5
	v_sub_nc_u16 v161, v5, v2
	v_sub_nc_u16 v0, v0, v93
	v_add3_u32 v93, s23, v112, v113
	v_sub_nc_u16 v2, v7, v94
	v_lshrrev_b32_e32 v7, 24, v3
	v_sub_nc_u16 v170, v6, v92
	v_lshlrev_b16 v134, 8, v0
	v_ashrrev_i32_e32 v0, s22, v1
	v_lshlrev_b16 v2, 8, v2
	v_lshrrev_b32_e32 v92, 16, v3
	v_lshrrev_b16 v6, 8, v3
	v_bfe_i32 v170, v170, 0, 8
	v_and_b32_e32 v1, 0x3030303, v0
	v_bfe_u32 v0, v0, 24, 2
	v_bitop3_b16 v162, v161, v2, 0xff bitop3:0xec
	v_bfe_i32 v131, v134, 8, 8
	s_delay_alu instid0(VALU_DEP_4) | instskip(NEXT) | instid1(VALU_DEP_4)
	v_lshrrev_b32_e32 v5, 16, v1
	v_sub_nc_u16 v0, v0, v7
	v_lshrrev_b16 v2, 8, v1
	v_sub_nc_u16 v137, v1, v3
	s_delay_alu instid0(VALU_DEP_4) | instskip(NEXT) | instid1(VALU_DEP_4)
	v_sub_nc_u16 v135, v5, v92
	v_lshlrev_b16 v0, 8, v0
	s_delay_alu instid0(VALU_DEP_1) | instskip(SKIP_4) | instid1(VALU_DEP_1)
	v_bitop3_b16 v136, v135, v0, 0xff bitop3:0xec
	v_sub_nc_u16 v0, v2, v6
	ds_load_2addr_b32 v[2:3], v93 offset1:1
	v_add_nc_u32_e32 v139, s24, v35
	v_lshlrev_b16 v0, 8, v0
	v_bitop3_b16 v138, v137, v0, 0xff bitop3:0xec
	v_add3_u32 v0, s25, v127, v111
	ds_load_b32 v92, v0
	v_add_nc_u32_e32 v0, 0x1080, v4
	s_wait_dscnt 0x1
	v_ashrrev_i32_e32 v2, s20, v2
	ds_load_2addr_b32 v[0:1], v0 offset1:1
	v_dual_ashrrev_i32 v3, s20, v3 :: v_dual_lshlrev_b32 v2, 2, v2
	s_delay_alu instid0(VALU_DEP_1) | instskip(NEXT) | instid1(VALU_DEP_2)
	v_lshlrev_b32_e32 v3, 2, v3
	v_and_b32_e32 v2, 0x4040404, v2
	s_delay_alu instid0(VALU_DEP_2) | instskip(NEXT) | instid1(VALU_DEP_2)
	v_and_b32_e32 v3, 0x4040404, v3
	v_dual_lshrrev_b32 v95, 24, v2 :: v_dual_lshrrev_b32 v128, 16, v2
	v_lshrrev_b16 v94, 8, v2
	s_wait_dscnt 0x0
	v_ashrrev_i32_e32 v0, s22, v0
	s_delay_alu instid0(VALU_DEP_1) | instskip(SKIP_1) | instid1(VALU_DEP_2)
	v_and_b32_e32 v5, 0x3030303, v0
	v_bfe_u32 v0, v0, 24, 2
	v_lshrrev_b32_e32 v7, 16, v5
	s_delay_alu instid0(VALU_DEP_2) | instskip(SKIP_2) | instid1(VALU_DEP_4)
	v_sub_nc_u16 v0, v0, v95
	v_lshrrev_b16 v6, 8, v5
	v_sub_nc_u16 v195, v5, v2
	v_sub_nc_u16 v187, v7, v128
	s_delay_alu instid0(VALU_DEP_4) | instskip(SKIP_1) | instid1(VALU_DEP_4)
	v_lshlrev_b16 v0, 8, v0
	v_lshrrev_b32_e32 v7, 24, v3
	v_bfe_i32 v195, v195, 0, 8
	s_delay_alu instid0(VALU_DEP_3) | instskip(SKIP_3) | instid1(VALU_DEP_4)
	v_bitop3_b16 v188, v187, v0, 0xff bitop3:0xec
	v_sub_nc_u16 v0, v6, v94
	v_lshrrev_b32_e32 v94, 16, v3
	v_lshrrev_b16 v6, 8, v3
	v_perm_b32 v187, v188, v187, 0xc0c0500
	s_delay_alu instid0(VALU_DEP_4) | instskip(SKIP_1) | instid1(VALU_DEP_2)
	v_lshlrev_b16 v192, 8, v0
	v_ashrrev_i32_e32 v0, s22, v1
	v_bfe_i32 v192, v192, 8, 8
	s_delay_alu instid0(VALU_DEP_2) | instskip(SKIP_1) | instid1(VALU_DEP_2)
	v_and_b32_e32 v1, 0x3030303, v0
	v_bfe_u32 v0, v0, 24, 2
	v_lshrrev_b32_e32 v5, 16, v1
	s_delay_alu instid0(VALU_DEP_2) | instskip(SKIP_2) | instid1(VALU_DEP_4)
	v_sub_nc_u16 v0, v0, v7
	v_lshrrev_b16 v2, 8, v1
	v_sub_nc_u16 v197, v1, v3
	v_sub_nc_u16 v191, v5, v94
	s_delay_alu instid0(VALU_DEP_4) | instskip(NEXT) | instid1(VALU_DEP_3)
	v_lshlrev_b16 v0, 8, v0
	v_bfe_i32 v197, v197, 0, 8
	s_delay_alu instid0(VALU_DEP_2) | instskip(SKIP_4) | instid1(VALU_DEP_2)
	v_bitop3_b16 v193, v191, v0, 0xff bitop3:0xec
	v_sub_nc_u16 v0, v2, v6
	ds_load_2addr_b32 v[2:3], v93 offset0:2 offset1:3
	v_lshlrev_b16 v194, 8, v0
	v_add_nc_u32_e32 v0, 0x1088, v4
	v_perm_b32 v164, v194, v194, 0xc0c0c01
	ds_load_2addr_b32 v[0:1], v0 offset1:1
	s_wait_dscnt 0x1
	v_dual_ashrrev_i32 v2, s20, v2 :: v_dual_ashrrev_i32 v3, s20, v3
	s_delay_alu instid0(VALU_DEP_1) | instskip(SKIP_2) | instid1(VALU_DEP_2)
	v_dual_lshlrev_b32 v2, 2, v2 :: v_dual_lshlrev_b32 v3, 2, v3
	s_wait_dscnt 0x0
	v_ashrrev_i32_e32 v0, s22, v0
	v_and_b32_e32 v2, 0x4040404, v2
	s_delay_alu instid0(VALU_DEP_3) | instskip(NEXT) | instid1(VALU_DEP_3)
	v_and_b32_e32 v3, 0x4040404, v3
	v_and_b32_e32 v5, 0x3030303, v0
	v_bfe_u32 v0, v0, 24, 2
	s_delay_alu instid0(VALU_DEP_4) | instskip(SKIP_1) | instid1(VALU_DEP_4)
	v_dual_lshrrev_b32 v94, 16, v2 :: v_dual_lshrrev_b32 v128, 24, v2
	v_lshrrev_b16 v95, 8, v2
	v_lshrrev_b32_e32 v6, 16, v5
	v_lshrrev_b16 v7, 8, v5
	v_sub_nc_u16 v199, v5, v2
	v_sub_nc_u16 v0, v0, v128
	s_delay_alu instid0(VALU_DEP_4) | instskip(SKIP_2) | instid1(VALU_DEP_4)
	v_sub_nc_u16 v200, v6, v94
	v_lshrrev_b32_e32 v94, 16, v3
	v_lshrrev_b16 v6, 8, v3
	v_lshlrev_b16 v140, 8, v0
	v_sub_nc_u16 v0, v7, v95
	v_lshrrev_b32_e32 v7, 24, v3
	v_bfe_i32 v200, v200, 0, 8
	v_bfe_i32 v199, v199, 0, 8
	;; [unrolled: 1-line block ×3, first 2 shown]
	v_lshlrev_b16 v198, 8, v0
	v_ashrrev_i32_e32 v0, s22, v1
	v_perm_b32 v174, v200, v174, 0x5040100
	s_delay_alu instid0(VALU_DEP_3) | instskip(NEXT) | instid1(VALU_DEP_3)
	v_bfe_i32 v198, v198, 8, 8
	v_and_b32_e32 v1, 0x3030303, v0
	v_bfe_u32 v0, v0, 24, 2
	s_delay_alu instid0(VALU_DEP_2) | instskip(NEXT) | instid1(VALU_DEP_2)
	v_lshrrev_b32_e32 v5, 16, v1
	v_sub_nc_u16 v0, v0, v7
	v_lshrrev_b16 v2, 8, v1
	v_sub_nc_u16 v144, v1, v3
	s_delay_alu instid0(VALU_DEP_4) | instskip(NEXT) | instid1(VALU_DEP_4)
	v_sub_nc_u16 v141, v5, v94
	v_lshlrev_b16 v0, 8, v0
	s_delay_alu instid0(VALU_DEP_3) | instskip(NEXT) | instid1(VALU_DEP_2)
	v_bfe_i32 v144, v144, 0, 8
	v_bitop3_b16 v142, v141, v0, 0xff bitop3:0xec
	v_sub_nc_u16 v0, v2, v6
	ds_load_2addr_b32 v[2:3], v93 offset0:4 offset1:5
	v_lshlrev_b16 v143, 8, v0
	v_add_nc_u32_e32 v0, 0x1090, v4
	ds_load_2addr_b32 v[0:1], v0 offset1:1
	s_wait_dscnt 0x1
	v_dual_ashrrev_i32 v2, s20, v2 :: v_dual_ashrrev_i32 v3, s20, v3
	s_delay_alu instid0(VALU_DEP_1) | instskip(SKIP_2) | instid1(VALU_DEP_2)
	v_dual_lshlrev_b32 v2, 2, v2 :: v_dual_lshlrev_b32 v3, 2, v3
	s_wait_dscnt 0x0
	v_ashrrev_i32_e32 v0, s22, v0
	v_and_b32_e32 v2, 0x4040404, v2
	s_delay_alu instid0(VALU_DEP_3) | instskip(NEXT) | instid1(VALU_DEP_3)
	v_and_b32_e32 v3, 0x4040404, v3
	v_and_b32_e32 v5, 0x3030303, v0
	v_bfe_u32 v0, v0, 24, 2
	s_delay_alu instid0(VALU_DEP_4) | instskip(SKIP_1) | instid1(VALU_DEP_4)
	v_dual_lshrrev_b32 v95, 24, v2 :: v_dual_lshrrev_b32 v128, 16, v2
	v_lshrrev_b16 v94, 8, v2
	v_lshrrev_b32_e32 v7, 16, v5
	v_lshrrev_b16 v6, 8, v5
	s_delay_alu instid0(VALU_DEP_4) | instskip(SKIP_1) | instid1(VALU_DEP_4)
	v_sub_nc_u16 v0, v0, v95
	v_sub_nc_u16 v185, v5, v2
	;; [unrolled: 1-line block ×3, first 2 shown]
	v_lshrrev_b32_e32 v7, 24, v3
	s_delay_alu instid0(VALU_DEP_4) | instskip(NEXT) | instid1(VALU_DEP_4)
	v_lshlrev_b16 v0, 8, v0
	v_bfe_i32 v185, v185, 0, 8
	s_delay_alu instid0(VALU_DEP_2) | instskip(SKIP_3) | instid1(VALU_DEP_4)
	v_bitop3_b16 v180, v179, v0, 0xff bitop3:0xec
	v_sub_nc_u16 v0, v6, v94
	v_lshrrev_b32_e32 v94, 16, v3
	v_lshrrev_b16 v6, 8, v3
	v_perm_b32 v179, v180, v179, 0xc0c0500
	s_delay_alu instid0(VALU_DEP_4) | instskip(SKIP_1) | instid1(VALU_DEP_2)
	v_lshlrev_b16 v182, 8, v0
	v_ashrrev_i32_e32 v0, s22, v1
	v_bfe_i32 v182, v182, 8, 8
	s_delay_alu instid0(VALU_DEP_2) | instskip(SKIP_1) | instid1(VALU_DEP_2)
	v_and_b32_e32 v1, 0x3030303, v0
	v_bfe_u32 v0, v0, 24, 2
	v_lshrrev_b32_e32 v5, 16, v1
	s_delay_alu instid0(VALU_DEP_2) | instskip(SKIP_2) | instid1(VALU_DEP_4)
	v_sub_nc_u16 v0, v0, v7
	v_lshrrev_b16 v2, 8, v1
	v_sub_nc_u16 v186, v1, v3
	v_sub_nc_u16 v181, v5, v94
	s_delay_alu instid0(VALU_DEP_4) | instskip(NEXT) | instid1(VALU_DEP_3)
	v_lshlrev_b16 v0, 8, v0
	v_bfe_i32 v186, v186, 0, 8
	s_delay_alu instid0(VALU_DEP_2)
	v_bitop3_b16 v183, v181, v0, 0xff bitop3:0xec
	v_sub_nc_u16 v0, v2, v6
	ds_load_2addr_b32 v[2:3], v93 offset0:6 offset1:7
	v_lshlrev_b16 v184, 8, v0
	v_add_nc_u32_e32 v0, 0x1098, v4
	ds_load_2addr_b32 v[0:1], v0 offset1:1
	s_wait_dscnt 0x1
	v_dual_ashrrev_i32 v2, s20, v2 :: v_dual_ashrrev_i32 v3, s20, v3
	s_delay_alu instid0(VALU_DEP_1) | instskip(SKIP_2) | instid1(VALU_DEP_2)
	v_dual_lshlrev_b32 v2, 2, v2 :: v_dual_lshlrev_b32 v3, 2, v3
	s_wait_dscnt 0x0
	v_ashrrev_i32_e32 v0, s22, v0
	v_and_b32_e32 v2, 0x4040404, v2
	s_delay_alu instid0(VALU_DEP_3) | instskip(NEXT) | instid1(VALU_DEP_3)
	v_and_b32_e32 v3, 0x4040404, v3
	v_and_b32_e32 v5, 0x3030303, v0
	v_bfe_u32 v0, v0, 24, 2
	s_delay_alu instid0(VALU_DEP_4) | instskip(SKIP_1) | instid1(VALU_DEP_4)
	v_dual_lshrrev_b32 v93, 16, v2 :: v_dual_lshrrev_b32 v95, 24, v2
	v_lshrrev_b16 v94, 8, v2
	v_lshrrev_b32_e32 v6, 16, v5
	v_lshrrev_b16 v7, 8, v5
	v_sub_nc_u16 v190, v5, v2
	v_sub_nc_u16 v0, v0, v95
	s_delay_alu instid0(VALU_DEP_4) | instskip(SKIP_2) | instid1(VALU_DEP_4)
	v_sub_nc_u16 v196, v6, v93
	v_lshrrev_b32_e32 v93, 16, v3
	v_lshrrev_b16 v6, 8, v3
	v_lshlrev_b16 v145, 8, v0
	v_sub_nc_u16 v0, v7, v94
	v_lshrrev_b32_e32 v7, 24, v3
	v_add3_u32 v94, s23, v116, v117
	v_bfe_i32 v196, v196, 0, 8
	v_bfe_i32 v190, v190, 0, 8
	v_lshlrev_b16 v189, 8, v0
	v_ashrrev_i32_e32 v0, s22, v1
	s_delay_alu instid0(VALU_DEP_4) | instskip(NEXT) | instid1(VALU_DEP_3)
	v_perm_b32 v170, v196, v170, 0x5040100
	v_bfe_i32 v189, v189, 8, 8
	s_delay_alu instid0(VALU_DEP_3) | instskip(SKIP_1) | instid1(VALU_DEP_2)
	v_and_b32_e32 v1, 0x3030303, v0
	v_bfe_u32 v0, v0, 24, 2
	v_lshrrev_b32_e32 v5, 16, v1
	s_delay_alu instid0(VALU_DEP_2) | instskip(SKIP_2) | instid1(VALU_DEP_4)
	v_sub_nc_u16 v0, v0, v7
	v_lshrrev_b16 v2, 8, v1
	v_sub_nc_u16 v149, v1, v3
	v_sub_nc_u16 v146, v5, v93
	s_delay_alu instid0(VALU_DEP_4) | instskip(NEXT) | instid1(VALU_DEP_3)
	v_lshlrev_b16 v0, 8, v0
	v_bfe_i32 v149, v149, 0, 8
	s_delay_alu instid0(VALU_DEP_2)
	v_bitop3_b16 v147, v146, v0, 0xff bitop3:0xec
	v_sub_nc_u16 v0, v2, v6
	ds_load_2addr_b32 v[2:3], v94 offset1:1
	v_lshlrev_b16 v148, 8, v0
	v_add3_u32 v0, s25, v114, v115
	ds_load_b32 v93, v0
	v_add_nc_u32_e32 v0, 0x2100, v4
	ds_load_2addr_b32 v[0:1], v0 offset1:1
	s_wait_dscnt 0x2
	v_dual_ashrrev_i32 v2, s20, v2 :: v_dual_ashrrev_i32 v3, s20, v3
	s_delay_alu instid0(VALU_DEP_1) | instskip(NEXT) | instid1(VALU_DEP_1)
	v_dual_lshlrev_b32 v2, 2, v2 :: v_dual_lshlrev_b32 v3, 2, v3
	v_and_b32_e32 v2, 0x4040404, v2
	s_delay_alu instid0(VALU_DEP_2) | instskip(NEXT) | instid1(VALU_DEP_2)
	v_and_b32_e32 v3, 0x4040404, v3
	v_dual_lshrrev_b32 v128, 24, v2 :: v_dual_lshrrev_b32 v155, 16, v2
	s_wait_dscnt 0x0
	v_ashrrev_i32_e32 v0, s22, v0
	v_lshrrev_b16 v95, 8, v2
	s_delay_alu instid0(VALU_DEP_2) | instskip(NEXT) | instid1(VALU_DEP_1)
	v_and_b32_e32 v5, 0x3030303, v0
	v_lshrrev_b32_e32 v7, 16, v5
	v_bfe_u32 v0, v0, 24, 2
	v_lshrrev_b16 v6, 8, v5
	v_sub_nc_u16 v5, v5, v2
	s_delay_alu instid0(VALU_DEP_4) | instskip(NEXT) | instid1(VALU_DEP_4)
	v_sub_nc_u16 v201, v7, v155
	v_sub_nc_u16 v0, v0, v128
	v_dual_lshrrev_b32 v128, 24, v3 :: v_dual_lshrrev_b32 v155, 16, v3
	s_delay_alu instid0(VALU_DEP_4) | instskip(NEXT) | instid1(VALU_DEP_3)
	v_bfe_i32 v224, v5, 0, 8
	v_lshlrev_b16 v0, 8, v0
	s_delay_alu instid0(VALU_DEP_1) | instskip(SKIP_2) | instid1(VALU_DEP_3)
	v_bitop3_b16 v202, v201, v0, 0xff bitop3:0xec
	v_sub_nc_u16 v0, v6, v95
	v_lshrrev_b16 v95, 8, v3
	v_perm_b32 v201, v202, v201, 0xc0c0500
	s_delay_alu instid0(VALU_DEP_3) | instskip(SKIP_1) | instid1(VALU_DEP_2)
	v_lshlrev_b16 v6, 8, v0
	v_ashrrev_i32_e32 v0, s22, v1
	v_bfe_i32 v225, v6, 8, 8
	s_delay_alu instid0(VALU_DEP_2) | instskip(SKIP_1) | instid1(VALU_DEP_2)
	v_and_b32_e32 v1, 0x3030303, v0
	v_bfe_u32 v0, v0, 24, 2
	v_lshrrev_b32_e32 v7, 16, v1
	s_delay_alu instid0(VALU_DEP_2) | instskip(SKIP_1) | instid1(VALU_DEP_3)
	v_sub_nc_u16 v0, v0, v128
	v_lshrrev_b16 v2, 8, v1
	v_sub_nc_u16 v203, v7, v155
	s_delay_alu instid0(VALU_DEP_3) | instskip(SKIP_1) | instid1(VALU_DEP_2)
	v_lshlrev_b16 v0, 8, v0
	v_sub_nc_u16 v7, v1, v3
	v_bitop3_b16 v204, v203, v0, 0xff bitop3:0xec
	v_sub_nc_u16 v0, v2, v95
	ds_load_2addr_b32 v[2:3], v94 offset0:2 offset1:3
	v_bfe_i32 v226, v7, 0, 8
	v_perm_b32 v203, v204, v203, 0xc05000c
	v_lshlrev_b16 v205, 8, v0
	v_add_nc_u32_e32 v0, 0x2108, v4
	s_delay_alu instid0(VALU_DEP_2) | instskip(SKIP_3) | instid1(VALU_DEP_1)
	v_perm_b32 v204, v205, v205, 0xc0c0c01
	ds_load_2addr_b32 v[0:1], v0 offset1:1
	s_wait_dscnt 0x1
	v_dual_ashrrev_i32 v2, s20, v2 :: v_dual_bitop2_b32 v203, v203, v204 bitop3:0x54
	v_dual_ashrrev_i32 v3, s20, v3 :: v_dual_lshlrev_b32 v2, 2, v2
	s_wait_dscnt 0x0
	s_delay_alu instid0(VALU_DEP_1) | instskip(NEXT) | instid1(VALU_DEP_2)
	v_dual_lshlrev_b32 v3, 2, v3 :: v_dual_ashrrev_i32 v0, s22, v0
	v_and_b32_e32 v2, 0x4040404, v2
	s_delay_alu instid0(VALU_DEP_2) | instskip(NEXT) | instid1(VALU_DEP_3)
	v_and_b32_e32 v3, 0x4040404, v3
	v_and_b32_e32 v95, 0x3030303, v0
	v_bfe_u32 v0, v0, 24, 2
	s_delay_alu instid0(VALU_DEP_4) | instskip(SKIP_1) | instid1(VALU_DEP_4)
	v_dual_lshrrev_b32 v157, 24, v2 :: v_dual_lshrrev_b32 v173, 16, v2
	v_lshrrev_b16 v156, 8, v2
	v_lshrrev_b32_e32 v155, 16, v95
	v_lshrrev_b16 v128, 8, v95
	s_delay_alu instid0(VALU_DEP_4) | instskip(SKIP_1) | instid1(VALU_DEP_4)
	v_sub_nc_u16 v0, v0, v157
	v_sub_nc_u16 v209, v95, v2
	;; [unrolled: 1-line block ×3, first 2 shown]
	v_lshrrev_b32_e32 v155, 24, v3
	s_delay_alu instid0(VALU_DEP_4) | instskip(NEXT) | instid1(VALU_DEP_4)
	v_lshlrev_b16 v0, 8, v0
	v_bfe_i32 v200, v209, 0, 8
	v_bfe_i32 v209, v167, 8, 8
	;; [unrolled: 1-line block ×3, first 2 shown]
	s_delay_alu instid0(VALU_DEP_4) | instskip(SKIP_3) | instid1(VALU_DEP_3)
	v_bitop3_b16 v207, v206, v0, 0xff bitop3:0xec
	v_sub_nc_u16 v0, v128, v156
	v_lshrrev_b32_e32 v156, 16, v3
	v_lshrrev_b16 v128, 8, v3
	v_lshlrev_b16 v208, 8, v0
	v_ashrrev_i32_e32 v0, s22, v1
	s_delay_alu instid0(VALU_DEP_1) | instskip(NEXT) | instid1(VALU_DEP_1)
	v_and_b32_e32 v1, 0x3030303, v0
	v_lshrrev_b32_e32 v95, 16, v1
	v_bfe_u32 v0, v0, 24, 2
	v_lshrrev_b16 v2, 8, v1
	v_sub_nc_u16 v213, v1, v3
	s_delay_alu instid0(VALU_DEP_4) | instskip(NEXT) | instid1(VALU_DEP_4)
	v_sub_nc_u16 v210, v95, v156
	v_sub_nc_u16 v0, v0, v155
	s_delay_alu instid0(VALU_DEP_1) | instskip(NEXT) | instid1(VALU_DEP_1)
	v_lshlrev_b16 v0, 8, v0
	v_bitop3_b16 v211, v210, v0, 0xff bitop3:0xec
	v_sub_nc_u16 v0, v2, v128
	ds_load_2addr_b32 v[2:3], v94 offset0:4 offset1:5
	v_lshlrev_b16 v212, 8, v0
	v_add_nc_u32_e32 v0, 0x2110, v4
	s_delay_alu instid0(VALU_DEP_2) | instskip(SKIP_3) | instid1(VALU_DEP_1)
	v_perm_b32 v188, v212, v212, 0xc0c0c01
	ds_load_2addr_b32 v[0:1], v0 offset1:1
	s_wait_dscnt 0x1
	v_dual_ashrrev_i32 v2, s20, v2 :: v_dual_ashrrev_i32 v3, s20, v3
	v_dual_lshlrev_b32 v2, 2, v2 :: v_dual_lshlrev_b32 v3, 2, v3
	s_wait_dscnt 0x0
	v_ashrrev_i32_e32 v0, s22, v0
	s_delay_alu instid0(VALU_DEP_2) | instskip(NEXT) | instid1(VALU_DEP_3)
	v_and_b32_e32 v2, 0x4040404, v2
	v_and_b32_e32 v3, 0x4040404, v3
	s_delay_alu instid0(VALU_DEP_3) | instskip(SKIP_1) | instid1(VALU_DEP_4)
	v_and_b32_e32 v95, 0x3030303, v0
	v_bfe_u32 v0, v0, 24, 2
	v_dual_lshrrev_b32 v157, 24, v2 :: v_dual_lshrrev_b32 v173, 16, v2
	v_lshrrev_b16 v156, 8, v2
	s_delay_alu instid0(VALU_DEP_4) | instskip(SKIP_1) | instid1(VALU_DEP_4)
	v_lshrrev_b32_e32 v155, 16, v95
	v_lshrrev_b16 v128, 8, v95
	v_sub_nc_u16 v0, v0, v157
	v_lshrrev_b32_e32 v157, 24, v3
	v_sub_nc_u16 v95, v95, v2
	v_sub_nc_u16 v214, v155, v173
	v_lshrrev_b32_e32 v173, 16, v3
	v_lshlrev_b16 v0, 8, v0
	s_delay_alu instid0(VALU_DEP_4) | instskip(SKIP_1) | instid1(VALU_DEP_3)
	v_bfe_i32 v228, v95, 0, 8
	v_add3_u32 v95, s23, v120, v121
	v_bitop3_b16 v215, v214, v0, 0xff bitop3:0xec
	v_sub_nc_u16 v0, v128, v156
	v_lshrrev_b16 v156, 8, v3
	s_delay_alu instid0(VALU_DEP_2) | instskip(SKIP_1) | instid1(VALU_DEP_2)
	v_lshlrev_b16 v128, 8, v0
	v_ashrrev_i32_e32 v0, s22, v1
	v_bfe_i32 v229, v128, 8, 8
	s_delay_alu instid0(VALU_DEP_2) | instskip(NEXT) | instid1(VALU_DEP_1)
	v_and_b32_e32 v1, 0x3030303, v0
	v_lshrrev_b32_e32 v155, 16, v1
	v_bfe_u32 v0, v0, 24, 2
	v_lshrrev_b16 v2, 8, v1
	s_delay_alu instid0(VALU_DEP_3) | instskip(NEXT) | instid1(VALU_DEP_3)
	v_sub_nc_u16 v216, v155, v173
	v_sub_nc_u16 v0, v0, v157
	;; [unrolled: 1-line block ×3, first 2 shown]
	s_delay_alu instid0(VALU_DEP_2) | instskip(NEXT) | instid1(VALU_DEP_2)
	v_lshlrev_b16 v0, 8, v0
	v_bfe_i32 v230, v173, 0, 8
	s_delay_alu instid0(VALU_DEP_2)
	v_bitop3_b16 v217, v216, v0, 0xff bitop3:0xec
	v_sub_nc_u16 v0, v2, v156
	ds_load_2addr_b32 v[2:3], v94 offset0:6 offset1:7
	v_lshlrev_b16 v218, 8, v0
	v_add_nc_u32_e32 v0, 0x2118, v4
	ds_load_2addr_b32 v[0:1], v0 offset1:1
	s_wait_dscnt 0x1
	v_dual_ashrrev_i32 v2, s20, v2 :: v_dual_ashrrev_i32 v3, s20, v3
	s_delay_alu instid0(VALU_DEP_1) | instskip(SKIP_2) | instid1(VALU_DEP_2)
	v_dual_lshlrev_b32 v2, 2, v2 :: v_dual_lshlrev_b32 v3, 2, v3
	s_wait_dscnt 0x0
	v_ashrrev_i32_e32 v0, s22, v0
	v_and_b32_e32 v2, 0x4040404, v2
	s_delay_alu instid0(VALU_DEP_3) | instskip(NEXT) | instid1(VALU_DEP_3)
	v_and_b32_e32 v3, 0x4040404, v3
	v_and_b32_e32 v155, 0x3030303, v0
	v_bfe_u32 v0, v0, 24, 2
	s_delay_alu instid0(VALU_DEP_4) | instskip(SKIP_1) | instid1(VALU_DEP_4)
	v_dual_lshrrev_b32 v175, 24, v2 :: v_dual_lshrrev_b32 v176, 16, v2
	v_lshrrev_b16 v94, 8, v2
	v_lshrrev_b32_e32 v157, 16, v155
	v_lshrrev_b16 v156, 8, v155
	s_delay_alu instid0(VALU_DEP_4)
	v_sub_nc_u16 v0, v0, v175
	v_sub_nc_u16 v222, v155, v2
	v_lshrrev_b32_e32 v155, 16, v3
	v_sub_nc_u16 v219, v157, v176
	v_lshrrev_b16 v157, 8, v3
	v_lshlrev_b16 v0, 8, v0
	v_bfe_i32 v196, v222, 0, 8
	s_delay_alu instid0(VALU_DEP_2) | instskip(SKIP_2) | instid1(VALU_DEP_2)
	v_bitop3_b16 v220, v219, v0, 0xff bitop3:0xec
	v_sub_nc_u16 v0, v156, v94
	v_lshrrev_b32_e32 v156, 24, v3
	v_lshlrev_b16 v221, 8, v0
	v_ashrrev_i32_e32 v0, s22, v1
	s_delay_alu instid0(VALU_DEP_1) | instskip(NEXT) | instid1(VALU_DEP_1)
	v_and_b32_e32 v1, 0x3030303, v0
	v_lshrrev_b32_e32 v94, 16, v1
	v_bfe_u32 v0, v0, 24, 2
	v_lshrrev_b16 v2, 8, v1
	v_sub_nc_u16 v223, v1, v3
	v_add3_u32 v1, s25, v118, v119
	v_sub_nc_u16 v155, v94, v155
	v_sub_nc_u16 v0, v0, v156
	ds_load_b32 v94, v1
	v_lshlrev_b16 v0, 8, v0
	s_delay_alu instid0(VALU_DEP_1)
	v_bitop3_b16 v156, v155, v0, 0xff bitop3:0xec
	v_sub_nc_u16 v0, v2, v157
	ds_load_2addr_b32 v[2:3], v95 offset1:1
	v_lshlrev_b16 v157, 8, v0
	s_wait_dscnt 0x0
	v_dual_add_nc_u32 v0, s24, v31 :: v_dual_ashrrev_i32 v2, s20, v2
	ds_load_u16 v0, v0 offset:27394
	v_ashrrev_i32_e32 v3, s20, v3
	s_delay_alu instid0(VALU_DEP_1) | instskip(NEXT) | instid1(VALU_DEP_1)
	v_lshlrev_b32_e32 v3, 2, v3
	v_and_b32_e32 v3, 0x4040404, v3
	s_wait_dscnt 0x0
	v_lshrrev_b16 v1, 8, v0
	v_bfe_i32 v227, v0, 0, 8
	v_add_nc_u32_e32 v0, 0x3180, v4
	s_delay_alu instid0(VALU_DEP_3) | instskip(SKIP_2) | instid1(VALU_DEP_1)
	v_bfe_i32 v128, v1, 0, 8
	ds_load_2addr_b32 v[0:1], v0 offset1:1
	v_lshlrev_b32_e32 v2, 2, v2
	v_and_b32_e32 v2, 0x4040404, v2
	s_delay_alu instid0(VALU_DEP_1) | instskip(SKIP_3) | instid1(VALU_DEP_1)
	v_dual_lshrrev_b32 v173, 16, v2 :: v_dual_lshrrev_b32 v175, 24, v2
	v_lshrrev_b16 v176, 8, v2
	s_wait_dscnt 0x0
	v_ashrrev_i32_e32 v0, s22, v0
	v_and_b32_e32 v5, 0x3030303, v0
	v_bfe_u32 v0, v0, 24, 2
	s_delay_alu instid0(VALU_DEP_2) | instskip(NEXT) | instid1(VALU_DEP_2)
	v_sub_nc_u16 v234, v5, v2
	v_sub_nc_u16 v232, v0, v175
	v_ashrrev_i32_e32 v0, s22, v1
	v_lshrrev_b32_e32 v6, 16, v5
	v_lshrrev_b16 v7, 8, v5
	s_delay_alu instid0(VALU_DEP_4) | instskip(NEXT) | instid1(VALU_DEP_4)
	v_bfe_i32 v232, v232, 0, 16
	v_bfe_u32 v1, v0, 24, 2
	v_and_b32_e32 v0, 0x3030303, v0
	v_sub_nc_u16 v233, v6, v173
	v_lshrrev_b32_e32 v6, 24, v3
	v_sub_nc_u16 v231, v7, v176
	s_delay_alu instid0(VALU_DEP_4)
	v_dual_lshrrev_b32 v7, 16, v3 :: v_dual_lshrrev_b32 v2, 16, v0
	v_lshrrev_b16 v5, 8, v0
	v_sub_nc_u16 v235, v0, v3
	v_add_nc_u32_e32 v0, 0x3188, v4
	v_sub_nc_u16 v238, v1, v6
	v_lshrrev_b16 v173, 8, v3
	v_sub_nc_u16 v237, v2, v7
	ds_load_2addr_b32 v[2:3], v95 offset0:2 offset1:3
	ds_load_2addr_b32 v[0:1], v0 offset1:1
	v_bfe_i32 v231, v231, 0, 16
	v_sub_nc_u16 v236, v5, v173
	v_bfe_i32 v205, v237, 0, 8
	v_bfe_i32 v235, v235, 0, 8
	s_wait_dscnt 0x0
	v_dual_ashrrev_i32 v2, s20, v2 :: v_dual_ashrrev_i32 v0, s22, v0
	s_delay_alu instid0(VALU_DEP_1) | instskip(NEXT) | instid1(VALU_DEP_2)
	v_dual_ashrrev_i32 v3, s20, v3 :: v_dual_lshlrev_b32 v2, 2, v2
	v_bfe_u32 v5, v0, 24, 2
	v_and_b32_e32 v0, 0x3030303, v0
	s_delay_alu instid0(VALU_DEP_3) | instskip(NEXT) | instid1(VALU_DEP_4)
	v_lshlrev_b32_e32 v3, 2, v3
	v_and_b32_e32 v2, 0x4040404, v2
	s_delay_alu instid0(VALU_DEP_3) | instskip(SKIP_1) | instid1(VALU_DEP_4)
	v_lshrrev_b32_e32 v6, 16, v0
	v_lshrrev_b16 v7, 8, v0
	v_and_b32_e32 v3, 0x4040404, v3
	s_delay_alu instid0(VALU_DEP_4) | instskip(SKIP_3) | instid1(VALU_DEP_3)
	v_sub_nc_u16 v239, v0, v2
	v_dual_ashrrev_i32 v0, s22, v1 :: v_dual_lshrrev_b32 v173, 24, v2
	v_lshrrev_b32_e32 v175, 16, v2
	v_lshrrev_b16 v176, 8, v2
	v_bfe_u32 v1, v0, 24, 2
	v_and_b32_e32 v0, 0x3030303, v0
	s_delay_alu instid0(VALU_DEP_4)
	v_sub_nc_u16 v241, v6, v175
	v_sub_nc_u16 v242, v5, v173
	v_lshrrev_b32_e32 v6, 24, v3
	v_sub_nc_u16 v240, v7, v176
	v_lshrrev_b32_e32 v2, 16, v0
	v_lshrrev_b16 v5, 8, v0
	v_sub_nc_u16 v243, v0, v3
	v_add_nc_u32_e32 v0, 0x3190, v4
	v_lshrrev_b32_e32 v7, 16, v3
	v_sub_nc_u16 v246, v1, v6
	v_lshrrev_b16 v173, 8, v3
	ds_load_2addr_b32 v[0:1], v0 offset1:1
	v_sub_nc_u16 v245, v2, v7
	ds_load_2addr_b32 v[2:3], v95 offset0:4 offset1:5
	v_sub_nc_u16 v244, v5, v173
	s_wait_dscnt 0x0
	v_dual_ashrrev_i32 v0, s22, v0 :: v_dual_ashrrev_i32 v2, s20, v2
	v_ashrrev_i32_e32 v3, s20, v3
	s_delay_alu instid0(VALU_DEP_2) | instskip(SKIP_1) | instid1(VALU_DEP_3)
	v_and_b32_e32 v5, 0x3030303, v0
	v_bfe_u32 v0, v0, 24, 2
	v_dual_lshlrev_b32 v2, 2, v2 :: v_dual_lshlrev_b32 v3, 2, v3
	s_delay_alu instid0(VALU_DEP_3) | instskip(SKIP_1) | instid1(VALU_DEP_3)
	v_lshrrev_b32_e32 v6, 16, v5
	v_lshrrev_b16 v7, 8, v5
	v_and_b32_e32 v2, 0x4040404, v2
	s_delay_alu instid0(VALU_DEP_4) | instskip(NEXT) | instid1(VALU_DEP_2)
	v_and_b32_e32 v3, 0x4040404, v3
	v_dual_lshrrev_b32 v173, 16, v2 :: v_dual_lshrrev_b32 v175, 24, v2
	v_lshrrev_b16 v176, 8, v2
	v_sub_nc_u16 v250, v5, v2
	s_delay_alu instid0(VALU_DEP_3) | instskip(NEXT) | instid1(VALU_DEP_4)
	v_sub_nc_u16 v249, v6, v173
	v_sub_nc_u16 v248, v0, v175
	v_dual_ashrrev_i32 v0, s22, v1 :: v_dual_lshrrev_b32 v6, 24, v3
	v_sub_nc_u16 v247, v7, v176
	v_lshrrev_b32_e32 v7, 16, v3
	v_lshrrev_b16 v173, 8, v3
	s_delay_alu instid0(VALU_DEP_4) | instskip(SKIP_2) | instid1(VALU_DEP_3)
	v_bfe_u32 v1, v0, 24, 2
	v_and_b32_e32 v0, 0x3030303, v0
	v_bfe_i32 v194, v249, 0, 8
	v_sub_nc_u16 v254, v1, v6
	s_delay_alu instid0(VALU_DEP_3) | instskip(SKIP_3) | instid1(VALU_DEP_4)
	v_lshrrev_b32_e32 v2, 16, v0
	v_lshrrev_b16 v5, 8, v0
	v_sub_nc_u16 v251, v0, v3
	v_add_nc_u32_e32 v0, 0x3198, v4
	v_sub_nc_u16 v253, v2, v7
	ds_load_2addr_b32 v[2:3], v95 offset0:6 offset1:7
	v_sub_nc_u16 v252, v5, v173
	ds_load_2addr_b32 v[0:1], v0 offset1:1
	s_wait_dscnt 0x1
	v_dual_ashrrev_i32 v2, s20, v2 :: v_dual_ashrrev_i32 v3, s20, v3
	s_wait_dscnt 0x0
	v_ashrrev_i32_e32 v0, s22, v0
	s_add_co_i32 s20, s20, 1
	s_cmp_lt_u32 s21, 14
	v_dual_lshlrev_b32 v2, 2, v2 :: v_dual_lshlrev_b32 v3, 2, v3
	s_delay_alu instid0(VALU_DEP_2) | instskip(SKIP_1) | instid1(VALU_DEP_3)
	v_bfe_u32 v4, v0, 24, 2
	v_and_b32_e32 v0, 0x3030303, v0
	v_and_b32_e32 v2, 0x4040404, v2
	s_delay_alu instid0(VALU_DEP_2) | instskip(SKIP_1) | instid1(VALU_DEP_3)
	v_lshrrev_b32_e32 v5, 16, v0
	v_lshrrev_b16 v6, 8, v0
	v_sub_nc_u16 v255, v0, v2
	v_dual_ashrrev_i32 v0, s22, v1 :: v_dual_lshrrev_b32 v7, 24, v2
	v_lshrrev_b32_e32 v95, 16, v2
	v_lshrrev_b16 v173, 8, v2
	s_delay_alu instid0(VALU_DEP_3)
	v_bfe_u32 v1, v0, 24, 2
	v_and_b32_e32 v0, 0x3030303, v0
	s_set_vgpr_msb 64                       ;  msbs: dst=1 src0=0 src1=0 src2=0
	v_sub_nc_u16 v1 /*v257*/, v5, v95
	v_sub_nc_u16 v0 /*v256*/, v6, v173
	s_set_vgpr_msb 0                        ;  msbs: dst=0 src0=0 src1=0 src2=0
	v_add_nc_u32_e32 v173, s24, v29
	v_and_b32_e32 v3, 0x4040404, v3
	v_lshrrev_b32_e32 v2, 16, v0
	s_set_vgpr_msb 64                       ;  msbs: dst=1 src0=0 src1=0 src2=0
	v_sub_nc_u16 v2 /*v258*/, v4, v7
	s_set_vgpr_msb 0                        ;  msbs: dst=0 src0=0 src1=0 src2=0
	v_lshrrev_b16 v4, 8, v0
	s_mov_b32 s24, s21
	v_dual_lshrrev_b32 v5, 24, v3 :: v_dual_lshrrev_b32 v6, 16, v3
	v_lshrrev_b16 v7, 8, v3
	v_sub_nc_u16 v175, v0, v3
	v_add3_u32 v0, s25, v122, v123
	s_delay_alu instid0(VALU_DEP_4)
	v_sub_nc_u16 v178, v1, v5
	v_sub_nc_u16 v177, v2, v6
	;; [unrolled: 1-line block ×3, first 2 shown]
	ds_load_b32 v95, v0
	ds_load_b128 v[4:7], v89
	ds_load_b128 v[0:3], v89 offset:16
	v_or_b32_e32 v165, v166, v165
	v_perm_b32 v166, v208, v208, 0xc0c0c01
	v_add_nc_u32_e32 v89, 32, v89
	ds_load_u16 v139, v139 offset:25346
	ds_load_u16 v150, v150 offset:26370
	s_wait_dscnt 0x3
	s_set_vgpr_msb 64                       ;  msbs: dst=1 src0=0 src1=0 src2=0
	v_lshrrev_b16 v3 /*v259*/, 8, v4
	v_bfe_i32 v9 /*v265*/, v4, 0, 8
	s_set_vgpr_msb 0                        ;  msbs: dst=0 src0=0 src1=0 src2=0
	v_perm_b32 v202, v4, v4, 0xc0c0302
	s_set_vgpr_msb 64                       ;  msbs: dst=1 src0=0 src1=0 src2=0
	v_bfe_i32 v10 /*v266*/, v5, 0, 8
	s_set_vgpr_msb 0                        ;  msbs: dst=0 src0=0 src1=0 src2=0
	v_perm_b32 v204, v5, v5, 0xc030201
	s_set_vgpr_msb 0x41                     ;  msbs: dst=1 src0=1 src1=0 src2=0
	v_bfe_i32 v3 /*v259*/, v3 /*v259*/, 0, 8
	s_set_vgpr_msb 1                        ;  msbs: dst=0 src0=1 src1=0 src2=0
	v_mul_i32_i24_e32 v224, v9 /*v265*/, v224
	s_set_vgpr_msb 64                       ;  msbs: dst=1 src0=0 src1=0 src2=0
	v_lshrrev_b16 v4 /*v260*/, 8, v5
	v_ashrrev_i32_e32 v7 /*v263*/, 24, v4
	v_bfe_i32 v8 /*v264*/, v4, 16, 8
	s_set_vgpr_msb 1                        ;  msbs: dst=0 src0=1 src1=0 src2=0
	v_mul_i32_i24_e32 v209, v3 /*v259*/, v209
	v_mad_i32_i24 v224, v3 /*v259*/, v225, v224
	s_set_vgpr_msb 0                        ;  msbs: dst=0 src0=0 src1=0 src2=0
	v_bfe_i32 v225, v233, 0, 8
	v_ashrrev_i32_e32 v233, 24, v5
	s_set_vgpr_msb 1                        ;  msbs: dst=0 src0=1 src1=0 src2=0
	v_mul_i32_i24_e32 v195, v9 /*v265*/, v195
	v_mad_i32_i24 v167, v9 /*v265*/, v167, v209
	s_set_vgpr_msb 0                        ;  msbs: dst=0 src0=0 src1=0 src2=0
	v_dot4_i32_iu8 v201, v202, v201, v224 neg_lo:[1,1,0]
	v_perm_b32 v4, v5, v4, 0x5040302
	v_bfe_i32 v224, v234, 0, 8
	s_set_vgpr_msb 1                        ;  msbs: dst=0 src0=1 src1=0 src2=0
	v_bfe_i32 v234, v4 /*v260*/, 0, 8
	s_set_vgpr_msb 64                       ;  msbs: dst=1 src0=0 src1=0 src2=0
	v_bfe_i32 v4 /*v260*/, v5, 16, 8
	s_set_vgpr_msb 1                        ;  msbs: dst=0 src0=1 src1=0 src2=0
	v_mad_i32_i24 v201, v10 /*v266*/, v226, v201
	v_mad_i32_i24 v192, v3 /*v259*/, v192, v195
	s_set_vgpr_msb 0                        ;  msbs: dst=0 src0=0 src1=0 src2=0
	v_perm_b32 v5, v6, v5, 0x5040302
	s_set_vgpr_msb 64                       ;  msbs: dst=1 src0=0 src1=0 src2=0
	v_lshrrev_b16 v5 /*v261*/, 8, v6
	s_set_vgpr_msb 0                        ;  msbs: dst=0 src0=0 src1=0 src2=0
	v_bfe_i32 v226, v236, 0, 16
	v_dot4_i32_iu8 v201, v204, v203, v201 neg_lo:[1,1,0]
	v_bfe_i32 v203, v238, 0, 16
	v_bfe_i32 v236, v6, 0, 8
	v_dot4_i32_iu8 v187, v202, v187, v192 neg_lo:[1,1,0]
	v_mul_i32_i24_e32 v226, v226, v234
	s_set_vgpr_msb 1                        ;  msbs: dst=0 src0=1 src1=0 src2=0
	v_bfe_i32 v234, v5 /*v261*/, 0, 8
	s_set_vgpr_msb 0                        ;  msbs: dst=0 src0=0 src1=0 src2=0
	v_mul_i32_i24_e32 v203, v203, v233
	v_ashrrev_i32_e32 v233, 24, v6
	v_bfe_i32 v237, v6, 16, 8
	s_set_vgpr_msb 1                        ;  msbs: dst=0 src0=1 src1=0 src2=0
	v_mad_i32_i24 v187, v10 /*v266*/, v197, v187
	s_set_vgpr_msb 0                        ;  msbs: dst=0 src0=0 src1=0 src2=0
	v_perm_b32 v6, v6, v6, 0xc030201
	v_bfe_i32 v172, v7, 0, 8
	s_set_vgpr_msb 64                       ;  msbs: dst=1 src0=0 src1=0 src2=0
	v_lshrrev_b16 v6 /*v262*/, 8, v7
	s_set_vgpr_msb 4                        ;  msbs: dst=0 src0=0 src1=1 src2=0
	v_mul_i32_i24_e32 v231, v231, v3 /*v259*/
	v_mul_i32_i24_e32 v235, v235, v10 /*v266*/
	;; [unrolled: 1-line block ×3, first 2 shown]
	v_bfe_i32 v171, v7, 16, 8
	s_set_vgpr_msb 1                        ;  msbs: dst=0 src0=1 src1=0 src2=0
	v_bfe_i32 v169, v6 /*v262*/, 0, 8
	s_set_vgpr_msb 0                        ;  msbs: dst=0 src0=0 src1=0 src2=0
	v_bfe_i32 v192, v244, 0, 16
	v_bfe_i32 v197, v247, 0, 16
	v_pk_mul_lo_u16 v174, v174, v237 op_sel_hi:[1,0]
	v_perm_b32 v202, v218, v218, 0xc0c0c01
	v_or_b32_e32 v151, v152, v151
	v_mul_i32_i24_e32 v169, v192, v169
	s_set_vgpr_msb 4                        ;  msbs: dst=0 src0=0 src1=1 src2=0
	v_mad_i32_i24 v192, v224, v9 /*v265*/, v235
	s_set_vgpr_msb 0                        ;  msbs: dst=0 src0=0 src1=0 src2=0
	v_perm_b32 v152, v184, v184, 0xc0c0c01
	s_wait_dscnt 0x2
	v_bfe_i32 v160, v3, 16, 8
	v_bfe_i32 v195, v248, 0, 16
	v_mul_i32_i24_e32 v144, v172, v144
	v_dot4_i32_iu8 v4, v4, v163, v167 neg_lo:[1,1,0]
	v_perm_b32 v163, v193, v191, 0xc05000c
	v_bfe_i32 v167, v239, 0, 8
	v_bfe_i32 v191, v245, 0, 8
	;; [unrolled: 1-line block ×3, first 2 shown]
	v_mul_i32_i24_e32 v129, v233, v129
	v_mul_i32_i24_e32 v140, v233, v140
	v_dot4_i32_iu8 v165, v5, v165, v4 neg_lo:[1,1,0]
	v_perm_b32 v5, v207, v206, 0xc05000c
	v_dual_ashrrev_i32 v168, 24, v7 :: v_dual_bitop2_b32 v163, v163, v164 bitop3:0x54
	v_mad_i32_i24 v4, v236, v200, v201
	v_mul_i32_i24_e32 v164, v234, v198
	v_mul_i32_i24_e32 v167, v167, v236
	;; [unrolled: 1-line block ×4, first 2 shown]
	s_set_vgpr_msb 4                        ;  msbs: dst=0 src0=0 src1=1 src2=0
	v_mad_i32_i24 v191, v225, v8 /*v264*/, v205
	v_bfe_i32 v206, v158, 8, 8
	v_bfe_i32 v158, v158, 0, 8
	;; [unrolled: 1-line block ×3, first 2 shown]
	s_set_vgpr_msb 0                        ;  msbs: dst=0 src0=0 src1=0 src2=0
	v_perm_b32 v201, v217, v216, 0xc05000c
	v_bfe_i32 v205, v251, 0, 8
	v_dual_ashrrev_i32 v198, 24, v1 :: v_dual_bitop2_b32 v5, v5, v166 bitop3:0x54
	v_dot4_i32_iu8 v163, v204, v163, v187 neg_lo:[1,1,0]
	v_bfe_i32 v187, v213, 0, 8
	v_bfe_i32 v166, v240, 0, 16
	v_add3_u32 v167, v192, v167, v193
	v_perm_b32 v192, v215, v214, 0xc0c0500
	v_perm_b32 v193, v0, v0, 0xc0c0302
	v_bfe_i32 v204, v252, 0, 16
	v_or_b32_e32 v201, v201, v202
	v_perm_b32 v202, v1, v1, 0xc030201
	v_mul_i32_i24_e32 v205, v205, v200
	v_dot4_i32_iu8 v4, v6, v5, v4 neg_lo:[1,1,0]
	v_bfe_i32 v5, v242, 0, 16
	v_bfe_i32 v6, v241, 0, 8
	v_mul_i32_i24_e32 v166, v166, v234
	v_mad_i32_i24 v163, v236, v199, v163
	v_bfe_i32 v199, v1, 16, 8
	v_mad_i32_i24 v4, v172, v187, v4
	v_perm_b32 v187, v211, v210, 0xc05000c
	v_mul_i32_i24_e32 v5, v5, v233
	v_mul_i32_i24_e32 v6, v6, v237
	v_add3_u32 v166, v231, v226, v166
	s_delay_alu instid0(VALU_DEP_4) | instskip(SKIP_1) | instid1(VALU_DEP_4)
	v_or_b32_e32 v187, v187, v188
	v_perm_b32 v188, v7, v7, 0xc030201
	v_add3_u32 v6, v191, v6, v171
	v_bfe_i32 v171, v0, 16, 8
	s_delay_alu instid0(VALU_DEP_3) | instskip(SKIP_1) | instid1(VALU_DEP_2)
	v_dot4_i32_iu8 v4, v188, v187, v4 neg_lo:[1,1,0]
	v_bfe_i32 v187, v246, 0, 16
	v_mul_lo_u32 v4, v4, v227
	s_delay_alu instid0(VALU_DEP_2) | instskip(SKIP_4) | instid1(VALU_DEP_2)
	v_mul_i32_i24_e32 v168, v187, v168
	s_set_vgpr_msb 4                        ;  msbs: dst=0 src0=0 src1=1 src2=0
	v_mad_i32_i24 v187, v232, v7 /*v263*/, v203
	v_bfe_i32 v203, v253, 0, 8
	s_set_vgpr_msb 0                        ;  msbs: dst=0 src0=0 src1=0 src2=0
	v_add3_u32 v5, v187, v5, v168
	v_bfe_i32 v187, v0, 0, 8
	s_delay_alu instid0(VALU_DEP_3)
	v_mul_i32_i24_e32 v199, v203, v199
	v_bfe_i32 v203, v2, 0, 8
	v_lshrrev_b16 v168, 8, v3
	v_add3_u32 v5, v166, v169, v5
	v_mul_i32_i24_e32 v191, v187, v228
	v_lshrrev_b16 v166, 8, v1
	v_mul_i32_i24_e32 v185, v187, v185
	v_ashrrev_i32_e32 v169, 24, v0
	v_bfe_i32 v159, v168, 0, 8
	v_mad_i32_i24 v134, v194, v171, v199
	v_add3_u32 v5, v167, v6, v5
	v_lshrrev_b16 v6, 8, v0
	v_bfe_i32 v166, v166, 0, 8
	v_perm_b32 v0, v1, v0, 0x5040302
	v_lshrrev_b16 v167, 8, v2
	v_perm_b32 v1, v2, v1, 0x5040302
	v_bfe_i32 v6, v6, 0, 8
	v_mul_i32_i24_e32 v166, v204, v166
	v_bfe_i32 v204, v2, 16, 8
	v_bfe_i32 v167, v167, 0, 8
	s_delay_alu instid0(VALU_DEP_4)
	v_mad_i32_i24 v191, v6, v229, v191
	v_mul_i32_i24_e32 v206, v6, v206
	v_mul_i32_i24_e32 v197, v197, v6
	v_mad_i32_i24 v6, v6, v182, v185
	v_pk_mul_lo_u16 v170, v170, v204 op_sel_hi:[1,0]
	v_dot4_i32_iu8 v191, v193, v192, v191 neg_lo:[1,1,0]
	v_mad_i32_i24 v158, v187, v158, v206
	v_bfe_i32 v192, v250, 0, 8
	v_dot4_i32_iu8 v6, v193, v179, v6 neg_lo:[1,1,0]
	v_bfe_i32 v179, v174, 0, 16
	v_ashrrev_i32_e32 v174, 16, v174
	v_bfe_i32 v132, v170, 0, 16
	v_mad_i32_i24 v191, v200, v230, v191
	v_dot4_i32_iu8 v0, v0, v151, v158 neg_lo:[1,1,0]
	v_perm_b32 v151, v183, v181, 0xc05000c
	v_mad_i32_i24 v6, v200, v186, v6
	v_ashrrev_i32_e32 v158, 24, v3
	v_add3_u32 v129, v165, v179, v129
	v_add3_u32 v163, v163, v164, v174
	v_dot4_i32_iu8 v191, v202, v201, v191 neg_lo:[1,1,0]
	v_bfe_i32 v201, v254, 0, 16
	v_dual_ashrrev_i32 v133, 16, v170 :: v_dual_bitop2_b32 v151, v151, v152 bitop3:0x54
	v_perm_b32 v152, v154, v153, 0xc0c0500
	v_perm_b32 v153, v162, v161, 0x5000c0c
	v_dot4_i32_iu8 v7, v7, v130, v129 neg_lo:[1,1,0]
	v_perm_b32 v129, v142, v141, 0xc05000c
	v_perm_b32 v130, v143, v143, 0xc0c0c01
	v_bfe_i32 v161, v3, 0, 8
	v_bfe_i32 v162, v223, 0, 8
	v_bfe_i32 v154, v255, 0, 8
	v_add3_u32 v140, v163, v140, v144
	v_mul_i32_i24_e32 v198, v201, v198
	v_ashrrev_i32_e32 v201, 24, v2
	v_dot4_i32_iu8 v6, v202, v151, v6 neg_lo:[1,1,0]
	v_or_b32_e32 v152, v153, v152
	v_mul_i32_i24_e32 v151, v167, v189
	v_or_b32_e32 v129, v129, v130
	v_bfe_i32 v130, v145, 8, 8
	v_perm_b32 v153, v221, v221, 0xc0c0c01
	v_perm_b32 v2, v2, v2, 0xc030201
	v_mul_i32_i24_e32 v154, v154, v203
	v_mad_i32_i24 v6, v203, v190, v6
	v_dot4_i32_iu8 v0, v1, v152, v0 neg_lo:[1,1,0]
	v_mul_i32_i24_e32 v131, v201, v131
	v_mul_i32_i24_e32 v130, v201, v130
	v_perm_b32 v152, v220, v219, 0xc05000c
	v_mad_i32_i24 v1, v203, v196, v191
	v_dot4_i32_iu8 v129, v188, v129, v140 neg_lo:[1,1,0]
	v_add3_u32 v6, v6, v151, v133
	v_add3_u32 v0, v0, v132, v131
	v_mul_i32_i24_e32 v131, v161, v149
	v_or_b32_e32 v152, v152, v153
	s_set_vgpr_msb 1                        ;  msbs: dst=0 src0=1 src1=0 src2=0
	v_bfe_i32 v153, v0 /*v256*/, 0, 16
	s_set_vgpr_msb 0                        ;  msbs: dst=0 src0=0 src1=0 src2=0
	v_bfe_i32 v132, v175, 0, 8
	v_mad_i32_i24 v133, v195, v169, v198
	v_add3_u32 v6, v6, v130, v131
	v_perm_b32 v130, v138, v137, 0xc0c0500
	v_perm_b32 v131, v136, v135, 0x5000c0c
	v_dot4_i32_iu8 v1, v2, v152, v1 neg_lo:[1,1,0]
	s_set_vgpr_msb 1                        ;  msbs: dst=0 src0=1 src1=0 src2=0
	v_bfe_i32 v2, v2 /*v258*/, 0, 16
	v_bfe_i32 v152, v1 /*v257*/, 0, 8
	s_set_vgpr_msb 0                        ;  msbs: dst=0 src0=0 src1=0 src2=0
	v_mul_i32_i24_e32 v153, v153, v167
	v_mul_i32_i24_e32 v132, v132, v161
	v_mad_i32_i24 v135, v192, v187, v205
	v_or_b32_e32 v130, v131, v130
	v_perm_b32 v131, v148, v148, 0xc0c0c01
	v_mul_i32_i24_e32 v2, v2, v201
	v_mul_i32_i24_e32 v152, v152, v204
	v_add3_u32 v136, v197, v166, v153
	v_add3_u32 v132, v135, v154, v132
	v_dot4_i32_iu8 v130, v3, v130, v0 neg_lo:[1,1,0]
	v_perm_b32 v0, v147, v146, 0xc05000c
	v_perm_b32 v3, v3, v3, 0xc030201
	s_delay_alu instid0(VALU_DEP_2) | instskip(SKIP_1) | instid1(VALU_DEP_2)
	v_or_b32_e32 v0, v0, v131
	v_perm_b32 v131, v157, v157, 0xc0c0c01
	v_dot4_i32_iu8 v6, v3, v0, v6 neg_lo:[1,1,0]
	v_mad_i32_i24 v0, v161, v162, v1
	v_perm_b32 v1, v156, v155, 0xc05000c
	s_delay_alu instid0(VALU_DEP_1) | instskip(NEXT) | instid1(VALU_DEP_1)
	v_or_b32_e32 v1, v1, v131
	v_dot4_i32_iu8 v131, v3, v1, v0 neg_lo:[1,1,0]
	v_bfe_i32 v0, v178, 0, 16
	v_bfe_i32 v1, v177, 0, 8
	v_bfe_i32 v3, v176, 0, 16
	s_delay_alu instid0(VALU_DEP_3) | instskip(NEXT) | instid1(VALU_DEP_3)
	v_mul_i32_i24_e32 v0, v0, v158
	v_mul_i32_i24_e32 v1, v1, v160
	s_delay_alu instid0(VALU_DEP_3) | instskip(NEXT) | instid1(VALU_DEP_3)
	v_mul_i32_i24_e32 v3, v3, v159
	v_add3_u32 v0, v133, v2, v0
	s_delay_alu instid0(VALU_DEP_3) | instskip(NEXT) | instid1(VALU_DEP_2)
	v_add3_u32 v1, v134, v152, v1
	v_add3_u32 v0, v136, v3, v0
	v_pk_mul_f32 v[2:3], v[90:91], v[94:95] op_sel_hi:[0,1]
	s_delay_alu instid0(VALU_DEP_2)
	v_add3_u32 v132, v132, v1, v0
	ds_load_u16 v0, v173 offset:28418
	s_wait_dscnt 0x2
	v_lshrrev_b16 v167, 8, v139
	s_wait_dscnt 0x1
	v_lshrrev_b16 v168, 8, v150
	v_bfe_i32 v150, v150, 0, 8
	v_bfe_i32 v139, v139, 0, 8
	;; [unrolled: 1-line block ×3, first 2 shown]
	s_delay_alu instid0(VALU_DEP_4) | instskip(NEXT) | instid1(VALU_DEP_4)
	v_bfe_i32 v168, v168, 0, 8
	v_mul_lo_u32 v129, v129, v150
	s_delay_alu instid0(VALU_DEP_4) | instskip(NEXT) | instid1(VALU_DEP_2)
	v_mul_lo_u32 v7, v7, v139
	v_mad_u32 v6, v6, v168, v129
	s_delay_alu instid0(VALU_DEP_2) | instskip(SKIP_3) | instid1(VALU_DEP_2)
	v_mad_u32 v7, v130, v167, v7
	s_wait_dscnt 0x0
	v_lshrrev_b16 v1, 8, v0
	v_bfe_i32 v0, v0, 0, 8
	v_bfe_i32 v133, v1, 0, 8
	s_delay_alu instid0(VALU_DEP_2)
	v_mul_lo_u32 v5, v5, v0
	v_pk_mul_f32 v[0:1], v[90:91], v[92:93] op_sel_hi:[0,1]
	v_mad_u32 v90, v131, v128, v4
	v_add_nc_u32_e32 v91, 4, v91
	v_cvt_f32_i32_e32 v4, v7
	v_mad_u32 v92, v132, v133, v5
	v_cvt_f32_i32_e32 v5, v6
	v_cvt_f32_i32_e32 v6, v90
	s_delay_alu instid0(VALU_DEP_2) | instskip(NEXT) | instid1(VALU_DEP_4)
	v_pk_fma_f32 v[20:21], v[0:1], v[4:5], v[20:21]
	v_cvt_f32_i32_e32 v7, v92
	s_delay_alu instid0(VALU_DEP_1)
	v_pk_fma_f32 v[18:19], v[2:3], v[6:7], v[18:19]
	s_cbranch_scc1 .LBB210_19
; %bb.20:                               ;   in Loop: Header=BB210_5 Depth=1
	s_or_b32 s1, s18, 0x100
	s_delay_alu instid0(SALU_CYCLE_1)
	s_cmp_ge_i32 s1, s5
	s_barrier_signal -1
	s_barrier_wait -1
	s_cbranch_scc1 .LBB210_4
; %bb.21:                               ;   in Loop: Header=BB210_5 Depth=1
	v_add_nc_u32_e32 v0, s19, v105
	s_delay_alu instid0(VALU_DEP_1) | instskip(SKIP_1) | instid1(SALU_CYCLE_1)
	v_cmp_gt_i32_e64 s1, s6, v0
	s_and_b32 s20, s0, s1
	s_and_saveexec_b32 s1, s20
	s_cbranch_execz .LBB210_23
; %bb.22:                               ;   in Loop: Header=BB210_5 Depth=1
	v_add_nc_u32_e32 v0, v22, v0
	s_delay_alu instid0(VALU_DEP_1)
	v_mad_nc_i64_i32 v[0:1], v0, 36, v[24:25]
	global_load_b32 v0, v[0:1], off offset:4
	s_wait_loadcnt 0x0
	ds_store_b32 v67, v0
.LBB210_23:                             ;   in Loop: Header=BB210_5 Depth=1
	s_or_b32 exec_lo, exec_lo, s1
	s_and_saveexec_b32 s20, vcc_lo
	s_cbranch_execz .LBB210_26
; %bb.24:                               ;   in Loop: Header=BB210_5 Depth=1
	v_or_b32_e32 v0, 8, v88
	s_delay_alu instid0(VALU_DEP_1) | instskip(SKIP_1) | instid1(SALU_CYCLE_1)
	v_cmp_gt_i32_e64 s1, s6, v0
	s_and_b32 s1, s0, s1
	s_and_b32 exec_lo, exec_lo, s1
	s_cbranch_execz .LBB210_26
; %bb.25:                               ;   in Loop: Header=BB210_5 Depth=1
	v_ashrrev_i32_e32 v89, 31, v88
	s_delay_alu instid0(VALU_DEP_1) | instskip(NEXT) | instid1(VALU_DEP_1)
	v_add_nc_u64_e32 v[0:1], v[22:23], v[88:89]
	v_mad_nc_u64_u32 v[2:3], v0, 36, s[2:3]
	s_delay_alu instid0(VALU_DEP_1)
	v_mad_i32_i24 v3, v1, 36, v3
	global_load_b32 v0, v[2:3], off offset:288
	s_wait_loadcnt 0x0
	v_cvt_f32_f16_e32 v0, v0
	ds_store_b32 v103, v0
.LBB210_26:                             ;   in Loop: Header=BB210_5 Depth=1
	s_or_b32 exec_lo, exec_lo, s20
	v_dual_mov_b32 v89, v65 :: v_dual_mov_b32 v91, v69
	s_mov_b32 s1, 16
	s_mov_b32 s24, 14
	s_mov_b32 s20, 0
	s_wait_dscnt 0x0
	s_barrier_signal -1
	s_barrier_wait -1
.LBB210_27:                             ;   Parent Loop BB210_5 Depth=1
                                        ; =>  This Inner Loop Header: Depth=2
	s_add_co_i32 s21, s24, 2
	s_add_co_i32 s22, s24, -14
	s_lshr_b32 s26, s21, 4
	s_and_b32 s23, s21, 0x3ffffff8
	s_and_b32 s25, s1, -16
	v_lshl_add_u32 v4, s23, 2, v107
	s_lshl_b32 s23, s26, 5
	s_add_co_i32 s24, s24, s25
	s_addk_co_i32 s23, 0x4200
	s_lshl_b32 s25, s26, 2
	v_add3_u32 v92, s23, v108, v109
	ds_load_2addr_b32 v[0:1], v4 offset1:1
	s_addk_co_i32 s25, 0x7380
	ds_load_b32 v90, v91
	s_add_co_i32 s1, s1, 2
	ds_load_2addr_b32 v[2:3], v92 offset1:1
	s_wait_dscnt 0x2
	v_dual_add_nc_u32 v150, s24, v33 :: v_dual_ashrrev_i32 v0, s22, v0
	s_wait_dscnt 0x0
	v_ashrrev_i32_e32 v2, s20, v2
	s_delay_alu instid0(VALU_DEP_2) | instskip(NEXT) | instid1(VALU_DEP_2)
	v_and_b32_e32 v5, 0x3030303, v0
	v_dual_ashrrev_i32 v3, s20, v3 :: v_dual_lshlrev_b32 v2, 2, v2
	s_delay_alu instid0(VALU_DEP_2) | instskip(SKIP_2) | instid1(VALU_DEP_4)
	v_lshrrev_b32_e32 v7, 16, v5
	v_bfe_u32 v0, v0, 24, 2
	v_lshrrev_b16 v6, 8, v5
	v_lshlrev_b32_e32 v3, 2, v3
	v_and_b32_e32 v2, 0x4040404, v2
	s_delay_alu instid0(VALU_DEP_2) | instskip(NEXT) | instid1(VALU_DEP_2)
	v_and_b32_e32 v3, 0x4040404, v3
	v_dual_lshrrev_b32 v94, 24, v2 :: v_dual_lshrrev_b32 v95, 16, v2
	v_lshrrev_b16 v93, 8, v2
	s_delay_alu instid0(VALU_DEP_2) | instskip(NEXT) | instid1(VALU_DEP_3)
	v_sub_nc_u16 v0, v0, v94
	v_sub_nc_u16 v163, v7, v95
	v_lshrrev_b32_e32 v7, 24, v3
	s_delay_alu instid0(VALU_DEP_3) | instskip(NEXT) | instid1(VALU_DEP_1)
	v_lshlrev_b16 v0, 8, v0
	v_bitop3_b16 v164, v163, v0, 0xff bitop3:0xec
	v_sub_nc_u16 v0, v5, v2
	v_sub_nc_u16 v2, v6, v93
	v_lshrrev_b32_e32 v93, 16, v3
	v_lshrrev_b16 v6, 8, v3
	v_perm_b32 v163, v164, v163, 0xc0c0500
	s_delay_alu instid0(VALU_DEP_4) | instskip(NEXT) | instid1(VALU_DEP_1)
	v_lshlrev_b16 v2, 8, v2
	v_bitop3_b16 v0, v0, v2, 0xff bitop3:0xec
	s_delay_alu instid0(VALU_DEP_1) | instskip(SKIP_1) | instid1(VALU_DEP_1)
	v_and_b32_e32 v167, 0xffff, v0
	v_ashrrev_i32_e32 v0, s22, v1
	v_and_b32_e32 v1, 0x3030303, v0
	v_bfe_u32 v0, v0, 24, 2
	s_delay_alu instid0(VALU_DEP_2) | instskip(NEXT) | instid1(VALU_DEP_2)
	v_lshrrev_b32_e32 v5, 16, v1
	v_sub_nc_u16 v0, v0, v7
	v_lshrrev_b16 v2, 8, v1
	v_sub_nc_u16 v168, v1, v3
	s_delay_alu instid0(VALU_DEP_4) | instskip(NEXT) | instid1(VALU_DEP_4)
	v_sub_nc_u16 v165, v5, v93
	v_lshlrev_b16 v0, 8, v0
	s_delay_alu instid0(VALU_DEP_1) | instskip(SKIP_4) | instid1(VALU_DEP_1)
	v_bitop3_b16 v166, v165, v0, 0xff bitop3:0xec
	v_sub_nc_u16 v0, v2, v6
	ds_load_2addr_b32 v[2:3], v92 offset0:2 offset1:3
	v_perm_b32 v165, v166, v165, 0xc0c0500
	v_lshlrev_b16 v0, 8, v0
	v_bitop3_b16 v169, v168, v0, 0xff bitop3:0xec
	ds_load_2addr_b32 v[0:1], v4 offset0:2 offset1:3
	v_perm_b32 v164, v169, v168, 0x5000c0c
	s_wait_dscnt 0x1
	s_delay_alu instid0(VALU_DEP_1) | instskip(NEXT) | instid1(VALU_DEP_1)
	v_dual_ashrrev_i32 v2, s20, v2 :: v_dual_bitop2_b32 v163, v164, v163 bitop3:0x54
	v_dual_ashrrev_i32 v3, s20, v3 :: v_dual_lshlrev_b32 v2, 2, v2
	s_wait_dscnt 0x0
	s_delay_alu instid0(VALU_DEP_1) | instskip(NEXT) | instid1(VALU_DEP_2)
	v_dual_lshlrev_b32 v3, 2, v3 :: v_dual_ashrrev_i32 v0, s22, v0
	v_and_b32_e32 v2, 0x4040404, v2
	s_delay_alu instid0(VALU_DEP_2) | instskip(NEXT) | instid1(VALU_DEP_3)
	v_and_b32_e32 v3, 0x4040404, v3
	v_and_b32_e32 v5, 0x3030303, v0
	v_bfe_u32 v0, v0, 24, 2
	s_delay_alu instid0(VALU_DEP_4) | instskip(SKIP_1) | instid1(VALU_DEP_4)
	v_dual_lshrrev_b32 v93, 16, v2 :: v_dual_lshrrev_b32 v94, 24, v2
	v_lshrrev_b16 v95, 8, v2
	v_lshrrev_b16 v7, 8, v5
	v_lshrrev_b32_e32 v6, 16, v5
	v_sub_nc_u16 v171, v5, v2
	v_sub_nc_u16 v0, v0, v94
	s_delay_alu instid0(VALU_DEP_4) | instskip(SKIP_2) | instid1(VALU_DEP_4)
	v_sub_nc_u16 v2, v7, v95
	v_lshrrev_b32_e32 v7, 24, v3
	v_sub_nc_u16 v174, v6, v93
	v_lshlrev_b16 v129, 8, v0
	v_ashrrev_i32_e32 v0, s22, v1
	v_lshlrev_b16 v2, 8, v2
	v_lshrrev_b32_e32 v93, 16, v3
	v_lshrrev_b16 v6, 8, v3
	v_bfe_i32 v174, v174, 0, 8
	v_and_b32_e32 v1, 0x3030303, v0
	v_bfe_u32 v0, v0, 24, 2
	v_bitop3_b16 v172, v171, v2, 0xff bitop3:0xec
	v_bfe_i32 v129, v129, 8, 8
	s_delay_alu instid0(VALU_DEP_4) | instskip(NEXT) | instid1(VALU_DEP_4)
	v_lshrrev_b32_e32 v5, 16, v1
	v_sub_nc_u16 v0, v0, v7
	v_lshrrev_b16 v2, 8, v1
	v_sub_nc_u16 v132, v1, v3
	v_perm_b32 v166, v172, v171, 0x5000c0c
	v_sub_nc_u16 v130, v5, v93
	v_lshlrev_b16 v0, 8, v0
	s_delay_alu instid0(VALU_DEP_1) | instskip(SKIP_4) | instid1(VALU_DEP_1)
	v_bitop3_b16 v131, v130, v0, 0xff bitop3:0xec
	v_sub_nc_u16 v0, v2, v6
	ds_load_2addr_b32 v[2:3], v92 offset0:4 offset1:5
	v_perm_b32 v130, v131, v130, 0x5000c0c
	v_lshlrev_b16 v0, 8, v0
	v_bitop3_b16 v133, v132, v0, 0xff bitop3:0xec
	ds_load_2addr_b32 v[0:1], v4 offset0:4 offset1:5
	v_perm_b32 v132, v133, v132, 0xc0c0500
	s_wait_dscnt 0x1
	s_delay_alu instid0(VALU_DEP_1) | instskip(NEXT) | instid1(VALU_DEP_1)
	v_dual_ashrrev_i32 v2, s20, v2 :: v_dual_bitop2_b32 v130, v130, v132 bitop3:0x54
	v_dual_ashrrev_i32 v3, s20, v3 :: v_dual_lshlrev_b32 v2, 2, v2
	s_wait_dscnt 0x0
	s_delay_alu instid0(VALU_DEP_1) | instskip(NEXT) | instid1(VALU_DEP_2)
	v_dual_lshlrev_b32 v3, 2, v3 :: v_dual_ashrrev_i32 v0, s22, v0
	v_and_b32_e32 v2, 0x4040404, v2
	s_delay_alu instid0(VALU_DEP_2) | instskip(NEXT) | instid1(VALU_DEP_3)
	v_and_b32_e32 v3, 0x4040404, v3
	v_and_b32_e32 v5, 0x3030303, v0
	v_bfe_u32 v0, v0, 24, 2
	s_delay_alu instid0(VALU_DEP_4) | instskip(SKIP_1) | instid1(VALU_DEP_4)
	v_dual_lshrrev_b32 v94, 24, v2 :: v_dual_lshrrev_b32 v95, 16, v2
	v_lshrrev_b16 v93, 8, v2
	v_lshrrev_b32_e32 v7, 16, v5
	v_lshrrev_b16 v6, 8, v5
	s_delay_alu instid0(VALU_DEP_4) | instskip(NEXT) | instid1(VALU_DEP_3)
	v_sub_nc_u16 v0, v0, v94
	v_sub_nc_u16 v151, v7, v95
	v_lshrrev_b32_e32 v7, 24, v3
	s_delay_alu instid0(VALU_DEP_3) | instskip(NEXT) | instid1(VALU_DEP_1)
	v_lshlrev_b16 v0, 8, v0
	v_bitop3_b16 v152, v151, v0, 0xff bitop3:0xec
	v_sub_nc_u16 v0, v5, v2
	v_sub_nc_u16 v2, v6, v93
	v_lshrrev_b32_e32 v93, 16, v3
	v_lshrrev_b16 v6, 8, v3
	v_perm_b32 v151, v152, v151, 0xc0c0500
	s_delay_alu instid0(VALU_DEP_4) | instskip(NEXT) | instid1(VALU_DEP_1)
	v_lshlrev_b16 v2, 8, v2
	v_bitop3_b16 v0, v0, v2, 0xff bitop3:0xec
	s_delay_alu instid0(VALU_DEP_1) | instskip(SKIP_1) | instid1(VALU_DEP_1)
	v_and_b32_e32 v158, 0xffff, v0
	v_ashrrev_i32_e32 v0, s22, v1
	v_and_b32_e32 v1, 0x3030303, v0
	v_bfe_u32 v0, v0, 24, 2
	s_delay_alu instid0(VALU_DEP_2) | instskip(NEXT) | instid1(VALU_DEP_2)
	v_lshrrev_b32_e32 v5, 16, v1
	v_sub_nc_u16 v0, v0, v7
	v_lshrrev_b16 v2, 8, v1
	v_sub_nc_u16 v159, v1, v3
	s_delay_alu instid0(VALU_DEP_4) | instskip(NEXT) | instid1(VALU_DEP_4)
	v_sub_nc_u16 v153, v5, v93
	v_lshlrev_b16 v0, 8, v0
	s_delay_alu instid0(VALU_DEP_1) | instskip(SKIP_3) | instid1(VALU_DEP_1)
	v_bitop3_b16 v154, v153, v0, 0xff bitop3:0xec
	v_sub_nc_u16 v0, v2, v6
	ds_load_2addr_b32 v[2:3], v92 offset0:6 offset1:7
	v_lshlrev_b16 v0, 8, v0
	v_bitop3_b16 v160, v159, v0, 0xff bitop3:0xec
	ds_load_2addr_b32 v[0:1], v4 offset0:6 offset1:7
	v_perm_b32 v152, v160, v159, 0x5000c0c
	s_wait_dscnt 0x1
	v_dual_ashrrev_i32 v2, s20, v2 :: v_dual_ashrrev_i32 v3, s20, v3
	s_delay_alu instid0(VALU_DEP_1) | instskip(SKIP_2) | instid1(VALU_DEP_2)
	v_dual_lshlrev_b32 v2, 2, v2 :: v_dual_lshlrev_b32 v3, 2, v3
	s_wait_dscnt 0x0
	v_ashrrev_i32_e32 v0, s22, v0
	v_and_b32_e32 v2, 0x4040404, v2
	s_delay_alu instid0(VALU_DEP_3) | instskip(NEXT) | instid1(VALU_DEP_3)
	v_and_b32_e32 v3, 0x4040404, v3
	v_and_b32_e32 v5, 0x3030303, v0
	v_bfe_u32 v0, v0, 24, 2
	s_delay_alu instid0(VALU_DEP_4) | instskip(SKIP_1) | instid1(VALU_DEP_4)
	v_dual_lshrrev_b32 v92, 16, v2 :: v_dual_lshrrev_b32 v93, 24, v2
	v_lshrrev_b16 v94, 8, v2
	v_lshrrev_b16 v7, 8, v5
	v_lshrrev_b32_e32 v6, 16, v5
	v_sub_nc_u16 v161, v5, v2
	v_sub_nc_u16 v0, v0, v93
	v_add3_u32 v93, s23, v112, v113
	v_sub_nc_u16 v2, v7, v94
	v_lshrrev_b32_e32 v7, 24, v3
	v_sub_nc_u16 v170, v6, v92
	v_lshlrev_b16 v134, 8, v0
	v_ashrrev_i32_e32 v0, s22, v1
	v_lshlrev_b16 v2, 8, v2
	v_lshrrev_b32_e32 v92, 16, v3
	v_lshrrev_b16 v6, 8, v3
	v_bfe_i32 v170, v170, 0, 8
	v_and_b32_e32 v1, 0x3030303, v0
	v_bfe_u32 v0, v0, 24, 2
	v_bitop3_b16 v162, v161, v2, 0xff bitop3:0xec
	v_bfe_i32 v131, v134, 8, 8
	s_delay_alu instid0(VALU_DEP_4) | instskip(NEXT) | instid1(VALU_DEP_4)
	v_lshrrev_b32_e32 v5, 16, v1
	v_sub_nc_u16 v0, v0, v7
	v_lshrrev_b16 v2, 8, v1
	v_sub_nc_u16 v137, v1, v3
	s_delay_alu instid0(VALU_DEP_4) | instskip(NEXT) | instid1(VALU_DEP_4)
	v_sub_nc_u16 v135, v5, v92
	v_lshlrev_b16 v0, 8, v0
	s_delay_alu instid0(VALU_DEP_1) | instskip(SKIP_4) | instid1(VALU_DEP_1)
	v_bitop3_b16 v136, v135, v0, 0xff bitop3:0xec
	v_sub_nc_u16 v0, v2, v6
	ds_load_2addr_b32 v[2:3], v93 offset1:1
	v_add_nc_u32_e32 v139, s24, v35
	v_lshlrev_b16 v0, 8, v0
	v_bitop3_b16 v138, v137, v0, 0xff bitop3:0xec
	v_add3_u32 v0, s25, v127, v111
	ds_load_b32 v92, v0
	v_add_nc_u32_e32 v0, 0x1080, v4
	s_wait_dscnt 0x1
	v_ashrrev_i32_e32 v2, s20, v2
	ds_load_2addr_b32 v[0:1], v0 offset1:1
	v_dual_ashrrev_i32 v3, s20, v3 :: v_dual_lshlrev_b32 v2, 2, v2
	s_delay_alu instid0(VALU_DEP_1) | instskip(NEXT) | instid1(VALU_DEP_2)
	v_lshlrev_b32_e32 v3, 2, v3
	v_and_b32_e32 v2, 0x4040404, v2
	s_delay_alu instid0(VALU_DEP_2) | instskip(NEXT) | instid1(VALU_DEP_2)
	v_and_b32_e32 v3, 0x4040404, v3
	v_dual_lshrrev_b32 v95, 24, v2 :: v_dual_lshrrev_b32 v128, 16, v2
	v_lshrrev_b16 v94, 8, v2
	s_wait_dscnt 0x0
	v_ashrrev_i32_e32 v0, s22, v0
	s_delay_alu instid0(VALU_DEP_1) | instskip(SKIP_1) | instid1(VALU_DEP_2)
	v_and_b32_e32 v5, 0x3030303, v0
	v_bfe_u32 v0, v0, 24, 2
	v_lshrrev_b32_e32 v7, 16, v5
	s_delay_alu instid0(VALU_DEP_2) | instskip(SKIP_2) | instid1(VALU_DEP_4)
	v_sub_nc_u16 v0, v0, v95
	v_lshrrev_b16 v6, 8, v5
	v_sub_nc_u16 v195, v5, v2
	v_sub_nc_u16 v187, v7, v128
	s_delay_alu instid0(VALU_DEP_4) | instskip(SKIP_1) | instid1(VALU_DEP_4)
	v_lshlrev_b16 v0, 8, v0
	v_lshrrev_b32_e32 v7, 24, v3
	v_bfe_i32 v195, v195, 0, 8
	s_delay_alu instid0(VALU_DEP_3) | instskip(SKIP_3) | instid1(VALU_DEP_4)
	v_bitop3_b16 v188, v187, v0, 0xff bitop3:0xec
	v_sub_nc_u16 v0, v6, v94
	v_lshrrev_b32_e32 v94, 16, v3
	v_lshrrev_b16 v6, 8, v3
	v_perm_b32 v187, v188, v187, 0xc0c0500
	s_delay_alu instid0(VALU_DEP_4) | instskip(SKIP_1) | instid1(VALU_DEP_2)
	v_lshlrev_b16 v192, 8, v0
	v_ashrrev_i32_e32 v0, s22, v1
	v_bfe_i32 v192, v192, 8, 8
	s_delay_alu instid0(VALU_DEP_2) | instskip(SKIP_1) | instid1(VALU_DEP_2)
	v_and_b32_e32 v1, 0x3030303, v0
	v_bfe_u32 v0, v0, 24, 2
	v_lshrrev_b32_e32 v5, 16, v1
	s_delay_alu instid0(VALU_DEP_2) | instskip(SKIP_2) | instid1(VALU_DEP_4)
	v_sub_nc_u16 v0, v0, v7
	v_lshrrev_b16 v2, 8, v1
	v_sub_nc_u16 v197, v1, v3
	v_sub_nc_u16 v191, v5, v94
	s_delay_alu instid0(VALU_DEP_4) | instskip(NEXT) | instid1(VALU_DEP_3)
	v_lshlrev_b16 v0, 8, v0
	v_bfe_i32 v197, v197, 0, 8
	s_delay_alu instid0(VALU_DEP_2) | instskip(SKIP_4) | instid1(VALU_DEP_2)
	v_bitop3_b16 v193, v191, v0, 0xff bitop3:0xec
	v_sub_nc_u16 v0, v2, v6
	ds_load_2addr_b32 v[2:3], v93 offset0:2 offset1:3
	v_lshlrev_b16 v194, 8, v0
	v_add_nc_u32_e32 v0, 0x1088, v4
	v_perm_b32 v164, v194, v194, 0xc0c0c01
	ds_load_2addr_b32 v[0:1], v0 offset1:1
	s_wait_dscnt 0x1
	v_dual_ashrrev_i32 v2, s20, v2 :: v_dual_ashrrev_i32 v3, s20, v3
	s_delay_alu instid0(VALU_DEP_1) | instskip(SKIP_2) | instid1(VALU_DEP_2)
	v_dual_lshlrev_b32 v2, 2, v2 :: v_dual_lshlrev_b32 v3, 2, v3
	s_wait_dscnt 0x0
	v_ashrrev_i32_e32 v0, s22, v0
	v_and_b32_e32 v2, 0x4040404, v2
	s_delay_alu instid0(VALU_DEP_3) | instskip(NEXT) | instid1(VALU_DEP_3)
	v_and_b32_e32 v3, 0x4040404, v3
	v_and_b32_e32 v5, 0x3030303, v0
	v_bfe_u32 v0, v0, 24, 2
	s_delay_alu instid0(VALU_DEP_4) | instskip(SKIP_1) | instid1(VALU_DEP_4)
	v_dual_lshrrev_b32 v94, 16, v2 :: v_dual_lshrrev_b32 v128, 24, v2
	v_lshrrev_b16 v95, 8, v2
	v_lshrrev_b32_e32 v6, 16, v5
	v_lshrrev_b16 v7, 8, v5
	v_sub_nc_u16 v199, v5, v2
	v_sub_nc_u16 v0, v0, v128
	s_delay_alu instid0(VALU_DEP_4) | instskip(SKIP_2) | instid1(VALU_DEP_4)
	v_sub_nc_u16 v200, v6, v94
	v_lshrrev_b32_e32 v94, 16, v3
	v_lshrrev_b16 v6, 8, v3
	v_lshlrev_b16 v140, 8, v0
	v_sub_nc_u16 v0, v7, v95
	v_lshrrev_b32_e32 v7, 24, v3
	v_bfe_i32 v200, v200, 0, 8
	v_bfe_i32 v199, v199, 0, 8
	;; [unrolled: 1-line block ×3, first 2 shown]
	v_lshlrev_b16 v198, 8, v0
	v_ashrrev_i32_e32 v0, s22, v1
	v_perm_b32 v174, v200, v174, 0x5040100
	s_delay_alu instid0(VALU_DEP_3) | instskip(NEXT) | instid1(VALU_DEP_3)
	v_bfe_i32 v198, v198, 8, 8
	v_and_b32_e32 v1, 0x3030303, v0
	v_bfe_u32 v0, v0, 24, 2
	s_delay_alu instid0(VALU_DEP_2) | instskip(NEXT) | instid1(VALU_DEP_2)
	v_lshrrev_b32_e32 v5, 16, v1
	v_sub_nc_u16 v0, v0, v7
	v_lshrrev_b16 v2, 8, v1
	v_sub_nc_u16 v144, v1, v3
	s_delay_alu instid0(VALU_DEP_4) | instskip(NEXT) | instid1(VALU_DEP_4)
	v_sub_nc_u16 v141, v5, v94
	v_lshlrev_b16 v0, 8, v0
	s_delay_alu instid0(VALU_DEP_3) | instskip(NEXT) | instid1(VALU_DEP_2)
	v_bfe_i32 v144, v144, 0, 8
	v_bitop3_b16 v142, v141, v0, 0xff bitop3:0xec
	v_sub_nc_u16 v0, v2, v6
	ds_load_2addr_b32 v[2:3], v93 offset0:4 offset1:5
	v_lshlrev_b16 v143, 8, v0
	v_add_nc_u32_e32 v0, 0x1090, v4
	ds_load_2addr_b32 v[0:1], v0 offset1:1
	s_wait_dscnt 0x1
	v_dual_ashrrev_i32 v2, s20, v2 :: v_dual_ashrrev_i32 v3, s20, v3
	s_delay_alu instid0(VALU_DEP_1) | instskip(SKIP_2) | instid1(VALU_DEP_2)
	v_dual_lshlrev_b32 v2, 2, v2 :: v_dual_lshlrev_b32 v3, 2, v3
	s_wait_dscnt 0x0
	v_ashrrev_i32_e32 v0, s22, v0
	v_and_b32_e32 v2, 0x4040404, v2
	s_delay_alu instid0(VALU_DEP_3) | instskip(NEXT) | instid1(VALU_DEP_3)
	v_and_b32_e32 v3, 0x4040404, v3
	v_and_b32_e32 v5, 0x3030303, v0
	v_bfe_u32 v0, v0, 24, 2
	s_delay_alu instid0(VALU_DEP_4) | instskip(SKIP_1) | instid1(VALU_DEP_4)
	v_dual_lshrrev_b32 v95, 24, v2 :: v_dual_lshrrev_b32 v128, 16, v2
	v_lshrrev_b16 v94, 8, v2
	v_lshrrev_b32_e32 v7, 16, v5
	v_lshrrev_b16 v6, 8, v5
	s_delay_alu instid0(VALU_DEP_4) | instskip(SKIP_1) | instid1(VALU_DEP_4)
	v_sub_nc_u16 v0, v0, v95
	v_sub_nc_u16 v185, v5, v2
	;; [unrolled: 1-line block ×3, first 2 shown]
	v_lshrrev_b32_e32 v7, 24, v3
	s_delay_alu instid0(VALU_DEP_4) | instskip(NEXT) | instid1(VALU_DEP_4)
	v_lshlrev_b16 v0, 8, v0
	v_bfe_i32 v185, v185, 0, 8
	s_delay_alu instid0(VALU_DEP_2) | instskip(SKIP_3) | instid1(VALU_DEP_4)
	v_bitop3_b16 v180, v179, v0, 0xff bitop3:0xec
	v_sub_nc_u16 v0, v6, v94
	v_lshrrev_b32_e32 v94, 16, v3
	v_lshrrev_b16 v6, 8, v3
	v_perm_b32 v179, v180, v179, 0xc0c0500
	s_delay_alu instid0(VALU_DEP_4) | instskip(SKIP_1) | instid1(VALU_DEP_2)
	v_lshlrev_b16 v182, 8, v0
	v_ashrrev_i32_e32 v0, s22, v1
	v_bfe_i32 v182, v182, 8, 8
	s_delay_alu instid0(VALU_DEP_2) | instskip(SKIP_1) | instid1(VALU_DEP_2)
	v_and_b32_e32 v1, 0x3030303, v0
	v_bfe_u32 v0, v0, 24, 2
	v_lshrrev_b32_e32 v5, 16, v1
	s_delay_alu instid0(VALU_DEP_2) | instskip(SKIP_2) | instid1(VALU_DEP_4)
	v_sub_nc_u16 v0, v0, v7
	v_lshrrev_b16 v2, 8, v1
	v_sub_nc_u16 v186, v1, v3
	v_sub_nc_u16 v181, v5, v94
	s_delay_alu instid0(VALU_DEP_4) | instskip(NEXT) | instid1(VALU_DEP_3)
	v_lshlrev_b16 v0, 8, v0
	v_bfe_i32 v186, v186, 0, 8
	s_delay_alu instid0(VALU_DEP_2)
	v_bitop3_b16 v183, v181, v0, 0xff bitop3:0xec
	v_sub_nc_u16 v0, v2, v6
	ds_load_2addr_b32 v[2:3], v93 offset0:6 offset1:7
	v_lshlrev_b16 v184, 8, v0
	v_add_nc_u32_e32 v0, 0x1098, v4
	ds_load_2addr_b32 v[0:1], v0 offset1:1
	s_wait_dscnt 0x1
	v_dual_ashrrev_i32 v2, s20, v2 :: v_dual_ashrrev_i32 v3, s20, v3
	s_delay_alu instid0(VALU_DEP_1) | instskip(SKIP_2) | instid1(VALU_DEP_2)
	v_dual_lshlrev_b32 v2, 2, v2 :: v_dual_lshlrev_b32 v3, 2, v3
	s_wait_dscnt 0x0
	v_ashrrev_i32_e32 v0, s22, v0
	v_and_b32_e32 v2, 0x4040404, v2
	s_delay_alu instid0(VALU_DEP_3) | instskip(NEXT) | instid1(VALU_DEP_3)
	v_and_b32_e32 v3, 0x4040404, v3
	v_and_b32_e32 v5, 0x3030303, v0
	v_bfe_u32 v0, v0, 24, 2
	s_delay_alu instid0(VALU_DEP_4) | instskip(SKIP_1) | instid1(VALU_DEP_4)
	v_dual_lshrrev_b32 v93, 16, v2 :: v_dual_lshrrev_b32 v95, 24, v2
	v_lshrrev_b16 v94, 8, v2
	v_lshrrev_b32_e32 v6, 16, v5
	v_lshrrev_b16 v7, 8, v5
	v_sub_nc_u16 v190, v5, v2
	v_sub_nc_u16 v0, v0, v95
	s_delay_alu instid0(VALU_DEP_4) | instskip(SKIP_2) | instid1(VALU_DEP_4)
	v_sub_nc_u16 v196, v6, v93
	v_lshrrev_b32_e32 v93, 16, v3
	v_lshrrev_b16 v6, 8, v3
	v_lshlrev_b16 v145, 8, v0
	v_sub_nc_u16 v0, v7, v94
	v_lshrrev_b32_e32 v7, 24, v3
	v_add3_u32 v94, s23, v116, v117
	v_bfe_i32 v196, v196, 0, 8
	v_bfe_i32 v190, v190, 0, 8
	v_lshlrev_b16 v189, 8, v0
	v_ashrrev_i32_e32 v0, s22, v1
	s_delay_alu instid0(VALU_DEP_4) | instskip(NEXT) | instid1(VALU_DEP_3)
	v_perm_b32 v170, v196, v170, 0x5040100
	v_bfe_i32 v189, v189, 8, 8
	s_delay_alu instid0(VALU_DEP_3) | instskip(SKIP_1) | instid1(VALU_DEP_2)
	v_and_b32_e32 v1, 0x3030303, v0
	v_bfe_u32 v0, v0, 24, 2
	v_lshrrev_b32_e32 v5, 16, v1
	s_delay_alu instid0(VALU_DEP_2) | instskip(SKIP_2) | instid1(VALU_DEP_4)
	v_sub_nc_u16 v0, v0, v7
	v_lshrrev_b16 v2, 8, v1
	v_sub_nc_u16 v149, v1, v3
	v_sub_nc_u16 v146, v5, v93
	s_delay_alu instid0(VALU_DEP_4) | instskip(NEXT) | instid1(VALU_DEP_3)
	v_lshlrev_b16 v0, 8, v0
	v_bfe_i32 v149, v149, 0, 8
	s_delay_alu instid0(VALU_DEP_2)
	v_bitop3_b16 v147, v146, v0, 0xff bitop3:0xec
	v_sub_nc_u16 v0, v2, v6
	ds_load_2addr_b32 v[2:3], v94 offset1:1
	v_lshlrev_b16 v148, 8, v0
	v_add3_u32 v0, s25, v114, v115
	ds_load_b32 v93, v0
	v_add_nc_u32_e32 v0, 0x2100, v4
	ds_load_2addr_b32 v[0:1], v0 offset1:1
	s_wait_dscnt 0x2
	v_dual_ashrrev_i32 v2, s20, v2 :: v_dual_ashrrev_i32 v3, s20, v3
	s_delay_alu instid0(VALU_DEP_1) | instskip(NEXT) | instid1(VALU_DEP_1)
	v_dual_lshlrev_b32 v2, 2, v2 :: v_dual_lshlrev_b32 v3, 2, v3
	v_and_b32_e32 v2, 0x4040404, v2
	s_delay_alu instid0(VALU_DEP_2) | instskip(NEXT) | instid1(VALU_DEP_2)
	v_and_b32_e32 v3, 0x4040404, v3
	v_dual_lshrrev_b32 v128, 24, v2 :: v_dual_lshrrev_b32 v155, 16, v2
	s_wait_dscnt 0x0
	v_ashrrev_i32_e32 v0, s22, v0
	v_lshrrev_b16 v95, 8, v2
	s_delay_alu instid0(VALU_DEP_2) | instskip(NEXT) | instid1(VALU_DEP_1)
	v_and_b32_e32 v5, 0x3030303, v0
	v_lshrrev_b32_e32 v7, 16, v5
	v_bfe_u32 v0, v0, 24, 2
	v_lshrrev_b16 v6, 8, v5
	v_sub_nc_u16 v5, v5, v2
	s_delay_alu instid0(VALU_DEP_4) | instskip(NEXT) | instid1(VALU_DEP_4)
	v_sub_nc_u16 v201, v7, v155
	v_sub_nc_u16 v0, v0, v128
	v_dual_lshrrev_b32 v128, 24, v3 :: v_dual_lshrrev_b32 v155, 16, v3
	s_delay_alu instid0(VALU_DEP_4) | instskip(NEXT) | instid1(VALU_DEP_3)
	v_bfe_i32 v224, v5, 0, 8
	v_lshlrev_b16 v0, 8, v0
	s_delay_alu instid0(VALU_DEP_1) | instskip(SKIP_2) | instid1(VALU_DEP_3)
	v_bitop3_b16 v202, v201, v0, 0xff bitop3:0xec
	v_sub_nc_u16 v0, v6, v95
	v_lshrrev_b16 v95, 8, v3
	v_perm_b32 v201, v202, v201, 0xc0c0500
	s_delay_alu instid0(VALU_DEP_3) | instskip(SKIP_1) | instid1(VALU_DEP_2)
	v_lshlrev_b16 v6, 8, v0
	v_ashrrev_i32_e32 v0, s22, v1
	v_bfe_i32 v225, v6, 8, 8
	s_delay_alu instid0(VALU_DEP_2) | instskip(SKIP_1) | instid1(VALU_DEP_2)
	v_and_b32_e32 v1, 0x3030303, v0
	v_bfe_u32 v0, v0, 24, 2
	v_lshrrev_b32_e32 v7, 16, v1
	s_delay_alu instid0(VALU_DEP_2) | instskip(SKIP_1) | instid1(VALU_DEP_3)
	v_sub_nc_u16 v0, v0, v128
	v_lshrrev_b16 v2, 8, v1
	v_sub_nc_u16 v203, v7, v155
	s_delay_alu instid0(VALU_DEP_3) | instskip(SKIP_1) | instid1(VALU_DEP_2)
	v_lshlrev_b16 v0, 8, v0
	v_sub_nc_u16 v7, v1, v3
	v_bitop3_b16 v204, v203, v0, 0xff bitop3:0xec
	v_sub_nc_u16 v0, v2, v95
	ds_load_2addr_b32 v[2:3], v94 offset0:2 offset1:3
	v_bfe_i32 v226, v7, 0, 8
	v_perm_b32 v203, v204, v203, 0xc05000c
	v_lshlrev_b16 v205, 8, v0
	v_add_nc_u32_e32 v0, 0x2108, v4
	s_delay_alu instid0(VALU_DEP_2) | instskip(SKIP_3) | instid1(VALU_DEP_1)
	v_perm_b32 v204, v205, v205, 0xc0c0c01
	ds_load_2addr_b32 v[0:1], v0 offset1:1
	s_wait_dscnt 0x1
	v_dual_ashrrev_i32 v2, s20, v2 :: v_dual_bitop2_b32 v203, v203, v204 bitop3:0x54
	v_dual_ashrrev_i32 v3, s20, v3 :: v_dual_lshlrev_b32 v2, 2, v2
	s_wait_dscnt 0x0
	s_delay_alu instid0(VALU_DEP_1) | instskip(NEXT) | instid1(VALU_DEP_2)
	v_dual_lshlrev_b32 v3, 2, v3 :: v_dual_ashrrev_i32 v0, s22, v0
	v_and_b32_e32 v2, 0x4040404, v2
	s_delay_alu instid0(VALU_DEP_2) | instskip(NEXT) | instid1(VALU_DEP_3)
	v_and_b32_e32 v3, 0x4040404, v3
	v_and_b32_e32 v95, 0x3030303, v0
	v_bfe_u32 v0, v0, 24, 2
	s_delay_alu instid0(VALU_DEP_4) | instskip(SKIP_1) | instid1(VALU_DEP_4)
	v_dual_lshrrev_b32 v157, 24, v2 :: v_dual_lshrrev_b32 v173, 16, v2
	v_lshrrev_b16 v156, 8, v2
	v_lshrrev_b32_e32 v155, 16, v95
	v_lshrrev_b16 v128, 8, v95
	s_delay_alu instid0(VALU_DEP_4) | instskip(SKIP_1) | instid1(VALU_DEP_4)
	v_sub_nc_u16 v0, v0, v157
	v_sub_nc_u16 v209, v95, v2
	;; [unrolled: 1-line block ×3, first 2 shown]
	v_lshrrev_b32_e32 v155, 24, v3
	s_delay_alu instid0(VALU_DEP_4) | instskip(NEXT) | instid1(VALU_DEP_4)
	v_lshlrev_b16 v0, 8, v0
	v_bfe_i32 v200, v209, 0, 8
	v_bfe_i32 v209, v167, 8, 8
	;; [unrolled: 1-line block ×3, first 2 shown]
	s_delay_alu instid0(VALU_DEP_4) | instskip(SKIP_3) | instid1(VALU_DEP_3)
	v_bitop3_b16 v207, v206, v0, 0xff bitop3:0xec
	v_sub_nc_u16 v0, v128, v156
	v_lshrrev_b32_e32 v156, 16, v3
	v_lshrrev_b16 v128, 8, v3
	v_lshlrev_b16 v208, 8, v0
	v_ashrrev_i32_e32 v0, s22, v1
	s_delay_alu instid0(VALU_DEP_1) | instskip(NEXT) | instid1(VALU_DEP_1)
	v_and_b32_e32 v1, 0x3030303, v0
	v_lshrrev_b32_e32 v95, 16, v1
	v_bfe_u32 v0, v0, 24, 2
	v_lshrrev_b16 v2, 8, v1
	v_sub_nc_u16 v213, v1, v3
	s_delay_alu instid0(VALU_DEP_4) | instskip(NEXT) | instid1(VALU_DEP_4)
	v_sub_nc_u16 v210, v95, v156
	v_sub_nc_u16 v0, v0, v155
	s_delay_alu instid0(VALU_DEP_1) | instskip(NEXT) | instid1(VALU_DEP_1)
	v_lshlrev_b16 v0, 8, v0
	v_bitop3_b16 v211, v210, v0, 0xff bitop3:0xec
	v_sub_nc_u16 v0, v2, v128
	ds_load_2addr_b32 v[2:3], v94 offset0:4 offset1:5
	v_lshlrev_b16 v212, 8, v0
	v_add_nc_u32_e32 v0, 0x2110, v4
	s_delay_alu instid0(VALU_DEP_2) | instskip(SKIP_3) | instid1(VALU_DEP_1)
	v_perm_b32 v188, v212, v212, 0xc0c0c01
	ds_load_2addr_b32 v[0:1], v0 offset1:1
	s_wait_dscnt 0x1
	v_dual_ashrrev_i32 v2, s20, v2 :: v_dual_ashrrev_i32 v3, s20, v3
	v_dual_lshlrev_b32 v2, 2, v2 :: v_dual_lshlrev_b32 v3, 2, v3
	s_wait_dscnt 0x0
	v_ashrrev_i32_e32 v0, s22, v0
	s_delay_alu instid0(VALU_DEP_2) | instskip(NEXT) | instid1(VALU_DEP_3)
	v_and_b32_e32 v2, 0x4040404, v2
	v_and_b32_e32 v3, 0x4040404, v3
	s_delay_alu instid0(VALU_DEP_3) | instskip(SKIP_1) | instid1(VALU_DEP_4)
	v_and_b32_e32 v95, 0x3030303, v0
	v_bfe_u32 v0, v0, 24, 2
	v_dual_lshrrev_b32 v157, 24, v2 :: v_dual_lshrrev_b32 v173, 16, v2
	v_lshrrev_b16 v156, 8, v2
	s_delay_alu instid0(VALU_DEP_4) | instskip(SKIP_1) | instid1(VALU_DEP_4)
	v_lshrrev_b32_e32 v155, 16, v95
	v_lshrrev_b16 v128, 8, v95
	v_sub_nc_u16 v0, v0, v157
	v_lshrrev_b32_e32 v157, 24, v3
	v_sub_nc_u16 v95, v95, v2
	v_sub_nc_u16 v214, v155, v173
	v_lshrrev_b32_e32 v173, 16, v3
	v_lshlrev_b16 v0, 8, v0
	s_delay_alu instid0(VALU_DEP_4) | instskip(SKIP_1) | instid1(VALU_DEP_3)
	v_bfe_i32 v228, v95, 0, 8
	v_add3_u32 v95, s23, v120, v121
	v_bitop3_b16 v215, v214, v0, 0xff bitop3:0xec
	v_sub_nc_u16 v0, v128, v156
	v_lshrrev_b16 v156, 8, v3
	s_delay_alu instid0(VALU_DEP_2) | instskip(SKIP_1) | instid1(VALU_DEP_2)
	v_lshlrev_b16 v128, 8, v0
	v_ashrrev_i32_e32 v0, s22, v1
	v_bfe_i32 v229, v128, 8, 8
	s_delay_alu instid0(VALU_DEP_2) | instskip(NEXT) | instid1(VALU_DEP_1)
	v_and_b32_e32 v1, 0x3030303, v0
	v_lshrrev_b32_e32 v155, 16, v1
	v_bfe_u32 v0, v0, 24, 2
	v_lshrrev_b16 v2, 8, v1
	s_delay_alu instid0(VALU_DEP_3) | instskip(NEXT) | instid1(VALU_DEP_3)
	v_sub_nc_u16 v216, v155, v173
	v_sub_nc_u16 v0, v0, v157
	v_sub_nc_u16 v173, v1, v3
	s_delay_alu instid0(VALU_DEP_2) | instskip(NEXT) | instid1(VALU_DEP_2)
	v_lshlrev_b16 v0, 8, v0
	v_bfe_i32 v230, v173, 0, 8
	s_delay_alu instid0(VALU_DEP_2)
	v_bitop3_b16 v217, v216, v0, 0xff bitop3:0xec
	v_sub_nc_u16 v0, v2, v156
	ds_load_2addr_b32 v[2:3], v94 offset0:6 offset1:7
	v_lshlrev_b16 v218, 8, v0
	v_add_nc_u32_e32 v0, 0x2118, v4
	ds_load_2addr_b32 v[0:1], v0 offset1:1
	s_wait_dscnt 0x1
	v_dual_ashrrev_i32 v2, s20, v2 :: v_dual_ashrrev_i32 v3, s20, v3
	s_delay_alu instid0(VALU_DEP_1) | instskip(SKIP_2) | instid1(VALU_DEP_2)
	v_dual_lshlrev_b32 v2, 2, v2 :: v_dual_lshlrev_b32 v3, 2, v3
	s_wait_dscnt 0x0
	v_ashrrev_i32_e32 v0, s22, v0
	v_and_b32_e32 v2, 0x4040404, v2
	s_delay_alu instid0(VALU_DEP_3) | instskip(NEXT) | instid1(VALU_DEP_3)
	v_and_b32_e32 v3, 0x4040404, v3
	v_and_b32_e32 v155, 0x3030303, v0
	v_bfe_u32 v0, v0, 24, 2
	s_delay_alu instid0(VALU_DEP_4) | instskip(SKIP_1) | instid1(VALU_DEP_4)
	v_dual_lshrrev_b32 v175, 24, v2 :: v_dual_lshrrev_b32 v176, 16, v2
	v_lshrrev_b16 v94, 8, v2
	v_lshrrev_b32_e32 v157, 16, v155
	v_lshrrev_b16 v156, 8, v155
	s_delay_alu instid0(VALU_DEP_4)
	v_sub_nc_u16 v0, v0, v175
	v_sub_nc_u16 v222, v155, v2
	v_lshrrev_b32_e32 v155, 16, v3
	v_sub_nc_u16 v219, v157, v176
	v_lshrrev_b16 v157, 8, v3
	v_lshlrev_b16 v0, 8, v0
	v_bfe_i32 v196, v222, 0, 8
	s_delay_alu instid0(VALU_DEP_2) | instskip(SKIP_2) | instid1(VALU_DEP_2)
	v_bitop3_b16 v220, v219, v0, 0xff bitop3:0xec
	v_sub_nc_u16 v0, v156, v94
	v_lshrrev_b32_e32 v156, 24, v3
	v_lshlrev_b16 v221, 8, v0
	v_ashrrev_i32_e32 v0, s22, v1
	s_delay_alu instid0(VALU_DEP_1) | instskip(NEXT) | instid1(VALU_DEP_1)
	v_and_b32_e32 v1, 0x3030303, v0
	v_lshrrev_b32_e32 v94, 16, v1
	v_bfe_u32 v0, v0, 24, 2
	v_lshrrev_b16 v2, 8, v1
	v_sub_nc_u16 v223, v1, v3
	v_add3_u32 v1, s25, v118, v119
	v_sub_nc_u16 v155, v94, v155
	v_sub_nc_u16 v0, v0, v156
	ds_load_b32 v94, v1
	v_lshlrev_b16 v0, 8, v0
	s_delay_alu instid0(VALU_DEP_1)
	v_bitop3_b16 v156, v155, v0, 0xff bitop3:0xec
	v_sub_nc_u16 v0, v2, v157
	ds_load_2addr_b32 v[2:3], v95 offset1:1
	v_lshlrev_b16 v157, 8, v0
	s_wait_dscnt 0x0
	v_dual_add_nc_u32 v0, s24, v31 :: v_dual_ashrrev_i32 v2, s20, v2
	ds_load_u16 v0, v0 offset:27378
	v_ashrrev_i32_e32 v3, s20, v3
	s_delay_alu instid0(VALU_DEP_1) | instskip(NEXT) | instid1(VALU_DEP_1)
	v_lshlrev_b32_e32 v3, 2, v3
	v_and_b32_e32 v3, 0x4040404, v3
	s_wait_dscnt 0x0
	v_lshrrev_b16 v1, 8, v0
	v_bfe_i32 v227, v0, 0, 8
	v_add_nc_u32_e32 v0, 0x3180, v4
	s_delay_alu instid0(VALU_DEP_3) | instskip(SKIP_2) | instid1(VALU_DEP_1)
	v_bfe_i32 v128, v1, 0, 8
	ds_load_2addr_b32 v[0:1], v0 offset1:1
	v_lshlrev_b32_e32 v2, 2, v2
	v_and_b32_e32 v2, 0x4040404, v2
	s_delay_alu instid0(VALU_DEP_1) | instskip(SKIP_3) | instid1(VALU_DEP_1)
	v_dual_lshrrev_b32 v173, 16, v2 :: v_dual_lshrrev_b32 v175, 24, v2
	v_lshrrev_b16 v176, 8, v2
	s_wait_dscnt 0x0
	v_ashrrev_i32_e32 v0, s22, v0
	v_and_b32_e32 v5, 0x3030303, v0
	v_bfe_u32 v0, v0, 24, 2
	s_delay_alu instid0(VALU_DEP_2) | instskip(NEXT) | instid1(VALU_DEP_2)
	v_sub_nc_u16 v234, v5, v2
	v_sub_nc_u16 v232, v0, v175
	v_ashrrev_i32_e32 v0, s22, v1
	v_lshrrev_b32_e32 v6, 16, v5
	v_lshrrev_b16 v7, 8, v5
	s_delay_alu instid0(VALU_DEP_4) | instskip(NEXT) | instid1(VALU_DEP_4)
	v_bfe_i32 v232, v232, 0, 16
	v_bfe_u32 v1, v0, 24, 2
	v_and_b32_e32 v0, 0x3030303, v0
	v_sub_nc_u16 v233, v6, v173
	v_lshrrev_b32_e32 v6, 24, v3
	v_sub_nc_u16 v231, v7, v176
	s_delay_alu instid0(VALU_DEP_4)
	v_dual_lshrrev_b32 v7, 16, v3 :: v_dual_lshrrev_b32 v2, 16, v0
	v_lshrrev_b16 v5, 8, v0
	v_sub_nc_u16 v235, v0, v3
	v_add_nc_u32_e32 v0, 0x3188, v4
	v_sub_nc_u16 v238, v1, v6
	v_lshrrev_b16 v173, 8, v3
	v_sub_nc_u16 v237, v2, v7
	ds_load_2addr_b32 v[2:3], v95 offset0:2 offset1:3
	ds_load_2addr_b32 v[0:1], v0 offset1:1
	v_bfe_i32 v231, v231, 0, 16
	v_sub_nc_u16 v236, v5, v173
	v_bfe_i32 v205, v237, 0, 8
	v_bfe_i32 v235, v235, 0, 8
	s_wait_dscnt 0x0
	v_dual_ashrrev_i32 v2, s20, v2 :: v_dual_ashrrev_i32 v0, s22, v0
	s_delay_alu instid0(VALU_DEP_1) | instskip(NEXT) | instid1(VALU_DEP_2)
	v_dual_ashrrev_i32 v3, s20, v3 :: v_dual_lshlrev_b32 v2, 2, v2
	v_bfe_u32 v5, v0, 24, 2
	v_and_b32_e32 v0, 0x3030303, v0
	s_delay_alu instid0(VALU_DEP_3) | instskip(NEXT) | instid1(VALU_DEP_4)
	v_lshlrev_b32_e32 v3, 2, v3
	v_and_b32_e32 v2, 0x4040404, v2
	s_delay_alu instid0(VALU_DEP_3) | instskip(SKIP_1) | instid1(VALU_DEP_4)
	v_lshrrev_b32_e32 v6, 16, v0
	v_lshrrev_b16 v7, 8, v0
	v_and_b32_e32 v3, 0x4040404, v3
	s_delay_alu instid0(VALU_DEP_4) | instskip(SKIP_3) | instid1(VALU_DEP_3)
	v_sub_nc_u16 v239, v0, v2
	v_dual_ashrrev_i32 v0, s22, v1 :: v_dual_lshrrev_b32 v173, 24, v2
	v_lshrrev_b32_e32 v175, 16, v2
	v_lshrrev_b16 v176, 8, v2
	v_bfe_u32 v1, v0, 24, 2
	v_and_b32_e32 v0, 0x3030303, v0
	s_delay_alu instid0(VALU_DEP_4)
	v_sub_nc_u16 v241, v6, v175
	v_sub_nc_u16 v242, v5, v173
	v_lshrrev_b32_e32 v6, 24, v3
	v_sub_nc_u16 v240, v7, v176
	v_lshrrev_b32_e32 v2, 16, v0
	v_lshrrev_b16 v5, 8, v0
	v_sub_nc_u16 v243, v0, v3
	v_add_nc_u32_e32 v0, 0x3190, v4
	v_lshrrev_b32_e32 v7, 16, v3
	v_sub_nc_u16 v246, v1, v6
	v_lshrrev_b16 v173, 8, v3
	ds_load_2addr_b32 v[0:1], v0 offset1:1
	v_sub_nc_u16 v245, v2, v7
	ds_load_2addr_b32 v[2:3], v95 offset0:4 offset1:5
	v_sub_nc_u16 v244, v5, v173
	s_wait_dscnt 0x0
	v_dual_ashrrev_i32 v0, s22, v0 :: v_dual_ashrrev_i32 v2, s20, v2
	v_ashrrev_i32_e32 v3, s20, v3
	s_delay_alu instid0(VALU_DEP_2) | instskip(SKIP_1) | instid1(VALU_DEP_3)
	v_and_b32_e32 v5, 0x3030303, v0
	v_bfe_u32 v0, v0, 24, 2
	v_dual_lshlrev_b32 v2, 2, v2 :: v_dual_lshlrev_b32 v3, 2, v3
	s_delay_alu instid0(VALU_DEP_3) | instskip(SKIP_1) | instid1(VALU_DEP_3)
	v_lshrrev_b32_e32 v6, 16, v5
	v_lshrrev_b16 v7, 8, v5
	v_and_b32_e32 v2, 0x4040404, v2
	s_delay_alu instid0(VALU_DEP_4) | instskip(NEXT) | instid1(VALU_DEP_2)
	v_and_b32_e32 v3, 0x4040404, v3
	v_dual_lshrrev_b32 v173, 16, v2 :: v_dual_lshrrev_b32 v175, 24, v2
	v_lshrrev_b16 v176, 8, v2
	v_sub_nc_u16 v250, v5, v2
	s_delay_alu instid0(VALU_DEP_3) | instskip(NEXT) | instid1(VALU_DEP_4)
	v_sub_nc_u16 v249, v6, v173
	v_sub_nc_u16 v248, v0, v175
	v_dual_ashrrev_i32 v0, s22, v1 :: v_dual_lshrrev_b32 v6, 24, v3
	v_sub_nc_u16 v247, v7, v176
	v_lshrrev_b32_e32 v7, 16, v3
	v_lshrrev_b16 v173, 8, v3
	s_delay_alu instid0(VALU_DEP_4) | instskip(SKIP_2) | instid1(VALU_DEP_3)
	v_bfe_u32 v1, v0, 24, 2
	v_and_b32_e32 v0, 0x3030303, v0
	v_bfe_i32 v194, v249, 0, 8
	v_sub_nc_u16 v254, v1, v6
	s_delay_alu instid0(VALU_DEP_3) | instskip(SKIP_3) | instid1(VALU_DEP_4)
	v_lshrrev_b32_e32 v2, 16, v0
	v_lshrrev_b16 v5, 8, v0
	v_sub_nc_u16 v251, v0, v3
	v_add_nc_u32_e32 v0, 0x3198, v4
	v_sub_nc_u16 v253, v2, v7
	ds_load_2addr_b32 v[2:3], v95 offset0:6 offset1:7
	v_sub_nc_u16 v252, v5, v173
	ds_load_2addr_b32 v[0:1], v0 offset1:1
	s_wait_dscnt 0x1
	v_dual_ashrrev_i32 v2, s20, v2 :: v_dual_ashrrev_i32 v3, s20, v3
	s_wait_dscnt 0x0
	v_ashrrev_i32_e32 v0, s22, v0
	s_add_co_i32 s20, s20, 1
	s_cmp_lt_u32 s21, 22
	v_dual_lshlrev_b32 v2, 2, v2 :: v_dual_lshlrev_b32 v3, 2, v3
	s_delay_alu instid0(VALU_DEP_2) | instskip(SKIP_1) | instid1(VALU_DEP_3)
	v_bfe_u32 v4, v0, 24, 2
	v_and_b32_e32 v0, 0x3030303, v0
	v_and_b32_e32 v2, 0x4040404, v2
	s_delay_alu instid0(VALU_DEP_2) | instskip(SKIP_1) | instid1(VALU_DEP_3)
	v_lshrrev_b32_e32 v5, 16, v0
	v_lshrrev_b16 v6, 8, v0
	v_sub_nc_u16 v255, v0, v2
	v_dual_ashrrev_i32 v0, s22, v1 :: v_dual_lshrrev_b32 v7, 24, v2
	v_lshrrev_b32_e32 v95, 16, v2
	v_lshrrev_b16 v173, 8, v2
	s_delay_alu instid0(VALU_DEP_3)
	v_bfe_u32 v1, v0, 24, 2
	v_and_b32_e32 v0, 0x3030303, v0
	s_set_vgpr_msb 64                       ;  msbs: dst=1 src0=0 src1=0 src2=0
	v_sub_nc_u16 v1 /*v257*/, v5, v95
	v_sub_nc_u16 v0 /*v256*/, v6, v173
	s_set_vgpr_msb 0                        ;  msbs: dst=0 src0=0 src1=0 src2=0
	v_add_nc_u32_e32 v173, s24, v29
	v_and_b32_e32 v3, 0x4040404, v3
	v_lshrrev_b32_e32 v2, 16, v0
	s_set_vgpr_msb 64                       ;  msbs: dst=1 src0=0 src1=0 src2=0
	v_sub_nc_u16 v2 /*v258*/, v4, v7
	s_set_vgpr_msb 0                        ;  msbs: dst=0 src0=0 src1=0 src2=0
	v_lshrrev_b16 v4, 8, v0
	s_mov_b32 s24, s21
	v_dual_lshrrev_b32 v5, 24, v3 :: v_dual_lshrrev_b32 v6, 16, v3
	v_lshrrev_b16 v7, 8, v3
	v_sub_nc_u16 v175, v0, v3
	v_add3_u32 v0, s25, v122, v123
	s_delay_alu instid0(VALU_DEP_4)
	v_sub_nc_u16 v178, v1, v5
	v_sub_nc_u16 v177, v2, v6
	v_sub_nc_u16 v176, v4, v7
	ds_load_b32 v95, v0
	ds_load_b128 v[4:7], v89
	ds_load_b128 v[0:3], v89 offset:16
	v_or_b32_e32 v165, v166, v165
	v_perm_b32 v166, v208, v208, 0xc0c0c01
	v_add_nc_u32_e32 v89, 32, v89
	ds_load_u16 v139, v139 offset:25330
	ds_load_u16 v150, v150 offset:26354
	s_wait_dscnt 0x3
	s_set_vgpr_msb 64                       ;  msbs: dst=1 src0=0 src1=0 src2=0
	v_lshrrev_b16 v3 /*v259*/, 8, v4
	v_bfe_i32 v9 /*v265*/, v4, 0, 8
	s_set_vgpr_msb 0                        ;  msbs: dst=0 src0=0 src1=0 src2=0
	v_perm_b32 v202, v4, v4, 0xc0c0302
	s_set_vgpr_msb 64                       ;  msbs: dst=1 src0=0 src1=0 src2=0
	v_bfe_i32 v10 /*v266*/, v5, 0, 8
	s_set_vgpr_msb 0                        ;  msbs: dst=0 src0=0 src1=0 src2=0
	v_perm_b32 v204, v5, v5, 0xc030201
	s_set_vgpr_msb 0x41                     ;  msbs: dst=1 src0=1 src1=0 src2=0
	v_bfe_i32 v3 /*v259*/, v3 /*v259*/, 0, 8
	s_set_vgpr_msb 1                        ;  msbs: dst=0 src0=1 src1=0 src2=0
	v_mul_i32_i24_e32 v224, v9 /*v265*/, v224
	s_set_vgpr_msb 64                       ;  msbs: dst=1 src0=0 src1=0 src2=0
	v_lshrrev_b16 v4 /*v260*/, 8, v5
	v_ashrrev_i32_e32 v7 /*v263*/, 24, v4
	v_bfe_i32 v8 /*v264*/, v4, 16, 8
	s_set_vgpr_msb 1                        ;  msbs: dst=0 src0=1 src1=0 src2=0
	v_mul_i32_i24_e32 v209, v3 /*v259*/, v209
	v_mad_i32_i24 v224, v3 /*v259*/, v225, v224
	s_set_vgpr_msb 0                        ;  msbs: dst=0 src0=0 src1=0 src2=0
	v_bfe_i32 v225, v233, 0, 8
	v_ashrrev_i32_e32 v233, 24, v5
	s_set_vgpr_msb 1                        ;  msbs: dst=0 src0=1 src1=0 src2=0
	v_mul_i32_i24_e32 v195, v9 /*v265*/, v195
	v_mad_i32_i24 v167, v9 /*v265*/, v167, v209
	s_set_vgpr_msb 0                        ;  msbs: dst=0 src0=0 src1=0 src2=0
	v_dot4_i32_iu8 v201, v202, v201, v224 neg_lo:[1,1,0]
	v_perm_b32 v4, v5, v4, 0x5040302
	v_bfe_i32 v224, v234, 0, 8
	s_set_vgpr_msb 1                        ;  msbs: dst=0 src0=1 src1=0 src2=0
	v_bfe_i32 v234, v4 /*v260*/, 0, 8
	s_set_vgpr_msb 64                       ;  msbs: dst=1 src0=0 src1=0 src2=0
	v_bfe_i32 v4 /*v260*/, v5, 16, 8
	s_set_vgpr_msb 1                        ;  msbs: dst=0 src0=1 src1=0 src2=0
	v_mad_i32_i24 v201, v10 /*v266*/, v226, v201
	v_mad_i32_i24 v192, v3 /*v259*/, v192, v195
	s_set_vgpr_msb 0                        ;  msbs: dst=0 src0=0 src1=0 src2=0
	v_perm_b32 v5, v6, v5, 0x5040302
	s_set_vgpr_msb 64                       ;  msbs: dst=1 src0=0 src1=0 src2=0
	v_lshrrev_b16 v5 /*v261*/, 8, v6
	s_set_vgpr_msb 0                        ;  msbs: dst=0 src0=0 src1=0 src2=0
	v_bfe_i32 v226, v236, 0, 16
	v_dot4_i32_iu8 v201, v204, v203, v201 neg_lo:[1,1,0]
	v_bfe_i32 v203, v238, 0, 16
	v_bfe_i32 v236, v6, 0, 8
	v_dot4_i32_iu8 v187, v202, v187, v192 neg_lo:[1,1,0]
	v_mul_i32_i24_e32 v226, v226, v234
	s_set_vgpr_msb 1                        ;  msbs: dst=0 src0=1 src1=0 src2=0
	v_bfe_i32 v234, v5 /*v261*/, 0, 8
	s_set_vgpr_msb 0                        ;  msbs: dst=0 src0=0 src1=0 src2=0
	v_mul_i32_i24_e32 v203, v203, v233
	v_ashrrev_i32_e32 v233, 24, v6
	v_bfe_i32 v237, v6, 16, 8
	s_set_vgpr_msb 1                        ;  msbs: dst=0 src0=1 src1=0 src2=0
	v_mad_i32_i24 v187, v10 /*v266*/, v197, v187
	s_set_vgpr_msb 0                        ;  msbs: dst=0 src0=0 src1=0 src2=0
	v_perm_b32 v6, v6, v6, 0xc030201
	v_bfe_i32 v172, v7, 0, 8
	s_set_vgpr_msb 64                       ;  msbs: dst=1 src0=0 src1=0 src2=0
	v_lshrrev_b16 v6 /*v262*/, 8, v7
	s_set_vgpr_msb 4                        ;  msbs: dst=0 src0=0 src1=1 src2=0
	v_mul_i32_i24_e32 v231, v231, v3 /*v259*/
	v_mul_i32_i24_e32 v235, v235, v10 /*v266*/
	;; [unrolled: 1-line block ×3, first 2 shown]
	v_bfe_i32 v171, v7, 16, 8
	s_set_vgpr_msb 1                        ;  msbs: dst=0 src0=1 src1=0 src2=0
	v_bfe_i32 v169, v6 /*v262*/, 0, 8
	s_set_vgpr_msb 0                        ;  msbs: dst=0 src0=0 src1=0 src2=0
	v_bfe_i32 v192, v244, 0, 16
	v_bfe_i32 v197, v247, 0, 16
	v_pk_mul_lo_u16 v174, v174, v237 op_sel_hi:[1,0]
	v_perm_b32 v202, v218, v218, 0xc0c0c01
	v_or_b32_e32 v151, v152, v151
	v_mul_i32_i24_e32 v169, v192, v169
	s_set_vgpr_msb 4                        ;  msbs: dst=0 src0=0 src1=1 src2=0
	v_mad_i32_i24 v192, v224, v9 /*v265*/, v235
	s_set_vgpr_msb 0                        ;  msbs: dst=0 src0=0 src1=0 src2=0
	v_perm_b32 v152, v184, v184, 0xc0c0c01
	s_wait_dscnt 0x2
	v_bfe_i32 v160, v3, 16, 8
	v_bfe_i32 v195, v248, 0, 16
	v_mul_i32_i24_e32 v144, v172, v144
	v_dot4_i32_iu8 v4, v4, v163, v167 neg_lo:[1,1,0]
	v_perm_b32 v163, v193, v191, 0xc05000c
	v_bfe_i32 v167, v239, 0, 8
	v_bfe_i32 v191, v245, 0, 8
	v_bfe_i32 v193, v243, 0, 8
	v_mul_i32_i24_e32 v129, v233, v129
	v_mul_i32_i24_e32 v140, v233, v140
	v_dot4_i32_iu8 v165, v5, v165, v4 neg_lo:[1,1,0]
	v_perm_b32 v5, v207, v206, 0xc05000c
	v_dual_ashrrev_i32 v168, 24, v7 :: v_dual_bitop2_b32 v163, v163, v164 bitop3:0x54
	v_mad_i32_i24 v4, v236, v200, v201
	v_mul_i32_i24_e32 v164, v234, v198
	v_mul_i32_i24_e32 v167, v167, v236
	;; [unrolled: 1-line block ×4, first 2 shown]
	s_set_vgpr_msb 4                        ;  msbs: dst=0 src0=0 src1=1 src2=0
	v_mad_i32_i24 v191, v225, v8 /*v264*/, v205
	v_bfe_i32 v206, v158, 8, 8
	v_bfe_i32 v158, v158, 0, 8
	v_bfe_i32 v200, v1, 0, 8
	s_set_vgpr_msb 0                        ;  msbs: dst=0 src0=0 src1=0 src2=0
	v_perm_b32 v201, v217, v216, 0xc05000c
	v_bfe_i32 v205, v251, 0, 8
	v_dual_ashrrev_i32 v198, 24, v1 :: v_dual_bitop2_b32 v5, v5, v166 bitop3:0x54
	v_dot4_i32_iu8 v163, v204, v163, v187 neg_lo:[1,1,0]
	v_bfe_i32 v187, v213, 0, 8
	v_bfe_i32 v166, v240, 0, 16
	v_add3_u32 v167, v192, v167, v193
	v_perm_b32 v192, v215, v214, 0xc0c0500
	v_perm_b32 v193, v0, v0, 0xc0c0302
	v_bfe_i32 v204, v252, 0, 16
	v_or_b32_e32 v201, v201, v202
	v_perm_b32 v202, v1, v1, 0xc030201
	v_mul_i32_i24_e32 v205, v205, v200
	v_dot4_i32_iu8 v4, v6, v5, v4 neg_lo:[1,1,0]
	v_bfe_i32 v5, v242, 0, 16
	v_bfe_i32 v6, v241, 0, 8
	v_mul_i32_i24_e32 v166, v166, v234
	v_mad_i32_i24 v163, v236, v199, v163
	v_bfe_i32 v199, v1, 16, 8
	v_mad_i32_i24 v4, v172, v187, v4
	v_perm_b32 v187, v211, v210, 0xc05000c
	v_mul_i32_i24_e32 v5, v5, v233
	v_mul_i32_i24_e32 v6, v6, v237
	v_add3_u32 v166, v231, v226, v166
	s_delay_alu instid0(VALU_DEP_4) | instskip(SKIP_1) | instid1(VALU_DEP_4)
	v_or_b32_e32 v187, v187, v188
	v_perm_b32 v188, v7, v7, 0xc030201
	v_add3_u32 v6, v191, v6, v171
	v_bfe_i32 v171, v0, 16, 8
	s_delay_alu instid0(VALU_DEP_3) | instskip(SKIP_1) | instid1(VALU_DEP_2)
	v_dot4_i32_iu8 v4, v188, v187, v4 neg_lo:[1,1,0]
	v_bfe_i32 v187, v246, 0, 16
	v_mul_lo_u32 v4, v4, v227
	s_delay_alu instid0(VALU_DEP_2) | instskip(SKIP_4) | instid1(VALU_DEP_2)
	v_mul_i32_i24_e32 v168, v187, v168
	s_set_vgpr_msb 4                        ;  msbs: dst=0 src0=0 src1=1 src2=0
	v_mad_i32_i24 v187, v232, v7 /*v263*/, v203
	v_bfe_i32 v203, v253, 0, 8
	s_set_vgpr_msb 0                        ;  msbs: dst=0 src0=0 src1=0 src2=0
	v_add3_u32 v5, v187, v5, v168
	v_bfe_i32 v187, v0, 0, 8
	s_delay_alu instid0(VALU_DEP_3)
	v_mul_i32_i24_e32 v199, v203, v199
	v_bfe_i32 v203, v2, 0, 8
	v_lshrrev_b16 v168, 8, v3
	v_add3_u32 v5, v166, v169, v5
	v_mul_i32_i24_e32 v191, v187, v228
	v_lshrrev_b16 v166, 8, v1
	v_mul_i32_i24_e32 v185, v187, v185
	v_ashrrev_i32_e32 v169, 24, v0
	v_bfe_i32 v159, v168, 0, 8
	v_mad_i32_i24 v134, v194, v171, v199
	v_add3_u32 v5, v167, v6, v5
	v_lshrrev_b16 v6, 8, v0
	v_bfe_i32 v166, v166, 0, 8
	v_perm_b32 v0, v1, v0, 0x5040302
	v_lshrrev_b16 v167, 8, v2
	v_perm_b32 v1, v2, v1, 0x5040302
	v_bfe_i32 v6, v6, 0, 8
	v_mul_i32_i24_e32 v166, v204, v166
	v_bfe_i32 v204, v2, 16, 8
	v_bfe_i32 v167, v167, 0, 8
	s_delay_alu instid0(VALU_DEP_4)
	v_mad_i32_i24 v191, v6, v229, v191
	v_mul_i32_i24_e32 v206, v6, v206
	v_mul_i32_i24_e32 v197, v197, v6
	v_mad_i32_i24 v6, v6, v182, v185
	v_pk_mul_lo_u16 v170, v170, v204 op_sel_hi:[1,0]
	v_dot4_i32_iu8 v191, v193, v192, v191 neg_lo:[1,1,0]
	v_mad_i32_i24 v158, v187, v158, v206
	v_bfe_i32 v192, v250, 0, 8
	v_dot4_i32_iu8 v6, v193, v179, v6 neg_lo:[1,1,0]
	v_bfe_i32 v179, v174, 0, 16
	v_ashrrev_i32_e32 v174, 16, v174
	v_bfe_i32 v132, v170, 0, 16
	v_mad_i32_i24 v191, v200, v230, v191
	v_dot4_i32_iu8 v0, v0, v151, v158 neg_lo:[1,1,0]
	v_perm_b32 v151, v183, v181, 0xc05000c
	v_mad_i32_i24 v6, v200, v186, v6
	v_ashrrev_i32_e32 v158, 24, v3
	v_add3_u32 v129, v165, v179, v129
	v_add3_u32 v163, v163, v164, v174
	v_dot4_i32_iu8 v191, v202, v201, v191 neg_lo:[1,1,0]
	v_bfe_i32 v201, v254, 0, 16
	v_dual_ashrrev_i32 v133, 16, v170 :: v_dual_bitop2_b32 v151, v151, v152 bitop3:0x54
	v_perm_b32 v152, v154, v153, 0xc0c0500
	v_perm_b32 v153, v162, v161, 0x5000c0c
	v_dot4_i32_iu8 v7, v7, v130, v129 neg_lo:[1,1,0]
	v_perm_b32 v129, v142, v141, 0xc05000c
	v_perm_b32 v130, v143, v143, 0xc0c0c01
	v_bfe_i32 v161, v3, 0, 8
	v_bfe_i32 v162, v223, 0, 8
	;; [unrolled: 1-line block ×3, first 2 shown]
	v_add3_u32 v140, v163, v140, v144
	v_mul_i32_i24_e32 v198, v201, v198
	v_ashrrev_i32_e32 v201, 24, v2
	v_dot4_i32_iu8 v6, v202, v151, v6 neg_lo:[1,1,0]
	v_or_b32_e32 v152, v153, v152
	v_mul_i32_i24_e32 v151, v167, v189
	v_or_b32_e32 v129, v129, v130
	v_bfe_i32 v130, v145, 8, 8
	v_perm_b32 v153, v221, v221, 0xc0c0c01
	v_perm_b32 v2, v2, v2, 0xc030201
	v_mul_i32_i24_e32 v154, v154, v203
	v_mad_i32_i24 v6, v203, v190, v6
	v_dot4_i32_iu8 v0, v1, v152, v0 neg_lo:[1,1,0]
	v_mul_i32_i24_e32 v131, v201, v131
	v_mul_i32_i24_e32 v130, v201, v130
	v_perm_b32 v152, v220, v219, 0xc05000c
	v_mad_i32_i24 v1, v203, v196, v191
	v_dot4_i32_iu8 v129, v188, v129, v140 neg_lo:[1,1,0]
	v_add3_u32 v6, v6, v151, v133
	v_add3_u32 v0, v0, v132, v131
	v_mul_i32_i24_e32 v131, v161, v149
	v_or_b32_e32 v152, v152, v153
	s_set_vgpr_msb 1                        ;  msbs: dst=0 src0=1 src1=0 src2=0
	v_bfe_i32 v153, v0 /*v256*/, 0, 16
	s_set_vgpr_msb 0                        ;  msbs: dst=0 src0=0 src1=0 src2=0
	v_bfe_i32 v132, v175, 0, 8
	v_mad_i32_i24 v133, v195, v169, v198
	v_add3_u32 v6, v6, v130, v131
	v_perm_b32 v130, v138, v137, 0xc0c0500
	v_perm_b32 v131, v136, v135, 0x5000c0c
	v_dot4_i32_iu8 v1, v2, v152, v1 neg_lo:[1,1,0]
	s_set_vgpr_msb 1                        ;  msbs: dst=0 src0=1 src1=0 src2=0
	v_bfe_i32 v2, v2 /*v258*/, 0, 16
	v_bfe_i32 v152, v1 /*v257*/, 0, 8
	s_set_vgpr_msb 0                        ;  msbs: dst=0 src0=0 src1=0 src2=0
	v_mul_i32_i24_e32 v153, v153, v167
	v_mul_i32_i24_e32 v132, v132, v161
	v_mad_i32_i24 v135, v192, v187, v205
	v_or_b32_e32 v130, v131, v130
	v_perm_b32 v131, v148, v148, 0xc0c0c01
	v_mul_i32_i24_e32 v2, v2, v201
	v_mul_i32_i24_e32 v152, v152, v204
	v_add3_u32 v136, v197, v166, v153
	v_add3_u32 v132, v135, v154, v132
	v_dot4_i32_iu8 v130, v3, v130, v0 neg_lo:[1,1,0]
	v_perm_b32 v0, v147, v146, 0xc05000c
	v_perm_b32 v3, v3, v3, 0xc030201
	s_delay_alu instid0(VALU_DEP_2) | instskip(SKIP_1) | instid1(VALU_DEP_2)
	v_or_b32_e32 v0, v0, v131
	v_perm_b32 v131, v157, v157, 0xc0c0c01
	v_dot4_i32_iu8 v6, v3, v0, v6 neg_lo:[1,1,0]
	v_mad_i32_i24 v0, v161, v162, v1
	v_perm_b32 v1, v156, v155, 0xc05000c
	s_delay_alu instid0(VALU_DEP_1) | instskip(NEXT) | instid1(VALU_DEP_1)
	v_or_b32_e32 v1, v1, v131
	v_dot4_i32_iu8 v131, v3, v1, v0 neg_lo:[1,1,0]
	v_bfe_i32 v0, v178, 0, 16
	v_bfe_i32 v1, v177, 0, 8
	;; [unrolled: 1-line block ×3, first 2 shown]
	s_delay_alu instid0(VALU_DEP_3) | instskip(NEXT) | instid1(VALU_DEP_3)
	v_mul_i32_i24_e32 v0, v0, v158
	v_mul_i32_i24_e32 v1, v1, v160
	s_delay_alu instid0(VALU_DEP_3) | instskip(NEXT) | instid1(VALU_DEP_3)
	v_mul_i32_i24_e32 v3, v3, v159
	v_add3_u32 v0, v133, v2, v0
	s_delay_alu instid0(VALU_DEP_3) | instskip(NEXT) | instid1(VALU_DEP_2)
	v_add3_u32 v1, v134, v152, v1
	v_add3_u32 v0, v136, v3, v0
	v_pk_mul_f32 v[2:3], v[90:91], v[94:95] op_sel_hi:[0,1]
	s_delay_alu instid0(VALU_DEP_2)
	v_add3_u32 v132, v132, v1, v0
	ds_load_u16 v0, v173 offset:28402
	s_wait_dscnt 0x2
	v_lshrrev_b16 v167, 8, v139
	s_wait_dscnt 0x1
	v_lshrrev_b16 v168, 8, v150
	v_bfe_i32 v150, v150, 0, 8
	v_bfe_i32 v139, v139, 0, 8
	;; [unrolled: 1-line block ×3, first 2 shown]
	s_delay_alu instid0(VALU_DEP_4) | instskip(NEXT) | instid1(VALU_DEP_4)
	v_bfe_i32 v168, v168, 0, 8
	v_mul_lo_u32 v129, v129, v150
	s_delay_alu instid0(VALU_DEP_4) | instskip(NEXT) | instid1(VALU_DEP_2)
	v_mul_lo_u32 v7, v7, v139
	v_mad_u32 v6, v6, v168, v129
	s_delay_alu instid0(VALU_DEP_2) | instskip(SKIP_3) | instid1(VALU_DEP_2)
	v_mad_u32 v7, v130, v167, v7
	s_wait_dscnt 0x0
	v_lshrrev_b16 v1, 8, v0
	v_bfe_i32 v0, v0, 0, 8
	v_bfe_i32 v133, v1, 0, 8
	s_delay_alu instid0(VALU_DEP_2)
	v_mul_lo_u32 v5, v5, v0
	v_pk_mul_f32 v[0:1], v[90:91], v[92:93] op_sel_hi:[0,1]
	v_mad_u32 v90, v131, v128, v4
	v_add_nc_u32_e32 v91, 4, v91
	v_cvt_f32_i32_e32 v4, v7
	v_mad_u32 v92, v132, v133, v5
	v_cvt_f32_i32_e32 v5, v6
	v_cvt_f32_i32_e32 v6, v90
	s_delay_alu instid0(VALU_DEP_2) | instskip(NEXT) | instid1(VALU_DEP_4)
	v_pk_fma_f32 v[20:21], v[0:1], v[4:5], v[20:21]
	v_cvt_f32_i32_e32 v7, v92
	s_delay_alu instid0(VALU_DEP_1)
	v_pk_fma_f32 v[18:19], v[2:3], v[6:7], v[18:19]
	s_cbranch_scc1 .LBB210_27
; %bb.28:                               ;   in Loop: Header=BB210_5 Depth=1
	s_or_b32 s1, s18, 0x180
	s_delay_alu instid0(SALU_CYCLE_1)
	s_cmp_ge_i32 s1, s5
	s_barrier_signal -1
	s_barrier_wait -1
	s_cbranch_scc1 .LBB210_4
; %bb.29:                               ;   in Loop: Header=BB210_5 Depth=1
	v_add_nc_u32_e32 v0, s19, v106
	s_delay_alu instid0(VALU_DEP_1) | instskip(SKIP_1) | instid1(SALU_CYCLE_1)
	v_cmp_gt_i32_e64 s1, s6, v0
	s_and_b32 s18, s0, s1
	s_and_saveexec_b32 s1, s18
	s_cbranch_execz .LBB210_31
; %bb.30:                               ;   in Loop: Header=BB210_5 Depth=1
	v_add_nc_u32_e32 v0, v22, v0
	s_delay_alu instid0(VALU_DEP_1)
	v_mad_nc_i64_i32 v[0:1], v0, 36, v[24:25]
	global_load_b32 v0, v[0:1], off offset:4
	s_wait_loadcnt 0x0
	ds_store_b32 v67, v0
.LBB210_31:                             ;   in Loop: Header=BB210_5 Depth=1
	s_or_b32 exec_lo, exec_lo, s1
	s_and_saveexec_b32 s18, vcc_lo
	s_cbranch_execz .LBB210_34
; %bb.32:                               ;   in Loop: Header=BB210_5 Depth=1
	v_or_b32_e32 v0, 12, v88
	s_delay_alu instid0(VALU_DEP_1) | instskip(SKIP_1) | instid1(SALU_CYCLE_1)
	v_cmp_gt_i32_e64 s1, s6, v0
	s_and_b32 s1, s0, s1
	s_and_b32 exec_lo, exec_lo, s1
	s_cbranch_execz .LBB210_34
; %bb.33:                               ;   in Loop: Header=BB210_5 Depth=1
	v_ashrrev_i32_e32 v89, 31, v88
	s_delay_alu instid0(VALU_DEP_1) | instskip(NEXT) | instid1(VALU_DEP_1)
	v_add_nc_u64_e32 v[0:1], v[22:23], v[88:89]
	v_mad_nc_u64_u32 v[2:3], v0, 36, s[2:3]
	s_delay_alu instid0(VALU_DEP_1)
	v_mad_i32_i24 v3, v1, 36, v3
	global_load_b32 v0, v[2:3], off offset:432
	s_wait_loadcnt 0x0
	v_cvt_f32_f16_e32 v0, v0
	ds_store_b32 v103, v0
.LBB210_34:                             ;   in Loop: Header=BB210_5 Depth=1
	s_or_b32 exec_lo, exec_lo, s18
	v_dual_mov_b32 v89, v65 :: v_dual_mov_b32 v94, v69
	s_mov_b32 s1, 24
	s_mov_b32 s22, 22
	;; [unrolled: 1-line block ×3, first 2 shown]
	s_wait_dscnt 0x0
	s_barrier_signal -1
	s_barrier_wait -1
.LBB210_35:                             ;   Parent Loop BB210_5 Depth=1
                                        ; =>  This Inner Loop Header: Depth=2
	s_add_co_i32 s19, s22, 2
	s_sub_co_i32 s20, s22, 22
	s_lshr_b32 s24, s19, 4
	s_and_b32 s21, s19, 0x3ffffff8
	s_and_b32 s23, s1, -16
	v_lshl_add_u32 v4, s21, 2, v107
	s_lshl_b32 s21, s24, 5
	s_add_co_i32 s22, s22, s23
	s_addk_co_i32 s21, 0x4200
	s_lshl_b32 s23, s24, 2
	v_add3_u32 v90, s21, v108, v109
	ds_load_2addr_b32 v[0:1], v4 offset1:1
	s_addk_co_i32 s23, 0x7380
	ds_load_b32 v88, v94
	s_add_co_i32 s1, s1, 2
	ds_load_2addr_b32 v[2:3], v90 offset1:1
	v_dual_add_nc_u32 v149, s22, v33 :: v_dual_add_nc_u32 v94, 4, v94
	s_wait_dscnt 0x0
	v_dual_ashrrev_i32 v0, s20, v0 :: v_dual_ashrrev_i32 v2, s18, v2
	s_delay_alu instid0(VALU_DEP_1) | instskip(NEXT) | instid1(VALU_DEP_2)
	v_and_b32_e32 v5, 0x3030303, v0
	v_dual_ashrrev_i32 v3, s18, v3 :: v_dual_lshlrev_b32 v2, 2, v2
	s_delay_alu instid0(VALU_DEP_2) | instskip(SKIP_2) | instid1(VALU_DEP_4)
	v_lshrrev_b32_e32 v7, 16, v5
	v_bfe_u32 v0, v0, 24, 2
	v_lshrrev_b16 v6, 8, v5
	v_lshlrev_b32_e32 v3, 2, v3
	v_and_b32_e32 v2, 0x4040404, v2
	s_delay_alu instid0(VALU_DEP_2) | instskip(NEXT) | instid1(VALU_DEP_2)
	v_and_b32_e32 v3, 0x4040404, v3
	v_dual_lshrrev_b32 v92, 24, v2 :: v_dual_lshrrev_b32 v93, 16, v2
	v_lshrrev_b16 v91, 8, v2
	s_delay_alu instid0(VALU_DEP_2) | instskip(NEXT) | instid1(VALU_DEP_3)
	v_sub_nc_u16 v0, v0, v92
	v_sub_nc_u16 v162, v7, v93
	v_lshrrev_b32_e32 v7, 24, v3
	s_delay_alu instid0(VALU_DEP_3) | instskip(NEXT) | instid1(VALU_DEP_1)
	v_lshlrev_b16 v0, 8, v0
	v_bitop3_b16 v163, v162, v0, 0xff bitop3:0xec
	v_sub_nc_u16 v0, v5, v2
	v_sub_nc_u16 v2, v6, v91
	v_lshrrev_b32_e32 v91, 16, v3
	v_lshrrev_b16 v6, 8, v3
	v_perm_b32 v162, v163, v162, 0xc0c0500
	s_delay_alu instid0(VALU_DEP_4) | instskip(NEXT) | instid1(VALU_DEP_1)
	v_lshlrev_b16 v2, 8, v2
	v_bitop3_b16 v0, v0, v2, 0xff bitop3:0xec
	s_delay_alu instid0(VALU_DEP_1) | instskip(SKIP_1) | instid1(VALU_DEP_1)
	v_and_b32_e32 v166, 0xffff, v0
	v_ashrrev_i32_e32 v0, s20, v1
	v_and_b32_e32 v1, 0x3030303, v0
	v_bfe_u32 v0, v0, 24, 2
	s_delay_alu instid0(VALU_DEP_2) | instskip(NEXT) | instid1(VALU_DEP_2)
	v_lshrrev_b32_e32 v5, 16, v1
	v_sub_nc_u16 v0, v0, v7
	v_lshrrev_b16 v2, 8, v1
	v_sub_nc_u16 v167, v1, v3
	s_delay_alu instid0(VALU_DEP_4) | instskip(NEXT) | instid1(VALU_DEP_4)
	v_sub_nc_u16 v164, v5, v91
	v_lshlrev_b16 v0, 8, v0
	s_delay_alu instid0(VALU_DEP_1) | instskip(SKIP_4) | instid1(VALU_DEP_1)
	v_bitop3_b16 v165, v164, v0, 0xff bitop3:0xec
	v_sub_nc_u16 v0, v2, v6
	ds_load_2addr_b32 v[2:3], v90 offset0:2 offset1:3
	v_perm_b32 v164, v165, v164, 0xc0c0500
	v_lshlrev_b16 v0, 8, v0
	v_bitop3_b16 v168, v167, v0, 0xff bitop3:0xec
	ds_load_2addr_b32 v[0:1], v4 offset0:2 offset1:3
	v_perm_b32 v163, v168, v167, 0x5000c0c
	s_wait_dscnt 0x1
	v_dual_ashrrev_i32 v2, s18, v2 :: v_dual_ashrrev_i32 v3, s18, v3
	s_delay_alu instid0(VALU_DEP_1) | instskip(SKIP_2) | instid1(VALU_DEP_2)
	v_dual_lshlrev_b32 v2, 2, v2 :: v_dual_lshlrev_b32 v3, 2, v3
	s_wait_dscnt 0x0
	v_ashrrev_i32_e32 v0, s20, v0
	v_and_b32_e32 v2, 0x4040404, v2
	s_delay_alu instid0(VALU_DEP_3) | instskip(NEXT) | instid1(VALU_DEP_3)
	v_and_b32_e32 v3, 0x4040404, v3
	v_and_b32_e32 v5, 0x3030303, v0
	v_bfe_u32 v0, v0, 24, 2
	s_delay_alu instid0(VALU_DEP_4) | instskip(SKIP_1) | instid1(VALU_DEP_4)
	v_dual_lshrrev_b32 v91, 16, v2 :: v_dual_lshrrev_b32 v92, 24, v2
	v_lshrrev_b16 v93, 8, v2
	v_lshrrev_b16 v7, 8, v5
	v_lshrrev_b32_e32 v6, 16, v5
	v_sub_nc_u16 v170, v5, v2
	v_sub_nc_u16 v0, v0, v92
	s_delay_alu instid0(VALU_DEP_4) | instskip(SKIP_2) | instid1(VALU_DEP_4)
	v_sub_nc_u16 v2, v7, v93
	v_lshrrev_b32_e32 v7, 24, v3
	v_sub_nc_u16 v173, v6, v91
	v_lshlrev_b16 v128, 8, v0
	v_ashrrev_i32_e32 v0, s20, v1
	v_lshlrev_b16 v2, 8, v2
	v_lshrrev_b32_e32 v91, 16, v3
	v_lshrrev_b16 v6, 8, v3
	v_bfe_i32 v173, v173, 0, 8
	v_and_b32_e32 v1, 0x3030303, v0
	v_bfe_u32 v0, v0, 24, 2
	v_bitop3_b16 v171, v170, v2, 0xff bitop3:0xec
	v_bfe_i32 v128, v128, 8, 8
	s_delay_alu instid0(VALU_DEP_4) | instskip(NEXT) | instid1(VALU_DEP_4)
	v_lshrrev_b32_e32 v5, 16, v1
	v_sub_nc_u16 v0, v0, v7
	v_lshrrev_b16 v2, 8, v1
	v_sub_nc_u16 v131, v1, v3
	v_perm_b32 v165, v171, v170, 0x5000c0c
	v_sub_nc_u16 v129, v5, v91
	v_lshlrev_b16 v0, 8, v0
	s_delay_alu instid0(VALU_DEP_1) | instskip(SKIP_4) | instid1(VALU_DEP_1)
	v_bitop3_b16 v130, v129, v0, 0xff bitop3:0xec
	v_sub_nc_u16 v0, v2, v6
	ds_load_2addr_b32 v[2:3], v90 offset0:4 offset1:5
	v_perm_b32 v129, v130, v129, 0x5000c0c
	v_lshlrev_b16 v0, 8, v0
	v_bitop3_b16 v132, v131, v0, 0xff bitop3:0xec
	ds_load_2addr_b32 v[0:1], v4 offset0:4 offset1:5
	v_perm_b32 v131, v132, v131, 0xc0c0500
	s_wait_dscnt 0x1
	s_delay_alu instid0(VALU_DEP_1) | instskip(NEXT) | instid1(VALU_DEP_1)
	v_dual_ashrrev_i32 v2, s18, v2 :: v_dual_bitop2_b32 v129, v129, v131 bitop3:0x54
	v_dual_ashrrev_i32 v3, s18, v3 :: v_dual_lshlrev_b32 v2, 2, v2
	s_wait_dscnt 0x0
	s_delay_alu instid0(VALU_DEP_1) | instskip(NEXT) | instid1(VALU_DEP_2)
	v_dual_lshlrev_b32 v3, 2, v3 :: v_dual_ashrrev_i32 v0, s20, v0
	v_and_b32_e32 v2, 0x4040404, v2
	s_delay_alu instid0(VALU_DEP_2) | instskip(NEXT) | instid1(VALU_DEP_3)
	v_and_b32_e32 v3, 0x4040404, v3
	v_and_b32_e32 v5, 0x3030303, v0
	v_bfe_u32 v0, v0, 24, 2
	s_delay_alu instid0(VALU_DEP_4) | instskip(SKIP_1) | instid1(VALU_DEP_4)
	v_dual_lshrrev_b32 v92, 24, v2 :: v_dual_lshrrev_b32 v93, 16, v2
	v_lshrrev_b16 v91, 8, v2
	v_lshrrev_b32_e32 v7, 16, v5
	v_lshrrev_b16 v6, 8, v5
	s_delay_alu instid0(VALU_DEP_4) | instskip(NEXT) | instid1(VALU_DEP_3)
	v_sub_nc_u16 v0, v0, v92
	v_sub_nc_u16 v150, v7, v93
	v_lshrrev_b32_e32 v7, 24, v3
	s_delay_alu instid0(VALU_DEP_3) | instskip(NEXT) | instid1(VALU_DEP_1)
	v_lshlrev_b16 v0, 8, v0
	v_bitop3_b16 v151, v150, v0, 0xff bitop3:0xec
	v_sub_nc_u16 v0, v5, v2
	v_sub_nc_u16 v2, v6, v91
	v_lshrrev_b32_e32 v91, 16, v3
	v_lshrrev_b16 v6, 8, v3
	v_perm_b32 v150, v151, v150, 0xc0c0500
	s_delay_alu instid0(VALU_DEP_4) | instskip(NEXT) | instid1(VALU_DEP_1)
	v_lshlrev_b16 v2, 8, v2
	v_bitop3_b16 v0, v0, v2, 0xff bitop3:0xec
	s_delay_alu instid0(VALU_DEP_1) | instskip(SKIP_1) | instid1(VALU_DEP_1)
	v_and_b32_e32 v157, 0xffff, v0
	v_ashrrev_i32_e32 v0, s20, v1
	v_and_b32_e32 v1, 0x3030303, v0
	v_bfe_u32 v0, v0, 24, 2
	s_delay_alu instid0(VALU_DEP_2) | instskip(NEXT) | instid1(VALU_DEP_2)
	v_lshrrev_b32_e32 v5, 16, v1
	v_sub_nc_u16 v0, v0, v7
	v_lshrrev_b16 v2, 8, v1
	v_sub_nc_u16 v158, v1, v3
	s_delay_alu instid0(VALU_DEP_4) | instskip(NEXT) | instid1(VALU_DEP_4)
	v_sub_nc_u16 v152, v5, v91
	v_lshlrev_b16 v0, 8, v0
	s_delay_alu instid0(VALU_DEP_1) | instskip(SKIP_3) | instid1(VALU_DEP_1)
	v_bitop3_b16 v153, v152, v0, 0xff bitop3:0xec
	v_sub_nc_u16 v0, v2, v6
	ds_load_2addr_b32 v[2:3], v90 offset0:6 offset1:7
	v_lshlrev_b16 v0, 8, v0
	v_bitop3_b16 v159, v158, v0, 0xff bitop3:0xec
	ds_load_2addr_b32 v[0:1], v4 offset0:6 offset1:7
	v_perm_b32 v151, v159, v158, 0x5000c0c
	s_wait_dscnt 0x1
	v_dual_ashrrev_i32 v2, s18, v2 :: v_dual_ashrrev_i32 v3, s18, v3
	s_delay_alu instid0(VALU_DEP_1) | instskip(SKIP_2) | instid1(VALU_DEP_2)
	v_dual_lshlrev_b32 v2, 2, v2 :: v_dual_lshlrev_b32 v3, 2, v3
	s_wait_dscnt 0x0
	v_ashrrev_i32_e32 v0, s20, v0
	v_and_b32_e32 v2, 0x4040404, v2
	s_delay_alu instid0(VALU_DEP_3) | instskip(NEXT) | instid1(VALU_DEP_3)
	v_and_b32_e32 v3, 0x4040404, v3
	v_and_b32_e32 v5, 0x3030303, v0
	v_bfe_u32 v0, v0, 24, 2
	s_delay_alu instid0(VALU_DEP_4) | instskip(SKIP_1) | instid1(VALU_DEP_4)
	v_dual_lshrrev_b32 v90, 16, v2 :: v_dual_lshrrev_b32 v91, 24, v2
	v_lshrrev_b16 v92, 8, v2
	v_lshrrev_b16 v7, 8, v5
	v_lshrrev_b32_e32 v6, 16, v5
	v_sub_nc_u16 v160, v5, v2
	v_sub_nc_u16 v0, v0, v91
	v_add3_u32 v91, s21, v112, v113
	v_sub_nc_u16 v2, v7, v92
	v_lshrrev_b32_e32 v7, 24, v3
	v_sub_nc_u16 v169, v6, v90
	v_lshlrev_b16 v133, 8, v0
	v_ashrrev_i32_e32 v0, s20, v1
	v_lshlrev_b16 v2, 8, v2
	v_lshrrev_b32_e32 v90, 16, v3
	v_lshrrev_b16 v6, 8, v3
	v_bfe_i32 v169, v169, 0, 8
	v_and_b32_e32 v1, 0x3030303, v0
	v_bfe_u32 v0, v0, 24, 2
	v_bitop3_b16 v161, v160, v2, 0xff bitop3:0xec
	v_bfe_i32 v130, v133, 8, 8
	s_delay_alu instid0(VALU_DEP_4) | instskip(NEXT) | instid1(VALU_DEP_4)
	v_lshrrev_b32_e32 v5, 16, v1
	v_sub_nc_u16 v0, v0, v7
	v_lshrrev_b16 v2, 8, v1
	v_sub_nc_u16 v136, v1, v3
	s_delay_alu instid0(VALU_DEP_4) | instskip(NEXT) | instid1(VALU_DEP_4)
	v_sub_nc_u16 v134, v5, v90
	v_lshlrev_b16 v0, 8, v0
	s_delay_alu instid0(VALU_DEP_1) | instskip(SKIP_4) | instid1(VALU_DEP_1)
	v_bitop3_b16 v135, v134, v0, 0xff bitop3:0xec
	v_sub_nc_u16 v0, v2, v6
	ds_load_2addr_b32 v[2:3], v91 offset1:1
	v_add_nc_u32_e32 v138, s22, v35
	v_lshlrev_b16 v0, 8, v0
	v_bitop3_b16 v137, v136, v0, 0xff bitop3:0xec
	v_add3_u32 v0, s23, v127, v111
	ds_load_b32 v90, v0
	v_add_nc_u32_e32 v0, 0x1080, v4
	s_wait_dscnt 0x1
	v_ashrrev_i32_e32 v2, s18, v2
	ds_load_2addr_b32 v[0:1], v0 offset1:1
	v_dual_ashrrev_i32 v3, s18, v3 :: v_dual_lshlrev_b32 v2, 2, v2
	s_delay_alu instid0(VALU_DEP_1) | instskip(NEXT) | instid1(VALU_DEP_2)
	v_lshlrev_b32_e32 v3, 2, v3
	v_and_b32_e32 v2, 0x4040404, v2
	s_delay_alu instid0(VALU_DEP_2) | instskip(NEXT) | instid1(VALU_DEP_2)
	v_and_b32_e32 v3, 0x4040404, v3
	v_dual_lshrrev_b32 v93, 24, v2 :: v_dual_lshrrev_b32 v95, 16, v2
	v_lshrrev_b16 v92, 8, v2
	s_wait_dscnt 0x0
	v_ashrrev_i32_e32 v0, s20, v0
	s_delay_alu instid0(VALU_DEP_1) | instskip(SKIP_1) | instid1(VALU_DEP_2)
	v_and_b32_e32 v5, 0x3030303, v0
	v_bfe_u32 v0, v0, 24, 2
	v_lshrrev_b32_e32 v7, 16, v5
	s_delay_alu instid0(VALU_DEP_2) | instskip(SKIP_2) | instid1(VALU_DEP_4)
	v_sub_nc_u16 v0, v0, v93
	v_lshrrev_b16 v6, 8, v5
	v_sub_nc_u16 v194, v5, v2
	v_sub_nc_u16 v186, v7, v95
	s_delay_alu instid0(VALU_DEP_4) | instskip(SKIP_1) | instid1(VALU_DEP_4)
	v_lshlrev_b16 v0, 8, v0
	v_lshrrev_b32_e32 v7, 24, v3
	v_bfe_i32 v194, v194, 0, 8
	s_delay_alu instid0(VALU_DEP_3) | instskip(SKIP_3) | instid1(VALU_DEP_4)
	v_bitop3_b16 v187, v186, v0, 0xff bitop3:0xec
	v_sub_nc_u16 v0, v6, v92
	v_lshrrev_b32_e32 v92, 16, v3
	v_lshrrev_b16 v6, 8, v3
	v_perm_b32 v186, v187, v186, 0xc0c0500
	s_delay_alu instid0(VALU_DEP_4) | instskip(SKIP_1) | instid1(VALU_DEP_2)
	v_lshlrev_b16 v191, 8, v0
	v_ashrrev_i32_e32 v0, s20, v1
	v_bfe_i32 v191, v191, 8, 8
	s_delay_alu instid0(VALU_DEP_2) | instskip(SKIP_1) | instid1(VALU_DEP_2)
	v_and_b32_e32 v1, 0x3030303, v0
	v_bfe_u32 v0, v0, 24, 2
	v_lshrrev_b32_e32 v5, 16, v1
	s_delay_alu instid0(VALU_DEP_2) | instskip(SKIP_2) | instid1(VALU_DEP_4)
	v_sub_nc_u16 v0, v0, v7
	v_lshrrev_b16 v2, 8, v1
	v_sub_nc_u16 v196, v1, v3
	v_sub_nc_u16 v190, v5, v92
	s_delay_alu instid0(VALU_DEP_4) | instskip(NEXT) | instid1(VALU_DEP_3)
	v_lshlrev_b16 v0, 8, v0
	v_bfe_i32 v196, v196, 0, 8
	s_delay_alu instid0(VALU_DEP_2)
	v_bitop3_b16 v192, v190, v0, 0xff bitop3:0xec
	v_sub_nc_u16 v0, v2, v6
	ds_load_2addr_b32 v[2:3], v91 offset0:2 offset1:3
	v_lshlrev_b16 v193, 8, v0
	v_add_nc_u32_e32 v0, 0x1088, v4
	ds_load_2addr_b32 v[0:1], v0 offset1:1
	s_wait_dscnt 0x1
	v_dual_ashrrev_i32 v2, s18, v2 :: v_dual_ashrrev_i32 v3, s18, v3
	s_delay_alu instid0(VALU_DEP_1) | instskip(SKIP_2) | instid1(VALU_DEP_2)
	v_dual_lshlrev_b32 v2, 2, v2 :: v_dual_lshlrev_b32 v3, 2, v3
	s_wait_dscnt 0x0
	v_ashrrev_i32_e32 v0, s20, v0
	v_and_b32_e32 v2, 0x4040404, v2
	s_delay_alu instid0(VALU_DEP_3) | instskip(NEXT) | instid1(VALU_DEP_3)
	v_and_b32_e32 v3, 0x4040404, v3
	v_and_b32_e32 v5, 0x3030303, v0
	v_bfe_u32 v0, v0, 24, 2
	s_delay_alu instid0(VALU_DEP_4) | instskip(SKIP_1) | instid1(VALU_DEP_4)
	v_dual_lshrrev_b32 v92, 16, v2 :: v_dual_lshrrev_b32 v95, 24, v2
	v_lshrrev_b16 v93, 8, v2
	v_lshrrev_b32_e32 v6, 16, v5
	v_lshrrev_b16 v7, 8, v5
	v_sub_nc_u16 v198, v5, v2
	v_sub_nc_u16 v0, v0, v95
	s_delay_alu instid0(VALU_DEP_4) | instskip(SKIP_2) | instid1(VALU_DEP_4)
	v_sub_nc_u16 v199, v6, v92
	v_lshrrev_b32_e32 v92, 16, v3
	v_lshrrev_b16 v6, 8, v3
	v_lshlrev_b16 v139, 8, v0
	v_sub_nc_u16 v0, v7, v93
	v_lshrrev_b32_e32 v7, 24, v3
	v_bfe_i32 v199, v199, 0, 8
	v_bfe_i32 v198, v198, 0, 8
	;; [unrolled: 1-line block ×3, first 2 shown]
	v_lshlrev_b16 v197, 8, v0
	v_ashrrev_i32_e32 v0, s20, v1
	v_perm_b32 v173, v199, v173, 0x5040100
	s_delay_alu instid0(VALU_DEP_3) | instskip(NEXT) | instid1(VALU_DEP_3)
	v_bfe_i32 v197, v197, 8, 8
	v_and_b32_e32 v1, 0x3030303, v0
	v_bfe_u32 v0, v0, 24, 2
	s_delay_alu instid0(VALU_DEP_2) | instskip(NEXT) | instid1(VALU_DEP_2)
	v_lshrrev_b32_e32 v5, 16, v1
	v_sub_nc_u16 v0, v0, v7
	v_lshrrev_b16 v2, 8, v1
	v_sub_nc_u16 v143, v1, v3
	s_delay_alu instid0(VALU_DEP_4) | instskip(NEXT) | instid1(VALU_DEP_4)
	v_sub_nc_u16 v140, v5, v92
	v_lshlrev_b16 v0, 8, v0
	s_delay_alu instid0(VALU_DEP_3) | instskip(NEXT) | instid1(VALU_DEP_2)
	v_bfe_i32 v143, v143, 0, 8
	v_bitop3_b16 v141, v140, v0, 0xff bitop3:0xec
	v_sub_nc_u16 v0, v2, v6
	ds_load_2addr_b32 v[2:3], v91 offset0:4 offset1:5
	v_lshlrev_b16 v142, 8, v0
	v_add_nc_u32_e32 v0, 0x1090, v4
	ds_load_2addr_b32 v[0:1], v0 offset1:1
	s_wait_dscnt 0x1
	v_dual_ashrrev_i32 v2, s18, v2 :: v_dual_ashrrev_i32 v3, s18, v3
	s_delay_alu instid0(VALU_DEP_1) | instskip(SKIP_2) | instid1(VALU_DEP_2)
	v_dual_lshlrev_b32 v2, 2, v2 :: v_dual_lshlrev_b32 v3, 2, v3
	s_wait_dscnt 0x0
	v_ashrrev_i32_e32 v0, s20, v0
	v_and_b32_e32 v2, 0x4040404, v2
	s_delay_alu instid0(VALU_DEP_3) | instskip(NEXT) | instid1(VALU_DEP_3)
	v_and_b32_e32 v3, 0x4040404, v3
	v_and_b32_e32 v5, 0x3030303, v0
	v_bfe_u32 v0, v0, 24, 2
	s_delay_alu instid0(VALU_DEP_4) | instskip(SKIP_1) | instid1(VALU_DEP_4)
	v_dual_lshrrev_b32 v93, 24, v2 :: v_dual_lshrrev_b32 v95, 16, v2
	v_lshrrev_b16 v92, 8, v2
	v_lshrrev_b32_e32 v7, 16, v5
	v_lshrrev_b16 v6, 8, v5
	s_delay_alu instid0(VALU_DEP_4) | instskip(SKIP_1) | instid1(VALU_DEP_4)
	v_sub_nc_u16 v0, v0, v93
	v_sub_nc_u16 v184, v5, v2
	;; [unrolled: 1-line block ×3, first 2 shown]
	v_lshrrev_b32_e32 v7, 24, v3
	s_delay_alu instid0(VALU_DEP_4) | instskip(NEXT) | instid1(VALU_DEP_4)
	v_lshlrev_b16 v0, 8, v0
	v_bfe_i32 v184, v184, 0, 8
	s_delay_alu instid0(VALU_DEP_2) | instskip(SKIP_3) | instid1(VALU_DEP_4)
	v_bitop3_b16 v179, v178, v0, 0xff bitop3:0xec
	v_sub_nc_u16 v0, v6, v92
	v_lshrrev_b32_e32 v92, 16, v3
	v_lshrrev_b16 v6, 8, v3
	v_perm_b32 v178, v179, v178, 0xc0c0500
	s_delay_alu instid0(VALU_DEP_4) | instskip(SKIP_1) | instid1(VALU_DEP_2)
	v_lshlrev_b16 v181, 8, v0
	v_ashrrev_i32_e32 v0, s20, v1
	v_bfe_i32 v181, v181, 8, 8
	s_delay_alu instid0(VALU_DEP_2) | instskip(SKIP_1) | instid1(VALU_DEP_2)
	v_and_b32_e32 v1, 0x3030303, v0
	v_bfe_u32 v0, v0, 24, 2
	v_lshrrev_b32_e32 v5, 16, v1
	s_delay_alu instid0(VALU_DEP_2) | instskip(SKIP_2) | instid1(VALU_DEP_4)
	v_sub_nc_u16 v0, v0, v7
	v_lshrrev_b16 v2, 8, v1
	v_sub_nc_u16 v185, v1, v3
	v_sub_nc_u16 v180, v5, v92
	s_delay_alu instid0(VALU_DEP_4) | instskip(NEXT) | instid1(VALU_DEP_3)
	v_lshlrev_b16 v0, 8, v0
	v_bfe_i32 v185, v185, 0, 8
	s_delay_alu instid0(VALU_DEP_2)
	v_bitop3_b16 v182, v180, v0, 0xff bitop3:0xec
	v_sub_nc_u16 v0, v2, v6
	ds_load_2addr_b32 v[2:3], v91 offset0:6 offset1:7
	v_lshlrev_b16 v183, 8, v0
	v_add_nc_u32_e32 v0, 0x1098, v4
	ds_load_2addr_b32 v[0:1], v0 offset1:1
	s_wait_dscnt 0x1
	v_dual_ashrrev_i32 v2, s18, v2 :: v_dual_ashrrev_i32 v3, s18, v3
	s_delay_alu instid0(VALU_DEP_1) | instskip(SKIP_2) | instid1(VALU_DEP_2)
	v_dual_lshlrev_b32 v2, 2, v2 :: v_dual_lshlrev_b32 v3, 2, v3
	s_wait_dscnt 0x0
	v_ashrrev_i32_e32 v0, s20, v0
	v_and_b32_e32 v2, 0x4040404, v2
	s_delay_alu instid0(VALU_DEP_3) | instskip(NEXT) | instid1(VALU_DEP_3)
	v_and_b32_e32 v3, 0x4040404, v3
	v_and_b32_e32 v5, 0x3030303, v0
	v_bfe_u32 v0, v0, 24, 2
	s_delay_alu instid0(VALU_DEP_4) | instskip(SKIP_1) | instid1(VALU_DEP_4)
	v_dual_lshrrev_b32 v91, 16, v2 :: v_dual_lshrrev_b32 v93, 24, v2
	v_lshrrev_b16 v92, 8, v2
	v_lshrrev_b32_e32 v6, 16, v5
	v_lshrrev_b16 v7, 8, v5
	v_sub_nc_u16 v189, v5, v2
	v_sub_nc_u16 v0, v0, v93
	s_delay_alu instid0(VALU_DEP_4) | instskip(SKIP_2) | instid1(VALU_DEP_4)
	v_sub_nc_u16 v195, v6, v91
	v_lshrrev_b32_e32 v91, 16, v3
	v_lshrrev_b16 v6, 8, v3
	v_lshlrev_b16 v144, 8, v0
	v_sub_nc_u16 v0, v7, v92
	v_lshrrev_b32_e32 v7, 24, v3
	v_add3_u32 v92, s21, v116, v117
	v_bfe_i32 v195, v195, 0, 8
	v_bfe_i32 v189, v189, 0, 8
	v_lshlrev_b16 v188, 8, v0
	v_ashrrev_i32_e32 v0, s20, v1
	s_delay_alu instid0(VALU_DEP_4) | instskip(NEXT) | instid1(VALU_DEP_3)
	v_perm_b32 v169, v195, v169, 0x5040100
	v_bfe_i32 v188, v188, 8, 8
	s_delay_alu instid0(VALU_DEP_3) | instskip(SKIP_1) | instid1(VALU_DEP_2)
	v_and_b32_e32 v1, 0x3030303, v0
	v_bfe_u32 v0, v0, 24, 2
	v_lshrrev_b32_e32 v5, 16, v1
	s_delay_alu instid0(VALU_DEP_2) | instskip(SKIP_2) | instid1(VALU_DEP_4)
	v_sub_nc_u16 v0, v0, v7
	v_lshrrev_b16 v2, 8, v1
	v_sub_nc_u16 v148, v1, v3
	v_sub_nc_u16 v145, v5, v91
	s_delay_alu instid0(VALU_DEP_4) | instskip(NEXT) | instid1(VALU_DEP_3)
	v_lshlrev_b16 v0, 8, v0
	v_bfe_i32 v148, v148, 0, 8
	s_delay_alu instid0(VALU_DEP_2)
	v_bitop3_b16 v146, v145, v0, 0xff bitop3:0xec
	v_sub_nc_u16 v0, v2, v6
	ds_load_2addr_b32 v[2:3], v92 offset1:1
	v_lshlrev_b16 v147, 8, v0
	v_add3_u32 v0, s23, v114, v115
	ds_load_b32 v91, v0
	v_add_nc_u32_e32 v0, 0x2100, v4
	ds_load_2addr_b32 v[0:1], v0 offset1:1
	s_wait_dscnt 0x2
	v_dual_ashrrev_i32 v2, s18, v2 :: v_dual_ashrrev_i32 v3, s18, v3
	s_delay_alu instid0(VALU_DEP_1) | instskip(NEXT) | instid1(VALU_DEP_1)
	v_dual_lshlrev_b32 v2, 2, v2 :: v_dual_lshlrev_b32 v3, 2, v3
	v_and_b32_e32 v2, 0x4040404, v2
	s_delay_alu instid0(VALU_DEP_2) | instskip(NEXT) | instid1(VALU_DEP_2)
	v_and_b32_e32 v3, 0x4040404, v3
	v_dual_lshrrev_b32 v95, 24, v2 :: v_dual_lshrrev_b32 v154, 16, v2
	s_wait_dscnt 0x0
	v_ashrrev_i32_e32 v0, s20, v0
	v_lshrrev_b16 v93, 8, v2
	s_delay_alu instid0(VALU_DEP_2) | instskip(NEXT) | instid1(VALU_DEP_1)
	v_and_b32_e32 v5, 0x3030303, v0
	v_lshrrev_b32_e32 v7, 16, v5
	v_bfe_u32 v0, v0, 24, 2
	v_lshrrev_b16 v6, 8, v5
	v_sub_nc_u16 v5, v5, v2
	s_delay_alu instid0(VALU_DEP_4) | instskip(NEXT) | instid1(VALU_DEP_4)
	v_sub_nc_u16 v200, v7, v154
	v_sub_nc_u16 v0, v0, v95
	v_dual_lshrrev_b32 v95, 24, v3 :: v_dual_lshrrev_b32 v154, 16, v3
	s_delay_alu instid0(VALU_DEP_4) | instskip(NEXT) | instid1(VALU_DEP_3)
	v_bfe_i32 v223, v5, 0, 8
	v_lshlrev_b16 v0, 8, v0
	s_delay_alu instid0(VALU_DEP_1) | instskip(SKIP_2) | instid1(VALU_DEP_3)
	v_bitop3_b16 v201, v200, v0, 0xff bitop3:0xec
	v_sub_nc_u16 v0, v6, v93
	v_lshrrev_b16 v93, 8, v3
	v_perm_b32 v200, v201, v200, 0xc0c0500
	s_delay_alu instid0(VALU_DEP_3) | instskip(SKIP_1) | instid1(VALU_DEP_2)
	v_lshlrev_b16 v6, 8, v0
	v_ashrrev_i32_e32 v0, s20, v1
	v_bfe_i32 v224, v6, 8, 8
	s_delay_alu instid0(VALU_DEP_2) | instskip(SKIP_1) | instid1(VALU_DEP_2)
	v_and_b32_e32 v1, 0x3030303, v0
	v_bfe_u32 v0, v0, 24, 2
	v_lshrrev_b32_e32 v7, 16, v1
	s_delay_alu instid0(VALU_DEP_2) | instskip(SKIP_1) | instid1(VALU_DEP_3)
	v_sub_nc_u16 v0, v0, v95
	v_lshrrev_b16 v2, 8, v1
	v_sub_nc_u16 v202, v7, v154
	s_delay_alu instid0(VALU_DEP_3) | instskip(SKIP_1) | instid1(VALU_DEP_2)
	v_lshlrev_b16 v0, 8, v0
	v_sub_nc_u16 v7, v1, v3
	v_bitop3_b16 v203, v202, v0, 0xff bitop3:0xec
	v_sub_nc_u16 v0, v2, v93
	ds_load_2addr_b32 v[2:3], v92 offset0:2 offset1:3
	v_bfe_i32 v225, v7, 0, 8
	v_perm_b32 v202, v203, v202, 0xc05000c
	v_lshlrev_b16 v204, 8, v0
	v_add_nc_u32_e32 v0, 0x2108, v4
	s_delay_alu instid0(VALU_DEP_2) | instskip(SKIP_3) | instid1(VALU_DEP_1)
	v_perm_b32 v203, v204, v204, 0xc0c0c01
	ds_load_2addr_b32 v[0:1], v0 offset1:1
	s_wait_dscnt 0x1
	v_dual_ashrrev_i32 v2, s18, v2 :: v_dual_bitop2_b32 v202, v202, v203 bitop3:0x54
	v_dual_ashrrev_i32 v3, s18, v3 :: v_dual_lshlrev_b32 v2, 2, v2
	s_wait_dscnt 0x0
	s_delay_alu instid0(VALU_DEP_1) | instskip(NEXT) | instid1(VALU_DEP_2)
	v_dual_lshlrev_b32 v3, 2, v3 :: v_dual_ashrrev_i32 v0, s20, v0
	v_and_b32_e32 v2, 0x4040404, v2
	s_delay_alu instid0(VALU_DEP_2) | instskip(NEXT) | instid1(VALU_DEP_3)
	v_and_b32_e32 v3, 0x4040404, v3
	v_and_b32_e32 v93, 0x3030303, v0
	v_bfe_u32 v0, v0, 24, 2
	s_delay_alu instid0(VALU_DEP_4) | instskip(SKIP_1) | instid1(VALU_DEP_4)
	v_dual_lshrrev_b32 v156, 24, v2 :: v_dual_lshrrev_b32 v172, 16, v2
	v_lshrrev_b16 v155, 8, v2
	v_lshrrev_b32_e32 v154, 16, v93
	v_lshrrev_b16 v95, 8, v93
	s_delay_alu instid0(VALU_DEP_4) | instskip(SKIP_1) | instid1(VALU_DEP_4)
	v_sub_nc_u16 v0, v0, v156
	v_sub_nc_u16 v208, v93, v2
	;; [unrolled: 1-line block ×3, first 2 shown]
	v_lshrrev_b32_e32 v154, 24, v3
	s_delay_alu instid0(VALU_DEP_4) | instskip(NEXT) | instid1(VALU_DEP_4)
	v_lshlrev_b16 v0, 8, v0
	v_bfe_i32 v199, v208, 0, 8
	v_bfe_i32 v208, v166, 8, 8
	;; [unrolled: 1-line block ×3, first 2 shown]
	s_delay_alu instid0(VALU_DEP_4) | instskip(SKIP_3) | instid1(VALU_DEP_3)
	v_bitop3_b16 v206, v205, v0, 0xff bitop3:0xec
	v_sub_nc_u16 v0, v95, v155
	v_lshrrev_b32_e32 v155, 16, v3
	v_lshrrev_b16 v95, 8, v3
	v_lshlrev_b16 v207, 8, v0
	v_ashrrev_i32_e32 v0, s20, v1
	s_delay_alu instid0(VALU_DEP_1) | instskip(SKIP_1) | instid1(VALU_DEP_2)
	v_and_b32_e32 v1, 0x3030303, v0
	v_bfe_u32 v0, v0, 24, 2
	v_lshrrev_b32_e32 v93, 16, v1
	s_delay_alu instid0(VALU_DEP_2) | instskip(SKIP_2) | instid1(VALU_DEP_4)
	v_sub_nc_u16 v0, v0, v154
	v_lshrrev_b16 v2, 8, v1
	v_sub_nc_u16 v212, v1, v3
	v_sub_nc_u16 v209, v93, v155
	s_delay_alu instid0(VALU_DEP_4) | instskip(NEXT) | instid1(VALU_DEP_1)
	v_lshlrev_b16 v0, 8, v0
	v_bitop3_b16 v210, v209, v0, 0xff bitop3:0xec
	v_sub_nc_u16 v0, v2, v95
	ds_load_2addr_b32 v[2:3], v92 offset0:4 offset1:5
	v_lshlrev_b16 v211, 8, v0
	v_add_nc_u32_e32 v0, 0x2110, v4
	s_delay_alu instid0(VALU_DEP_2) | instskip(SKIP_3) | instid1(VALU_DEP_1)
	v_perm_b32 v187, v211, v211, 0xc0c0c01
	ds_load_2addr_b32 v[0:1], v0 offset1:1
	s_wait_dscnt 0x1
	v_dual_ashrrev_i32 v2, s18, v2 :: v_dual_ashrrev_i32 v3, s18, v3
	v_dual_lshlrev_b32 v2, 2, v2 :: v_dual_lshlrev_b32 v3, 2, v3
	s_wait_dscnt 0x0
	v_ashrrev_i32_e32 v0, s20, v0
	s_delay_alu instid0(VALU_DEP_2) | instskip(NEXT) | instid1(VALU_DEP_3)
	v_and_b32_e32 v2, 0x4040404, v2
	v_and_b32_e32 v3, 0x4040404, v3
	s_delay_alu instid0(VALU_DEP_3) | instskip(SKIP_1) | instid1(VALU_DEP_4)
	v_and_b32_e32 v93, 0x3030303, v0
	v_bfe_u32 v0, v0, 24, 2
	v_dual_lshrrev_b32 v156, 24, v2 :: v_dual_lshrrev_b32 v172, 16, v2
	v_lshrrev_b16 v155, 8, v2
	s_delay_alu instid0(VALU_DEP_4) | instskip(SKIP_1) | instid1(VALU_DEP_4)
	v_lshrrev_b32_e32 v154, 16, v93
	v_lshrrev_b16 v95, 8, v93
	v_sub_nc_u16 v0, v0, v156
	v_lshrrev_b32_e32 v156, 24, v3
	v_sub_nc_u16 v93, v93, v2
	v_sub_nc_u16 v213, v154, v172
	v_lshrrev_b32_e32 v172, 16, v3
	v_lshlrev_b16 v0, 8, v0
	s_delay_alu instid0(VALU_DEP_4) | instskip(SKIP_1) | instid1(VALU_DEP_3)
	v_bfe_i32 v227, v93, 0, 8
	v_add3_u32 v93, s21, v120, v121
	v_bitop3_b16 v214, v213, v0, 0xff bitop3:0xec
	v_sub_nc_u16 v0, v95, v155
	v_lshrrev_b16 v155, 8, v3
	s_delay_alu instid0(VALU_DEP_2) | instskip(SKIP_1) | instid1(VALU_DEP_2)
	v_lshlrev_b16 v95, 8, v0
	v_ashrrev_i32_e32 v0, s20, v1
	v_bfe_i32 v228, v95, 8, 8
	s_delay_alu instid0(VALU_DEP_2) | instskip(SKIP_1) | instid1(VALU_DEP_2)
	v_and_b32_e32 v1, 0x3030303, v0
	v_bfe_u32 v0, v0, 24, 2
	v_lshrrev_b32_e32 v154, 16, v1
	s_delay_alu instid0(VALU_DEP_2) | instskip(SKIP_1) | instid1(VALU_DEP_3)
	v_sub_nc_u16 v0, v0, v156
	v_lshrrev_b16 v2, 8, v1
	v_sub_nc_u16 v215, v154, v172
	s_delay_alu instid0(VALU_DEP_3) | instskip(SKIP_1) | instid1(VALU_DEP_2)
	v_lshlrev_b16 v0, 8, v0
	v_sub_nc_u16 v172, v1, v3
	v_bitop3_b16 v216, v215, v0, 0xff bitop3:0xec
	v_sub_nc_u16 v0, v2, v155
	ds_load_2addr_b32 v[2:3], v92 offset0:6 offset1:7
	v_bfe_i32 v229, v172, 0, 8
	v_lshlrev_b16 v217, 8, v0
	v_add_nc_u32_e32 v0, 0x2118, v4
	ds_load_2addr_b32 v[0:1], v0 offset1:1
	s_wait_dscnt 0x1
	v_dual_ashrrev_i32 v2, s18, v2 :: v_dual_ashrrev_i32 v3, s18, v3
	s_delay_alu instid0(VALU_DEP_1) | instskip(SKIP_2) | instid1(VALU_DEP_2)
	v_dual_lshlrev_b32 v2, 2, v2 :: v_dual_lshlrev_b32 v3, 2, v3
	s_wait_dscnt 0x0
	v_ashrrev_i32_e32 v0, s20, v0
	v_and_b32_e32 v2, 0x4040404, v2
	s_delay_alu instid0(VALU_DEP_3) | instskip(NEXT) | instid1(VALU_DEP_3)
	v_and_b32_e32 v3, 0x4040404, v3
	v_and_b32_e32 v154, 0x3030303, v0
	v_bfe_u32 v0, v0, 24, 2
	s_delay_alu instid0(VALU_DEP_4) | instskip(SKIP_1) | instid1(VALU_DEP_4)
	v_dual_lshrrev_b32 v174, 24, v2 :: v_dual_lshrrev_b32 v175, 16, v2
	v_lshrrev_b16 v92, 8, v2
	v_lshrrev_b32_e32 v156, 16, v154
	v_lshrrev_b16 v155, 8, v154
	s_delay_alu instid0(VALU_DEP_4)
	v_sub_nc_u16 v0, v0, v174
	v_sub_nc_u16 v221, v154, v2
	v_lshrrev_b32_e32 v154, 16, v3
	v_sub_nc_u16 v218, v156, v175
	v_lshrrev_b16 v156, 8, v3
	v_lshlrev_b16 v0, 8, v0
	v_bfe_i32 v195, v221, 0, 8
	s_delay_alu instid0(VALU_DEP_2) | instskip(SKIP_2) | instid1(VALU_DEP_2)
	v_bitop3_b16 v219, v218, v0, 0xff bitop3:0xec
	v_sub_nc_u16 v0, v155, v92
	v_lshrrev_b32_e32 v155, 24, v3
	v_lshlrev_b16 v220, 8, v0
	v_ashrrev_i32_e32 v0, s20, v1
	s_delay_alu instid0(VALU_DEP_1) | instskip(SKIP_1) | instid1(VALU_DEP_2)
	v_and_b32_e32 v1, 0x3030303, v0
	v_bfe_u32 v0, v0, 24, 2
	v_lshrrev_b32_e32 v92, 16, v1
	s_delay_alu instid0(VALU_DEP_2)
	v_sub_nc_u16 v0, v0, v155
	v_lshrrev_b16 v2, 8, v1
	v_sub_nc_u16 v222, v1, v3
	v_add3_u32 v1, s23, v118, v119
	v_sub_nc_u16 v154, v92, v154
	v_lshlrev_b16 v0, 8, v0
	ds_load_b32 v92, v1
	v_bitop3_b16 v155, v154, v0, 0xff bitop3:0xec
	v_sub_nc_u16 v0, v2, v156
	ds_load_2addr_b32 v[2:3], v93 offset1:1
	v_lshlrev_b16 v156, 8, v0
	v_add_nc_u32_e32 v0, s22, v31
	ds_load_u16 v0, v0 offset:27378
	s_wait_dscnt 0x1
	v_dual_ashrrev_i32 v2, s18, v2 :: v_dual_ashrrev_i32 v3, s18, v3
	s_delay_alu instid0(VALU_DEP_1)
	v_lshlrev_b32_e32 v3, 2, v3
	s_wait_dscnt 0x0
	v_lshrrev_b16 v1, 8, v0
	v_bfe_i32 v226, v0, 0, 8
	v_add_nc_u32_e32 v0, 0x3180, v4
	v_and_b32_e32 v3, 0x4040404, v3
	s_delay_alu instid0(VALU_DEP_4) | instskip(SKIP_2) | instid1(VALU_DEP_1)
	v_bfe_i32 v95, v1, 0, 8
	ds_load_2addr_b32 v[0:1], v0 offset1:1
	v_lshlrev_b32_e32 v2, 2, v2
	v_and_b32_e32 v2, 0x4040404, v2
	s_delay_alu instid0(VALU_DEP_1) | instskip(SKIP_3) | instid1(VALU_DEP_1)
	v_dual_lshrrev_b32 v172, 16, v2 :: v_dual_lshrrev_b32 v174, 24, v2
	v_lshrrev_b16 v175, 8, v2
	s_wait_dscnt 0x0
	v_ashrrev_i32_e32 v0, s20, v0
	v_and_b32_e32 v5, 0x3030303, v0
	v_bfe_u32 v0, v0, 24, 2
	s_delay_alu instid0(VALU_DEP_2) | instskip(NEXT) | instid1(VALU_DEP_2)
	v_sub_nc_u16 v233, v5, v2
	v_sub_nc_u16 v231, v0, v174
	v_ashrrev_i32_e32 v0, s20, v1
	v_lshrrev_b32_e32 v6, 16, v5
	v_lshrrev_b16 v7, 8, v5
	s_delay_alu instid0(VALU_DEP_4) | instskip(NEXT) | instid1(VALU_DEP_4)
	v_bfe_i32 v231, v231, 0, 16
	v_bfe_u32 v1, v0, 24, 2
	v_and_b32_e32 v0, 0x3030303, v0
	v_sub_nc_u16 v232, v6, v172
	v_lshrrev_b32_e32 v6, 24, v3
	v_sub_nc_u16 v230, v7, v175
	s_delay_alu instid0(VALU_DEP_4)
	v_dual_lshrrev_b32 v7, 16, v3 :: v_dual_lshrrev_b32 v2, 16, v0
	v_lshrrev_b16 v5, 8, v0
	v_sub_nc_u16 v234, v0, v3
	v_add_nc_u32_e32 v0, 0x3188, v4
	v_sub_nc_u16 v237, v1, v6
	v_lshrrev_b16 v172, 8, v3
	v_sub_nc_u16 v236, v2, v7
	ds_load_2addr_b32 v[2:3], v93 offset0:2 offset1:3
	ds_load_2addr_b32 v[0:1], v0 offset1:1
	v_bfe_i32 v230, v230, 0, 16
	v_sub_nc_u16 v235, v5, v172
	v_bfe_i32 v204, v236, 0, 8
	v_bfe_i32 v234, v234, 0, 8
	s_wait_dscnt 0x0
	v_dual_ashrrev_i32 v2, s18, v2 :: v_dual_ashrrev_i32 v0, s20, v0
	s_delay_alu instid0(VALU_DEP_1) | instskip(NEXT) | instid1(VALU_DEP_2)
	v_dual_ashrrev_i32 v3, s18, v3 :: v_dual_lshlrev_b32 v2, 2, v2
	v_bfe_u32 v5, v0, 24, 2
	v_and_b32_e32 v0, 0x3030303, v0
	s_delay_alu instid0(VALU_DEP_3) | instskip(NEXT) | instid1(VALU_DEP_4)
	v_lshlrev_b32_e32 v3, 2, v3
	v_and_b32_e32 v2, 0x4040404, v2
	s_delay_alu instid0(VALU_DEP_3) | instskip(SKIP_1) | instid1(VALU_DEP_4)
	v_lshrrev_b32_e32 v6, 16, v0
	v_lshrrev_b16 v7, 8, v0
	v_and_b32_e32 v3, 0x4040404, v3
	s_delay_alu instid0(VALU_DEP_4) | instskip(SKIP_3) | instid1(VALU_DEP_3)
	v_sub_nc_u16 v238, v0, v2
	v_dual_ashrrev_i32 v0, s20, v1 :: v_dual_lshrrev_b32 v172, 24, v2
	v_lshrrev_b32_e32 v174, 16, v2
	v_lshrrev_b16 v175, 8, v2
	v_bfe_u32 v1, v0, 24, 2
	v_and_b32_e32 v0, 0x3030303, v0
	s_delay_alu instid0(VALU_DEP_4)
	v_sub_nc_u16 v240, v6, v174
	v_sub_nc_u16 v241, v5, v172
	v_lshrrev_b32_e32 v6, 24, v3
	v_sub_nc_u16 v239, v7, v175
	v_lshrrev_b32_e32 v2, 16, v0
	v_lshrrev_b16 v5, 8, v0
	v_sub_nc_u16 v242, v0, v3
	v_add_nc_u32_e32 v0, 0x3190, v4
	v_lshrrev_b32_e32 v7, 16, v3
	v_sub_nc_u16 v245, v1, v6
	v_lshrrev_b16 v172, 8, v3
	ds_load_2addr_b32 v[0:1], v0 offset1:1
	v_sub_nc_u16 v244, v2, v7
	ds_load_2addr_b32 v[2:3], v93 offset0:4 offset1:5
	v_sub_nc_u16 v243, v5, v172
	s_wait_dscnt 0x0
	v_dual_ashrrev_i32 v0, s20, v0 :: v_dual_ashrrev_i32 v2, s18, v2
	v_ashrrev_i32_e32 v3, s18, v3
	s_delay_alu instid0(VALU_DEP_2) | instskip(SKIP_1) | instid1(VALU_DEP_3)
	v_and_b32_e32 v5, 0x3030303, v0
	v_bfe_u32 v0, v0, 24, 2
	v_dual_lshlrev_b32 v2, 2, v2 :: v_dual_lshlrev_b32 v3, 2, v3
	s_delay_alu instid0(VALU_DEP_3) | instskip(SKIP_1) | instid1(VALU_DEP_3)
	v_lshrrev_b32_e32 v6, 16, v5
	v_lshrrev_b16 v7, 8, v5
	v_and_b32_e32 v2, 0x4040404, v2
	s_delay_alu instid0(VALU_DEP_4) | instskip(NEXT) | instid1(VALU_DEP_2)
	v_and_b32_e32 v3, 0x4040404, v3
	v_dual_lshrrev_b32 v172, 16, v2 :: v_dual_lshrrev_b32 v174, 24, v2
	v_lshrrev_b16 v175, 8, v2
	v_sub_nc_u16 v249, v5, v2
	s_delay_alu instid0(VALU_DEP_3) | instskip(NEXT) | instid1(VALU_DEP_4)
	v_sub_nc_u16 v248, v6, v172
	v_sub_nc_u16 v247, v0, v174
	v_dual_ashrrev_i32 v0, s20, v1 :: v_dual_lshrrev_b32 v6, 24, v3
	v_sub_nc_u16 v246, v7, v175
	v_lshrrev_b32_e32 v7, 16, v3
	v_lshrrev_b16 v172, 8, v3
	s_delay_alu instid0(VALU_DEP_4) | instskip(SKIP_1) | instid1(VALU_DEP_2)
	v_bfe_u32 v1, v0, 24, 2
	v_and_b32_e32 v0, 0x3030303, v0
	v_sub_nc_u16 v253, v1, v6
	s_delay_alu instid0(VALU_DEP_2) | instskip(SKIP_3) | instid1(VALU_DEP_4)
	v_lshrrev_b32_e32 v2, 16, v0
	v_lshrrev_b16 v5, 8, v0
	v_sub_nc_u16 v250, v0, v3
	v_add_nc_u32_e32 v0, 0x3198, v4
	v_sub_nc_u16 v252, v2, v7
	ds_load_2addr_b32 v[2:3], v93 offset0:6 offset1:7
	v_sub_nc_u16 v251, v5, v172
	ds_load_2addr_b32 v[0:1], v0 offset1:1
	s_wait_dscnt 0x1
	v_dual_ashrrev_i32 v2, s18, v2 :: v_dual_ashrrev_i32 v3, s18, v3
	s_wait_dscnt 0x0
	v_ashrrev_i32_e32 v0, s20, v0
	s_add_co_i32 s18, s18, 1
	s_cmp_lt_u32 s19, 30
	v_dual_lshlrev_b32 v2, 2, v2 :: v_dual_lshlrev_b32 v3, 2, v3
	s_delay_alu instid0(VALU_DEP_2) | instskip(SKIP_1) | instid1(VALU_DEP_3)
	v_bfe_u32 v4, v0, 24, 2
	v_and_b32_e32 v0, 0x3030303, v0
	v_and_b32_e32 v2, 0x4040404, v2
	s_delay_alu instid0(VALU_DEP_2) | instskip(SKIP_1) | instid1(VALU_DEP_3)
	v_lshrrev_b32_e32 v5, 16, v0
	v_lshrrev_b16 v6, 8, v0
	v_sub_nc_u16 v254, v0, v2
	v_dual_ashrrev_i32 v0, s20, v1 :: v_dual_lshrrev_b32 v7, 24, v2
	v_lshrrev_b32_e32 v93, 16, v2
	v_lshrrev_b16 v172, 8, v2
	s_delay_alu instid0(VALU_DEP_3)
	v_bfe_u32 v1, v0, 24, 2
	v_and_b32_e32 v0, 0x3030303, v0
	s_set_vgpr_msb 64                       ;  msbs: dst=1 src0=0 src1=0 src2=0
	v_sub_nc_u16 v0 /*v256*/, v5, v93
	s_set_vgpr_msb 0                        ;  msbs: dst=0 src0=0 src1=0 src2=0
	v_sub_nc_u16 v255, v6, v172
	v_add_nc_u32_e32 v172, s22, v29
	v_and_b32_e32 v3, 0x4040404, v3
	v_lshrrev_b32_e32 v2, 16, v0
	s_set_vgpr_msb 64                       ;  msbs: dst=1 src0=0 src1=0 src2=0
	v_sub_nc_u16 v1 /*v257*/, v4, v7
	s_set_vgpr_msb 0                        ;  msbs: dst=0 src0=0 src1=0 src2=0
	v_lshrrev_b16 v4, 8, v0
	s_mov_b32 s22, s19
	v_dual_lshrrev_b32 v5, 24, v3 :: v_dual_lshrrev_b32 v6, 16, v3
	v_lshrrev_b16 v7, 8, v3
	v_sub_nc_u16 v174, v0, v3
	v_add3_u32 v0, s23, v122, v123
	s_delay_alu instid0(VALU_DEP_4)
	v_sub_nc_u16 v177, v1, v5
	v_sub_nc_u16 v176, v2, v6
	;; [unrolled: 1-line block ×3, first 2 shown]
	ds_load_b32 v93, v0
	ds_load_b128 v[4:7], v89
	ds_load_b128 v[0:3], v89 offset:16
	v_or_b32_e32 v162, v163, v162
	v_perm_b32 v163, v193, v193, 0xc0c0c01
	v_or_b32_e32 v164, v165, v164
	v_perm_b32 v165, v207, v207, 0xc0c0c01
	v_bfe_i32 v193, v248, 0, 8
	ds_load_u16 v138, v138 offset:25330
	ds_load_u16 v149, v149 offset:26354
	s_wait_dscnt 0x3
	s_set_vgpr_msb 64                       ;  msbs: dst=1 src0=0 src1=0 src2=0
	v_lshrrev_b16 v2 /*v258*/, 8, v4
	v_bfe_i32 v8 /*v264*/, v4, 0, 8
	s_set_vgpr_msb 0                        ;  msbs: dst=0 src0=0 src1=0 src2=0
	v_perm_b32 v201, v4, v4, 0xc0c0302
	s_set_vgpr_msb 64                       ;  msbs: dst=1 src0=0 src1=0 src2=0
	v_lshrrev_b16 v3 /*v259*/, 8, v5
	v_bfe_i32 v9 /*v265*/, v5, 0, 8
	s_set_vgpr_msb 0x41                     ;  msbs: dst=1 src0=1 src1=0 src2=0
	v_bfe_i32 v2 /*v258*/, v2 /*v258*/, 0, 8
	s_set_vgpr_msb 1                        ;  msbs: dst=0 src0=1 src1=0 src2=0
	v_mul_i32_i24_e32 v223, v8 /*v264*/, v223
	s_set_vgpr_msb 64                       ;  msbs: dst=1 src0=0 src1=0 src2=0
	v_lshrrev_b16 v4 /*v260*/, 8, v6
	v_ashrrev_i32_e32 v6 /*v262*/, 24, v4
	v_bfe_i32 v7 /*v263*/, v4, 16, 8
	s_set_vgpr_msb 1                        ;  msbs: dst=0 src0=1 src1=0 src2=0
	v_mul_i32_i24_e32 v208, v2 /*v258*/, v208
	v_mad_i32_i24 v223, v2 /*v258*/, v224, v223
	s_set_vgpr_msb 0                        ;  msbs: dst=0 src0=0 src1=0 src2=0
	v_bfe_i32 v224, v232, 0, 8
	v_ashrrev_i32_e32 v232, 24, v5
	v_perm_b32 v203, v5, v5, 0xc030201
	s_set_vgpr_msb 1                        ;  msbs: dst=0 src0=1 src1=0 src2=0
	v_mul_i32_i24_e32 v194, v8 /*v264*/, v194
	s_set_vgpr_msb 0                        ;  msbs: dst=0 src0=0 src1=0 src2=0
	v_dot4_i32_iu8 v200, v201, v200, v223 neg_lo:[1,1,0]
	v_bfe_i32 v223, v233, 0, 8
	s_set_vgpr_msb 1                        ;  msbs: dst=0 src0=1 src1=0 src2=0
	v_bfe_i32 v233, v3 /*v259*/, 0, 8
	v_mad_i32_i24 v166, v8 /*v264*/, v166, v208
	s_set_vgpr_msb 0                        ;  msbs: dst=0 src0=0 src1=0 src2=0
	v_perm_b32 v4, v5, v4, 0x5040302
	s_set_vgpr_msb 1                        ;  msbs: dst=0 src0=1 src1=0 src2=0
	v_mad_i32_i24 v200, v9 /*v265*/, v225, v200
	s_set_vgpr_msb 0                        ;  msbs: dst=0 src0=0 src1=0 src2=0
	v_bfe_i32 v225, v235, 0, 16
	s_set_vgpr_msb 64                       ;  msbs: dst=1 src0=0 src1=0 src2=0
	v_bfe_i32 v3 /*v259*/, v5, 16, 8
	s_set_vgpr_msb 1                        ;  msbs: dst=0 src0=1 src1=0 src2=0
	v_mad_i32_i24 v191, v2 /*v258*/, v191, v194
	s_set_vgpr_msb 0                        ;  msbs: dst=0 src0=0 src1=0 src2=0
	v_perm_b32 v5, v6, v5, 0x5040302
	v_dot4_i32_iu8 v200, v203, v202, v200 neg_lo:[1,1,0]
	v_bfe_i32 v202, v237, 0, 16
	v_mul_i32_i24_e32 v225, v225, v233
	s_set_vgpr_msb 1                        ;  msbs: dst=0 src0=1 src1=0 src2=0
	v_bfe_i32 v233, v4 /*v260*/, 0, 8
	v_ashrrev_i32_e32 v167, 24, v7
	s_set_vgpr_msb 0                        ;  msbs: dst=0 src0=0 src1=0 src2=0
	v_dot4_i32_iu8 v4, v4, v162, v166 neg_lo:[1,1,0]
	v_perm_b32 v162, v192, v190, 0xc05000c
	v_mul_i32_i24_e32 v202, v202, v232
	v_ashrrev_i32_e32 v232, 24, v6
	v_bfe_i32 v235, v6, 0, 8
	v_dot4_i32_iu8 v186, v201, v186, v191 neg_lo:[1,1,0]
	v_or_b32_e32 v162, v162, v163
	v_mul_i32_i24_e32 v163, v233, v197
	s_wait_dscnt 0x2
	v_ashrrev_i32_e32 v197, 24, v1
	v_dot4_i32_iu8 v164, v5, v164, v4 neg_lo:[1,1,0]
	v_perm_b32 v5, v206, v205, 0xc05000c
	v_bfe_i32 v236, v6, 16, 8
	s_set_vgpr_msb 1                        ;  msbs: dst=0 src0=1 src1=0 src2=0
	v_mad_i32_i24 v186, v9 /*v265*/, v196, v186
	s_set_vgpr_msb 0                        ;  msbs: dst=0 src0=0 src1=0 src2=0
	v_mad_i32_i24 v4, v235, v199, v200
	v_perm_b32 v6, v6, v6, 0xc030201
	v_or_b32_e32 v5, v5, v165
	v_bfe_i32 v171, v7, 0, 8
	v_dot4_i32_iu8 v162, v203, v162, v186 neg_lo:[1,1,0]
	v_bfe_i32 v186, v212, 0, 8
	s_set_vgpr_msb 64                       ;  msbs: dst=1 src0=0 src1=0 src2=0
	v_lshrrev_b16 v5 /*v261*/, 8, v7
	s_set_vgpr_msb 0                        ;  msbs: dst=0 src0=0 src1=0 src2=0
	v_dot4_i32_iu8 v4, v6, v5, v4 neg_lo:[1,1,0]
	v_bfe_i32 v5, v241, 0, 16
	v_bfe_i32 v165, v239, 0, 16
	s_set_vgpr_msb 4                        ;  msbs: dst=0 src0=0 src1=1 src2=0
	v_mul_i32_i24_e32 v230, v230, v2 /*v258*/
	v_mul_i32_i24_e32 v234, v234, v9 /*v265*/
	s_set_vgpr_msb 0                        ;  msbs: dst=0 src0=0 src1=0 src2=0
	v_mad_i32_i24 v4, v171, v186, v4
	v_perm_b32 v186, v210, v209, 0xc05000c
	s_set_vgpr_msb 4                        ;  msbs: dst=0 src0=0 src1=1 src2=0
	v_mul_i32_i24_e32 v204, v204, v3 /*v259*/
	v_bfe_i32 v6, v240, 0, 8
	v_bfe_i32 v166, v238, 0, 8
	s_set_vgpr_msb 0                        ;  msbs: dst=0 src0=0 src1=0 src2=0
	v_mul_i32_i24_e32 v165, v165, v233
	v_or_b32_e32 v186, v186, v187
	v_perm_b32 v187, v7, v7, 0xc030201
	v_mul_i32_i24_e32 v5, v5, v232
	s_set_vgpr_msb 1                        ;  msbs: dst=0 src0=1 src1=0 src2=0
	v_bfe_i32 v168, v5 /*v261*/, 0, 8
	s_set_vgpr_msb 0                        ;  msbs: dst=0 src0=0 src1=0 src2=0
	v_bfe_i32 v170, v7, 16, 8
	v_bfe_i32 v190, v244, 0, 8
	v_dot4_i32_iu8 v4, v187, v186, v4 neg_lo:[1,1,0]
	v_bfe_i32 v186, v245, 0, 16
	v_bfe_i32 v191, v243, 0, 16
	;; [unrolled: 1-line block ×3, first 2 shown]
	v_mul_i32_i24_e32 v166, v166, v235
	v_mul_i32_i24_e32 v6, v6, v236
	v_mul_i32_i24_e32 v167, v186, v167
	s_set_vgpr_msb 4                        ;  msbs: dst=0 src0=0 src1=1 src2=0
	v_mad_i32_i24 v186, v231, v6 /*v262*/, v202
	s_set_vgpr_msb 0                        ;  msbs: dst=0 src0=0 src1=0 src2=0
	v_mul_i32_i24_e32 v192, v192, v171
	v_mul_i32_i24_e32 v168, v191, v168
	;; [unrolled: 1-line block ×3, first 2 shown]
	s_set_vgpr_msb 4                        ;  msbs: dst=0 src0=0 src1=1 src2=0
	v_mad_i32_i24 v190, v224, v7 /*v263*/, v204
	v_mad_i32_i24 v191, v223, v8 /*v264*/, v234
	s_set_vgpr_msb 0                        ;  msbs: dst=0 src0=0 src1=0 src2=0
	v_add3_u32 v165, v230, v225, v165
	v_add3_u32 v5, v186, v5, v167
	v_bfe_i32 v186, v0, 0, 8
	v_add3_u32 v6, v190, v6, v170
	v_add3_u32 v166, v191, v166, v192
	v_bfe_i32 v205, v157, 8, 8
	v_add3_u32 v5, v165, v168, v5
	v_mul_i32_i24_e32 v190, v186, v227
	v_lshrrev_b16 v165, 8, v1
	v_perm_b32 v191, v214, v213, 0xc0c0500
	v_perm_b32 v192, v0, v0, 0xc0c0302
	v_add3_u32 v5, v166, v6, v5
	v_lshrrev_b16 v6, 8, v0
	v_bfe_i32 v196, v246, 0, 16
	v_bfe_i32 v157, v157, 0, 8
	v_mul_i32_i24_e32 v184, v186, v184
	v_pk_mul_lo_u16 v173, v173, v236 op_sel_hi:[1,0]
	v_bfe_i32 v6, v6, 0, 8
	v_ashrrev_i32_e32 v168, 24, v0
	v_bfe_i32 v170, v0, 16, 8
	v_bfe_i32 v165, v165, 0, 8
	;; [unrolled: 1-line block ×3, first 2 shown]
	v_mad_i32_i24 v190, v6, v228, v190
	v_mul_i32_i24_e32 v205, v6, v205
	v_mul_i32_i24_e32 v196, v196, v6
	v_perm_b32 v200, v216, v215, 0xc05000c
	v_perm_b32 v201, v217, v217, 0xc0c0c01
	v_dot4_i32_iu8 v190, v192, v191, v190 neg_lo:[1,1,0]
	v_bfe_i32 v203, v251, 0, 16
	v_mad_i32_i24 v157, v186, v157, v205
	v_mad_i32_i24 v6, v6, v181, v184
	v_or_b32_e32 v150, v151, v150
	v_perm_b32 v0, v1, v0, 0x5040302
	v_mad_i32_i24 v190, v199, v229, v190
	v_or_b32_e32 v200, v200, v201
	v_perm_b32 v201, v1, v1, 0xc030201
	v_mul_i32_i24_e32 v165, v203, v165
	v_bfe_i32 v203, v2, 16, 8
	v_dot4_i32_iu8 v6, v192, v178, v6 neg_lo:[1,1,0]
	v_perm_b32 v151, v183, v183, 0xc0c0c01
	v_mul_i32_i24_e32 v128, v232, v128
	v_bfe_i32 v178, v173, 0, 16
	v_ashrrev_i32_e32 v173, 16, v173
	v_dot4_i32_iu8 v0, v0, v150, v157 neg_lo:[1,1,0]
	v_perm_b32 v150, v182, v180, 0xc05000c
	v_mad_i32_i24 v162, v235, v198, v162
	v_lshrrev_b16 v166, 8, v2
	v_bfe_i32 v198, v1, 16, 8
	v_bfe_i32 v202, v252, 0, 8
	v_pk_mul_lo_u16 v169, v169, v203 op_sel_hi:[1,0]
	v_mad_i32_i24 v6, v199, v185, v6
	v_or_b32_e32 v150, v150, v151
	v_perm_b32 v151, v153, v152, 0xc0c0500
	v_perm_b32 v152, v161, v160, 0x5000c0c
	v_ashrrev_i32_e32 v157, 24, v3
	v_dot4_i32_iu8 v190, v201, v200, v190 neg_lo:[1,1,0]
	v_bfe_i32 v200, v253, 0, 16
	v_add3_u32 v128, v164, v178, v128
	v_mul_i32_i24_e32 v198, v202, v198
	v_bfe_i32 v166, v166, 0, 8
	v_bfe_i32 v202, v2, 0, 8
	v_mul_i32_i24_e32 v197, v200, v197
	v_dual_ashrrev_i32 v200, 24, v2 :: v_dual_bitop2_b32 v151, v152, v151 bitop3:0x54
	v_perm_b32 v1, v2, v1, 0x5040302
	v_dot4_i32_iu8 v7, v7, v129, v128 neg_lo:[1,1,0]
	v_perm_b32 v128, v141, v140, 0xc05000c
	v_perm_b32 v129, v142, v142, 0xc0c0c01
	v_ashrrev_i32_e32 v132, 16, v169
	v_dot4_i32_iu8 v6, v201, v150, v6 neg_lo:[1,1,0]
	v_mul_i32_i24_e32 v150, v166, v188
	v_bfe_i32 v160, v3, 0, 8
	v_or_b32_e32 v128, v128, v129
	v_bfe_i32 v129, v144, 8, 8
	v_bfe_i32 v131, v169, 0, 16
	v_perm_b32 v152, v220, v220, 0xc0c0c01
	v_perm_b32 v2, v2, v2, 0xc030201
	v_lshrrev_b16 v167, 8, v3
	v_bfe_i32 v159, v3, 16, 8
	v_bfe_i32 v161, v222, 0, 8
	v_bfe_i32 v194, v247, 0, 16
	v_bfe_i32 v204, v250, 0, 8
	v_bfe_i32 v191, v249, 0, 8
	v_bfe_i32 v153, v254, 0, 8
	v_bfe_i32 v158, v167, 0, 8
	v_mad_i32_i24 v133, v193, v170, v198
	v_mul_i32_i24_e32 v204, v204, v199
	v_mul_i32_i24_e32 v139, v232, v139
	;; [unrolled: 1-line block ×3, first 2 shown]
	v_add3_u32 v162, v162, v163, v173
	v_mul_i32_i24_e32 v143, v171, v143
	v_mul_lo_u32 v4, v4, v226
	v_mad_i32_i24 v6, v202, v189, v6
	v_dot4_i32_iu8 v0, v1, v151, v0 neg_lo:[1,1,0]
	v_mul_i32_i24_e32 v130, v200, v130
	v_mul_i32_i24_e32 v129, v200, v129
	v_perm_b32 v151, v219, v218, 0xc05000c
	v_mad_i32_i24 v1, v202, v195, v190
	v_add3_u32 v139, v162, v139, v143
	v_add3_u32 v6, v6, v150, v132
	;; [unrolled: 1-line block ×3, first 2 shown]
	v_mul_i32_i24_e32 v130, v160, v148
	v_or_b32_e32 v151, v151, v152
	v_bfe_i32 v152, v255, 0, 16
	v_bfe_i32 v131, v174, 0, 8
	v_mad_i32_i24 v132, v194, v168, v197
	v_dot4_i32_iu8 v128, v187, v128, v139 neg_lo:[1,1,0]
	v_add3_u32 v6, v6, v129, v130
	v_perm_b32 v129, v137, v136, 0xc0c0500
	v_perm_b32 v130, v135, v134, 0x5000c0c
	v_dot4_i32_iu8 v1, v2, v151, v1 neg_lo:[1,1,0]
	s_set_vgpr_msb 1                        ;  msbs: dst=0 src0=1 src1=0 src2=0
	v_bfe_i32 v2, v1 /*v257*/, 0, 16
	v_bfe_i32 v151, v0 /*v256*/, 0, 8
	s_set_vgpr_msb 0                        ;  msbs: dst=0 src0=0 src1=0 src2=0
	v_mul_i32_i24_e32 v152, v152, v166
	v_mul_i32_i24_e32 v131, v131, v160
	v_mad_i32_i24 v134, v191, v186, v204
	v_or_b32_e32 v129, v130, v129
	v_perm_b32 v130, v147, v147, 0xc0c0c01
	v_mul_i32_i24_e32 v2, v2, v200
	v_mul_i32_i24_e32 v151, v151, v203
	v_add3_u32 v135, v196, v165, v152
	v_add3_u32 v131, v134, v153, v131
	v_dot4_i32_iu8 v129, v3, v129, v0 neg_lo:[1,1,0]
	v_perm_b32 v0, v146, v145, 0xc05000c
	v_perm_b32 v3, v3, v3, 0xc030201
	s_delay_alu instid0(VALU_DEP_2) | instskip(SKIP_1) | instid1(VALU_DEP_2)
	v_or_b32_e32 v0, v0, v130
	v_perm_b32 v130, v156, v156, 0xc0c0c01
	v_dot4_i32_iu8 v6, v3, v0, v6 neg_lo:[1,1,0]
	v_mad_i32_i24 v0, v160, v161, v1
	v_perm_b32 v1, v155, v154, 0xc05000c
	s_delay_alu instid0(VALU_DEP_1) | instskip(NEXT) | instid1(VALU_DEP_1)
	v_or_b32_e32 v1, v1, v130
	v_dot4_i32_iu8 v130, v3, v1, v0 neg_lo:[1,1,0]
	v_bfe_i32 v0, v177, 0, 16
	v_bfe_i32 v1, v176, 0, 8
	v_bfe_i32 v3, v175, 0, 16
	s_delay_alu instid0(VALU_DEP_3) | instskip(NEXT) | instid1(VALU_DEP_3)
	v_mul_i32_i24_e32 v0, v0, v157
	v_mul_i32_i24_e32 v1, v1, v159
	s_delay_alu instid0(VALU_DEP_3) | instskip(NEXT) | instid1(VALU_DEP_3)
	v_mul_i32_i24_e32 v3, v3, v158
	v_add3_u32 v0, v132, v2, v0
	s_delay_alu instid0(VALU_DEP_3) | instskip(NEXT) | instid1(VALU_DEP_2)
	v_add3_u32 v1, v133, v151, v1
	v_add3_u32 v0, v135, v3, v0
	v_pk_mul_f32 v[2:3], v[88:89], v[92:93] op_sel_hi:[0,1]
	s_delay_alu instid0(VALU_DEP_2)
	v_add3_u32 v131, v131, v1, v0
	ds_load_u16 v0, v172 offset:28402
	s_wait_dscnt 0x2
	v_lshrrev_b16 v166, 8, v138
	s_wait_dscnt 0x1
	v_lshrrev_b16 v167, 8, v149
	v_bfe_i32 v149, v149, 0, 8
	v_bfe_i32 v138, v138, 0, 8
	;; [unrolled: 1-line block ×3, first 2 shown]
	s_delay_alu instid0(VALU_DEP_4) | instskip(NEXT) | instid1(VALU_DEP_4)
	v_bfe_i32 v167, v167, 0, 8
	v_mul_lo_u32 v128, v128, v149
	s_delay_alu instid0(VALU_DEP_4) | instskip(NEXT) | instid1(VALU_DEP_2)
	v_mul_lo_u32 v7, v7, v138
	v_mad_u32 v6, v6, v167, v128
	s_delay_alu instid0(VALU_DEP_2) | instskip(SKIP_3) | instid1(VALU_DEP_2)
	v_mad_u32 v7, v129, v166, v7
	s_wait_dscnt 0x0
	v_lshrrev_b16 v1, 8, v0
	v_bfe_i32 v0, v0, 0, 8
	v_bfe_i32 v132, v1, 0, 8
	s_delay_alu instid0(VALU_DEP_2)
	v_mul_lo_u32 v5, v5, v0
	v_pk_mul_f32 v[0:1], v[88:89], v[90:91] op_sel_hi:[0,1]
	v_mad_u32 v88, v130, v95, v4
	v_add_nc_u32_e32 v89, 32, v89
	v_cvt_f32_i32_e32 v4, v7
	v_mad_u32 v90, v131, v132, v5
	v_cvt_f32_i32_e32 v5, v6
	v_cvt_f32_i32_e32 v6, v88
	s_delay_alu instid0(VALU_DEP_2) | instskip(NEXT) | instid1(VALU_DEP_4)
	v_pk_fma_f32 v[20:21], v[0:1], v[4:5], v[20:21]
	v_cvt_f32_i32_e32 v7, v90
	s_delay_alu instid0(VALU_DEP_1)
	v_pk_fma_f32 v[18:19], v[2:3], v[6:7], v[18:19]
	s_cbranch_scc1 .LBB210_35
; %bb.36:                               ;   in Loop: Header=BB210_5 Depth=1
	s_barrier_signal -1
	s_barrier_wait -1
	s_branch .LBB210_4
.LBB210_37:
	v_mov_b32_e32 v20, 0
	s_delay_alu instid0(VALU_DEP_1)
	v_dual_mov_b32 v21, v20 :: v_dual_mov_b32 v18, v20
	v_mov_b32_e32 v19, v20
.LBB210_38:
	s_mul_i32 s0, s10, s7
	s_wait_loadcnt 0x0
	v_cmp_gt_i32_e32 vcc_lo, s0, v9
	s_and_saveexec_b32 s0, vcc_lo
	s_cbranch_execz .LBB210_47
; %bb.39:
	v_mul_lo_u32 v0, v9, s9
	v_add_nc_u32_e32 v1, s11, v13
	s_mov_b32 s0, exec_lo
	s_delay_alu instid0(VALU_DEP_1)
	v_cmpx_gt_u32_e64 s9, v1
	s_cbranch_execz .LBB210_41
; %bb.40:
	s_delay_alu instid0(VALU_DEP_3)
	v_add_nc_u32_e32 v2, v0, v1
	v_cvt_f16_f32_e32 v3, v20
	global_store_b16 v2, v3, s[12:13] scale_offset
.LBB210_41:
	s_wait_xcnt 0x0
	s_or_b32 exec_lo, exec_lo, s0
	v_add_nc_u32_e32 v2, 32, v1
	s_mov_b32 s0, exec_lo
	s_delay_alu instid0(VALU_DEP_1)
	v_cmpx_gt_u32_e64 s9, v2
	s_cbranch_execz .LBB210_43
; %bb.42:
	v_add_nc_u32_e32 v2, v0, v2
	v_cvt_f16_f32_e32 v3, v21
	global_store_b16 v2, v3, s[12:13] scale_offset
.LBB210_43:
	s_wait_xcnt 0x0
	s_or_b32 exec_lo, exec_lo, s0
	v_add_nc_u32_e32 v2, 64, v1
	s_mov_b32 s0, exec_lo
	s_delay_alu instid0(VALU_DEP_1)
	v_cmpx_gt_u32_e64 s9, v2
	s_cbranch_execz .LBB210_45
; %bb.44:
	v_add_nc_u32_e32 v2, v0, v2
	v_cvt_f16_f32_e32 v3, v18
	global_store_b16 v2, v3, s[12:13] scale_offset
.LBB210_45:
	s_wait_xcnt 0x0
	s_or_b32 exec_lo, exec_lo, s0
	v_add_nc_u32_e32 v1, 0x60, v1
	s_delay_alu instid0(VALU_DEP_1)
	v_cmp_gt_u32_e32 vcc_lo, s9, v1
	s_and_b32 exec_lo, exec_lo, vcc_lo
	s_cbranch_execz .LBB210_47
; %bb.46:
	v_add_nc_u32_e32 v0, v0, v1
	v_cvt_f16_f32_e32 v1, v19
	global_store_b16 v0, v1, s[12:13] scale_offset
.LBB210_47:
	s_sendmsg sendmsg(MSG_DEALLOC_VGPRS)
	s_endpgm
	.section	.rodata,"a",@progbits
	.p2align	6, 0x0
	.amdhsa_kernel _ZL8moe_q3_KIN3c104HalfELb1EEvPKvS3_PT_PKiS7_S7_iiiiiii
		.amdhsa_group_segment_fixed_size 31776
		.amdhsa_private_segment_fixed_size 0
		.amdhsa_kernarg_size 76
		.amdhsa_user_sgpr_count 2
		.amdhsa_user_sgpr_dispatch_ptr 0
		.amdhsa_user_sgpr_queue_ptr 0
		.amdhsa_user_sgpr_kernarg_segment_ptr 1
		.amdhsa_user_sgpr_dispatch_id 0
		.amdhsa_user_sgpr_kernarg_preload_length 0
		.amdhsa_user_sgpr_kernarg_preload_offset 0
		.amdhsa_user_sgpr_private_segment_size 0
		.amdhsa_wavefront_size32 1
		.amdhsa_uses_dynamic_stack 0
		.amdhsa_enable_private_segment 0
		.amdhsa_system_sgpr_workgroup_id_x 1
		.amdhsa_system_sgpr_workgroup_id_y 1
		.amdhsa_system_sgpr_workgroup_id_z 0
		.amdhsa_system_sgpr_workgroup_info 0
		.amdhsa_system_vgpr_workitem_id 1
		.amdhsa_next_free_vgpr 326
		.amdhsa_next_free_sgpr 27
		.amdhsa_named_barrier_count 0
		.amdhsa_reserve_vcc 1
		.amdhsa_float_round_mode_32 0
		.amdhsa_float_round_mode_16_64 0
		.amdhsa_float_denorm_mode_32 3
		.amdhsa_float_denorm_mode_16_64 3
		.amdhsa_fp16_overflow 0
		.amdhsa_memory_ordered 1
		.amdhsa_forward_progress 1
		.amdhsa_inst_pref_size 255
		.amdhsa_round_robin_scheduling 0
		.amdhsa_exception_fp_ieee_invalid_op 0
		.amdhsa_exception_fp_denorm_src 0
		.amdhsa_exception_fp_ieee_div_zero 0
		.amdhsa_exception_fp_ieee_overflow 0
		.amdhsa_exception_fp_ieee_underflow 0
		.amdhsa_exception_fp_ieee_inexact 0
		.amdhsa_exception_int_div_zero 0
	.end_amdhsa_kernel
	.section	.text._ZL8moe_q3_KIN3c104HalfELb1EEvPKvS3_PT_PKiS7_S7_iiiiiii,"axG",@progbits,_ZL8moe_q3_KIN3c104HalfELb1EEvPKvS3_PT_PKiS7_S7_iiiiiii,comdat
.Lfunc_end210:
	.size	_ZL8moe_q3_KIN3c104HalfELb1EEvPKvS3_PT_PKiS7_S7_iiiiiii, .Lfunc_end210-_ZL8moe_q3_KIN3c104HalfELb1EEvPKvS3_PT_PKiS7_S7_iiiiiii
                                        ; -- End function
	.set _ZL8moe_q3_KIN3c104HalfELb1EEvPKvS3_PT_PKiS7_S7_iiiiiii.num_vgpr, 326
	.set _ZL8moe_q3_KIN3c104HalfELb1EEvPKvS3_PT_PKiS7_S7_iiiiiii.num_agpr, 0
	.set _ZL8moe_q3_KIN3c104HalfELb1EEvPKvS3_PT_PKiS7_S7_iiiiiii.numbered_sgpr, 27
	.set _ZL8moe_q3_KIN3c104HalfELb1EEvPKvS3_PT_PKiS7_S7_iiiiiii.num_named_barrier, 0
	.set _ZL8moe_q3_KIN3c104HalfELb1EEvPKvS3_PT_PKiS7_S7_iiiiiii.private_seg_size, 0
	.set _ZL8moe_q3_KIN3c104HalfELb1EEvPKvS3_PT_PKiS7_S7_iiiiiii.uses_vcc, 1
	.set _ZL8moe_q3_KIN3c104HalfELb1EEvPKvS3_PT_PKiS7_S7_iiiiiii.uses_flat_scratch, 0
	.set _ZL8moe_q3_KIN3c104HalfELb1EEvPKvS3_PT_PKiS7_S7_iiiiiii.has_dyn_sized_stack, 0
	.set _ZL8moe_q3_KIN3c104HalfELb1EEvPKvS3_PT_PKiS7_S7_iiiiiii.has_recursion, 0
	.set _ZL8moe_q3_KIN3c104HalfELb1EEvPKvS3_PT_PKiS7_S7_iiiiiii.has_indirect_call, 0
	.section	.AMDGPU.csdata,"",@progbits
; Kernel info:
; codeLenInByte = 37724
; TotalNumSgprs: 29
; NumVgprs: 326
; ScratchSize: 0
; MemoryBound: 0
; FloatMode: 240
; IeeeMode: 1
; LDSByteSize: 31776 bytes/workgroup (compile time only)
; SGPRBlocks: 0
; VGPRBlocks: 20
; NumSGPRsForWavesPerEU: 29
; NumVGPRsForWavesPerEU: 326
; NamedBarCnt: 0
; Occupancy: 3
; WaveLimiterHint : 1
; COMPUTE_PGM_RSRC2:SCRATCH_EN: 0
; COMPUTE_PGM_RSRC2:USER_SGPR: 2
; COMPUTE_PGM_RSRC2:TRAP_HANDLER: 0
; COMPUTE_PGM_RSRC2:TGID_X_EN: 1
; COMPUTE_PGM_RSRC2:TGID_Y_EN: 1
; COMPUTE_PGM_RSRC2:TGID_Z_EN: 0
; COMPUTE_PGM_RSRC2:TIDIG_COMP_CNT: 1
	.section	.text._ZL8moe_q4_KIN3c104HalfELb0EEvPKvS3_PT_PKiS7_S7_iiiiiii,"axG",@progbits,_ZL8moe_q4_KIN3c104HalfELb0EEvPKvS3_PT_PKiS7_S7_iiiiiii,comdat
	.globl	_ZL8moe_q4_KIN3c104HalfELb0EEvPKvS3_PT_PKiS7_S7_iiiiiii ; -- Begin function _ZL8moe_q4_KIN3c104HalfELb0EEvPKvS3_PT_PKiS7_S7_iiiiiii
	.p2align	8
	.type	_ZL8moe_q4_KIN3c104HalfELb0EEvPKvS3_PT_PKiS7_S7_iiiiiii,@function
_ZL8moe_q4_KIN3c104HalfELb0EEvPKvS3_PT_PKiS7_S7_iiiiiii: ; @_ZL8moe_q4_KIN3c104HalfELb0EEvPKvS3_PT_PKiS7_S7_iiiiiii
; %bb.0:
	s_load_b128 s[4:7], s[0:1], 0x18
	s_bfe_u32 s2, ttmp6, 0x40010
	s_bfe_u32 s8, ttmp6, 0x40004
	s_add_co_i32 s2, s2, 1
	s_delay_alu instid0(SALU_CYCLE_1)
	s_mul_i32 s3, ttmp7, s2
	s_getreg_b32 s2, hwreg(HW_REG_IB_STS2, 6, 4)
	s_add_co_i32 s8, s8, s3
	s_cmp_eq_u32 s2, 0
	s_cselect_b32 s3, ttmp7, s8
	s_wait_kmcnt 0x0
	s_load_b32 s12, s[6:7], s3 offset:0x0 scale_offset
	s_wait_kmcnt 0x0
	s_cmp_gt_u32 s12, 0xff
	s_cbranch_scc1 .LBB211_31
; %bb.1:
	s_load_b64 s[6:7], s[0:1], 0x28
	s_lshl_b32 s3, s3, 3
	s_wait_kmcnt 0x0
	s_load_b32 s6, s[6:7], 0x0
	s_wait_kmcnt 0x0
	s_cmp_gt_u32 s3, s6
	s_cbranch_scc1 .LBB211_31
; %bb.2:
	v_bfe_u32 v1, v0, 10, 10
	s_and_b32 s13, ttmp6, 15
	v_and_b32_e32 v17, 0x3ff, v0
	s_delay_alu instid0(VALU_DEP_2) | instskip(SKIP_1) | instid1(SALU_CYCLE_1)
	v_add_nc_u32_e32 v2, s3, v1
	s_bfe_u32 s3, ttmp6, 0x4000c
	s_add_co_i32 s3, s3, 1
	s_delay_alu instid0(SALU_CYCLE_1)
	s_mul_i32 s3, ttmp9, s3
	global_load_b32 v13, v2, s[4:5] scale_offset
	s_clause 0x2
	s_load_b64 s[10:11], s[0:1], 0x30
	s_load_b64 s[8:9], s[0:1], 0x10
	s_load_b128 s[4:7], s[0:1], 0x3c
	s_add_co_i32 s13, s13, s3
	s_cmp_eq_u32 s2, 0
	s_cselect_b32 s2, ttmp9, s13
	s_mov_b32 s13, 0
	s_lshl_b32 s18, s2, 7
	s_wait_kmcnt 0x0
	s_cmp_lt_i32 s11, 0x100
	s_cbranch_scc1 .LBB211_21
; %bb.3:
	s_load_b128 s[0:3], s[0:1], 0x0
	s_mul_i32 s16, s12, s10
	v_lshlrev_b32_e32 v33, 5, v1
	s_ashr_i32 s17, s16, 31
	v_dual_mov_b32 v15, 0 :: v_dual_lshlrev_b32 v3, 2, v17
	v_bfe_u32 v7, v0, 2, 8
	s_delay_alu instid0(VALU_DEP_3)
	v_add_nc_u32_e32 v2, v33, v17
	s_ashr_i32 s14, s11, 31
	s_ashr_i32 s15, s5, 31
	s_lshr_b32 s10, s14, 24
	s_lshr_b32 s12, s15, 27
	v_lshrrev_b32_e32 v4, 3, v2
	v_and_b32_e32 v8, 0x7f, v2
	s_add_co_i32 s10, s11, s10
	v_lshl_add_u32 v89, v1, 7, 0x4a40
	s_add_co_i32 s12, s5, s12
	v_and_b32_e32 v2, 12, v4
	v_lshlrev_b32_e32 v4, 2, v8
	s_ashr_i32 s5, s10, 8
	s_wait_kmcnt 0x0
	s_add_nc_u64 s[16:17], s[0:1], s[16:17]
	s_abs_i32 s1, s7
	s_ashr_i32 s10, s12, 5
	s_cvt_f32_u32 s0, s1
	v_add3_u32 v59, v4, v2, 0x4e40
	v_lshlrev_b32_e32 v4, 3, v1
	s_sub_co_i32 s22, 0, s1
	v_rcp_iflag_f32_e32 v5, s0
	s_lshl_b32 s12, s5, 3
	v_bfe_u32 v12, v0, 5, 5
	v_add_nc_u32_e32 v10, v7, v4
	v_add_nc_u16 v4, v7, v4
	s_wait_loadcnt 0x0
	v_dual_sub_nc_u32 v6, 0, v13 :: v_dual_bitop2_b32 v7, 4, v3 bitop3:0x40
	v_readfirstlane_b32 s0, v5
	v_and_b32_e32 v5, 3, v0
	v_bitop3_b32 v58, v10, 64, 0x7f bitop3:0x6c
	v_and_b32_e32 v10, 0x7f, v10
	v_lshrrev_b16 v4, 1, v4
	s_mul_f32 s0, s0, 0x4f7ffffe
	v_add_nc_u32_e32 v2, 0xfe, v5
	v_cmp_gt_u32_e32 vcc_lo, 2, v5
	v_dual_lshlrev_b32 v20, 2, v5 :: v_dual_lshrrev_b32 v21, 1, v58
	s_cvt_u32_f32 s0, s0
	s_delay_alu instid0(VALU_DEP_3)
	v_and_b32_e32 v2, 0xff, v2
	v_max_i32_e32 v6, v13, v6
	v_mad_i32_i24 v18, s5, v1, s12
	s_mul_i32 s22, s22, s0
	v_mad_u32_u24 v19, 0x84, v1, v3
	s_mul_hi_u32 s22, s0, s22
	v_cndmask_b32_e32 v9, v2, v5, vcc_lo
	s_add_co_i32 s0, s0, s22
	v_cmp_ne_u32_e32 vcc_lo, 0, v5
	v_mul_hi_u32 v11, v6, s0
	s_delay_alu instid0(VALU_DEP_3)
	v_dual_lshlrev_b32 v63, 1, v9 :: v_dual_bitop2_b32 v23, 60, v4 bitop3:0x40
	v_mul_i32_i24_e32 v16, s5, v1
	v_add_co_ci_u32_e64 v2, null, 0, v9, vcc_lo
	v_cmp_lt_u32_e32 vcc_lo, 1, v5
	v_lshl_or_b32 v5, v10, 4, v20
	v_lshl_or_b32 v20, v58, 4, v20
	v_lshlrev_b32_e32 v1, 4, v1
	v_bfe_u32 v91, v0, 3, 7
	v_mul_lo_u32 v22, v11, s1
	v_and_b32_e32 v21, 60, v21
	v_add3_u32 v65, v5, v23, 0x4200
	v_cndmask_b32_e32 v61, 0, v7, vcc_lo
	v_cndmask_b32_e64 v4, 0, 1, vcc_lo
	v_add_nc_u32_e32 v7, 1, v11
	v_add_nc_u32_e32 v9, 0x5050, v3
	s_mul_i32 s14, s5, s18
	s_movk_i32 s19, 0x1080
	s_movk_i32 s20, 0x2100
	;; [unrolled: 1-line block ×3, first 2 shown]
	v_sub_nc_u32_e32 v5, v6, v22
	v_add3_u32 v88, v20, v21, 0x4200
	v_and_b32_e32 v20, 31, v0
	v_dual_lshlrev_b32 v0, 2, v12 :: v_dual_bitop2_b32 v6, 28, v3 bitop3:0x40
	s_delay_alu instid0(VALU_DEP_4) | instskip(SKIP_1) | instid1(VALU_DEP_4)
	v_subrev_nc_u32_e32 v21, s1, v5
	v_cmp_le_u32_e32 vcc_lo, s1, v5
	v_lshl_add_u32 v90, v20, 2, v89
	v_xor_b32_e32 v22, s7, v13
	v_add3_u32 v93, v0, v3, 0x4e40
	v_cmp_gt_u32_e64 s0, 4, v17
	v_dual_cndmask_b32 v11, v11, v7, vcc_lo :: v_dual_cndmask_b32 v5, v5, v21, vcc_lo
	v_mov_b32_e32 v7, v15
	s_ashr_i32 s15, s14, 31
	v_and_b32_e32 v14, 0x7c, v3
	s_delay_alu instid0(VALU_DEP_3)
	v_add_nc_u32_e32 v21, 1, v11
	v_cmp_le_u32_e32 vcc_lo, s1, v5
	v_ashrrev_i32_e32 v20, 31, v22
	v_add_nc_u32_e32 v24, s12, v18
	v_add_nc_u32_e32 v22, 0x60, v17
	v_add_nc_u64_e32 v[36:37], s[2:3], v[6:7]
	v_cndmask_b32_e32 v5, v11, v21, vcc_lo
	v_dual_add_nc_u32 v11, 32, v17 :: v_dual_add_nc_u32 v21, 64, v17
	s_delay_alu instid0(VALU_DEP_4) | instskip(NEXT) | instid1(VALU_DEP_2)
	v_dual_add_nc_u32 v26, s12, v24 :: v_dual_lshrrev_b32 v23, 3, v22
	v_dual_lshrrev_b32 v92, 3, v11 :: v_dual_bitop2_b32 v5, v5, v20 bitop3:0x14
	s_delay_alu instid0(VALU_DEP_2) | instskip(SKIP_1) | instid1(VALU_DEP_3)
	v_dual_lshlrev_b32 v11, 2, v11 :: v_dual_add_nc_u32 v28, s12, v26
	v_add_nc_u32_e32 v25, 0x420, v19
	v_dual_sub_nc_u32 v0, v5, v20 :: v_dual_lshrrev_b32 v5, 3, v21
	s_delay_alu instid0(VALU_DEP_4) | instskip(NEXT) | instid1(VALU_DEP_4)
	v_and_b32_e32 v20, 60, v92
	v_dual_add_nc_u32 v32, s12, v28 :: v_dual_lshlrev_b32 v50, 2, v21
	s_delay_alu instid0(VALU_DEP_3) | instskip(NEXT) | instid1(VALU_DEP_4)
	v_mul_lo_u32 v30, v0, s10
	v_and_b32_e32 v31, 60, v5
	s_delay_alu instid0(VALU_DEP_4)
	v_add3_u32 v94, v3, v20, 0x4e40
	v_and_b32_e32 v20, 60, v23
	v_cmp_gt_i32_e64 s1, s4, v0
	v_dual_lshlrev_b32 v102, 2, v11 :: v_dual_lshlrev_b32 v103, 2, v50
	v_add3_u32 v95, v3, v31, 0x4e40
	v_dual_mov_b32 v23, v15 :: v_dual_lshlrev_b32 v98, 2, v23
	v_dual_add_nc_u32 v34, s12, v32 :: v_dual_lshlrev_b32 v0, 2, v22
	v_dual_ashrrev_i32 v31, 31, v30 :: v_dual_lshlrev_b32 v99, 2, v5
	v_add_nc_u32_e32 v27, 0x840, v19
	s_delay_alu instid0(VALU_DEP_3)
	v_add_nc_u32_e32 v38, s12, v34
	v_add_nc_u32_e32 v29, 0xc60, v19
	v_add_nc_u32_e32 v100, v9, v1
	v_add_nc_u32_e32 v35, 0x1080, v19
	v_add_nc_u32_e32 v39, 0x14a0, v19
	v_add_nc_u32_e32 v40, s12, v38
	v_add_nc_u32_e32 v41, 0x18c0, v19
	v_mov_b32_e32 v21, v15
	v_add_nc_u32_e32 v43, 0x1ce0, v19
	v_add_nc_u32_e32 v49, 0x2100, v19
	;; [unrolled: 1-line block ×3, first 2 shown]
	v_lshlrev_b32_e32 v46, 2, v4
	v_add_nc_u32_e32 v51, 0x2520, v19
	v_add_nc_u32_e32 v53, 0x2940, v19
	;; [unrolled: 1-line block ×5, first 2 shown]
	v_lshlrev_b32_e32 v113, 4, v17
	v_add3_u32 v96, v3, v20, 0x4e40
	v_add_nc_u32_e32 v97, 0x5050, v1
	v_add_nc_u32_e32 v50, s12, v48
	v_dual_lshlrev_b32 v104, 2, v0 :: v_dual_mov_b32 v22, v15
	v_dual_mov_b32 v20, v15 :: v_dual_lshlrev_b32 v44, 2, v2
	s_delay_alu instid0(VALU_DEP_3) | instskip(SKIP_3) | instid1(VALU_DEP_4)
	v_dual_mov_b32 v45, v15 :: v_dual_add_nc_u32 v52, s12, v50
	v_dual_mov_b32 v47, v15 :: v_dual_lshlrev_b32 v116, 2, v91
	v_lshlrev_b32_e32 v101, 2, v3
	v_add_nc_u32_e32 v105, 0x35a0, v19
	v_add_nc_u32_e32 v60, s12, v52
	;; [unrolled: 1-line block ×4, first 2 shown]
	v_mul_i32_i24_e32 v54, s5, v8
	v_mul_i32_i24_e32 v56, s5, v10
	v_add_nc_u32_e32 v62, s12, v60
	v_mul_i32_i24_e32 v58, s5, v58
	v_mul_u32_u24_e32 v108, 0x84, v17
	v_mad_u32_u24 v109, 0x84, v17, s19
	v_mad_u32_u24 v110, 0x84, v17, s20
	;; [unrolled: 1-line block ×4, first 2 shown]
	v_dual_lshlrev_b32 v114, 2, v92 :: v_dual_add_nc_u32 v64, s12, v62
	v_lshl_or_b32 v115, v91, 2, 0x4200
	s_mul_u64 s[14:15], s[14:15], 0x90
	s_and_b32 s19, s0, s1
	s_add_nc_u64 s[14:15], s[16:17], s[14:15]
	s_mov_b32 s12, s13
	s_branch .LBB211_5
.LBB211_4:                              ;   in Loop: Header=BB211_5 Depth=1
	s_add_co_i32 s12, s12, 1
	s_delay_alu instid0(SALU_CYCLE_1)
	s_cmp_eq_u32 s12, s5
	s_cbranch_scc1 .LBB211_22
.LBB211_5:                              ; =>This Loop Header: Depth=1
                                        ;     Child Loop BB211_11 Depth 2
                                        ;     Child Loop BB211_19 Depth 2
	s_mul_u64 s[16:17], s[12:13], 0x90
	s_delay_alu instid0(SALU_CYCLE_1) | instskip(NEXT) | instid1(SALU_CYCLE_1)
	s_add_nc_u64 s[16:17], s[14:15], s[16:17]
	v_mad_nc_u64_u32 v[0:1], 0x90, v12, s[16:17]
	v_mad_nc_u64_u32 v[2:3], 0x90, v56, s[16:17]
	v_mad_nc_u64_u32 v[4:5], 0x90, v58, s[16:17]
	s_delay_alu instid0(VALU_DEP_3)
	v_mad_nc_u64_u32 v[6:7], 0x90, v16, v[0:1]
	v_mad_nc_u64_u32 v[8:9], 0x90, v18, v[0:1]
	;; [unrolled: 1-line block ×4, first 2 shown]
	s_wait_xcnt 0x0
	v_mad_nc_u64_u32 v[68:69], 0x90, v28, v[0:1]
	v_add_nc_u64_e32 v[82:83], v[2:3], v[44:45]
	v_mad_nc_u64_u32 v[70:71], 0x90, v32, v[0:1]
	v_add_nc_u64_e32 v[84:85], v[4:5], v[44:45]
	v_mad_nc_u64_u32 v[72:73], 0x90, v34, v[0:1]
	v_mad_nc_u64_u32 v[76:77], 0x90, v40, v[0:1]
	v_add_nc_u64_e32 v[4:5], v[4:5], v[46:47]
	v_mad_nc_u64_u32 v[74:75], 0x90, v38, v[0:1]
	;; [unrolled: 3-line block ×3, first 2 shown]
	v_mad_nc_u64_u32 v[86:87], 0x90, v50, v[0:1]
	v_mad_nc_u64_u32 v[118:119], 0x90, v52, v[0:1]
	v_add_nc_u64_e32 v[6:7], v[6:7], v[14:15]
	s_clause 0x3
	global_load_b32 v117, v[82:83], off offset:4
	global_load_b32 v120, v[84:85], off offset:4
	;; [unrolled: 1-line block ×4, first 2 shown]
	s_wait_xcnt 0x0
	v_mad_nc_u64_u32 v[2:3], 0x90, v60, v[0:1]
	v_add_nc_u64_e32 v[8:9], v[8:9], v[14:15]
	v_mad_nc_u64_u32 v[4:5], 0x90, v62, v[0:1]
	v_add_nc_u64_e32 v[10:11], v[10:11], v[14:15]
	;; [unrolled: 2-line block ×3, first 2 shown]
	v_add_nc_u64_e32 v[68:69], v[68:69], v[14:15]
	v_add_nc_u64_e32 v[70:71], v[70:71], v[14:15]
	v_add_nc_u64_e32 v[72:73], v[72:73], v[14:15]
	v_add_nc_u64_e32 v[76:77], v[76:77], v[14:15]
	v_add_nc_u64_e32 v[74:75], v[74:75], v[14:15]
	s_clause 0x7
	global_load_b32 v82, v[6:7], off offset:16
	global_load_b32 v83, v[8:9], off offset:16
	;; [unrolled: 1-line block ×8, first 2 shown]
	s_wait_xcnt 0x7
	v_add_nc_u64_e32 v[6:7], v[78:79], v[14:15]
	s_wait_xcnt 0x6
	v_add_nc_u64_e32 v[8:9], v[80:81], v[14:15]
	;; [unrolled: 2-line block ×4, first 2 shown]
	s_wait_xcnt 0x3
	v_mad_nc_u64_u32 v[68:69], 0x90, v54, s[16:17]
	v_add_nc_u64_e32 v[2:3], v[2:3], v[14:15]
	v_add_nc_u64_e32 v[4:5], v[4:5], v[14:15]
	;; [unrolled: 1-line block ×3, first 2 shown]
	s_clause 0x8
	global_load_b32 v70, v[76:77], off offset:16
	global_load_b32 v71, v[6:7], off offset:16
	;; [unrolled: 1-line block ×8, first 2 shown]
	global_load_b32 v80, v[68:69], off
	s_lshl_b32 s16, s12, 8
	s_delay_alu instid0(SALU_CYCLE_1)
	s_cmp_lt_i32 s16, s11
	s_wait_loadcnt 0x13
	s_wait_xcnt 0x1
	v_dual_ashrrev_i32 v0, v61, v117 :: v_dual_ashrrev_i32 v1, v61, v120
	s_wait_loadcnt 0x11
	v_dual_ashrrev_i32 v3, v63, v121 :: v_dual_ashrrev_i32 v2, v63, v122
	s_delay_alu instid0(VALU_DEP_2) | instskip(NEXT) | instid1(VALU_DEP_3)
	v_and_b32_e32 v0, 0xf0f0f0f, v0
	v_and_b32_e32 v1, 0xf0f0f0f, v1
	s_delay_alu instid0(VALU_DEP_2) | instskip(NEXT) | instid1(VALU_DEP_2)
	v_and_or_b32 v0, 0x30303030, v2, v0
	v_and_or_b32 v1, 0x30303030, v3, v1
	s_wait_loadcnt 0x10
	ds_store_b32 v19, v82
	s_wait_loadcnt 0xf
	ds_store_b32 v25, v83
	;; [unrolled: 2-line block ×17, first 2 shown]
	ds_store_b32 v65, v0
	ds_store_b32 v88, v1
	s_cbranch_scc0 .LBB211_4
; %bb.6:                                ;   in Loop: Header=BB211_5 Depth=1
	s_lshl_b32 s17, s12, 3
	s_delay_alu instid0(SALU_CYCLE_1) | instskip(NEXT) | instid1(VALU_DEP_1)
	v_add_nc_u32_e32 v0, s17, v91
	v_cmp_gt_i32_e32 vcc_lo, s10, v0
	s_and_b32 s21, s1, vcc_lo
	s_wait_xcnt 0x0
	s_and_saveexec_b32 s20, s21
	s_cbranch_execz .LBB211_8
; %bb.7:                                ;   in Loop: Header=BB211_5 Depth=1
	v_add_nc_u32_e32 v0, v30, v0
	s_delay_alu instid0(VALU_DEP_1)
	v_mad_nc_i64_i32 v[0:1], v0, 36, v[36:37]
	global_load_b32 v0, v[0:1], off offset:4
	s_wait_loadcnt 0x0
	ds_store_b32 v90, v0
.LBB211_8:                              ;   in Loop: Header=BB211_5 Depth=1
	s_or_b32 exec_lo, exec_lo, s20
	v_add_nc_u32_e32 v0, s17, v17
	s_delay_alu instid0(VALU_DEP_1) | instskip(SKIP_1) | instid1(SALU_CYCLE_1)
	v_cmp_gt_i32_e32 vcc_lo, s10, v0
	s_and_b32 s21, s19, vcc_lo
	s_and_saveexec_b32 s20, s21
	s_cbranch_execz .LBB211_10
; %bb.9:                                ;   in Loop: Header=BB211_5 Depth=1
	v_add_nc_u32_e32 v1, v30, v0
	s_delay_alu instid0(VALU_DEP_1)
	v_mad_nc_i64_i32 v[2:3], v1, 36, s[2:3]
	global_load_b32 v1, v[2:3], off
	s_wait_loadcnt 0x0
	ds_store_b32 v100, v1
.LBB211_10:                             ;   in Loop: Header=BB211_5 Depth=1
	s_or_b32 exec_lo, exec_lo, s20
	s_wait_dscnt 0x0
	s_barrier_signal -1
	s_barrier_wait -1
	ds_load_b32 v1, v94 offset:128
	ds_load_b32 v2, v93
	ds_load_b32 v4, v95 offset:256
	ds_load_b32 v6, v96 offset:384
	s_mov_b32 s21, 0
	s_mov_b32 s20, -1
	s_wait_dscnt 0x2
	v_dual_lshrrev_b32 v5, 16, v1 :: v_dual_lshrrev_b32 v7, 16, v2
	s_wait_dscnt 0x0
	v_dual_lshrrev_b32 v8, 16, v4 :: v_dual_lshrrev_b32 v9, 16, v6
	v_cvt_f32_f16_e32 v3, v1
	v_cvt_f32_f16_e32 v2, v2
	;; [unrolled: 1-line block ×8, first 2 shown]
.LBB211_11:                             ;   Parent Loop BB211_5 Depth=1
                                        ; =>  This Inner Loop Header: Depth=2
	s_lshr_b32 s23, s21, 2
	v_lshl_or_b32 v8, s21, 1, v33
	s_lshl_b32 s22, s21, 2
	s_add_co_i32 s21, s23, 0x4200
	v_dual_add_nc_u32 v80, s22, v108 :: v_dual_add_nc_u32 v141, s22, v109
	v_add3_u32 v81, s21, v114, v102
	v_dual_lshlrev_b32 v9, 2, v8 :: v_dual_lshrrev_b32 v8, 1, v8
	v_add3_u32 v10, s21, v116, v101
	ds_load_2addr_b32 v[72:73], v141 offset0:2 offset1:3
	ds_load_2addr_b32 v[70:71], v141 offset0:4 offset1:5
	ds_load_u16 v11, v81 offset:8
	ds_load_b128 v[66:69], v9 offset:19008
	ds_load_b128 v[74:77], v9 offset:19024
	;; [unrolled: 1-line block ×4, first 2 shown]
	ds_load_b64 v[8:9], v8 offset:20560
	ds_load_u16 v83, v10
	ds_load_u16 v10, v10 offset:8
	v_add3_u32 v186, s21, v98, v104
	v_add3_u32 v189, s21, v99, v103
	s_mov_b32 s21, 8
	s_and_b32 vcc_lo, exec_lo, s20
	s_mov_b32 s20, 0
	v_dual_add_nc_u32 v185, s22, v111 :: v_dual_add_nc_u32 v188, s22, v110
	s_wait_dscnt 0x7
	v_cvt_f32_ubyte0_e32 v79, v11
	v_cvt_f32_ubyte1_e32 v173, v11
	s_wait_dscnt 0x5
	v_lshrrev_b16 v162, 8, v74
	v_lshrrev_b16 v154, 8, v75
	v_dual_ashrrev_i32 v129, 24, v74 :: v_dual_ashrrev_i32 v117, 24, v75
	v_bfe_i32 v130, v74, 16, 8
	v_bfe_i32 v133, v74, 0, 8
	;; [unrolled: 1-line block ×4, first 2 shown]
	ds_load_2addr_b32 v[74:75], v80 offset1:1
	s_wait_dscnt 0x3
	v_lshrrev_b32_e32 v11, 16, v8
	v_lshrrev_b16 v167, 8, v67
	v_lshrrev_b16 v168, 8, v68
	v_dual_ashrrev_i32 v175, 24, v66 :: v_dual_ashrrev_i32 v159, 24, v67
	v_bfe_i32 v160, v67, 16, 8
	v_bfe_i32 v164, v67, 0, 8
	v_dual_ashrrev_i32 v142, 24, v68 :: v_dual_ashrrev_i32 v135, 24, v69
	v_bfe_i32 v143, v68, 16, 8
	v_bfe_i32 v149, v68, 0, 8
	v_lshrrev_b32_e32 v68, 16, v9
	v_cvt_f32_f16_e32 v67, v11
	v_lshrrev_b16 v177, 8, v120
	v_dual_ashrrev_i32 v169, 24, v120 :: v_dual_ashrrev_i32 v153, 24, v121
	v_bfe_i32 v171, v120, 16, 8
	v_bfe_i32 v174, v120, 0, 8
	v_ashrrev_i32_e32 v120, 24, v180
	s_wait_dscnt 0x1
	v_cvt_f32_ubyte0_e32 v78, v10
	v_cvt_f32_ubyte1_e32 v172, v10
	v_cvt_f32_f16_e32 v11, v68
	v_mov_b32_e32 v10, v67
	v_lshrrev_b16 v147, 8, v66
	v_lshrrev_b16 v161, 8, v69
	v_bfe_i32 v184, v66, 0, 8
	v_bfe_i32 v137, v69, 16, 8
	;; [unrolled: 1-line block ×3, first 2 shown]
	v_lshrrev_b16 v155, 8, v76
	v_dual_ashrrev_i32 v86, 24, v76 :: v_dual_ashrrev_i32 v84, 24, v77
	v_bfe_i32 v87, v76, 16, 8
	v_bfe_i32 v118, v76, 0, 8
	v_pk_fma_f32 v[68:69], v[10:11], v[78:79], 0 op_sel_hi:[0,1,0]
	s_wait_dscnt 0x0
	v_dual_mov_b32 v10, v11 :: v_dual_bitop2_b32 v76, 15, v74 bitop3:0x40
	v_bfe_i32 v176, v66, 16, 8
	v_lshrrev_b16 v148, 8, v77
	v_bfe_i32 v85, v77, 16, 8
	v_bfe_i32 v66, v77, 0, 8
	v_lshrrev_b16 v166, 8, v121
	v_bfe_i32 v158, v121, 16, 8
	v_bfe_i32 v165, v121, 0, 8
	v_ashrrev_i32_e32 v121, 24, v181
	v_pk_fma_f32 v[68:69], v[10:11], v[172:173], v[68:69] op_sel_hi:[0,1,1]
	v_bfe_i32 v173, v147, 0, 8
	v_mul_i32_i24_e32 v76, v184, v76
	v_bfe_u32 v77, v74, 8, 4
	v_bfe_u32 v78, v74, 24, 4
	v_lshrrev_b16 v163, 8, v122
	v_lshrrev_b16 v156, 8, v123
	v_dual_ashrrev_i32 v144, 24, v122 :: v_dual_ashrrev_i32 v136, 24, v123
	v_mad_i32_i24 v76, v173, v77, v76
	v_bfe_u32 v77, v74, 16, 4
	v_mul_i32_i24_e32 v78, v175, v78
	v_bfe_i32 v145, v122, 16, 8
	v_bfe_i32 v152, v122, 0, 8
	;; [unrolled: 1-line block ×3, first 2 shown]
	v_mul_i32_i24_e32 v77, v176, v77
	v_bfe_i32 v140, v123, 0, 8
	v_lshrrev_b16 v157, 8, v178
	v_lshrrev_b16 v150, 8, v179
	;; [unrolled: 1-line block ×3, first 2 shown]
	v_add3_u32 v170, v76, v77, v78
	ds_load_2addr_b32 v[76:77], v141 offset1:1
	v_lshrrev_b16 v146, 8, v181
	v_dual_ashrrev_i32 v131, 24, v178 :: v_dual_ashrrev_i32 v123, 24, v179
	v_bfe_i32 v132, v178, 16, 8
	v_bfe_i32 v134, v178, 0, 8
	v_bfe_i32 v124, v179, 16, 8
	v_bfe_i32 v127, v179, 0, 8
	v_bfe_i32 v125, v180, 16, 8
	v_bfe_i32 v126, v180, 0, 8
	v_bfe_i32 v122, v181, 16, 8
	v_bfe_i32 v10, v181, 0, 8
	v_bfe_i32 v167, v167, 0, 8
	v_bfe_i32 v168, v168, 0, 8
	v_bfe_i32 v166, v166, 0, 8
	v_bfe_i32 v162, v162, 0, 8
	v_bfe_i32 v163, v163, 0, 8
	v_bfe_i32 v150, v150, 0, 8
	v_bfe_i32 v151, v151, 0, 8
	v_bfe_i32 v146, v146, 0, 8
	s_wait_dscnt 0x0
	v_and_b32_e32 v78, 15, v76
	v_bfe_u32 v79, v76, 8, 4
	v_bfe_u32 v147, v76, 24, 4
	v_bfe_i32 v148, v148, 0, 8
	v_pk_mul_f32 v[68:69], v[68:69], v[4:5]
	v_mul_i32_i24_e32 v78, v184, v78
	s_delay_alu instid0(VALU_DEP_4) | instskip(NEXT) | instid1(VALU_DEP_2)
	v_mul_i32_i24_e32 v147, v175, v147
	v_mad_i32_i24 v78, v173, v79, v78
	v_bfe_u32 v79, v76, 16, 4
	s_delay_alu instid0(VALU_DEP_1) | instskip(NEXT) | instid1(VALU_DEP_1)
	v_mul_i32_i24_e32 v79, v176, v79
	v_add3_u32 v172, v78, v79, v147
	ds_load_2addr_b32 v[178:179], v185 offset0:2 offset1:3
	ds_load_2addr_b32 v[78:79], v185 offset0:4 offset1:5
	ds_load_u16 v147, v186 offset:8
	ds_load_2addr_b32 v[180:181], v185 offset1:1
	s_wait_dscnt 0x0
	v_and_b32_e32 v182, 15, v181
	v_and_b32_e32 v183, 15, v180
	v_bfe_u32 v192, v180, 16, 4
	v_bfe_u32 v193, v180, 24, 4
	v_lshrrev_b32_e32 v194, 28, v180
	v_mul_i32_i24_e32 v182, v182, v164
	s_delay_alu instid0(VALU_DEP_1) | instskip(SKIP_4) | instid1(VALU_DEP_1)
	v_mad_i32_i24 v187, v183, v184, v182
	ds_load_u16 v190, v189 offset:8
	ds_load_2addr_b32 v[182:183], v188 offset1:1
	s_wait_dscnt 0x0
	v_and_b32_e32 v191, 15, v182
	v_mul_i32_i24_e32 v184, v184, v191
	v_bfe_u32 v191, v181, 16, 4
	s_delay_alu instid0(VALU_DEP_1) | instskip(NEXT) | instid1(VALU_DEP_1)
	v_mul_i32_i24_e32 v191, v191, v160
	v_mad_i32_i24 v191, v192, v176, v191
	v_bfe_u32 v192, v182, 16, 4
	s_delay_alu instid0(VALU_DEP_1) | instskip(SKIP_1) | instid1(VALU_DEP_1)
	v_mul_i32_i24_e32 v176, v176, v192
	v_bfe_u32 v192, v181, 24, 4
	v_mul_i32_i24_e32 v192, v192, v159
	s_delay_alu instid0(VALU_DEP_1) | instskip(SKIP_1) | instid1(VALU_DEP_1)
	v_mad_i32_i24 v192, v193, v175, v192
	v_bfe_u32 v193, v182, 24, 4
	v_mul_i32_i24_e32 v175, v175, v193
	v_bfe_u32 v193, v182, 8, 4
	s_delay_alu instid0(VALU_DEP_1) | instskip(SKIP_2) | instid1(VALU_DEP_3)
	v_mad_i32_i24 v184, v173, v193, v184
	v_bfe_i32 v193, v177, 0, 8
	v_bfe_u32 v177, v180, 20, 4
	v_add3_u32 v184, v184, v176, v175
	v_bfe_u32 v175, v178, 16, 4
	v_bfe_u32 v176, v179, 16, 4
	s_delay_alu instid0(VALU_DEP_2) | instskip(NEXT) | instid1(VALU_DEP_2)
	v_mul_i32_i24_e32 v175, v175, v143
	v_mul_i32_i24_e32 v176, v176, v137
	s_delay_alu instid0(VALU_DEP_1) | instskip(SKIP_2) | instid1(VALU_DEP_2)
	v_add3_u32 v191, v191, v175, v176
	v_and_b32_e32 v175, 15, v178
	v_and_b32_e32 v176, 15, v179
	v_mul_i32_i24_e32 v175, v175, v149
	s_delay_alu instid0(VALU_DEP_2) | instskip(NEXT) | instid1(VALU_DEP_1)
	v_mul_i32_i24_e32 v176, v176, v139
	v_add3_u32 v187, v187, v175, v176
	v_bfe_u32 v175, v178, 24, 4
	v_bfe_u32 v176, v179, 24, 4
	s_delay_alu instid0(VALU_DEP_2) | instskip(NEXT) | instid1(VALU_DEP_2)
	v_mul_i32_i24_e32 v175, v175, v142
	v_mul_i32_i24_e32 v176, v176, v135
	s_delay_alu instid0(VALU_DEP_1) | instskip(SKIP_2) | instid1(VALU_DEP_2)
	v_add3_u32 v192, v192, v175, v176
	v_bfe_u32 v175, v74, 4, 4
	v_bfe_u32 v176, v74, 12, 4
	v_mul_i32_i24_e32 v175, v174, v175
	s_delay_alu instid0(VALU_DEP_1) | instskip(SKIP_2) | instid1(VALU_DEP_2)
	v_mad_i32_i24 v175, v193, v176, v175
	v_bfe_u32 v176, v74, 20, 4
	v_lshrrev_b32_e32 v74, 28, v74
	v_mul_i32_i24_e32 v176, v171, v176
	s_delay_alu instid0(VALU_DEP_2) | instskip(NEXT) | instid1(VALU_DEP_1)
	v_mul_i32_i24_e32 v74, v169, v74
	v_add3_u32 v74, v175, v176, v74
	v_bfe_u32 v175, v76, 4, 4
	v_bfe_u32 v176, v76, 12, 4
	s_delay_alu instid0(VALU_DEP_2) | instskip(NEXT) | instid1(VALU_DEP_1)
	v_mul_i32_i24_e32 v175, v174, v175
	v_mad_i32_i24 v175, v193, v176, v175
	v_bfe_u32 v176, v76, 20, 4
	v_lshrrev_b32_e32 v76, 28, v76
	s_delay_alu instid0(VALU_DEP_2) | instskip(NEXT) | instid1(VALU_DEP_2)
	v_mul_i32_i24_e32 v176, v171, v176
	v_mul_i32_i24_e32 v76, v169, v76
	s_delay_alu instid0(VALU_DEP_1) | instskip(SKIP_2) | instid1(VALU_DEP_2)
	v_add3_u32 v76, v175, v176, v76
	v_bfe_u32 v175, v181, 4, 4
	v_bfe_u32 v176, v180, 4, 4
	v_mul_i32_i24_e32 v175, v175, v165
	s_delay_alu instid0(VALU_DEP_1) | instskip(SKIP_1) | instid1(VALU_DEP_1)
	v_mad_i32_i24 v175, v176, v174, v175
	v_bfe_u32 v176, v182, 4, 4
	v_mul_i32_i24_e32 v174, v174, v176
	v_bfe_u32 v176, v181, 20, 4
	s_delay_alu instid0(VALU_DEP_1) | instskip(NEXT) | instid1(VALU_DEP_1)
	v_mul_i32_i24_e32 v176, v176, v158
	v_mad_i32_i24 v176, v177, v171, v176
	v_bfe_u32 v177, v182, 20, 4
	s_delay_alu instid0(VALU_DEP_1) | instskip(SKIP_1) | instid1(VALU_DEP_1)
	v_mul_i32_i24_e32 v171, v171, v177
	v_lshrrev_b32_e32 v177, 28, v181
	v_mul_i32_i24_e32 v177, v177, v153
	s_delay_alu instid0(VALU_DEP_1) | instskip(SKIP_2) | instid1(VALU_DEP_2)
	v_mad_i32_i24 v177, v194, v169, v177
	v_lshrrev_b32_e32 v194, 28, v182
	v_bfe_u32 v182, v182, 12, 4
	v_mul_i32_i24_e32 v169, v169, v194
	s_delay_alu instid0(VALU_DEP_2) | instskip(NEXT) | instid1(VALU_DEP_1)
	v_mad_i32_i24 v174, v193, v182, v174
	v_add3_u32 v169, v174, v171, v169
	v_bfe_u32 v171, v178, 20, 4
	v_bfe_u32 v174, v179, 20, 4
	s_delay_alu instid0(VALU_DEP_2) | instskip(NEXT) | instid1(VALU_DEP_2)
	v_mul_i32_i24_e32 v171, v171, v145
	v_mul_i32_i24_e32 v174, v174, v138
	s_delay_alu instid0(VALU_DEP_1) | instskip(SKIP_2) | instid1(VALU_DEP_2)
	v_add3_u32 v171, v176, v171, v174
	v_bfe_u32 v174, v178, 4, 4
	v_bfe_u32 v176, v179, 4, 4
	v_mul_i32_i24_e32 v174, v174, v152
	s_delay_alu instid0(VALU_DEP_2) | instskip(NEXT) | instid1(VALU_DEP_1)
	v_mul_i32_i24_e32 v176, v176, v140
	v_add3_u32 v182, v175, v174, v176
	v_dual_lshrrev_b32 v174, 28, v178 :: v_dual_lshrrev_b32 v175, 28, v179
	v_mov_b32_e32 v176, v67
	s_delay_alu instid0(VALU_DEP_2) | instskip(NEXT) | instid1(VALU_DEP_3)
	v_mul_i32_i24_e32 v174, v174, v144
	v_mul_i32_i24_e32 v175, v175, v136
	s_delay_alu instid0(VALU_DEP_1) | instskip(SKIP_4) | instid1(VALU_DEP_2)
	v_add3_u32 v194, v177, v174, v175
	v_cvt_f32_ubyte0_e32 v174, v190
	v_cvt_f32_ubyte1_e32 v175, v190
	v_mov_b32_e32 v177, v11
	v_bfe_i32 v190, v161, 0, 8
	v_pk_mul_f32 v[174:175], v[176:177], v[174:175]
	v_and_b32_e32 v176, 0xf0f0f0f, v180
	v_and_b32_e32 v177, 0xf0f0f0f, v178
	v_lshrrev_b32_e32 v178, 4, v178
	s_delay_alu instid0(VALU_DEP_3) | instskip(NEXT) | instid1(VALU_DEP_3)
	v_lshrrev_b16 v176, 8, v176
	v_lshrrev_b16 v177, 8, v177
	s_delay_alu instid0(VALU_DEP_3) | instskip(NEXT) | instid1(VALU_DEP_3)
	v_lshrrev_b16 v178, 8, v178
	v_and_b32_e32 v176, 0xffff, v176
	s_delay_alu instid0(VALU_DEP_3) | instskip(NEXT) | instid1(VALU_DEP_3)
	v_and_b32_e32 v177, 0xffff, v177
	v_and_b32_e32 v178, 15, v178
	s_delay_alu instid0(VALU_DEP_3) | instskip(SKIP_1) | instid1(VALU_DEP_4)
	v_mul_i32_i24_e32 v173, v176, v173
	v_and_b32_e32 v176, 0xf0f0f0f, v181
	v_mul_i32_i24_e32 v177, v177, v168
	s_delay_alu instid0(VALU_DEP_4) | instskip(NEXT) | instid1(VALU_DEP_3)
	v_and_b32_e32 v178, 0xffff, v178
	v_lshrrev_b16 v176, 8, v176
	s_delay_alu instid0(VALU_DEP_2) | instskip(NEXT) | instid1(VALU_DEP_2)
	v_mul_i32_i24_e32 v178, v178, v163
	v_and_b32_e32 v176, 0xffff, v176
	s_delay_alu instid0(VALU_DEP_1) | instskip(NEXT) | instid1(VALU_DEP_1)
	v_mul_i32_i24_e32 v176, v176, v167
	v_add3_u32 v173, v173, v176, v177
	v_and_b32_e32 v176, 15, v75
	v_bfe_u32 v177, v75, 8, 4
	s_delay_alu instid0(VALU_DEP_2) | instskip(NEXT) | instid1(VALU_DEP_2)
	v_mul_i32_i24_e32 v176, v164, v176
	v_mul_i32_i24_e32 v177, v167, v177
	s_delay_alu instid0(VALU_DEP_1) | instskip(SKIP_2) | instid1(VALU_DEP_2)
	v_add3_u32 v170, v170, v177, v176
	v_and_b32_e32 v176, 15, v77
	v_bfe_u32 v177, v77, 8, 4
	v_mul_i32_i24_e32 v176, v164, v176
	s_delay_alu instid0(VALU_DEP_2) | instskip(NEXT) | instid1(VALU_DEP_1)
	v_mul_i32_i24_e32 v177, v167, v177
	v_add3_u32 v172, v172, v177, v176
	v_and_b32_e32 v176, 15, v183
	v_and_b32_e32 v177, 15, v79
	s_delay_alu instid0(VALU_DEP_2) | instskip(SKIP_1) | instid1(VALU_DEP_3)
	v_mul_i32_i24_e32 v164, v164, v176
	v_bfe_u32 v176, v183, 8, 4
	v_mul_i32_i24_e32 v177, v177, v128
	s_delay_alu instid0(VALU_DEP_2) | instskip(SKIP_1) | instid1(VALU_DEP_2)
	v_mul_i32_i24_e32 v167, v167, v176
	v_bfe_u32 v176, v79, 24, 4
	v_add3_u32 v164, v184, v167, v164
	v_bfe_u32 v167, v78, 24, 4
	s_delay_alu instid0(VALU_DEP_3) | instskip(SKIP_1) | instid1(VALU_DEP_3)
	v_mul_i32_i24_e32 v176, v176, v117
	v_bfe_u32 v184, v79, 16, 4
	v_mul_i32_i24_e32 v167, v167, v129
	s_delay_alu instid0(VALU_DEP_2) | instskip(NEXT) | instid1(VALU_DEP_2)
	v_mul_i32_i24_e32 v184, v184, v119
	v_add3_u32 v167, v192, v167, v176
	v_and_b32_e32 v176, 15, v78
	s_delay_alu instid0(VALU_DEP_1) | instskip(NEXT) | instid1(VALU_DEP_1)
	v_mul_i32_i24_e32 v176, v176, v133
	v_add3_u32 v176, v187, v176, v177
	v_bfe_u32 v177, v78, 16, 4
	v_bfe_u32 v187, v75, 12, 4
	s_delay_alu instid0(VALU_DEP_2) | instskip(NEXT) | instid1(VALU_DEP_2)
	v_mul_i32_i24_e32 v177, v177, v130
	v_mul_i32_i24_e32 v187, v166, v187
	s_delay_alu instid0(VALU_DEP_2) | instskip(SKIP_1) | instid1(VALU_DEP_1)
	v_add3_u32 v177, v191, v177, v184
	v_bfe_u32 v184, v75, 4, 4
	v_mul_i32_i24_e32 v184, v165, v184
	s_delay_alu instid0(VALU_DEP_1) | instskip(SKIP_2) | instid1(VALU_DEP_2)
	v_add3_u32 v74, v74, v184, v187
	v_bfe_u32 v184, v77, 4, 4
	v_bfe_u32 v187, v77, 12, 4
	v_mul_i32_i24_e32 v184, v165, v184
	s_delay_alu instid0(VALU_DEP_2) | instskip(NEXT) | instid1(VALU_DEP_1)
	v_mul_i32_i24_e32 v187, v166, v187
	v_add3_u32 v76, v76, v184, v187
	v_bfe_u32 v184, v183, 4, 4
	v_bfe_u32 v187, v79, 4, 4
	s_delay_alu instid0(VALU_DEP_2) | instskip(SKIP_1) | instid1(VALU_DEP_3)
	v_mul_i32_i24_e32 v165, v165, v184
	v_bfe_u32 v184, v183, 12, 4
	v_mul_i32_i24_e32 v187, v187, v127
	s_delay_alu instid0(VALU_DEP_2) | instskip(NEXT) | instid1(VALU_DEP_1)
	v_mul_i32_i24_e32 v184, v166, v184
	v_add3_u32 v165, v169, v165, v184
	v_dual_lshrrev_b32 v169, 28, v78 :: v_dual_lshrrev_b32 v184, 28, v79
	s_delay_alu instid0(VALU_DEP_1) | instskip(NEXT) | instid1(VALU_DEP_2)
	v_mul_i32_i24_e32 v169, v169, v131
	v_mul_i32_i24_e32 v184, v184, v123
	s_delay_alu instid0(VALU_DEP_1) | instskip(SKIP_1) | instid1(VALU_DEP_1)
	v_add3_u32 v169, v194, v169, v184
	v_bfe_u32 v184, v78, 4, 4
	v_mul_i32_i24_e32 v184, v184, v134
	s_delay_alu instid0(VALU_DEP_1) | instskip(SKIP_2) | instid1(VALU_DEP_2)
	v_add3_u32 v182, v182, v184, v187
	v_bfe_u32 v184, v78, 20, 4
	v_bfe_u32 v187, v79, 20, 4
	v_mul_i32_i24_e32 v184, v184, v132
	s_delay_alu instid0(VALU_DEP_2) | instskip(NEXT) | instid1(VALU_DEP_1)
	v_mul_i32_i24_e32 v187, v187, v124
	v_add3_u32 v171, v171, v184, v187
	v_and_b32_e32 v184, 0xf0f0f0f, v179
	v_and_b32_e32 v187, 0xf0f0f0f, v78
	s_delay_alu instid0(VALU_DEP_2) | instskip(NEXT) | instid1(VALU_DEP_2)
	v_lshrrev_b16 v184, 8, v184
	v_lshrrev_b16 v187, 8, v187
	s_delay_alu instid0(VALU_DEP_2) | instskip(NEXT) | instid1(VALU_DEP_2)
	v_and_b32_e32 v161, 0xffff, v184
	v_and_b32_e32 v184, 0xffff, v187
	s_delay_alu instid0(VALU_DEP_2) | instskip(NEXT) | instid1(VALU_DEP_2)
	v_mul_i32_i24_e32 v161, v161, v190
	v_mul_i32_i24_e32 v184, v184, v162
	s_delay_alu instid0(VALU_DEP_1) | instskip(SKIP_1) | instid1(VALU_DEP_1)
	v_add3_u32 v173, v173, v161, v184
	v_dual_lshrrev_b32 v161, 4, v180 :: v_dual_lshrrev_b32 v180, 4, v181
	v_lshrrev_b16 v161, 8, v161
	s_delay_alu instid0(VALU_DEP_2) | instskip(NEXT) | instid1(VALU_DEP_2)
	v_lshrrev_b16 v180, 8, v180
	v_and_b32_e32 v161, 15, v161
	s_delay_alu instid0(VALU_DEP_2) | instskip(NEXT) | instid1(VALU_DEP_2)
	v_and_b32_e32 v180, 15, v180
	v_and_b32_e32 v161, 0xffff, v161
	s_delay_alu instid0(VALU_DEP_2) | instskip(NEXT) | instid1(VALU_DEP_2)
	v_and_b32_e32 v180, 0xffff, v180
	v_mul_i32_i24_e32 v161, v161, v193
	s_delay_alu instid0(VALU_DEP_2) | instskip(NEXT) | instid1(VALU_DEP_1)
	v_mul_i32_i24_e32 v166, v180, v166
	v_add3_u32 v166, v161, v166, v178
	v_bfe_u32 v161, v75, 16, 4
	v_bfe_u32 v178, v75, 24, 4
	s_delay_alu instid0(VALU_DEP_2) | instskip(NEXT) | instid1(VALU_DEP_2)
	v_mul_i32_i24_e32 v161, v160, v161
	v_mul_i32_i24_e32 v178, v159, v178
	s_delay_alu instid0(VALU_DEP_1) | instskip(SKIP_2) | instid1(VALU_DEP_2)
	v_add3_u32 v170, v170, v161, v178
	v_bfe_u32 v161, v77, 16, 4
	v_bfe_u32 v178, v77, 24, 4
	v_mul_i32_i24_e32 v161, v160, v161
	s_delay_alu instid0(VALU_DEP_2) | instskip(NEXT) | instid1(VALU_DEP_1)
	v_mul_i32_i24_e32 v178, v159, v178
	v_add3_u32 v172, v172, v161, v178
	v_bfe_u32 v161, v183, 16, 4
	s_delay_alu instid0(VALU_DEP_1) | instskip(SKIP_1) | instid1(VALU_DEP_1)
	v_mul_i32_i24_e32 v160, v160, v161
	v_bfe_u32 v161, v183, 24, 4
	v_mul_i32_i24_e32 v159, v159, v161
	s_delay_alu instid0(VALU_DEP_1) | instskip(SKIP_4) | instid1(VALU_DEP_2)
	v_add3_u32 v164, v164, v160, v159
	ds_load_2addr_b32 v[160:161], v185 offset0:6 offset1:7
	s_wait_dscnt 0x0
	v_bfe_u32 v159, v160, 16, 4
	v_bfe_u32 v178, v161, 16, 4
	v_mul_i32_i24_e32 v159, v159, v87
	s_delay_alu instid0(VALU_DEP_2) | instskip(NEXT) | instid1(VALU_DEP_1)
	v_mul_i32_i24_e32 v178, v178, v85
	v_add3_u32 v177, v177, v159, v178
	v_and_b32_e32 v159, 15, v160
	v_and_b32_e32 v178, 15, v161
	s_delay_alu instid0(VALU_DEP_2) | instskip(NEXT) | instid1(VALU_DEP_2)
	v_mul_i32_i24_e32 v159, v159, v118
	v_mul_i32_i24_e32 v178, v178, v66
	s_delay_alu instid0(VALU_DEP_1) | instskip(SKIP_2) | instid1(VALU_DEP_2)
	v_add3_u32 v176, v176, v159, v178
	v_bfe_u32 v159, v160, 24, 4
	v_bfe_u32 v178, v161, 24, 4
	v_mul_i32_i24_e32 v159, v159, v86
	s_delay_alu instid0(VALU_DEP_2) | instskip(NEXT) | instid1(VALU_DEP_1)
	v_mul_i32_i24_e32 v178, v178, v84
	v_add3_u32 v167, v167, v159, v178
	v_bfe_u32 v159, v75, 20, 4
	v_lshrrev_b32_e32 v75, 28, v75
	s_delay_alu instid0(VALU_DEP_2) | instskip(NEXT) | instid1(VALU_DEP_2)
	v_mul_i32_i24_e32 v159, v158, v159
	v_mul_i32_i24_e32 v75, v153, v75
	s_delay_alu instid0(VALU_DEP_1) | instskip(SKIP_2) | instid1(VALU_DEP_2)
	v_add3_u32 v178, v74, v159, v75
	v_bfe_u32 v74, v77, 20, 4
	v_lshrrev_b32_e32 v75, 28, v77
	v_mul_i32_i24_e32 v74, v158, v74
	s_delay_alu instid0(VALU_DEP_2) | instskip(NEXT) | instid1(VALU_DEP_1)
	v_mul_i32_i24_e32 v75, v153, v75
	v_add3_u32 v180, v76, v74, v75
	v_bfe_u32 v74, v183, 20, 4
	v_lshrrev_b32_e32 v75, 28, v183
	s_delay_alu instid0(VALU_DEP_2) | instskip(NEXT) | instid1(VALU_DEP_2)
	v_mul_i32_i24_e32 v74, v158, v74
	v_mul_i32_i24_e32 v75, v153, v75
	s_delay_alu instid0(VALU_DEP_1) | instskip(SKIP_2) | instid1(VALU_DEP_2)
	v_add3_u32 v165, v165, v74, v75
	v_bfe_u32 v74, v160, 20, 4
	v_bfe_u32 v75, v161, 20, 4
	v_mul_i32_i24_e32 v74, v74, v125
	s_delay_alu instid0(VALU_DEP_2) | instskip(NEXT) | instid1(VALU_DEP_1)
	v_mul_i32_i24_e32 v75, v75, v122
	v_add3_u32 v171, v171, v74, v75
	v_bfe_u32 v74, v160, 4, 4
	v_bfe_u32 v75, v161, 4, 4
	s_delay_alu instid0(VALU_DEP_2) | instskip(NEXT) | instid1(VALU_DEP_2)
	v_mul_i32_i24_e32 v74, v74, v126
	v_mul_i32_i24_e32 v75, v75, v10
	s_delay_alu instid0(VALU_DEP_1) | instskip(SKIP_2) | instid1(VALU_DEP_2)
	v_add3_u32 v181, v182, v74, v75
	v_dual_lshrrev_b32 v74, 28, v160 :: v_dual_lshrrev_b32 v75, 28, v161
	v_bfe_i32 v182, v157, 0, 8
	v_mul_i32_i24_e32 v74, v74, v120
	s_delay_alu instid0(VALU_DEP_3) | instskip(NEXT) | instid1(VALU_DEP_1)
	v_mul_i32_i24_e32 v75, v75, v121
	v_add3_u32 v169, v169, v74, v75
	v_add_f32_e32 v74, 0, v174
	v_and_b32_e32 v75, 0xf0f0f0f, v160
	v_bfe_i32 v174, v154, 0, 8
	s_delay_alu instid0(VALU_DEP_3) | instskip(SKIP_1) | instid1(VALU_DEP_4)
	v_add_f32_e32 v153, v74, v175
	v_and_b32_e32 v74, 0xf0f0f0f, v79
	v_lshrrev_b16 v75, 8, v75
	v_bfe_i32 v175, v155, 0, 8
	v_lshrrev_b32_e32 v79, 4, v79
	s_delay_alu instid0(VALU_DEP_4) | instskip(NEXT) | instid1(VALU_DEP_4)
	v_lshrrev_b16 v74, 8, v74
	v_and_b32_e32 v75, 0xffff, v75
	s_delay_alu instid0(VALU_DEP_3) | instskip(SKIP_1) | instid1(VALU_DEP_4)
	v_lshrrev_b16 v79, 8, v79
	v_lshrrev_b32_e32 v160, 4, v160
	v_and_b32_e32 v74, 0xffff, v74
	s_delay_alu instid0(VALU_DEP_4) | instskip(NEXT) | instid1(VALU_DEP_4)
	v_mul_i32_i24_e32 v75, v75, v175
	v_and_b32_e32 v79, 15, v79
	s_delay_alu instid0(VALU_DEP_4) | instskip(NEXT) | instid1(VALU_DEP_4)
	v_lshrrev_b16 v160, 8, v160
	v_mul_i32_i24_e32 v74, v74, v174
	s_delay_alu instid0(VALU_DEP_3) | instskip(NEXT) | instid1(VALU_DEP_3)
	v_and_b32_e32 v79, 0xffff, v79
	v_and_b32_e32 v160, 15, v160
	s_delay_alu instid0(VALU_DEP_3) | instskip(SKIP_2) | instid1(VALU_DEP_4)
	v_add3_u32 v173, v173, v74, v75
	v_dual_lshrrev_b32 v74, 4, v179 :: v_dual_lshrrev_b32 v75, 4, v78
	v_bfe_i32 v179, v156, 0, 8
	v_and_b32_e32 v160, 0xffff, v160
	v_mul_i32_i24_e32 v79, v79, v150
	s_delay_alu instid0(VALU_DEP_4) | instskip(SKIP_1) | instid1(VALU_DEP_4)
	v_lshrrev_b16 v74, 8, v74
	v_lshrrev_b16 v75, 8, v75
	v_mul_i32_i24_e32 v160, v160, v151
	s_delay_alu instid0(VALU_DEP_3) | instskip(NEXT) | instid1(VALU_DEP_3)
	v_and_b32_e32 v74, 15, v74
	v_and_b32_e32 v75, 15, v75
	s_delay_alu instid0(VALU_DEP_2) | instskip(NEXT) | instid1(VALU_DEP_2)
	v_and_b32_e32 v74, 0xffff, v74
	v_and_b32_e32 v75, 0xffff, v75
	s_delay_alu instid0(VALU_DEP_2) | instskip(NEXT) | instid1(VALU_DEP_2)
	v_mul_i32_i24_e32 v74, v74, v179
	v_mul_i32_i24_e32 v75, v75, v182
	s_delay_alu instid0(VALU_DEP_1)
	v_add3_u32 v166, v166, v74, v75
	ds_load_u16 v78, v81
	ds_load_2addr_b32 v[154:155], v80 offset0:2 offset1:3
	ds_load_2addr_b32 v[76:77], v80 offset0:4 offset1:5
	;; [unrolled: 1-line block ×3, first 2 shown]
	v_add3_u32 v79, v166, v79, v160
	v_bfe_u32 v166, v72, 24, 4
	s_delay_alu instid0(VALU_DEP_1)
	v_mul_i32_i24_e32 v166, v142, v166
	s_wait_dscnt 0x2
	v_and_b32_e32 v80, 15, v154
	v_bfe_u32 v81, v154, 8, 4
	v_bfe_u32 v160, v154, 16, 4
	s_wait_dscnt 0x0
	v_and_b32_e32 v185, 15, v75
	v_bfe_u32 v187, v74, 12, 4
	v_mul_i32_i24_e32 v80, v149, v80
	v_mul_i32_i24_e32 v81, v168, v81
	;; [unrolled: 1-line block ×3, first 2 shown]
	v_bfe_u32 v191, v75, 20, 4
	s_delay_alu instid0(VALU_DEP_3) | instskip(SKIP_2) | instid1(VALU_DEP_2)
	v_add3_u32 v170, v170, v81, v80
	v_and_b32_e32 v80, 15, v72
	v_bfe_u32 v81, v72, 8, 4
	v_mul_i32_i24_e32 v80, v149, v80
	s_delay_alu instid0(VALU_DEP_2) | instskip(NEXT) | instid1(VALU_DEP_1)
	v_mul_i32_i24_e32 v81, v168, v81
	v_add3_u32 v172, v172, v81, v80
	ds_load_u16 v183, v186
	ds_load_2addr_b32 v[156:157], v188 offset0:2 offset1:3
	ds_load_2addr_b32 v[158:159], v188 offset0:4 offset1:5
	;; [unrolled: 1-line block ×3, first 2 shown]
	v_bfe_u32 v186, v74, 4, 4
	s_wait_dscnt 0x2
	v_dual_lshrrev_b32 v188, 28, v74 :: v_dual_bitop2_b32 v184, 15, v156 bitop3:0x40
	s_delay_alu instid0(VALU_DEP_1) | instskip(SKIP_1) | instid1(VALU_DEP_1)
	v_mul_i32_i24_e32 v149, v149, v184
	v_bfe_u32 v184, v156, 8, 4
	v_mul_i32_i24_e32 v168, v168, v184
	v_lshrrev_b32_e32 v184, 4, v75
	s_delay_alu instid0(VALU_DEP_2) | instskip(SKIP_2) | instid1(VALU_DEP_2)
	v_add3_u32 v149, v164, v168, v149
	v_bfe_u32 v164, v154, 4, 4
	v_bfe_u32 v168, v154, 12, 4
	v_mul_i32_i24_e32 v164, v152, v164
	s_delay_alu instid0(VALU_DEP_2) | instskip(NEXT) | instid1(VALU_DEP_1)
	v_mul_i32_i24_e32 v168, v163, v168
	v_add3_u32 v164, v178, v164, v168
	v_bfe_u32 v168, v72, 4, 4
	v_bfe_u32 v178, v72, 12, 4
	s_delay_alu instid0(VALU_DEP_2) | instskip(NEXT) | instid1(VALU_DEP_2)
	v_mul_i32_i24_e32 v168, v152, v168
	v_mul_i32_i24_e32 v178, v163, v178
	s_delay_alu instid0(VALU_DEP_1) | instskip(SKIP_2) | instid1(VALU_DEP_2)
	v_add3_u32 v168, v180, v168, v178
	v_bfe_u32 v178, v156, 4, 4
	v_bfe_u32 v180, v74, 24, 4
	v_mul_i32_i24_e32 v152, v152, v178
	v_bfe_u32 v178, v156, 12, 4
	s_delay_alu instid0(VALU_DEP_1) | instskip(SKIP_1) | instid1(VALU_DEP_2)
	v_mul_i32_i24_e32 v163, v163, v178
	v_bfe_u32 v178, v74, 8, 4
	v_add3_u32 v152, v165, v152, v163
	v_bfe_u32 v165, v154, 24, 4
	v_and_b32_e32 v163, 0xf0f0f0f, v161
	s_delay_alu instid0(VALU_DEP_2) | instskip(NEXT) | instid1(VALU_DEP_2)
	v_mul_i32_i24_e32 v165, v142, v165
	v_lshrrev_b16 v163, 8, v163
	s_delay_alu instid0(VALU_DEP_2) | instskip(SKIP_1) | instid1(VALU_DEP_3)
	v_add3_u32 v160, v170, v160, v165
	v_bfe_u32 v165, v72, 16, 4
	v_and_b32_e32 v163, 0xffff, v163
	s_delay_alu instid0(VALU_DEP_2) | instskip(NEXT) | instid1(VALU_DEP_2)
	v_mul_i32_i24_e32 v165, v143, v165
	v_mul_i32_i24_e32 v163, v163, v148
	s_delay_alu instid0(VALU_DEP_2) | instskip(SKIP_1) | instid1(VALU_DEP_3)
	v_add3_u32 v165, v172, v165, v166
	v_bfe_u32 v166, v156, 16, 4
	v_add3_u32 v163, v173, v163, v167
	v_bfe_u32 v167, v157, 20, 4
	s_delay_alu instid0(VALU_DEP_3) | instskip(SKIP_1) | instid1(VALU_DEP_1)
	v_mul_i32_i24_e32 v143, v143, v166
	v_bfe_u32 v166, v156, 24, 4
	v_mul_i32_i24_e32 v142, v142, v166
	v_and_b32_e32 v166, 15, v77
	s_delay_alu instid0(VALU_DEP_2) | instskip(SKIP_2) | instid1(VALU_DEP_2)
	v_add3_u32 v149, v149, v143, v142
	v_bfe_u32 v142, v154, 20, 4
	v_lshrrev_b32_e32 v143, 28, v154
	v_mul_i32_i24_e32 v142, v145, v142
	s_delay_alu instid0(VALU_DEP_2) | instskip(NEXT) | instid1(VALU_DEP_1)
	v_mul_i32_i24_e32 v143, v144, v143
	v_add3_u32 v154, v164, v142, v143
	v_bfe_u32 v142, v72, 20, 4
	v_lshrrev_b32_e32 v72, 28, v72
	v_lshrrev_b32_e32 v143, 28, v156
	v_bfe_u32 v164, v73, 16, 4
	s_delay_alu instid0(VALU_DEP_4) | instskip(NEXT) | instid1(VALU_DEP_4)
	v_mul_i32_i24_e32 v142, v145, v142
	v_mul_i32_i24_e32 v72, v144, v72
	s_delay_alu instid0(VALU_DEP_4) | instskip(NEXT) | instid1(VALU_DEP_4)
	v_mul_i32_i24_e32 v143, v144, v143
	v_mul_i32_i24_e32 v164, v137, v164
	s_delay_alu instid0(VALU_DEP_3) | instskip(SKIP_2) | instid1(VALU_DEP_2)
	v_add3_u32 v72, v168, v142, v72
	v_bfe_u32 v142, v156, 20, 4
	v_bfe_u32 v168, v76, 12, 4
	v_mul_i32_i24_e32 v142, v145, v142
	v_add3_u32 v145, v176, v177, v163
	v_and_b32_e32 v163, 15, v76
	s_delay_alu instid0(VALU_DEP_4)
	v_mul_i32_i24_e32 v168, v182, v168
	v_and_b32_e32 v177, 15, v74
	v_add3_u32 v144, v152, v142, v143
	v_lshrrev_b32_e32 v142, 4, v161
	v_bfe_u32 v143, v155, 8, 4
	v_bfe_u32 v161, v155, 4, 4
	v_mul_i32_i24_e32 v163, v133, v163
	s_delay_alu instid0(VALU_DEP_4) | instskip(NEXT) | instid1(VALU_DEP_4)
	v_lshrrev_b16 v142, 8, v142
	v_mul_i32_i24_e32 v143, v190, v143
	s_delay_alu instid0(VALU_DEP_4) | instskip(NEXT) | instid1(VALU_DEP_3)
	v_mul_i32_i24_e32 v161, v140, v161
	v_and_b32_e32 v142, 15, v142
	s_delay_alu instid0(VALU_DEP_1) | instskip(NEXT) | instid1(VALU_DEP_1)
	v_and_b32_e32 v142, 0xffff, v142
	v_mul_i32_i24_e32 v142, v142, v146
	s_delay_alu instid0(VALU_DEP_1) | instskip(SKIP_3) | instid1(VALU_DEP_3)
	v_add3_u32 v79, v79, v142, v169
	v_and_b32_e32 v142, 15, v155
	s_wait_dscnt 0x1
	v_bfe_u32 v169, v158, 16, 4
	v_add3_u32 v79, v181, v171, v79
	s_delay_alu instid0(VALU_DEP_3) | instskip(SKIP_1) | instid1(VALU_DEP_2)
	v_mul_i32_i24_e32 v142, v139, v142
	v_bfe_u32 v181, v75, 8, 4
	v_add3_u32 v152, v160, v143, v142
	v_and_b32_e32 v142, 15, v73
	v_and_b32_e32 v160, 15, v157
	v_bfe_u32 v143, v73, 8, 4
	s_delay_alu instid0(VALU_DEP_3) | instskip(NEXT) | instid1(VALU_DEP_3)
	v_mul_i32_i24_e32 v142, v139, v142
	v_mul_i32_i24_e32 v139, v139, v160
	v_bfe_u32 v160, v157, 8, 4
	s_delay_alu instid0(VALU_DEP_4) | instskip(NEXT) | instid1(VALU_DEP_2)
	v_mul_i32_i24_e32 v143, v190, v143
	v_mul_i32_i24_e32 v160, v190, v160
	s_delay_alu instid0(VALU_DEP_2)
	v_add3_u32 v156, v165, v143, v142
	v_bfe_u32 v165, v73, 24, 4
	ds_load_2addr_b32 v[142:143], v141 offset0:6 offset1:7
	ds_load_u16 v141, v189
	v_bfe_u32 v189, v75, 24, 4
	v_add3_u32 v139, v149, v160, v139
	v_bfe_u32 v149, v155, 12, 4
	v_bfe_u32 v160, v73, 4, 4
	v_mul_i32_i24_e32 v165, v135, v165
	v_lshrrev_b32_e32 v190, 28, v75
	s_delay_alu instid0(VALU_DEP_4) | instskip(NEXT) | instid1(VALU_DEP_4)
	v_mul_i32_i24_e32 v149, v179, v149
	v_mul_i32_i24_e32 v160, v140, v160
	s_delay_alu instid0(VALU_DEP_4)
	v_add3_u32 v156, v156, v164, v165
	v_bfe_u32 v164, v155, 20, 4
	v_bfe_u32 v165, v157, 24, 4
	v_add3_u32 v149, v154, v161, v149
	v_bfe_u32 v154, v73, 12, 4
	v_bfe_u32 v161, v157, 4, 4
	v_mul_i32_i24_e32 v164, v138, v164
	s_delay_alu instid0(VALU_DEP_3) | instskip(NEXT) | instid1(VALU_DEP_3)
	v_mul_i32_i24_e32 v154, v179, v154
	v_mul_i32_i24_e32 v140, v140, v161
	v_bfe_u32 v161, v155, 24, 4
	s_wait_dscnt 0x1
	v_lshrrev_b32_e32 v172, 28, v142
	v_bfe_u32 v170, v142, 4, 4
	v_add3_u32 v72, v72, v160, v154
	v_bfe_u32 v154, v157, 12, 4
	v_bfe_u32 v160, v155, 16, 4
	v_lshrrev_b32_e32 v155, 28, v155
	v_mul_i32_i24_e32 v161, v135, v161
	v_mul_i32_i24_e32 v135, v135, v165
	;; [unrolled: 1-line block ×5, first 2 shown]
	v_bfe_u32 v165, v77, 16, 4
	v_bfe_u32 v179, v74, 16, 4
	v_add3_u32 v140, v144, v140, v154
	v_bfe_u32 v144, v76, 8, 4
	v_add3_u32 v149, v149, v164, v155
	v_bfe_u32 v164, v73, 20, 4
	v_lshrrev_b32_e32 v73, 28, v73
	v_add3_u32 v152, v152, v160, v161
	v_bfe_u32 v161, v157, 16, 4
	v_mul_i32_i24_e32 v144, v162, v144
	v_mul_i32_i24_e32 v164, v138, v164
	v_mul_i32_i24_e32 v73, v136, v73
	v_lshrrev_b32_e32 v157, 28, v157
	v_mul_i32_i24_e32 v137, v137, v161
	v_add3_u32 v144, v152, v144, v163
	v_and_b32_e32 v152, 15, v158
	v_add3_u32 v72, v72, v164, v73
	v_and_b32_e32 v73, 15, v70
	v_bfe_u32 v164, v70, 8, 4
	v_bfe_u32 v163, v158, 8, 4
	;; [unrolled: 1-line block ×4, first 2 shown]
	v_add3_u32 v135, v139, v137, v135
	v_bfe_u32 v139, v76, 20, 4
	v_bfe_u32 v155, v76, 4, 4
	v_mul_i32_i24_e32 v138, v138, v167
	v_mul_i32_i24_e32 v136, v136, v157
	;; [unrolled: 1-line block ×4, first 2 shown]
	v_bfe_u32 v163, v158, 12, 4
	v_lshrrev_b32_e32 v76, 28, v76
	v_mul_i32_i24_e32 v73, v133, v73
	v_mul_i32_i24_e32 v133, v133, v152
	v_bfe_u32 v152, v158, 4, 4
	v_add3_u32 v136, v140, v138, v136
	v_mul_i32_i24_e32 v163, v182, v163
	v_mul_i32_i24_e32 v155, v134, v155
	v_bfe_u32 v167, v70, 16, 4
	v_mul_i32_i24_e32 v152, v134, v152
	v_bfe_u32 v157, v70, 24, 4
	v_add3_u32 v133, v135, v162, v133
	v_mul_i32_i24_e32 v154, v130, v154
	v_mul_i32_i24_e32 v160, v129, v160
	v_add3_u32 v136, v136, v152, v163
	v_bfe_u32 v152, v70, 4, 4
	v_bfe_u32 v163, v70, 12, 4
	v_mul_i32_i24_e32 v167, v130, v167
	v_mul_i32_i24_e32 v157, v129, v157
	;; [unrolled: 1-line block ×5, first 2 shown]
	v_bfe_u32 v169, v158, 20, 4
	v_bfe_u32 v161, v77, 8, 4
	v_and_b32_e32 v138, 15, v71
	v_bfe_u32 v152, v70, 20, 4
	v_add3_u32 v72, v72, v134, v163
	v_bfe_u32 v134, v158, 24, 4
	v_and_b32_e32 v163, 15, v159
	v_add3_u32 v144, v144, v154, v160
	v_bfe_u32 v154, v159, 8, 4
	v_lshrrev_b32_e32 v70, 28, v70
	v_mul_i32_i24_e32 v129, v129, v134
	v_lshrrev_b32_e32 v134, 28, v158
	v_mul_i32_i24_e32 v158, v174, v161
	v_mul_i32_i24_e32 v138, v128, v138
	;; [unrolled: 1-line block ×3, first 2 shown]
	v_add3_u32 v129, v133, v130, v129
	v_mul_i32_i24_e32 v133, v132, v169
	v_mul_i32_i24_e32 v134, v131, v134
	v_lshrrev_b32_e32 v169, 28, v77
	v_add3_u32 v149, v149, v155, v168
	v_mul_i32_i24_e32 v76, v131, v76
	v_mul_i32_i24_e32 v70, v131, v70
	v_add3_u32 v133, v136, v133, v134
	v_mul_i32_i24_e32 v136, v152, v132
	v_mul_i32_i24_e32 v152, v128, v166
	;; [unrolled: 1-line block ×4, first 2 shown]
	v_bfe_u32 v140, v71, 8, 4
	v_add3_u32 v70, v72, v136, v70
	v_add3_u32 v144, v144, v158, v152
	v_bfe_u32 v152, v159, 4, 4
	v_bfe_u32 v158, v159, 12, 4
	v_add3_u32 v128, v129, v154, v128
	v_bfe_u32 v129, v77, 4, 4
	v_bfe_u32 v154, v77, 12, 4
	v_add3_u32 v76, v149, v132, v76
	v_mul_i32_i24_e32 v152, v127, v152
	v_mul_i32_i24_e32 v158, v150, v158
	;; [unrolled: 1-line block ×4, first 2 shown]
	v_add3_u32 v73, v156, v164, v73
	v_bfe_u32 v137, v77, 24, 4
	v_add3_u32 v133, v133, v152, v158
	v_bfe_u32 v158, v71, 4, 4
	;; [unrolled: 2-line block ×3, first 2 shown]
	v_bfe_u32 v156, v71, 16, 4
	v_bfe_u32 v164, v71, 24, 4
	v_mul_i32_i24_e32 v127, v127, v158
	v_and_b32_e32 v135, 15, v142
	v_mul_i32_i24_e32 v150, v150, v154
	v_bfe_u32 v155, v142, 16, 4
	v_bfe_u32 v168, v142, 24, 4
	;; [unrolled: 1-line block ×3, first 2 shown]
	v_add3_u32 v73, v73, v167, v157
	v_add3_u32 v127, v70, v127, v150
	v_and_b32_e32 v70, 15, v143
	v_bfe_u32 v157, v159, 24, 4
	v_dual_lshrrev_b32 v154, 4, v143 :: v_dual_bitop2_b32 v167, 15, v80 bitop3:0x40
	v_bfe_u32 v134, v80, 16, 4
	v_bfe_u32 v72, v80, 24, 4
	v_dual_lshrrev_b32 v150, 28, v71 :: v_dual_bitop2_b32 v136, 15, v81 bitop3:0x40
	v_mul_i32_i24_e32 v140, v174, v140
	v_lshrrev_b32_e32 v174, 28, v143
	v_perm_b32 v70, v70, v185, 0x5040100
	v_bfe_u32 v139, v81, 8, 4
	v_bfe_u32 v131, v81, 16, 4
	;; [unrolled: 1-line block ×4, first 2 shown]
	v_lshrrev_b32_e32 v159, 28, v159
	v_add3_u32 v138, v73, v140, v138
	v_bfe_u32 v73, v80, 4, 4
	v_bfe_u32 v140, v80, 12, 4
	;; [unrolled: 1-line block ×5, first 2 shown]
	v_lshrrev_b32_e32 v81, 28, v81
	v_bfe_u32 v166, v143, 8, 4
	v_bfe_u32 v158, v143, 16, 4
	;; [unrolled: 1-line block ×8, first 2 shown]
	v_mul_i32_i24_e32 v165, v119, v165
	v_mul_i32_i24_e32 v156, v119, v156
	;; [unrolled: 1-line block ×16, first 2 shown]
	v_pk_mul_lo_u16 v72, v70, v66 op_sel_hi:[1,0]
	v_and_b32_e32 v66, 15, v184
	v_and_b32_e32 v70, 15, v154
	v_mul_i32_i24_e32 v159, v123, v159
	v_mul_i32_i24_e32 v168, v123, v169
	;; [unrolled: 1-line block ×15, first 2 shown]
	v_perm_b32 v66, v70, v66, 0x5040100
	v_mul_i32_i24_e32 v174, v148, v181
	v_mul_i32_i24_e32 v166, v148, v166
	;; [unrolled: 1-line block ×9, first 2 shown]
	v_lshrrev_b16 v146, 8, v183
	v_and_b32_e32 v171, 0xff, v183
	v_add3_u32 v137, v144, v165, v137
	v_mul_i32_i24_e32 v144, v10, v152
	v_pk_mul_lo_u16 v152, v66, v10 op_sel_hi:[1,0]
	v_and_b32_e32 v10, 0xffff, v146
	v_mul_lo_u32 v145, v145, v171
	v_bfe_u32 v130, v80, 8, 4
	v_bfe_u32 v77, v77, 20, 4
	;; [unrolled: 1-line block ×3, first 2 shown]
	v_mul_lo_u32 v79, v79, v10
	v_bfe_u32 v71, v71, 20, 4
	v_mul_i32_i24_e32 v149, v124, v149
	v_mul_i32_i24_e32 v77, v124, v77
	;; [unrolled: 1-line block ×3, first 2 shown]
	s_wait_dscnt 0x0
	v_lshrrev_b16 v70, 8, v141
	v_add3_u32 v117, v128, v119, v117
	v_bfe_u32 v161, v80, 20, 4
	v_lshrrev_b32_e32 v80, 28, v80
	v_bfe_u32 v142, v142, 20, 4
	v_bfe_u32 v74, v74, 20, 4
	v_mul_i32_i24_e32 v124, v124, v71
	v_mul_i32_i24_e32 v154, v175, v178
	;; [unrolled: 1-line block ×3, first 2 shown]
	v_cvt_f32_ubyte0_e32 v71, v147
	v_cvt_f32_f16_e32 v66, v8
	v_and_b32_e32 v165, 0xffff, v70
	v_cvt_f32_i32_e32 v70, v145
	v_add3_u32 v138, v138, v156, v160
	v_add3_u32 v119, v133, v149, v159
	;; [unrolled: 1-line block ×4, first 2 shown]
	v_mul_i32_i24_e32 v161, v125, v161
	v_mul_i32_i24_e32 v74, v125, v74
	;; [unrolled: 1-line block ×5, first 2 shown]
	v_cvt_f32_ubyte1_e32 v73, v147
	v_cvt_f32_f16_e32 v10, v9
	v_ashrrev_i32_e32 v145, 16, v72
	v_bfe_i32 v171, v72, 0, 16
	v_cvt_f32_i32_e32 v72, v79
	v_add3_u32 v123, v127, v124, v123
	v_add3_u32 v77, v137, v154, v157
	;; [unrolled: 1-line block ×6, first 2 shown]
	v_pk_fma_f32 v[70:71], v[70:71], v[66:67], 0 op_sel_hi:[1,1,0]
	v_mul_i32_i24_e32 v120, v120, v172
	v_add3_u32 v119, v123, v126, v151
	v_add3_u32 v77, v77, v164, v134
	;; [unrolled: 1-line block ×6, first 2 shown]
	v_pk_fma_f32 v[70:71], v[72:73], v[10:11], v[70:71]
	v_mul_i32_i24_e32 v163, v122, v163
	v_and_b32_e32 v141, 0xff, v141
	v_add3_u32 v117, v119, v125, v120
	v_add3_u32 v80, v80, v144, v129
	;; [unrolled: 1-line block ×5, first 2 shown]
	v_pk_mul_f32 v[70:71], v[70:71], v[6:7]
	v_ashrrev_i32_e32 v79, 16, v152
	v_bfe_i32 v152, v152, 0, 16
	v_mul_i32_i24_e32 v172, v122, v191
	v_mul_i32_i24_e32 v122, v122, v176
	v_lshrrev_b16 v147, 8, v78
	v_and_b32_e32 v78, 0xff, v78
	v_lshrrev_b16 v146, 8, v83
	v_and_b32_e32 v83, 0xff, v83
	v_add3_u32 v74, v74, v152, v75
	v_add3_u32 v75, v117, v79, v143
	;; [unrolled: 1-line block ×5, first 2 shown]
	v_mul_lo_u32 v76, v76, v141
	v_and_b32_e32 v147, 0xffff, v147
	v_and_b32_e32 v146, 0xffff, v146
	v_add3_u32 v75, v75, v122, v121
	v_add3_u32 v74, v74, v172, v173
	v_mul_lo_u32 v79, v79, v165
	v_mul_lo_u32 v78, v80, v78
	;; [unrolled: 1-line block ×5, first 2 shown]
	v_cvt_f32_i32_e32 v75, v76
	v_cvt_f32_i32_e32 v76, v79
	;; [unrolled: 1-line block ×4, first 2 shown]
	s_delay_alu instid0(VALU_DEP_4) | instskip(SKIP_2) | instid1(VALU_DEP_4)
	v_fma_mix_f32 v8, v8, v75, 0 op_sel_hi:[1,0,0]
	v_cvt_f32_i32_e32 v75, v67
	v_cvt_f32_i32_e32 v74, v74
	v_pk_fma_f32 v[66:67], v[66:67], v[72:73], 0 op_sel_hi:[0,1,0]
	s_delay_alu instid0(VALU_DEP_4) | instskip(SKIP_2) | instid1(VALU_DEP_4)
	v_fma_mix_f32 v72, v9, v76, v8 op_sel_hi:[1,0,0]
	v_dual_mul_f32 v8, v153, v82 :: v_dual_mov_b32 v73, v70
	v_mov_b32_e32 v9, v71
	v_pk_fma_f32 v[10:11], v[10:11], v[74:75], v[66:67] op_sel_hi:[0,1,1]
	s_delay_alu instid0(VALU_DEP_4) | instskip(NEXT) | instid1(VALU_DEP_2)
	v_mul_f32_e32 v72, v72, v1
	v_pk_fma_f32 v[10:11], v[10:11], v[2:3], v[68:69] neg_lo:[0,0,1] neg_hi:[0,0,1]
	s_delay_alu instid0(VALU_DEP_2) | instskip(NEXT) | instid1(VALU_DEP_2)
	v_pk_add_f32 v[8:9], v[72:73], v[8:9] neg_lo:[0,1] neg_hi:[0,1]
	v_pk_add_f32 v[22:23], v[22:23], v[10:11]
	s_delay_alu instid0(VALU_DEP_2)
	v_pk_add_f32 v[20:21], v[20:21], v[8:9]
	s_cbranch_vccnz .LBB211_11
; %bb.12:                               ;   in Loop: Header=BB211_5 Depth=1
	s_bitset1_b32 s16, 7
	s_delay_alu instid0(SALU_CYCLE_1)
	s_cmp_ge_i32 s16, s11
	s_barrier_signal -1
	s_barrier_wait -1
	s_cbranch_scc1 .LBB211_4
; %bb.13:                               ;   in Loop: Header=BB211_5 Depth=1
	v_add_nc_u32_e32 v1, s17, v92
	s_delay_alu instid0(VALU_DEP_1) | instskip(SKIP_1) | instid1(SALU_CYCLE_1)
	v_cmp_gt_i32_e32 vcc_lo, s10, v1
	s_and_b32 s17, s1, vcc_lo
	s_and_saveexec_b32 s16, s17
	s_cbranch_execz .LBB211_15
; %bb.14:                               ;   in Loop: Header=BB211_5 Depth=1
	v_add_nc_u32_e32 v1, v30, v1
	s_delay_alu instid0(VALU_DEP_1)
	v_mad_nc_i64_i32 v[2:3], v1, 36, v[36:37]
	global_load_b32 v1, v[2:3], off offset:4
	s_wait_loadcnt 0x0
	ds_store_b32 v90, v1
.LBB211_15:                             ;   in Loop: Header=BB211_5 Depth=1
	s_or_b32 exec_lo, exec_lo, s16
	s_and_saveexec_b32 s16, s0
	s_cbranch_execz .LBB211_18
; %bb.16:                               ;   in Loop: Header=BB211_5 Depth=1
	v_or_b32_e32 v1, 4, v0
	s_delay_alu instid0(VALU_DEP_1) | instskip(SKIP_1) | instid1(SALU_CYCLE_1)
	v_cmp_gt_i32_e32 vcc_lo, s10, v1
	s_and_b32 s17, s1, vcc_lo
	s_and_b32 exec_lo, exec_lo, s17
	s_cbranch_execz .LBB211_18
; %bb.17:                               ;   in Loop: Header=BB211_5 Depth=1
	v_ashrrev_i32_e32 v1, 31, v0
	s_delay_alu instid0(VALU_DEP_1) | instskip(NEXT) | instid1(VALU_DEP_1)
	v_add_nc_u64_e32 v[0:1], v[30:31], v[0:1]
	v_mad_nc_u64_u32 v[2:3], v0, 36, s[2:3]
	s_delay_alu instid0(VALU_DEP_1)
	v_mad_i32_i24 v3, v1, 36, v3
	global_load_b32 v0, v[2:3], off offset:144
	s_wait_loadcnt 0x0
	ds_store_b32 v100, v0
.LBB211_18:                             ;   in Loop: Header=BB211_5 Depth=1
	s_or_b32 exec_lo, exec_lo, s16
	s_wait_dscnt 0x0
	s_barrier_signal -1
	s_barrier_wait -1
	ds_load_b32 v0, v94 offset:128
	ds_load_b32 v1, v93
	ds_load_b32 v2, v95 offset:256
	ds_load_b32 v3, v96 offset:384
	v_dual_mov_b32 v117, v89 :: v_dual_mov_b32 v118, v97
	v_mov_b32_e32 v121, v112
	s_mov_b32 s16, 16
	s_mov_b32 s17, 0
	s_wait_dscnt 0x2
	v_dual_lshrrev_b32 v4, 16, v0 :: v_dual_lshrrev_b32 v5, 16, v1
	v_cvt_f32_f16_e32 v67, v0
	v_cvt_f32_f16_e32 v66, v1
	s_wait_dscnt 0x0
	v_dual_lshrrev_b32 v0, 16, v2 :: v_dual_lshrrev_b32 v1, 16, v3
	v_cvt_f32_f16_e32 v119, v2
	v_cvt_f32_f16_e32 v68, v3
	;; [unrolled: 1-line block ×6, first 2 shown]
.LBB211_19:                             ;   Parent Loop BB211_5 Depth=1
                                        ; =>  This Inner Loop Header: Depth=2
	ds_load_2addr_b32 v[0:1], v121 offset1:1
	ds_load_2addr_b32 v[2:3], v121 offset0:2 offset1:3
	v_add_nc_u32_e32 v8, s17, v113
	ds_load_2addr_b32 v[78:79], v121 offset0:4 offset1:5
	v_add_nc_u32_e32 v4, 0x1090, v121
	v_add_nc_u32_e32 v6, 0x2118, v121
	s_lshr_b32 s21, s16, 2
	ds_load_2addr_b32 v[72:73], v121 offset0:6 offset1:7
	s_and_b32 s21, s21, 0x3ffffffc
	s_add_co_i32 s16, s16, 8
	s_add_co_i32 s17, s17, 2
	ds_load_2addr_b32 v[82:83], v4 offset1:1
	ds_load_2addr_b32 v[6:7], v6 offset1:1
	v_add_nc_u32_e32 v4, 0x1098, v121
	ds_load_2addr_b32 v[74:75], v4 offset1:1
	s_wait_dscnt 0x6
	v_and_b32_e32 v86, 15, v0
	v_bfe_u32 v87, v0, 8, 4
	v_bfe_u32 v207, v0, 16, 4
	;; [unrolled: 1-line block ×3, first 2 shown]
	v_dual_lshrrev_b32 v154, 28, v0 :: v_dual_bitop2_b32 v213, 15, v1 bitop3:0x40
	s_wait_dscnt 0x5
	v_dual_lshrrev_b32 v148, 28, v1 :: v_dual_bitop2_b32 v217, 15, v2 bitop3:0x40
	v_bfe_u32 v218, v2, 8, 4
	v_bfe_u32 v219, v2, 16, 4
	;; [unrolled: 1-line block ×3, first 2 shown]
	v_dual_lshrrev_b32 v143, 28, v2 :: v_dual_bitop2_b32 v199, 15, v3 bitop3:0x40
	v_bfe_u32 v151, v0, 20, 4
	v_bfe_u32 v153, v0, 4, 4
	;; [unrolled: 1-line block ×6, first 2 shown]
	v_add_nc_u32_e32 v0, 0x1080, v121
	v_add_nc_u32_e32 v2, 0x1088, v121
	v_bfe_u32 v214, v1, 8, 4
	v_bfe_u32 v215, v1, 16, 4
	;; [unrolled: 1-line block ×12, first 2 shown]
	ds_load_2addr_b32 v[0:1], v0 offset1:1
	v_lshrrev_b32_e32 v139, 28, v3
	ds_load_2addr_b32 v[2:3], v2 offset1:1
	s_wait_dscnt 0x6
	v_and_b32_e32 v129, 15, v79
	v_add3_u32 v9, v99, s21, v8
	v_add3_u32 v124, v115, s21, v8
	;; [unrolled: 1-line block ×3, first 2 shown]
	s_wait_dscnt 0x3
	s_set_vgpr_msb 64                       ;  msbs: dst=1 src0=0 src1=0 src2=0
	v_and_b32_e32 v13 /*v269*/, 15, v6
	v_bfe_u32 v14 /*v270*/, v6, 8, 4
	v_bfe_u32 v15 /*v271*/, v6, 16, 4
	;; [unrolled: 1-line block ×3, first 2 shown]
	v_and_b32_e32 v17 /*v273*/, 15, v7
	v_bfe_u32 v18 /*v274*/, v7, 8, 4
	v_bfe_u32 v19 /*v275*/, v7, 16, 4
	;; [unrolled: 1-line block ×3, first 2 shown]
	s_set_vgpr_msb 0                        ;  msbs: dst=0 src0=0 src1=0 src2=0
	v_bfe_u32 v187, v6, 20, 4
	v_bfe_u32 v189, v6, 4, 4
	;; [unrolled: 1-line block ×3, first 2 shown]
	v_lshrrev_b32_e32 v188, 28, v6
	v_bfe_u32 v177, v7, 20, 4
	s_wait_dscnt 0x1
	v_and_b32_e32 v221, 15, v0
	v_bfe_u32 v222, v0, 8, 4
	v_bfe_u32 v223, v0, 16, 4
	;; [unrolled: 1-line block ×3, first 2 shown]
	s_wait_dscnt 0x0
	v_dual_lshrrev_b32 v166, 28, v2 :: v_dual_bitop2_b32 v229, 15, v2 bitop3:0x40
	v_bfe_u32 v230, v2, 8, 4
	v_bfe_u32 v231, v2, 16, 4
	;; [unrolled: 1-line block ×6, first 2 shown]
	v_lshrrev_b32_e32 v176, 28, v0
	v_bfe_u32 v165, v2, 20, 4
	v_bfe_u32 v167, v2, 4, 4
	;; [unrolled: 1-line block ×3, first 2 shown]
	v_add_nc_u32_e32 v0, 0x2100, v121
	v_add_nc_u32_e32 v2, 0x2108, v121
	v_dual_lshrrev_b32 v170, 28, v1 :: v_dual_bitop2_b32 v225, 15, v1 bitop3:0x40
	v_bfe_u32 v226, v1, 8, 4
	v_bfe_u32 v227, v1, 16, 4
	;; [unrolled: 1-line block ×3, first 2 shown]
	v_dual_lshrrev_b32 v159, 28, v3 :: v_dual_bitop2_b32 v233, 15, v3 bitop3:0x40
	v_bfe_u32 v234, v3, 8, 4
	v_bfe_u32 v235, v3, 16, 4
	;; [unrolled: 1-line block ×9, first 2 shown]
	ds_load_2addr_b32 v[0:1], v0 offset1:1
	ds_load_2addr_b32 v[2:3], v2 offset1:1
	v_add_nc_u32_e32 v4, 0x2110, v121
	v_and_b32_e32 v237, 15, v82
	v_bfe_u32 v180, v7, 4, 4
	v_bfe_u32 v181, v7, 12, 4
	v_lshrrev_b32_e32 v179, 28, v7
	ds_load_2addr_b32 v[4:5], v4 offset1:1
	ds_load_u16 v10, v9 offset:17920
	ds_load_u16 v9, v9 offset:17928
	v_and_b32_e32 v241, 15, v83
	v_and_b32_e32 v183, 15, v74
	s_set_vgpr_msb 64                       ;  msbs: dst=1 src0=0 src1=0 src2=0
	v_add3_u32 v34 /*v290*/, v98, s21, v8
	s_set_vgpr_msb 0                        ;  msbs: dst=0 src0=0 src1=0 src2=0
	v_dual_lshrrev_b32 v134, 4, v73 :: v_dual_bitop2_b32 v133, 15, v78 bitop3:0x40
	v_bfe_u32 v162, v78, 8, 4
	v_bfe_u32 v163, v78, 16, 4
	;; [unrolled: 1-line block ×6, first 2 shown]
	s_wait_dscnt 0x4
	v_and_b32_e32 v245, 15, v0
	v_bfe_u32 v246, v0, 8, 4
	v_bfe_u32 v247, v0, 16, 4
	;; [unrolled: 1-line block ×3, first 2 shown]
	s_wait_dscnt 0x3
	s_set_vgpr_msb 64                       ;  msbs: dst=1 src0=0 src1=0 src2=0
	v_dual_lshrrev_b32 v25 /*v281*/, 28, v0 :: v_dual_bitop2_b32 v1 /*v257*/, 15, v3 bitop3:0x40
	v_bfe_u32 v22 /*v278*/, v0, 20, 4
	v_bfe_u32 v23 /*v279*/, v0, 4, 4
	;; [unrolled: 1-line block ×3, first 2 shown]
	s_set_vgpr_msb 0                        ;  msbs: dst=0 src0=0 src1=0 src2=0
	v_add_nc_u32_e32 v0, 0x3180, v121
	s_wait_dscnt 0x1
	v_lshrrev_b16 v11, 8, v10
	v_and_b32_e32 v249, 15, v1
	v_bfe_u32 v250, v1, 8, 4
	v_bfe_u32 v251, v1, 16, 4
	ds_load_2addr_b32 v[84:85], v0 offset1:1
	v_bfe_u32 v252, v1, 24, 4
	v_and_b32_e32 v253, 15, v2
	v_bfe_u32 v254, v2, 8, 4
	v_bfe_u32 v255, v2, 16, 4
	s_set_vgpr_msb 64                       ;  msbs: dst=1 src0=0 src1=0 src2=0
	v_bfe_u32 v0 /*v256*/, v2, 24, 4
	v_bfe_u32 v2 /*v258*/, v3, 8, 4
	v_bfe_u32 v3 /*v259*/, v3, 16, 4
	v_bfe_u32 v4 /*v260*/, v3, 24, 4
	v_dual_lshrrev_b32 v29 /*v285*/, 28, v1 :: v_dual_bitop2_b32 v5 /*v261*/, 15, v4 bitop3:0x40
	v_bfe_u32 v6 /*v262*/, v4, 8, 4
	v_bfe_u32 v7 /*v263*/, v4, 16, 4
	;; [unrolled: 1-line block ×3, first 2 shown]
	v_dual_lshrrev_b32 v33 /*v289*/, 28, v2 :: v_dual_bitop2_b32 v9 /*v265*/, 15, v5 bitop3:0x40
	v_bfe_u32 v10 /*v266*/, v5, 8, 4
	v_bfe_u32 v11 /*v267*/, v5, 16, 4
	;; [unrolled: 1-line block ×3, first 2 shown]
	v_and_b32_e32 v21 /*v277*/, 0xff, v10
	s_wait_dscnt 0x0
	s_set_vgpr_msb 0                        ;  msbs: dst=0 src0=0 src1=0 src2=0
	v_and_b32_e32 v0, 0xf0f0f0f, v84
	v_cvt_f32_ubyte0_e32 v76, v9
	s_set_vgpr_msb 64                       ;  msbs: dst=1 src0=0 src1=0 src2=0
	v_bfe_u32 v26 /*v282*/, v1, 20, 4
	v_bfe_u32 v27 /*v283*/, v1, 4, 4
	;; [unrolled: 1-line block ×6, first 2 shown]
	s_set_vgpr_msb 0                        ;  msbs: dst=0 src0=0 src1=0 src2=0
	v_bfe_u32 v203, v3, 20, 4
	v_bfe_u32 v205, v3, 4, 4
	v_bfe_u32 v206, v3, 12, 4
	v_lshrrev_b32_e32 v204, 28, v3
	v_bfe_u32 v195, v4, 20, 4
	v_bfe_u32 v197, v4, 4, 4
	v_bfe_u32 v198, v4, 12, 4
	v_lshrrev_b32_e32 v196, 28, v4
	;; [unrolled: 4-line block ×3, first 2 shown]
	v_and_b32_e32 v178, 0xffff, v11
	v_cvt_f32_ubyte1_e32 v77, v9
	s_set_vgpr_msb 64                       ;  msbs: dst=1 src0=0 src1=0 src2=0
	v_lshrrev_b16 v36 /*v292*/, 8, v0
	s_set_vgpr_msb 0                        ;  msbs: dst=0 src0=0 src1=0 src2=0
	ds_load_b128 v[208:211], v117
	ds_load_b128 v[8:11], v117 offset:16
	ds_load_b128 v[4:7], v117 offset:32
	;; [unrolled: 1-line block ×3, first 2 shown]
	v_bfe_u32 v240, v82, 24, 4
	v_bfe_u32 v131, v79, 16, 4
	;; [unrolled: 1-line block ×6, first 2 shown]
	v_dual_lshrrev_b32 v146, 4, v75 :: v_dual_bitop2_b32 v81, 15, v72 bitop3:0x40
	v_bfe_u32 v126, v72, 8, 4
	v_bfe_u32 v127, v72, 16, 4
	;; [unrolled: 1-line block ×8, first 2 shown]
	s_wait_dscnt 0x3
	s_set_vgpr_msb 64                       ;  msbs: dst=1 src0=0 src1=0 src2=0
	v_lshrrev_b16 v37 /*v293*/, 8, v208
	v_ashrrev_i32_e32 v41 /*v297*/, 24, v208
	v_bfe_i32 v42 /*v298*/, v208, 16, 8
	s_set_vgpr_msb 0                        ;  msbs: dst=0 src0=0 src1=0 src2=0
	v_bfe_i32 v208, v208, 0, 8
	s_set_vgpr_msb 0x41                     ;  msbs: dst=1 src0=1 src1=0 src2=0
	v_lshrrev_b16 v38 /*v294*/, 8, v209
	v_bfe_i32 v37 /*v293*/, v37 /*v293*/, 0, 8
	s_set_vgpr_msb 1                        ;  msbs: dst=0 src0=1 src1=0 src2=0
	v_mul_i32_i24_e32 v212, v41 /*v297*/, v212
	v_mul_i32_i24_e32 v207, v42 /*v298*/, v207
	s_set_vgpr_msb 0                        ;  msbs: dst=0 src0=0 src1=0 src2=0
	v_mul_i32_i24_e32 v86, v208, v86
	s_set_vgpr_msb 64                       ;  msbs: dst=1 src0=0 src1=0 src2=0
	v_lshrrev_b16 v39 /*v295*/, 8, v210
	v_lshrrev_b16 v40 /*v296*/, 8, v211
	v_bfe_u32 v35 /*v291*/, v84, 24, 4
	s_set_vgpr_msb 0                        ;  msbs: dst=0 src0=0 src1=0 src2=0
	v_bfe_u32 v136, v78, 4, 4
	s_set_vgpr_msb 1                        ;  msbs: dst=0 src0=1 src1=0 src2=0
	v_mad_i32_i24 v86, v37 /*v293*/, v87, v86
	s_set_vgpr_msb 0                        ;  msbs: dst=0 src0=0 src1=0 src2=0
	v_mul_i32_i24_e32 v87, v208, v221
	s_set_vgpr_msb 1                        ;  msbs: dst=0 src0=1 src1=0 src2=0
	v_mul_i32_i24_e32 v221, v41 /*v297*/, v248
	s_set_vgpr_msb 0                        ;  msbs: dst=0 src0=0 src1=0 src2=0
	v_bfe_u32 v156, v82, 4, 4
	v_bfe_u32 v137, v78, 12, 4
	v_add3_u32 v86, v86, v207, v212
	s_set_vgpr_msb 1                        ;  msbs: dst=0 src0=1 src1=0 src2=0
	v_mul_i32_i24_e32 v207, v42 /*v298*/, v223
	v_mul_i32_i24_e32 v212, v41 /*v297*/, v224
	v_mad_i32_i24 v87, v37 /*v293*/, v222, v87
	v_and_b32_e32 v224, 0xf0f0f0f, v85
	s_set_vgpr_msb 4                        ;  msbs: dst=0 src0=0 src1=1 src2=0
	v_bfe_u32 v223, v85, 24, 4
	v_and_b32_e32 v222, 0xffff, v36 /*v292*/
	v_bfe_u32 v157, v82, 12, 4
	s_set_vgpr_msb 0                        ;  msbs: dst=0 src0=0 src1=0 src2=0
	v_add3_u32 v87, v87, v207, v212
	v_mul_i32_i24_e32 v207, v208, v245
	s_set_vgpr_msb 1                        ;  msbs: dst=0 src0=1 src1=0 src2=0
	v_mul_i32_i24_e32 v212, v42 /*v298*/, v247
	v_ashrrev_i32_e32 v245, 24, v209
	s_set_vgpr_msb 0                        ;  msbs: dst=0 src0=0 src1=0 src2=0
	v_bfe_i32 v247, v209, 16, 8
	v_bfe_i32 v209, v209, 0, 8
	s_set_vgpr_msb 1                        ;  msbs: dst=0 src0=1 src1=0 src2=0
	v_mad_i32_i24 v207, v37 /*v293*/, v246, v207
	v_bfe_i32 v246, v38 /*v294*/, 0, 8
	s_set_vgpr_msb 0                        ;  msbs: dst=0 src0=0 src1=0 src2=0
	v_mul_i32_i24_e32 v216, v245, v216
	v_mul_i32_i24_e32 v215, v247, v215
	;; [unrolled: 1-line block ×6, first 2 shown]
	v_add3_u32 v207, v207, v212, v221
	v_mul_i32_i24_e32 v227, v247, v227
	v_mul_i32_i24_e32 v228, v245, v228
	v_add3_u32 v86, v86, v214, v213
	v_mul_i32_i24_e32 v248, v209, v249
	v_mul_i32_i24_e32 v249, v246, v250
	;; [unrolled: 1-line block ×4, first 2 shown]
	v_add3_u32 v213, v86, v215, v216
	v_add3_u32 v86, v87, v226, v225
	v_lshrrev_b16 v224, 8, v224
	v_and_b32_e32 v215, 15, v85
	v_dual_ashrrev_i32 v226, 24, v210 :: v_dual_bitop2_b32 v221, 15, v84 bitop3:0x40
	s_delay_alu instid0(VALU_DEP_4)
	v_add3_u32 v214, v86, v227, v228
	v_add3_u32 v86, v207, v249, v248
	v_and_b32_e32 v87, 0xffff, v224
	v_mul_i32_i24_e32 v209, v215, v209
	s_set_vgpr_msb 1                        ;  msbs: dst=0 src0=1 src1=0 src2=0
	v_bfe_i32 v227, v39 /*v295*/, 0, 8
	s_set_vgpr_msb 0                        ;  msbs: dst=0 src0=0 src1=0 src2=0
	v_bfe_i32 v228, v210, 16, 8
	v_add3_u32 v207, v86, v250, v251
	v_bfe_u32 v86, v85, 16, 4
	v_mul_i32_i24_e32 v215, v87, v246
	v_bfe_i32 v210, v210, 0, 8
	v_mul_i32_i24_e32 v218, v227, v218
	v_mul_i32_i24_e32 v219, v228, v219
	;; [unrolled: 1-line block ×3, first 2 shown]
	v_add_nc_u32_e32 v86, 0x3188, v121
	v_mul_i32_i24_e32 v217, v210, v217
	v_mul_i32_i24_e32 v220, v226, v220
	;; [unrolled: 1-line block ×4, first 2 shown]
	ds_load_2addr_b32 v[86:87], v86 offset1:1
	v_add3_u32 v213, v213, v218, v217
	v_mul_i32_i24_e32 v223, v223, v245
	v_mul_i32_i24_e32 v231, v228, v231
	v_mul_i32_i24_e32 v232, v226, v232
	v_mul_i32_i24_e32 v245, v210, v253
	v_add3_u32 v213, v213, v219, v220
	v_mul_i32_i24_e32 v246, v227, v254
	s_set_vgpr_msb 4                        ;  msbs: dst=0 src0=0 src1=1 src2=0
	v_mul_i32_i24_e32 v248, v226, v0 /*v256*/
	s_set_vgpr_msb 0                        ;  msbs: dst=0 src0=0 src1=0 src2=0
	v_add3_u32 v214, v214, v230, v229
	v_mul_i32_i24_e32 v247, v228, v255
	v_bfe_u32 v212, v84, 16, 4
	v_add3_u32 v207, v207, v246, v245
	s_set_vgpr_msb 4                        ;  msbs: dst=0 src0=0 src1=1 src2=0
	v_mul_i32_i24_e32 v222, v222, v37 /*v293*/
	s_set_vgpr_msb 0                        ;  msbs: dst=0 src0=0 src1=0 src2=0
	v_add3_u32 v214, v214, v231, v232
	v_bfe_u32 v135, v78, 20, 4
	v_bfe_u32 v155, v82, 20, 4
	v_add3_u32 v207, v207, v247, v248
	v_lshrrev_b32_e32 v82, 28, v82
	v_lshrrev_b32_e32 v78, 28, v78
	s_wait_dscnt 0x0
	v_and_b32_e32 v225, 0xf0f0f0f, v86
	v_bfe_u32 v224, v86, 24, 4
	v_and_b32_e32 v219, 15, v86
	v_bfe_u32 v217, v86, 16, 4
	v_bfe_u32 v220, v87, 24, 4
	v_lshrrev_b16 v225, 8, v225
	v_bfe_u32 v122, v73, 16, 4
	v_mul_i32_i24_e32 v210, v219, v210
	v_mul_i32_i24_e32 v219, v224, v226
	s_set_vgpr_msb 1                        ;  msbs: dst=0 src0=1 src1=0 src2=0
	v_bfe_i32 v226, v40 /*v296*/, 0, 8
	v_and_b32_e32 v218, 0xffff, v225
	v_ashrrev_i32_e32 v225, 24, v211
	s_set_vgpr_msb 0                        ;  msbs: dst=0 src0=0 src1=0 src2=0
	v_mul_i32_i24_e32 v217, v217, v228
	v_and_b32_e32 v224, 0xf0f0f0f, v87
	v_mul_i32_i24_e32 v200, v226, v200
	v_mul_i32_i24_e32 v218, v218, v227
	v_bfe_i32 v227, v211, 16, 8
	v_bfe_i32 v211, v211, 0, 8
	v_mul_i32_i24_e32 v229, v226, v234
	v_mul_i32_i24_e32 v202, v225, v202
	;; [unrolled: 1-line block ×7, first 2 shown]
	s_set_vgpr_msb 4                        ;  msbs: dst=0 src0=0 src1=1 src2=0
	v_mul_i32_i24_e32 v232, v211, v1 /*v257*/
	v_mul_i32_i24_e32 v233, v226, v2 /*v258*/
	s_set_vgpr_msb 0                        ;  msbs: dst=0 src0=0 src1=0 src2=0
	v_add3_u32 v199, v213, v200, v199
	v_add3_u32 v200, v214, v229, v228
	s_set_vgpr_msb 4                        ;  msbs: dst=0 src0=0 src1=1 src2=0
	v_mul_i32_i24_e32 v234, v227, v3 /*v259*/
	v_mul_i32_i24_e32 v235, v225, v4 /*v260*/
	s_set_vgpr_msb 0                        ;  msbs: dst=0 src0=0 src1=0 src2=0
	v_lshrrev_b16 v224, 8, v224
	v_add3_u32 v199, v199, v201, v202
	v_add3_u32 v202, v200, v230, v231
	;; [unrolled: 1-line block ×3, first 2 shown]
	v_and_b32_e32 v213, 15, v87
	v_and_b32_e32 v201, 0xffff, v224
	v_mul_i32_i24_e32 v220, v220, v225
	v_ashrrev_i32_e32 v230, 24, v8
	v_add3_u32 v207, v200, v234, v235
	v_bfe_u32 v200, v87, 16, 4
	v_mul_i32_i24_e32 v211, v213, v211
	v_mul_i32_i24_e32 v213, v201, v226
	v_lshrrev_b16 v226, 8, v8
	v_bfe_i32 v231, v8, 16, 8
	v_mul_i32_i24_e32 v214, v200, v227
	v_add_nc_u32_e32 v200, 0x3190, v121
	v_bfe_i32 v8, v8, 0, 8
	v_bfe_i32 v226, v226, 0, 8
	v_lshrrev_b16 v227, 8, v9
	v_mul_i32_i24_e32 v163, v231, v163
	ds_load_2addr_b32 v[200:201], v200 offset1:1
	v_mul_i32_i24_e32 v133, v8, v133
	v_mul_i32_i24_e32 v162, v226, v162
	;; [unrolled: 1-line block ×4, first 2 shown]
	s_set_vgpr_msb 4                        ;  msbs: dst=0 src0=0 src1=1 src2=0
	v_mul_i32_i24_e32 v236, v8, v5 /*v261*/
	v_mul_i32_i24_e32 v237, v226, v6 /*v262*/
	s_set_vgpr_msb 0                        ;  msbs: dst=0 src0=0 src1=0 src2=0
	v_add3_u32 v133, v199, v162, v133
	v_mul_i32_i24_e32 v233, v226, v238
	v_mul_i32_i24_e32 v234, v231, v239
	;; [unrolled: 1-line block ×3, first 2 shown]
	s_set_vgpr_msb 4                        ;  msbs: dst=0 src0=0 src1=1 src2=0
	v_mul_i32_i24_e32 v238, v231, v7 /*v263*/
	s_set_vgpr_msb 0                        ;  msbs: dst=0 src0=0 src1=0 src2=0
	v_add3_u32 v133, v133, v163, v164
	v_add3_u32 v163, v207, v237, v236
	s_set_vgpr_msb 4                        ;  msbs: dst=0 src0=0 src1=1 src2=0
	v_mul_i32_i24_e32 v239, v230, v8 /*v264*/
	s_set_vgpr_msb 0                        ;  msbs: dst=0 src0=0 src1=0 src2=0
	v_add3_u32 v162, v202, v233, v232
	v_lshrrev_b16 v228, 8, v10
	v_lshrrev_b16 v229, 8, v11
	v_bfe_u32 v123, v75, 16, 4
	v_add3_u32 v163, v163, v238, v239
	s_wait_dscnt 0x0
	v_and_b32_e32 v225, 0xf0f0f0f, v200
	v_bfe_u32 v224, v200, 24, 4
	v_add3_u32 v162, v162, v234, v235
	v_bfe_u32 v164, v200, 16, 4
	v_and_b32_e32 v202, 15, v200
	v_lshrrev_b16 v225, 8, v225
	v_mul_i32_i24_e32 v207, v224, v230
	v_and_b32_e32 v224, 0xf0f0f0f, v201
	v_mul_i32_i24_e32 v164, v164, v231
	s_add_co_i32 s21, s20, 8
	v_and_b32_e32 v199, 0xffff, v225
	v_ashrrev_i32_e32 v225, 24, v9
	v_lshrrev_b16 v224, 8, v224
	s_add_co_i32 s20, s20, 16
	v_add_nc_u32_e32 v117, 64, v117
	v_mul_i32_i24_e32 v199, v199, v226
	v_bfe_i32 v226, v227, 0, 8
	v_bfe_i32 v227, v9, 16, 8
	;; [unrolled: 1-line block ×3, first 2 shown]
	v_mul_i32_i24_e32 v132, v225, v132
	v_mul_i32_i24_e32 v233, v225, v244
	;; [unrolled: 1-line block ×5, first 2 shown]
	s_set_vgpr_msb 4                        ;  msbs: dst=0 src0=0 src1=1 src2=0
	v_mul_i32_i24_e32 v234, v9, v9 /*v265*/
	v_mul_i32_i24_e32 v235, v226, v10 /*v266*/
	s_set_vgpr_msb 0                        ;  msbs: dst=0 src0=0 src1=0 src2=0
	v_mul_i32_i24_e32 v230, v9, v241
	v_mul_i32_i24_e32 v231, v226, v242
	v_add3_u32 v129, v133, v130, v129
	v_and_b32_e32 v133, 0xffff, v224
	s_set_vgpr_msb 4                        ;  msbs: dst=0 src0=0 src1=1 src2=0
	v_mul_i32_i24_e32 v237, v225, v12 /*v268*/
	s_set_vgpr_msb 0                        ;  msbs: dst=0 src0=0 src1=0 src2=0
	v_mul_i32_i24_e32 v232, v227, v243
	v_add3_u32 v130, v162, v231, v230
	v_add3_u32 v129, v129, v131, v132
	;; [unrolled: 1-line block ×3, first 2 shown]
	v_mul_i32_i24_e32 v163, v133, v226
	v_ashrrev_i32_e32 v226, 24, v10
	v_mul_i32_i24_e32 v202, v202, v8
	v_bfe_u32 v8, v201, 24, 4
	v_and_b32_e32 v162, 15, v201
	v_bfe_u32 v132, v201, 16, 4
	s_set_vgpr_msb 4                        ;  msbs: dst=0 src0=0 src1=1 src2=0
	v_mul_i32_i24_e32 v236, v227, v11 /*v267*/
	s_set_vgpr_msb 0                        ;  msbs: dst=0 src0=0 src1=0 src2=0
	v_add3_u32 v130, v130, v232, v233
	v_mul_i32_i24_e32 v225, v8, v225
	v_add_nc_u32_e32 v8, 0x3198, v121
	v_mul_i32_i24_e32 v162, v162, v9
	v_mul_i32_i24_e32 v224, v132, v227
	v_bfe_i32 v227, v228, 0, 8
	v_bfe_i32 v228, v10, 16, 8
	ds_load_2addr_b32 v[8:9], v8 offset1:1
	v_bfe_i32 v10, v10, 0, 8
	v_mul_i32_i24_e32 v128, v226, v128
	v_mul_i32_i24_e32 v126, v227, v126
	;; [unrolled: 1-line block ×6, first 2 shown]
	v_add3_u32 v131, v131, v236, v237
	v_mul_i32_i24_e32 v185, v228, v185
	v_mul_i32_i24_e32 v186, v226, v186
	v_add3_u32 v81, v129, v126, v81
	s_set_vgpr_msb 4                        ;  msbs: dst=0 src0=0 src1=1 src2=0
	v_mul_i32_i24_e32 v230, v10, v13 /*v269*/
	v_mul_i32_i24_e32 v231, v227, v14 /*v270*/
	;; [unrolled: 1-line block ×4, first 2 shown]
	s_set_vgpr_msb 0                        ;  msbs: dst=0 src0=0 src1=0 src2=0
	v_add3_u32 v126, v81, v127, v128
	v_add3_u32 v81, v130, v184, v183
	s_cmp_lt_u32 s20, 24
	s_mov_b32 s20, s21
	s_wait_dscnt 0x0
	v_and_b32_e32 v133, 0xf0f0f0f, v8
	v_bfe_u32 v128, v8, 16, 4
	v_bfe_u32 v132, v8, 24, 4
	v_add3_u32 v127, v81, v185, v186
	v_add3_u32 v81, v131, v231, v230
	v_lshrrev_b16 v133, 8, v133
	v_and_b32_e32 v130, 15, v8
	v_mul_i32_i24_e32 v184, v128, v228
	v_and_b32_e32 v128, 0xf0f0f0f, v9
	v_and_b32_e32 v131, 15, v75
	;; [unrolled: 1-line block ×3, first 2 shown]
	v_mul_i32_i24_e32 v10, v130, v10
	v_mul_i32_i24_e32 v185, v132, v226
	v_lshrrev_b16 v226, 8, v128
	v_ashrrev_i32_e32 v128, 24, v11
	v_mul_i32_i24_e32 v183, v129, v227
	v_bfe_i32 v227, v229, 0, 8
	v_bfe_i32 v130, v11, 16, 8
	;; [unrolled: 1-line block ×3, first 2 shown]
	v_add3_u32 v81, v81, v232, v233
	s_set_vgpr_msb 4                        ;  msbs: dst=0 src0=0 src1=1 src2=0
	v_mul_i32_i24_e32 v228, v128, v20 /*v276*/
	s_set_vgpr_msb 0                        ;  msbs: dst=0 src0=0 src1=0 src2=0
	v_mul_i32_i24_e32 v129, v227, v80
	v_and_b32_e32 v80, 15, v73
	s_set_vgpr_msb 4                        ;  msbs: dst=0 src0=0 src1=1 src2=0
	v_mul_i32_i24_e32 v133, v227, v18 /*v274*/
	v_bfe_u32 v186, v9, 24, 4
	s_set_vgpr_msb 0                        ;  msbs: dst=0 src0=0 src1=0 src2=0
	v_add_nc_u32_e32 v121, 32, v121
	v_perm_b32 v80, v131, v80, 0x5040100
	v_mul_i32_i24_e32 v131, v227, v182
	s_set_vgpr_msb 4                        ;  msbs: dst=0 src0=0 src1=1 src2=0
	v_mul_i32_i24_e32 v182, v130, v19 /*v275*/
	s_set_vgpr_msb 0                        ;  msbs: dst=0 src0=0 src1=0 src2=0
	v_pk_mul_lo_u16 v132, v80, v11 op_sel_hi:[1,0]
	s_set_vgpr_msb 4                        ;  msbs: dst=0 src0=0 src1=1 src2=0
	v_mul_i32_i24_e32 v80, v11, v17 /*v273*/
	s_set_vgpr_msb 0                        ;  msbs: dst=0 src0=0 src1=0 src2=0
	s_delay_alu instid0(VALU_DEP_1) | instskip(SKIP_1) | instid1(VALU_DEP_2)
	v_add3_u32 v80, v81, v133, v80
	v_and_b32_e32 v81, 0xffff, v226
	v_add3_u32 v80, v80, v182, v228
	v_and_b32_e32 v182, 15, v9
	s_delay_alu instid0(VALU_DEP_3) | instskip(SKIP_1) | instid1(VALU_DEP_3)
	v_mul_i32_i24_e32 v81, v81, v227
	s_set_vgpr_msb 4                        ;  msbs: dst=0 src0=0 src1=1 src2=0
	v_mul_lo_u32 v80, v80, v21 /*v277*/
	s_set_vgpr_msb 0                        ;  msbs: dst=0 src0=0 src1=0 src2=0
	v_mul_i32_i24_e32 v11, v182, v11
	v_mul_i32_i24_e32 v182, v186, v128
	v_mad_i32_i24 v186, v221, v208, v209
	s_set_vgpr_msb 5                        ;  msbs: dst=0 src0=1 src1=1 src2=0
	v_mad_i32_i24 v209, v35 /*v291*/, v41 /*v297*/, v223
	s_set_vgpr_msb 4                        ;  msbs: dst=0 src0=0 src1=1 src2=0
	v_mad_i32_i24 v208, v212, v42 /*v298*/, v216
	s_set_vgpr_msb 0                        ;  msbs: dst=0 src0=0 src1=0 src2=0
	v_add3_u32 v212, v222, v215, v218
	v_add3_u32 v186, v186, v210, v211
	v_add3_u32 v209, v209, v219, v220
	v_add3_u32 v208, v208, v217, v214
	v_cvt_f32_i32_e32 v133, v80
	v_bfe_u32 v80, v9, 16, 4
	v_add3_u32 v199, v212, v213, v199
	v_add3_u32 v207, v209, v207, v225
	v_add3_u32 v162, v186, v202, v162
	v_add3_u32 v164, v208, v164, v224
	v_mul_i32_i24_e32 v80, v80, v130
	v_add3_u32 v163, v199, v163, v183
	v_add3_u32 v182, v207, v185, v182
	;; [unrolled: 1-line block ×3, first 2 shown]
	v_ashrrev_i32_e32 v185, 24, v4
	v_add3_u32 v80, v164, v184, v80
	v_lshrrev_b16 v164, 8, v4
	v_add3_u32 v11, v163, v81, v182
	v_bfe_i32 v186, v4, 16, 8
	v_bfe_i32 v4, v4, 0, 8
	v_mul_i32_i24_e32 v154, v185, v154
	v_bfe_i32 v164, v164, 0, 8
	v_add3_u32 v10, v10, v80, v11
	s_set_vgpr_msb 1                        ;  msbs: dst=0 src0=1 src1=0 src2=0
	ds_load_u16 v11, v34 /*v290*/ offset:18432
	ds_load_u16 v162, v34 /*v290*/ offset:18440
	s_set_vgpr_msb 0                        ;  msbs: dst=0 src0=0 src1=0 src2=0
	v_mul_i32_i24_e32 v153, v4, v153
	v_mul_i32_i24_e32 v151, v186, v151
	v_lshrrev_b16 v182, 8, v5
	v_lshrrev_b16 v183, 8, v6
	;; [unrolled: 1-line block ×3, first 2 shown]
	v_mad_i32_i24 v152, v164, v152, v153
	v_mul_i32_i24_e32 v153, v186, v173
	s_set_vgpr_msb 4                        ;  msbs: dst=0 src0=0 src1=1 src2=0
	v_mul_i32_i24_e32 v173, v185, v25 /*v281*/
	s_set_vgpr_msb 0                        ;  msbs: dst=0 src0=0 src1=0 src2=0
	v_add3_u32 v151, v152, v151, v154
	v_mul_i32_i24_e32 v152, v4, v175
	v_mul_i32_i24_e32 v154, v185, v176
	v_bfe_i32 v175, v182, 0, 8
	v_bfe_i32 v176, v5, 16, 8
	s_delay_alu instid0(VALU_DEP_4)
	v_mad_i32_i24 v152, v164, v174, v152
	v_ashrrev_i32_e32 v174, 24, v5
	s_wait_dscnt 0x1
	v_lshrrev_b16 v163, 8, v11
	v_and_b32_e32 v11, 0xff, v11
	v_bfe_i32 v5, v5, 0, 8
	v_add3_u32 v152, v152, v153, v154
	s_set_vgpr_msb 4                        ;  msbs: dst=0 src0=0 src1=1 src2=0
	v_mul_i32_i24_e32 v153, v4, v23 /*v279*/
	v_mul_i32_i24_e32 v154, v186, v22 /*v278*/
	s_set_vgpr_msb 0                        ;  msbs: dst=0 src0=0 src1=0 src2=0
	v_mul_lo_u32 v10, v10, v11
	v_lshrrev_b32_e32 v11, 28, v84
	v_mul_i32_i24_e32 v149, v5, v149
	s_set_vgpr_msb 4                        ;  msbs: dst=0 src0=0 src1=1 src2=0
	v_mad_i32_i24 v153, v164, v24 /*v280*/, v153
	s_set_vgpr_msb 0                        ;  msbs: dst=0 src0=0 src1=0 src2=0
	v_mul_i32_i24_e32 v150, v175, v150
	v_mul_i32_i24_e32 v147, v176, v147
	;; [unrolled: 1-line block ×4, first 2 shown]
	v_add3_u32 v153, v153, v154, v173
	v_bfe_u32 v154, v84, 20, 4
	v_bfe_u32 v173, v84, 4, 4
	v_cvt_f32_i32_e32 v80, v10
	v_dual_lshrrev_b32 v10, 4, v84 :: v_dual_lshrrev_b32 v84, 4, v85
	v_mul_i32_i24_e32 v172, v175, v172
	v_add3_u32 v149, v151, v149, v150
	v_bfe_u32 v150, v85, 20, 4
	s_delay_alu instid0(VALU_DEP_4)
	v_lshrrev_b16 v10, 8, v10
	v_lshrrev_b16 v84, 8, v84
	v_mul_i32_i24_e32 v169, v176, v169
	v_mul_i32_i24_e32 v170, v174, v170
	s_set_vgpr_msb 4                        ;  msbs: dst=0 src0=0 src1=1 src2=0
	v_mul_i32_i24_e32 v182, v5, v27 /*v283*/
	s_set_vgpr_msb 0                        ;  msbs: dst=0 src0=0 src1=0 src2=0
	v_and_b32_e32 v10, 15, v10
	v_and_b32_e32 v84, 15, v84
	s_set_vgpr_msb 4                        ;  msbs: dst=0 src0=0 src1=1 src2=0
	v_mul_i32_i24_e32 v199, v175, v28 /*v284*/
	s_set_vgpr_msb 0                        ;  msbs: dst=0 src0=0 src1=0 src2=0
	v_add3_u32 v147, v149, v147, v148
	v_add3_u32 v148, v152, v171, v172
	v_and_b32_e32 v10, 0xffff, v10
	v_and_b32_e32 v84, 0xffff, v84
	v_add3_u32 v149, v153, v182, v199
	v_ashrrev_i32_e32 v153, 24, v6
	v_add3_u32 v148, v148, v169, v170
	v_mul_i32_i24_e32 v10, v10, v164
	v_lshrrev_b32_e32 v164, 28, v85
	v_bfe_u32 v85, v85, 4, 4
	v_mul_i32_i24_e32 v151, v84, v175
	v_lshrrev_b32_e32 v84, 4, v86
	v_bfe_i32 v169, v6, 16, 8
	v_mul_i32_i24_e32 v152, v164, v174
	v_mul_i32_i24_e32 v5, v85, v5
	v_lshrrev_b32_e32 v85, 28, v86
	v_lshrrev_b16 v84, 8, v84
	v_bfe_i32 v164, v183, 0, 8
	v_bfe_i32 v6, v6, 0, 8
	s_set_vgpr_msb 4                        ;  msbs: dst=0 src0=0 src1=1 src2=0
	v_mul_i32_i24_e32 v202, v176, v26 /*v282*/
	v_mul_i32_i24_e32 v207, v174, v29 /*v285*/
	s_set_vgpr_msb 0                        ;  msbs: dst=0 src0=0 src1=0 src2=0
	v_and_b32_e32 v84, 15, v84
	v_mul_i32_i24_e32 v145, v164, v145
	v_mul_i32_i24_e32 v144, v6, v144
	v_mul_i32_i24_e32 v167, v6, v167
	s_set_vgpr_msb 4                        ;  msbs: dst=0 src0=0 src1=1 src2=0
	v_mul_i32_i24_e32 v170, v6, v31 /*v287*/
	s_set_vgpr_msb 0                        ;  msbs: dst=0 src0=0 src1=0 src2=0
	v_and_b32_e32 v84, 0xffff, v84
	v_add3_u32 v149, v149, v202, v207
	v_add3_u32 v144, v147, v144, v145
	v_bfe_u32 v145, v86, 20, 4
	v_bfe_u32 v86, v86, 4, 4
	v_mul_i32_i24_e32 v142, v169, v142
	v_mul_i32_i24_e32 v143, v153, v143
	;; [unrolled: 1-line block ×3, first 2 shown]
	s_set_vgpr_msb 4                        ;  msbs: dst=0 src0=0 src1=1 src2=0
	v_mul_i32_i24_e32 v171, v164, v32 /*v288*/
	s_set_vgpr_msb 0                        ;  msbs: dst=0 src0=0 src1=0 src2=0
	v_mul_i32_i24_e32 v6, v86, v6
	v_mul_i32_i24_e32 v86, v84, v164
	v_lshrrev_b32_e32 v84, 4, v87
	v_mul_i32_i24_e32 v147, v85, v153
	v_lshrrev_b32_e32 v85, 28, v87
	v_mul_i32_i24_e32 v166, v153, v166
	s_set_vgpr_msb 4                        ;  msbs: dst=0 src0=0 src1=1 src2=0
	v_mul_i32_i24_e32 v174, v153, v33 /*v289*/
	s_set_vgpr_msb 0                        ;  msbs: dst=0 src0=0 src1=0 src2=0
	v_lshrrev_b16 v84, 8, v84
	v_add3_u32 v142, v144, v142, v143
	v_add3_u32 v143, v148, v167, v168
	;; [unrolled: 1-line block ×3, first 2 shown]
	s_delay_alu instid0(VALU_DEP_4)
	v_dual_ashrrev_i32 v148, 24, v7 :: v_dual_bitop2_b32 v84, 15, v84 bitop3:0x40
	v_bfe_i32 v149, v184, 0, 8
	v_bfe_i32 v153, v7, 16, 8
	;; [unrolled: 1-line block ×3, first 2 shown]
	v_mul_i32_i24_e32 v165, v169, v165
	s_set_vgpr_msb 4                        ;  msbs: dst=0 src0=0 src1=1 src2=0
	v_mul_i32_i24_e32 v172, v169, v30 /*v286*/
	s_set_vgpr_msb 0                        ;  msbs: dst=0 src0=0 src1=0 src2=0
	v_mul_i32_i24_e32 v141, v149, v141
	v_mul_i32_i24_e32 v138, v153, v138
	;; [unrolled: 1-line block ×3, first 2 shown]
	v_add3_u32 v143, v143, v165, v166
	v_mul_i32_i24_e32 v139, v148, v139
	v_mul_i32_i24_e32 v160, v7, v160
	;; [unrolled: 1-line block ×3, first 2 shown]
	v_add3_u32 v140, v142, v140, v141
	v_add3_u32 v144, v144, v172, v174
	v_mul_i32_i24_e32 v158, v153, v158
	v_mul_i32_i24_e32 v159, v148, v159
	;; [unrolled: 1-line block ×4, first 2 shown]
	v_add3_u32 v138, v140, v138, v139
	v_add3_u32 v139, v143, v160, v161
	v_bfe_u32 v141, v87, 20, 4
	v_and_b32_e32 v84, 0xffff, v84
	v_bfe_u32 v87, v87, 4, 4
	v_lshrrev_b16 v143, 8, v0
	v_mul_i32_i24_e32 v166, v153, v203
	v_mul_i32_i24_e32 v167, v148, v204
	v_add3_u32 v139, v139, v158, v159
	v_add3_u32 v140, v144, v164, v165
	v_mul_i32_i24_e32 v7, v87, v7
	v_mul_i32_i24_e32 v87, v84, v149
	;; [unrolled: 1-line block ×3, first 2 shown]
	v_lshrrev_b32_e32 v84, 4, v200
	v_ashrrev_i32_e32 v153, 24, v0
	v_bfe_i32 v143, v143, 0, 8
	v_bfe_i32 v158, v0, 16, 8
	;; [unrolled: 1-line block ×3, first 2 shown]
	v_add3_u32 v140, v140, v166, v167
	v_mul_i32_i24_e32 v142, v85, v148
	v_lshrrev_b32_e32 v85, 28, v200
	v_lshrrev_b16 v84, 8, v84
	v_mul_i32_i24_e32 v159, v0, v197
	v_mul_i32_i24_e32 v160, v143, v198
	;; [unrolled: 1-line block ×4, first 2 shown]
	v_and_b32_e32 v84, 15, v84
	v_mul_i32_i24_e32 v137, v143, v137
	v_add3_u32 v140, v140, v159, v160
	v_bfe_u32 v160, v200, 4, 4
	v_mul_i32_i24_e32 v157, v143, v157
	v_lshrrev_b16 v144, 8, v1
	v_mul_i32_i24_e32 v161, v158, v195
	v_mul_i32_i24_e32 v145, v145, v169
	;; [unrolled: 1-line block ×4, first 2 shown]
	v_lshrrev_b32_e32 v85, 28, v201
	v_and_b32_e32 v84, 0xffff, v84
	v_bfe_i32 v144, v144, 0, 8
	v_ashrrev_i32_e32 v169, 24, v2
	v_bfe_i32 v170, v2, 16, 8
	v_mul_i32_i24_e32 v150, v150, v176
	v_mul_i32_i24_e32 v143, v84, v143
	v_lshrrev_b32_e32 v84, 4, v201
	v_mul_i32_i24_e32 v164, v153, v196
	v_mul_i32_i24_e32 v166, v144, v194
	;; [unrolled: 1-line block ×4, first 2 shown]
	v_lshrrev_b16 v84, 8, v84
	v_add3_u32 v140, v140, v161, v164
	v_ashrrev_i32_e32 v161, 24, v1
	v_bfe_i32 v164, v1, 16, 8
	v_bfe_i32 v1, v1, 0, 8
	v_and_b32_e32 v84, 15, v84
	v_bfe_u32 v176, v83, 4, 4
	v_mul_i32_i24_e32 v168, v161, v192
	v_mul_i32_i24_e32 v167, v164, v191
	;; [unrolled: 1-line block ×3, first 2 shown]
	v_and_b32_e32 v84, 0xffff, v84
	v_bfe_u32 v182, v79, 4, 4
	v_bfe_u32 v183, v83, 12, 4
	v_lshrrev_b32_e32 v187, 28, v83
	v_add3_u32 v140, v140, v165, v166
	v_bfe_u32 v166, v201, 4, 4
	v_lshrrev_b32_e32 v188, 28, v79
	v_mul_i32_i24_e32 v135, v135, v158
	v_mul_i32_i24_e32 v155, v155, v158
	v_add3_u32 v140, v140, v167, v168
	v_mul_i32_i24_e32 v167, v84, v144
	v_lshrrev_b32_e32 v84, 4, v8
	v_mul_i32_i24_e32 v168, v85, v161
	v_lshrrev_b32_e32 v85, 28, v8
	v_mul_i32_i24_e32 v78, v153, v78
	v_mul_i32_i24_e32 v82, v153, v82
	v_lshrrev_b16 v84, 8, v84
	v_add3_u32 v136, v138, v136, v137
	v_add3_u32 v137, v139, v156, v157
	v_lshrrev_b16 v148, 8, v2
	v_mul_i32_i24_e32 v166, v166, v1
	v_and_b32_e32 v84, 15, v84
	v_bfe_i32 v2, v2, 0, 8
	v_bfe_u32 v184, v79, 12, 4
	v_bfe_u32 v83, v83, 20, 4
	v_add3_u32 v82, v137, v155, v82
	v_add3_u32 v78, v136, v135, v78
	v_mul_i32_i24_e32 v135, v1, v182
	v_mul_i32_i24_e32 v1, v1, v176
	;; [unrolled: 1-line block ×3, first 2 shown]
	v_bfe_i32 v148, v148, 0, 8
	v_mul_i32_i24_e32 v171, v2, v189
	v_bfe_u32 v79, v79, 20, 4
	v_bfe_u32 v189, v74, 4, 4
	;; [unrolled: 1-line block ×3, first 2 shown]
	v_mul_i32_i24_e32 v136, v144, v184
	v_mul_i32_i24_e32 v83, v164, v83
	;; [unrolled: 1-line block ×3, first 2 shown]
	v_add3_u32 v1, v82, v1, v137
	v_mul_i32_i24_e32 v172, v148, v190
	v_bfe_u32 v190, v72, 4, 4
	v_bfe_u32 v192, v72, 12, 4
	v_mul_i32_i24_e32 v79, v164, v79
	v_mul_i32_i24_e32 v138, v161, v188
	v_add3_u32 v78, v78, v135, v136
	v_add3_u32 v1, v1, v83, v139
	v_mul_i32_i24_e32 v82, v2, v189
	v_mul_i32_i24_e32 v135, v148, v191
	v_dual_lshrrev_b32 v193, 28, v74 :: v_dual_lshrrev_b32 v194, 28, v72
	v_bfe_u32 v74, v74, 20, 4
	v_bfe_u32 v72, v72, 20, 4
	v_add3_u32 v78, v78, v79, v138
	v_mul_i32_i24_e32 v79, v2, v190
	v_mul_i32_i24_e32 v83, v148, v192
	v_add3_u32 v1, v1, v82, v135
	v_dual_lshrrev_b32 v82, 4, v9 :: v_dual_lshrrev_b32 v135, 28, v9
	v_mul_i32_i24_e32 v136, v170, v72
	v_mul_i32_i24_e32 v72, v170, v74
	;; [unrolled: 1-line block ×4, first 2 shown]
	v_add3_u32 v78, v78, v79, v83
	v_lshrrev_b16 v82, 8, v82
	v_lshrrev_b16 v149, 8, v3
	v_and_b32_e32 v79, 0xffff, v84
	v_add3_u32 v72, v1, v72, v137
	v_add3_u32 v74, v78, v136, v74
	v_bfe_u32 v78, v8, 20, 4
	v_bfe_u32 v8, v8, 4, 4
	v_dual_ashrrev_i32 v82, 24, v3 :: v_dual_bitop2_b32 v136, 15, v82 bitop3:0x40
	v_bfe_i32 v84, v3, 16, 8
	v_bfe_i32 v137, v3, 0, 8
	v_and_b32_e32 v3, 15, v134
	v_and_b32_e32 v83, 15, v146
	v_add3_u32 v1, v140, v171, v172
	v_mul_i32_i24_e32 v2, v8, v2
	v_mul_i32_i24_e32 v8, v79, v148
	;; [unrolled: 1-line block ×3, first 2 shown]
	v_bfe_i32 v85, v149, 0, 8
	v_perm_b32 v3, v83, v3, 0x5040100
	v_add3_u32 v1, v1, v174, v175
	v_mul_i32_i24_e32 v138, v84, v177
	v_mul_i32_i24_e32 v139, v82, v179
	;; [unrolled: 1-line block ×3, first 2 shown]
	v_pk_mul_lo_u16 v83, v3, v137 op_sel_hi:[1,0]
	v_mul_i32_i24_e32 v3, v137, v180
	v_mad_i32_i24 v4, v173, v4, v5
	v_bfe_u32 v159, v200, 20, 4
	v_bfe_u32 v165, v201, 20, 4
	v_mad_i32_i24 v5, v154, v186, v150
	v_add3_u32 v1, v1, v3, v134
	v_add3_u32 v10, v10, v151, v86
	;; [unrolled: 1-line block ×3, first 2 shown]
	v_mul_i32_i24_e32 v159, v159, v158
	v_mul_i32_i24_e32 v165, v165, v164
	v_add3_u32 v1, v1, v138, v139
	v_mad_i32_i24 v11, v11, v185, v152
	v_add3_u32 v5, v5, v145, v141
	v_add3_u32 v6, v10, v87, v143
	;; [unrolled: 1-line block ×3, first 2 shown]
	v_mul_lo_u32 v1, v1, v178
	v_add3_u32 v11, v11, v147, v142
	v_add3_u32 v4, v5, v159, v165
	;; [unrolled: 1-line block ×3, first 2 shown]
	v_and_b32_e32 v134, 0xffff, v136
	v_mul_i32_i24_e32 v135, v135, v82
	v_add3_u32 v7, v11, v160, v168
	v_mul_i32_i24_e32 v78, v78, v170
	s_wait_dscnt 0x0
	v_cvt_f32_ubyte0_e32 v81, v162
	v_mul_i32_i24_e32 v134, v134, v85
	v_bfe_u32 v86, v75, 24, 4
	v_cvt_f32_i32_e32 v3, v1
	v_bfe_u32 v1, v9, 20, 4
	v_bfe_u32 v9, v9, 4, 4
	v_add3_u32 v6, v7, v79, v135
	v_bfe_u32 v87, v73, 24, 4
	v_mul_i32_i24_e32 v86, v128, v86
	v_mul_i32_i24_e32 v1, v1, v84
	;; [unrolled: 1-line block ×3, first 2 shown]
	v_bfe_u32 v135, v75, 20, 4
	v_mul_i32_i24_e32 v87, v128, v87
	v_bfe_i32 v128, v132, 0, 16
	v_add3_u32 v1, v4, v78, v1
	v_add3_u32 v0, v0, v2, v9
	ds_load_b64 v[8:9], v118
	v_add3_u32 v2, v5, v134, v6
	v_add3_u32 v126, v126, v129, v128
	v_lshrrev_b32_e32 v134, 28, v73
	v_bfe_u32 v136, v73, 20, 4
	v_bfe_u32 v73, v73, 12, 4
	v_add3_u32 v0, v0, v1, v2
	v_and_b32_e32 v1, 0xffff, v163
	v_add_nc_u32_e32 v118, 8, v118
	s_delay_alu instid0(VALU_DEP_4) | instskip(NEXT) | instid1(VALU_DEP_3)
	v_mul_i32_i24_e32 v73, v85, v73
	v_mul_lo_u32 v0, v0, v1
	v_cvt_f32_ubyte1_e32 v1, v162
	s_wait_dscnt 0x0
	v_lshrrev_b32_e32 v2, 16, v8
	v_cvt_f32_f16_e32 v10, v8
	v_fma_mix_f32 v8, v8, v133, 0 op_sel_hi:[1,0,0]
	v_lshrrev_b32_e32 v133, 28, v75
	v_bfe_u32 v75, v75, 12, 4
	v_cvt_f32_f16_e32 v11, v2
	v_lshrrev_b32_e32 v2, 16, v9
	v_cvt_f32_i32_e32 v0, v0
	v_cvt_f32_f16_e32 v4, v9
	v_mul_i32_i24_e32 v75, v85, v75
	v_mov_b32_e32 v6, v11
	v_cvt_f32_f16_e32 v5, v2
	v_mul_i32_i24_e32 v85, v84, v136
	v_mul_i32_i24_e32 v84, v84, v135
	v_fma_mix_f32 v3, v9, v3, v8 op_sel_hi:[1,0,0]
	s_delay_alu instid0(VALU_DEP_1) | instskip(NEXT) | instid1(VALU_DEP_1)
	v_dual_mov_b32 v7, v5 :: v_dual_mul_f32 v8, v3, v119
	v_pk_mul_f32 v[6:7], v[6:7], v[76:77]
	ds_load_u16 v76, v124
	ds_load_u16 v77, v124 offset:8
	v_add_f32_e32 v2, 0, v6
	s_delay_alu instid0(VALU_DEP_1)
	v_add_f32_e32 v2, v2, v7
	v_pk_fma_f32 v[6:7], v[80:81], v[10:11], 0 op_sel_hi:[1,1,0]
	ds_load_u16 v78, v125 offset:17408
	ds_load_u16 v81, v125 offset:17416
	v_mul_f32_e32 v2, v2, v120
	v_pk_fma_f32 v[0:1], v[0:1], v[4:5], v[6:7]
	s_wait_dscnt 0x3
	v_lshrrev_b16 v80, 8, v76
	v_and_b32_e32 v76, 0xff, v76
	s_delay_alu instid0(VALU_DEP_3) | instskip(NEXT) | instid1(VALU_DEP_3)
	v_pk_mul_f32 v[0:1], v[0:1], v[68:69]
	v_and_b32_e32 v137, 0xffff, v80
	s_wait_dscnt 0x2
	v_cvt_f32_ubyte1_e32 v80, v77
	s_delay_alu instid0(VALU_DEP_3)
	v_dual_mov_b32 v9, v0 :: v_dual_mov_b32 v3, v1
	s_wait_dscnt 0x1
	v_lshrrev_b16 v124, 8, v78
	v_and_b32_e32 v125, 0xff, v78
	v_cvt_f32_ubyte0_e32 v78, v77
	v_mul_i32_i24_e32 v77, v122, v130
	v_mul_i32_i24_e32 v122, v123, v130
	v_ashrrev_i32_e32 v123, 16, v132
	v_and_b32_e32 v124, 0xffff, v124
	s_wait_dscnt 0x0
	v_cvt_f32_ubyte0_e32 v79, v81
	v_add3_u32 v77, v126, v77, v87
	v_ashrrev_i32_e32 v87, 16, v83
	v_add3_u32 v123, v127, v131, v123
	v_bfe_i32 v83, v83, 0, 16
	v_cvt_f32_ubyte1_e32 v81, v81
	v_mul_lo_u32 v76, v77, v76
	v_add3_u32 v72, v72, v87, v75
	v_add3_u32 v86, v123, v122, v86
	;; [unrolled: 1-line block ×3, first 2 shown]
	v_pk_add_f32 v[2:3], v[8:9], v[2:3] neg_lo:[0,1] neg_hi:[0,1]
	s_delay_alu instid0(VALU_DEP_3) | instskip(SKIP_2) | instid1(VALU_DEP_4)
	v_mul_lo_u32 v77, v86, v125
	v_mul_i32_i24_e32 v86, v82, v134
	v_mul_i32_i24_e32 v82, v82, v133
	v_pk_add_f32 v[20:21], v[20:21], v[2:3]
	v_cvt_f32_i32_e32 v76, v76
	s_delay_alu instid0(VALU_DEP_4) | instskip(NEXT) | instid1(VALU_DEP_4)
	v_add3_u32 v73, v73, v85, v86
	v_add3_u32 v72, v72, v84, v82
	s_delay_alu instid0(VALU_DEP_2) | instskip(NEXT) | instid1(VALU_DEP_2)
	v_mul_lo_u32 v74, v73, v137
	v_mul_lo_u32 v72, v72, v124
	v_cvt_f32_i32_e32 v77, v77
	s_delay_alu instid0(VALU_DEP_2) | instskip(NEXT) | instid1(VALU_DEP_4)
	v_cvt_f32_i32_e32 v73, v72
	v_cvt_f32_i32_e32 v72, v74
	v_mov_b32_e32 v74, v11
	s_delay_alu instid0(VALU_DEP_4) | instskip(NEXT) | instid1(VALU_DEP_2)
	v_pk_fma_f32 v[10:11], v[10:11], v[76:77], 0 op_sel_hi:[0,1,0]
	v_pk_fma_f32 v[74:75], v[74:75], v[78:79], 0 op_sel_hi:[0,1,0]
	v_mov_b32_e32 v78, v5
	s_delay_alu instid0(VALU_DEP_3) | instskip(NEXT) | instid1(VALU_DEP_2)
	v_pk_fma_f32 v[10:11], v[4:5], v[72:73], v[10:11] op_sel_hi:[0,1,1]
	v_pk_fma_f32 v[74:75], v[78:79], v[80:81], v[74:75] op_sel_hi:[0,1,1]
	s_delay_alu instid0(VALU_DEP_1) | instskip(NEXT) | instid1(VALU_DEP_1)
	v_pk_mul_f32 v[74:75], v[74:75], v[70:71]
	v_pk_fma_f32 v[0:1], v[10:11], v[66:67], v[74:75] neg_lo:[0,0,1] neg_hi:[0,0,1]
	s_delay_alu instid0(VALU_DEP_1)
	v_pk_add_f32 v[22:23], v[22:23], v[0:1]
	s_cbranch_scc1 .LBB211_19
; %bb.20:                               ;   in Loop: Header=BB211_5 Depth=1
	s_barrier_signal -1
	s_barrier_wait -1
	s_branch .LBB211_4
.LBB211_21:
	v_mov_b32_e32 v22, 0
	s_delay_alu instid0(VALU_DEP_1)
	v_dual_mov_b32 v23, v22 :: v_dual_mov_b32 v20, v22
	v_mov_b32_e32 v21, v22
.LBB211_22:
	s_mul_i32 s0, s7, s4
	s_wait_loadcnt 0x0
	v_cmp_gt_i32_e32 vcc_lo, s0, v13
	s_wait_xcnt 0x0
	s_and_saveexec_b32 s0, vcc_lo
	s_cbranch_execz .LBB211_31
; %bb.23:
	v_mul_lo_u32 v0, v13, s6
	v_add_nc_u32_e32 v1, s18, v17
	s_mov_b32 s0, exec_lo
	s_delay_alu instid0(VALU_DEP_1)
	v_cmpx_gt_u32_e64 s6, v1
	s_cbranch_execz .LBB211_25
; %bb.24:
	s_delay_alu instid0(VALU_DEP_3)
	v_add_nc_u32_e32 v2, v0, v1
	v_cvt_f16_f32_e32 v3, v22
	global_store_b16 v2, v3, s[8:9] scale_offset
.LBB211_25:
	s_wait_xcnt 0x0
	s_or_b32 exec_lo, exec_lo, s0
	v_add_nc_u32_e32 v2, 32, v1
	s_mov_b32 s0, exec_lo
	s_delay_alu instid0(VALU_DEP_1)
	v_cmpx_gt_u32_e64 s6, v2
	s_cbranch_execz .LBB211_27
; %bb.26:
	v_add_nc_u32_e32 v2, v0, v2
	v_cvt_f16_f32_e32 v3, v23
	global_store_b16 v2, v3, s[8:9] scale_offset
.LBB211_27:
	s_wait_xcnt 0x0
	s_or_b32 exec_lo, exec_lo, s0
	v_add_nc_u32_e32 v2, 64, v1
	s_mov_b32 s0, exec_lo
	s_delay_alu instid0(VALU_DEP_1)
	v_cmpx_gt_u32_e64 s6, v2
	s_cbranch_execz .LBB211_29
; %bb.28:
	v_add_nc_u32_e32 v2, v0, v2
	v_cvt_f16_f32_e32 v3, v20
	global_store_b16 v2, v3, s[8:9] scale_offset
.LBB211_29:
	s_wait_xcnt 0x0
	s_or_b32 exec_lo, exec_lo, s0
	v_add_nc_u32_e32 v1, 0x60, v1
	s_delay_alu instid0(VALU_DEP_1)
	v_cmp_gt_u32_e32 vcc_lo, s6, v1
	s_and_b32 exec_lo, exec_lo, vcc_lo
	s_cbranch_execz .LBB211_31
; %bb.30:
	v_add_nc_u32_e32 v0, v0, v1
	v_cvt_f16_f32_e32 v1, v21
	global_store_b16 v0, v1, s[8:9] scale_offset
.LBB211_31:
	s_sendmsg sendmsg(MSG_DEALLOC_VGPRS)
	s_endpgm
	.section	.rodata,"a",@progbits
	.p2align	6, 0x0
	.amdhsa_kernel _ZL8moe_q4_KIN3c104HalfELb0EEvPKvS3_PT_PKiS7_S7_iiiiiii
		.amdhsa_group_segment_fixed_size 20688
		.amdhsa_private_segment_fixed_size 0
		.amdhsa_kernarg_size 76
		.amdhsa_user_sgpr_count 2
		.amdhsa_user_sgpr_dispatch_ptr 0
		.amdhsa_user_sgpr_queue_ptr 0
		.amdhsa_user_sgpr_kernarg_segment_ptr 1
		.amdhsa_user_sgpr_dispatch_id 0
		.amdhsa_user_sgpr_kernarg_preload_length 0
		.amdhsa_user_sgpr_kernarg_preload_offset 0
		.amdhsa_user_sgpr_private_segment_size 0
		.amdhsa_wavefront_size32 1
		.amdhsa_uses_dynamic_stack 0
		.amdhsa_enable_private_segment 0
		.amdhsa_system_sgpr_workgroup_id_x 1
		.amdhsa_system_sgpr_workgroup_id_y 1
		.amdhsa_system_sgpr_workgroup_id_z 0
		.amdhsa_system_sgpr_workgroup_info 0
		.amdhsa_system_vgpr_workitem_id 1
		.amdhsa_next_free_vgpr 299
		.amdhsa_next_free_sgpr 24
		.amdhsa_named_barrier_count 0
		.amdhsa_reserve_vcc 1
		.amdhsa_float_round_mode_32 0
		.amdhsa_float_round_mode_16_64 0
		.amdhsa_float_denorm_mode_32 3
		.amdhsa_float_denorm_mode_16_64 3
		.amdhsa_fp16_overflow 0
		.amdhsa_memory_ordered 1
		.amdhsa_forward_progress 1
		.amdhsa_inst_pref_size 120
		.amdhsa_round_robin_scheduling 0
		.amdhsa_exception_fp_ieee_invalid_op 0
		.amdhsa_exception_fp_denorm_src 0
		.amdhsa_exception_fp_ieee_div_zero 0
		.amdhsa_exception_fp_ieee_overflow 0
		.amdhsa_exception_fp_ieee_underflow 0
		.amdhsa_exception_fp_ieee_inexact 0
		.amdhsa_exception_int_div_zero 0
	.end_amdhsa_kernel
	.section	.text._ZL8moe_q4_KIN3c104HalfELb0EEvPKvS3_PT_PKiS7_S7_iiiiiii,"axG",@progbits,_ZL8moe_q4_KIN3c104HalfELb0EEvPKvS3_PT_PKiS7_S7_iiiiiii,comdat
.Lfunc_end211:
	.size	_ZL8moe_q4_KIN3c104HalfELb0EEvPKvS3_PT_PKiS7_S7_iiiiiii, .Lfunc_end211-_ZL8moe_q4_KIN3c104HalfELb0EEvPKvS3_PT_PKiS7_S7_iiiiiii
                                        ; -- End function
	.set _ZL8moe_q4_KIN3c104HalfELb0EEvPKvS3_PT_PKiS7_S7_iiiiiii.num_vgpr, 299
	.set _ZL8moe_q4_KIN3c104HalfELb0EEvPKvS3_PT_PKiS7_S7_iiiiiii.num_agpr, 0
	.set _ZL8moe_q4_KIN3c104HalfELb0EEvPKvS3_PT_PKiS7_S7_iiiiiii.numbered_sgpr, 24
	.set _ZL8moe_q4_KIN3c104HalfELb0EEvPKvS3_PT_PKiS7_S7_iiiiiii.num_named_barrier, 0
	.set _ZL8moe_q4_KIN3c104HalfELb0EEvPKvS3_PT_PKiS7_S7_iiiiiii.private_seg_size, 0
	.set _ZL8moe_q4_KIN3c104HalfELb0EEvPKvS3_PT_PKiS7_S7_iiiiiii.uses_vcc, 1
	.set _ZL8moe_q4_KIN3c104HalfELb0EEvPKvS3_PT_PKiS7_S7_iiiiiii.uses_flat_scratch, 0
	.set _ZL8moe_q4_KIN3c104HalfELb0EEvPKvS3_PT_PKiS7_S7_iiiiiii.has_dyn_sized_stack, 0
	.set _ZL8moe_q4_KIN3c104HalfELb0EEvPKvS3_PT_PKiS7_S7_iiiiiii.has_recursion, 0
	.set _ZL8moe_q4_KIN3c104HalfELb0EEvPKvS3_PT_PKiS7_S7_iiiiiii.has_indirect_call, 0
	.section	.AMDGPU.csdata,"",@progbits
; Kernel info:
; codeLenInByte = 15360
; TotalNumSgprs: 26
; NumVgprs: 299
; ScratchSize: 0
; MemoryBound: 0
; FloatMode: 240
; IeeeMode: 1
; LDSByteSize: 20688 bytes/workgroup (compile time only)
; SGPRBlocks: 0
; VGPRBlocks: 18
; NumSGPRsForWavesPerEU: 26
; NumVGPRsForWavesPerEU: 299
; NamedBarCnt: 0
; Occupancy: 3
; WaveLimiterHint : 1
; COMPUTE_PGM_RSRC2:SCRATCH_EN: 0
; COMPUTE_PGM_RSRC2:USER_SGPR: 2
; COMPUTE_PGM_RSRC2:TRAP_HANDLER: 0
; COMPUTE_PGM_RSRC2:TGID_X_EN: 1
; COMPUTE_PGM_RSRC2:TGID_Y_EN: 1
; COMPUTE_PGM_RSRC2:TGID_Z_EN: 0
; COMPUTE_PGM_RSRC2:TIDIG_COMP_CNT: 1
	.section	.text._ZL8moe_q4_KIN3c104HalfELb1EEvPKvS3_PT_PKiS7_S7_iiiiiii,"axG",@progbits,_ZL8moe_q4_KIN3c104HalfELb1EEvPKvS3_PT_PKiS7_S7_iiiiiii,comdat
	.globl	_ZL8moe_q4_KIN3c104HalfELb1EEvPKvS3_PT_PKiS7_S7_iiiiiii ; -- Begin function _ZL8moe_q4_KIN3c104HalfELb1EEvPKvS3_PT_PKiS7_S7_iiiiiii
	.p2align	8
	.type	_ZL8moe_q4_KIN3c104HalfELb1EEvPKvS3_PT_PKiS7_S7_iiiiiii,@function
_ZL8moe_q4_KIN3c104HalfELb1EEvPKvS3_PT_PKiS7_S7_iiiiiii: ; @_ZL8moe_q4_KIN3c104HalfELb1EEvPKvS3_PT_PKiS7_S7_iiiiiii
; %bb.0:
	s_load_b128 s[4:7], s[0:1], 0x18
	s_bfe_u32 s2, ttmp6, 0x40010
	s_bfe_u32 s8, ttmp6, 0x40004
	s_add_co_i32 s2, s2, 1
	s_delay_alu instid0(SALU_CYCLE_1)
	s_mul_i32 s3, ttmp7, s2
	s_getreg_b32 s2, hwreg(HW_REG_IB_STS2, 6, 4)
	s_add_co_i32 s8, s8, s3
	s_cmp_eq_u32 s2, 0
	s_cselect_b32 s3, ttmp7, s8
	s_wait_kmcnt 0x0
	s_load_b32 s14, s[6:7], s3 offset:0x0 scale_offset
	s_wait_kmcnt 0x0
	s_cmp_gt_u32 s14, 0xff
	s_cbranch_scc1 .LBB212_31
; %bb.1:
	s_load_b64 s[6:7], s[0:1], 0x28
	s_lshl_b32 s3, s3, 3
	s_wait_kmcnt 0x0
	s_load_b32 s6, s[6:7], 0x0
	s_wait_kmcnt 0x0
	s_cmp_gt_u32 s3, s6
	s_cbranch_scc1 .LBB212_31
; %bb.2:
	v_bfe_u32 v1, v0, 10, 10
	s_and_b32 s11, ttmp6, 15
	v_and_b32_e32 v29, 0x3ff, v0
	s_mov_b32 s15, 0
	s_delay_alu instid0(VALU_DEP_2) | instskip(SKIP_1) | instid1(SALU_CYCLE_1)
	v_add_nc_u32_e32 v2, s3, v1
	s_bfe_u32 s3, ttmp6, 0x4000c
	s_add_co_i32 s3, s3, 1
	s_delay_alu instid0(SALU_CYCLE_1)
	s_mul_i32 s3, ttmp9, s3
	global_load_b32 v13, v2, s[4:5] scale_offset
	s_wait_xcnt 0x0
	s_clause 0x2
	s_load_b128 s[4:7], s[0:1], 0x30
	s_load_b64 s[12:13], s[0:1], 0x10
	s_load_b96 s[8:10], s[0:1], 0x40
	s_add_co_i32 s11, s11, s3
	s_cmp_eq_u32 s2, 0
	s_cselect_b32 s2, ttmp9, s11
	s_delay_alu instid0(SALU_CYCLE_1)
	s_lshl_b32 s11, s2, 7
	s_wait_kmcnt 0x0
	s_cmp_lt_i32 s5, 0x100
	s_cbranch_scc1 .LBB212_21
; %bb.3:
	s_load_b128 s[0:3], s[0:1], 0x0
	s_mul_i32 s18, s14, s4
	s_not_b32 s4, s11
	v_bfe_u32 v4, v0, 2, 8
	s_add_co_i32 s20, s6, s4
	s_delay_alu instid0(SALU_CYCLE_1) | instskip(SKIP_3) | instid1(VALU_DEP_3)
	v_dual_lshlrev_b32 v31, 5, v1 :: v_dual_min_i32 v5, s20, v1
	v_lshlrev_b32_e32 v3, 2, v29
	s_ashr_i32 s19, s18, 31
	v_lshl_add_u32 v4, v1, 3, v4
	v_add_nc_u32_e32 v2, v31, v29
	s_ashr_i32 s16, s5, 31
	s_ashr_i32 s17, s8, 31
	s_lshr_b32 s14, s16, 24
	v_and_b32_e32 v7, 0x7f, v4
	v_and_b32_e32 v2, 0x7f, v2
	v_mov_b32_e32 v15, 0
	v_bitop3_b32 v4, v4, 64, 0x7f bitop3:0x6c
	s_lshr_b32 s16, s17, 27
	v_lshl_add_u32 v41, v1, 7, 0x4a40
	v_min_i32_e32 v10, s20, v2
	s_wait_kmcnt 0x0
	s_add_nc_u64 s[18:19], s[0:1], s[18:19]
	s_abs_i32 s1, s10
	v_and_b32_e32 v16, 3, v0
	s_cvt_f32_u32 s0, s1
	v_ashrrev_i32_e32 v2, 31, v10
	s_add_co_i32 s6, s8, s16
	v_min_i32_e32 v62, s20, v7
	v_rcp_iflag_f32_e32 v6, s0
	v_cmp_gt_u32_e32 vcc_lo, 2, v16
	v_lshrrev_b32_e32 v2, 27, v2
	s_sub_co_i32 s8, 0, s1
	v_min_i32_e32 v64, s20, v4
	v_bfe_u32 v12, v0, 5, 5
	v_add_min_i32_e64 v8, v1, 8, s20
	v_add_nc_u32_e32 v2, v10, v2
	v_readfirstlane_b32 s0, v6
	v_add_nc_u32_e32 v6, 0xfe, v16
	v_add_min_i32_e64 v9, v1, 16, s20
	v_add_min_i32_e64 v11, v1, 24, s20
	v_ashrrev_i32_e32 v2, 5, v2
	s_mul_f32 s0, s0, 0x4f7ffffe
	v_and_b32_e32 v4, 0xff, v6
	s_wait_loadcnt 0x0
	v_dual_ashrrev_i32 v6, 31, v64 :: v_dual_sub_nc_u32 v7, 0, v13
	v_lshlrev_b32_e32 v2, 2, v2
	s_cvt_u32_f32 s0, s0
	v_lshlrev_b32_e32 v17, 2, v10
	s_delay_alu instid0(VALU_DEP_3) | instskip(NEXT) | instid1(SALU_CYCLE_1)
	v_dual_lshrrev_b32 v6, 29, v6 :: v_dual_max_i32 v7, v13, v7
	s_mul_i32 s8, s8, s0
	v_add_min_i32_e64 v36, v1, 32, s20
	s_mul_hi_u32 s8, s0, s8
	v_add3_u32 v35, v2, v17, 0x4e40
	v_ashrrev_i32_e32 v2, 31, v62
	s_add_co_i32 s0, s0, s8
	v_cndmask_b32_e32 v17, v4, v16, vcc_lo
	v_mul_hi_u32 v18, v7, s0
	s_delay_alu instid0(VALU_DEP_3)
	v_dual_lshrrev_b32 v2, 29, v2 :: v_dual_bitop2_b32 v4, 4, v3 bitop3:0x40
	v_cmp_ne_u32_e32 vcc_lo, 0, v16
	v_add_min_i32_e64 v38, v1, 40, s20
	v_lshlrev_b32_e32 v39, 1, v17
	v_add_min_i32_e64 v40, v1, 48, s20
	v_add_nc_u32_e32 v2, v62, v2
	v_add_min_i32_e64 v42, v1, 56, s20
	v_add_min_i32_e64 v44, v1, 64, s20
	v_and_b32_e32 v21, 31, v0
	v_mul_lo_u32 v20, v18, s1
	v_dual_ashrrev_i32 v19, 3, v2 :: v_dual_lshlrev_b32 v24, 4, v64
	v_add_co_ci_u32_e64 v2, null, 0, v17, vcc_lo
	v_cmp_lt_u32_e32 vcc_lo, 1, v16
	v_dual_lshlrev_b32 v16, 2, v16 :: v_dual_add_nc_u32 v6, v64, v6
	v_add_nc_u32_e32 v22, 1, v18
	v_lshl_add_u32 v43, v21, 2, v41
	v_cndmask_b32_e32 v37, 0, v4, vcc_lo
	s_delay_alu instid0(VALU_DEP_4) | instskip(SKIP_3) | instid1(VALU_DEP_4)
	v_dual_sub_nc_u32 v20, v7, v20 :: v_dual_ashrrev_i32 v6, 3, v6
	v_cndmask_b32_e64 v4, 0, 1, vcc_lo
	v_mov_b32_e32 v7, v15
	v_add_min_i32_e64 v46, 0x48, v1, s20
	v_subrev_nc_u32_e32 v23, s1, v20
	v_lshlrev_b32_e32 v6, 2, v6
	v_cmp_le_u32_e32 vcc_lo, s1, v20
	v_add_nc_u32_e32 v25, 0x5050, v3
	v_xor_b32_e32 v21, s10, v13
	v_add_min_i32_e64 v48, 0x50, v1, s20
	v_add_min_i32_e64 v50, 0x58, v1, s20
	v_dual_cndmask_b32 v18, v18, v22, vcc_lo :: v_dual_cndmask_b32 v20, v20, v23, vcc_lo
	v_add_min_i32_e64 v52, 0x60, v1, s20
	v_add_min_i32_e64 v54, 0x68, v1, s20
	;; [unrolled: 1-line block ×3, first 2 shown]
	s_delay_alu instid0(VALU_DEP_4)
	v_add_nc_u32_e32 v22, 1, v18
	v_cmp_le_u32_e32 vcc_lo, s1, v20
	v_add_min_i32_e64 v58, 0x78, v1, s20
	v_lshlrev_b32_e32 v1, 4, v1
	v_bfe_u32 v45, v0, 3, 7
	v_dual_ashrrev_i32 v0, 31, v21 :: v_dual_cndmask_b32 v18, v18, v22, vcc_lo
	v_dual_add_nc_u32 v20, 32, v29 :: v_dual_lshlrev_b32 v21, 2, v12
	v_add_nc_u32_e32 v22, 64, v29
	v_add_nc_u32_e32 v23, 0x60, v29
	s_delay_alu instid0(VALU_DEP_4) | instskip(NEXT) | instid1(VALU_DEP_4)
	v_xor_b32_e32 v18, v18, v0
	v_lshrrev_b32_e32 v47, 3, v20
	s_ashr_i32 s6, s6, 5
	v_dual_lshrrev_b32 v26, 3, v22 :: v_dual_lshlrev_b32 v19, 2, v19
	s_delay_alu instid0(VALU_DEP_2) | instskip(SKIP_2) | instid1(VALU_DEP_3)
	v_dual_sub_nc_u32 v0, v18, v0 :: v_dual_bitop2_b32 v18, 60, v47 bitop3:0x40
	v_add3_u32 v49, v21, v3, 0x4e40
	v_dual_lshlrev_b32 v28, 2, v20 :: v_dual_lshlrev_b32 v32, 2, v22
	v_mul_lo_u32 v20, v0, s6
	s_delay_alu instid0(VALU_DEP_4) | instskip(SKIP_4) | instid1(VALU_DEP_3)
	v_add3_u32 v51, v3, v18, 0x4e40
	v_dual_mov_b32 v18, v15 :: v_dual_lshrrev_b32 v27, 3, v23
	v_dual_lshlrev_b32 v34, 2, v23 :: v_dual_bitop2_b32 v21, 60, v26 bitop3:0x40
	s_add_co_i32 s14, s5, s14
	v_add3_u32 v17, v19, v16, 0x4200
	v_and_b32_e32 v30, 60, v27
	s_ashr_i32 s4, s14, 8
	v_lshlrev_b32_e32 v19, 4, v62
	v_add3_u32 v16, v6, v16, 0x4200
	v_and_b32_e32 v6, 28, v3
	v_mad_u32 v33, 0x84, v5, v3
	v_add3_u32 v55, v3, v30, 0x4e40
	v_mad_u32 v89, 0x84, v8, v3
	v_mad_u32 v90, 0x84, v9, v3
	;; [unrolled: 1-line block ×15, first 2 shown]
	v_dual_lshlrev_b32 v104, 2, v3 :: v_dual_lshlrev_b32 v105, 2, v28
	v_dual_lshlrev_b32 v106, 2, v32 :: v_dual_lshlrev_b32 v107, 2, v34
	v_mul_lo_u32 v28, v5, s4
	v_mul_lo_u32 v30, v8, s4
	v_mul_lo_u32 v32, v9, s4
	v_mul_lo_u32 v34, v11, s4
	v_mul_lo_u32 v36, v36, s4
	v_mul_lo_u32 v38, v38, s4
	v_mul_lo_u32 v40, v40, s4
	v_mul_lo_u32 v42, v42, s4
	v_mul_lo_u32 v44, v44, s4
	v_mul_lo_u32 v46, v46, s4
	v_mul_lo_u32 v48, v48, s4
	v_mul_lo_u32 v50, v50, s4
	v_mul_lo_u32 v52, v52, s4
	v_mul_lo_u32 v54, v54, s4
	v_mul_lo_u32 v56, v56, s4
	v_mul_lo_u32 v58, v58, s4
	v_mul_lo_u32 v60, v10, s4
	v_mul_lo_u32 v62, v62, s4
	v_mul_lo_u32 v64, v64, s4
	s_mul_i32 s16, s4, s11
	v_cmp_gt_u32_e64 s0, 4, v29
	v_cmp_gt_i32_e64 s1, s7, v0
	s_movk_i32 s8, 0x1080
	s_movk_i32 s14, 0x2100
	s_movk_i32 s20, 0x3180
	v_add_nc_u64_e32 v[22:23], s[2:3], v[6:7]
	s_ashr_i32 s17, s16, 31
	v_and_b32_e32 v14, 0x7c, v3
	v_add3_u32 v53, v3, v21, 0x4e40
	v_dual_ashrrev_i32 v21, 31, v20 :: v_dual_lshlrev_b32 v59, 2, v27
	v_add_nc_u32_e32 v57, 0x5050, v1
	v_dual_lshlrev_b32 v61, 2, v26 :: v_dual_add_nc_u32 v63, v17, v19
	v_dual_mov_b32 v19, v15 :: v_dual_add_nc_u32 v65, v16, v24
	v_dual_mov_b32 v17, v15 :: v_dual_add_nc_u32 v88, v25, v1
	v_dual_mov_b32 v16, v15 :: v_dual_lshlrev_b32 v24, 2, v2
	v_dual_mov_b32 v25, v15 :: v_dual_lshlrev_b32 v26, 2, v4
	v_mov_b32_e32 v27, v15
	v_mul_u32_u24_e32 v108, 0x84, v29
	v_mad_u32_u24 v109, 0x84, v29, s8
	v_mad_u32_u24 v110, 0x84, v29, s14
	;; [unrolled: 1-line block ×4, first 2 shown]
	v_dual_lshlrev_b32 v113, 4, v29 :: v_dual_lshlrev_b32 v114, 2, v47
	v_lshl_or_b32 v115, v45, 2, 0x4200
	v_lshlrev_b32_e32 v116, 2, v45
	s_mul_u64 s[16:17], s[16:17], 0x90
	s_and_b32 s8, s0, s1
	s_add_nc_u64 s[16:17], s[18:19], s[16:17]
	s_mov_b32 s14, s15
	s_branch .LBB212_5
.LBB212_4:                              ;   in Loop: Header=BB212_5 Depth=1
	s_add_co_i32 s14, s14, 1
	s_delay_alu instid0(SALU_CYCLE_1)
	s_cmp_eq_u32 s14, s4
	s_cbranch_scc1 .LBB212_22
.LBB212_5:                              ; =>This Loop Header: Depth=1
                                        ;     Child Loop BB212_11 Depth 2
                                        ;     Child Loop BB212_19 Depth 2
	s_mul_u64 s[18:19], s[14:15], 0x90
	s_delay_alu instid0(SALU_CYCLE_1) | instskip(NEXT) | instid1(SALU_CYCLE_1)
	s_add_nc_u64 s[18:19], s[16:17], s[18:19]
	v_mad_nc_u64_u32 v[0:1], 0x90, v12, s[18:19]
	v_mad_nc_i64_i32 v[2:3], 0x90, v62, s[18:19]
	v_mad_nc_i64_i32 v[4:5], 0x90, v64, s[18:19]
	s_delay_alu instid0(VALU_DEP_3)
	v_mad_nc_i64_i32 v[6:7], 0x90, v28, v[0:1]
	v_mad_nc_i64_i32 v[8:9], 0x90, v30, v[0:1]
	;; [unrolled: 1-line block ×4, first 2 shown]
	s_wait_xcnt 0x0
	v_mad_nc_i64_i32 v[68:69], 0x90, v36, v[0:1]
	v_add_nc_u64_e32 v[82:83], v[2:3], v[24:25]
	v_mad_nc_i64_i32 v[70:71], 0x90, v38, v[0:1]
	v_add_nc_u64_e32 v[84:85], v[4:5], v[24:25]
	v_mad_nc_i64_i32 v[72:73], 0x90, v40, v[0:1]
	v_mad_nc_i64_i32 v[76:77], 0x90, v44, v[0:1]
	v_add_nc_u64_e32 v[4:5], v[4:5], v[26:27]
	v_mad_nc_i64_i32 v[74:75], 0x90, v42, v[0:1]
	;; [unrolled: 3-line block ×3, first 2 shown]
	v_mad_nc_i64_i32 v[86:87], 0x90, v50, v[0:1]
	v_mad_nc_i64_i32 v[118:119], 0x90, v52, v[0:1]
	v_add_nc_u64_e32 v[6:7], v[6:7], v[14:15]
	s_clause 0x3
	global_load_b32 v117, v[82:83], off offset:4
	global_load_b32 v120, v[84:85], off offset:4
	;; [unrolled: 1-line block ×4, first 2 shown]
	s_wait_xcnt 0x0
	v_mad_nc_i64_i32 v[2:3], 0x90, v54, v[0:1]
	v_add_nc_u64_e32 v[8:9], v[8:9], v[14:15]
	v_mad_nc_i64_i32 v[4:5], 0x90, v56, v[0:1]
	v_add_nc_u64_e32 v[10:11], v[10:11], v[14:15]
	;; [unrolled: 2-line block ×3, first 2 shown]
	v_add_nc_u64_e32 v[68:69], v[68:69], v[14:15]
	v_add_nc_u64_e32 v[70:71], v[70:71], v[14:15]
	;; [unrolled: 1-line block ×5, first 2 shown]
	s_clause 0x7
	global_load_b32 v82, v[6:7], off offset:16
	global_load_b32 v83, v[8:9], off offset:16
	;; [unrolled: 1-line block ×8, first 2 shown]
	s_wait_xcnt 0x7
	v_add_nc_u64_e32 v[6:7], v[78:79], v[14:15]
	s_wait_xcnt 0x6
	v_add_nc_u64_e32 v[8:9], v[80:81], v[14:15]
	;; [unrolled: 2-line block ×4, first 2 shown]
	s_wait_xcnt 0x3
	v_mad_nc_i64_i32 v[68:69], 0x90, v60, s[18:19]
	v_add_nc_u64_e32 v[2:3], v[2:3], v[14:15]
	v_add_nc_u64_e32 v[4:5], v[4:5], v[14:15]
	;; [unrolled: 1-line block ×3, first 2 shown]
	s_clause 0x8
	global_load_b32 v70, v[76:77], off offset:16
	global_load_b32 v71, v[6:7], off offset:16
	;; [unrolled: 1-line block ×8, first 2 shown]
	global_load_b32 v80, v[68:69], off
	s_lshl_b32 s18, s14, 8
	s_delay_alu instid0(SALU_CYCLE_1)
	s_cmp_lt_i32 s18, s5
	s_wait_loadcnt 0x13
	s_wait_xcnt 0x1
	v_dual_ashrrev_i32 v0, v37, v117 :: v_dual_ashrrev_i32 v1, v37, v120
	s_wait_loadcnt 0x11
	v_dual_ashrrev_i32 v3, v39, v121 :: v_dual_ashrrev_i32 v2, v39, v122
	s_delay_alu instid0(VALU_DEP_2) | instskip(NEXT) | instid1(VALU_DEP_3)
	v_and_b32_e32 v0, 0xf0f0f0f, v0
	v_and_b32_e32 v1, 0xf0f0f0f, v1
	s_delay_alu instid0(VALU_DEP_2) | instskip(NEXT) | instid1(VALU_DEP_2)
	v_and_or_b32 v0, 0x30303030, v2, v0
	v_and_or_b32 v1, 0x30303030, v3, v1
	s_wait_loadcnt 0x10
	ds_store_b32 v33, v82
	s_wait_loadcnt 0xf
	ds_store_b32 v89, v83
	;; [unrolled: 2-line block ×17, first 2 shown]
	ds_store_b32 v63, v0
	ds_store_b32 v65, v1
	s_cbranch_scc0 .LBB212_4
; %bb.6:                                ;   in Loop: Header=BB212_5 Depth=1
	s_lshl_b32 s19, s14, 3
	s_delay_alu instid0(SALU_CYCLE_1) | instskip(NEXT) | instid1(VALU_DEP_1)
	v_add_nc_u32_e32 v0, s19, v45
	v_cmp_gt_i32_e32 vcc_lo, s6, v0
	s_and_b32 s21, s1, vcc_lo
	s_wait_xcnt 0x0
	s_and_saveexec_b32 s20, s21
	s_cbranch_execz .LBB212_8
; %bb.7:                                ;   in Loop: Header=BB212_5 Depth=1
	v_add_nc_u32_e32 v0, v20, v0
	s_delay_alu instid0(VALU_DEP_1)
	v_mad_nc_i64_i32 v[0:1], v0, 36, v[22:23]
	global_load_b32 v0, v[0:1], off offset:4
	s_wait_loadcnt 0x0
	ds_store_b32 v43, v0
.LBB212_8:                              ;   in Loop: Header=BB212_5 Depth=1
	s_or_b32 exec_lo, exec_lo, s20
	v_add_nc_u32_e32 v0, s19, v29
	s_delay_alu instid0(VALU_DEP_1) | instskip(SKIP_1) | instid1(SALU_CYCLE_1)
	v_cmp_gt_i32_e32 vcc_lo, s6, v0
	s_and_b32 s21, s8, vcc_lo
	s_and_saveexec_b32 s20, s21
	s_cbranch_execz .LBB212_10
; %bb.9:                                ;   in Loop: Header=BB212_5 Depth=1
	v_add_nc_u32_e32 v1, v20, v0
	s_delay_alu instid0(VALU_DEP_1)
	v_mad_nc_i64_i32 v[2:3], v1, 36, s[2:3]
	global_load_b32 v1, v[2:3], off
	s_wait_loadcnt 0x0
	ds_store_b32 v88, v1
.LBB212_10:                             ;   in Loop: Header=BB212_5 Depth=1
	s_or_b32 exec_lo, exec_lo, s20
	s_wait_dscnt 0x0
	s_barrier_signal -1
	s_barrier_wait -1
	ds_load_b32 v1, v51 offset:128
	ds_load_b32 v2, v49
	ds_load_b32 v4, v53 offset:256
	ds_load_b32 v6, v55 offset:384
	s_mov_b32 s21, 0
	s_mov_b32 s20, -1
	s_wait_dscnt 0x2
	v_dual_lshrrev_b32 v5, 16, v1 :: v_dual_lshrrev_b32 v7, 16, v2
	s_wait_dscnt 0x0
	v_dual_lshrrev_b32 v8, 16, v4 :: v_dual_lshrrev_b32 v9, 16, v6
	v_cvt_f32_f16_e32 v3, v1
	v_cvt_f32_f16_e32 v2, v2
	;; [unrolled: 1-line block ×8, first 2 shown]
.LBB212_11:                             ;   Parent Loop BB212_5 Depth=1
                                        ; =>  This Inner Loop Header: Depth=2
	s_lshr_b32 s23, s21, 2
	v_lshl_or_b32 v8, s21, 1, v31
	s_lshl_b32 s22, s21, 2
	s_add_co_i32 s21, s23, 0x4200
	v_dual_add_nc_u32 v80, s22, v108 :: v_dual_add_nc_u32 v141, s22, v109
	v_add3_u32 v81, s21, v114, v105
	v_dual_lshlrev_b32 v9, 2, v8 :: v_dual_lshrrev_b32 v8, 1, v8
	v_add3_u32 v10, s21, v116, v104
	ds_load_2addr_b32 v[72:73], v141 offset0:2 offset1:3
	ds_load_2addr_b32 v[70:71], v141 offset0:4 offset1:5
	ds_load_u16 v11, v81 offset:8
	ds_load_b128 v[66:69], v9 offset:19008
	ds_load_b128 v[74:77], v9 offset:19024
	;; [unrolled: 1-line block ×4, first 2 shown]
	ds_load_b64 v[8:9], v8 offset:20560
	ds_load_u16 v83, v10
	ds_load_u16 v10, v10 offset:8
	v_add3_u32 v186, s21, v59, v107
	v_add3_u32 v189, s21, v61, v106
	s_mov_b32 s21, 8
	s_and_b32 vcc_lo, exec_lo, s20
	s_mov_b32 s20, 0
	v_dual_add_nc_u32 v185, s22, v111 :: v_dual_add_nc_u32 v188, s22, v110
	s_wait_dscnt 0x7
	v_cvt_f32_ubyte0_e32 v79, v11
	v_cvt_f32_ubyte1_e32 v173, v11
	s_wait_dscnt 0x5
	v_lshrrev_b16 v162, 8, v74
	v_lshrrev_b16 v154, 8, v75
	v_dual_ashrrev_i32 v129, 24, v74 :: v_dual_ashrrev_i32 v117, 24, v75
	v_bfe_i32 v130, v74, 16, 8
	v_bfe_i32 v133, v74, 0, 8
	;; [unrolled: 1-line block ×4, first 2 shown]
	ds_load_2addr_b32 v[74:75], v80 offset1:1
	s_wait_dscnt 0x3
	v_lshrrev_b32_e32 v11, 16, v8
	v_lshrrev_b16 v167, 8, v67
	v_lshrrev_b16 v168, 8, v68
	v_dual_ashrrev_i32 v175, 24, v66 :: v_dual_ashrrev_i32 v159, 24, v67
	v_bfe_i32 v160, v67, 16, 8
	v_bfe_i32 v164, v67, 0, 8
	v_dual_ashrrev_i32 v142, 24, v68 :: v_dual_ashrrev_i32 v135, 24, v69
	v_bfe_i32 v143, v68, 16, 8
	v_bfe_i32 v149, v68, 0, 8
	v_lshrrev_b32_e32 v68, 16, v9
	v_cvt_f32_f16_e32 v67, v11
	v_lshrrev_b16 v177, 8, v120
	v_dual_ashrrev_i32 v169, 24, v120 :: v_dual_ashrrev_i32 v153, 24, v121
	v_bfe_i32 v171, v120, 16, 8
	v_bfe_i32 v174, v120, 0, 8
	v_ashrrev_i32_e32 v120, 24, v180
	s_wait_dscnt 0x1
	v_cvt_f32_ubyte0_e32 v78, v10
	v_cvt_f32_ubyte1_e32 v172, v10
	v_cvt_f32_f16_e32 v11, v68
	v_mov_b32_e32 v10, v67
	v_lshrrev_b16 v147, 8, v66
	v_lshrrev_b16 v161, 8, v69
	v_bfe_i32 v184, v66, 0, 8
	v_bfe_i32 v137, v69, 16, 8
	;; [unrolled: 1-line block ×3, first 2 shown]
	v_lshrrev_b16 v155, 8, v76
	v_dual_ashrrev_i32 v86, 24, v76 :: v_dual_ashrrev_i32 v84, 24, v77
	v_bfe_i32 v87, v76, 16, 8
	v_bfe_i32 v118, v76, 0, 8
	v_pk_fma_f32 v[68:69], v[10:11], v[78:79], 0 op_sel_hi:[0,1,0]
	s_wait_dscnt 0x0
	v_dual_mov_b32 v10, v11 :: v_dual_bitop2_b32 v76, 15, v74 bitop3:0x40
	v_bfe_i32 v176, v66, 16, 8
	v_lshrrev_b16 v148, 8, v77
	v_bfe_i32 v85, v77, 16, 8
	v_bfe_i32 v66, v77, 0, 8
	v_lshrrev_b16 v166, 8, v121
	v_bfe_i32 v158, v121, 16, 8
	v_bfe_i32 v165, v121, 0, 8
	v_ashrrev_i32_e32 v121, 24, v181
	v_pk_fma_f32 v[68:69], v[10:11], v[172:173], v[68:69] op_sel_hi:[0,1,1]
	v_bfe_i32 v173, v147, 0, 8
	v_mul_i32_i24_e32 v76, v184, v76
	v_bfe_u32 v77, v74, 8, 4
	v_bfe_u32 v78, v74, 24, 4
	v_lshrrev_b16 v163, 8, v122
	v_lshrrev_b16 v156, 8, v123
	v_dual_ashrrev_i32 v144, 24, v122 :: v_dual_ashrrev_i32 v136, 24, v123
	v_mad_i32_i24 v76, v173, v77, v76
	v_bfe_u32 v77, v74, 16, 4
	v_mul_i32_i24_e32 v78, v175, v78
	v_bfe_i32 v145, v122, 16, 8
	v_bfe_i32 v152, v122, 0, 8
	;; [unrolled: 1-line block ×3, first 2 shown]
	v_mul_i32_i24_e32 v77, v176, v77
	v_bfe_i32 v140, v123, 0, 8
	v_lshrrev_b16 v157, 8, v178
	v_lshrrev_b16 v150, 8, v179
	;; [unrolled: 1-line block ×3, first 2 shown]
	v_add3_u32 v170, v76, v77, v78
	ds_load_2addr_b32 v[76:77], v141 offset1:1
	v_lshrrev_b16 v146, 8, v181
	v_dual_ashrrev_i32 v131, 24, v178 :: v_dual_ashrrev_i32 v123, 24, v179
	v_bfe_i32 v132, v178, 16, 8
	v_bfe_i32 v134, v178, 0, 8
	;; [unrolled: 1-line block ×16, first 2 shown]
	s_wait_dscnt 0x0
	v_and_b32_e32 v78, 15, v76
	v_bfe_u32 v79, v76, 8, 4
	v_bfe_u32 v147, v76, 24, 4
	v_bfe_i32 v148, v148, 0, 8
	v_pk_mul_f32 v[68:69], v[68:69], v[4:5]
	v_mul_i32_i24_e32 v78, v184, v78
	s_delay_alu instid0(VALU_DEP_4) | instskip(NEXT) | instid1(VALU_DEP_2)
	v_mul_i32_i24_e32 v147, v175, v147
	v_mad_i32_i24 v78, v173, v79, v78
	v_bfe_u32 v79, v76, 16, 4
	s_delay_alu instid0(VALU_DEP_1) | instskip(NEXT) | instid1(VALU_DEP_1)
	v_mul_i32_i24_e32 v79, v176, v79
	v_add3_u32 v172, v78, v79, v147
	ds_load_2addr_b32 v[178:179], v185 offset0:2 offset1:3
	ds_load_2addr_b32 v[78:79], v185 offset0:4 offset1:5
	ds_load_u16 v147, v186 offset:8
	ds_load_2addr_b32 v[180:181], v185 offset1:1
	s_wait_dscnt 0x0
	v_and_b32_e32 v182, 15, v181
	v_and_b32_e32 v183, 15, v180
	v_bfe_u32 v192, v180, 16, 4
	v_bfe_u32 v193, v180, 24, 4
	v_lshrrev_b32_e32 v194, 28, v180
	v_mul_i32_i24_e32 v182, v182, v164
	s_delay_alu instid0(VALU_DEP_1) | instskip(SKIP_4) | instid1(VALU_DEP_1)
	v_mad_i32_i24 v187, v183, v184, v182
	ds_load_u16 v190, v189 offset:8
	ds_load_2addr_b32 v[182:183], v188 offset1:1
	s_wait_dscnt 0x0
	v_and_b32_e32 v191, 15, v182
	v_mul_i32_i24_e32 v184, v184, v191
	v_bfe_u32 v191, v181, 16, 4
	s_delay_alu instid0(VALU_DEP_1) | instskip(NEXT) | instid1(VALU_DEP_1)
	v_mul_i32_i24_e32 v191, v191, v160
	v_mad_i32_i24 v191, v192, v176, v191
	v_bfe_u32 v192, v182, 16, 4
	s_delay_alu instid0(VALU_DEP_1) | instskip(SKIP_1) | instid1(VALU_DEP_1)
	v_mul_i32_i24_e32 v176, v176, v192
	v_bfe_u32 v192, v181, 24, 4
	v_mul_i32_i24_e32 v192, v192, v159
	s_delay_alu instid0(VALU_DEP_1) | instskip(SKIP_1) | instid1(VALU_DEP_1)
	v_mad_i32_i24 v192, v193, v175, v192
	v_bfe_u32 v193, v182, 24, 4
	v_mul_i32_i24_e32 v175, v175, v193
	v_bfe_u32 v193, v182, 8, 4
	s_delay_alu instid0(VALU_DEP_1) | instskip(SKIP_2) | instid1(VALU_DEP_3)
	v_mad_i32_i24 v184, v173, v193, v184
	v_bfe_i32 v193, v177, 0, 8
	v_bfe_u32 v177, v180, 20, 4
	v_add3_u32 v184, v184, v176, v175
	v_bfe_u32 v175, v178, 16, 4
	v_bfe_u32 v176, v179, 16, 4
	s_delay_alu instid0(VALU_DEP_2) | instskip(NEXT) | instid1(VALU_DEP_2)
	v_mul_i32_i24_e32 v175, v175, v143
	v_mul_i32_i24_e32 v176, v176, v137
	s_delay_alu instid0(VALU_DEP_1) | instskip(SKIP_2) | instid1(VALU_DEP_2)
	v_add3_u32 v191, v191, v175, v176
	v_and_b32_e32 v175, 15, v178
	v_and_b32_e32 v176, 15, v179
	v_mul_i32_i24_e32 v175, v175, v149
	s_delay_alu instid0(VALU_DEP_2) | instskip(NEXT) | instid1(VALU_DEP_1)
	v_mul_i32_i24_e32 v176, v176, v139
	v_add3_u32 v187, v187, v175, v176
	v_bfe_u32 v175, v178, 24, 4
	v_bfe_u32 v176, v179, 24, 4
	s_delay_alu instid0(VALU_DEP_2) | instskip(NEXT) | instid1(VALU_DEP_2)
	v_mul_i32_i24_e32 v175, v175, v142
	v_mul_i32_i24_e32 v176, v176, v135
	s_delay_alu instid0(VALU_DEP_1) | instskip(SKIP_2) | instid1(VALU_DEP_2)
	v_add3_u32 v192, v192, v175, v176
	v_bfe_u32 v175, v74, 4, 4
	v_bfe_u32 v176, v74, 12, 4
	v_mul_i32_i24_e32 v175, v174, v175
	s_delay_alu instid0(VALU_DEP_1) | instskip(SKIP_2) | instid1(VALU_DEP_2)
	v_mad_i32_i24 v175, v193, v176, v175
	v_bfe_u32 v176, v74, 20, 4
	v_lshrrev_b32_e32 v74, 28, v74
	v_mul_i32_i24_e32 v176, v171, v176
	s_delay_alu instid0(VALU_DEP_2) | instskip(NEXT) | instid1(VALU_DEP_1)
	v_mul_i32_i24_e32 v74, v169, v74
	v_add3_u32 v74, v175, v176, v74
	v_bfe_u32 v175, v76, 4, 4
	v_bfe_u32 v176, v76, 12, 4
	s_delay_alu instid0(VALU_DEP_2) | instskip(NEXT) | instid1(VALU_DEP_1)
	v_mul_i32_i24_e32 v175, v174, v175
	v_mad_i32_i24 v175, v193, v176, v175
	v_bfe_u32 v176, v76, 20, 4
	v_lshrrev_b32_e32 v76, 28, v76
	s_delay_alu instid0(VALU_DEP_2) | instskip(NEXT) | instid1(VALU_DEP_2)
	v_mul_i32_i24_e32 v176, v171, v176
	v_mul_i32_i24_e32 v76, v169, v76
	s_delay_alu instid0(VALU_DEP_1) | instskip(SKIP_2) | instid1(VALU_DEP_2)
	v_add3_u32 v76, v175, v176, v76
	v_bfe_u32 v175, v181, 4, 4
	v_bfe_u32 v176, v180, 4, 4
	v_mul_i32_i24_e32 v175, v175, v165
	s_delay_alu instid0(VALU_DEP_1) | instskip(SKIP_1) | instid1(VALU_DEP_1)
	v_mad_i32_i24 v175, v176, v174, v175
	v_bfe_u32 v176, v182, 4, 4
	v_mul_i32_i24_e32 v174, v174, v176
	v_bfe_u32 v176, v181, 20, 4
	s_delay_alu instid0(VALU_DEP_1) | instskip(NEXT) | instid1(VALU_DEP_1)
	v_mul_i32_i24_e32 v176, v176, v158
	v_mad_i32_i24 v176, v177, v171, v176
	v_bfe_u32 v177, v182, 20, 4
	s_delay_alu instid0(VALU_DEP_1) | instskip(SKIP_1) | instid1(VALU_DEP_1)
	v_mul_i32_i24_e32 v171, v171, v177
	v_lshrrev_b32_e32 v177, 28, v181
	v_mul_i32_i24_e32 v177, v177, v153
	s_delay_alu instid0(VALU_DEP_1) | instskip(SKIP_2) | instid1(VALU_DEP_2)
	v_mad_i32_i24 v177, v194, v169, v177
	v_lshrrev_b32_e32 v194, 28, v182
	v_bfe_u32 v182, v182, 12, 4
	v_mul_i32_i24_e32 v169, v169, v194
	s_delay_alu instid0(VALU_DEP_2) | instskip(NEXT) | instid1(VALU_DEP_1)
	v_mad_i32_i24 v174, v193, v182, v174
	v_add3_u32 v169, v174, v171, v169
	v_bfe_u32 v171, v178, 20, 4
	v_bfe_u32 v174, v179, 20, 4
	s_delay_alu instid0(VALU_DEP_2) | instskip(NEXT) | instid1(VALU_DEP_2)
	v_mul_i32_i24_e32 v171, v171, v145
	v_mul_i32_i24_e32 v174, v174, v138
	s_delay_alu instid0(VALU_DEP_1) | instskip(SKIP_2) | instid1(VALU_DEP_2)
	v_add3_u32 v171, v176, v171, v174
	v_bfe_u32 v174, v178, 4, 4
	v_bfe_u32 v176, v179, 4, 4
	v_mul_i32_i24_e32 v174, v174, v152
	s_delay_alu instid0(VALU_DEP_2) | instskip(NEXT) | instid1(VALU_DEP_1)
	v_mul_i32_i24_e32 v176, v176, v140
	v_add3_u32 v182, v175, v174, v176
	v_dual_lshrrev_b32 v174, 28, v178 :: v_dual_lshrrev_b32 v175, 28, v179
	v_mov_b32_e32 v176, v67
	s_delay_alu instid0(VALU_DEP_2) | instskip(NEXT) | instid1(VALU_DEP_3)
	v_mul_i32_i24_e32 v174, v174, v144
	v_mul_i32_i24_e32 v175, v175, v136
	s_delay_alu instid0(VALU_DEP_1) | instskip(SKIP_4) | instid1(VALU_DEP_2)
	v_add3_u32 v194, v177, v174, v175
	v_cvt_f32_ubyte0_e32 v174, v190
	v_cvt_f32_ubyte1_e32 v175, v190
	v_mov_b32_e32 v177, v11
	v_bfe_i32 v190, v161, 0, 8
	v_pk_mul_f32 v[174:175], v[176:177], v[174:175]
	v_and_b32_e32 v176, 0xf0f0f0f, v180
	v_and_b32_e32 v177, 0xf0f0f0f, v178
	v_lshrrev_b32_e32 v178, 4, v178
	s_delay_alu instid0(VALU_DEP_3) | instskip(NEXT) | instid1(VALU_DEP_3)
	v_lshrrev_b16 v176, 8, v176
	v_lshrrev_b16 v177, 8, v177
	s_delay_alu instid0(VALU_DEP_3) | instskip(NEXT) | instid1(VALU_DEP_3)
	v_lshrrev_b16 v178, 8, v178
	v_and_b32_e32 v176, 0xffff, v176
	s_delay_alu instid0(VALU_DEP_3) | instskip(NEXT) | instid1(VALU_DEP_3)
	v_and_b32_e32 v177, 0xffff, v177
	v_and_b32_e32 v178, 15, v178
	s_delay_alu instid0(VALU_DEP_3) | instskip(SKIP_1) | instid1(VALU_DEP_4)
	v_mul_i32_i24_e32 v173, v176, v173
	v_and_b32_e32 v176, 0xf0f0f0f, v181
	v_mul_i32_i24_e32 v177, v177, v168
	s_delay_alu instid0(VALU_DEP_4) | instskip(NEXT) | instid1(VALU_DEP_3)
	v_and_b32_e32 v178, 0xffff, v178
	v_lshrrev_b16 v176, 8, v176
	s_delay_alu instid0(VALU_DEP_2) | instskip(NEXT) | instid1(VALU_DEP_2)
	v_mul_i32_i24_e32 v178, v178, v163
	v_and_b32_e32 v176, 0xffff, v176
	s_delay_alu instid0(VALU_DEP_1) | instskip(NEXT) | instid1(VALU_DEP_1)
	v_mul_i32_i24_e32 v176, v176, v167
	v_add3_u32 v173, v173, v176, v177
	v_and_b32_e32 v176, 15, v75
	v_bfe_u32 v177, v75, 8, 4
	s_delay_alu instid0(VALU_DEP_2) | instskip(NEXT) | instid1(VALU_DEP_2)
	v_mul_i32_i24_e32 v176, v164, v176
	v_mul_i32_i24_e32 v177, v167, v177
	s_delay_alu instid0(VALU_DEP_1) | instskip(SKIP_2) | instid1(VALU_DEP_2)
	v_add3_u32 v170, v170, v177, v176
	v_and_b32_e32 v176, 15, v77
	v_bfe_u32 v177, v77, 8, 4
	v_mul_i32_i24_e32 v176, v164, v176
	s_delay_alu instid0(VALU_DEP_2) | instskip(NEXT) | instid1(VALU_DEP_1)
	v_mul_i32_i24_e32 v177, v167, v177
	v_add3_u32 v172, v172, v177, v176
	v_and_b32_e32 v176, 15, v183
	v_and_b32_e32 v177, 15, v79
	s_delay_alu instid0(VALU_DEP_2) | instskip(SKIP_1) | instid1(VALU_DEP_3)
	v_mul_i32_i24_e32 v164, v164, v176
	v_bfe_u32 v176, v183, 8, 4
	v_mul_i32_i24_e32 v177, v177, v128
	s_delay_alu instid0(VALU_DEP_2) | instskip(SKIP_1) | instid1(VALU_DEP_2)
	v_mul_i32_i24_e32 v167, v167, v176
	v_bfe_u32 v176, v79, 24, 4
	v_add3_u32 v164, v184, v167, v164
	v_bfe_u32 v167, v78, 24, 4
	s_delay_alu instid0(VALU_DEP_3) | instskip(SKIP_1) | instid1(VALU_DEP_3)
	v_mul_i32_i24_e32 v176, v176, v117
	v_bfe_u32 v184, v79, 16, 4
	v_mul_i32_i24_e32 v167, v167, v129
	s_delay_alu instid0(VALU_DEP_2) | instskip(NEXT) | instid1(VALU_DEP_2)
	v_mul_i32_i24_e32 v184, v184, v119
	v_add3_u32 v167, v192, v167, v176
	v_and_b32_e32 v176, 15, v78
	s_delay_alu instid0(VALU_DEP_1) | instskip(NEXT) | instid1(VALU_DEP_1)
	v_mul_i32_i24_e32 v176, v176, v133
	v_add3_u32 v176, v187, v176, v177
	v_bfe_u32 v177, v78, 16, 4
	v_bfe_u32 v187, v75, 12, 4
	s_delay_alu instid0(VALU_DEP_2) | instskip(NEXT) | instid1(VALU_DEP_2)
	v_mul_i32_i24_e32 v177, v177, v130
	v_mul_i32_i24_e32 v187, v166, v187
	s_delay_alu instid0(VALU_DEP_2) | instskip(SKIP_1) | instid1(VALU_DEP_1)
	v_add3_u32 v177, v191, v177, v184
	v_bfe_u32 v184, v75, 4, 4
	v_mul_i32_i24_e32 v184, v165, v184
	s_delay_alu instid0(VALU_DEP_1) | instskip(SKIP_2) | instid1(VALU_DEP_2)
	v_add3_u32 v74, v74, v184, v187
	v_bfe_u32 v184, v77, 4, 4
	v_bfe_u32 v187, v77, 12, 4
	v_mul_i32_i24_e32 v184, v165, v184
	s_delay_alu instid0(VALU_DEP_2) | instskip(NEXT) | instid1(VALU_DEP_1)
	v_mul_i32_i24_e32 v187, v166, v187
	v_add3_u32 v76, v76, v184, v187
	v_bfe_u32 v184, v183, 4, 4
	v_bfe_u32 v187, v79, 4, 4
	s_delay_alu instid0(VALU_DEP_2) | instskip(SKIP_1) | instid1(VALU_DEP_3)
	v_mul_i32_i24_e32 v165, v165, v184
	v_bfe_u32 v184, v183, 12, 4
	v_mul_i32_i24_e32 v187, v187, v127
	s_delay_alu instid0(VALU_DEP_2) | instskip(NEXT) | instid1(VALU_DEP_1)
	v_mul_i32_i24_e32 v184, v166, v184
	v_add3_u32 v165, v169, v165, v184
	v_dual_lshrrev_b32 v169, 28, v78 :: v_dual_lshrrev_b32 v184, 28, v79
	s_delay_alu instid0(VALU_DEP_1) | instskip(NEXT) | instid1(VALU_DEP_2)
	v_mul_i32_i24_e32 v169, v169, v131
	v_mul_i32_i24_e32 v184, v184, v123
	s_delay_alu instid0(VALU_DEP_1) | instskip(SKIP_1) | instid1(VALU_DEP_1)
	v_add3_u32 v169, v194, v169, v184
	v_bfe_u32 v184, v78, 4, 4
	v_mul_i32_i24_e32 v184, v184, v134
	s_delay_alu instid0(VALU_DEP_1) | instskip(SKIP_2) | instid1(VALU_DEP_2)
	v_add3_u32 v182, v182, v184, v187
	v_bfe_u32 v184, v78, 20, 4
	v_bfe_u32 v187, v79, 20, 4
	v_mul_i32_i24_e32 v184, v184, v132
	s_delay_alu instid0(VALU_DEP_2) | instskip(NEXT) | instid1(VALU_DEP_1)
	v_mul_i32_i24_e32 v187, v187, v124
	v_add3_u32 v171, v171, v184, v187
	v_and_b32_e32 v184, 0xf0f0f0f, v179
	v_and_b32_e32 v187, 0xf0f0f0f, v78
	s_delay_alu instid0(VALU_DEP_2) | instskip(NEXT) | instid1(VALU_DEP_2)
	v_lshrrev_b16 v184, 8, v184
	v_lshrrev_b16 v187, 8, v187
	s_delay_alu instid0(VALU_DEP_2) | instskip(NEXT) | instid1(VALU_DEP_2)
	v_and_b32_e32 v161, 0xffff, v184
	v_and_b32_e32 v184, 0xffff, v187
	s_delay_alu instid0(VALU_DEP_2) | instskip(NEXT) | instid1(VALU_DEP_2)
	v_mul_i32_i24_e32 v161, v161, v190
	v_mul_i32_i24_e32 v184, v184, v162
	s_delay_alu instid0(VALU_DEP_1) | instskip(SKIP_1) | instid1(VALU_DEP_1)
	v_add3_u32 v173, v173, v161, v184
	v_dual_lshrrev_b32 v161, 4, v180 :: v_dual_lshrrev_b32 v180, 4, v181
	v_lshrrev_b16 v161, 8, v161
	s_delay_alu instid0(VALU_DEP_2) | instskip(NEXT) | instid1(VALU_DEP_2)
	v_lshrrev_b16 v180, 8, v180
	v_and_b32_e32 v161, 15, v161
	s_delay_alu instid0(VALU_DEP_2) | instskip(NEXT) | instid1(VALU_DEP_2)
	v_and_b32_e32 v180, 15, v180
	v_and_b32_e32 v161, 0xffff, v161
	s_delay_alu instid0(VALU_DEP_2) | instskip(NEXT) | instid1(VALU_DEP_2)
	v_and_b32_e32 v180, 0xffff, v180
	v_mul_i32_i24_e32 v161, v161, v193
	s_delay_alu instid0(VALU_DEP_2) | instskip(NEXT) | instid1(VALU_DEP_1)
	v_mul_i32_i24_e32 v166, v180, v166
	v_add3_u32 v166, v161, v166, v178
	v_bfe_u32 v161, v75, 16, 4
	v_bfe_u32 v178, v75, 24, 4
	s_delay_alu instid0(VALU_DEP_2) | instskip(NEXT) | instid1(VALU_DEP_2)
	v_mul_i32_i24_e32 v161, v160, v161
	v_mul_i32_i24_e32 v178, v159, v178
	s_delay_alu instid0(VALU_DEP_1) | instskip(SKIP_2) | instid1(VALU_DEP_2)
	v_add3_u32 v170, v170, v161, v178
	v_bfe_u32 v161, v77, 16, 4
	v_bfe_u32 v178, v77, 24, 4
	v_mul_i32_i24_e32 v161, v160, v161
	s_delay_alu instid0(VALU_DEP_2) | instskip(NEXT) | instid1(VALU_DEP_1)
	v_mul_i32_i24_e32 v178, v159, v178
	v_add3_u32 v172, v172, v161, v178
	v_bfe_u32 v161, v183, 16, 4
	s_delay_alu instid0(VALU_DEP_1) | instskip(SKIP_1) | instid1(VALU_DEP_1)
	v_mul_i32_i24_e32 v160, v160, v161
	v_bfe_u32 v161, v183, 24, 4
	v_mul_i32_i24_e32 v159, v159, v161
	s_delay_alu instid0(VALU_DEP_1) | instskip(SKIP_4) | instid1(VALU_DEP_2)
	v_add3_u32 v164, v164, v160, v159
	ds_load_2addr_b32 v[160:161], v185 offset0:6 offset1:7
	s_wait_dscnt 0x0
	v_bfe_u32 v159, v160, 16, 4
	v_bfe_u32 v178, v161, 16, 4
	v_mul_i32_i24_e32 v159, v159, v87
	s_delay_alu instid0(VALU_DEP_2) | instskip(NEXT) | instid1(VALU_DEP_1)
	v_mul_i32_i24_e32 v178, v178, v85
	v_add3_u32 v177, v177, v159, v178
	v_and_b32_e32 v159, 15, v160
	v_and_b32_e32 v178, 15, v161
	s_delay_alu instid0(VALU_DEP_2) | instskip(NEXT) | instid1(VALU_DEP_2)
	v_mul_i32_i24_e32 v159, v159, v118
	v_mul_i32_i24_e32 v178, v178, v66
	s_delay_alu instid0(VALU_DEP_1) | instskip(SKIP_2) | instid1(VALU_DEP_2)
	v_add3_u32 v176, v176, v159, v178
	v_bfe_u32 v159, v160, 24, 4
	v_bfe_u32 v178, v161, 24, 4
	v_mul_i32_i24_e32 v159, v159, v86
	s_delay_alu instid0(VALU_DEP_2) | instskip(NEXT) | instid1(VALU_DEP_1)
	v_mul_i32_i24_e32 v178, v178, v84
	v_add3_u32 v167, v167, v159, v178
	v_bfe_u32 v159, v75, 20, 4
	v_lshrrev_b32_e32 v75, 28, v75
	s_delay_alu instid0(VALU_DEP_2) | instskip(NEXT) | instid1(VALU_DEP_2)
	v_mul_i32_i24_e32 v159, v158, v159
	v_mul_i32_i24_e32 v75, v153, v75
	s_delay_alu instid0(VALU_DEP_1) | instskip(SKIP_2) | instid1(VALU_DEP_2)
	v_add3_u32 v178, v74, v159, v75
	v_bfe_u32 v74, v77, 20, 4
	v_lshrrev_b32_e32 v75, 28, v77
	v_mul_i32_i24_e32 v74, v158, v74
	s_delay_alu instid0(VALU_DEP_2) | instskip(NEXT) | instid1(VALU_DEP_1)
	v_mul_i32_i24_e32 v75, v153, v75
	v_add3_u32 v180, v76, v74, v75
	v_bfe_u32 v74, v183, 20, 4
	v_lshrrev_b32_e32 v75, 28, v183
	s_delay_alu instid0(VALU_DEP_2) | instskip(NEXT) | instid1(VALU_DEP_2)
	v_mul_i32_i24_e32 v74, v158, v74
	v_mul_i32_i24_e32 v75, v153, v75
	s_delay_alu instid0(VALU_DEP_1) | instskip(SKIP_2) | instid1(VALU_DEP_2)
	v_add3_u32 v165, v165, v74, v75
	v_bfe_u32 v74, v160, 20, 4
	v_bfe_u32 v75, v161, 20, 4
	v_mul_i32_i24_e32 v74, v74, v125
	s_delay_alu instid0(VALU_DEP_2) | instskip(NEXT) | instid1(VALU_DEP_1)
	v_mul_i32_i24_e32 v75, v75, v122
	v_add3_u32 v171, v171, v74, v75
	v_bfe_u32 v74, v160, 4, 4
	v_bfe_u32 v75, v161, 4, 4
	s_delay_alu instid0(VALU_DEP_2) | instskip(NEXT) | instid1(VALU_DEP_2)
	v_mul_i32_i24_e32 v74, v74, v126
	v_mul_i32_i24_e32 v75, v75, v10
	s_delay_alu instid0(VALU_DEP_1) | instskip(SKIP_2) | instid1(VALU_DEP_2)
	v_add3_u32 v181, v182, v74, v75
	v_dual_lshrrev_b32 v74, 28, v160 :: v_dual_lshrrev_b32 v75, 28, v161
	v_bfe_i32 v182, v157, 0, 8
	v_mul_i32_i24_e32 v74, v74, v120
	s_delay_alu instid0(VALU_DEP_3) | instskip(NEXT) | instid1(VALU_DEP_1)
	v_mul_i32_i24_e32 v75, v75, v121
	v_add3_u32 v169, v169, v74, v75
	v_add_f32_e32 v74, 0, v174
	v_and_b32_e32 v75, 0xf0f0f0f, v160
	v_bfe_i32 v174, v154, 0, 8
	s_delay_alu instid0(VALU_DEP_3) | instskip(SKIP_1) | instid1(VALU_DEP_4)
	v_add_f32_e32 v153, v74, v175
	v_and_b32_e32 v74, 0xf0f0f0f, v79
	v_lshrrev_b16 v75, 8, v75
	v_bfe_i32 v175, v155, 0, 8
	v_lshrrev_b32_e32 v79, 4, v79
	s_delay_alu instid0(VALU_DEP_4) | instskip(NEXT) | instid1(VALU_DEP_4)
	v_lshrrev_b16 v74, 8, v74
	v_and_b32_e32 v75, 0xffff, v75
	s_delay_alu instid0(VALU_DEP_3) | instskip(SKIP_1) | instid1(VALU_DEP_4)
	v_lshrrev_b16 v79, 8, v79
	v_lshrrev_b32_e32 v160, 4, v160
	v_and_b32_e32 v74, 0xffff, v74
	s_delay_alu instid0(VALU_DEP_4) | instskip(NEXT) | instid1(VALU_DEP_4)
	v_mul_i32_i24_e32 v75, v75, v175
	v_and_b32_e32 v79, 15, v79
	s_delay_alu instid0(VALU_DEP_4) | instskip(NEXT) | instid1(VALU_DEP_4)
	v_lshrrev_b16 v160, 8, v160
	v_mul_i32_i24_e32 v74, v74, v174
	s_delay_alu instid0(VALU_DEP_3) | instskip(NEXT) | instid1(VALU_DEP_3)
	v_and_b32_e32 v79, 0xffff, v79
	v_and_b32_e32 v160, 15, v160
	s_delay_alu instid0(VALU_DEP_3) | instskip(SKIP_2) | instid1(VALU_DEP_4)
	v_add3_u32 v173, v173, v74, v75
	v_dual_lshrrev_b32 v74, 4, v179 :: v_dual_lshrrev_b32 v75, 4, v78
	v_bfe_i32 v179, v156, 0, 8
	v_and_b32_e32 v160, 0xffff, v160
	v_mul_i32_i24_e32 v79, v79, v150
	s_delay_alu instid0(VALU_DEP_4) | instskip(SKIP_1) | instid1(VALU_DEP_4)
	v_lshrrev_b16 v74, 8, v74
	v_lshrrev_b16 v75, 8, v75
	v_mul_i32_i24_e32 v160, v160, v151
	s_delay_alu instid0(VALU_DEP_3) | instskip(NEXT) | instid1(VALU_DEP_3)
	v_and_b32_e32 v74, 15, v74
	v_and_b32_e32 v75, 15, v75
	s_delay_alu instid0(VALU_DEP_2) | instskip(NEXT) | instid1(VALU_DEP_2)
	v_and_b32_e32 v74, 0xffff, v74
	v_and_b32_e32 v75, 0xffff, v75
	s_delay_alu instid0(VALU_DEP_2) | instskip(NEXT) | instid1(VALU_DEP_2)
	v_mul_i32_i24_e32 v74, v74, v179
	v_mul_i32_i24_e32 v75, v75, v182
	s_delay_alu instid0(VALU_DEP_1)
	v_add3_u32 v166, v166, v74, v75
	ds_load_u16 v78, v81
	ds_load_2addr_b32 v[154:155], v80 offset0:2 offset1:3
	ds_load_2addr_b32 v[76:77], v80 offset0:4 offset1:5
	ds_load_2addr_b32 v[74:75], v80 offset0:6 offset1:7
	v_add3_u32 v79, v166, v79, v160
	v_bfe_u32 v166, v72, 24, 4
	s_delay_alu instid0(VALU_DEP_1)
	v_mul_i32_i24_e32 v166, v142, v166
	s_wait_dscnt 0x2
	v_and_b32_e32 v80, 15, v154
	v_bfe_u32 v81, v154, 8, 4
	v_bfe_u32 v160, v154, 16, 4
	s_wait_dscnt 0x0
	v_and_b32_e32 v185, 15, v75
	v_bfe_u32 v187, v74, 12, 4
	v_mul_i32_i24_e32 v80, v149, v80
	v_mul_i32_i24_e32 v81, v168, v81
	;; [unrolled: 1-line block ×3, first 2 shown]
	v_bfe_u32 v191, v75, 20, 4
	s_delay_alu instid0(VALU_DEP_3) | instskip(SKIP_2) | instid1(VALU_DEP_2)
	v_add3_u32 v170, v170, v81, v80
	v_and_b32_e32 v80, 15, v72
	v_bfe_u32 v81, v72, 8, 4
	v_mul_i32_i24_e32 v80, v149, v80
	s_delay_alu instid0(VALU_DEP_2) | instskip(NEXT) | instid1(VALU_DEP_1)
	v_mul_i32_i24_e32 v81, v168, v81
	v_add3_u32 v172, v172, v81, v80
	ds_load_u16 v183, v186
	ds_load_2addr_b32 v[156:157], v188 offset0:2 offset1:3
	ds_load_2addr_b32 v[158:159], v188 offset0:4 offset1:5
	;; [unrolled: 1-line block ×3, first 2 shown]
	v_bfe_u32 v186, v74, 4, 4
	s_wait_dscnt 0x2
	v_dual_lshrrev_b32 v188, 28, v74 :: v_dual_bitop2_b32 v184, 15, v156 bitop3:0x40
	s_delay_alu instid0(VALU_DEP_1) | instskip(SKIP_1) | instid1(VALU_DEP_1)
	v_mul_i32_i24_e32 v149, v149, v184
	v_bfe_u32 v184, v156, 8, 4
	v_mul_i32_i24_e32 v168, v168, v184
	v_lshrrev_b32_e32 v184, 4, v75
	s_delay_alu instid0(VALU_DEP_2) | instskip(SKIP_2) | instid1(VALU_DEP_2)
	v_add3_u32 v149, v164, v168, v149
	v_bfe_u32 v164, v154, 4, 4
	v_bfe_u32 v168, v154, 12, 4
	v_mul_i32_i24_e32 v164, v152, v164
	s_delay_alu instid0(VALU_DEP_2) | instskip(NEXT) | instid1(VALU_DEP_1)
	v_mul_i32_i24_e32 v168, v163, v168
	v_add3_u32 v164, v178, v164, v168
	v_bfe_u32 v168, v72, 4, 4
	v_bfe_u32 v178, v72, 12, 4
	s_delay_alu instid0(VALU_DEP_2) | instskip(NEXT) | instid1(VALU_DEP_2)
	v_mul_i32_i24_e32 v168, v152, v168
	v_mul_i32_i24_e32 v178, v163, v178
	s_delay_alu instid0(VALU_DEP_1) | instskip(SKIP_2) | instid1(VALU_DEP_2)
	v_add3_u32 v168, v180, v168, v178
	v_bfe_u32 v178, v156, 4, 4
	v_bfe_u32 v180, v74, 24, 4
	v_mul_i32_i24_e32 v152, v152, v178
	v_bfe_u32 v178, v156, 12, 4
	s_delay_alu instid0(VALU_DEP_1) | instskip(SKIP_1) | instid1(VALU_DEP_2)
	v_mul_i32_i24_e32 v163, v163, v178
	v_bfe_u32 v178, v74, 8, 4
	v_add3_u32 v152, v165, v152, v163
	v_bfe_u32 v165, v154, 24, 4
	v_and_b32_e32 v163, 0xf0f0f0f, v161
	s_delay_alu instid0(VALU_DEP_2) | instskip(NEXT) | instid1(VALU_DEP_2)
	v_mul_i32_i24_e32 v165, v142, v165
	v_lshrrev_b16 v163, 8, v163
	s_delay_alu instid0(VALU_DEP_2) | instskip(SKIP_1) | instid1(VALU_DEP_3)
	v_add3_u32 v160, v170, v160, v165
	v_bfe_u32 v165, v72, 16, 4
	v_and_b32_e32 v163, 0xffff, v163
	s_delay_alu instid0(VALU_DEP_2) | instskip(NEXT) | instid1(VALU_DEP_2)
	v_mul_i32_i24_e32 v165, v143, v165
	v_mul_i32_i24_e32 v163, v163, v148
	s_delay_alu instid0(VALU_DEP_2) | instskip(SKIP_1) | instid1(VALU_DEP_3)
	v_add3_u32 v165, v172, v165, v166
	v_bfe_u32 v166, v156, 16, 4
	v_add3_u32 v163, v173, v163, v167
	v_bfe_u32 v167, v157, 20, 4
	s_delay_alu instid0(VALU_DEP_3) | instskip(SKIP_1) | instid1(VALU_DEP_1)
	v_mul_i32_i24_e32 v143, v143, v166
	v_bfe_u32 v166, v156, 24, 4
	v_mul_i32_i24_e32 v142, v142, v166
	v_and_b32_e32 v166, 15, v77
	s_delay_alu instid0(VALU_DEP_2) | instskip(SKIP_2) | instid1(VALU_DEP_2)
	v_add3_u32 v149, v149, v143, v142
	v_bfe_u32 v142, v154, 20, 4
	v_lshrrev_b32_e32 v143, 28, v154
	v_mul_i32_i24_e32 v142, v145, v142
	s_delay_alu instid0(VALU_DEP_2) | instskip(NEXT) | instid1(VALU_DEP_1)
	v_mul_i32_i24_e32 v143, v144, v143
	v_add3_u32 v154, v164, v142, v143
	v_bfe_u32 v142, v72, 20, 4
	v_lshrrev_b32_e32 v72, 28, v72
	v_lshrrev_b32_e32 v143, 28, v156
	v_bfe_u32 v164, v73, 16, 4
	s_delay_alu instid0(VALU_DEP_4) | instskip(NEXT) | instid1(VALU_DEP_4)
	v_mul_i32_i24_e32 v142, v145, v142
	v_mul_i32_i24_e32 v72, v144, v72
	s_delay_alu instid0(VALU_DEP_4) | instskip(NEXT) | instid1(VALU_DEP_4)
	v_mul_i32_i24_e32 v143, v144, v143
	v_mul_i32_i24_e32 v164, v137, v164
	s_delay_alu instid0(VALU_DEP_3) | instskip(SKIP_2) | instid1(VALU_DEP_2)
	v_add3_u32 v72, v168, v142, v72
	v_bfe_u32 v142, v156, 20, 4
	v_bfe_u32 v168, v76, 12, 4
	v_mul_i32_i24_e32 v142, v145, v142
	v_add3_u32 v145, v176, v177, v163
	v_and_b32_e32 v163, 15, v76
	s_delay_alu instid0(VALU_DEP_4)
	v_mul_i32_i24_e32 v168, v182, v168
	v_and_b32_e32 v177, 15, v74
	v_add3_u32 v144, v152, v142, v143
	v_lshrrev_b32_e32 v142, 4, v161
	v_bfe_u32 v143, v155, 8, 4
	v_bfe_u32 v161, v155, 4, 4
	v_mul_i32_i24_e32 v163, v133, v163
	s_delay_alu instid0(VALU_DEP_4) | instskip(NEXT) | instid1(VALU_DEP_4)
	v_lshrrev_b16 v142, 8, v142
	v_mul_i32_i24_e32 v143, v190, v143
	s_delay_alu instid0(VALU_DEP_4) | instskip(NEXT) | instid1(VALU_DEP_3)
	v_mul_i32_i24_e32 v161, v140, v161
	v_and_b32_e32 v142, 15, v142
	s_delay_alu instid0(VALU_DEP_1) | instskip(NEXT) | instid1(VALU_DEP_1)
	v_and_b32_e32 v142, 0xffff, v142
	v_mul_i32_i24_e32 v142, v142, v146
	s_delay_alu instid0(VALU_DEP_1) | instskip(SKIP_3) | instid1(VALU_DEP_3)
	v_add3_u32 v79, v79, v142, v169
	v_and_b32_e32 v142, 15, v155
	s_wait_dscnt 0x1
	v_bfe_u32 v169, v158, 16, 4
	v_add3_u32 v79, v181, v171, v79
	s_delay_alu instid0(VALU_DEP_3) | instskip(SKIP_1) | instid1(VALU_DEP_2)
	v_mul_i32_i24_e32 v142, v139, v142
	v_bfe_u32 v181, v75, 8, 4
	v_add3_u32 v152, v160, v143, v142
	v_and_b32_e32 v142, 15, v73
	v_and_b32_e32 v160, 15, v157
	v_bfe_u32 v143, v73, 8, 4
	s_delay_alu instid0(VALU_DEP_3) | instskip(NEXT) | instid1(VALU_DEP_3)
	v_mul_i32_i24_e32 v142, v139, v142
	v_mul_i32_i24_e32 v139, v139, v160
	v_bfe_u32 v160, v157, 8, 4
	s_delay_alu instid0(VALU_DEP_4) | instskip(NEXT) | instid1(VALU_DEP_2)
	v_mul_i32_i24_e32 v143, v190, v143
	v_mul_i32_i24_e32 v160, v190, v160
	s_delay_alu instid0(VALU_DEP_2)
	v_add3_u32 v156, v165, v143, v142
	v_bfe_u32 v165, v73, 24, 4
	ds_load_2addr_b32 v[142:143], v141 offset0:6 offset1:7
	ds_load_u16 v141, v189
	v_bfe_u32 v189, v75, 24, 4
	v_add3_u32 v139, v149, v160, v139
	v_bfe_u32 v149, v155, 12, 4
	v_bfe_u32 v160, v73, 4, 4
	v_mul_i32_i24_e32 v165, v135, v165
	v_lshrrev_b32_e32 v190, 28, v75
	s_delay_alu instid0(VALU_DEP_4) | instskip(NEXT) | instid1(VALU_DEP_4)
	v_mul_i32_i24_e32 v149, v179, v149
	v_mul_i32_i24_e32 v160, v140, v160
	s_delay_alu instid0(VALU_DEP_4)
	v_add3_u32 v156, v156, v164, v165
	v_bfe_u32 v164, v155, 20, 4
	v_bfe_u32 v165, v157, 24, 4
	v_add3_u32 v149, v154, v161, v149
	v_bfe_u32 v154, v73, 12, 4
	v_bfe_u32 v161, v157, 4, 4
	v_mul_i32_i24_e32 v164, v138, v164
	s_delay_alu instid0(VALU_DEP_3) | instskip(NEXT) | instid1(VALU_DEP_3)
	v_mul_i32_i24_e32 v154, v179, v154
	v_mul_i32_i24_e32 v140, v140, v161
	v_bfe_u32 v161, v155, 24, 4
	s_wait_dscnt 0x1
	v_lshrrev_b32_e32 v172, 28, v142
	v_bfe_u32 v170, v142, 4, 4
	v_add3_u32 v72, v72, v160, v154
	v_bfe_u32 v154, v157, 12, 4
	v_bfe_u32 v160, v155, 16, 4
	v_lshrrev_b32_e32 v155, 28, v155
	v_mul_i32_i24_e32 v161, v135, v161
	v_mul_i32_i24_e32 v135, v135, v165
	;; [unrolled: 1-line block ×5, first 2 shown]
	v_bfe_u32 v165, v77, 16, 4
	v_bfe_u32 v179, v74, 16, 4
	v_add3_u32 v140, v144, v140, v154
	v_bfe_u32 v144, v76, 8, 4
	v_add3_u32 v149, v149, v164, v155
	v_bfe_u32 v164, v73, 20, 4
	v_lshrrev_b32_e32 v73, 28, v73
	v_add3_u32 v152, v152, v160, v161
	v_bfe_u32 v161, v157, 16, 4
	v_mul_i32_i24_e32 v144, v162, v144
	v_mul_i32_i24_e32 v164, v138, v164
	;; [unrolled: 1-line block ×3, first 2 shown]
	v_lshrrev_b32_e32 v157, 28, v157
	v_mul_i32_i24_e32 v137, v137, v161
	v_add3_u32 v144, v152, v144, v163
	v_and_b32_e32 v152, 15, v158
	v_add3_u32 v72, v72, v164, v73
	v_and_b32_e32 v73, 15, v70
	v_bfe_u32 v164, v70, 8, 4
	v_bfe_u32 v163, v158, 8, 4
	v_bfe_u32 v154, v76, 16, 4
	v_bfe_u32 v160, v76, 24, 4
	v_add3_u32 v135, v139, v137, v135
	v_bfe_u32 v139, v76, 20, 4
	v_bfe_u32 v155, v76, 4, 4
	v_mul_i32_i24_e32 v138, v138, v167
	v_mul_i32_i24_e32 v136, v136, v157
	;; [unrolled: 1-line block ×4, first 2 shown]
	v_bfe_u32 v163, v158, 12, 4
	v_lshrrev_b32_e32 v76, 28, v76
	v_mul_i32_i24_e32 v73, v133, v73
	v_mul_i32_i24_e32 v133, v133, v152
	v_bfe_u32 v152, v158, 4, 4
	v_add3_u32 v136, v140, v138, v136
	v_mul_i32_i24_e32 v163, v182, v163
	v_mul_i32_i24_e32 v155, v134, v155
	v_bfe_u32 v167, v70, 16, 4
	v_mul_i32_i24_e32 v152, v134, v152
	v_bfe_u32 v157, v70, 24, 4
	v_add3_u32 v133, v135, v162, v133
	v_mul_i32_i24_e32 v154, v130, v154
	v_mul_i32_i24_e32 v160, v129, v160
	v_add3_u32 v136, v136, v152, v163
	v_bfe_u32 v152, v70, 4, 4
	v_bfe_u32 v163, v70, 12, 4
	v_mul_i32_i24_e32 v167, v130, v167
	v_mul_i32_i24_e32 v157, v129, v157
	;; [unrolled: 1-line block ×5, first 2 shown]
	v_bfe_u32 v169, v158, 20, 4
	v_bfe_u32 v161, v77, 8, 4
	v_and_b32_e32 v138, 15, v71
	v_bfe_u32 v152, v70, 20, 4
	v_add3_u32 v72, v72, v134, v163
	v_bfe_u32 v134, v158, 24, 4
	v_and_b32_e32 v163, 15, v159
	v_add3_u32 v144, v144, v154, v160
	v_bfe_u32 v154, v159, 8, 4
	v_lshrrev_b32_e32 v70, 28, v70
	v_mul_i32_i24_e32 v129, v129, v134
	v_lshrrev_b32_e32 v134, 28, v158
	v_mul_i32_i24_e32 v158, v174, v161
	v_mul_i32_i24_e32 v138, v128, v138
	;; [unrolled: 1-line block ×3, first 2 shown]
	v_add3_u32 v129, v133, v130, v129
	v_mul_i32_i24_e32 v133, v132, v169
	v_mul_i32_i24_e32 v134, v131, v134
	v_lshrrev_b32_e32 v169, 28, v77
	v_add3_u32 v149, v149, v155, v168
	v_mul_i32_i24_e32 v76, v131, v76
	v_mul_i32_i24_e32 v70, v131, v70
	v_add3_u32 v133, v136, v133, v134
	v_mul_i32_i24_e32 v136, v152, v132
	v_mul_i32_i24_e32 v152, v128, v166
	;; [unrolled: 1-line block ×4, first 2 shown]
	v_bfe_u32 v140, v71, 8, 4
	v_add3_u32 v70, v72, v136, v70
	v_add3_u32 v144, v144, v158, v152
	v_bfe_u32 v152, v159, 4, 4
	v_bfe_u32 v158, v159, 12, 4
	v_add3_u32 v128, v129, v154, v128
	v_bfe_u32 v129, v77, 4, 4
	v_bfe_u32 v154, v77, 12, 4
	v_add3_u32 v76, v149, v132, v76
	v_mul_i32_i24_e32 v152, v127, v152
	v_mul_i32_i24_e32 v158, v150, v158
	;; [unrolled: 1-line block ×4, first 2 shown]
	v_add3_u32 v73, v156, v164, v73
	v_bfe_u32 v137, v77, 24, 4
	v_add3_u32 v133, v133, v152, v158
	v_bfe_u32 v158, v71, 4, 4
	;; [unrolled: 2-line block ×3, first 2 shown]
	v_bfe_u32 v156, v71, 16, 4
	v_bfe_u32 v164, v71, 24, 4
	v_mul_i32_i24_e32 v127, v127, v158
	v_and_b32_e32 v135, 15, v142
	v_mul_i32_i24_e32 v150, v150, v154
	v_bfe_u32 v155, v142, 16, 4
	v_bfe_u32 v168, v142, 24, 4
	;; [unrolled: 1-line block ×3, first 2 shown]
	v_add3_u32 v73, v73, v167, v157
	v_add3_u32 v127, v70, v127, v150
	v_and_b32_e32 v70, 15, v143
	v_bfe_u32 v157, v159, 24, 4
	v_dual_lshrrev_b32 v154, 4, v143 :: v_dual_bitop2_b32 v167, 15, v80 bitop3:0x40
	v_bfe_u32 v134, v80, 16, 4
	v_bfe_u32 v72, v80, 24, 4
	v_dual_lshrrev_b32 v150, 28, v71 :: v_dual_bitop2_b32 v136, 15, v81 bitop3:0x40
	v_mul_i32_i24_e32 v140, v174, v140
	v_lshrrev_b32_e32 v174, 28, v143
	v_perm_b32 v70, v70, v185, 0x5040100
	v_bfe_u32 v139, v81, 8, 4
	v_bfe_u32 v131, v81, 16, 4
	;; [unrolled: 1-line block ×4, first 2 shown]
	v_lshrrev_b32_e32 v159, 28, v159
	v_add3_u32 v138, v73, v140, v138
	v_bfe_u32 v73, v80, 4, 4
	v_bfe_u32 v140, v80, 12, 4
	;; [unrolled: 1-line block ×5, first 2 shown]
	v_lshrrev_b32_e32 v81, 28, v81
	v_bfe_u32 v166, v143, 8, 4
	v_bfe_u32 v158, v143, 16, 4
	;; [unrolled: 1-line block ×8, first 2 shown]
	v_mul_i32_i24_e32 v165, v119, v165
	v_mul_i32_i24_e32 v156, v119, v156
	;; [unrolled: 1-line block ×16, first 2 shown]
	v_pk_mul_lo_u16 v72, v70, v66 op_sel_hi:[1,0]
	v_and_b32_e32 v66, 15, v184
	v_and_b32_e32 v70, 15, v154
	v_mul_i32_i24_e32 v159, v123, v159
	v_mul_i32_i24_e32 v168, v123, v169
	;; [unrolled: 1-line block ×15, first 2 shown]
	v_perm_b32 v66, v70, v66, 0x5040100
	v_mul_i32_i24_e32 v174, v148, v181
	v_mul_i32_i24_e32 v166, v148, v166
	;; [unrolled: 1-line block ×9, first 2 shown]
	v_lshrrev_b16 v146, 8, v183
	v_and_b32_e32 v171, 0xff, v183
	v_add3_u32 v137, v144, v165, v137
	v_mul_i32_i24_e32 v144, v10, v152
	v_pk_mul_lo_u16 v152, v66, v10 op_sel_hi:[1,0]
	v_and_b32_e32 v10, 0xffff, v146
	v_mul_lo_u32 v145, v145, v171
	v_bfe_u32 v130, v80, 8, 4
	v_bfe_u32 v77, v77, 20, 4
	;; [unrolled: 1-line block ×3, first 2 shown]
	v_mul_lo_u32 v79, v79, v10
	v_bfe_u32 v71, v71, 20, 4
	v_mul_i32_i24_e32 v149, v124, v149
	v_mul_i32_i24_e32 v77, v124, v77
	;; [unrolled: 1-line block ×3, first 2 shown]
	s_wait_dscnt 0x0
	v_lshrrev_b16 v70, 8, v141
	v_add3_u32 v117, v128, v119, v117
	v_bfe_u32 v161, v80, 20, 4
	v_lshrrev_b32_e32 v80, 28, v80
	v_bfe_u32 v142, v142, 20, 4
	v_bfe_u32 v74, v74, 20, 4
	v_mul_i32_i24_e32 v124, v124, v71
	v_mul_i32_i24_e32 v154, v175, v178
	;; [unrolled: 1-line block ×3, first 2 shown]
	v_cvt_f32_ubyte0_e32 v71, v147
	v_cvt_f32_f16_e32 v66, v8
	v_and_b32_e32 v165, 0xffff, v70
	v_cvt_f32_i32_e32 v70, v145
	v_add3_u32 v138, v138, v156, v160
	v_add3_u32 v119, v133, v149, v159
	;; [unrolled: 1-line block ×4, first 2 shown]
	v_mul_i32_i24_e32 v161, v125, v161
	v_mul_i32_i24_e32 v74, v125, v74
	;; [unrolled: 1-line block ×5, first 2 shown]
	v_cvt_f32_ubyte1_e32 v73, v147
	v_cvt_f32_f16_e32 v10, v9
	v_ashrrev_i32_e32 v145, 16, v72
	v_bfe_i32 v171, v72, 0, 16
	v_cvt_f32_i32_e32 v72, v79
	v_add3_u32 v123, v127, v124, v123
	v_add3_u32 v77, v137, v154, v157
	;; [unrolled: 1-line block ×6, first 2 shown]
	v_pk_fma_f32 v[70:71], v[70:71], v[66:67], 0 op_sel_hi:[1,1,0]
	v_mul_i32_i24_e32 v120, v120, v172
	v_add3_u32 v119, v123, v126, v151
	v_add3_u32 v77, v77, v164, v134
	v_add3_u32 v80, v118, v161, v80
	v_add3_u32 v87, v124, v155, v167
	v_add3_u32 v74, v76, v74, v142
	v_add3_u32 v76, v86, v139, v136
	v_pk_fma_f32 v[70:71], v[72:73], v[10:11], v[70:71]
	v_mul_i32_i24_e32 v163, v122, v163
	v_and_b32_e32 v141, 0xff, v141
	v_add3_u32 v117, v119, v125, v120
	v_add3_u32 v80, v80, v144, v129
	;; [unrolled: 1-line block ×5, first 2 shown]
	v_pk_mul_f32 v[70:71], v[70:71], v[6:7]
	v_ashrrev_i32_e32 v79, 16, v152
	v_bfe_i32 v152, v152, 0, 16
	v_mul_i32_i24_e32 v172, v122, v191
	v_mul_i32_i24_e32 v122, v122, v176
	v_lshrrev_b16 v147, 8, v78
	v_and_b32_e32 v78, 0xff, v78
	v_lshrrev_b16 v146, 8, v83
	v_and_b32_e32 v83, 0xff, v83
	v_add3_u32 v74, v74, v152, v75
	v_add3_u32 v75, v117, v79, v143
	;; [unrolled: 1-line block ×5, first 2 shown]
	v_mul_lo_u32 v76, v76, v141
	v_and_b32_e32 v147, 0xffff, v147
	v_and_b32_e32 v146, 0xffff, v146
	v_add3_u32 v75, v75, v122, v121
	v_add3_u32 v74, v74, v172, v173
	v_mul_lo_u32 v79, v79, v165
	v_mul_lo_u32 v78, v80, v78
	;; [unrolled: 1-line block ×5, first 2 shown]
	v_cvt_f32_i32_e32 v75, v76
	v_cvt_f32_i32_e32 v76, v79
	;; [unrolled: 1-line block ×4, first 2 shown]
	s_delay_alu instid0(VALU_DEP_4) | instskip(SKIP_2) | instid1(VALU_DEP_4)
	v_fma_mix_f32 v8, v8, v75, 0 op_sel_hi:[1,0,0]
	v_cvt_f32_i32_e32 v75, v67
	v_cvt_f32_i32_e32 v74, v74
	v_pk_fma_f32 v[66:67], v[66:67], v[72:73], 0 op_sel_hi:[0,1,0]
	s_delay_alu instid0(VALU_DEP_4) | instskip(SKIP_2) | instid1(VALU_DEP_4)
	v_fma_mix_f32 v72, v9, v76, v8 op_sel_hi:[1,0,0]
	v_dual_mul_f32 v8, v153, v82 :: v_dual_mov_b32 v73, v70
	v_mov_b32_e32 v9, v71
	v_pk_fma_f32 v[10:11], v[10:11], v[74:75], v[66:67] op_sel_hi:[0,1,1]
	s_delay_alu instid0(VALU_DEP_4) | instskip(NEXT) | instid1(VALU_DEP_2)
	v_mul_f32_e32 v72, v72, v1
	v_pk_fma_f32 v[10:11], v[10:11], v[2:3], v[68:69] neg_lo:[0,0,1] neg_hi:[0,0,1]
	s_delay_alu instid0(VALU_DEP_2) | instskip(NEXT) | instid1(VALU_DEP_2)
	v_pk_add_f32 v[8:9], v[72:73], v[8:9] neg_lo:[0,1] neg_hi:[0,1]
	v_pk_add_f32 v[18:19], v[18:19], v[10:11]
	s_delay_alu instid0(VALU_DEP_2)
	v_pk_add_f32 v[16:17], v[16:17], v[8:9]
	s_cbranch_vccnz .LBB212_11
; %bb.12:                               ;   in Loop: Header=BB212_5 Depth=1
	s_bitset1_b32 s18, 7
	s_delay_alu instid0(SALU_CYCLE_1)
	s_cmp_ge_i32 s18, s5
	s_barrier_signal -1
	s_barrier_wait -1
	s_cbranch_scc1 .LBB212_4
; %bb.13:                               ;   in Loop: Header=BB212_5 Depth=1
	v_add_nc_u32_e32 v1, s19, v47
	s_delay_alu instid0(VALU_DEP_1) | instskip(SKIP_1) | instid1(SALU_CYCLE_1)
	v_cmp_gt_i32_e32 vcc_lo, s6, v1
	s_and_b32 s19, s1, vcc_lo
	s_and_saveexec_b32 s18, s19
	s_cbranch_execz .LBB212_15
; %bb.14:                               ;   in Loop: Header=BB212_5 Depth=1
	v_add_nc_u32_e32 v1, v20, v1
	s_delay_alu instid0(VALU_DEP_1)
	v_mad_nc_i64_i32 v[2:3], v1, 36, v[22:23]
	global_load_b32 v1, v[2:3], off offset:4
	s_wait_loadcnt 0x0
	ds_store_b32 v43, v1
.LBB212_15:                             ;   in Loop: Header=BB212_5 Depth=1
	s_or_b32 exec_lo, exec_lo, s18
	s_and_saveexec_b32 s18, s0
	s_cbranch_execz .LBB212_18
; %bb.16:                               ;   in Loop: Header=BB212_5 Depth=1
	v_or_b32_e32 v1, 4, v0
	s_delay_alu instid0(VALU_DEP_1) | instskip(SKIP_1) | instid1(SALU_CYCLE_1)
	v_cmp_gt_i32_e32 vcc_lo, s6, v1
	s_and_b32 s19, s1, vcc_lo
	s_and_b32 exec_lo, exec_lo, s19
	s_cbranch_execz .LBB212_18
; %bb.17:                               ;   in Loop: Header=BB212_5 Depth=1
	v_ashrrev_i32_e32 v1, 31, v0
	s_delay_alu instid0(VALU_DEP_1) | instskip(NEXT) | instid1(VALU_DEP_1)
	v_add_nc_u64_e32 v[0:1], v[20:21], v[0:1]
	v_mad_nc_u64_u32 v[2:3], v0, 36, s[2:3]
	s_delay_alu instid0(VALU_DEP_1)
	v_mad_i32_i24 v3, v1, 36, v3
	global_load_b32 v0, v[2:3], off offset:144
	s_wait_loadcnt 0x0
	ds_store_b32 v88, v0
.LBB212_18:                             ;   in Loop: Header=BB212_5 Depth=1
	s_or_b32 exec_lo, exec_lo, s18
	s_wait_dscnt 0x0
	s_barrier_signal -1
	s_barrier_wait -1
	ds_load_b32 v0, v51 offset:128
	ds_load_b32 v1, v49
	ds_load_b32 v2, v53 offset:256
	ds_load_b32 v3, v55 offset:384
	v_dual_mov_b32 v117, v41 :: v_dual_mov_b32 v118, v57
	v_mov_b32_e32 v121, v112
	s_mov_b32 s18, 16
	s_mov_b32 s19, 0
	s_wait_dscnt 0x2
	v_dual_lshrrev_b32 v4, 16, v0 :: v_dual_lshrrev_b32 v5, 16, v1
	v_cvt_f32_f16_e32 v67, v0
	v_cvt_f32_f16_e32 v66, v1
	s_wait_dscnt 0x0
	v_dual_lshrrev_b32 v0, 16, v2 :: v_dual_lshrrev_b32 v1, 16, v3
	v_cvt_f32_f16_e32 v119, v2
	v_cvt_f32_f16_e32 v68, v3
	;; [unrolled: 1-line block ×6, first 2 shown]
.LBB212_19:                             ;   Parent Loop BB212_5 Depth=1
                                        ; =>  This Inner Loop Header: Depth=2
	ds_load_2addr_b32 v[0:1], v121 offset1:1
	ds_load_2addr_b32 v[2:3], v121 offset0:2 offset1:3
	v_add_nc_u32_e32 v8, s19, v113
	ds_load_2addr_b32 v[78:79], v121 offset0:4 offset1:5
	v_add_nc_u32_e32 v4, 0x1090, v121
	v_add_nc_u32_e32 v6, 0x2118, v121
	s_lshr_b32 s21, s18, 2
	ds_load_2addr_b32 v[72:73], v121 offset0:6 offset1:7
	s_and_b32 s21, s21, 0x3ffffffc
	s_add_co_i32 s18, s18, 8
	s_add_co_i32 s19, s19, 2
	ds_load_2addr_b32 v[82:83], v4 offset1:1
	ds_load_2addr_b32 v[6:7], v6 offset1:1
	v_add_nc_u32_e32 v4, 0x1098, v121
	ds_load_2addr_b32 v[74:75], v4 offset1:1
	s_wait_dscnt 0x6
	v_and_b32_e32 v86, 15, v0
	v_bfe_u32 v87, v0, 8, 4
	v_bfe_u32 v207, v0, 16, 4
	;; [unrolled: 1-line block ×3, first 2 shown]
	v_dual_lshrrev_b32 v154, 28, v0 :: v_dual_bitop2_b32 v213, 15, v1 bitop3:0x40
	s_wait_dscnt 0x5
	v_dual_lshrrev_b32 v148, 28, v1 :: v_dual_bitop2_b32 v217, 15, v2 bitop3:0x40
	v_bfe_u32 v218, v2, 8, 4
	v_bfe_u32 v219, v2, 16, 4
	;; [unrolled: 1-line block ×3, first 2 shown]
	v_dual_lshrrev_b32 v143, 28, v2 :: v_dual_bitop2_b32 v199, 15, v3 bitop3:0x40
	v_bfe_u32 v151, v0, 20, 4
	v_bfe_u32 v153, v0, 4, 4
	;; [unrolled: 1-line block ×6, first 2 shown]
	v_add_nc_u32_e32 v0, 0x1080, v121
	v_add_nc_u32_e32 v2, 0x1088, v121
	v_bfe_u32 v214, v1, 8, 4
	v_bfe_u32 v215, v1, 16, 4
	;; [unrolled: 1-line block ×12, first 2 shown]
	ds_load_2addr_b32 v[0:1], v0 offset1:1
	v_lshrrev_b32_e32 v139, 28, v3
	ds_load_2addr_b32 v[2:3], v2 offset1:1
	s_wait_dscnt 0x6
	v_and_b32_e32 v129, 15, v79
	v_add3_u32 v9, v61, s21, v8
	v_add3_u32 v124, v115, s21, v8
	;; [unrolled: 1-line block ×3, first 2 shown]
	s_wait_dscnt 0x3
	s_set_vgpr_msb 64                       ;  msbs: dst=1 src0=0 src1=0 src2=0
	v_and_b32_e32 v13 /*v269*/, 15, v6
	v_bfe_u32 v14 /*v270*/, v6, 8, 4
	v_bfe_u32 v15 /*v271*/, v6, 16, 4
	v_bfe_u32 v16 /*v272*/, v6, 24, 4
	v_and_b32_e32 v17 /*v273*/, 15, v7
	v_bfe_u32 v18 /*v274*/, v7, 8, 4
	v_bfe_u32 v19 /*v275*/, v7, 16, 4
	;; [unrolled: 1-line block ×3, first 2 shown]
	s_set_vgpr_msb 0                        ;  msbs: dst=0 src0=0 src1=0 src2=0
	v_bfe_u32 v187, v6, 20, 4
	v_bfe_u32 v189, v6, 4, 4
	;; [unrolled: 1-line block ×3, first 2 shown]
	v_lshrrev_b32_e32 v188, 28, v6
	v_bfe_u32 v177, v7, 20, 4
	s_wait_dscnt 0x1
	v_and_b32_e32 v221, 15, v0
	v_bfe_u32 v222, v0, 8, 4
	v_bfe_u32 v223, v0, 16, 4
	;; [unrolled: 1-line block ×3, first 2 shown]
	s_wait_dscnt 0x0
	v_dual_lshrrev_b32 v166, 28, v2 :: v_dual_bitop2_b32 v229, 15, v2 bitop3:0x40
	v_bfe_u32 v230, v2, 8, 4
	v_bfe_u32 v231, v2, 16, 4
	;; [unrolled: 1-line block ×6, first 2 shown]
	v_lshrrev_b32_e32 v176, 28, v0
	v_bfe_u32 v165, v2, 20, 4
	v_bfe_u32 v167, v2, 4, 4
	;; [unrolled: 1-line block ×3, first 2 shown]
	v_add_nc_u32_e32 v0, 0x2100, v121
	v_add_nc_u32_e32 v2, 0x2108, v121
	v_dual_lshrrev_b32 v170, 28, v1 :: v_dual_bitop2_b32 v225, 15, v1 bitop3:0x40
	v_bfe_u32 v226, v1, 8, 4
	v_bfe_u32 v227, v1, 16, 4
	;; [unrolled: 1-line block ×3, first 2 shown]
	v_dual_lshrrev_b32 v159, 28, v3 :: v_dual_bitop2_b32 v233, 15, v3 bitop3:0x40
	v_bfe_u32 v234, v3, 8, 4
	v_bfe_u32 v235, v3, 16, 4
	;; [unrolled: 1-line block ×9, first 2 shown]
	ds_load_2addr_b32 v[0:1], v0 offset1:1
	ds_load_2addr_b32 v[2:3], v2 offset1:1
	v_add_nc_u32_e32 v4, 0x2110, v121
	v_and_b32_e32 v237, 15, v82
	v_bfe_u32 v180, v7, 4, 4
	v_bfe_u32 v181, v7, 12, 4
	v_lshrrev_b32_e32 v179, 28, v7
	ds_load_2addr_b32 v[4:5], v4 offset1:1
	ds_load_u16 v10, v9 offset:17920
	ds_load_u16 v9, v9 offset:17928
	v_and_b32_e32 v241, 15, v83
	v_and_b32_e32 v183, 15, v74
	s_set_vgpr_msb 64                       ;  msbs: dst=1 src0=0 src1=0 src2=0
	v_add3_u32 v34 /*v290*/, v59, s21, v8
	s_set_vgpr_msb 0                        ;  msbs: dst=0 src0=0 src1=0 src2=0
	v_dual_lshrrev_b32 v134, 4, v73 :: v_dual_bitop2_b32 v133, 15, v78 bitop3:0x40
	v_bfe_u32 v162, v78, 8, 4
	v_bfe_u32 v163, v78, 16, 4
	;; [unrolled: 1-line block ×6, first 2 shown]
	s_wait_dscnt 0x4
	v_and_b32_e32 v245, 15, v0
	v_bfe_u32 v246, v0, 8, 4
	v_bfe_u32 v247, v0, 16, 4
	;; [unrolled: 1-line block ×3, first 2 shown]
	s_wait_dscnt 0x3
	s_set_vgpr_msb 64                       ;  msbs: dst=1 src0=0 src1=0 src2=0
	v_dual_lshrrev_b32 v25 /*v281*/, 28, v0 :: v_dual_bitop2_b32 v1 /*v257*/, 15, v3 bitop3:0x40
	v_bfe_u32 v22 /*v278*/, v0, 20, 4
	v_bfe_u32 v23 /*v279*/, v0, 4, 4
	;; [unrolled: 1-line block ×3, first 2 shown]
	s_set_vgpr_msb 0                        ;  msbs: dst=0 src0=0 src1=0 src2=0
	v_add_nc_u32_e32 v0, 0x3180, v121
	s_wait_dscnt 0x1
	v_lshrrev_b16 v11, 8, v10
	v_and_b32_e32 v249, 15, v1
	v_bfe_u32 v250, v1, 8, 4
	v_bfe_u32 v251, v1, 16, 4
	ds_load_2addr_b32 v[84:85], v0 offset1:1
	v_bfe_u32 v252, v1, 24, 4
	v_and_b32_e32 v253, 15, v2
	v_bfe_u32 v254, v2, 8, 4
	v_bfe_u32 v255, v2, 16, 4
	s_set_vgpr_msb 64                       ;  msbs: dst=1 src0=0 src1=0 src2=0
	v_bfe_u32 v0 /*v256*/, v2, 24, 4
	v_bfe_u32 v2 /*v258*/, v3, 8, 4
	;; [unrolled: 1-line block ×4, first 2 shown]
	v_dual_lshrrev_b32 v29 /*v285*/, 28, v1 :: v_dual_bitop2_b32 v5 /*v261*/, 15, v4 bitop3:0x40
	v_bfe_u32 v6 /*v262*/, v4, 8, 4
	v_bfe_u32 v7 /*v263*/, v4, 16, 4
	;; [unrolled: 1-line block ×3, first 2 shown]
	v_dual_lshrrev_b32 v33 /*v289*/, 28, v2 :: v_dual_bitop2_b32 v9 /*v265*/, 15, v5 bitop3:0x40
	v_bfe_u32 v10 /*v266*/, v5, 8, 4
	v_bfe_u32 v11 /*v267*/, v5, 16, 4
	;; [unrolled: 1-line block ×3, first 2 shown]
	v_and_b32_e32 v21 /*v277*/, 0xff, v10
	s_wait_dscnt 0x0
	s_set_vgpr_msb 0                        ;  msbs: dst=0 src0=0 src1=0 src2=0
	v_and_b32_e32 v0, 0xf0f0f0f, v84
	v_cvt_f32_ubyte0_e32 v76, v9
	s_set_vgpr_msb 64                       ;  msbs: dst=1 src0=0 src1=0 src2=0
	v_bfe_u32 v26 /*v282*/, v1, 20, 4
	v_bfe_u32 v27 /*v283*/, v1, 4, 4
	v_bfe_u32 v28 /*v284*/, v1, 12, 4
	v_bfe_u32 v30 /*v286*/, v2, 20, 4
	v_bfe_u32 v31 /*v287*/, v2, 4, 4
	v_bfe_u32 v32 /*v288*/, v2, 12, 4
	s_set_vgpr_msb 0                        ;  msbs: dst=0 src0=0 src1=0 src2=0
	v_bfe_u32 v203, v3, 20, 4
	v_bfe_u32 v205, v3, 4, 4
	v_bfe_u32 v206, v3, 12, 4
	v_lshrrev_b32_e32 v204, 28, v3
	v_bfe_u32 v195, v4, 20, 4
	v_bfe_u32 v197, v4, 4, 4
	v_bfe_u32 v198, v4, 12, 4
	v_lshrrev_b32_e32 v196, 28, v4
	;; [unrolled: 4-line block ×3, first 2 shown]
	v_and_b32_e32 v178, 0xffff, v11
	v_cvt_f32_ubyte1_e32 v77, v9
	s_set_vgpr_msb 64                       ;  msbs: dst=1 src0=0 src1=0 src2=0
	v_lshrrev_b16 v36 /*v292*/, 8, v0
	s_set_vgpr_msb 0                        ;  msbs: dst=0 src0=0 src1=0 src2=0
	ds_load_b128 v[208:211], v117
	ds_load_b128 v[8:11], v117 offset:16
	ds_load_b128 v[4:7], v117 offset:32
	;; [unrolled: 1-line block ×3, first 2 shown]
	v_bfe_u32 v240, v82, 24, 4
	v_bfe_u32 v131, v79, 16, 4
	;; [unrolled: 1-line block ×6, first 2 shown]
	v_dual_lshrrev_b32 v146, 4, v75 :: v_dual_bitop2_b32 v81, 15, v72 bitop3:0x40
	v_bfe_u32 v126, v72, 8, 4
	v_bfe_u32 v127, v72, 16, 4
	;; [unrolled: 1-line block ×8, first 2 shown]
	s_wait_dscnt 0x3
	s_set_vgpr_msb 64                       ;  msbs: dst=1 src0=0 src1=0 src2=0
	v_lshrrev_b16 v37 /*v293*/, 8, v208
	v_ashrrev_i32_e32 v41 /*v297*/, 24, v208
	v_bfe_i32 v42 /*v298*/, v208, 16, 8
	s_set_vgpr_msb 0                        ;  msbs: dst=0 src0=0 src1=0 src2=0
	v_bfe_i32 v208, v208, 0, 8
	s_set_vgpr_msb 0x41                     ;  msbs: dst=1 src0=1 src1=0 src2=0
	v_lshrrev_b16 v38 /*v294*/, 8, v209
	v_bfe_i32 v37 /*v293*/, v37 /*v293*/, 0, 8
	s_set_vgpr_msb 1                        ;  msbs: dst=0 src0=1 src1=0 src2=0
	v_mul_i32_i24_e32 v212, v41 /*v297*/, v212
	v_mul_i32_i24_e32 v207, v42 /*v298*/, v207
	s_set_vgpr_msb 0                        ;  msbs: dst=0 src0=0 src1=0 src2=0
	v_mul_i32_i24_e32 v86, v208, v86
	s_set_vgpr_msb 64                       ;  msbs: dst=1 src0=0 src1=0 src2=0
	v_lshrrev_b16 v39 /*v295*/, 8, v210
	v_lshrrev_b16 v40 /*v296*/, 8, v211
	v_bfe_u32 v35 /*v291*/, v84, 24, 4
	s_set_vgpr_msb 0                        ;  msbs: dst=0 src0=0 src1=0 src2=0
	v_bfe_u32 v136, v78, 4, 4
	s_set_vgpr_msb 1                        ;  msbs: dst=0 src0=1 src1=0 src2=0
	v_mad_i32_i24 v86, v37 /*v293*/, v87, v86
	s_set_vgpr_msb 0                        ;  msbs: dst=0 src0=0 src1=0 src2=0
	v_mul_i32_i24_e32 v87, v208, v221
	s_set_vgpr_msb 1                        ;  msbs: dst=0 src0=1 src1=0 src2=0
	v_mul_i32_i24_e32 v221, v41 /*v297*/, v248
	s_set_vgpr_msb 0                        ;  msbs: dst=0 src0=0 src1=0 src2=0
	v_bfe_u32 v156, v82, 4, 4
	v_bfe_u32 v137, v78, 12, 4
	v_add3_u32 v86, v86, v207, v212
	s_set_vgpr_msb 1                        ;  msbs: dst=0 src0=1 src1=0 src2=0
	v_mul_i32_i24_e32 v207, v42 /*v298*/, v223
	v_mul_i32_i24_e32 v212, v41 /*v297*/, v224
	v_mad_i32_i24 v87, v37 /*v293*/, v222, v87
	v_and_b32_e32 v224, 0xf0f0f0f, v85
	s_set_vgpr_msb 4                        ;  msbs: dst=0 src0=0 src1=1 src2=0
	v_bfe_u32 v223, v85, 24, 4
	v_and_b32_e32 v222, 0xffff, v36 /*v292*/
	v_bfe_u32 v157, v82, 12, 4
	s_set_vgpr_msb 0                        ;  msbs: dst=0 src0=0 src1=0 src2=0
	v_add3_u32 v87, v87, v207, v212
	v_mul_i32_i24_e32 v207, v208, v245
	s_set_vgpr_msb 1                        ;  msbs: dst=0 src0=1 src1=0 src2=0
	v_mul_i32_i24_e32 v212, v42 /*v298*/, v247
	v_ashrrev_i32_e32 v245, 24, v209
	s_set_vgpr_msb 0                        ;  msbs: dst=0 src0=0 src1=0 src2=0
	v_bfe_i32 v247, v209, 16, 8
	v_bfe_i32 v209, v209, 0, 8
	s_set_vgpr_msb 1                        ;  msbs: dst=0 src0=1 src1=0 src2=0
	v_mad_i32_i24 v207, v37 /*v293*/, v246, v207
	v_bfe_i32 v246, v38 /*v294*/, 0, 8
	s_set_vgpr_msb 0                        ;  msbs: dst=0 src0=0 src1=0 src2=0
	v_mul_i32_i24_e32 v216, v245, v216
	v_mul_i32_i24_e32 v215, v247, v215
	;; [unrolled: 1-line block ×6, first 2 shown]
	v_add3_u32 v207, v207, v212, v221
	v_mul_i32_i24_e32 v227, v247, v227
	v_mul_i32_i24_e32 v228, v245, v228
	v_add3_u32 v86, v86, v214, v213
	v_mul_i32_i24_e32 v248, v209, v249
	v_mul_i32_i24_e32 v249, v246, v250
	;; [unrolled: 1-line block ×4, first 2 shown]
	v_add3_u32 v213, v86, v215, v216
	v_add3_u32 v86, v87, v226, v225
	v_lshrrev_b16 v224, 8, v224
	v_and_b32_e32 v215, 15, v85
	v_dual_ashrrev_i32 v226, 24, v210 :: v_dual_bitop2_b32 v221, 15, v84 bitop3:0x40
	s_delay_alu instid0(VALU_DEP_4)
	v_add3_u32 v214, v86, v227, v228
	v_add3_u32 v86, v207, v249, v248
	v_and_b32_e32 v87, 0xffff, v224
	v_mul_i32_i24_e32 v209, v215, v209
	s_set_vgpr_msb 1                        ;  msbs: dst=0 src0=1 src1=0 src2=0
	v_bfe_i32 v227, v39 /*v295*/, 0, 8
	s_set_vgpr_msb 0                        ;  msbs: dst=0 src0=0 src1=0 src2=0
	v_bfe_i32 v228, v210, 16, 8
	v_add3_u32 v207, v86, v250, v251
	v_bfe_u32 v86, v85, 16, 4
	v_mul_i32_i24_e32 v215, v87, v246
	v_bfe_i32 v210, v210, 0, 8
	v_mul_i32_i24_e32 v218, v227, v218
	v_mul_i32_i24_e32 v219, v228, v219
	;; [unrolled: 1-line block ×3, first 2 shown]
	v_add_nc_u32_e32 v86, 0x3188, v121
	v_mul_i32_i24_e32 v217, v210, v217
	v_mul_i32_i24_e32 v220, v226, v220
	;; [unrolled: 1-line block ×4, first 2 shown]
	ds_load_2addr_b32 v[86:87], v86 offset1:1
	v_add3_u32 v213, v213, v218, v217
	v_mul_i32_i24_e32 v223, v223, v245
	v_mul_i32_i24_e32 v231, v228, v231
	;; [unrolled: 1-line block ×4, first 2 shown]
	v_add3_u32 v213, v213, v219, v220
	v_mul_i32_i24_e32 v246, v227, v254
	s_set_vgpr_msb 4                        ;  msbs: dst=0 src0=0 src1=1 src2=0
	v_mul_i32_i24_e32 v248, v226, v0 /*v256*/
	s_set_vgpr_msb 0                        ;  msbs: dst=0 src0=0 src1=0 src2=0
	v_add3_u32 v214, v214, v230, v229
	v_mul_i32_i24_e32 v247, v228, v255
	v_bfe_u32 v212, v84, 16, 4
	v_add3_u32 v207, v207, v246, v245
	s_set_vgpr_msb 4                        ;  msbs: dst=0 src0=0 src1=1 src2=0
	v_mul_i32_i24_e32 v222, v222, v37 /*v293*/
	s_set_vgpr_msb 0                        ;  msbs: dst=0 src0=0 src1=0 src2=0
	v_add3_u32 v214, v214, v231, v232
	v_bfe_u32 v135, v78, 20, 4
	v_bfe_u32 v155, v82, 20, 4
	v_add3_u32 v207, v207, v247, v248
	v_lshrrev_b32_e32 v82, 28, v82
	v_lshrrev_b32_e32 v78, 28, v78
	s_wait_dscnt 0x0
	v_and_b32_e32 v225, 0xf0f0f0f, v86
	v_bfe_u32 v224, v86, 24, 4
	v_and_b32_e32 v219, 15, v86
	v_bfe_u32 v217, v86, 16, 4
	v_bfe_u32 v220, v87, 24, 4
	v_lshrrev_b16 v225, 8, v225
	v_bfe_u32 v122, v73, 16, 4
	v_mul_i32_i24_e32 v210, v219, v210
	v_mul_i32_i24_e32 v219, v224, v226
	s_set_vgpr_msb 1                        ;  msbs: dst=0 src0=1 src1=0 src2=0
	v_bfe_i32 v226, v40 /*v296*/, 0, 8
	v_and_b32_e32 v218, 0xffff, v225
	v_ashrrev_i32_e32 v225, 24, v211
	s_set_vgpr_msb 0                        ;  msbs: dst=0 src0=0 src1=0 src2=0
	v_mul_i32_i24_e32 v217, v217, v228
	v_and_b32_e32 v224, 0xf0f0f0f, v87
	v_mul_i32_i24_e32 v200, v226, v200
	v_mul_i32_i24_e32 v218, v218, v227
	v_bfe_i32 v227, v211, 16, 8
	v_bfe_i32 v211, v211, 0, 8
	v_mul_i32_i24_e32 v229, v226, v234
	v_mul_i32_i24_e32 v202, v225, v202
	v_mul_i32_i24_e32 v231, v225, v236
	v_mul_i32_i24_e32 v201, v227, v201
	v_mul_i32_i24_e32 v199, v211, v199
	v_mul_i32_i24_e32 v228, v211, v233
	v_mul_i32_i24_e32 v230, v227, v235
	s_set_vgpr_msb 4                        ;  msbs: dst=0 src0=0 src1=1 src2=0
	v_mul_i32_i24_e32 v232, v211, v1 /*v257*/
	v_mul_i32_i24_e32 v233, v226, v2 /*v258*/
	s_set_vgpr_msb 0                        ;  msbs: dst=0 src0=0 src1=0 src2=0
	v_add3_u32 v199, v213, v200, v199
	v_add3_u32 v200, v214, v229, v228
	s_set_vgpr_msb 4                        ;  msbs: dst=0 src0=0 src1=1 src2=0
	v_mul_i32_i24_e32 v234, v227, v3 /*v259*/
	v_mul_i32_i24_e32 v235, v225, v4 /*v260*/
	s_set_vgpr_msb 0                        ;  msbs: dst=0 src0=0 src1=0 src2=0
	v_lshrrev_b16 v224, 8, v224
	v_add3_u32 v199, v199, v201, v202
	v_add3_u32 v202, v200, v230, v231
	;; [unrolled: 1-line block ×3, first 2 shown]
	v_and_b32_e32 v213, 15, v87
	v_and_b32_e32 v201, 0xffff, v224
	v_mul_i32_i24_e32 v220, v220, v225
	v_ashrrev_i32_e32 v230, 24, v8
	v_add3_u32 v207, v200, v234, v235
	v_bfe_u32 v200, v87, 16, 4
	v_mul_i32_i24_e32 v211, v213, v211
	v_mul_i32_i24_e32 v213, v201, v226
	v_lshrrev_b16 v226, 8, v8
	v_bfe_i32 v231, v8, 16, 8
	v_mul_i32_i24_e32 v214, v200, v227
	v_add_nc_u32_e32 v200, 0x3190, v121
	v_bfe_i32 v8, v8, 0, 8
	v_bfe_i32 v226, v226, 0, 8
	v_lshrrev_b16 v227, 8, v9
	v_mul_i32_i24_e32 v163, v231, v163
	ds_load_2addr_b32 v[200:201], v200 offset1:1
	v_mul_i32_i24_e32 v133, v8, v133
	v_mul_i32_i24_e32 v162, v226, v162
	;; [unrolled: 1-line block ×4, first 2 shown]
	s_set_vgpr_msb 4                        ;  msbs: dst=0 src0=0 src1=1 src2=0
	v_mul_i32_i24_e32 v236, v8, v5 /*v261*/
	v_mul_i32_i24_e32 v237, v226, v6 /*v262*/
	s_set_vgpr_msb 0                        ;  msbs: dst=0 src0=0 src1=0 src2=0
	v_add3_u32 v133, v199, v162, v133
	v_mul_i32_i24_e32 v233, v226, v238
	v_mul_i32_i24_e32 v234, v231, v239
	;; [unrolled: 1-line block ×3, first 2 shown]
	s_set_vgpr_msb 4                        ;  msbs: dst=0 src0=0 src1=1 src2=0
	v_mul_i32_i24_e32 v238, v231, v7 /*v263*/
	s_set_vgpr_msb 0                        ;  msbs: dst=0 src0=0 src1=0 src2=0
	v_add3_u32 v133, v133, v163, v164
	v_add3_u32 v163, v207, v237, v236
	s_set_vgpr_msb 4                        ;  msbs: dst=0 src0=0 src1=1 src2=0
	v_mul_i32_i24_e32 v239, v230, v8 /*v264*/
	s_set_vgpr_msb 0                        ;  msbs: dst=0 src0=0 src1=0 src2=0
	v_add3_u32 v162, v202, v233, v232
	v_lshrrev_b16 v228, 8, v10
	v_lshrrev_b16 v229, 8, v11
	v_bfe_u32 v123, v75, 16, 4
	v_add3_u32 v163, v163, v238, v239
	s_wait_dscnt 0x0
	v_and_b32_e32 v225, 0xf0f0f0f, v200
	v_bfe_u32 v224, v200, 24, 4
	v_add3_u32 v162, v162, v234, v235
	v_bfe_u32 v164, v200, 16, 4
	v_and_b32_e32 v202, 15, v200
	v_lshrrev_b16 v225, 8, v225
	v_mul_i32_i24_e32 v207, v224, v230
	v_and_b32_e32 v224, 0xf0f0f0f, v201
	v_mul_i32_i24_e32 v164, v164, v231
	s_add_co_i32 s21, s20, 8
	v_and_b32_e32 v199, 0xffff, v225
	v_ashrrev_i32_e32 v225, 24, v9
	v_lshrrev_b16 v224, 8, v224
	s_add_co_i32 s20, s20, 16
	v_add_nc_u32_e32 v117, 64, v117
	v_mul_i32_i24_e32 v199, v199, v226
	v_bfe_i32 v226, v227, 0, 8
	v_bfe_i32 v227, v9, 16, 8
	;; [unrolled: 1-line block ×3, first 2 shown]
	v_mul_i32_i24_e32 v132, v225, v132
	v_mul_i32_i24_e32 v233, v225, v244
	;; [unrolled: 1-line block ×5, first 2 shown]
	s_set_vgpr_msb 4                        ;  msbs: dst=0 src0=0 src1=1 src2=0
	v_mul_i32_i24_e32 v234, v9, v9 /*v265*/
	v_mul_i32_i24_e32 v235, v226, v10 /*v266*/
	s_set_vgpr_msb 0                        ;  msbs: dst=0 src0=0 src1=0 src2=0
	v_mul_i32_i24_e32 v230, v9, v241
	v_mul_i32_i24_e32 v231, v226, v242
	v_add3_u32 v129, v133, v130, v129
	v_and_b32_e32 v133, 0xffff, v224
	s_set_vgpr_msb 4                        ;  msbs: dst=0 src0=0 src1=1 src2=0
	v_mul_i32_i24_e32 v237, v225, v12 /*v268*/
	s_set_vgpr_msb 0                        ;  msbs: dst=0 src0=0 src1=0 src2=0
	v_mul_i32_i24_e32 v232, v227, v243
	v_add3_u32 v130, v162, v231, v230
	v_add3_u32 v129, v129, v131, v132
	;; [unrolled: 1-line block ×3, first 2 shown]
	v_mul_i32_i24_e32 v163, v133, v226
	v_ashrrev_i32_e32 v226, 24, v10
	v_mul_i32_i24_e32 v202, v202, v8
	v_bfe_u32 v8, v201, 24, 4
	v_and_b32_e32 v162, 15, v201
	v_bfe_u32 v132, v201, 16, 4
	s_set_vgpr_msb 4                        ;  msbs: dst=0 src0=0 src1=1 src2=0
	v_mul_i32_i24_e32 v236, v227, v11 /*v267*/
	s_set_vgpr_msb 0                        ;  msbs: dst=0 src0=0 src1=0 src2=0
	v_add3_u32 v130, v130, v232, v233
	v_mul_i32_i24_e32 v225, v8, v225
	v_add_nc_u32_e32 v8, 0x3198, v121
	v_mul_i32_i24_e32 v162, v162, v9
	v_mul_i32_i24_e32 v224, v132, v227
	v_bfe_i32 v227, v228, 0, 8
	v_bfe_i32 v228, v10, 16, 8
	ds_load_2addr_b32 v[8:9], v8 offset1:1
	v_bfe_i32 v10, v10, 0, 8
	v_mul_i32_i24_e32 v128, v226, v128
	v_mul_i32_i24_e32 v126, v227, v126
	;; [unrolled: 1-line block ×6, first 2 shown]
	v_add3_u32 v131, v131, v236, v237
	v_mul_i32_i24_e32 v185, v228, v185
	v_mul_i32_i24_e32 v186, v226, v186
	v_add3_u32 v81, v129, v126, v81
	s_set_vgpr_msb 4                        ;  msbs: dst=0 src0=0 src1=1 src2=0
	v_mul_i32_i24_e32 v230, v10, v13 /*v269*/
	v_mul_i32_i24_e32 v231, v227, v14 /*v270*/
	;; [unrolled: 1-line block ×4, first 2 shown]
	s_set_vgpr_msb 0                        ;  msbs: dst=0 src0=0 src1=0 src2=0
	v_add3_u32 v126, v81, v127, v128
	v_add3_u32 v81, v130, v184, v183
	s_cmp_lt_u32 s20, 24
	s_mov_b32 s20, s21
	s_wait_dscnt 0x0
	v_and_b32_e32 v133, 0xf0f0f0f, v8
	v_bfe_u32 v128, v8, 16, 4
	v_bfe_u32 v132, v8, 24, 4
	v_add3_u32 v127, v81, v185, v186
	v_add3_u32 v81, v131, v231, v230
	v_lshrrev_b16 v133, 8, v133
	v_and_b32_e32 v130, 15, v8
	v_mul_i32_i24_e32 v184, v128, v228
	v_and_b32_e32 v128, 0xf0f0f0f, v9
	v_and_b32_e32 v131, 15, v75
	;; [unrolled: 1-line block ×3, first 2 shown]
	v_mul_i32_i24_e32 v10, v130, v10
	v_mul_i32_i24_e32 v185, v132, v226
	v_lshrrev_b16 v226, 8, v128
	v_ashrrev_i32_e32 v128, 24, v11
	v_mul_i32_i24_e32 v183, v129, v227
	v_bfe_i32 v227, v229, 0, 8
	v_bfe_i32 v130, v11, 16, 8
	;; [unrolled: 1-line block ×3, first 2 shown]
	v_add3_u32 v81, v81, v232, v233
	s_set_vgpr_msb 4                        ;  msbs: dst=0 src0=0 src1=1 src2=0
	v_mul_i32_i24_e32 v228, v128, v20 /*v276*/
	s_set_vgpr_msb 0                        ;  msbs: dst=0 src0=0 src1=0 src2=0
	v_mul_i32_i24_e32 v129, v227, v80
	v_and_b32_e32 v80, 15, v73
	s_set_vgpr_msb 4                        ;  msbs: dst=0 src0=0 src1=1 src2=0
	v_mul_i32_i24_e32 v133, v227, v18 /*v274*/
	v_bfe_u32 v186, v9, 24, 4
	s_set_vgpr_msb 0                        ;  msbs: dst=0 src0=0 src1=0 src2=0
	v_add_nc_u32_e32 v121, 32, v121
	v_perm_b32 v80, v131, v80, 0x5040100
	v_mul_i32_i24_e32 v131, v227, v182
	s_set_vgpr_msb 4                        ;  msbs: dst=0 src0=0 src1=1 src2=0
	v_mul_i32_i24_e32 v182, v130, v19 /*v275*/
	s_set_vgpr_msb 0                        ;  msbs: dst=0 src0=0 src1=0 src2=0
	v_pk_mul_lo_u16 v132, v80, v11 op_sel_hi:[1,0]
	s_set_vgpr_msb 4                        ;  msbs: dst=0 src0=0 src1=1 src2=0
	v_mul_i32_i24_e32 v80, v11, v17 /*v273*/
	s_set_vgpr_msb 0                        ;  msbs: dst=0 src0=0 src1=0 src2=0
	s_delay_alu instid0(VALU_DEP_1) | instskip(SKIP_1) | instid1(VALU_DEP_2)
	v_add3_u32 v80, v81, v133, v80
	v_and_b32_e32 v81, 0xffff, v226
	v_add3_u32 v80, v80, v182, v228
	v_and_b32_e32 v182, 15, v9
	s_delay_alu instid0(VALU_DEP_3) | instskip(SKIP_1) | instid1(VALU_DEP_3)
	v_mul_i32_i24_e32 v81, v81, v227
	s_set_vgpr_msb 4                        ;  msbs: dst=0 src0=0 src1=1 src2=0
	v_mul_lo_u32 v80, v80, v21 /*v277*/
	s_set_vgpr_msb 0                        ;  msbs: dst=0 src0=0 src1=0 src2=0
	v_mul_i32_i24_e32 v11, v182, v11
	v_mul_i32_i24_e32 v182, v186, v128
	v_mad_i32_i24 v186, v221, v208, v209
	s_set_vgpr_msb 5                        ;  msbs: dst=0 src0=1 src1=1 src2=0
	v_mad_i32_i24 v209, v35 /*v291*/, v41 /*v297*/, v223
	s_set_vgpr_msb 4                        ;  msbs: dst=0 src0=0 src1=1 src2=0
	v_mad_i32_i24 v208, v212, v42 /*v298*/, v216
	s_set_vgpr_msb 0                        ;  msbs: dst=0 src0=0 src1=0 src2=0
	v_add3_u32 v212, v222, v215, v218
	v_add3_u32 v186, v186, v210, v211
	;; [unrolled: 1-line block ×4, first 2 shown]
	v_cvt_f32_i32_e32 v133, v80
	v_bfe_u32 v80, v9, 16, 4
	v_add3_u32 v199, v212, v213, v199
	v_add3_u32 v207, v209, v207, v225
	;; [unrolled: 1-line block ×4, first 2 shown]
	v_mul_i32_i24_e32 v80, v80, v130
	v_add3_u32 v163, v199, v163, v183
	v_add3_u32 v182, v207, v185, v182
	;; [unrolled: 1-line block ×3, first 2 shown]
	v_ashrrev_i32_e32 v185, 24, v4
	v_add3_u32 v80, v164, v184, v80
	v_lshrrev_b16 v164, 8, v4
	v_add3_u32 v11, v163, v81, v182
	v_bfe_i32 v186, v4, 16, 8
	v_bfe_i32 v4, v4, 0, 8
	v_mul_i32_i24_e32 v154, v185, v154
	v_bfe_i32 v164, v164, 0, 8
	v_add3_u32 v10, v10, v80, v11
	s_set_vgpr_msb 1                        ;  msbs: dst=0 src0=1 src1=0 src2=0
	ds_load_u16 v11, v34 /*v290*/ offset:18432
	ds_load_u16 v162, v34 /*v290*/ offset:18440
	s_set_vgpr_msb 0                        ;  msbs: dst=0 src0=0 src1=0 src2=0
	v_mul_i32_i24_e32 v153, v4, v153
	v_mul_i32_i24_e32 v151, v186, v151
	v_lshrrev_b16 v182, 8, v5
	v_lshrrev_b16 v183, 8, v6
	;; [unrolled: 1-line block ×3, first 2 shown]
	v_mad_i32_i24 v152, v164, v152, v153
	v_mul_i32_i24_e32 v153, v186, v173
	s_set_vgpr_msb 4                        ;  msbs: dst=0 src0=0 src1=1 src2=0
	v_mul_i32_i24_e32 v173, v185, v25 /*v281*/
	s_set_vgpr_msb 0                        ;  msbs: dst=0 src0=0 src1=0 src2=0
	v_add3_u32 v151, v152, v151, v154
	v_mul_i32_i24_e32 v152, v4, v175
	v_mul_i32_i24_e32 v154, v185, v176
	v_bfe_i32 v175, v182, 0, 8
	v_bfe_i32 v176, v5, 16, 8
	s_delay_alu instid0(VALU_DEP_4)
	v_mad_i32_i24 v152, v164, v174, v152
	v_ashrrev_i32_e32 v174, 24, v5
	s_wait_dscnt 0x1
	v_lshrrev_b16 v163, 8, v11
	v_and_b32_e32 v11, 0xff, v11
	v_bfe_i32 v5, v5, 0, 8
	v_add3_u32 v152, v152, v153, v154
	s_set_vgpr_msb 4                        ;  msbs: dst=0 src0=0 src1=1 src2=0
	v_mul_i32_i24_e32 v153, v4, v23 /*v279*/
	v_mul_i32_i24_e32 v154, v186, v22 /*v278*/
	s_set_vgpr_msb 0                        ;  msbs: dst=0 src0=0 src1=0 src2=0
	v_mul_lo_u32 v10, v10, v11
	v_lshrrev_b32_e32 v11, 28, v84
	v_mul_i32_i24_e32 v149, v5, v149
	s_set_vgpr_msb 4                        ;  msbs: dst=0 src0=0 src1=1 src2=0
	v_mad_i32_i24 v153, v164, v24 /*v280*/, v153
	s_set_vgpr_msb 0                        ;  msbs: dst=0 src0=0 src1=0 src2=0
	v_mul_i32_i24_e32 v150, v175, v150
	v_mul_i32_i24_e32 v147, v176, v147
	;; [unrolled: 1-line block ×4, first 2 shown]
	v_add3_u32 v153, v153, v154, v173
	v_bfe_u32 v154, v84, 20, 4
	v_bfe_u32 v173, v84, 4, 4
	v_cvt_f32_i32_e32 v80, v10
	v_dual_lshrrev_b32 v10, 4, v84 :: v_dual_lshrrev_b32 v84, 4, v85
	v_mul_i32_i24_e32 v172, v175, v172
	v_add3_u32 v149, v151, v149, v150
	v_bfe_u32 v150, v85, 20, 4
	s_delay_alu instid0(VALU_DEP_4)
	v_lshrrev_b16 v10, 8, v10
	v_lshrrev_b16 v84, 8, v84
	v_mul_i32_i24_e32 v169, v176, v169
	v_mul_i32_i24_e32 v170, v174, v170
	s_set_vgpr_msb 4                        ;  msbs: dst=0 src0=0 src1=1 src2=0
	v_mul_i32_i24_e32 v182, v5, v27 /*v283*/
	s_set_vgpr_msb 0                        ;  msbs: dst=0 src0=0 src1=0 src2=0
	v_and_b32_e32 v10, 15, v10
	v_and_b32_e32 v84, 15, v84
	s_set_vgpr_msb 4                        ;  msbs: dst=0 src0=0 src1=1 src2=0
	v_mul_i32_i24_e32 v199, v175, v28 /*v284*/
	s_set_vgpr_msb 0                        ;  msbs: dst=0 src0=0 src1=0 src2=0
	v_add3_u32 v147, v149, v147, v148
	v_add3_u32 v148, v152, v171, v172
	v_and_b32_e32 v10, 0xffff, v10
	v_and_b32_e32 v84, 0xffff, v84
	v_add3_u32 v149, v153, v182, v199
	v_ashrrev_i32_e32 v153, 24, v6
	v_add3_u32 v148, v148, v169, v170
	v_mul_i32_i24_e32 v10, v10, v164
	v_lshrrev_b32_e32 v164, 28, v85
	v_bfe_u32 v85, v85, 4, 4
	v_mul_i32_i24_e32 v151, v84, v175
	v_lshrrev_b32_e32 v84, 4, v86
	v_bfe_i32 v169, v6, 16, 8
	v_mul_i32_i24_e32 v152, v164, v174
	v_mul_i32_i24_e32 v5, v85, v5
	v_lshrrev_b32_e32 v85, 28, v86
	v_lshrrev_b16 v84, 8, v84
	v_bfe_i32 v164, v183, 0, 8
	v_bfe_i32 v6, v6, 0, 8
	s_set_vgpr_msb 4                        ;  msbs: dst=0 src0=0 src1=1 src2=0
	v_mul_i32_i24_e32 v202, v176, v26 /*v282*/
	v_mul_i32_i24_e32 v207, v174, v29 /*v285*/
	s_set_vgpr_msb 0                        ;  msbs: dst=0 src0=0 src1=0 src2=0
	v_and_b32_e32 v84, 15, v84
	v_mul_i32_i24_e32 v145, v164, v145
	v_mul_i32_i24_e32 v144, v6, v144
	;; [unrolled: 1-line block ×3, first 2 shown]
	s_set_vgpr_msb 4                        ;  msbs: dst=0 src0=0 src1=1 src2=0
	v_mul_i32_i24_e32 v170, v6, v31 /*v287*/
	s_set_vgpr_msb 0                        ;  msbs: dst=0 src0=0 src1=0 src2=0
	v_and_b32_e32 v84, 0xffff, v84
	v_add3_u32 v149, v149, v202, v207
	v_add3_u32 v144, v147, v144, v145
	v_bfe_u32 v145, v86, 20, 4
	v_bfe_u32 v86, v86, 4, 4
	v_mul_i32_i24_e32 v142, v169, v142
	v_mul_i32_i24_e32 v143, v153, v143
	;; [unrolled: 1-line block ×3, first 2 shown]
	s_set_vgpr_msb 4                        ;  msbs: dst=0 src0=0 src1=1 src2=0
	v_mul_i32_i24_e32 v171, v164, v32 /*v288*/
	s_set_vgpr_msb 0                        ;  msbs: dst=0 src0=0 src1=0 src2=0
	v_mul_i32_i24_e32 v6, v86, v6
	v_mul_i32_i24_e32 v86, v84, v164
	v_lshrrev_b32_e32 v84, 4, v87
	v_mul_i32_i24_e32 v147, v85, v153
	v_lshrrev_b32_e32 v85, 28, v87
	v_mul_i32_i24_e32 v166, v153, v166
	s_set_vgpr_msb 4                        ;  msbs: dst=0 src0=0 src1=1 src2=0
	v_mul_i32_i24_e32 v174, v153, v33 /*v289*/
	s_set_vgpr_msb 0                        ;  msbs: dst=0 src0=0 src1=0 src2=0
	v_lshrrev_b16 v84, 8, v84
	v_add3_u32 v142, v144, v142, v143
	v_add3_u32 v143, v148, v167, v168
	;; [unrolled: 1-line block ×3, first 2 shown]
	s_delay_alu instid0(VALU_DEP_4)
	v_dual_ashrrev_i32 v148, 24, v7 :: v_dual_bitop2_b32 v84, 15, v84 bitop3:0x40
	v_bfe_i32 v149, v184, 0, 8
	v_bfe_i32 v153, v7, 16, 8
	;; [unrolled: 1-line block ×3, first 2 shown]
	v_mul_i32_i24_e32 v165, v169, v165
	s_set_vgpr_msb 4                        ;  msbs: dst=0 src0=0 src1=1 src2=0
	v_mul_i32_i24_e32 v172, v169, v30 /*v286*/
	s_set_vgpr_msb 0                        ;  msbs: dst=0 src0=0 src1=0 src2=0
	v_mul_i32_i24_e32 v141, v149, v141
	v_mul_i32_i24_e32 v138, v153, v138
	;; [unrolled: 1-line block ×3, first 2 shown]
	v_add3_u32 v143, v143, v165, v166
	v_mul_i32_i24_e32 v139, v148, v139
	v_mul_i32_i24_e32 v160, v7, v160
	;; [unrolled: 1-line block ×3, first 2 shown]
	v_add3_u32 v140, v142, v140, v141
	v_add3_u32 v144, v144, v172, v174
	v_mul_i32_i24_e32 v158, v153, v158
	v_mul_i32_i24_e32 v159, v148, v159
	v_mul_i32_i24_e32 v164, v7, v205
	v_mul_i32_i24_e32 v165, v149, v206
	v_add3_u32 v138, v140, v138, v139
	v_add3_u32 v139, v143, v160, v161
	v_bfe_u32 v141, v87, 20, 4
	v_and_b32_e32 v84, 0xffff, v84
	v_bfe_u32 v87, v87, 4, 4
	v_lshrrev_b16 v143, 8, v0
	v_mul_i32_i24_e32 v166, v153, v203
	v_mul_i32_i24_e32 v167, v148, v204
	v_add3_u32 v139, v139, v158, v159
	v_add3_u32 v140, v144, v164, v165
	v_mul_i32_i24_e32 v7, v87, v7
	v_mul_i32_i24_e32 v87, v84, v149
	;; [unrolled: 1-line block ×3, first 2 shown]
	v_lshrrev_b32_e32 v84, 4, v200
	v_ashrrev_i32_e32 v153, 24, v0
	v_bfe_i32 v143, v143, 0, 8
	v_bfe_i32 v158, v0, 16, 8
	;; [unrolled: 1-line block ×3, first 2 shown]
	v_add3_u32 v140, v140, v166, v167
	v_mul_i32_i24_e32 v142, v85, v148
	v_lshrrev_b32_e32 v85, 28, v200
	v_lshrrev_b16 v84, 8, v84
	v_mul_i32_i24_e32 v159, v0, v197
	v_mul_i32_i24_e32 v160, v143, v198
	v_mul_i32_i24_e32 v136, v0, v136
	v_mul_i32_i24_e32 v156, v0, v156
	v_and_b32_e32 v84, 15, v84
	v_mul_i32_i24_e32 v137, v143, v137
	v_add3_u32 v140, v140, v159, v160
	v_bfe_u32 v160, v200, 4, 4
	v_mul_i32_i24_e32 v157, v143, v157
	v_lshrrev_b16 v144, 8, v1
	v_mul_i32_i24_e32 v161, v158, v195
	v_mul_i32_i24_e32 v145, v145, v169
	v_mul_i32_i24_e32 v0, v160, v0
	v_mul_i32_i24_e32 v160, v85, v153
	v_lshrrev_b32_e32 v85, 28, v201
	v_and_b32_e32 v84, 0xffff, v84
	v_bfe_i32 v144, v144, 0, 8
	v_ashrrev_i32_e32 v169, 24, v2
	v_bfe_i32 v170, v2, 16, 8
	v_mul_i32_i24_e32 v150, v150, v176
	v_mul_i32_i24_e32 v143, v84, v143
	v_lshrrev_b32_e32 v84, 4, v201
	v_mul_i32_i24_e32 v164, v153, v196
	v_mul_i32_i24_e32 v166, v144, v194
	;; [unrolled: 1-line block ×4, first 2 shown]
	v_lshrrev_b16 v84, 8, v84
	v_add3_u32 v140, v140, v161, v164
	v_ashrrev_i32_e32 v161, 24, v1
	v_bfe_i32 v164, v1, 16, 8
	v_bfe_i32 v1, v1, 0, 8
	v_and_b32_e32 v84, 15, v84
	v_bfe_u32 v176, v83, 4, 4
	v_mul_i32_i24_e32 v168, v161, v192
	v_mul_i32_i24_e32 v167, v164, v191
	;; [unrolled: 1-line block ×3, first 2 shown]
	v_and_b32_e32 v84, 0xffff, v84
	v_bfe_u32 v182, v79, 4, 4
	v_bfe_u32 v183, v83, 12, 4
	v_lshrrev_b32_e32 v187, 28, v83
	v_add3_u32 v140, v140, v165, v166
	v_bfe_u32 v166, v201, 4, 4
	v_lshrrev_b32_e32 v188, 28, v79
	v_mul_i32_i24_e32 v135, v135, v158
	v_mul_i32_i24_e32 v155, v155, v158
	v_add3_u32 v140, v140, v167, v168
	v_mul_i32_i24_e32 v167, v84, v144
	v_lshrrev_b32_e32 v84, 4, v8
	v_mul_i32_i24_e32 v168, v85, v161
	v_lshrrev_b32_e32 v85, 28, v8
	v_mul_i32_i24_e32 v78, v153, v78
	v_mul_i32_i24_e32 v82, v153, v82
	v_lshrrev_b16 v84, 8, v84
	v_add3_u32 v136, v138, v136, v137
	v_add3_u32 v137, v139, v156, v157
	v_lshrrev_b16 v148, 8, v2
	v_mul_i32_i24_e32 v166, v166, v1
	v_and_b32_e32 v84, 15, v84
	v_bfe_i32 v2, v2, 0, 8
	v_bfe_u32 v184, v79, 12, 4
	v_bfe_u32 v83, v83, 20, 4
	v_add3_u32 v82, v137, v155, v82
	v_add3_u32 v78, v136, v135, v78
	v_mul_i32_i24_e32 v135, v1, v182
	v_mul_i32_i24_e32 v1, v1, v176
	;; [unrolled: 1-line block ×3, first 2 shown]
	v_bfe_i32 v148, v148, 0, 8
	v_mul_i32_i24_e32 v171, v2, v189
	v_bfe_u32 v79, v79, 20, 4
	v_bfe_u32 v189, v74, 4, 4
	;; [unrolled: 1-line block ×3, first 2 shown]
	v_mul_i32_i24_e32 v136, v144, v184
	v_mul_i32_i24_e32 v83, v164, v83
	;; [unrolled: 1-line block ×3, first 2 shown]
	v_add3_u32 v1, v82, v1, v137
	v_mul_i32_i24_e32 v172, v148, v190
	v_bfe_u32 v190, v72, 4, 4
	v_bfe_u32 v192, v72, 12, 4
	v_mul_i32_i24_e32 v79, v164, v79
	v_mul_i32_i24_e32 v138, v161, v188
	v_add3_u32 v78, v78, v135, v136
	v_add3_u32 v1, v1, v83, v139
	v_mul_i32_i24_e32 v82, v2, v189
	v_mul_i32_i24_e32 v135, v148, v191
	v_dual_lshrrev_b32 v193, 28, v74 :: v_dual_lshrrev_b32 v194, 28, v72
	v_bfe_u32 v74, v74, 20, 4
	v_bfe_u32 v72, v72, 20, 4
	v_add3_u32 v78, v78, v79, v138
	v_mul_i32_i24_e32 v79, v2, v190
	v_mul_i32_i24_e32 v83, v148, v192
	v_add3_u32 v1, v1, v82, v135
	v_dual_lshrrev_b32 v82, 4, v9 :: v_dual_lshrrev_b32 v135, 28, v9
	v_mul_i32_i24_e32 v136, v170, v72
	v_mul_i32_i24_e32 v72, v170, v74
	;; [unrolled: 1-line block ×4, first 2 shown]
	v_add3_u32 v78, v78, v79, v83
	v_lshrrev_b16 v82, 8, v82
	v_lshrrev_b16 v149, 8, v3
	v_and_b32_e32 v79, 0xffff, v84
	v_add3_u32 v72, v1, v72, v137
	v_add3_u32 v74, v78, v136, v74
	v_bfe_u32 v78, v8, 20, 4
	v_bfe_u32 v8, v8, 4, 4
	v_dual_ashrrev_i32 v82, 24, v3 :: v_dual_bitop2_b32 v136, 15, v82 bitop3:0x40
	v_bfe_i32 v84, v3, 16, 8
	v_bfe_i32 v137, v3, 0, 8
	v_and_b32_e32 v3, 15, v134
	v_and_b32_e32 v83, 15, v146
	v_add3_u32 v1, v140, v171, v172
	v_mul_i32_i24_e32 v2, v8, v2
	v_mul_i32_i24_e32 v8, v79, v148
	v_mul_i32_i24_e32 v79, v85, v169
	v_bfe_i32 v85, v149, 0, 8
	v_perm_b32 v3, v83, v3, 0x5040100
	v_add3_u32 v1, v1, v174, v175
	v_mul_i32_i24_e32 v138, v84, v177
	v_mul_i32_i24_e32 v139, v82, v179
	;; [unrolled: 1-line block ×3, first 2 shown]
	v_pk_mul_lo_u16 v83, v3, v137 op_sel_hi:[1,0]
	v_mul_i32_i24_e32 v3, v137, v180
	v_mad_i32_i24 v4, v173, v4, v5
	v_bfe_u32 v159, v200, 20, 4
	v_bfe_u32 v165, v201, 20, 4
	v_mad_i32_i24 v5, v154, v186, v150
	v_add3_u32 v1, v1, v3, v134
	v_add3_u32 v10, v10, v151, v86
	;; [unrolled: 1-line block ×3, first 2 shown]
	v_mul_i32_i24_e32 v159, v159, v158
	v_mul_i32_i24_e32 v165, v165, v164
	v_add3_u32 v1, v1, v138, v139
	v_mad_i32_i24 v11, v11, v185, v152
	v_add3_u32 v5, v5, v145, v141
	v_add3_u32 v6, v10, v87, v143
	;; [unrolled: 1-line block ×3, first 2 shown]
	v_mul_lo_u32 v1, v1, v178
	v_add3_u32 v11, v11, v147, v142
	v_add3_u32 v4, v5, v159, v165
	;; [unrolled: 1-line block ×3, first 2 shown]
	v_and_b32_e32 v134, 0xffff, v136
	v_mul_i32_i24_e32 v135, v135, v82
	v_add3_u32 v7, v11, v160, v168
	v_mul_i32_i24_e32 v78, v78, v170
	s_wait_dscnt 0x0
	v_cvt_f32_ubyte0_e32 v81, v162
	v_mul_i32_i24_e32 v134, v134, v85
	v_bfe_u32 v86, v75, 24, 4
	v_cvt_f32_i32_e32 v3, v1
	v_bfe_u32 v1, v9, 20, 4
	v_bfe_u32 v9, v9, 4, 4
	v_add3_u32 v6, v7, v79, v135
	v_bfe_u32 v87, v73, 24, 4
	v_mul_i32_i24_e32 v86, v128, v86
	v_mul_i32_i24_e32 v1, v1, v84
	;; [unrolled: 1-line block ×3, first 2 shown]
	v_bfe_u32 v135, v75, 20, 4
	v_mul_i32_i24_e32 v87, v128, v87
	v_bfe_i32 v128, v132, 0, 16
	v_add3_u32 v1, v4, v78, v1
	v_add3_u32 v0, v0, v2, v9
	ds_load_b64 v[8:9], v118
	v_add3_u32 v2, v5, v134, v6
	v_add3_u32 v126, v126, v129, v128
	v_lshrrev_b32_e32 v134, 28, v73
	v_bfe_u32 v136, v73, 20, 4
	v_bfe_u32 v73, v73, 12, 4
	v_add3_u32 v0, v0, v1, v2
	v_and_b32_e32 v1, 0xffff, v163
	v_add_nc_u32_e32 v118, 8, v118
	s_delay_alu instid0(VALU_DEP_4) | instskip(NEXT) | instid1(VALU_DEP_3)
	v_mul_i32_i24_e32 v73, v85, v73
	v_mul_lo_u32 v0, v0, v1
	v_cvt_f32_ubyte1_e32 v1, v162
	s_wait_dscnt 0x0
	v_lshrrev_b32_e32 v2, 16, v8
	v_cvt_f32_f16_e32 v10, v8
	v_fma_mix_f32 v8, v8, v133, 0 op_sel_hi:[1,0,0]
	v_lshrrev_b32_e32 v133, 28, v75
	v_bfe_u32 v75, v75, 12, 4
	v_cvt_f32_f16_e32 v11, v2
	v_lshrrev_b32_e32 v2, 16, v9
	v_cvt_f32_i32_e32 v0, v0
	v_cvt_f32_f16_e32 v4, v9
	v_mul_i32_i24_e32 v75, v85, v75
	v_mov_b32_e32 v6, v11
	v_cvt_f32_f16_e32 v5, v2
	v_mul_i32_i24_e32 v85, v84, v136
	v_mul_i32_i24_e32 v84, v84, v135
	v_fma_mix_f32 v3, v9, v3, v8 op_sel_hi:[1,0,0]
	s_delay_alu instid0(VALU_DEP_1) | instskip(NEXT) | instid1(VALU_DEP_1)
	v_dual_mov_b32 v7, v5 :: v_dual_mul_f32 v8, v3, v119
	v_pk_mul_f32 v[6:7], v[6:7], v[76:77]
	ds_load_u16 v76, v124
	ds_load_u16 v77, v124 offset:8
	v_add_f32_e32 v2, 0, v6
	s_delay_alu instid0(VALU_DEP_1)
	v_add_f32_e32 v2, v2, v7
	v_pk_fma_f32 v[6:7], v[80:81], v[10:11], 0 op_sel_hi:[1,1,0]
	ds_load_u16 v78, v125 offset:17408
	ds_load_u16 v81, v125 offset:17416
	v_mul_f32_e32 v2, v2, v120
	v_pk_fma_f32 v[0:1], v[0:1], v[4:5], v[6:7]
	s_wait_dscnt 0x3
	v_lshrrev_b16 v80, 8, v76
	v_and_b32_e32 v76, 0xff, v76
	s_delay_alu instid0(VALU_DEP_3) | instskip(NEXT) | instid1(VALU_DEP_3)
	v_pk_mul_f32 v[0:1], v[0:1], v[68:69]
	v_and_b32_e32 v137, 0xffff, v80
	s_wait_dscnt 0x2
	v_cvt_f32_ubyte1_e32 v80, v77
	s_delay_alu instid0(VALU_DEP_3)
	v_dual_mov_b32 v9, v0 :: v_dual_mov_b32 v3, v1
	s_wait_dscnt 0x1
	v_lshrrev_b16 v124, 8, v78
	v_and_b32_e32 v125, 0xff, v78
	v_cvt_f32_ubyte0_e32 v78, v77
	v_mul_i32_i24_e32 v77, v122, v130
	v_mul_i32_i24_e32 v122, v123, v130
	v_ashrrev_i32_e32 v123, 16, v132
	v_and_b32_e32 v124, 0xffff, v124
	s_wait_dscnt 0x0
	v_cvt_f32_ubyte0_e32 v79, v81
	v_add3_u32 v77, v126, v77, v87
	v_ashrrev_i32_e32 v87, 16, v83
	v_add3_u32 v123, v127, v131, v123
	v_bfe_i32 v83, v83, 0, 16
	v_cvt_f32_ubyte1_e32 v81, v81
	v_mul_lo_u32 v76, v77, v76
	v_add3_u32 v72, v72, v87, v75
	v_add3_u32 v86, v123, v122, v86
	;; [unrolled: 1-line block ×3, first 2 shown]
	v_pk_add_f32 v[2:3], v[8:9], v[2:3] neg_lo:[0,1] neg_hi:[0,1]
	s_delay_alu instid0(VALU_DEP_3) | instskip(SKIP_2) | instid1(VALU_DEP_4)
	v_mul_lo_u32 v77, v86, v125
	v_mul_i32_i24_e32 v86, v82, v134
	v_mul_i32_i24_e32 v82, v82, v133
	v_pk_add_f32 v[16:17], v[16:17], v[2:3]
	v_cvt_f32_i32_e32 v76, v76
	s_delay_alu instid0(VALU_DEP_4) | instskip(NEXT) | instid1(VALU_DEP_4)
	v_add3_u32 v73, v73, v85, v86
	v_add3_u32 v72, v72, v84, v82
	s_delay_alu instid0(VALU_DEP_2) | instskip(NEXT) | instid1(VALU_DEP_2)
	v_mul_lo_u32 v74, v73, v137
	v_mul_lo_u32 v72, v72, v124
	v_cvt_f32_i32_e32 v77, v77
	s_delay_alu instid0(VALU_DEP_2) | instskip(NEXT) | instid1(VALU_DEP_4)
	v_cvt_f32_i32_e32 v73, v72
	v_cvt_f32_i32_e32 v72, v74
	v_mov_b32_e32 v74, v11
	s_delay_alu instid0(VALU_DEP_4) | instskip(NEXT) | instid1(VALU_DEP_2)
	v_pk_fma_f32 v[10:11], v[10:11], v[76:77], 0 op_sel_hi:[0,1,0]
	v_pk_fma_f32 v[74:75], v[74:75], v[78:79], 0 op_sel_hi:[0,1,0]
	v_mov_b32_e32 v78, v5
	s_delay_alu instid0(VALU_DEP_3) | instskip(NEXT) | instid1(VALU_DEP_2)
	v_pk_fma_f32 v[10:11], v[4:5], v[72:73], v[10:11] op_sel_hi:[0,1,1]
	v_pk_fma_f32 v[74:75], v[78:79], v[80:81], v[74:75] op_sel_hi:[0,1,1]
	s_delay_alu instid0(VALU_DEP_1) | instskip(NEXT) | instid1(VALU_DEP_1)
	v_pk_mul_f32 v[74:75], v[74:75], v[70:71]
	v_pk_fma_f32 v[0:1], v[10:11], v[66:67], v[74:75] neg_lo:[0,0,1] neg_hi:[0,0,1]
	s_delay_alu instid0(VALU_DEP_1)
	v_pk_add_f32 v[18:19], v[18:19], v[0:1]
	s_cbranch_scc1 .LBB212_19
; %bb.20:                               ;   in Loop: Header=BB212_5 Depth=1
	s_barrier_signal -1
	s_barrier_wait -1
	s_branch .LBB212_4
.LBB212_21:
	v_mov_b32_e32 v18, 0
	s_delay_alu instid0(VALU_DEP_1)
	v_dual_mov_b32 v19, v18 :: v_dual_mov_b32 v16, v18
	v_mov_b32_e32 v17, v18
.LBB212_22:
	s_mul_i32 s0, s10, s7
	s_wait_loadcnt 0x0
	v_cmp_gt_i32_e32 vcc_lo, s0, v13
	s_wait_xcnt 0x0
	s_and_saveexec_b32 s0, vcc_lo
	s_cbranch_execz .LBB212_31
; %bb.23:
	v_mul_lo_u32 v0, v13, s9
	v_add_nc_u32_e32 v1, s11, v29
	s_mov_b32 s0, exec_lo
	s_delay_alu instid0(VALU_DEP_1)
	v_cmpx_gt_u32_e64 s9, v1
	s_cbranch_execz .LBB212_25
; %bb.24:
	s_delay_alu instid0(VALU_DEP_3)
	v_add_nc_u32_e32 v2, v0, v1
	v_cvt_f16_f32_e32 v3, v18
	global_store_b16 v2, v3, s[12:13] scale_offset
.LBB212_25:
	s_wait_xcnt 0x0
	s_or_b32 exec_lo, exec_lo, s0
	v_add_nc_u32_e32 v2, 32, v1
	s_mov_b32 s0, exec_lo
	s_delay_alu instid0(VALU_DEP_1)
	v_cmpx_gt_u32_e64 s9, v2
	s_cbranch_execz .LBB212_27
; %bb.26:
	v_add_nc_u32_e32 v2, v0, v2
	v_cvt_f16_f32_e32 v3, v19
	global_store_b16 v2, v3, s[12:13] scale_offset
.LBB212_27:
	s_wait_xcnt 0x0
	s_or_b32 exec_lo, exec_lo, s0
	v_add_nc_u32_e32 v2, 64, v1
	s_mov_b32 s0, exec_lo
	s_delay_alu instid0(VALU_DEP_1)
	v_cmpx_gt_u32_e64 s9, v2
	s_cbranch_execz .LBB212_29
; %bb.28:
	v_add_nc_u32_e32 v2, v0, v2
	v_cvt_f16_f32_e32 v3, v16
	global_store_b16 v2, v3, s[12:13] scale_offset
.LBB212_29:
	s_wait_xcnt 0x0
	s_or_b32 exec_lo, exec_lo, s0
	v_add_nc_u32_e32 v1, 0x60, v1
	s_delay_alu instid0(VALU_DEP_1)
	v_cmp_gt_u32_e32 vcc_lo, s9, v1
	s_and_b32 exec_lo, exec_lo, vcc_lo
	s_cbranch_execz .LBB212_31
; %bb.30:
	v_add_nc_u32_e32 v0, v0, v1
	v_cvt_f16_f32_e32 v1, v17
	global_store_b16 v0, v1, s[12:13] scale_offset
.LBB212_31:
	s_sendmsg sendmsg(MSG_DEALLOC_VGPRS)
	s_endpgm
	.section	.rodata,"a",@progbits
	.p2align	6, 0x0
	.amdhsa_kernel _ZL8moe_q4_KIN3c104HalfELb1EEvPKvS3_PT_PKiS7_S7_iiiiiii
		.amdhsa_group_segment_fixed_size 20688
		.amdhsa_private_segment_fixed_size 0
		.amdhsa_kernarg_size 76
		.amdhsa_user_sgpr_count 2
		.amdhsa_user_sgpr_dispatch_ptr 0
		.amdhsa_user_sgpr_queue_ptr 0
		.amdhsa_user_sgpr_kernarg_segment_ptr 1
		.amdhsa_user_sgpr_dispatch_id 0
		.amdhsa_user_sgpr_kernarg_preload_length 0
		.amdhsa_user_sgpr_kernarg_preload_offset 0
		.amdhsa_user_sgpr_private_segment_size 0
		.amdhsa_wavefront_size32 1
		.amdhsa_uses_dynamic_stack 0
		.amdhsa_enable_private_segment 0
		.amdhsa_system_sgpr_workgroup_id_x 1
		.amdhsa_system_sgpr_workgroup_id_y 1
		.amdhsa_system_sgpr_workgroup_id_z 0
		.amdhsa_system_sgpr_workgroup_info 0
		.amdhsa_system_vgpr_workitem_id 1
		.amdhsa_next_free_vgpr 299
		.amdhsa_next_free_sgpr 24
		.amdhsa_named_barrier_count 0
		.amdhsa_reserve_vcc 1
		.amdhsa_float_round_mode_32 0
		.amdhsa_float_round_mode_16_64 0
		.amdhsa_float_denorm_mode_32 3
		.amdhsa_float_denorm_mode_16_64 3
		.amdhsa_fp16_overflow 0
		.amdhsa_memory_ordered 1
		.amdhsa_forward_progress 1
		.amdhsa_inst_pref_size 123
		.amdhsa_round_robin_scheduling 0
		.amdhsa_exception_fp_ieee_invalid_op 0
		.amdhsa_exception_fp_denorm_src 0
		.amdhsa_exception_fp_ieee_div_zero 0
		.amdhsa_exception_fp_ieee_overflow 0
		.amdhsa_exception_fp_ieee_underflow 0
		.amdhsa_exception_fp_ieee_inexact 0
		.amdhsa_exception_int_div_zero 0
	.end_amdhsa_kernel
	.section	.text._ZL8moe_q4_KIN3c104HalfELb1EEvPKvS3_PT_PKiS7_S7_iiiiiii,"axG",@progbits,_ZL8moe_q4_KIN3c104HalfELb1EEvPKvS3_PT_PKiS7_S7_iiiiiii,comdat
.Lfunc_end212:
	.size	_ZL8moe_q4_KIN3c104HalfELb1EEvPKvS3_PT_PKiS7_S7_iiiiiii, .Lfunc_end212-_ZL8moe_q4_KIN3c104HalfELb1EEvPKvS3_PT_PKiS7_S7_iiiiiii
                                        ; -- End function
	.set _ZL8moe_q4_KIN3c104HalfELb1EEvPKvS3_PT_PKiS7_S7_iiiiiii.num_vgpr, 299
	.set _ZL8moe_q4_KIN3c104HalfELb1EEvPKvS3_PT_PKiS7_S7_iiiiiii.num_agpr, 0
	.set _ZL8moe_q4_KIN3c104HalfELb1EEvPKvS3_PT_PKiS7_S7_iiiiiii.numbered_sgpr, 24
	.set _ZL8moe_q4_KIN3c104HalfELb1EEvPKvS3_PT_PKiS7_S7_iiiiiii.num_named_barrier, 0
	.set _ZL8moe_q4_KIN3c104HalfELb1EEvPKvS3_PT_PKiS7_S7_iiiiiii.private_seg_size, 0
	.set _ZL8moe_q4_KIN3c104HalfELb1EEvPKvS3_PT_PKiS7_S7_iiiiiii.uses_vcc, 1
	.set _ZL8moe_q4_KIN3c104HalfELb1EEvPKvS3_PT_PKiS7_S7_iiiiiii.uses_flat_scratch, 0
	.set _ZL8moe_q4_KIN3c104HalfELb1EEvPKvS3_PT_PKiS7_S7_iiiiiii.has_dyn_sized_stack, 0
	.set _ZL8moe_q4_KIN3c104HalfELb1EEvPKvS3_PT_PKiS7_S7_iiiiiii.has_recursion, 0
	.set _ZL8moe_q4_KIN3c104HalfELb1EEvPKvS3_PT_PKiS7_S7_iiiiiii.has_indirect_call, 0
	.section	.AMDGPU.csdata,"",@progbits
; Kernel info:
; codeLenInByte = 15688
; TotalNumSgprs: 26
; NumVgprs: 299
; ScratchSize: 0
; MemoryBound: 0
; FloatMode: 240
; IeeeMode: 1
; LDSByteSize: 20688 bytes/workgroup (compile time only)
; SGPRBlocks: 0
; VGPRBlocks: 18
; NumSGPRsForWavesPerEU: 26
; NumVGPRsForWavesPerEU: 299
; NamedBarCnt: 0
; Occupancy: 3
; WaveLimiterHint : 1
; COMPUTE_PGM_RSRC2:SCRATCH_EN: 0
; COMPUTE_PGM_RSRC2:USER_SGPR: 2
; COMPUTE_PGM_RSRC2:TRAP_HANDLER: 0
; COMPUTE_PGM_RSRC2:TGID_X_EN: 1
; COMPUTE_PGM_RSRC2:TGID_Y_EN: 1
; COMPUTE_PGM_RSRC2:TGID_Z_EN: 0
; COMPUTE_PGM_RSRC2:TIDIG_COMP_CNT: 1
	.section	.text._ZL8moe_q5_KIN3c104HalfELb0EEvPKvS3_PT_PKiS7_S7_iiiiiii,"axG",@progbits,_ZL8moe_q5_KIN3c104HalfELb0EEvPKvS3_PT_PKiS7_S7_iiiiiii,comdat
	.globl	_ZL8moe_q5_KIN3c104HalfELb0EEvPKvS3_PT_PKiS7_S7_iiiiiii ; -- Begin function _ZL8moe_q5_KIN3c104HalfELb0EEvPKvS3_PT_PKiS7_S7_iiiiiii
	.p2align	8
	.type	_ZL8moe_q5_KIN3c104HalfELb0EEvPKvS3_PT_PKiS7_S7_iiiiiii,@function
_ZL8moe_q5_KIN3c104HalfELb0EEvPKvS3_PT_PKiS7_S7_iiiiiii: ; @_ZL8moe_q5_KIN3c104HalfELb0EEvPKvS3_PT_PKiS7_S7_iiiiiii
; %bb.0:
	s_load_b128 s[4:7], s[0:1], 0x18
	s_bfe_u32 s2, ttmp6, 0x40010
	s_bfe_u32 s8, ttmp6, 0x40004
	s_add_co_i32 s2, s2, 1
	s_delay_alu instid0(SALU_CYCLE_1)
	s_mul_i32 s3, ttmp7, s2
	s_getreg_b32 s2, hwreg(HW_REG_IB_STS2, 6, 4)
	s_add_co_i32 s8, s8, s3
	s_cmp_eq_u32 s2, 0
	s_cselect_b32 s3, ttmp7, s8
	s_wait_kmcnt 0x0
	s_load_b32 s12, s[6:7], s3 offset:0x0 scale_offset
	s_wait_kmcnt 0x0
	s_cmp_gt_u32 s12, 0xff
	s_cbranch_scc1 .LBB213_30
; %bb.1:
	s_load_b64 s[6:7], s[0:1], 0x28
	s_lshl_b32 s3, s3, 3
	s_wait_kmcnt 0x0
	s_load_b32 s6, s[6:7], 0x0
	s_wait_kmcnt 0x0
	s_cmp_gt_u32 s3, s6
	s_cbranch_scc1 .LBB213_30
; %bb.2:
	v_bfe_u32 v20, v0, 10, 10
	s_and_b32 s13, ttmp6, 15
	v_and_b32_e32 v3, 0x3ff, v0
	v_dual_mov_b32 v45, 0 :: v_dual_mov_b32 v19, 0
	s_delay_alu instid0(VALU_DEP_3) | instskip(SKIP_1) | instid1(SALU_CYCLE_1)
	v_dual_add_nc_u32 v1, s3, v20 :: v_dual_mov_b32 v43, 0
	s_bfe_u32 s3, ttmp6, 0x4000c
	s_add_co_i32 s3, s3, 1
	global_load_b32 v1, v1, s[4:5] scale_offset
	s_clause 0x2
	s_load_b64 s[10:11], s[0:1], 0x30
	s_load_b64 s[8:9], s[0:1], 0x10
	s_load_b128 s[4:7], s[0:1], 0x3c
	s_mul_i32 s3, ttmp9, s3
	v_mov_b32_e32 v18, v43
	s_add_co_i32 s13, s13, s3
	s_cmp_eq_u32 s2, 0
	s_cselect_b32 s2, ttmp9, s13
	s_mov_b32 s13, 0
	s_lshl_b32 s18, s2, 7
	s_wait_kmcnt 0x0
	s_cmp_lt_i32 s11, 0x100
	s_cbranch_scc1 .LBB213_21
; %bb.3:
	s_load_b128 s[0:3], s[0:1], 0x0
	v_dual_lshlrev_b32 v7, 3, v3 :: v_dual_bitop2_b32 v4, 7, v0 bitop3:0x40
	s_mul_i32 s16, s12, s10
	v_dual_mov_b32 v5, 0 :: v_dual_lshlrev_b32 v19, 2, v3
	v_bfe_u32 v14, v0, 2, 8
	s_delay_alu instid0(VALU_DEP_3)
	v_lshlrev_b32_e32 v8, 2, v4
	s_ashr_i32 s17, s16, 31
	v_mul_u32_u24_e32 v10, 0x41, v20
	v_and_b32_e32 v6, 28, v19
	v_dual_lshlrev_b32 v11, 5, v20 :: v_dual_bitop2_b32 v9, 6, v14 bitop3:0x40
	v_and_or_b32 v12, 0xc0, v7, v8
	v_dual_lshlrev_b32 v24, 3, v20 :: v_dual_bitop2_b32 v25, 4, v19 bitop3:0x40
	v_and_b32_e32 v16, 3, v0
	s_ashr_i32 s14, s11, 31
	s_delay_alu instid0(VALU_DEP_3)
	v_lshl_add_u32 v15, v10, 2, v12
	v_add_nc_u32_e32 v10, v11, v3
	s_wait_kmcnt 0x0
	s_add_nc_u64 s[16:17], s[0:1], s[16:17]
	s_abs_i32 s1, s7
	v_add_nc_u32_e32 v18, 0xfe, v16
	s_cvt_f32_u32 s0, s1
	v_and_b32_e32 v17, 0x7f, v10
	v_lshrrev_b32_e32 v12, 3, v10
	s_lshr_b32 s10, s14, 24
	v_rcp_iflag_f32_e32 v21, s0
	v_and_b32_e32 v18, 0xff, v18
	s_delay_alu instid0(VALU_DEP_2) | instskip(SKIP_3) | instid1(TRANS32_DEP_1)
	v_dual_lshlrev_b32 v23, 2, v17 :: v_dual_bitop2_b32 v22, 12, v12 bitop3:0x40
	v_cmp_gt_u32_e32 vcc_lo, 2, v16
	s_add_co_i32 s10, s11, s10
	s_sub_co_i32 s19, 0, s1
	v_readfirstlane_b32 s0, v21
	s_ashr_i32 s10, s10, 8
	s_wait_loadcnt 0x0
	v_sub_nc_u32_e32 v21, 0, v1
	v_mul_i32_i24_e32 v12, s10, v17
	v_add3_u32 v17, v23, v22, 0x8e40
	s_mul_f32 s0, s0, 0x4f7ffffe
	s_delay_alu instid0(VALU_DEP_3) | instskip(SKIP_1) | instid1(SALU_CYCLE_1)
	v_dual_cndmask_b32 v22, v18, v16, vcc_lo :: v_dual_max_i32 v26, v1, v21
	v_cmp_ne_u32_e32 vcc_lo, 0, v16
	s_cvt_u32_f32 s0, s0
	v_add_nc_u32_e32 v23, v14, v24
	v_add_nc_u16 v14, v14, v24
	s_ashr_i32 s15, s5, 31
	s_mul_i32 s19, s19, s0
	v_add_co_ci_u32_e64 v18, null, 0, v22, vcc_lo
	v_cmp_lt_u32_e32 vcc_lo, 1, v16
	s_mul_hi_u32 s19, s0, s19
	v_bitop3_b32 v24, v23, 64, 0x7f bitop3:0x6c
	s_add_co_i32 s0, s0, s19
	v_dual_cndmask_b32 v21, 0, v25 :: v_dual_lshlrev_b32 v16, 2, v16
	v_mul_hi_u32 v25, v26, s0
	v_lshrrev_b16 v14, 1, v14
	v_lshrrev_b32_e32 v29, 1, v24
	v_and_b32_e32 v27, 0x7f, v23
	v_lshlrev_b32_e32 v23, 1, v22
	v_lshl_or_b32 v32, v24, 4, v16
	v_and_b32_e32 v31, 60, v14
	v_bfe_u32 v2, v0, 5, 5
	v_lshl_or_b32 v22, v27, 4, v16
	v_mul_i32_i24_e32 v14, s10, v27
	v_mul_i32_i24_e32 v16, s10, v24
	v_mul_lo_u32 v30, v25, s1
	v_dual_add_nc_u32 v24, 1, v25 :: v_dual_bitop2_b32 v28, 31, v0 bitop3:0x40
	v_add3_u32 v27, v22, v31, 0x8200
	v_cndmask_b32_e64 v34, 0, 1, vcc_lo
	v_bfe_u32 v37, v0, 3, 7
	s_lshr_b32 s12, s15, 27
	v_mul_i32_i24_e32 v8, s10, v20
	s_add_co_i32 s5, s5, s12
	s_lshl_b32 s12, s10, 3
	v_dual_sub_nc_u32 v22, v26, v30 :: v_dual_bitop2_b32 v29, 60, v29 bitop3:0x40
	v_lshlrev_b32_e32 v28, 2, v28
	v_mad_i32_i24 v10, s10, v20, s12
	v_lshlrev_b32_e32 v38, 4, v20
	s_ashr_i32 s5, s5, 5
	v_subrev_nc_u32_e32 v0, s1, v22
	v_cmp_le_u32_e32 vcc_lo, s1, v22
	v_lshl_or_b32 v28, v20, 7, v28
	v_xor_b32_e32 v26, s7, v1
	v_add3_u32 v29, v32, v29, 0x8200
	v_dual_mov_b32 v31, v5 :: v_dual_add_nc_u32 v36, 0x9050, v19
	v_dual_cndmask_b32 v20, v25, v24 :: v_dual_lshlrev_b32 v25, 2, v2
	v_dual_cndmask_b32 v0, v22, v0, vcc_lo :: v_dual_add_nc_u32 v24, 32, v3
	s_delay_alu instid0(VALU_DEP_2) | instskip(NEXT) | instid1(VALU_DEP_3)
	v_dual_ashrrev_i32 v26, 31, v26 :: v_dual_add_nc_u32 v22, 1, v20
	v_add3_u32 v41, v25, v19, 0x8e40
	s_delay_alu instid0(VALU_DEP_3) | instskip(SKIP_4) | instid1(VALU_DEP_3)
	v_cmp_le_u32_e32 vcc_lo, s1, v0
	v_add_nc_u32_e32 v33, 0x8a40, v28
	v_dual_lshrrev_b32 v39, 3, v24 :: v_dual_add_nc_u32 v28, 64, v3
	v_dual_cndmask_b32 v0, v20, v22 :: v_dual_lshlrev_b32 v43, 2, v24
	v_dual_mov_b32 v35, v5 :: v_dual_add_nc_u32 v22, 0x60, v3
	v_dual_lshrrev_b32 v40, 3, v28 :: v_dual_bitop2_b32 v20, 60, v39 bitop3:0x40
	s_delay_alu instid0(VALU_DEP_3) | instskip(SKIP_1) | instid1(VALU_DEP_3)
	v_xor_b32_e32 v25, v0, v26
	v_dual_add_nc_u32 v0, s12, v10 :: v_dual_lshlrev_b32 v44, 2, v28
	v_dual_lshrrev_b32 v42, 3, v22 :: v_dual_bitop2_b32 v24, 60, v40 bitop3:0x40
	s_delay_alu instid0(VALU_DEP_4) | instskip(NEXT) | instid1(VALU_DEP_3)
	v_add3_u32 v47, v19, v20, 0x8e40
	v_dual_sub_nc_u32 v25, v25, v26 :: v_dual_add_nc_u32 v20, s12, v0
	s_delay_alu instid0(VALU_DEP_3) | instskip(SKIP_2) | instid1(VALU_DEP_4)
	v_and_b32_e32 v26, 60, v42
	v_lshlrev_b32_e32 v45, 2, v22
	v_add3_u32 v49, v19, v24, 0x8e40
	v_mul_lo_u32 v24, v25, s5
	v_add_nc_u32_e32 v22, s12, v20
	v_add3_u32 v53, v19, v26, 0x8e40
	s_movk_i32 s1, 0x2080
	v_dual_add_nc_u32 v90, v36, v38 :: v_dual_lshlrev_b32 v91, 2, v37
	s_delay_alu instid0(VALU_DEP_3) | instskip(SKIP_3) | instid1(VALU_DEP_4)
	v_add_nc_u32_e32 v26, s12, v22
	v_mad_u32_u24 v87, 0x104, v3, s1
	v_cmp_gt_i32_e64 s1, s4, v25
	v_dual_lshlrev_b32 v93, 2, v39 :: v_dual_lshlrev_b32 v95, 2, v40
	v_dual_add_nc_u32 v28, s12, v26 :: v_dual_ashrrev_i32 v25, 31, v24
	v_lshlrev_b32_e32 v30, 2, v18
	v_dual_lshlrev_b32 v97, 2, v42 :: v_dual_lshlrev_b32 v98, 2, v45
	s_delay_alu instid0(VALU_DEP_3) | instskip(SKIP_2) | instid1(VALU_DEP_3)
	v_dual_add_nc_u32 v32, s12, v28 :: v_dual_lshlrev_b32 v34, 2, v34
	v_dual_lshlrev_b32 v94, 2, v43 :: v_dual_lshlrev_b32 v96, 2, v44
	v_dual_mov_b32 v7, v5 :: v_dual_bitop2_b32 v13, 1, v9 bitop3:0x54
	v_dual_add_nc_u32 v36, s12, v32 :: v_dual_lshlrev_b32 v92, 2, v19
	v_mov_b32_e32 v18, v5
	s_mul_i32 s14, s10, s18
	v_cmp_gt_u32_e64 s0, 4, v3
	s_delay_alu instid0(VALU_DEP_3)
	v_add_nc_u32_e32 v38, s12, v36
	s_movk_i32 s19, 0x4100
	s_movk_i32 s20, 0x6180
	v_add_nc_u64_e32 v[50:51], s[2:3], v[6:7]
	s_ashr_i32 s15, s14, 31
	v_add_nc_u32_e32 v40, s12, v38
	v_and_b32_e32 v4, 0x7c, v19
	v_mul_u32_u24_e32 v86, 0x104, v3
	v_mad_u32_u24 v88, 0x104, v3, s19
	v_mad_u32_u24 v89, 0x104, v3, s20
	v_add_nc_u32_e32 v42, s12, v40
	v_add_nc_u32_e32 v99, 0x800, v15
	v_dual_mov_b32 v19, v5 :: v_dual_add_nc_u32 v100, 0x1000, v15
	v_add_nc_u32_e32 v101, 0x1800, v15
	s_delay_alu instid0(VALU_DEP_4) | instskip(SKIP_3) | instid1(VALU_DEP_4)
	v_add_nc_u32_e32 v44, s12, v42
	v_dual_mov_b32 v45, v5 :: v_dual_add_nc_u32 v102, 0x2000, v15
	v_add_nc_u32_e32 v103, 0x2800, v15
	v_dual_mov_b32 v43, v5 :: v_dual_add_nc_u32 v104, 0x3000, v15
	v_add_nc_u32_e32 v46, s12, v44
	v_add_nc_u32_e32 v105, 0x3800, v15
	;; [unrolled: 1-line block ×12, first 2 shown]
	s_mul_u64 s[14:15], s[14:15], 0xb0
	s_and_b32 s19, s0, s1
	s_add_nc_u64 s[14:15], s[16:17], s[14:15]
	s_mov_b32 s12, s13
	s_branch .LBB213_5
.LBB213_4:                              ;   in Loop: Header=BB213_5 Depth=1
	s_add_co_i32 s12, s12, 1
	s_delay_alu instid0(SALU_CYCLE_1)
	s_cmp_eq_u32 s12, s10
	s_cbranch_scc1 .LBB213_21
.LBB213_5:                              ; =>This Loop Header: Depth=1
                                        ;     Child Loop BB213_11 Depth 2
                                        ;     Child Loop BB213_19 Depth 2
	s_mul_u64 s[16:17], s[12:13], 0xb0
	s_delay_alu instid0(SALU_CYCLE_1) | instskip(NEXT) | instid1(SALU_CYCLE_1)
	s_add_nc_u64 s[16:17], s[14:15], s[16:17]
	v_mad_nc_u64_u32 v[54:55], 0xb0, v2, s[16:17]
	v_mad_nc_u64_u32 v[56:57], 0xb0, v14, s[16:17]
	v_mad_nc_u64_u32 v[58:59], 0xb0, v16, s[16:17]
	s_delay_alu instid0(VALU_DEP_3)
	v_mad_nc_u64_u32 v[60:61], 0xb0, v8, v[54:55]
	v_mad_nc_u64_u32 v[62:63], 0xb0, v10, v[54:55]
	;; [unrolled: 1-line block ×4, first 2 shown]
	v_add_nc_u64_e32 v[70:71], v[56:57], v[30:31]
	v_add_nc_u64_e32 v[56:57], v[56:57], v[34:35]
	;; [unrolled: 1-line block ×3, first 2 shown]
	v_mad_nc_u64_u32 v[68:69], 0xb0, v22, v[54:55]
	v_add_nc_u64_e32 v[58:59], v[58:59], v[34:35]
	v_mad_nc_u64_u32 v[74:75], 0xb0, v26, v[54:55]
	v_mad_nc_u64_u32 v[76:77], 0xb0, v28, v[54:55]
	v_mad_nc_u64_u32 v[78:79], 0xb0, v32, v[54:55]
	s_clause 0x3
	global_load_b32 v80, v[70:71], off offset:4
	global_load_b32 v81, v[56:57], off offset:4
	;; [unrolled: 1-line block ×4, first 2 shown]
	s_wait_xcnt 0x2
	v_add_nc_u64_e32 v[56:57], v[60:61], v[6:7]
	s_wait_xcnt 0x0
	v_add_nc_u64_e32 v[58:59], v[60:61], v[4:5]
	v_add_nc_u64_e32 v[60:61], v[62:63], v[6:7]
	;; [unrolled: 1-line block ×7, first 2 shown]
	s_clause 0x7
	global_load_b32 v84, v[56:57], off offset:16
	global_load_b32 v85, v[60:61], off offset:16
	;; [unrolled: 1-line block ×8, first 2 shown]
	s_wait_xcnt 0x7
	v_add_nc_u64_e32 v[56:57], v[68:69], v[6:7]
	s_wait_xcnt 0x5
	v_mad_nc_u64_u32 v[70:71], 0xb0, v36, v[54:55]
	v_add_nc_u64_e32 v[60:61], v[74:75], v[6:7]
	s_wait_xcnt 0x1
	v_add_nc_u64_e32 v[62:63], v[74:75], v[4:5]
	v_add_nc_u64_e32 v[64:65], v[76:77], v[6:7]
	v_mad_nc_u64_u32 v[74:75], 0xb0, v38, v[54:55]
	v_add_nc_u64_e32 v[66:67], v[78:79], v[4:5]
	s_wait_xcnt 0x0
	v_add_nc_u64_e32 v[58:59], v[68:69], v[4:5]
	v_add_nc_u64_e32 v[68:69], v[78:79], v[6:7]
	;; [unrolled: 1-line block ×3, first 2 shown]
	s_clause 0x7
	global_load_b32 v78, v[56:57], off offset:16
	global_load_b32 v79, v[60:61], off offset:16
	global_load_b32 v120, v[64:65], off offset:16
	global_load_b32 v121, v[66:67], off offset:48
	global_load_b32 v122, v[68:69], off offset:16
	global_load_b32 v123, v[72:73], off offset:48
	global_load_b32 v124, v[62:63], off offset:48
	global_load_b32 v125, v[58:59], off offset:48
	s_wait_xcnt 0x1
	v_mad_nc_u64_u32 v[62:63], 0xb0, v40, v[54:55]
	v_mad_nc_u64_u32 v[66:67], 0xb0, v42, v[54:55]
	v_add_nc_u64_e32 v[56:57], v[70:71], v[4:5]
	v_mad_nc_u64_u32 v[68:69], 0xb0, v44, v[54:55]
	s_wait_xcnt 0x0
	v_add_nc_u64_e32 v[58:59], v[70:71], v[6:7]
	v_mad_nc_u64_u32 v[70:71], 0xb0, v46, v[54:55]
	v_add_nc_u64_e32 v[60:61], v[74:75], v[4:5]
	v_add_nc_u64_e32 v[64:65], v[74:75], v[6:7]
	v_mad_nc_u64_u32 v[72:73], 0xb0, v48, v[54:55]
	v_mad_nc_u64_u32 v[54:55], 0xb0, v52, v[54:55]
	s_clause 0x3
	global_load_b32 v126, v[56:57], off offset:48
	global_load_b32 v127, v[58:59], off offset:16
	;; [unrolled: 1-line block ×4, first 2 shown]
	s_wait_xcnt 0x3
	v_add_nc_u64_e32 v[56:57], v[62:63], v[4:5]
	s_wait_xcnt 0x2
	v_add_nc_u64_e32 v[58:59], v[62:63], v[6:7]
	;; [unrolled: 2-line block ×3, first 2 shown]
	v_add_nc_u64_e32 v[62:63], v[66:67], v[6:7]
	s_wait_xcnt 0x0
	v_add_nc_u64_e32 v[64:65], v[68:69], v[6:7]
	v_add_nc_u64_e32 v[66:67], v[68:69], v[4:5]
	;; [unrolled: 1-line block ×6, first 2 shown]
	s_clause 0x9
	global_load_b32 v130, v[56:57], off offset:48
	global_load_b32 v131, v[58:59], off offset:16
	;; [unrolled: 1-line block ×10, first 2 shown]
	s_wait_xcnt 0x9
	v_add_nc_u64_e32 v[56:57], v[72:73], v[6:7]
	v_add_nc_u64_e32 v[54:55], v[54:55], v[6:7]
	s_clause 0x1
	global_load_b32 v58, v[56:57], off offset:16
	global_load_b32 v59, v[54:55], off offset:16
	s_wait_xcnt 0x0
	v_mad_nc_u64_u32 v[54:55], 0xb0, v12, s[16:17]
	s_lshl_b32 s16, s12, 8
	s_delay_alu instid0(SALU_CYCLE_1)
	s_cmp_lt_i32 s16, s11
	global_load_b32 v54, v[54:55], off
	s_wait_loadcnt 0x23
	s_wait_xcnt 0x0
	v_dual_ashrrev_i32 v55, v21, v80 :: v_dual_ashrrev_i32 v57, v23, v81
	s_wait_loadcnt 0x21
	v_dual_ashrrev_i32 v56, v21, v82 :: v_dual_ashrrev_i32 v60, v23, v83
	s_delay_alu instid0(VALU_DEP_2) | instskip(SKIP_2) | instid1(VALU_DEP_3)
	v_and_b32_e32 v55, 0xf0f0f0f, v55
	s_wait_loadcnt 0x20
	v_ashrrev_i32_e32 v62, v13, v84
	v_and_b32_e32 v56, 0xf0f0f0f, v56
	s_wait_loadcnt 0x1e
	v_dual_ashrrev_i32 v63, v9, v85 :: v_dual_ashrrev_i32 v67, v9, v114
	v_and_or_b32 v55, 0x30303030, v57, v55
	s_wait_loadcnt 0x19
	v_dual_ashrrev_i32 v57, v9, v84 :: v_dual_lshrrev_b32 v61, 4, v119
	v_dual_lshrrev_b32 v65, 4, v118 :: v_dual_ashrrev_i32 v66, v13, v85
	v_dual_ashrrev_i32 v70, v13, v114 :: v_dual_lshrrev_b32 v69, 4, v117
	v_dual_ashrrev_i32 v71, v9, v115 :: v_dual_lshrrev_b32 v73, 4, v116
	v_ashrrev_i32_e32 v74, v13, v115
	s_wait_loadcnt 0x18
	v_ashrrev_i32_e32 v75, v9, v78
	v_ashrrev_i32_e32 v78, v13, v78
	v_and_or_b32 v56, 0x30303030, v60, v56
	v_and_b32_e32 v60, 0xf0f0f0f, v119
	s_wait_loadcnt 0x11
	v_lshrrev_b32_e32 v77, 4, v125
	v_and_b32_e32 v64, 0xf0f0f0f, v118
	v_and_b32_e32 v68, 0xf0f0f0f, v117
	;; [unrolled: 1-line block ×4, first 2 shown]
	v_dual_ashrrev_i32 v80, v9, v79 :: v_dual_ashrrev_i32 v83, v9, v120
	v_and_b32_e32 v81, 0xf0f0f0f, v124
	v_dual_lshrrev_b32 v82, 4, v124 :: v_dual_ashrrev_i32 v79, v13, v79
	v_ashrrev_i32_e32 v114, v13, v120
	v_and_b32_e32 v84, 0xf0f0f0f, v123
	v_dual_lshrrev_b32 v85, 4, v123 :: v_dual_ashrrev_i32 v115, v9, v122
	v_and_b32_e32 v116, 0xf0f0f0f, v121
	v_dual_lshrrev_b32 v117, 4, v121 :: v_dual_ashrrev_i32 v118, v13, v122
	s_wait_loadcnt 0xf
	v_dual_ashrrev_i32 v119, v9, v127 :: v_dual_lshrrev_b32 v121, 4, v126
	v_and_b32_e32 v120, 0xf0f0f0f, v126
	s_wait_loadcnt 0xe
	v_dual_ashrrev_i32 v122, v13, v127 :: v_dual_lshrrev_b32 v125, 4, v128
	s_wait_loadcnt 0xb
	v_dual_ashrrev_i32 v123, v9, v129 :: v_dual_ashrrev_i32 v127, v9, v131
	v_and_b32_e32 v124, 0xf0f0f0f, v128
	v_dual_ashrrev_i32 v126, v13, v129 :: v_dual_lshrrev_b32 v129, 4, v130
	v_and_b32_e32 v128, 0xf0f0f0f, v130
	v_ashrrev_i32_e32 v130, v13, v131
	s_wait_loadcnt 0x8
	v_dual_ashrrev_i32 v131, v9, v133 :: v_dual_ashrrev_i32 v141, v9, v134
	v_and_b32_e32 v140, 0xf0f0f0f, v132
	v_dual_lshrrev_b32 v132, 4, v132 :: v_dual_ashrrev_i32 v133, v13, v133
	s_wait_loadcnt 0x3
	v_and_b32_e32 v142, 0xf0f0f0f, v139
	v_dual_lshrrev_b32 v139, 4, v139 :: v_dual_ashrrev_i32 v134, v13, v134
	s_wait_loadcnt 0x2
	v_dual_ashrrev_i32 v143, v9, v136 :: v_dual_ashrrev_i32 v145, v9, v58
	v_and_b32_e32 v144, 0xf0f0f0f, v135
	v_dual_lshrrev_b32 v135, 4, v135 :: v_dual_ashrrev_i32 v136, v13, v136
	v_and_b32_e32 v146, 0xf0f0f0f, v138
	v_lshrrev_b32_e32 v138, 4, v138
	v_ashrrev_i32_e32 v58, v13, v58
	s_wait_loadcnt 0x1
	v_dual_ashrrev_i32 v147, v9, v59 :: v_dual_lshlrev_b32 v57, 4, v57
	v_and_b32_e32 v148, 0xf0f0f0f, v137
	v_dual_lshrrev_b32 v137, 4, v137 :: v_dual_ashrrev_i32 v59, v13, v59
	v_lshlrev_b32_e32 v62, 4, v62
	v_and_b32_e32 v61, 0xf0f0f0f, v61
	v_dual_lshlrev_b32 v63, 4, v63 :: v_dual_lshlrev_b32 v66, 4, v66
	v_and_b32_e32 v65, 0xf0f0f0f, v65
	v_dual_lshlrev_b32 v67, 4, v67 :: v_dual_lshlrev_b32 v70, 4, v70
	;; [unrolled: 2-line block ×14, first 2 shown]
	v_and_b32_e32 v138, 0xf0f0f0f, v138
	v_lshlrev_b32_e32 v147, 4, v147
	v_and_b32_e32 v137, 0xf0f0f0f, v137
	v_lshlrev_b32_e32 v59, 4, v59
	v_and_or_b32 v57, 0x10101010, v57, v60
	v_and_or_b32 v60, 0x10101010, v62, v61
	;; [unrolled: 1-line block ×32, first 2 shown]
	ds_store_2addr_b32 v15, v57, v60 offset1:8
	ds_store_2addr_b32 v99, v61, v62 offset0:8 offset1:16
	ds_store_2addr_b32 v100, v63, v64 offset0:16 offset1:24
	;; [unrolled: 1-line block ×15, first 2 shown]
	s_wait_loadcnt 0x0
	ds_store_b32 v17, v54
	ds_store_b32 v27, v55
	ds_store_b32 v29, v56
	s_cbranch_scc0 .LBB213_4
; %bb.6:                                ;   in Loop: Header=BB213_5 Depth=1
	s_lshl_b32 s17, s12, 3
	s_delay_alu instid0(SALU_CYCLE_1) | instskip(NEXT) | instid1(VALU_DEP_1)
	v_add_nc_u32_e32 v54, s17, v37
	v_cmp_gt_i32_e32 vcc_lo, s5, v54
	s_and_b32 s21, s1, vcc_lo
	s_delay_alu instid0(SALU_CYCLE_1)
	s_and_saveexec_b32 s20, s21
	s_cbranch_execz .LBB213_8
; %bb.7:                                ;   in Loop: Header=BB213_5 Depth=1
	v_add_nc_u32_e32 v54, v24, v54
	s_delay_alu instid0(VALU_DEP_1)
	v_mad_nc_i64_i32 v[54:55], v54, 36, v[50:51]
	global_load_b32 v54, v[54:55], off offset:4
	s_wait_loadcnt 0x0
	ds_store_b32 v33, v54
.LBB213_8:                              ;   in Loop: Header=BB213_5 Depth=1
	s_or_b32 exec_lo, exec_lo, s20
	v_add_nc_u32_e32 v54, s17, v3
	s_delay_alu instid0(VALU_DEP_1) | instskip(SKIP_1) | instid1(SALU_CYCLE_1)
	v_cmp_gt_i32_e32 vcc_lo, s5, v54
	s_and_b32 s21, s19, vcc_lo
	s_and_saveexec_b32 s20, s21
	s_cbranch_execz .LBB213_10
; %bb.9:                                ;   in Loop: Header=BB213_5 Depth=1
	v_add_nc_u32_e32 v55, v24, v54
	s_delay_alu instid0(VALU_DEP_1)
	v_mad_nc_i64_i32 v[56:57], v55, 36, s[2:3]
	global_load_b32 v55, v[56:57], off
	s_wait_loadcnt 0x0
	ds_store_b32 v90, v55
.LBB213_10:                             ;   in Loop: Header=BB213_5 Depth=1
	s_or_b32 exec_lo, exec_lo, s20
	s_wait_dscnt 0x0
	s_barrier_signal -1
	s_barrier_wait -1
	ds_load_b32 v55, v47 offset:128
	ds_load_b32 v56, v41
	ds_load_b32 v58, v49 offset:256
	ds_load_b32 v62, v53 offset:384
	s_mov_b32 s21, 0
	s_mov_b32 s20, -1
	s_wait_dscnt 0x2
	v_dual_lshrrev_b32 v59, 16, v55 :: v_dual_lshrrev_b32 v60, 16, v56
	v_cvt_f32_f16_e32 v57, v55
	s_wait_dscnt 0x1
	v_lshrrev_b32_e32 v55, 16, v58
	s_wait_dscnt 0x0
	v_lshrrev_b32_e32 v63, 16, v62
	v_cvt_f32_f16_e32 v56, v56
	v_cvt_f32_f16_e32 v58, v58
	;; [unrolled: 1-line block ×7, first 2 shown]
.LBB213_11:                             ;   Parent Loop BB213_5 Depth=1
                                        ; =>  This Inner Loop Header: Depth=2
	s_lshr_b32 s22, s21, 2
	v_lshl_or_b32 v55, s21, 1, v11
	s_lshl_b32 s21, s21, 3
	s_add_co_i32 s22, s22, 0x8200
	v_dual_add_nc_u32 v114, s21, v86 :: v_dual_add_nc_u32 v115, s21, v87
	v_dual_add_nc_u32 v116, s21, v88 :: v_dual_add_nc_u32 v117, s21, v89
	v_add3_u32 v122, s22, v91, v92
	v_add3_u32 v118, s22, v93, v94
	;; [unrolled: 1-line block ×4, first 2 shown]
	v_dual_lshlrev_b32 v126, 2, v55 :: v_dual_lshrrev_b32 v55, 1, v55
	ds_load_2addr_b32 v[74:75], v114 offset1:1
	ds_load_2addr_b32 v[70:71], v114 offset0:2 offset1:3
	ds_load_2addr_b32 v[66:67], v114 offset0:4 offset1:5
	;; [unrolled: 1-line block ×4, first 2 shown]
	ds_load_2addr_b32 v[78:79], v115 offset1:1
	ds_load_2addr_b32 v[72:73], v115 offset0:2 offset1:3
	ds_load_2addr_b32 v[68:69], v115 offset0:4 offset1:5
	;; [unrolled: 1-line block ×9, first 2 shown]
	ds_load_2addr_b32 v[138:139], v117 offset1:1
	ds_load_2addr_b32 v[140:141], v117 offset0:2 offset1:3
	ds_load_2addr_b32 v[142:143], v117 offset0:4 offset1:5
	;; [unrolled: 1-line block ×7, first 2 shown]
	ds_load_2addr_b32 v[154:155], v116 offset1:1
	ds_load_2addr_b32 v[156:157], v115 offset0:14 offset1:15
	ds_load_2addr_b32 v[158:159], v115 offset0:8 offset1:9
	ds_load_2addr_b32 v[160:161], v115 offset0:10 offset1:11
	ds_load_2addr_b32 v[162:163], v115 offset0:12 offset1:13
	ds_load_2addr_b32 v[164:165], v115 offset0:6 offset1:7
	ds_load_2addr_b32 v[166:167], v114 offset0:10 offset1:11
	ds_load_2addr_b32 v[168:169], v114 offset0:12 offset1:13
	ds_load_2addr_b32 v[170:171], v114 offset0:14 offset1:15
	ds_load_u16 v174, v118
	ds_load_u16 v175, v118 offset:8
	ds_load_u16 v176, v120
	ds_load_u16 v177, v120 offset:8
	ds_load_u16 v178, v119 offset:8
	ds_load_u16 v179, v119
	ds_load_b128 v[114:117], v126 offset:35392
	ds_load_b128 v[118:121], v126 offset:35408
	ds_load_b64 v[172:173], v55 offset:36944
	ds_load_u16 v55, v122
	ds_load_u16 v180, v122 offset:8
	ds_load_b128 v[122:125], v126 offset:35424
	ds_load_b128 v[126:129], v126 offset:35440
	s_wait_dscnt 0x1b
	v_perm_b32 v189, v143, v142, 0xc0c0602
	s_wait_dscnt 0x1a
	v_perm_b32 v190, v145, v144, 0x6020c0c
	v_perm_b32 v191, v143, v142, 0xc0c0400
	;; [unrolled: 1-line block ×9, first 2 shown]
	s_wait_dscnt 0x9
	v_cvt_f32_ubyte0_e32 v143, v177
	v_cvt_f32_ubyte1_e32 v145, v177
	v_perm_b32 v195, v146, v147, 0xc0c0501
	s_wait_dscnt 0x6
	v_dot4_i32_iu8 v177, v114, v74, 0 neg_lo:[1,1,0]
	v_dot4_i32_iu8 v78, v114, v78, 0 neg_lo:[1,1,0]
	;; [unrolled: 1-line block ×3, first 2 shown]
	v_perm_b32 v206, v114, v115, 0xc0c0501
	v_perm_b32 v208, v114, v115, 0xc0c0703
	s_wait_dscnt 0x1
	v_dot4_i32_iu8 v213, v122, v76, 0 neg_lo:[1,1,0]
	v_perm_b32 v210, v114, v115, 0xc0c0400
	v_perm_b32 v114, v114, v115, 0xc0c0602
	v_dual_lshrrev_b32 v221, 16, v172 :: v_dual_lshrrev_b32 v225, 16, v173
	v_dot4_i32_iu8 v177, v115, v75, v177 neg_lo:[1,1,0]
	v_dot4_i32_iu8 v78, v115, v79, v78 neg_lo:[1,1,0]
	;; [unrolled: 1-line block ×4, first 2 shown]
	v_perm_b32 v196, v146, v147, 0xc0c0703
	v_perm_b32 v197, v146, v147, 0xc0c0400
	;; [unrolled: 1-line block ×7, first 2 shown]
	v_dot4_i32_iu8 v158, v122, v158, 0 neg_lo:[1,1,0]
	v_dot4_i32_iu8 v132, v122, v132, 0 neg_lo:[1,1,0]
	v_perm_b32 v214, v122, v123, 0xc0c0501
	v_perm_b32 v216, v122, v123, 0xc0c0703
	;; [unrolled: 1-line block ×5, first 2 shown]
	v_cvt_f32_f16_e64 v75, v221
	v_dot4_i32_iu8 v78, v116, v72, v78 neg_lo:[1,1,0]
	v_dot4_i32_iu8 v79, v116, v130, v79 neg_lo:[1,1,0]
	;; [unrolled: 1-line block ×3, first 2 shown]
	v_perm_b32 v181, v138, v139, 0xc0c0501
	v_perm_b32 v182, v141, v140, 0x5010c0c
	;; [unrolled: 1-line block ×6, first 2 shown]
	v_cvt_f32_ubyte0_e32 v139, v175
	v_perm_b32 v207, v117, v116, 0x5010c0c
	v_perm_b32 v209, v117, v116, 0x7030c0c
	;; [unrolled: 1-line block ×3, first 2 shown]
	v_cvt_f32_ubyte0_e32 v138, v180
	v_or_b32_e32 v186, v188, v186
	v_or_b32_e32 v146, v148, v146
	v_dot4_i32_iu8 v154, v123, v159, v158 neg_lo:[1,1,0]
	v_dot4_i32_iu8 v123, v123, v133, v132 neg_lo:[1,1,0]
	v_cvt_f32_f16_e64 v77, v225
	v_or_b32_e32 v122, v220, v122
	v_dot4_i32_iu8 v177, v116, v70, v177 neg_lo:[1,1,0]
	v_mov_b32_e32 v70, v75
	v_dot4_i32_iu8 v73, v117, v73, v78 neg_lo:[1,1,0]
	v_dot4_i32_iu8 v78, v117, v131, v79 neg_lo:[1,1,0]
	;; [unrolled: 1-line block ×3, first 2 shown]
	v_cvt_f32_ubyte1_e32 v141, v175
	v_perm_b32 v212, v117, v116, 0x6020c0c
	v_perm_b32 v215, v125, v124, 0x5010c0c
	;; [unrolled: 1-line block ×3, first 2 shown]
	v_cvt_f32_ubyte1_e32 v140, v180
	v_perm_b32 v180, v119, v118, 0xc0c0400
	v_perm_b32 v224, v121, v120, 0x4000c0c
	v_cvt_f32_f16_e64 v74, v172
	v_cvt_f32_f16_e64 v76, v173
	v_perm_b32 v172, v119, v118, 0xc0c0703
	v_perm_b32 v173, v121, v120, 0x7030c0c
	;; [unrolled: 1-line block ×4, first 2 shown]
	v_dual_mov_b32 v72, v77 :: v_dual_bitop2_b32 v188, v190, v189 bitop3:0x54
	v_or_b32_e32 v181, v182, v181
	v_or_b32_e32 v182, v184, v183
	v_or_b32_e32 v183, v187, v185
	v_or_b32_e32 v133, v211, v210
	v_or_b32_e32 v158, v207, v206
	v_or_b32_e32 v159, v209, v208
	v_dot4_i32_iu8 v116, v124, v160, v154 neg_lo:[1,1,0]
	v_dot4_i32_iu8 v123, v124, v134, v123 neg_lo:[1,1,0]
	;; [unrolled: 1-line block ×4, first 2 shown]
	v_pk_fma_f32 v[70:71], v[70:71], v[138:139], 0 op_sel_hi:[0,1,0]
	v_dot4_i32_iu8 v68, v118, v68, v73 neg_lo:[1,1,0]
	s_wait_dscnt 0x0
	v_dot4_i32_iu8 v73, v126, v168, v79 neg_lo:[1,1,0]
	v_perm_b32 v149, v151, v150, 0xc0c0602
	v_perm_b32 v200, v151, v150, 0xc0c0400
	;; [unrolled: 1-line block ×18, first 2 shown]
	v_or_b32_e32 v184, v193, v191
	v_or_b32_e32 v185, v194, v192
	;; [unrolled: 1-line block ×11, first 2 shown]
	v_dot4_i32_iu8 v124, v183, v133, 0 neg_lo:[1,1,0]
	v_dot4_i32_iu8 v130, v182, v159, 0 neg_lo:[1,1,0]
	;; [unrolled: 1-line block ×6, first 2 shown]
	v_pk_fma_f32 v[70:71], v[72:73], v[140:141], v[70:71] op_sel_hi:[0,1,1]
	v_dot4_i32_iu8 v72, v118, v82, v78 neg_lo:[1,1,0]
	v_perm_b32 v204, v137, v137, 0x7060100
	v_perm_b32 v228, v127, v126, 0xc0c0602
	;; [unrolled: 1-line block ×5, first 2 shown]
	v_or_b32_e32 v187, v199, v197
	v_or_b32_e32 v148, v151, v149
	;; [unrolled: 1-line block ×8, first 2 shown]
	v_dot4_i32_iu8 v114, v186, v114, 0 neg_lo:[1,1,0]
	v_dot4_i32_iu8 v134, v147, v189, 0 neg_lo:[1,1,0]
	;; [unrolled: 1-line block ×11, first 2 shown]
	v_or_b32_e32 v149, v202, v200
	v_or_b32_e32 v191, v229, v228
	;; [unrolled: 1-line block ×3, first 2 shown]
	v_dot4_i32_iu8 v147, v187, v190, 0 neg_lo:[1,1,0]
	v_dot4_i32_iu8 v114, v188, v132, v114 neg_lo:[1,1,0]
	;; [unrolled: 1-line block ×5, first 2 shown]
	v_add_nc_u32_e32 v82, v124, v123
	v_dot4_i32_iu8 v73, v127, v204, v78 neg_lo:[1,1,0]
	v_dot4_i32_iu8 v64, v120, v64, v66 neg_lo:[1,1,0]
	;; [unrolled: 1-line block ×5, first 2 shown]
	v_lshrrev_b16 v175, 8, v174
	v_lshrrev_b16 v205, 8, v179
	v_and_b32_e32 v179, 0xff, v179
	v_cvt_f32_ubyte0_e32 v83, v178
	v_cvt_f32_ubyte1_e32 v137, v178
	v_lshrrev_b16 v178, 8, v176
	v_and_b32_e32 v176, 0xff, v176
	v_dot4_i32_iu8 v122, v148, v191, v122 neg_lo:[1,1,0]
	v_dot4_i32_iu8 v125, v149, v192, v147 neg_lo:[1,1,0]
	v_add_nc_u32_e32 v115, v131, v130
	v_dot4_i32_iu8 v69, v127, v163, v79 neg_lo:[1,1,0]
	v_add3_u32 v78, v117, v114, v82
	v_dot4_i32_iu8 v72, v128, v84, v73 neg_lo:[1,1,0]
	v_dot4_i32_iu8 v68, v121, v81, v68 neg_lo:[1,1,0]
	v_and_b32_e32 v174, 0xff, v174
	v_lshrrev_b16 v236, 8, v55
	v_and_b32_e32 v55, 0xff, v55
	v_and_b32_e32 v152, 0xffff, v175
	;; [unrolled: 1-line block ×4, first 2 shown]
	v_add3_u32 v79, v125, v122, v115
	v_dot4_i32_iu8 v69, v128, v156, v69 neg_lo:[1,1,0]
	v_mul_lo_u32 v73, v78, v176
	v_dot4_i32_iu8 v66, v121, v165, v66 neg_lo:[1,1,0]
	v_dot4_i32_iu8 v64, v121, v65, v64 neg_lo:[1,1,0]
	;; [unrolled: 1-line block ×4, first 2 shown]
	v_mul_lo_u32 v68, v68, v179
	v_and_b32_e32 v195, 0xffff, v236
	v_mul_lo_u32 v78, v79, v178
	v_dot4_i32_iu8 v69, v129, v153, v69 neg_lo:[1,1,0]
	v_mul_lo_u32 v66, v66, v174
	v_mul_lo_u32 v55, v64, v55
	;; [unrolled: 1-line block ×5, first 2 shown]
	v_cvt_f32_i32_e32 v142, v73
	v_pk_mul_f32 v[70:71], v[70:71], v[60:61]
	v_cvt_f32_i32_e32 v82, v68
	s_mov_b32 s21, 8
	v_cvt_f32_i32_e32 v144, v78
	v_pk_fma_f32 v[64:65], v[142:143], v[74:75], 0 op_sel_hi:[1,1,0]
	v_cvt_f32_i32_e32 v67, v66
	v_cvt_f32_i32_e32 v66, v55
	;; [unrolled: 1-line block ×3, first 2 shown]
	v_pk_fma_f32 v[68:69], v[82:83], v[74:75], 0 op_sel_hi:[1,1,0]
	v_cvt_f32_i32_e32 v73, v80
	v_cvt_f32_i32_e32 v72, v79
	v_pk_fma_f32 v[64:65], v[144:145], v[76:77], v[64:65]
	v_pk_fma_f32 v[66:67], v[74:75], v[66:67], 0 op_sel_hi:[0,1,0]
	v_pk_fma_f32 v[68:69], v[136:137], v[76:77], v[68:69]
	s_and_b32 vcc_lo, exec_lo, s20
	s_mov_b32 s20, 0
	v_pk_mul_f32 v[64:65], v[64:65], v[62:63]
	v_pk_fma_f32 v[66:67], v[76:77], v[72:73], v[66:67] op_sel_hi:[0,1,1]
	v_pk_mul_f32 v[68:69], v[68:69], v[58:59]
	s_delay_alu instid0(VALU_DEP_3) | instskip(NEXT) | instid1(VALU_DEP_3)
	v_sub_f32_e32 v55, v64, v65
	v_pk_fma_f32 v[64:65], v[66:67], v[56:57], v[70:71] neg_lo:[0,0,1] neg_hi:[0,0,1]
	s_delay_alu instid0(VALU_DEP_2) | instskip(NEXT) | instid1(VALU_DEP_2)
	v_dual_sub_f32 v66, v68, v69 :: v_dual_add_f32 v43, v43, v55
	v_pk_add_f32 v[18:19], v[18:19], v[64:65]
	s_delay_alu instid0(VALU_DEP_2)
	v_add_f32_e32 v45, v45, v66
	s_cbranch_vccnz .LBB213_11
; %bb.12:                               ;   in Loop: Header=BB213_5 Depth=1
	s_bitset1_b32 s16, 7
	s_delay_alu instid0(SALU_CYCLE_1)
	s_cmp_ge_i32 s16, s11
	s_barrier_signal -1
	s_barrier_wait -1
	s_cbranch_scc1 .LBB213_4
; %bb.13:                               ;   in Loop: Header=BB213_5 Depth=1
	v_add_nc_u32_e32 v55, s17, v39
	s_delay_alu instid0(VALU_DEP_1) | instskip(SKIP_1) | instid1(SALU_CYCLE_1)
	v_cmp_gt_i32_e32 vcc_lo, s5, v55
	s_and_b32 s17, s1, vcc_lo
	s_and_saveexec_b32 s16, s17
	s_cbranch_execz .LBB213_15
; %bb.14:                               ;   in Loop: Header=BB213_5 Depth=1
	v_add_nc_u32_e32 v55, v24, v55
	s_delay_alu instid0(VALU_DEP_1)
	v_mad_nc_i64_i32 v[56:57], v55, 36, v[50:51]
	global_load_b32 v55, v[56:57], off offset:4
	s_wait_loadcnt 0x0
	ds_store_b32 v33, v55
.LBB213_15:                             ;   in Loop: Header=BB213_5 Depth=1
	s_or_b32 exec_lo, exec_lo, s16
	s_and_saveexec_b32 s16, s0
	s_cbranch_execz .LBB213_18
; %bb.16:                               ;   in Loop: Header=BB213_5 Depth=1
	v_or_b32_e32 v55, 4, v54
	s_delay_alu instid0(VALU_DEP_1) | instskip(SKIP_1) | instid1(SALU_CYCLE_1)
	v_cmp_gt_i32_e32 vcc_lo, s5, v55
	s_and_b32 s17, s1, vcc_lo
	s_and_b32 exec_lo, exec_lo, s17
	s_cbranch_execz .LBB213_18
; %bb.17:                               ;   in Loop: Header=BB213_5 Depth=1
	v_ashrrev_i32_e32 v55, 31, v54
	s_delay_alu instid0(VALU_DEP_1) | instskip(NEXT) | instid1(VALU_DEP_1)
	v_add_nc_u64_e32 v[54:55], v[24:25], v[54:55]
	v_mad_nc_u64_u32 v[56:57], v54, 36, s[2:3]
	s_delay_alu instid0(VALU_DEP_1)
	v_mad_i32_i24 v57, v55, 36, v57
	global_load_b32 v54, v[56:57], off offset:144
	s_wait_loadcnt 0x0
	ds_store_b32 v90, v54
.LBB213_18:                             ;   in Loop: Header=BB213_5 Depth=1
	s_or_b32 exec_lo, exec_lo, s16
	s_wait_dscnt 0x0
	s_barrier_signal -1
	s_barrier_wait -1
	ds_load_b32 v54, v47 offset:128
	ds_load_b32 v56, v41
	ds_load_b32 v57, v49 offset:256
	ds_load_b32 v60, v53 offset:384
	s_mov_b32 s16, 16
	s_wait_dscnt 0x2
	v_dual_lshrrev_b32 v58, 16, v54 :: v_dual_lshrrev_b32 v61, 16, v56
	s_wait_dscnt 0x0
	v_dual_lshrrev_b32 v62, 16, v57 :: v_dual_lshrrev_b32 v63, 16, v60
	v_cvt_f32_f16_e32 v55, v54
	v_cvt_f32_f16_e32 v54, v56
	;; [unrolled: 1-line block ×8, first 2 shown]
.LBB213_19:                             ;   Parent Loop BB213_5 Depth=1
                                        ; =>  This Inner Loop Header: Depth=2
	s_lshl_b32 s20, s16, 1
	s_lshr_b32 s17, s16, 2
	s_lshl_b32 s21, s16, 3
	v_and_or_b32 v62, s20, 16, v11
	s_and_b32 s17, s17, 0x3ffffffe
	v_dual_add_nc_u32 v63, s21, v86 :: v_dual_add_nc_u32 v64, s21, v87
	s_add_co_i32 s17, s17, 0x8200
	v_dual_add_nc_u32 v65, s21, v88 :: v_dual_add_nc_u32 v66, s21, v89
	v_add3_u32 v67, s17, v91, v92
	v_add3_u32 v68, s17, v93, v94
	;; [unrolled: 1-line block ×4, first 2 shown]
	v_dual_lshlrev_b32 v74, 2, v62 :: v_dual_lshrrev_b32 v170, 1, v62
	ds_load_2addr_b32 v[78:79], v63 offset1:1
	ds_load_2addr_b32 v[80:81], v63 offset0:2 offset1:3
	ds_load_2addr_b32 v[82:83], v63 offset0:4 offset1:5
	ds_load_2addr_b32 v[84:85], v63 offset0:6 offset1:7
	ds_load_2addr_b32 v[114:115], v63 offset0:8 offset1:9
	ds_load_2addr_b32 v[116:117], v63 offset0:14 offset1:15
	ds_load_2addr_b32 v[118:119], v64 offset1:1
	ds_load_2addr_b32 v[120:121], v64 offset0:2 offset1:3
	ds_load_2addr_b32 v[122:123], v64 offset0:4 offset1:5
	ds_load_2addr_b32 v[124:125], v64 offset0:6 offset1:7
	ds_load_2addr_b32 v[126:127], v64 offset0:8 offset1:9
	ds_load_2addr_b32 v[128:129], v64 offset0:10 offset1:11
	ds_load_2addr_b32 v[130:131], v64 offset0:12 offset1:13
	ds_load_2addr_b32 v[132:133], v64 offset0:14 offset1:15
	ds_load_2addr_b32 v[134:135], v65 offset1:1
	ds_load_2addr_b32 v[136:137], v65 offset0:2 offset1:3
	ds_load_2addr_b32 v[138:139], v65 offset0:4 offset1:5
	;; [unrolled: 8-line block ×3, first 2 shown]
	ds_load_2addr_b32 v[156:157], v66 offset0:6 offset1:7
	ds_load_2addr_b32 v[158:159], v66 offset0:8 offset1:9
	;; [unrolled: 1-line block ×7, first 2 shown]
	ds_load_u16 v172, v68
	ds_load_u16 v173, v68 offset:8
	ds_load_u16 v174, v69
	ds_load_u16 v175, v69 offset:8
	;; [unrolled: 2-line block ×4, first 2 shown]
	ds_load_b128 v[62:65], v74 offset:35392
	ds_load_b128 v[66:69], v74 offset:35408
	;; [unrolled: 1-line block ×4, first 2 shown]
	ds_load_b64 v[170:171], v170 offset:36944
	s_wait_dscnt 0x1f
	v_perm_b32 v180, v133, v133, 0x7060100
	v_perm_b32 v181, v117, v117, 0x7060100
	s_wait_dscnt 0x1c
	v_perm_b32 v182, v139, v139, 0x7060100
	s_wait_dscnt 0x18
	;; [unrolled: 2-line block ×4, first 2 shown]
	v_perm_b32 v185, v153, v152, 0x5010c0c
	v_perm_b32 v186, v150, v151, 0xc0c0703
	v_perm_b32 v187, v153, v152, 0x7030c0c
	v_perm_b32 v188, v150, v151, 0xc0c0400
	v_perm_b32 v189, v153, v152, 0x4000c0c
	v_perm_b32 v190, v150, v151, 0xc0c0602
	v_perm_b32 v191, v153, v152, 0x6020c0c
	s_wait_dscnt 0x14
	v_perm_b32 v192, v155, v154, 0xc0c0602
	s_wait_dscnt 0x13
	v_perm_b32 v193, v157, v156, 0x6020c0c
	v_perm_b32 v194, v155, v154, 0xc0c0400
	v_perm_b32 v195, v157, v156, 0x4000c0c
	v_perm_b32 v196, v155, v154, 0xc0c0703
	v_perm_b32 v197, v157, v156, 0x7030c0c
	v_perm_b32 v154, v155, v154, 0xc0c0501
	v_perm_b32 v155, v157, v156, 0x5010c0c
	s_wait_dscnt 0x12
	v_perm_b32 v156, v158, v159, 0xc0c0501
	s_wait_dscnt 0x11
	;; [unrolled: 10-line block ×3, first 2 shown]
	v_perm_b32 v161, v165, v164, 0x6020c0c
	v_perm_b32 v202, v163, v162, 0xc0c0400
	;; [unrolled: 1-line block ×7, first 2 shown]
	s_wait_dscnt 0xc
	v_lshrrev_b16 v164, 8, v172
	v_and_b32_e32 v165, 0xff, v172
	s_wait_dscnt 0xb
	v_cvt_f32_ubyte0_e32 v151, v173
	v_cvt_f32_ubyte1_e32 v153, v173
	s_wait_dscnt 0xa
	v_lshrrev_b16 v172, 8, v174
	v_and_b32_e32 v173, 0xff, v174
	s_wait_dscnt 0x9
	v_cvt_f32_ubyte0_e32 v117, v175
	v_cvt_f32_ubyte1_e32 v133, v175
	;; [unrolled: 6-line block ×4, first 2 shown]
	s_wait_dscnt 0x4
	v_dot4_i32_iu8 v178, v62, v78, 0 neg_lo:[1,1,0]
	v_dot4_i32_iu8 v118, v62, v118, 0 neg_lo:[1,1,0]
	s_wait_dscnt 0x2
	v_dot4_i32_iu8 v179, v70, v114, 0 neg_lo:[1,1,0]
	s_wait_dscnt 0x0
	v_cvt_f32_f16_e64 v78, v170
	v_lshrrev_b32_e32 v170, 16, v170
	v_cvt_f32_f16_e64 v114, v171
	v_lshrrev_b32_e32 v171, 16, v171
	v_dot4_i32_iu8 v134, v62, v134, 0 neg_lo:[1,1,0]
	v_dot4_i32_iu8 v126, v70, v126, 0 neg_lo:[1,1,0]
	;; [unrolled: 1-line block ×3, first 2 shown]
	v_or_b32_e32 v186, v187, v186
	v_perm_b32 v187, v62, v63, 0xc0c0703
	v_dot4_i32_iu8 v178, v63, v79, v178 neg_lo:[1,1,0]
	v_dot4_i32_iu8 v118, v63, v119, v118 neg_lo:[1,1,0]
	;; [unrolled: 1-line block ×3, first 2 shown]
	v_cvt_f32_f16_e64 v79, v170
	v_or_b32_e32 v184, v185, v184
	v_perm_b32 v185, v62, v63, 0xc0c0501
	v_cvt_f32_f16_e64 v115, v171
	v_or_b32_e32 v188, v189, v188
	v_perm_b32 v189, v62, v63, 0xc0c0400
	v_perm_b32 v62, v62, v63, 0xc0c0602
	v_dot4_i32_iu8 v63, v63, v135, v134 neg_lo:[1,1,0]
	v_perm_b32 v206, v65, v64, 0x5010c0c
	v_perm_b32 v207, v65, v64, 0x7030c0c
	;; [unrolled: 1-line block ×3, first 2 shown]
	v_or_b32_e32 v190, v191, v190
	v_perm_b32 v191, v65, v64, 0x6020c0c
	v_or_b32_e32 v156, v157, v156
	v_perm_b32 v157, v70, v71, 0xc0c0501
	v_perm_b32 v213, v73, v72, 0x5010c0c
	v_or_b32_e32 v198, v199, v198
	v_perm_b32 v199, v70, v71, 0xc0c0703
	;; [unrolled: 3-line block ×3, first 2 shown]
	v_perm_b32 v70, v70, v71, 0xc0c0602
	v_dot4_i32_iu8 v126, v71, v127, v126 neg_lo:[1,1,0]
	v_dot4_i32_iu8 v71, v71, v143, v142 neg_lo:[1,1,0]
	;; [unrolled: 1-line block ×5, first 2 shown]
	v_or_b32_e32 v192, v193, v192
	v_perm_b32 v193, v67, v66, 0xc0c0602
	v_perm_b32 v209, v69, v68, 0x6020c0c
	v_or_b32_e32 v194, v195, v194
	v_perm_b32 v195, v67, v66, 0xc0c0400
	v_perm_b32 v210, v69, v68, 0x4000c0c
	;; [unrolled: 3-line block ×4, first 2 shown]
	v_perm_b32 v215, v73, v72, 0x4000c0c
	v_or_b32_e32 v158, v159, v158
	v_perm_b32 v159, v73, v72, 0x6020c0c
	v_or_b32_e32 v204, v205, v204
	v_perm_b32 v205, v75, v74, 0xc0c0703
	v_perm_b32 v218, v77, v76, 0x7030c0c
	v_or_b32_e32 v162, v163, v162
	v_perm_b32 v163, v75, v74, 0xc0c0501
	v_perm_b32 v219, v77, v76, 0x5010c0c
	v_or_b32_e32 v127, v206, v185
	v_or_b32_e32 v134, v207, v187
	;; [unrolled: 1-line block ×6, first 2 shown]
	v_dot4_i32_iu8 v71, v72, v144, v71 neg_lo:[1,1,0]
	v_dot4_i32_iu8 v64, v65, v137, v64 neg_lo:[1,1,0]
	v_or_b32_e32 v160, v161, v160
	v_perm_b32 v161, v75, v74, 0xc0c0602
	v_perm_b32 v216, v77, v76, 0x6020c0c
	v_or_b32_e32 v202, v203, v202
	v_perm_b32 v203, v75, v74, 0xc0c0400
	v_perm_b32 v217, v77, v76, 0x4000c0c
	v_or_b32_e32 v143, v209, v193
	v_or_b32_e32 v170, v210, v195
	;; [unrolled: 1-line block ×8, first 2 shown]
	v_dot4_i32_iu8 v119, v72, v166, v119 neg_lo:[1,1,0]
	v_dot4_i32_iu8 v120, v72, v128, v126 neg_lo:[1,1,0]
	v_dual_mov_b32 v62, v79 :: v_dual_mov_b32 v70, v115
	v_dot4_i32_iu8 v72, v184, v127, 0 neg_lo:[1,1,0]
	v_dot4_i32_iu8 v126, v186, v134, 0 neg_lo:[1,1,0]
	;; [unrolled: 1-line block ×10, first 2 shown]
	v_or_b32_e32 v161, v216, v161
	v_or_b32_e32 v187, v217, v203
	v_dot4_i32_iu8 v136, v200, v185, 0 neg_lo:[1,1,0]
	v_dot4_i32_iu8 v142, v158, v159, 0 neg_lo:[1,1,0]
	;; [unrolled: 1-line block ×4, first 2 shown]
	v_pk_fma_f32 v[62:63], v[62:63], v[150:151], 0 op_sel_hi:[0,1,0]
	v_dot4_i32_iu8 v71, v192, v143, v128 neg_lo:[1,1,0]
	v_dot4_i32_iu8 v73, v194, v170, v127 neg_lo:[1,1,0]
	;; [unrolled: 1-line block ×14, first 2 shown]
	v_pk_fma_f32 v[62:63], v[70:71], v[152:153], v[62:63] op_sel_hi:[0,1,1]
	v_add_nc_u32_e32 v66, v72, v120
	v_add_nc_u32_e32 v70, v128, v127
	v_dot4_i32_iu8 v72, v67, v83, v80 neg_lo:[1,1,0]
	v_dot4_i32_iu8 v74, v67, v123, v81 neg_lo:[1,1,0]
	;; [unrolled: 1-line block ×6, first 2 shown]
	v_add3_u32 v66, v73, v71, v66
	v_add3_u32 v67, v126, v121, v70
	v_dot4_i32_iu8 v70, v68, v84, v72 neg_lo:[1,1,0]
	v_dot4_i32_iu8 v71, v68, v124, v74 neg_lo:[1,1,0]
	;; [unrolled: 1-line block ×4, first 2 shown]
	v_and_b32_e32 v172, 0xffff, v172
	v_and_b32_e32 v174, 0xffff, v174
	v_dot4_i32_iu8 v72, v76, v116, v80 neg_lo:[1,1,0]
	v_dot4_i32_iu8 v68, v76, v132, v81 neg_lo:[1,1,0]
	v_mul_lo_u32 v66, v66, v175
	v_dot4_i32_iu8 v71, v69, v125, v71 neg_lo:[1,1,0]
	v_dot4_i32_iu8 v69, v69, v85, v70 neg_lo:[1,1,0]
	;; [unrolled: 1-line block ×3, first 2 shown]
	v_mul_lo_u32 v64, v64, v173
	v_and_b32_e32 v164, 0xffff, v164
	v_and_b32_e32 v176, 0xffff, v176
	v_mul_lo_u32 v67, v67, v174
	v_dot4_i32_iu8 v70, v77, v181, v72 neg_lo:[1,1,0]
	v_dot4_i32_iu8 v68, v77, v180, v68 neg_lo:[1,1,0]
	v_mul_lo_u32 v71, v71, v165
	v_mul_lo_u32 v69, v69, v177
	;; [unrolled: 1-line block ×5, first 2 shown]
	v_cvt_f32_i32_e32 v138, v66
	v_cvt_f32_i32_e32 v116, v64
	v_pk_mul_f32 v[62:63], v[62:63], v[58:59]
	v_cvt_f32_i32_e32 v146, v67
	s_add_co_i32 s17, s16, 8
	v_pk_fma_f32 v[64:65], v[138:139], v[78:79], 0 op_sel_hi:[1,1,0]
	v_cvt_f32_i32_e32 v67, v71
	v_cvt_f32_i32_e32 v66, v69
	;; [unrolled: 1-line block ×3, first 2 shown]
	v_pk_fma_f32 v[68:69], v[116:117], v[78:79], 0 op_sel_hi:[1,1,0]
	v_cvt_f32_i32_e32 v71, v73
	v_cvt_f32_i32_e32 v70, v70
	v_pk_fma_f32 v[64:65], v[146:147], v[114:115], v[64:65]
	v_pk_fma_f32 v[66:67], v[78:79], v[66:67], 0 op_sel_hi:[0,1,0]
	v_pk_fma_f32 v[68:69], v[132:133], v[114:115], v[68:69]
	s_cmp_lt_u32 s16, 24
	s_mov_b32 s16, s17
	v_pk_mul_f32 v[64:65], v[64:65], v[60:61]
	v_pk_fma_f32 v[66:67], v[114:115], v[70:71], v[66:67] op_sel_hi:[0,1,1]
	v_pk_mul_f32 v[68:69], v[68:69], v[56:57]
	s_delay_alu instid0(VALU_DEP_3) | instskip(NEXT) | instid1(VALU_DEP_3)
	v_sub_f32_e32 v64, v64, v65
	v_pk_fma_f32 v[62:63], v[66:67], v[54:55], v[62:63] neg_lo:[0,0,1] neg_hi:[0,0,1]
	s_delay_alu instid0(VALU_DEP_2) | instskip(NEXT) | instid1(VALU_DEP_2)
	v_dual_sub_f32 v65, v68, v69 :: v_dual_add_f32 v43, v43, v64
	v_pk_add_f32 v[18:19], v[18:19], v[62:63]
	s_delay_alu instid0(VALU_DEP_2)
	v_add_f32_e32 v45, v45, v65
	s_cbranch_scc1 .LBB213_19
; %bb.20:                               ;   in Loop: Header=BB213_5 Depth=1
	s_barrier_signal -1
	s_barrier_wait -1
	s_branch .LBB213_4
.LBB213_21:
	s_mul_i32 s0, s7, s4
	s_wait_loadcnt 0x0
	v_cmp_gt_i32_e32 vcc_lo, s0, v1
	s_and_saveexec_b32 s0, vcc_lo
	s_cbranch_execz .LBB213_30
; %bb.22:
	v_mul_lo_u32 v0, v1, s6
	v_add_nc_u32_e32 v1, s18, v3
	s_mov_b32 s0, exec_lo
	s_delay_alu instid0(VALU_DEP_1)
	v_cmpx_gt_u32_e64 s6, v1
	s_cbranch_execz .LBB213_24
; %bb.23:
	s_delay_alu instid0(VALU_DEP_3)
	v_add_nc_u32_e32 v2, v0, v1
	v_cvt_f16_f32_e32 v3, v18
	global_store_b16 v2, v3, s[8:9] scale_offset
.LBB213_24:
	s_wait_xcnt 0x0
	s_or_b32 exec_lo, exec_lo, s0
	v_add_nc_u32_e32 v2, 32, v1
	s_mov_b32 s0, exec_lo
	s_delay_alu instid0(VALU_DEP_1)
	v_cmpx_gt_u32_e64 s6, v2
	s_cbranch_execz .LBB213_26
; %bb.25:
	v_add_nc_u32_e32 v2, v0, v2
	v_cvt_f16_f32_e32 v3, v19
	global_store_b16 v2, v3, s[8:9] scale_offset
.LBB213_26:
	s_wait_xcnt 0x0
	s_or_b32 exec_lo, exec_lo, s0
	v_add_nc_u32_e32 v2, 64, v1
	s_mov_b32 s0, exec_lo
	s_delay_alu instid0(VALU_DEP_1)
	v_cmpx_gt_u32_e64 s6, v2
	s_cbranch_execz .LBB213_28
; %bb.27:
	v_add_nc_u32_e32 v2, v0, v2
	v_cvt_f16_f32_e32 v3, v45
	global_store_b16 v2, v3, s[8:9] scale_offset
.LBB213_28:
	s_wait_xcnt 0x0
	s_or_b32 exec_lo, exec_lo, s0
	v_add_nc_u32_e32 v1, 0x60, v1
	s_delay_alu instid0(VALU_DEP_1)
	v_cmp_gt_u32_e32 vcc_lo, s6, v1
	s_and_b32 exec_lo, exec_lo, vcc_lo
	s_cbranch_execz .LBB213_30
; %bb.29:
	v_add_nc_u32_e32 v0, v0, v1
	v_cvt_f16_f32_e32 v1, v43
	global_store_b16 v0, v1, s[8:9] scale_offset
.LBB213_30:
	s_sendmsg sendmsg(MSG_DEALLOC_VGPRS)
	s_endpgm
	.section	.rodata,"a",@progbits
	.p2align	6, 0x0
	.amdhsa_kernel _ZL8moe_q5_KIN3c104HalfELb0EEvPKvS3_PT_PKiS7_S7_iiiiiii
		.amdhsa_group_segment_fixed_size 37072
		.amdhsa_private_segment_fixed_size 0
		.amdhsa_kernarg_size 76
		.amdhsa_user_sgpr_count 2
		.amdhsa_user_sgpr_dispatch_ptr 0
		.amdhsa_user_sgpr_queue_ptr 0
		.amdhsa_user_sgpr_kernarg_segment_ptr 1
		.amdhsa_user_sgpr_dispatch_id 0
		.amdhsa_user_sgpr_kernarg_preload_length 0
		.amdhsa_user_sgpr_kernarg_preload_offset 0
		.amdhsa_user_sgpr_private_segment_size 0
		.amdhsa_wavefront_size32 1
		.amdhsa_uses_dynamic_stack 0
		.amdhsa_enable_private_segment 0
		.amdhsa_system_sgpr_workgroup_id_x 1
		.amdhsa_system_sgpr_workgroup_id_y 1
		.amdhsa_system_sgpr_workgroup_id_z 0
		.amdhsa_system_sgpr_workgroup_info 0
		.amdhsa_system_vgpr_workitem_id 1
		.amdhsa_next_free_vgpr 237
		.amdhsa_next_free_sgpr 23
		.amdhsa_named_barrier_count 0
		.amdhsa_reserve_vcc 1
		.amdhsa_float_round_mode_32 0
		.amdhsa_float_round_mode_16_64 0
		.amdhsa_float_denorm_mode_32 3
		.amdhsa_float_denorm_mode_16_64 3
		.amdhsa_fp16_overflow 0
		.amdhsa_memory_ordered 1
		.amdhsa_forward_progress 1
		.amdhsa_inst_pref_size 74
		.amdhsa_round_robin_scheduling 0
		.amdhsa_exception_fp_ieee_invalid_op 0
		.amdhsa_exception_fp_denorm_src 0
		.amdhsa_exception_fp_ieee_div_zero 0
		.amdhsa_exception_fp_ieee_overflow 0
		.amdhsa_exception_fp_ieee_underflow 0
		.amdhsa_exception_fp_ieee_inexact 0
		.amdhsa_exception_int_div_zero 0
	.end_amdhsa_kernel
	.section	.text._ZL8moe_q5_KIN3c104HalfELb0EEvPKvS3_PT_PKiS7_S7_iiiiiii,"axG",@progbits,_ZL8moe_q5_KIN3c104HalfELb0EEvPKvS3_PT_PKiS7_S7_iiiiiii,comdat
.Lfunc_end213:
	.size	_ZL8moe_q5_KIN3c104HalfELb0EEvPKvS3_PT_PKiS7_S7_iiiiiii, .Lfunc_end213-_ZL8moe_q5_KIN3c104HalfELb0EEvPKvS3_PT_PKiS7_S7_iiiiiii
                                        ; -- End function
	.set _ZL8moe_q5_KIN3c104HalfELb0EEvPKvS3_PT_PKiS7_S7_iiiiiii.num_vgpr, 237
	.set _ZL8moe_q5_KIN3c104HalfELb0EEvPKvS3_PT_PKiS7_S7_iiiiiii.num_agpr, 0
	.set _ZL8moe_q5_KIN3c104HalfELb0EEvPKvS3_PT_PKiS7_S7_iiiiiii.numbered_sgpr, 23
	.set _ZL8moe_q5_KIN3c104HalfELb0EEvPKvS3_PT_PKiS7_S7_iiiiiii.num_named_barrier, 0
	.set _ZL8moe_q5_KIN3c104HalfELb0EEvPKvS3_PT_PKiS7_S7_iiiiiii.private_seg_size, 0
	.set _ZL8moe_q5_KIN3c104HalfELb0EEvPKvS3_PT_PKiS7_S7_iiiiiii.uses_vcc, 1
	.set _ZL8moe_q5_KIN3c104HalfELb0EEvPKvS3_PT_PKiS7_S7_iiiiiii.uses_flat_scratch, 0
	.set _ZL8moe_q5_KIN3c104HalfELb0EEvPKvS3_PT_PKiS7_S7_iiiiiii.has_dyn_sized_stack, 0
	.set _ZL8moe_q5_KIN3c104HalfELb0EEvPKvS3_PT_PKiS7_S7_iiiiiii.has_recursion, 0
	.set _ZL8moe_q5_KIN3c104HalfELb0EEvPKvS3_PT_PKiS7_S7_iiiiiii.has_indirect_call, 0
	.section	.AMDGPU.csdata,"",@progbits
; Kernel info:
; codeLenInByte = 9408
; TotalNumSgprs: 25
; NumVgprs: 237
; ScratchSize: 0
; MemoryBound: 0
; FloatMode: 240
; IeeeMode: 1
; LDSByteSize: 37072 bytes/workgroup (compile time only)
; SGPRBlocks: 0
; VGPRBlocks: 14
; NumSGPRsForWavesPerEU: 25
; NumVGPRsForWavesPerEU: 237
; NamedBarCnt: 0
; Occupancy: 4
; WaveLimiterHint : 1
; COMPUTE_PGM_RSRC2:SCRATCH_EN: 0
; COMPUTE_PGM_RSRC2:USER_SGPR: 2
; COMPUTE_PGM_RSRC2:TRAP_HANDLER: 0
; COMPUTE_PGM_RSRC2:TGID_X_EN: 1
; COMPUTE_PGM_RSRC2:TGID_Y_EN: 1
; COMPUTE_PGM_RSRC2:TGID_Z_EN: 0
; COMPUTE_PGM_RSRC2:TIDIG_COMP_CNT: 1
	.section	.text._ZL8moe_q5_KIN3c104HalfELb1EEvPKvS3_PT_PKiS7_S7_iiiiiii,"axG",@progbits,_ZL8moe_q5_KIN3c104HalfELb1EEvPKvS3_PT_PKiS7_S7_iiiiiii,comdat
	.globl	_ZL8moe_q5_KIN3c104HalfELb1EEvPKvS3_PT_PKiS7_S7_iiiiiii ; -- Begin function _ZL8moe_q5_KIN3c104HalfELb1EEvPKvS3_PT_PKiS7_S7_iiiiiii
	.p2align	8
	.type	_ZL8moe_q5_KIN3c104HalfELb1EEvPKvS3_PT_PKiS7_S7_iiiiiii,@function
_ZL8moe_q5_KIN3c104HalfELb1EEvPKvS3_PT_PKiS7_S7_iiiiiii: ; @_ZL8moe_q5_KIN3c104HalfELb1EEvPKvS3_PT_PKiS7_S7_iiiiiii
; %bb.0:
	s_load_b128 s[4:7], s[0:1], 0x18
	s_bfe_u32 s2, ttmp6, 0x40010
	s_bfe_u32 s8, ttmp6, 0x40004
	s_add_co_i32 s2, s2, 1
	s_getreg_b32 s3, hwreg(HW_REG_IB_STS2, 6, 4)
	s_mul_i32 s2, ttmp7, s2
	s_delay_alu instid0(SALU_CYCLE_1)
	s_add_co_i32 s8, s8, s2
	s_cmp_eq_u32 s3, 0
	s_cselect_b32 s8, ttmp7, s8
	s_wait_kmcnt 0x0
	s_load_b32 s2, s[6:7], s8 offset:0x0 scale_offset
	s_wait_kmcnt 0x0
	s_cmp_gt_u32 s2, 0xff
	s_cbranch_scc1 .LBB214_30
; %bb.1:
	s_load_b64 s[6:7], s[0:1], 0x28
	s_wait_kmcnt 0x0
	s_load_b32 s7, s[6:7], 0x0
	s_wait_xcnt 0x0
	s_lshl_b32 s6, s8, 3
	s_wait_kmcnt 0x0
	s_cmp_gt_u32 s6, s7
	s_cbranch_scc1 .LBB214_30
; %bb.2:
	v_bfe_u32 v1, v0, 10, 10
	s_bfe_u32 s8, ttmp6, 0x4000c
	s_and_b32 s9, ttmp6, 15
	s_add_co_i32 s8, s8, 1
	v_and_b32_e32 v15, 0x3ff, v0
	v_dual_add_nc_u32 v2, s6, v1 :: v_dual_mov_b32 v92, 0
	s_mul_i32 s8, ttmp9, s8
	v_dual_mov_b32 v97, 0 :: v_dual_mov_b32 v9, 0
	global_load_b32 v3, v2, s[4:5] scale_offset
	s_wait_xcnt 0x0
	s_clause 0x2
	s_load_b128 s[4:7], s[0:1], 0x30
	s_load_b64 s[16:17], s[0:1], 0x10
	s_load_b96 s[12:14], s[0:1], 0x40
	s_add_co_i32 s9, s9, s8
	s_cmp_eq_u32 s3, 0
	v_mov_b32_e32 v8, v92
	s_cselect_b32 s3, ttmp9, s9
	s_delay_alu instid0(SALU_CYCLE_1)
	s_lshl_b32 s15, s3, 7
	s_mov_b32 s3, 0
	s_wait_kmcnt 0x0
	s_cmp_lt_i32 s5, 0x100
	s_cbranch_scc1 .LBB214_21
; %bb.3:
	s_load_b128 s[8:11], s[0:1], 0x0
	s_wait_xcnt 0x0
	s_ashr_i32 s0, s5, 31
	s_ashr_i32 s1, s12, 31
	s_lshr_b32 s0, s0, 24
	s_lshr_b32 s1, s1, 27
	s_mul_i32 s20, s2, s4
	s_not_b32 s2, s15
	s_add_co_i32 s0, s5, s0
	s_add_co_i32 s1, s12, s1
	s_ashr_i32 s4, s0, 8
	s_add_co_i32 s0, s6, s2
	s_ashr_i32 s6, s1, 5
	s_abs_i32 s1, s14
	v_bfe_u32 v8, v0, 2, 8
	s_cvt_f32_u32 s2, s1
	v_dual_lshlrev_b32 v31, 5, v1 :: v_dual_lshlrev_b32 v4, 1, v0
	v_lshlrev_b32_e32 v9, 2, v15
	s_delay_alu instid0(SALU_CYCLE_1)
	v_rcp_iflag_f32_e32 v12, s2
	v_and_b32_e32 v17, 6, v8
	v_lshl_add_u32 v8, v1, 3, v8
	v_and_b32_e32 v5, 7, v0
	s_sub_co_i32 s12, 0, s1
	v_min_i32_e32 v14, s0, v1
	v_add_min_i32_e64 v16, v1, 8, s0
	v_readfirstlane_b32 s2, v12
	v_and_b32_e32 v12, 0x7f, v8
	v_add_nc_u32_e32 v11, v31, v15
	v_and_or_b32 v6, v4, 48, v5
	v_mov_b32_e32 v5, 0
	s_mul_f32 s2, s2, 0x4f7ffffe
	v_min_i32_e32 v48, s0, v12
	v_and_b32_e32 v11, 0x7f, v11
	s_wait_loadcnt 0x0
	v_dual_lshlrev_b32 v10, 2, v6 :: v_dual_sub_nc_u32 v13, 0, v3
	s_cvt_u32_f32 s2, s2
	v_add_min_i32_e64 v18, v1, 16, s0
	v_min_i32_e32 v46, s0, v11
	v_add_min_i32_e64 v20, v1, 24, s0
	s_mul_i32 s12, s12, s2
	v_add_min_i32_e64 v22, v1, 32, s0
	s_mul_hi_u32 s12, s2, s12
	v_ashrrev_i32_e32 v11, 31, v46
	s_add_co_i32 s2, s2, s12
	v_add_min_i32_e64 v24, v1, 40, s0
	v_add_min_i32_e64 v26, v1, 48, s0
	;; [unrolled: 1-line block ×3, first 2 shown]
	v_dual_lshrrev_b32 v11, 27, v11 :: v_dual_max_i32 v12, v3, v13
	v_add_min_i32_e64 v30, v1, 64, s0
	v_add_min_i32_e64 v32, 0x48, v1, s0
	;; [unrolled: 1-line block ×3, first 2 shown]
	s_delay_alu instid0(VALU_DEP_4)
	v_add_nc_u32_e32 v11, v46, v11
	v_mul_hi_u32 v50, v12, s2
	v_add_min_i32_e64 v36, 0x58, v1, s0
	v_add_min_i32_e64 v38, 0x60, v1, s0
	;; [unrolled: 1-line block ×5, first 2 shown]
	v_dual_ashrrev_i32 v13, 31, v48 :: v_dual_ashrrev_i32 v11, 5, v11
	v_mad_u32 v19, 0x104, v14, v10
	v_mad_u32 v21, 0x104, v16, v10
	;; [unrolled: 1-line block ×15, first 2 shown]
	v_and_b32_e32 v52, 3, v0
	v_mad_u32 v51, 0x104, v44, v10
	v_lshrrev_b32_e32 v10, 29, v13
	v_bitop3_b32 v8, v8, 64, 0x7f bitop3:0x6c
	v_dual_lshlrev_b32 v11, 2, v11 :: v_dual_lshlrev_b32 v53, 2, v46
	v_add_nc_u32_e32 v13, 0xfe, v52
	s_delay_alu instid0(VALU_DEP_3) | instskip(SKIP_1) | instid1(VALU_DEP_4)
	v_dual_add_nc_u32 v10, v48, v10 :: v_dual_min_i32 v54, s0, v8
	v_mul_lo_u32 v8, v50, s1
	v_add3_u32 v86, v11, v53, 0x8e40
	s_delay_alu instid0(VALU_DEP_4) | instskip(SKIP_3) | instid1(VALU_DEP_2)
	v_and_b32_e32 v13, 0xff, v13
	v_cmp_gt_u32_e32 vcc_lo, 2, v52
	v_dual_ashrrev_i32 v11, 31, v54 :: v_dual_bitop2_b32 v53, 4, v9 bitop3:0x40
	v_dual_ashrrev_i32 v10, 3, v10 :: v_dual_lshlrev_b32 v55, 2, v52
	v_dual_cndmask_b32 v13, v13, v52, vcc_lo :: v_dual_lshrrev_b32 v11, 29, v11
	v_cmp_lt_u32_e32 vcc_lo, 1, v52
	v_dual_sub_nc_u32 v8, v12, v8 :: v_dual_add_nc_u32 v12, 1, v50
	s_delay_alu instid0(VALU_DEP_3) | instskip(SKIP_1) | instid1(VALU_DEP_3)
	v_dual_lshlrev_b32 v10, 2, v10 :: v_dual_add_nc_u32 v11, v54, v11
	v_cndmask_b32_e32 v87, 0, v53, vcc_lo
	v_subrev_nc_u32_e32 v53, s1, v8
	v_cmp_le_u32_e64 s0, s1, v8
	v_xor_b32_e32 v56, s14, v3
	v_add3_u32 v10, v10, v55, 0x8200
	v_bfe_u32 v2, v0, 5, 5
	v_bfe_u32 v94, v0, 3, 7
	v_dual_cndmask_b32 v12, v50, v12, s0 :: v_dual_cndmask_b32 v8, v8, v53, s0
	v_dual_ashrrev_i32 v11, 3, v11 :: v_dual_bitop2_b32 v50, 31, v0 bitop3:0x40
	v_ashrrev_i32_e32 v56, 31, v56
	s_delay_alu instid0(VALU_DEP_3) | instskip(NEXT) | instid1(VALU_DEP_4)
	v_add_nc_u32_e32 v53, 1, v12
	v_cmp_le_u32_e64 s0, s1, v8
	s_delay_alu instid0(VALU_DEP_4) | instskip(SKIP_1) | instid1(VALU_DEP_3)
	v_dual_lshlrev_b32 v50, 2, v50 :: v_dual_lshlrev_b32 v11, 2, v11
	v_dual_mov_b32 v92, v5 :: v_dual_add_nc_u32 v57, 0x9050, v9
	v_dual_cndmask_b32 v8, v12, v53, s0 :: v_dual_lshlrev_b32 v12, 4, v48
	s_delay_alu instid0(VALU_DEP_3) | instskip(SKIP_2) | instid1(VALU_DEP_4)
	v_add3_u32 v11, v11, v55, 0x8200
	v_lshlrev_b32_e32 v53, 4, v54
	v_lshl_or_b32 v50, v1, 7, v50
	v_dual_add_nc_u32 v55, 32, v15 :: v_dual_bitop2_b32 v8, v8, v56 bitop3:0x14
	v_dual_add_nc_u32 v90, v10, v12 :: v_dual_add_nc_u32 v10, 64, v15
	s_delay_alu instid0(VALU_DEP_2) | instskip(NEXT) | instid1(VALU_DEP_3)
	v_dual_lshlrev_b32 v1, 4, v1 :: v_dual_sub_nc_u32 v8, v8, v56
	v_dual_lshrrev_b32 v89, 3, v55 :: v_dual_lshlrev_b32 v12, 2, v2
	s_delay_alu instid0(VALU_DEP_3) | instskip(SKIP_1) | instid1(VALU_DEP_3)
	v_dual_add_nc_u32 v91, v11, v53 :: v_dual_lshrrev_b32 v53, 3, v10
	v_add_nc_u32_e32 v88, 0x8a40, v50
	v_and_b32_e32 v11, 60, v89
	v_add_nc_u32_e32 v50, 0x60, v15
	v_cmp_ne_u32_e64 s2, 0, v52
	v_dual_lshlrev_b32 v55, 2, v55 :: v_dual_bitop2_b32 v0, 60, v53 bitop3:0x40
	v_cmp_gt_i32_e64 s1, s7, v8
	v_dual_mov_b32 v7, v5 :: v_dual_bitop2_b32 v6, 28, v9 bitop3:0x40
	s_delay_alu instid0(VALU_DEP_3)
	v_add3_u32 v98, v9, v0, 0x8e40
	v_mul_lo_u32 v0, v8, s6
	v_add_co_ci_u32_e64 v8, null, 0, v13, s2
	v_dual_mov_b32 v13, v5 :: v_dual_lshlrev_b32 v100, 1, v13
	v_dual_add_nc_u32 v93, v57, v1 :: v_dual_lshrrev_b32 v56, 3, v50
	v_lshlrev_b32_e32 v57, 2, v10
	v_lshlrev_b32_e32 v50, 2, v50
	v_mul_lo_u32 v14, v14, s4
	v_mul_lo_u32 v16, v16, s4
	v_and_b32_e32 v1, 60, v56
	v_mul_lo_u32 v18, v18, s4
	v_mul_lo_u32 v20, v20, s4
	;; [unrolled: 1-line block ×4, first 2 shown]
	v_add3_u32 v99, v9, v1, 0x8e40
	v_dual_ashrrev_i32 v1, 31, v0 :: v_dual_lshlrev_b32 v106, 2, v50
	v_mul_lo_u32 v26, v26, s4
	v_mul_lo_u32 v28, v28, s4
	;; [unrolled: 1-line block ×13, first 2 shown]
	v_add3_u32 v95, v12, v9, 0x8e40
	v_cndmask_b32_e64 v12, 0, 1, vcc_lo
	s_ashr_i32 s21, s20, 31
	s_mul_i32 s18, s4, s15
	s_wait_kmcnt 0x0
	s_add_nc_u64 s[8:9], s[8:9], s[20:21]
	v_cmp_gt_u32_e64 s0, 4, v15
	s_movk_i32 s12, 0x2080
	s_movk_i32 s20, 0x4100
	;; [unrolled: 1-line block ×3, first 2 shown]
	v_dual_lshlrev_b32 v102, 2, v55 :: v_dual_lshlrev_b32 v103, 2, v53
	v_add_nc_u64_e32 v[52:53], s[10:11], v[6:7]
	s_ashr_i32 s19, s18, 31
	v_and_b32_e32 v4, 0x7c, v9
	v_add3_u32 v96, v9, v11, 0x8e40
	v_dual_mov_b32 v11, v5 :: v_dual_lshlrev_b32 v10, 2, v8
	v_dual_lshlrev_b32 v12, 2, v12 :: v_dual_lshlrev_b32 v101, 2, v9
	v_dual_lshlrev_b32 v104, 2, v57 :: v_dual_lshlrev_b32 v105, 2, v56
	v_dual_mov_b32 v8, v5 :: v_dual_mov_b32 v9, v5
	v_dual_lshlrev_b32 v112, 2, v94 :: v_dual_bitop2_b32 v107, 1, v17 bitop3:0x54
	v_mul_u32_u24_e32 v108, 0x104, v15
	v_mad_u32_u24 v109, 0x104, v15, s12
	v_mad_u32_u24 v110, 0x104, v15, s20
	;; [unrolled: 1-line block ×3, first 2 shown]
	v_dual_lshlrev_b32 v113, 2, v89 :: v_dual_mov_b32 v97, v5
	s_mul_u64 s[18:19], s[18:19], 0xb0
	s_and_b32 s12, s0, s1
	s_add_nc_u64 s[8:9], s[8:9], s[18:19]
	s_mov_b32 s2, s3
	s_branch .LBB214_5
.LBB214_4:                              ;   in Loop: Header=BB214_5 Depth=1
	s_add_co_i32 s2, s2, 1
	s_delay_alu instid0(SALU_CYCLE_1)
	s_cmp_eq_u32 s2, s4
	s_cbranch_scc1 .LBB214_21
.LBB214_5:                              ; =>This Loop Header: Depth=1
                                        ;     Child Loop BB214_11 Depth 2
                                        ;     Child Loop BB214_19 Depth 2
	s_mul_u64 s[18:19], s[2:3], 0xb0
	s_delay_alu instid0(SALU_CYCLE_1) | instskip(NEXT) | instid1(SALU_CYCLE_1)
	s_add_nc_u64 s[18:19], s[8:9], s[18:19]
	v_mad_nc_u64_u32 v[54:55], 0xb0, v2, s[18:19]
	v_mad_nc_i64_i32 v[56:57], 0xb0, v48, s[18:19]
	v_mad_nc_i64_i32 v[58:59], 0xb0, v50, s[18:19]
	s_delay_alu instid0(VALU_DEP_3)
	v_mad_nc_i64_i32 v[60:61], 0xb0, v14, v[54:55]
	v_mad_nc_i64_i32 v[62:63], 0xb0, v16, v[54:55]
	;; [unrolled: 1-line block ×4, first 2 shown]
	v_add_nc_u64_e32 v[70:71], v[56:57], v[10:11]
	v_add_nc_u64_e32 v[56:57], v[56:57], v[12:13]
	;; [unrolled: 1-line block ×3, first 2 shown]
	v_mad_nc_i64_i32 v[68:69], 0xb0, v22, v[54:55]
	v_add_nc_u64_e32 v[58:59], v[58:59], v[12:13]
	v_mad_nc_i64_i32 v[74:75], 0xb0, v24, v[54:55]
	v_mad_nc_i64_i32 v[76:77], 0xb0, v26, v[54:55]
	;; [unrolled: 1-line block ×3, first 2 shown]
	s_clause 0x3
	global_load_b32 v80, v[70:71], off offset:4
	global_load_b32 v81, v[56:57], off offset:4
	;; [unrolled: 1-line block ×4, first 2 shown]
	s_wait_xcnt 0x2
	v_add_nc_u64_e32 v[56:57], v[60:61], v[6:7]
	s_wait_xcnt 0x0
	v_add_nc_u64_e32 v[58:59], v[60:61], v[4:5]
	v_add_nc_u64_e32 v[60:61], v[62:63], v[6:7]
	v_add_nc_u64_e32 v[70:71], v[64:65], v[6:7]
	v_add_nc_u64_e32 v[72:73], v[66:67], v[6:7]
	v_add_nc_u64_e32 v[66:67], v[66:67], v[4:5]
	v_add_nc_u64_e32 v[64:65], v[64:65], v[4:5]
	v_add_nc_u64_e32 v[62:63], v[62:63], v[4:5]
	s_clause 0x7
	global_load_b32 v84, v[56:57], off offset:16
	global_load_b32 v85, v[60:61], off offset:16
	;; [unrolled: 1-line block ×8, first 2 shown]
	s_wait_xcnt 0x7
	v_add_nc_u64_e32 v[56:57], v[68:69], v[6:7]
	s_wait_xcnt 0x5
	v_mad_nc_i64_i32 v[70:71], 0xb0, v30, v[54:55]
	v_add_nc_u64_e32 v[60:61], v[74:75], v[6:7]
	s_wait_xcnt 0x1
	v_add_nc_u64_e32 v[62:63], v[74:75], v[4:5]
	v_add_nc_u64_e32 v[64:65], v[76:77], v[6:7]
	v_mad_nc_i64_i32 v[74:75], 0xb0, v32, v[54:55]
	v_add_nc_u64_e32 v[66:67], v[78:79], v[4:5]
	s_wait_xcnt 0x0
	v_add_nc_u64_e32 v[58:59], v[68:69], v[4:5]
	v_add_nc_u64_e32 v[68:69], v[78:79], v[6:7]
	;; [unrolled: 1-line block ×3, first 2 shown]
	s_clause 0x7
	global_load_b32 v78, v[56:57], off offset:16
	global_load_b32 v79, v[60:61], off offset:16
	;; [unrolled: 1-line block ×8, first 2 shown]
	s_wait_xcnt 0x1
	v_mad_nc_i64_i32 v[62:63], 0xb0, v34, v[54:55]
	v_mad_nc_i64_i32 v[66:67], 0xb0, v36, v[54:55]
	v_add_nc_u64_e32 v[56:57], v[70:71], v[4:5]
	v_mad_nc_i64_i32 v[68:69], 0xb0, v38, v[54:55]
	s_wait_xcnt 0x0
	v_add_nc_u64_e32 v[58:59], v[70:71], v[6:7]
	v_mad_nc_i64_i32 v[70:71], 0xb0, v40, v[54:55]
	v_add_nc_u64_e32 v[60:61], v[74:75], v[4:5]
	v_add_nc_u64_e32 v[64:65], v[74:75], v[6:7]
	v_mad_nc_i64_i32 v[72:73], 0xb0, v42, v[54:55]
	v_mad_nc_i64_i32 v[54:55], 0xb0, v44, v[54:55]
	s_clause 0x3
	global_load_b32 v126, v[56:57], off offset:48
	global_load_b32 v127, v[58:59], off offset:16
	;; [unrolled: 1-line block ×4, first 2 shown]
	s_wait_xcnt 0x3
	v_add_nc_u64_e32 v[56:57], v[62:63], v[4:5]
	s_wait_xcnt 0x2
	v_add_nc_u64_e32 v[58:59], v[62:63], v[6:7]
	;; [unrolled: 2-line block ×3, first 2 shown]
	v_add_nc_u64_e32 v[62:63], v[66:67], v[6:7]
	s_wait_xcnt 0x0
	v_add_nc_u64_e32 v[64:65], v[68:69], v[6:7]
	v_add_nc_u64_e32 v[66:67], v[68:69], v[4:5]
	;; [unrolled: 1-line block ×6, first 2 shown]
	s_clause 0x9
	global_load_b32 v130, v[56:57], off offset:48
	global_load_b32 v131, v[58:59], off offset:16
	;; [unrolled: 1-line block ×10, first 2 shown]
	s_wait_xcnt 0x9
	v_add_nc_u64_e32 v[56:57], v[72:73], v[6:7]
	v_add_nc_u64_e32 v[54:55], v[54:55], v[6:7]
	s_clause 0x1
	global_load_b32 v58, v[56:57], off offset:16
	global_load_b32 v59, v[54:55], off offset:16
	s_wait_xcnt 0x0
	v_mad_nc_i64_i32 v[54:55], 0xb0, v46, s[18:19]
	s_lshl_b32 s18, s2, 8
	s_delay_alu instid0(SALU_CYCLE_1)
	s_cmp_lt_i32 s18, s5
	global_load_b32 v54, v[54:55], off
	s_wait_loadcnt 0x23
	s_wait_xcnt 0x0
	v_dual_ashrrev_i32 v55, v87, v80 :: v_dual_ashrrev_i32 v57, v100, v81
	s_wait_loadcnt 0x21
	v_dual_ashrrev_i32 v56, v87, v82 :: v_dual_ashrrev_i32 v60, v100, v83
	s_delay_alu instid0(VALU_DEP_2) | instskip(SKIP_2) | instid1(VALU_DEP_3)
	v_and_b32_e32 v55, 0xf0f0f0f, v55
	s_wait_loadcnt 0x1f
	v_dual_ashrrev_i32 v62, v107, v84 :: v_dual_ashrrev_i32 v63, v17, v85
	v_and_b32_e32 v56, 0xf0f0f0f, v56
	v_ashrrev_i32_e32 v66, v107, v85
	v_and_or_b32 v55, 0x30303030, v57, v55
	s_wait_loadcnt 0x19
	v_dual_ashrrev_i32 v57, v17, v84 :: v_dual_lshrrev_b32 v61, 4, v119
	v_lshrrev_b32_e32 v65, 4, v118
	v_dual_ashrrev_i32 v67, v17, v114 :: v_dual_lshrrev_b32 v69, 4, v117
	v_dual_ashrrev_i32 v70, v107, v114 :: v_dual_ashrrev_i32 v71, v17, v115
	v_dual_lshrrev_b32 v73, 4, v116 :: v_dual_ashrrev_i32 v74, v107, v115
	s_wait_loadcnt 0x18
	v_dual_ashrrev_i32 v75, v17, v78 :: v_dual_ashrrev_i32 v78, v107, v78
	s_wait_loadcnt 0x17
	v_ashrrev_i32_e32 v80, v17, v79
	v_and_or_b32 v56, 0x30303030, v60, v56
	s_wait_loadcnt 0x11
	v_lshrrev_b32_e32 v77, 4, v125
	v_and_b32_e32 v60, 0xf0f0f0f, v119
	v_and_b32_e32 v64, 0xf0f0f0f, v118
	v_and_b32_e32 v68, 0xf0f0f0f, v117
	v_and_b32_e32 v72, 0xf0f0f0f, v116
	v_and_b32_e32 v76, 0xf0f0f0f, v125
	v_and_b32_e32 v81, 0xf0f0f0f, v124
	v_dual_lshrrev_b32 v82, 4, v124 :: v_dual_ashrrev_i32 v79, v107, v79
	v_dual_ashrrev_i32 v83, v17, v120 :: v_dual_lshrrev_b32 v85, 4, v123
	v_and_b32_e32 v84, 0xf0f0f0f, v123
	v_dual_ashrrev_i32 v114, v107, v120 :: v_dual_ashrrev_i32 v115, v17, v122
	v_and_b32_e32 v116, 0xf0f0f0f, v121
	v_dual_lshrrev_b32 v117, 4, v121 :: v_dual_ashrrev_i32 v118, v107, v122
	s_wait_loadcnt 0xf
	v_dual_ashrrev_i32 v119, v17, v127 :: v_dual_lshrrev_b32 v121, 4, v126
	v_and_b32_e32 v120, 0xf0f0f0f, v126
	s_wait_loadcnt 0xd
	v_dual_ashrrev_i32 v122, v107, v127 :: v_dual_ashrrev_i32 v123, v17, v129
	v_and_b32_e32 v124, 0xf0f0f0f, v128
	v_dual_lshrrev_b32 v125, 4, v128 :: v_dual_ashrrev_i32 v126, v107, v129
	s_wait_loadcnt 0xb
	v_dual_ashrrev_i32 v127, v17, v131 :: v_dual_lshrrev_b32 v129, 4, v130
	v_and_b32_e32 v128, 0xf0f0f0f, v130
	s_wait_loadcnt 0x9
	v_dual_ashrrev_i32 v130, v107, v131 :: v_dual_ashrrev_i32 v131, v17, v133
	v_and_b32_e32 v140, 0xf0f0f0f, v132
	v_dual_lshrrev_b32 v132, 4, v132 :: v_dual_ashrrev_i32 v133, v107, v133
	s_wait_loadcnt 0x8
	v_ashrrev_i32_e32 v141, v17, v134
	s_wait_loadcnt 0x3
	v_and_b32_e32 v142, 0xf0f0f0f, v139
	v_dual_lshrrev_b32 v139, 4, v139 :: v_dual_ashrrev_i32 v134, v107, v134
	v_ashrrev_i32_e32 v143, v17, v136
	v_and_b32_e32 v144, 0xf0f0f0f, v135
	v_dual_lshrrev_b32 v135, 4, v135 :: v_dual_ashrrev_i32 v136, v107, v136
	s_wait_loadcnt 0x2
	v_dual_ashrrev_i32 v145, v17, v58 :: v_dual_ashrrev_i32 v58, v107, v58
	v_and_b32_e32 v146, 0xf0f0f0f, v138
	s_wait_loadcnt 0x1
	v_dual_lshrrev_b32 v138, 4, v138 :: v_dual_ashrrev_i32 v147, v17, v59
	v_and_b32_e32 v148, 0xf0f0f0f, v137
	v_dual_lshrrev_b32 v137, 4, v137 :: v_dual_ashrrev_i32 v59, v107, v59
	v_dual_lshlrev_b32 v57, 4, v57 :: v_dual_lshlrev_b32 v62, 4, v62
	v_and_b32_e32 v61, 0xf0f0f0f, v61
	v_dual_lshlrev_b32 v63, 4, v63 :: v_dual_lshlrev_b32 v66, 4, v66
	v_and_b32_e32 v65, 0xf0f0f0f, v65
	;; [unrolled: 2-line block ×15, first 2 shown]
	v_lshlrev_b32_e32 v147, 4, v147
	v_and_b32_e32 v137, 0xf0f0f0f, v137
	v_lshlrev_b32_e32 v59, 4, v59
	v_and_or_b32 v57, 0x10101010, v57, v60
	v_and_or_b32 v60, 0x10101010, v62, v61
	;; [unrolled: 1-line block ×32, first 2 shown]
	ds_store_2addr_b32 v19, v57, v60 offset1:8
	ds_store_2addr_b32 v21, v61, v62 offset1:8
	;; [unrolled: 1-line block ×16, first 2 shown]
	s_wait_loadcnt 0x0
	ds_store_b32 v86, v54
	ds_store_b32 v90, v55
	;; [unrolled: 1-line block ×3, first 2 shown]
	s_cbranch_scc0 .LBB214_4
; %bb.6:                                ;   in Loop: Header=BB214_5 Depth=1
	s_lshl_b32 s19, s2, 3
	s_delay_alu instid0(SALU_CYCLE_1) | instskip(NEXT) | instid1(VALU_DEP_1)
	v_add_nc_u32_e32 v54, s19, v94
	v_cmp_gt_i32_e32 vcc_lo, s6, v54
	s_and_b32 s21, s1, vcc_lo
	s_delay_alu instid0(SALU_CYCLE_1)
	s_and_saveexec_b32 s20, s21
	s_cbranch_execz .LBB214_8
; %bb.7:                                ;   in Loop: Header=BB214_5 Depth=1
	v_add_nc_u32_e32 v54, v0, v54
	s_delay_alu instid0(VALU_DEP_1)
	v_mad_nc_i64_i32 v[54:55], v54, 36, v[52:53]
	global_load_b32 v54, v[54:55], off offset:4
	s_wait_loadcnt 0x0
	ds_store_b32 v88, v54
.LBB214_8:                              ;   in Loop: Header=BB214_5 Depth=1
	s_or_b32 exec_lo, exec_lo, s20
	v_add_nc_u32_e32 v54, s19, v15
	s_delay_alu instid0(VALU_DEP_1) | instskip(SKIP_1) | instid1(SALU_CYCLE_1)
	v_cmp_gt_i32_e32 vcc_lo, s6, v54
	s_and_b32 s21, s12, vcc_lo
	s_and_saveexec_b32 s20, s21
	s_cbranch_execz .LBB214_10
; %bb.9:                                ;   in Loop: Header=BB214_5 Depth=1
	v_add_nc_u32_e32 v55, v0, v54
	s_delay_alu instid0(VALU_DEP_1)
	v_mad_nc_i64_i32 v[56:57], v55, 36, s[10:11]
	global_load_b32 v55, v[56:57], off
	s_wait_loadcnt 0x0
	ds_store_b32 v93, v55
.LBB214_10:                             ;   in Loop: Header=BB214_5 Depth=1
	s_or_b32 exec_lo, exec_lo, s20
	s_wait_dscnt 0x0
	s_barrier_signal -1
	s_barrier_wait -1
	ds_load_b32 v55, v96 offset:128
	ds_load_b32 v56, v95
	ds_load_b32 v58, v98 offset:256
	ds_load_b32 v62, v99 offset:384
	s_mov_b32 s21, 0
	s_mov_b32 s20, -1
	s_wait_dscnt 0x2
	v_dual_lshrrev_b32 v59, 16, v55 :: v_dual_lshrrev_b32 v60, 16, v56
	v_cvt_f32_f16_e32 v57, v55
	s_wait_dscnt 0x1
	v_lshrrev_b32_e32 v55, 16, v58
	s_wait_dscnt 0x0
	v_lshrrev_b32_e32 v63, 16, v62
	v_cvt_f32_f16_e32 v56, v56
	v_cvt_f32_f16_e32 v58, v58
	;; [unrolled: 1-line block ×7, first 2 shown]
.LBB214_11:                             ;   Parent Loop BB214_5 Depth=1
                                        ; =>  This Inner Loop Header: Depth=2
	s_lshr_b32 s22, s21, 2
	v_lshl_or_b32 v55, s21, 1, v31
	s_lshl_b32 s21, s21, 3
	s_add_co_i32 s22, s22, 0x8200
	v_dual_add_nc_u32 v114, s21, v108 :: v_dual_add_nc_u32 v115, s21, v109
	v_dual_add_nc_u32 v116, s21, v110 :: v_dual_add_nc_u32 v117, s21, v111
	v_add3_u32 v122, s22, v112, v101
	v_add3_u32 v118, s22, v113, v102
	;; [unrolled: 1-line block ×4, first 2 shown]
	v_dual_lshlrev_b32 v126, 2, v55 :: v_dual_lshrrev_b32 v55, 1, v55
	ds_load_2addr_b32 v[74:75], v114 offset1:1
	ds_load_2addr_b32 v[70:71], v114 offset0:2 offset1:3
	ds_load_2addr_b32 v[66:67], v114 offset0:4 offset1:5
	ds_load_2addr_b32 v[64:65], v114 offset0:6 offset1:7
	ds_load_2addr_b32 v[76:77], v114 offset0:8 offset1:9
	ds_load_2addr_b32 v[78:79], v115 offset1:1
	ds_load_2addr_b32 v[72:73], v115 offset0:2 offset1:3
	ds_load_2addr_b32 v[68:69], v115 offset0:4 offset1:5
	;; [unrolled: 1-line block ×9, first 2 shown]
	ds_load_2addr_b32 v[138:139], v117 offset1:1
	ds_load_2addr_b32 v[140:141], v117 offset0:2 offset1:3
	ds_load_2addr_b32 v[142:143], v117 offset0:4 offset1:5
	;; [unrolled: 1-line block ×7, first 2 shown]
	ds_load_2addr_b32 v[154:155], v116 offset1:1
	ds_load_2addr_b32 v[156:157], v115 offset0:14 offset1:15
	ds_load_2addr_b32 v[158:159], v115 offset0:8 offset1:9
	;; [unrolled: 1-line block ×8, first 2 shown]
	ds_load_u16 v174, v118
	ds_load_u16 v175, v118 offset:8
	ds_load_u16 v176, v120
	ds_load_u16 v177, v120 offset:8
	ds_load_u16 v178, v119 offset:8
	ds_load_u16 v179, v119
	ds_load_b128 v[114:117], v126 offset:35392
	ds_load_b128 v[118:121], v126 offset:35408
	ds_load_b64 v[172:173], v55 offset:36944
	ds_load_u16 v55, v122
	ds_load_u16 v180, v122 offset:8
	ds_load_b128 v[122:125], v126 offset:35424
	ds_load_b128 v[126:129], v126 offset:35440
	s_wait_dscnt 0x1b
	v_perm_b32 v189, v143, v142, 0xc0c0602
	s_wait_dscnt 0x1a
	v_perm_b32 v190, v145, v144, 0x6020c0c
	v_perm_b32 v191, v143, v142, 0xc0c0400
	;; [unrolled: 1-line block ×9, first 2 shown]
	s_wait_dscnt 0x9
	v_cvt_f32_ubyte0_e32 v143, v177
	v_cvt_f32_ubyte1_e32 v145, v177
	v_perm_b32 v195, v146, v147, 0xc0c0501
	s_wait_dscnt 0x6
	v_dot4_i32_iu8 v177, v114, v74, 0 neg_lo:[1,1,0]
	v_dot4_i32_iu8 v78, v114, v78, 0 neg_lo:[1,1,0]
	v_dot4_i32_iu8 v154, v114, v154, 0 neg_lo:[1,1,0]
	v_perm_b32 v206, v114, v115, 0xc0c0501
	v_perm_b32 v208, v114, v115, 0xc0c0703
	s_wait_dscnt 0x1
	v_dot4_i32_iu8 v213, v122, v76, 0 neg_lo:[1,1,0]
	v_perm_b32 v210, v114, v115, 0xc0c0400
	v_perm_b32 v114, v114, v115, 0xc0c0602
	v_dual_lshrrev_b32 v221, 16, v172 :: v_dual_lshrrev_b32 v225, 16, v173
	v_dot4_i32_iu8 v177, v115, v75, v177 neg_lo:[1,1,0]
	v_dot4_i32_iu8 v78, v115, v79, v78 neg_lo:[1,1,0]
	v_dot4_i32_iu8 v79, v115, v155, v154 neg_lo:[1,1,0]
	v_dot4_i32_iu8 v115, v123, v77, v213 neg_lo:[1,1,0]
	v_perm_b32 v196, v146, v147, 0xc0c0703
	v_perm_b32 v197, v146, v147, 0xc0c0400
	;; [unrolled: 1-line block ×7, first 2 shown]
	v_dot4_i32_iu8 v158, v122, v158, 0 neg_lo:[1,1,0]
	v_dot4_i32_iu8 v132, v122, v132, 0 neg_lo:[1,1,0]
	v_perm_b32 v214, v122, v123, 0xc0c0501
	v_perm_b32 v216, v122, v123, 0xc0c0703
	;; [unrolled: 1-line block ×5, first 2 shown]
	v_cvt_f32_f16_e64 v75, v221
	v_dot4_i32_iu8 v78, v116, v72, v78 neg_lo:[1,1,0]
	v_dot4_i32_iu8 v79, v116, v130, v79 neg_lo:[1,1,0]
	;; [unrolled: 1-line block ×3, first 2 shown]
	v_perm_b32 v181, v138, v139, 0xc0c0501
	v_perm_b32 v182, v141, v140, 0x5010c0c
	;; [unrolled: 1-line block ×6, first 2 shown]
	v_cvt_f32_ubyte0_e32 v139, v175
	v_perm_b32 v207, v117, v116, 0x5010c0c
	v_perm_b32 v209, v117, v116, 0x7030c0c
	;; [unrolled: 1-line block ×3, first 2 shown]
	v_cvt_f32_ubyte0_e32 v138, v180
	v_or_b32_e32 v186, v188, v186
	v_or_b32_e32 v146, v148, v146
	v_dot4_i32_iu8 v154, v123, v159, v158 neg_lo:[1,1,0]
	v_dot4_i32_iu8 v123, v123, v133, v132 neg_lo:[1,1,0]
	v_cvt_f32_f16_e64 v77, v225
	v_or_b32_e32 v122, v220, v122
	v_dot4_i32_iu8 v177, v116, v70, v177 neg_lo:[1,1,0]
	v_mov_b32_e32 v70, v75
	v_dot4_i32_iu8 v73, v117, v73, v78 neg_lo:[1,1,0]
	v_dot4_i32_iu8 v78, v117, v131, v79 neg_lo:[1,1,0]
	v_dot4_i32_iu8 v79, v125, v167, v115 neg_lo:[1,1,0]
	v_cvt_f32_ubyte1_e32 v141, v175
	v_perm_b32 v212, v117, v116, 0x6020c0c
	v_perm_b32 v215, v125, v124, 0x5010c0c
	v_perm_b32 v217, v125, v124, 0x7030c0c
	v_cvt_f32_ubyte1_e32 v140, v180
	v_perm_b32 v180, v119, v118, 0xc0c0400
	v_perm_b32 v224, v121, v120, 0x4000c0c
	v_cvt_f32_f16_e64 v74, v172
	v_cvt_f32_f16_e64 v76, v173
	v_perm_b32 v172, v119, v118, 0xc0c0703
	v_perm_b32 v173, v121, v120, 0x7030c0c
	;; [unrolled: 1-line block ×4, first 2 shown]
	v_dual_mov_b32 v72, v77 :: v_dual_bitop2_b32 v188, v190, v189 bitop3:0x54
	v_or_b32_e32 v181, v182, v181
	v_or_b32_e32 v182, v184, v183
	;; [unrolled: 1-line block ×6, first 2 shown]
	v_dot4_i32_iu8 v116, v124, v160, v154 neg_lo:[1,1,0]
	v_dot4_i32_iu8 v123, v124, v134, v123 neg_lo:[1,1,0]
	;; [unrolled: 1-line block ×4, first 2 shown]
	v_pk_fma_f32 v[70:71], v[70:71], v[138:139], 0 op_sel_hi:[0,1,0]
	v_dot4_i32_iu8 v68, v118, v68, v73 neg_lo:[1,1,0]
	s_wait_dscnt 0x0
	v_dot4_i32_iu8 v73, v126, v168, v79 neg_lo:[1,1,0]
	v_perm_b32 v149, v151, v150, 0xc0c0602
	v_perm_b32 v200, v151, v150, 0xc0c0400
	;; [unrolled: 1-line block ×18, first 2 shown]
	v_or_b32_e32 v184, v193, v191
	v_or_b32_e32 v185, v194, v192
	;; [unrolled: 1-line block ×11, first 2 shown]
	v_dot4_i32_iu8 v124, v183, v133, 0 neg_lo:[1,1,0]
	v_dot4_i32_iu8 v130, v182, v159, 0 neg_lo:[1,1,0]
	;; [unrolled: 1-line block ×6, first 2 shown]
	v_pk_fma_f32 v[70:71], v[72:73], v[140:141], v[70:71] op_sel_hi:[0,1,1]
	v_dot4_i32_iu8 v72, v118, v82, v78 neg_lo:[1,1,0]
	v_perm_b32 v204, v137, v137, 0x7060100
	v_perm_b32 v228, v127, v126, 0xc0c0602
	;; [unrolled: 1-line block ×5, first 2 shown]
	v_or_b32_e32 v187, v199, v197
	v_or_b32_e32 v148, v151, v149
	;; [unrolled: 1-line block ×8, first 2 shown]
	v_dot4_i32_iu8 v114, v186, v114, 0 neg_lo:[1,1,0]
	v_dot4_i32_iu8 v134, v147, v189, 0 neg_lo:[1,1,0]
	;; [unrolled: 1-line block ×11, first 2 shown]
	v_or_b32_e32 v149, v202, v200
	v_or_b32_e32 v191, v229, v228
	;; [unrolled: 1-line block ×3, first 2 shown]
	v_dot4_i32_iu8 v147, v187, v190, 0 neg_lo:[1,1,0]
	v_dot4_i32_iu8 v114, v188, v132, v114 neg_lo:[1,1,0]
	;; [unrolled: 1-line block ×5, first 2 shown]
	v_add_nc_u32_e32 v82, v124, v123
	v_dot4_i32_iu8 v73, v127, v204, v78 neg_lo:[1,1,0]
	v_dot4_i32_iu8 v64, v120, v64, v66 neg_lo:[1,1,0]
	;; [unrolled: 1-line block ×5, first 2 shown]
	v_lshrrev_b16 v175, 8, v174
	v_lshrrev_b16 v205, 8, v179
	v_and_b32_e32 v179, 0xff, v179
	v_cvt_f32_ubyte0_e32 v83, v178
	v_cvt_f32_ubyte1_e32 v137, v178
	v_lshrrev_b16 v178, 8, v176
	v_and_b32_e32 v176, 0xff, v176
	v_dot4_i32_iu8 v122, v148, v191, v122 neg_lo:[1,1,0]
	v_dot4_i32_iu8 v125, v149, v192, v147 neg_lo:[1,1,0]
	v_add_nc_u32_e32 v115, v131, v130
	v_dot4_i32_iu8 v69, v127, v163, v79 neg_lo:[1,1,0]
	v_add3_u32 v78, v117, v114, v82
	v_dot4_i32_iu8 v72, v128, v84, v73 neg_lo:[1,1,0]
	v_dot4_i32_iu8 v68, v121, v81, v68 neg_lo:[1,1,0]
	v_and_b32_e32 v174, 0xff, v174
	v_lshrrev_b16 v236, 8, v55
	v_and_b32_e32 v55, 0xff, v55
	v_and_b32_e32 v152, 0xffff, v175
	;; [unrolled: 1-line block ×4, first 2 shown]
	v_add3_u32 v79, v125, v122, v115
	v_dot4_i32_iu8 v69, v128, v156, v69 neg_lo:[1,1,0]
	v_mul_lo_u32 v73, v78, v176
	v_dot4_i32_iu8 v66, v121, v165, v66 neg_lo:[1,1,0]
	v_dot4_i32_iu8 v64, v121, v65, v64 neg_lo:[1,1,0]
	;; [unrolled: 1-line block ×4, first 2 shown]
	v_mul_lo_u32 v68, v68, v179
	v_and_b32_e32 v195, 0xffff, v236
	v_mul_lo_u32 v78, v79, v178
	v_dot4_i32_iu8 v69, v129, v153, v69 neg_lo:[1,1,0]
	v_mul_lo_u32 v66, v66, v174
	v_mul_lo_u32 v55, v64, v55
	;; [unrolled: 1-line block ×5, first 2 shown]
	v_cvt_f32_i32_e32 v142, v73
	v_pk_mul_f32 v[70:71], v[70:71], v[60:61]
	v_cvt_f32_i32_e32 v82, v68
	s_mov_b32 s21, 8
	v_cvt_f32_i32_e32 v144, v78
	v_pk_fma_f32 v[64:65], v[142:143], v[74:75], 0 op_sel_hi:[1,1,0]
	v_cvt_f32_i32_e32 v67, v66
	v_cvt_f32_i32_e32 v66, v55
	v_cvt_f32_i32_e32 v136, v72
	v_pk_fma_f32 v[68:69], v[82:83], v[74:75], 0 op_sel_hi:[1,1,0]
	v_cvt_f32_i32_e32 v73, v80
	v_cvt_f32_i32_e32 v72, v79
	v_pk_fma_f32 v[64:65], v[144:145], v[76:77], v[64:65]
	v_pk_fma_f32 v[66:67], v[74:75], v[66:67], 0 op_sel_hi:[0,1,0]
	v_pk_fma_f32 v[68:69], v[136:137], v[76:77], v[68:69]
	s_and_b32 vcc_lo, exec_lo, s20
	s_mov_b32 s20, 0
	v_pk_mul_f32 v[64:65], v[64:65], v[62:63]
	v_pk_fma_f32 v[66:67], v[76:77], v[72:73], v[66:67] op_sel_hi:[0,1,1]
	v_pk_mul_f32 v[68:69], v[68:69], v[58:59]
	s_delay_alu instid0(VALU_DEP_3) | instskip(NEXT) | instid1(VALU_DEP_3)
	v_sub_f32_e32 v55, v64, v65
	v_pk_fma_f32 v[64:65], v[66:67], v[56:57], v[70:71] neg_lo:[0,0,1] neg_hi:[0,0,1]
	s_delay_alu instid0(VALU_DEP_3) | instskip(NEXT) | instid1(VALU_DEP_3)
	v_sub_f32_e32 v66, v68, v69
	v_add_f32_e32 v92, v92, v55
	s_delay_alu instid0(VALU_DEP_3) | instskip(NEXT) | instid1(VALU_DEP_3)
	v_pk_add_f32 v[8:9], v[8:9], v[64:65]
	v_add_f32_e32 v97, v97, v66
	s_cbranch_vccnz .LBB214_11
; %bb.12:                               ;   in Loop: Header=BB214_5 Depth=1
	s_bitset1_b32 s18, 7
	s_delay_alu instid0(SALU_CYCLE_1)
	s_cmp_ge_i32 s18, s5
	s_barrier_signal -1
	s_barrier_wait -1
	s_cbranch_scc1 .LBB214_4
; %bb.13:                               ;   in Loop: Header=BB214_5 Depth=1
	v_add_nc_u32_e32 v55, s19, v89
	s_delay_alu instid0(VALU_DEP_1) | instskip(SKIP_1) | instid1(SALU_CYCLE_1)
	v_cmp_gt_i32_e32 vcc_lo, s6, v55
	s_and_b32 s19, s1, vcc_lo
	s_and_saveexec_b32 s18, s19
	s_cbranch_execz .LBB214_15
; %bb.14:                               ;   in Loop: Header=BB214_5 Depth=1
	v_add_nc_u32_e32 v55, v0, v55
	s_delay_alu instid0(VALU_DEP_1)
	v_mad_nc_i64_i32 v[56:57], v55, 36, v[52:53]
	global_load_b32 v55, v[56:57], off offset:4
	s_wait_loadcnt 0x0
	ds_store_b32 v88, v55
.LBB214_15:                             ;   in Loop: Header=BB214_5 Depth=1
	s_or_b32 exec_lo, exec_lo, s18
	s_and_saveexec_b32 s18, s0
	s_cbranch_execz .LBB214_18
; %bb.16:                               ;   in Loop: Header=BB214_5 Depth=1
	v_or_b32_e32 v55, 4, v54
	s_delay_alu instid0(VALU_DEP_1) | instskip(SKIP_1) | instid1(SALU_CYCLE_1)
	v_cmp_gt_i32_e32 vcc_lo, s6, v55
	s_and_b32 s19, s1, vcc_lo
	s_and_b32 exec_lo, exec_lo, s19
	s_cbranch_execz .LBB214_18
; %bb.17:                               ;   in Loop: Header=BB214_5 Depth=1
	v_ashrrev_i32_e32 v55, 31, v54
	s_delay_alu instid0(VALU_DEP_1) | instskip(NEXT) | instid1(VALU_DEP_1)
	v_add_nc_u64_e32 v[54:55], v[0:1], v[54:55]
	v_mad_nc_u64_u32 v[56:57], v54, 36, s[10:11]
	s_delay_alu instid0(VALU_DEP_1)
	v_mad_i32_i24 v57, v55, 36, v57
	global_load_b32 v54, v[56:57], off offset:144
	s_wait_loadcnt 0x0
	ds_store_b32 v93, v54
.LBB214_18:                             ;   in Loop: Header=BB214_5 Depth=1
	s_or_b32 exec_lo, exec_lo, s18
	s_wait_dscnt 0x0
	s_barrier_signal -1
	s_barrier_wait -1
	ds_load_b32 v54, v96 offset:128
	ds_load_b32 v56, v95
	ds_load_b32 v57, v98 offset:256
	ds_load_b32 v60, v99 offset:384
	s_mov_b32 s18, 16
	s_wait_dscnt 0x2
	v_dual_lshrrev_b32 v58, 16, v54 :: v_dual_lshrrev_b32 v61, 16, v56
	s_wait_dscnt 0x0
	v_dual_lshrrev_b32 v62, 16, v57 :: v_dual_lshrrev_b32 v63, 16, v60
	v_cvt_f32_f16_e32 v55, v54
	v_cvt_f32_f16_e32 v54, v56
	;; [unrolled: 1-line block ×8, first 2 shown]
.LBB214_19:                             ;   Parent Loop BB214_5 Depth=1
                                        ; =>  This Inner Loop Header: Depth=2
	s_lshl_b32 s20, s18, 1
	s_lshr_b32 s19, s18, 2
	s_lshl_b32 s21, s18, 3
	v_and_or_b32 v62, s20, 16, v31
	s_and_b32 s19, s19, 0x3ffffffe
	v_dual_add_nc_u32 v63, s21, v108 :: v_dual_add_nc_u32 v64, s21, v109
	s_add_co_i32 s19, s19, 0x8200
	v_dual_add_nc_u32 v65, s21, v110 :: v_dual_add_nc_u32 v66, s21, v111
	v_add3_u32 v67, s19, v112, v101
	v_add3_u32 v68, s19, v113, v102
	;; [unrolled: 1-line block ×4, first 2 shown]
	v_dual_lshlrev_b32 v74, 2, v62 :: v_dual_lshrrev_b32 v170, 1, v62
	ds_load_2addr_b32 v[78:79], v63 offset1:1
	ds_load_2addr_b32 v[80:81], v63 offset0:2 offset1:3
	ds_load_2addr_b32 v[82:83], v63 offset0:4 offset1:5
	ds_load_2addr_b32 v[84:85], v63 offset0:6 offset1:7
	ds_load_2addr_b32 v[114:115], v63 offset0:8 offset1:9
	ds_load_2addr_b32 v[116:117], v63 offset0:14 offset1:15
	ds_load_2addr_b32 v[118:119], v64 offset1:1
	ds_load_2addr_b32 v[120:121], v64 offset0:2 offset1:3
	ds_load_2addr_b32 v[122:123], v64 offset0:4 offset1:5
	ds_load_2addr_b32 v[124:125], v64 offset0:6 offset1:7
	ds_load_2addr_b32 v[126:127], v64 offset0:8 offset1:9
	ds_load_2addr_b32 v[128:129], v64 offset0:10 offset1:11
	ds_load_2addr_b32 v[130:131], v64 offset0:12 offset1:13
	ds_load_2addr_b32 v[132:133], v64 offset0:14 offset1:15
	ds_load_2addr_b32 v[134:135], v65 offset1:1
	ds_load_2addr_b32 v[136:137], v65 offset0:2 offset1:3
	ds_load_2addr_b32 v[138:139], v65 offset0:4 offset1:5
	;; [unrolled: 8-line block ×3, first 2 shown]
	ds_load_2addr_b32 v[156:157], v66 offset0:6 offset1:7
	ds_load_2addr_b32 v[158:159], v66 offset0:8 offset1:9
	;; [unrolled: 1-line block ×7, first 2 shown]
	ds_load_u16 v172, v68
	ds_load_u16 v173, v68 offset:8
	ds_load_u16 v174, v69
	ds_load_u16 v175, v69 offset:8
	;; [unrolled: 2-line block ×4, first 2 shown]
	ds_load_b128 v[62:65], v74 offset:35392
	ds_load_b128 v[66:69], v74 offset:35408
	;; [unrolled: 1-line block ×4, first 2 shown]
	ds_load_b64 v[170:171], v170 offset:36944
	s_wait_dscnt 0x1f
	v_perm_b32 v180, v133, v133, 0x7060100
	v_perm_b32 v181, v117, v117, 0x7060100
	s_wait_dscnt 0x1c
	v_perm_b32 v182, v139, v139, 0x7060100
	s_wait_dscnt 0x18
	;; [unrolled: 2-line block ×4, first 2 shown]
	v_perm_b32 v185, v153, v152, 0x5010c0c
	v_perm_b32 v186, v150, v151, 0xc0c0703
	v_perm_b32 v187, v153, v152, 0x7030c0c
	v_perm_b32 v188, v150, v151, 0xc0c0400
	v_perm_b32 v189, v153, v152, 0x4000c0c
	v_perm_b32 v190, v150, v151, 0xc0c0602
	v_perm_b32 v191, v153, v152, 0x6020c0c
	s_wait_dscnt 0x14
	v_perm_b32 v192, v155, v154, 0xc0c0602
	s_wait_dscnt 0x13
	v_perm_b32 v193, v157, v156, 0x6020c0c
	v_perm_b32 v194, v155, v154, 0xc0c0400
	v_perm_b32 v195, v157, v156, 0x4000c0c
	v_perm_b32 v196, v155, v154, 0xc0c0703
	v_perm_b32 v197, v157, v156, 0x7030c0c
	v_perm_b32 v154, v155, v154, 0xc0c0501
	v_perm_b32 v155, v157, v156, 0x5010c0c
	s_wait_dscnt 0x12
	v_perm_b32 v156, v158, v159, 0xc0c0501
	s_wait_dscnt 0x11
	;; [unrolled: 10-line block ×3, first 2 shown]
	v_perm_b32 v161, v165, v164, 0x6020c0c
	v_perm_b32 v202, v163, v162, 0xc0c0400
	;; [unrolled: 1-line block ×7, first 2 shown]
	s_wait_dscnt 0xc
	v_lshrrev_b16 v164, 8, v172
	v_and_b32_e32 v165, 0xff, v172
	s_wait_dscnt 0xb
	v_cvt_f32_ubyte0_e32 v151, v173
	v_cvt_f32_ubyte1_e32 v153, v173
	s_wait_dscnt 0xa
	v_lshrrev_b16 v172, 8, v174
	v_and_b32_e32 v173, 0xff, v174
	s_wait_dscnt 0x9
	v_cvt_f32_ubyte0_e32 v117, v175
	v_cvt_f32_ubyte1_e32 v133, v175
	;; [unrolled: 6-line block ×4, first 2 shown]
	s_wait_dscnt 0x4
	v_dot4_i32_iu8 v178, v62, v78, 0 neg_lo:[1,1,0]
	v_dot4_i32_iu8 v118, v62, v118, 0 neg_lo:[1,1,0]
	s_wait_dscnt 0x2
	v_dot4_i32_iu8 v179, v70, v114, 0 neg_lo:[1,1,0]
	s_wait_dscnt 0x0
	v_cvt_f32_f16_e64 v78, v170
	v_lshrrev_b32_e32 v170, 16, v170
	v_cvt_f32_f16_e64 v114, v171
	v_lshrrev_b32_e32 v171, 16, v171
	v_dot4_i32_iu8 v134, v62, v134, 0 neg_lo:[1,1,0]
	v_dot4_i32_iu8 v126, v70, v126, 0 neg_lo:[1,1,0]
	;; [unrolled: 1-line block ×3, first 2 shown]
	v_or_b32_e32 v186, v187, v186
	v_perm_b32 v187, v62, v63, 0xc0c0703
	v_dot4_i32_iu8 v178, v63, v79, v178 neg_lo:[1,1,0]
	v_dot4_i32_iu8 v118, v63, v119, v118 neg_lo:[1,1,0]
	v_dot4_i32_iu8 v119, v71, v115, v179 neg_lo:[1,1,0]
	v_cvt_f32_f16_e64 v79, v170
	v_or_b32_e32 v184, v185, v184
	v_perm_b32 v185, v62, v63, 0xc0c0501
	v_cvt_f32_f16_e64 v115, v171
	v_or_b32_e32 v188, v189, v188
	v_perm_b32 v189, v62, v63, 0xc0c0400
	v_perm_b32 v62, v62, v63, 0xc0c0602
	v_dot4_i32_iu8 v63, v63, v135, v134 neg_lo:[1,1,0]
	v_perm_b32 v206, v65, v64, 0x5010c0c
	v_perm_b32 v207, v65, v64, 0x7030c0c
	;; [unrolled: 1-line block ×3, first 2 shown]
	v_or_b32_e32 v190, v191, v190
	v_perm_b32 v191, v65, v64, 0x6020c0c
	v_or_b32_e32 v156, v157, v156
	v_perm_b32 v157, v70, v71, 0xc0c0501
	v_perm_b32 v213, v73, v72, 0x5010c0c
	v_or_b32_e32 v198, v199, v198
	v_perm_b32 v199, v70, v71, 0xc0c0703
	;; [unrolled: 3-line block ×3, first 2 shown]
	v_perm_b32 v70, v70, v71, 0xc0c0602
	v_dot4_i32_iu8 v126, v71, v127, v126 neg_lo:[1,1,0]
	v_dot4_i32_iu8 v71, v71, v143, v142 neg_lo:[1,1,0]
	;; [unrolled: 1-line block ×5, first 2 shown]
	v_or_b32_e32 v192, v193, v192
	v_perm_b32 v193, v67, v66, 0xc0c0602
	v_perm_b32 v209, v69, v68, 0x6020c0c
	v_or_b32_e32 v194, v195, v194
	v_perm_b32 v195, v67, v66, 0xc0c0400
	v_perm_b32 v210, v69, v68, 0x4000c0c
	;; [unrolled: 3-line block ×4, first 2 shown]
	v_perm_b32 v215, v73, v72, 0x4000c0c
	v_or_b32_e32 v158, v159, v158
	v_perm_b32 v159, v73, v72, 0x6020c0c
	v_or_b32_e32 v204, v205, v204
	v_perm_b32 v205, v75, v74, 0xc0c0703
	v_perm_b32 v218, v77, v76, 0x7030c0c
	v_or_b32_e32 v162, v163, v162
	v_perm_b32 v163, v75, v74, 0xc0c0501
	v_perm_b32 v219, v77, v76, 0x5010c0c
	v_or_b32_e32 v127, v206, v185
	v_or_b32_e32 v134, v207, v187
	;; [unrolled: 1-line block ×6, first 2 shown]
	v_dot4_i32_iu8 v71, v72, v144, v71 neg_lo:[1,1,0]
	v_dot4_i32_iu8 v64, v65, v137, v64 neg_lo:[1,1,0]
	v_or_b32_e32 v160, v161, v160
	v_perm_b32 v161, v75, v74, 0xc0c0602
	v_perm_b32 v216, v77, v76, 0x6020c0c
	v_or_b32_e32 v202, v203, v202
	v_perm_b32 v203, v75, v74, 0xc0c0400
	v_perm_b32 v217, v77, v76, 0x4000c0c
	v_or_b32_e32 v143, v209, v193
	v_or_b32_e32 v170, v210, v195
	;; [unrolled: 1-line block ×8, first 2 shown]
	v_dot4_i32_iu8 v119, v72, v166, v119 neg_lo:[1,1,0]
	v_dot4_i32_iu8 v120, v72, v128, v126 neg_lo:[1,1,0]
	v_dual_mov_b32 v62, v79 :: v_dual_mov_b32 v70, v115
	v_dot4_i32_iu8 v72, v184, v127, 0 neg_lo:[1,1,0]
	v_dot4_i32_iu8 v126, v186, v134, 0 neg_lo:[1,1,0]
	;; [unrolled: 1-line block ×10, first 2 shown]
	v_or_b32_e32 v161, v216, v161
	v_or_b32_e32 v187, v217, v203
	v_dot4_i32_iu8 v136, v200, v185, 0 neg_lo:[1,1,0]
	v_dot4_i32_iu8 v142, v158, v159, 0 neg_lo:[1,1,0]
	;; [unrolled: 1-line block ×4, first 2 shown]
	v_pk_fma_f32 v[62:63], v[62:63], v[150:151], 0 op_sel_hi:[0,1,0]
	v_dot4_i32_iu8 v71, v192, v143, v128 neg_lo:[1,1,0]
	v_dot4_i32_iu8 v73, v194, v170, v127 neg_lo:[1,1,0]
	;; [unrolled: 1-line block ×14, first 2 shown]
	v_pk_fma_f32 v[62:63], v[70:71], v[152:153], v[62:63] op_sel_hi:[0,1,1]
	v_add_nc_u32_e32 v66, v72, v120
	v_add_nc_u32_e32 v70, v128, v127
	v_dot4_i32_iu8 v72, v67, v83, v80 neg_lo:[1,1,0]
	v_dot4_i32_iu8 v74, v67, v123, v81 neg_lo:[1,1,0]
	v_dot4_i32_iu8 v65, v75, v183, v65 neg_lo:[1,1,0]
	v_dot4_i32_iu8 v64, v68, v140, v64 neg_lo:[1,1,0]
	v_dot4_i32_iu8 v80, v75, v169, v82 neg_lo:[1,1,0]
	v_dot4_i32_iu8 v81, v75, v131, v118 neg_lo:[1,1,0]
	v_add3_u32 v66, v73, v71, v66
	v_add3_u32 v67, v126, v121, v70
	v_dot4_i32_iu8 v70, v68, v84, v72 neg_lo:[1,1,0]
	v_dot4_i32_iu8 v71, v68, v124, v74 neg_lo:[1,1,0]
	;; [unrolled: 1-line block ×4, first 2 shown]
	v_and_b32_e32 v172, 0xffff, v172
	v_and_b32_e32 v174, 0xffff, v174
	v_dot4_i32_iu8 v72, v76, v116, v80 neg_lo:[1,1,0]
	v_dot4_i32_iu8 v68, v76, v132, v81 neg_lo:[1,1,0]
	v_mul_lo_u32 v66, v66, v175
	v_dot4_i32_iu8 v71, v69, v125, v71 neg_lo:[1,1,0]
	v_dot4_i32_iu8 v69, v69, v85, v70 neg_lo:[1,1,0]
	;; [unrolled: 1-line block ×3, first 2 shown]
	v_mul_lo_u32 v64, v64, v173
	v_and_b32_e32 v164, 0xffff, v164
	v_and_b32_e32 v176, 0xffff, v176
	v_mul_lo_u32 v67, v67, v174
	v_dot4_i32_iu8 v70, v77, v181, v72 neg_lo:[1,1,0]
	v_dot4_i32_iu8 v68, v77, v180, v68 neg_lo:[1,1,0]
	v_mul_lo_u32 v71, v71, v165
	v_mul_lo_u32 v69, v69, v177
	;; [unrolled: 1-line block ×5, first 2 shown]
	v_cvt_f32_i32_e32 v138, v66
	v_cvt_f32_i32_e32 v116, v64
	v_pk_mul_f32 v[62:63], v[62:63], v[58:59]
	v_cvt_f32_i32_e32 v146, v67
	s_add_co_i32 s19, s18, 8
	v_pk_fma_f32 v[64:65], v[138:139], v[78:79], 0 op_sel_hi:[1,1,0]
	v_cvt_f32_i32_e32 v67, v71
	v_cvt_f32_i32_e32 v66, v69
	;; [unrolled: 1-line block ×3, first 2 shown]
	v_pk_fma_f32 v[68:69], v[116:117], v[78:79], 0 op_sel_hi:[1,1,0]
	v_cvt_f32_i32_e32 v71, v73
	v_cvt_f32_i32_e32 v70, v70
	v_pk_fma_f32 v[64:65], v[146:147], v[114:115], v[64:65]
	v_pk_fma_f32 v[66:67], v[78:79], v[66:67], 0 op_sel_hi:[0,1,0]
	v_pk_fma_f32 v[68:69], v[132:133], v[114:115], v[68:69]
	s_cmp_lt_u32 s18, 24
	s_mov_b32 s18, s19
	v_pk_mul_f32 v[64:65], v[64:65], v[60:61]
	v_pk_fma_f32 v[66:67], v[114:115], v[70:71], v[66:67] op_sel_hi:[0,1,1]
	v_pk_mul_f32 v[68:69], v[68:69], v[56:57]
	s_delay_alu instid0(VALU_DEP_3) | instskip(NEXT) | instid1(VALU_DEP_3)
	v_sub_f32_e32 v64, v64, v65
	v_pk_fma_f32 v[62:63], v[66:67], v[54:55], v[62:63] neg_lo:[0,0,1] neg_hi:[0,0,1]
	s_delay_alu instid0(VALU_DEP_3) | instskip(NEXT) | instid1(VALU_DEP_3)
	v_sub_f32_e32 v65, v68, v69
	v_add_f32_e32 v92, v92, v64
	s_delay_alu instid0(VALU_DEP_3) | instskip(NEXT) | instid1(VALU_DEP_3)
	v_pk_add_f32 v[8:9], v[8:9], v[62:63]
	v_add_f32_e32 v97, v97, v65
	s_cbranch_scc1 .LBB214_19
; %bb.20:                               ;   in Loop: Header=BB214_5 Depth=1
	s_barrier_signal -1
	s_barrier_wait -1
	s_branch .LBB214_4
.LBB214_21:
	s_mul_i32 s0, s14, s7
	s_wait_loadcnt 0x0
	v_cmp_gt_i32_e32 vcc_lo, s0, v3
	s_and_saveexec_b32 s0, vcc_lo
	s_cbranch_execz .LBB214_30
; %bb.22:
	v_mul_lo_u32 v0, v3, s13
	v_add_nc_u32_e32 v1, s15, v15
	s_mov_b32 s0, exec_lo
	s_delay_alu instid0(VALU_DEP_1)
	v_cmpx_gt_u32_e64 s13, v1
	s_cbranch_execz .LBB214_24
; %bb.23:
	s_delay_alu instid0(VALU_DEP_3)
	v_add_nc_u32_e32 v2, v0, v1
	v_cvt_f16_f32_e32 v3, v8
	global_store_b16 v2, v3, s[16:17] scale_offset
.LBB214_24:
	s_wait_xcnt 0x0
	s_or_b32 exec_lo, exec_lo, s0
	v_add_nc_u32_e32 v2, 32, v1
	s_mov_b32 s0, exec_lo
	s_delay_alu instid0(VALU_DEP_1)
	v_cmpx_gt_u32_e64 s13, v2
	s_cbranch_execz .LBB214_26
; %bb.25:
	v_add_nc_u32_e32 v2, v0, v2
	v_cvt_f16_f32_e32 v3, v9
	global_store_b16 v2, v3, s[16:17] scale_offset
.LBB214_26:
	s_wait_xcnt 0x0
	s_or_b32 exec_lo, exec_lo, s0
	v_add_nc_u32_e32 v2, 64, v1
	s_mov_b32 s0, exec_lo
	s_delay_alu instid0(VALU_DEP_1)
	v_cmpx_gt_u32_e64 s13, v2
	s_cbranch_execz .LBB214_28
; %bb.27:
	v_add_nc_u32_e32 v2, v0, v2
	v_cvt_f16_f32_e32 v3, v97
	global_store_b16 v2, v3, s[16:17] scale_offset
.LBB214_28:
	s_wait_xcnt 0x0
	s_or_b32 exec_lo, exec_lo, s0
	v_add_nc_u32_e32 v1, 0x60, v1
	s_delay_alu instid0(VALU_DEP_1)
	v_cmp_gt_u32_e32 vcc_lo, s13, v1
	s_and_b32 exec_lo, exec_lo, vcc_lo
	s_cbranch_execz .LBB214_30
; %bb.29:
	v_add_nc_u32_e32 v0, v0, v1
	v_cvt_f16_f32_e32 v1, v92
	global_store_b16 v0, v1, s[16:17] scale_offset
.LBB214_30:
	s_sendmsg sendmsg(MSG_DEALLOC_VGPRS)
	s_endpgm
	.section	.rodata,"a",@progbits
	.p2align	6, 0x0
	.amdhsa_kernel _ZL8moe_q5_KIN3c104HalfELb1EEvPKvS3_PT_PKiS7_S7_iiiiiii
		.amdhsa_group_segment_fixed_size 37072
		.amdhsa_private_segment_fixed_size 0
		.amdhsa_kernarg_size 76
		.amdhsa_user_sgpr_count 2
		.amdhsa_user_sgpr_dispatch_ptr 0
		.amdhsa_user_sgpr_queue_ptr 0
		.amdhsa_user_sgpr_kernarg_segment_ptr 1
		.amdhsa_user_sgpr_dispatch_id 0
		.amdhsa_user_sgpr_kernarg_preload_length 0
		.amdhsa_user_sgpr_kernarg_preload_offset 0
		.amdhsa_user_sgpr_private_segment_size 0
		.amdhsa_wavefront_size32 1
		.amdhsa_uses_dynamic_stack 0
		.amdhsa_enable_private_segment 0
		.amdhsa_system_sgpr_workgroup_id_x 1
		.amdhsa_system_sgpr_workgroup_id_y 1
		.amdhsa_system_sgpr_workgroup_id_z 0
		.amdhsa_system_sgpr_workgroup_info 0
		.amdhsa_system_vgpr_workitem_id 1
		.amdhsa_next_free_vgpr 237
		.amdhsa_next_free_sgpr 23
		.amdhsa_named_barrier_count 0
		.amdhsa_reserve_vcc 1
		.amdhsa_float_round_mode_32 0
		.amdhsa_float_round_mode_16_64 0
		.amdhsa_float_denorm_mode_32 3
		.amdhsa_float_denorm_mode_16_64 3
		.amdhsa_fp16_overflow 0
		.amdhsa_memory_ordered 1
		.amdhsa_forward_progress 1
		.amdhsa_inst_pref_size 77
		.amdhsa_round_robin_scheduling 0
		.amdhsa_exception_fp_ieee_invalid_op 0
		.amdhsa_exception_fp_denorm_src 0
		.amdhsa_exception_fp_ieee_div_zero 0
		.amdhsa_exception_fp_ieee_overflow 0
		.amdhsa_exception_fp_ieee_underflow 0
		.amdhsa_exception_fp_ieee_inexact 0
		.amdhsa_exception_int_div_zero 0
	.end_amdhsa_kernel
	.section	.text._ZL8moe_q5_KIN3c104HalfELb1EEvPKvS3_PT_PKiS7_S7_iiiiiii,"axG",@progbits,_ZL8moe_q5_KIN3c104HalfELb1EEvPKvS3_PT_PKiS7_S7_iiiiiii,comdat
.Lfunc_end214:
	.size	_ZL8moe_q5_KIN3c104HalfELb1EEvPKvS3_PT_PKiS7_S7_iiiiiii, .Lfunc_end214-_ZL8moe_q5_KIN3c104HalfELb1EEvPKvS3_PT_PKiS7_S7_iiiiiii
                                        ; -- End function
	.set _ZL8moe_q5_KIN3c104HalfELb1EEvPKvS3_PT_PKiS7_S7_iiiiiii.num_vgpr, 237
	.set _ZL8moe_q5_KIN3c104HalfELb1EEvPKvS3_PT_PKiS7_S7_iiiiiii.num_agpr, 0
	.set _ZL8moe_q5_KIN3c104HalfELb1EEvPKvS3_PT_PKiS7_S7_iiiiiii.numbered_sgpr, 23
	.set _ZL8moe_q5_KIN3c104HalfELb1EEvPKvS3_PT_PKiS7_S7_iiiiiii.num_named_barrier, 0
	.set _ZL8moe_q5_KIN3c104HalfELb1EEvPKvS3_PT_PKiS7_S7_iiiiiii.private_seg_size, 0
	.set _ZL8moe_q5_KIN3c104HalfELb1EEvPKvS3_PT_PKiS7_S7_iiiiiii.uses_vcc, 1
	.set _ZL8moe_q5_KIN3c104HalfELb1EEvPKvS3_PT_PKiS7_S7_iiiiiii.uses_flat_scratch, 0
	.set _ZL8moe_q5_KIN3c104HalfELb1EEvPKvS3_PT_PKiS7_S7_iiiiiii.has_dyn_sized_stack, 0
	.set _ZL8moe_q5_KIN3c104HalfELb1EEvPKvS3_PT_PKiS7_S7_iiiiiii.has_recursion, 0
	.set _ZL8moe_q5_KIN3c104HalfELb1EEvPKvS3_PT_PKiS7_S7_iiiiiii.has_indirect_call, 0
	.section	.AMDGPU.csdata,"",@progbits
; Kernel info:
; codeLenInByte = 9772
; TotalNumSgprs: 25
; NumVgprs: 237
; ScratchSize: 0
; MemoryBound: 0
; FloatMode: 240
; IeeeMode: 1
; LDSByteSize: 37072 bytes/workgroup (compile time only)
; SGPRBlocks: 0
; VGPRBlocks: 14
; NumSGPRsForWavesPerEU: 25
; NumVGPRsForWavesPerEU: 237
; NamedBarCnt: 0
; Occupancy: 4
; WaveLimiterHint : 1
; COMPUTE_PGM_RSRC2:SCRATCH_EN: 0
; COMPUTE_PGM_RSRC2:USER_SGPR: 2
; COMPUTE_PGM_RSRC2:TRAP_HANDLER: 0
; COMPUTE_PGM_RSRC2:TGID_X_EN: 1
; COMPUTE_PGM_RSRC2:TGID_Y_EN: 1
; COMPUTE_PGM_RSRC2:TGID_Z_EN: 0
; COMPUTE_PGM_RSRC2:TIDIG_COMP_CNT: 1
	.section	.text._ZL8moe_q6_KIN3c104HalfELb0EEvPKvS3_PT_PKiS7_S7_iiiiiii,"axG",@progbits,_ZL8moe_q6_KIN3c104HalfELb0EEvPKvS3_PT_PKiS7_S7_iiiiiii,comdat
	.globl	_ZL8moe_q6_KIN3c104HalfELb0EEvPKvS3_PT_PKiS7_S7_iiiiiii ; -- Begin function _ZL8moe_q6_KIN3c104HalfELb0EEvPKvS3_PT_PKiS7_S7_iiiiiii
	.p2align	8
	.type	_ZL8moe_q6_KIN3c104HalfELb0EEvPKvS3_PT_PKiS7_S7_iiiiiii,@function
_ZL8moe_q6_KIN3c104HalfELb0EEvPKvS3_PT_PKiS7_S7_iiiiiii: ; @_ZL8moe_q6_KIN3c104HalfELb0EEvPKvS3_PT_PKiS7_S7_iiiiiii
; %bb.0:
	s_load_b128 s[4:7], s[0:1], 0x18
	s_bfe_u32 s2, ttmp6, 0x40010
	s_bfe_u32 s8, ttmp6, 0x40004
	s_add_co_i32 s2, s2, 1
	s_delay_alu instid0(SALU_CYCLE_1)
	s_mul_i32 s3, ttmp7, s2
	s_getreg_b32 s2, hwreg(HW_REG_IB_STS2, 6, 4)
	s_add_co_i32 s8, s8, s3
	s_cmp_eq_u32 s2, 0
	s_cselect_b32 s3, ttmp7, s8
	s_wait_kmcnt 0x0
	s_load_b32 s12, s[6:7], s3 offset:0x0 scale_offset
	s_wait_kmcnt 0x0
	s_cmp_gt_u32 s12, 0xff
	s_cbranch_scc1 .LBB215_30
; %bb.1:
	s_load_b64 s[6:7], s[0:1], 0x28
	s_lshl_b32 s3, s3, 3
	s_wait_kmcnt 0x0
	s_load_b32 s6, s[6:7], 0x0
	s_wait_kmcnt 0x0
	s_cmp_gt_u32 s3, s6
	s_cbranch_scc1 .LBB215_30
; %bb.2:
	v_bfe_u32 v1, v0, 10, 10
	s_and_b32 s13, ttmp6, 15
	v_and_b32_e32 v23, 0x3ff, v0
	v_dual_mov_b32 v65, 0 :: v_dual_mov_b32 v107, 0
	s_delay_alu instid0(VALU_DEP_3)
	v_dual_mov_b32 v63, 0 :: v_dual_add_nc_u32 v2, s3, v1
	s_bfe_u32 s3, ttmp6, 0x4000c
	v_mov_b32_e32 v110, 0
	s_add_co_i32 s3, s3, 1
	global_load_b32 v17, v2, s[4:5] scale_offset
	s_clause 0x2
	s_load_b64 s[10:11], s[0:1], 0x30
	s_load_b64 s[8:9], s[0:1], 0x10
	s_load_b128 s[4:7], s[0:1], 0x3c
	s_mul_i32 s3, ttmp9, s3
	s_delay_alu instid0(SALU_CYCLE_1)
	s_add_co_i32 s13, s13, s3
	s_cmp_eq_u32 s2, 0
	s_cselect_b32 s2, ttmp9, s13
	s_mov_b32 s13, 0
	s_lshl_b32 s18, s2, 7
	s_wait_kmcnt 0x0
	s_cmp_lt_i32 s11, 0x100
	s_cbranch_scc1 .LBB215_21
; %bb.3:
	v_and_b32_e32 v2, 31, v0
	s_load_b128 s[0:3], s[0:1], 0x0
	s_mul_i32 s16, s12, s10
	v_dual_lshrrev_b32 v6, 1, v0 :: v_dual_bitop2_b32 v7, 7, v0 bitop3:0x40
	s_delay_alu instid0(VALU_DEP_2) | instskip(SKIP_4) | instid1(VALU_DEP_3)
	v_cmp_gt_u32_e32 vcc_lo, 16, v2
	v_dual_lshlrev_b32 v3, 1, v2 :: v_dual_mov_b32 v19, 0
	v_mul_u32_u24_e32 v8, 0x41, v1
	s_ashr_i32 s17, s16, 31
	v_and_or_b32 v6, v6, 8, v7
	v_dual_mov_b32 v110, v19 :: v_dual_add_nc_u32 v5, 0xe0, v3
	s_ashr_i32 s14, s11, 31
	s_ashr_i32 s15, s5, 31
	s_lshr_b32 s10, s14, 24
	s_delay_alu instid0(VALU_DEP_1)
	v_cndmask_b32_e32 v5, v5, v3, vcc_lo
	v_add_nc_u16 v4, v2, -16
	s_add_co_i32 s10, s11, s10
	s_lshr_b32 s12, s15, 27
	s_ashr_i32 s10, s10, 8
	v_and_b32_e32 v5, 0xfe, v5
	v_cndmask_b32_e32 v4, v4, v2, vcc_lo
	s_wait_kmcnt 0x0
	s_add_nc_u64 s[16:17], s[0:1], s[16:17]
	s_abs_i32 s1, s7
	v_dual_lshlrev_b32 v18, 2, v2 :: v_dual_sub_nc_u32 v3, v3, v5
	v_dual_mov_b32 v21, v19 :: v_dual_bitop2_b32 v5, 15, v0 bitop3:0x40
	v_lshlrev_b32_e32 v31, 5, v1
	s_cvt_f32_u32 s0, s1
	s_delay_alu instid0(VALU_DEP_2) | instskip(SKIP_4) | instid1(VALU_DEP_3)
	v_dual_lshlrev_b32 v2, 2, v3 :: v_dual_lshlrev_b32 v3, 2, v5
	v_dual_lshlrev_b32 v5, 2, v8 :: v_dual_lshlrev_b32 v20, 2, v6
	v_cmp_lt_u16_e32 vcc_lo, 7, v4
	s_sub_co_i32 s19, 0, s1
	v_bfe_u32 v6, v0, 2, 8
	v_add3_u32 v27, v2, v3, v5
	v_rcp_iflag_f32_e32 v3, s0
	v_dual_add_nc_u32 v2, v31, v23 :: v_dual_lshlrev_b32 v5, 3, v1
	s_add_co_i32 s5, s5, s12
	s_lshl_b32 s12, s10, 3
	v_cndmask_b32_e64 v25, 0, 2, vcc_lo
	s_delay_alu instid0(VALU_DEP_2) | instskip(NEXT) | instid1(TRANS32_DEP_1)
	v_lshrrev_b32_e32 v4, 3, v2
	v_readfirstlane_b32 s0, v3
	v_mul_i32_i24_e32 v22, s10, v1
	v_mad_i32_i24 v24, s10, v1, s12
	v_bfe_u32 v16, v0, 5, 5
	v_and_b32_e32 v3, 12, v4
	v_and_b32_e32 v2, 0x7f, v2
	s_mul_f32 s0, s0, 0x4f7ffffe
	v_bfe_u32 v59, v0, 3, 7
	s_ashr_i32 s5, s5, 5
	s_delay_alu instid0(VALU_DEP_2)
	v_dual_mov_b32 v29, v19 :: v_dual_lshlrev_b32 v4, 2, v2
	v_mul_i32_i24_e32 v26, s10, v2
	s_wait_loadcnt 0x0
	v_sub_nc_u32_e32 v2, 0, v17
	s_cvt_u32_f32 s0, s0
	v_add_nc_u32_e32 v33, 0x30c0, v27
	v_add3_u32 v49, v4, v3, 0x8e40
	v_dual_add_nc_u32 v3, v6, v5 :: v_dual_lshlrev_b32 v4, 2, v0
	s_mul_i32 s19, s19, s0
	v_max_i32_e32 v7, v17, v2
	s_mul_hi_u32 s19, s0, s19
	v_add_nc_u16 v2, v6, v5
	s_add_co_i32 s0, s0, s19
	v_bitop3_b32 v5, v3, 64, 0x7f bitop3:0x6c
	v_mul_hi_u32 v6, v7, s0
	v_and_b32_e32 v3, 0x7f, v3
	v_and_b32_e32 v28, 12, v4
	v_lshrrev_b16 v2, 1, v2
	v_dual_lshrrev_b32 v4, 1, v5 :: v_dual_lshlrev_b32 v10, 2, v23
	s_delay_alu instid0(VALU_DEP_4) | instskip(NEXT) | instid1(VALU_DEP_4)
	v_mul_i32_i24_e32 v30, s10, v3
	v_lshl_or_b32 v3, v3, 4, v28
	s_delay_alu instid0(VALU_DEP_4)
	v_and_b32_e32 v2, 60, v2
	v_lshl_or_b32 v8, v5, 4, v28
	v_mul_i32_i24_e32 v32, s10, v5
	v_mul_lo_u32 v9, v6, s1
	v_lshl_or_b32 v5, v1, 7, v18
	v_and_b32_e32 v4, 60, v4
	v_add3_u32 v51, v3, v2, 0x8200
	v_dual_mov_b32 v3, v19 :: v_dual_bitop2_b32 v2, 28, v10 bitop3:0x40
	s_delay_alu instid0(VALU_DEP_4) | instskip(NEXT) | instid1(VALU_DEP_4)
	v_add_nc_u32_e32 v57, 0x8a40, v5
	v_add3_u32 v55, v8, v4, 0x8200
	v_dual_lshlrev_b32 v1, 4, v1 :: v_dual_add_nc_u32 v0, 32, v23
	s_mul_i32 s14, s10, s18
	v_dual_sub_nc_u32 v5, v7, v9 :: v_dual_add_nc_u32 v7, 1, v6
	v_dual_add_nc_u32 v11, 64, v23 :: v_dual_bitop2_b32 v9, s7, v17 bitop3:0x14
	v_cmp_gt_u32_e64 s0, 4, v23
	s_delay_alu instid0(VALU_DEP_3)
	v_subrev_nc_u32_e32 v8, s1, v5
	v_cmp_le_u32_e32 vcc_lo, s1, v5
	v_add_nc_u32_e32 v4, 0x9050, v10
	v_ashrrev_i32_e32 v9, 31, v9
	s_movk_i32 s19, 0x104
	s_movk_i32 s20, 0x2080
	v_dual_cndmask_b32 v6, v6, v7 :: v_dual_cndmask_b32 v5, v5, v8
	v_lshlrev_b32_e32 v7, 2, v16
	v_lshrrev_b32_e32 v61, 3, v0
	s_delay_alu instid0(VALU_DEP_3) | instskip(NEXT) | instid1(VALU_DEP_4)
	v_dual_add_nc_u32 v34, s12, v24 :: v_dual_add_nc_u32 v8, 1, v6
	v_cmp_le_u32_e32 vcc_lo, s1, v5
	v_add_nc_u32_e32 v12, 0x60, v23
	v_add3_u32 v106, v7, v10, 0x8e40
	s_delay_alu instid0(VALU_DEP_4) | instskip(SKIP_1) | instid1(VALU_DEP_4)
	v_dual_add_nc_u32 v36, s12, v34 :: v_dual_bitop2_b32 v7, 60, v61 bitop3:0x40
	v_dual_cndmask_b32 v5, v6, v8 :: v_dual_lshrrev_b32 v6, 3, v11
	v_lshrrev_b32_e32 v8, 3, v12
	s_delay_alu instid0(VALU_DEP_3) | instskip(NEXT) | instid1(VALU_DEP_3)
	v_add_nc_u32_e32 v38, s12, v36
	v_dual_lshlrev_b32 v0, 2, v0 :: v_dual_bitop2_b32 v5, v5, v9 bitop3:0x14
	s_delay_alu instid0(VALU_DEP_4) | instskip(SKIP_1) | instid1(VALU_DEP_4)
	v_and_b32_e32 v13, 60, v6
	v_add3_u32 v108, v10, v7, 0x8e40
	v_dual_add_nc_u32 v40, s12, v38 :: v_dual_bitop2_b32 v7, 60, v8 bitop3:0x40
	s_delay_alu instid0(VALU_DEP_4) | instskip(SKIP_3) | instid1(VALU_DEP_2)
	v_dual_sub_nc_u32 v5, v5, v9 :: v_dual_lshlrev_b32 v9, 2, v11
	s_movk_i32 s21, 0x4100
	v_add_nc_u64_e32 v[52:53], s[2:3], v[2:3]
	s_ashr_i32 s15, s14, 31
	v_mul_lo_u32 v46, v5, s5
	v_add_nc_u32_e32 v42, s12, v40
	v_cmp_gt_i32_e64 s1, s4, v5
	v_add_nc_u32_e32 v35, 0x5140, v27
	v_add_nc_u32_e32 v37, 0x5960, v27
	;; [unrolled: 1-line block ×7, first 2 shown]
	v_dual_lshlrev_b32 v117, 2, v59 :: v_dual_ashrrev_i32 v47, 31, v46
	v_dual_lshlrev_b32 v11, 2, v12 :: v_dual_add_nc_u32 v44, s12, v42
	v_add3_u32 v109, v10, v13, 0x8e40
	v_lshlrev_b32_e32 v119, 2, v61
	v_add3_u32 v111, v10, v7, 0x8e40
	v_mul_u32_u24_e32 v112, 0x104, v23
	v_add_nc_u32_e32 v48, s12, v44
	v_mad_u32_u24 v113, 0x104, v23, s20
	v_lshlrev_b32_e32 v122, 2, v9
	v_mad_u32_u24 v114, 0x104, v23, s21
	v_mad_u32_u24 v115, v23, s19, 0x6180
	v_dual_add_nc_u32 v50, s12, v48 :: v_dual_lshlrev_b32 v118, 2, v10
	v_dual_lshlrev_b32 v120, 2, v0 :: v_dual_lshlrev_b32 v121, 2, v6
	s_delay_alu instid0(VALU_DEP_2) | instskip(SKIP_2) | instid1(VALU_DEP_3)
	v_dual_lshlrev_b32 v123, 2, v8 :: v_dual_add_nc_u32 v54, s12, v50
	v_add_nc_u32_e32 v125, 0x800, v27
	v_dual_mov_b32 v63, v19 :: v_dual_add_nc_u32 v126, 0x1000, v27
	v_dual_mov_b32 v107, v19 :: v_dual_add_nc_u32 v56, s12, v54
	v_lshlrev_b32_e32 v124, 2, v11
	v_add_nc_u32_e32 v127, 0x1800, v27
	v_dual_mov_b32 v65, v19 :: v_dual_add_nc_u32 v128, 0x2000, v27
	s_delay_alu instid0(VALU_DEP_4)
	v_add_nc_u32_e32 v58, s12, v56
	v_add_nc_u32_e32 v129, 0x2800, v27
	;; [unrolled: 1-line block ×6, first 2 shown]
	s_mul_u64 s[14:15], s[14:15], 0xd2
	s_and_b32 s19, s0, s1
	s_add_nc_u64 s[14:15], s[16:17], s[14:15]
	s_delay_alu instid0(VALU_DEP_1) | instskip(NEXT) | instid1(VALU_DEP_1)
	v_add_nc_u32_e32 v62, s12, v60
	v_add_nc_u32_e32 v64, s12, v62
	s_mov_b32 s12, s13
	s_branch .LBB215_5
.LBB215_4:                              ;   in Loop: Header=BB215_5 Depth=1
	s_add_co_i32 s12, s12, 1
	s_delay_alu instid0(SALU_CYCLE_1)
	s_cmp_eq_u32 s12, s10
	s_cbranch_scc1 .LBB215_21
.LBB215_5:                              ; =>This Loop Header: Depth=1
                                        ;     Child Loop BB215_11 Depth 2
                                        ;     Child Loop BB215_19 Depth 2
	s_mul_u64 s[16:17], s[12:13], 0xd2
	s_delay_alu instid0(SALU_CYCLE_1) | instskip(NEXT) | instid1(SALU_CYCLE_1)
	s_add_nc_u64 s[16:17], s[14:15], s[16:17]
	v_mad_nc_u64_u32 v[0:1], 0xd2, v16, s[16:17]
	s_delay_alu instid0(VALU_DEP_1)
	v_mad_nc_u64_u32 v[2:3], 0xd2, v22, v[0:1]
	v_mad_nc_u64_u32 v[4:5], 0xd2, v24, v[0:1]
	;; [unrolled: 1-line block ×9, first 2 shown]
	v_add_nc_u64_e32 v[70:71], v[2:3], v[20:21]
	v_add_nc_u64_e32 v[72:73], v[4:5], v[20:21]
	;; [unrolled: 1-line block ×8, first 2 shown]
	s_clause 0x7
	global_load_b32 v78, v[70:71], off offset:128
	global_load_b32 v79, v[72:73], off offset:128
	global_load_b32 v80, v[74:75], off
	global_load_b32 v81, v[6:7], off offset:128
	global_load_b32 v82, v[76:77], off
	;; [unrolled: 2-line block ×3, first 2 shown]
	global_load_b32 v85, v[2:3], off
	s_wait_xcnt 0x0
	v_mad_nc_u64_u32 v[2:3], 0xd2, v50, v[0:1]
	v_add_nc_u64_e32 v[4:5], v[10:11], v[18:19]
	v_add_nc_u64_e32 v[6:7], v[10:11], v[20:21]
	;; [unrolled: 1-line block ×8, first 2 shown]
	s_clause 0x1
	global_load_b32 v74, v[4:5], off
	global_load_b32 v75, v[6:7], off offset:128
	s_wait_xcnt 0x0
	v_add_nc_u64_e32 v[6:7], v[68:69], v[20:21]
	v_add_nc_u64_e32 v[4:5], v[68:69], v[18:19]
	s_clause 0x3
	global_load_b32 v76, v[10:11], off offset:128
	global_load_b32 v77, v[8:9], off
	global_load_b32 v86, v[12:13], off
	global_load_b32 v87, v[14:15], off offset:128
	s_wait_xcnt 0x2
	v_add_nc_u64_e32 v[8:9], v[2:3], v[18:19]
	v_add_nc_u64_e32 v[2:3], v[2:3], v[20:21]
	s_clause 0x5
	global_load_b32 v88, v[66:67], off offset:128
	global_load_b32 v89, v[70:71], off
	global_load_b32 v90, v[6:7], off offset:128
	global_load_b32 v91, v[4:5], off
	;; [unrolled: 2-line block ×3, first 2 shown]
	s_wait_xcnt 0x1
	v_mad_nc_u64_u32 v[2:3], 0xd2, v30, s[16:17]
	v_mad_nc_u64_u32 v[4:5], 0xd2, v32, s[16:17]
	;; [unrolled: 1-line block ×3, first 2 shown]
	s_wait_xcnt 0x0
	v_mad_nc_u64_u32 v[8:9], 0xd2, v54, v[0:1]
	v_mad_nc_u64_u32 v[10:11], 0xd2, v56, v[0:1]
	;; [unrolled: 1-line block ×6, first 2 shown]
	s_lshl_b32 s16, s12, 8
	v_add_nc_u64_e32 v[2:3], v[2:3], v[28:29]
	v_add_nc_u64_e32 v[4:5], v[4:5], v[28:29]
	s_clause 0x2
	global_load_u16 v94, v[6:7], off offset:208
	global_load_b32 v95, v[2:3], off offset:192
	global_load_b32 v96, v[4:5], off offset:192
	s_wait_xcnt 0x1
	v_add_nc_u64_e32 v[2:3], v[8:9], v[18:19]
	s_wait_xcnt 0x0
	v_add_nc_u64_e32 v[4:5], v[8:9], v[20:21]
	v_add_nc_u64_e32 v[6:7], v[10:11], v[18:19]
	;; [unrolled: 1-line block ×11, first 2 shown]
	s_clause 0xb
	global_load_b32 v97, v[2:3], off
	global_load_b32 v98, v[4:5], off offset:128
	global_load_b32 v99, v[6:7], off
	global_load_b32 v100, v[8:9], off offset:128
	;; [unrolled: 2-line block ×6, first 2 shown]
	s_cmp_lt_i32 s16, s11
	s_wait_loadcnt 0x21
	s_wait_xcnt 0x0
	v_dual_ashrrev_i32 v0, v25, v78 :: v_dual_ashrrev_i32 v3, v25, v79
	s_wait_loadcnt 0x1f
	v_dual_lshrrev_b32 v8, 4, v80 :: v_dual_ashrrev_i32 v6, v25, v81
	s_wait_loadcnt 0x1d
	v_dual_lshrrev_b32 v11, 4, v82 :: v_dual_ashrrev_i32 v9, v25, v83
	s_wait_loadcnt 0x1b
	v_dual_lshrrev_b32 v5, 4, v84 :: v_dual_lshrrev_b32 v2, 4, v85
	v_and_b32_e32 v1, 0xf0f0f0f, v85
	v_and_b32_e32 v7, 0xf0f0f0f, v80
	v_dual_lshlrev_b32 v80, 4, v0 :: v_dual_lshlrev_b32 v81, 4, v3
	s_delay_alu instid0(VALU_DEP_4)
	v_and_b32_e32 v2, 0xf0f0f0f, v2
	v_and_b32_e32 v4, 0xf0f0f0f, v84
	;; [unrolled: 1-line block ×4, first 2 shown]
	s_wait_loadcnt 0x19
	v_dual_lshrrev_b32 v14, 4, v74 :: v_dual_ashrrev_i32 v12, v25, v75
	s_wait_loadcnt 0x17
	v_dual_ashrrev_i32 v15, v25, v76 :: v_dual_lshrrev_b32 v67, 4, v77
	s_wait_loadcnt 0x15
	v_dual_ashrrev_i32 v68, v25, v87 :: v_dual_lshrrev_b32 v70, 4, v86
	;; [unrolled: 2-line block ×3, first 2 shown]
	v_and_b32_e32 v13, 0xf0f0f0f, v74
	s_wait_loadcnt 0x11
	v_dual_ashrrev_i32 v74, v25, v90 :: v_dual_lshrrev_b32 v76, 4, v91
	v_dual_lshlrev_b32 v82, 4, v6 :: v_dual_lshlrev_b32 v83, 4, v9
	v_and_b32_e32 v8, 0xf0f0f0f, v8
	v_and_b32_e32 v11, 0xf0f0f0f, v11
	v_dual_lshlrev_b32 v84, 4, v12 :: v_dual_lshlrev_b32 v85, 4, v15
	v_and_b32_e32 v14, 0xf0f0f0f, v14
	v_and_b32_e32 v66, 0xf0f0f0f, v77
	;; [unrolled: 1-line block ×5, first 2 shown]
	v_dual_lshlrev_b32 v86, 4, v68 :: v_dual_lshlrev_b32 v87, 4, v71
	v_and_b32_e32 v70, 0xf0f0f0f, v70
	v_and_b32_e32 v73, 0xf0f0f0f, v73
	v_and_or_b32 v1, 0x30303030, v80, v1
	v_and_or_b32 v0, 0x30303030, v0, v2
	v_and_b32_e32 v75, 0xf0f0f0f, v91
	s_wait_loadcnt 0xf
	v_dual_ashrrev_i32 v77, v25, v92 :: v_dual_lshrrev_b32 v79, 4, v93
	v_lshlrev_b32_e32 v88, 4, v74
	v_and_b32_e32 v76, 0xf0f0f0f, v76
	v_and_or_b32 v2, 0x30303030, v81, v4
	v_and_or_b32 v3, 0x30303030, v3, v5
	;; [unrolled: 1-line block ×14, first 2 shown]
	v_lshlrev_b16 v68, 8, v1
	v_dual_lshrrev_b32 v69, 16, v1 :: v_dual_lshrrev_b32 v71, 16, v0
	v_lshlrev_b16 v70, 8, v0
	v_lshlrev_b32_e32 v89, 4, v77
	v_and_or_b32 v66, 0x30303030, v88, v75
	v_and_or_b32 v67, 0x30303030, v74, v76
	v_lshlrev_b16 v72, 8, v2
	v_dual_lshrrev_b32 v73, 16, v2 :: v_dual_lshrrev_b32 v75, 16, v3
	v_lshlrev_b16 v74, 8, v3
	v_lshlrev_b16 v76, 8, v4
	v_dual_lshrrev_b32 v80, 16, v4 :: v_dual_lshrrev_b32 v82, 16, v5
	v_lshlrev_b16 v81, 8, v5
	;; [unrolled: 3-line block ×4, first 2 shown]
	v_and_b32_e32 v78, 0xf0f0f0f, v93
	v_lshlrev_b16 v92, 8, v10
	v_dual_lshrrev_b32 v93, 16, v10 :: v_dual_lshrrev_b32 v137, 16, v11
	v_lshlrev_b16 v136, 8, v11
	v_lshlrev_b16 v138, 8, v12
	v_dual_lshrrev_b32 v139, 16, v12 :: v_dual_lshrrev_b32 v141, 16, v13
	v_lshlrev_b16 v140, 8, v13
	v_lshlrev_b16 v142, 8, v14
	v_dual_lshrrev_b32 v143, 16, v14 :: v_dual_lshrrev_b32 v145, 16, v15
	v_lshlrev_b16 v144, 8, v15
	v_add_nc_u16 v68, 0xe000, v68
	v_lshlrev_b16 v150, 8, v69
	v_add_nc_u16 v70, 0xe000, v70
	v_lshlrev_b16 v151, 8, v71
	;; [unrolled: 2-line block ×16, first 2 shown]
	v_lshrrev_b16 v68, 8, v68
	v_add_nc_u16 v150, 0xe000, v150
	v_lshrrev_b16 v70, 8, v70
	v_add_nc_u16 v151, 0xe000, v151
	;; [unrolled: 2-line block ×16, first 2 shown]
	v_bitop3_b16 v1, v1, v68, 0x3f00 bitop3:0xec
	v_lshrrev_b16 v68, 8, v150
	v_bitop3_b16 v0, v0, v70, 0x3f00 bitop3:0xec
	v_lshrrev_b16 v70, 8, v151
	;; [unrolled: 2-line block ×10, first 2 shown]
	v_lshlrev_b16 v146, 8, v66
	v_dual_lshrrev_b32 v147, 16, v66 :: v_dual_lshrrev_b32 v149, 16, v67
	v_lshlrev_b16 v148, 8, v67
	v_bitop3_b16 v10, v10, v92, 0x3f00 bitop3:0xec
	v_lshrrev_b16 v92, 8, v160
	v_bitop3_b16 v11, v11, v136, 0x3f00 bitop3:0xec
	v_lshrrev_b16 v136, 8, v161
	;; [unrolled: 2-line block ×6, first 2 shown]
	v_bitop3_b16 v68, v69, v68, 0x3f00 bitop3:0xec
	v_bitop3_b16 v69, v71, v70, 0x3f00 bitop3:0xec
	;; [unrolled: 1-line block ×10, first 2 shown]
	v_add_nc_u16 v146, 0xe000, v146
	v_lshlrev_b16 v166, 8, v147
	v_add_nc_u16 v148, 0xe000, v148
	v_lshlrev_b16 v167, 8, v149
	v_add_nc_u16 v1, 0xe000, v1
	v_add_nc_u16 v0, 0xe000, v0
	v_bitop3_b16 v81, v93, v92, 0x3f00 bitop3:0xec
	v_bitop3_b16 v82, v137, v136, 0x3f00 bitop3:0xec
	;; [unrolled: 1-line block ×6, first 2 shown]
	v_add_nc_u16 v68, 0xe000, v68
	v_add_nc_u16 v69, 0xe000, v69
	;; [unrolled: 1-line block ×18, first 2 shown]
	v_lshrrev_b16 v146, 8, v146
	v_add_nc_u16 v166, 0xe000, v166
	v_lshrrev_b16 v148, 8, v148
	v_add_nc_u16 v167, 0xe000, v167
	v_add_nc_u16 v10, 0xe000, v10
	;; [unrolled: 1-line block ×7, first 2 shown]
	v_and_b32_e32 v1, 0xffff, v1
	v_and_b32_e32 v0, 0xffff, v0
	v_add_nc_u16 v81, 0xe000, v81
	v_add_nc_u16 v82, 0xe000, v82
	;; [unrolled: 1-line block ×6, first 2 shown]
	v_dual_lshlrev_b32 v68, 16, v68 :: v_dual_lshlrev_b32 v69, 16, v69
	v_and_b32_e32 v2, 0xffff, v2
	v_and_b32_e32 v3, 0xffff, v3
	v_dual_lshlrev_b32 v70, 16, v70 :: v_dual_lshlrev_b32 v71, 16, v71
	v_and_b32_e32 v4, 0xffff, v4
	v_and_b32_e32 v5, 0xffff, v5
	;; [unrolled: 3-line block ×4, first 2 shown]
	v_dual_lshlrev_b32 v76, 16, v76 :: v_dual_lshlrev_b32 v81, 16, v81
	v_dual_lshlrev_b32 v80, 16, v80 :: v_dual_lshlrev_b32 v82, 16, v82
	v_bitop3_b16 v66, v66, v146, 0x3f00 bitop3:0xec
	v_lshrrev_b16 v146, 8, v166
	v_bitop3_b16 v67, v67, v148, 0x3f00 bitop3:0xec
	v_lshrrev_b16 v148, 8, v167
	v_and_b32_e32 v10, 0xffff, v10
	v_and_b32_e32 v11, 0xffff, v11
	v_and_b32_e32 v12, 0xffff, v12
	v_and_b32_e32 v13, 0xffff, v13
	v_and_b32_e32 v14, 0xffff, v14
	v_and_b32_e32 v15, 0xffff, v15
	v_dual_lshlrev_b32 v83, 16, v83 :: v_dual_lshlrev_b32 v84, 16, v84
	v_dual_lshlrev_b32 v85, 16, v85 :: v_dual_lshlrev_b32 v86, 16, v86
	v_or_b32_e32 v1, v1, v68
	v_or_b32_e32 v0, v0, v69
	;; [unrolled: 1-line block ×10, first 2 shown]
	v_bitop3_b16 v87, v147, v146, 0x3f00 bitop3:0xec
	v_bitop3_b16 v88, v149, v148, 0x3f00 bitop3:0xec
	v_or_b32_e32 v10, v10, v81
	v_or_b32_e32 v11, v11, v82
	;; [unrolled: 1-line block ×6, first 2 shown]
	ds_store_2addr_b32 v27, v1, v0 offset1:16
	ds_store_2addr_b32 v125, v2, v3 offset0:8 offset1:24
	ds_store_2addr_b32 v126, v4, v5 offset0:16 offset1:32
	;; [unrolled: 1-line block ×5, first 2 shown]
	ds_store_2addr_b32 v33, v12, v13 offset1:16
	ds_store_2addr_b32 v130, v14, v15 offset0:8 offset1:24
	v_and_or_b32 v4, 0x30303030, v89, v78
	v_add_nc_u16 v66, 0xe000, v66
	v_add_nc_u16 v0, 0xe000, v87
	;; [unrolled: 1-line block ×3, first 2 shown]
	v_and_b32_e32 v3, 0xf0f0f0f, v79
	v_add_nc_u16 v5, 0xe000, v88
	v_lshlrev_b16 v6, 8, v4
	v_and_b32_e32 v1, 0xffff, v66
	v_lshlrev_b32_e32 v0, 16, v0
	v_and_b32_e32 v2, 0xffff, v2
	v_and_or_b32 v3, 0x30303030, v77, v3
	v_lshlrev_b32_e32 v5, 16, v5
	v_add_nc_u16 v6, 0xe000, v6
	v_lshrrev_b32_e32 v7, 16, v4
	s_delay_alu instid0(VALU_DEP_4) | instskip(NEXT) | instid1(VALU_DEP_4)
	v_dual_lshrrev_b32 v1, 16, v3 :: v_dual_bitop2_b32 v0, v1, v0 bitop3:0x54
	v_or_b32_e32 v2, v2, v5
	v_lshlrev_b16 v8, 8, v3
	v_lshrrev_b16 v6, 8, v6
	v_lshlrev_b16 v5, 8, v7
	v_lshlrev_b16 v9, 8, v1
	ds_store_2addr_b32 v131, v0, v2 offset0:16 offset1:32
	v_add_nc_u16 v2, 0xe000, v8
	v_bitop3_b16 v4, v4, v6, 0x3f00 bitop3:0xec
	s_wait_loadcnt 0xa
	v_ashrrev_i32_e32 v6, v25, v98
	v_add_nc_u16 v0, 0xe000, v5
	v_add_nc_u16 v5, 0xe000, v9
	v_lshrrev_b16 v2, 8, v2
	v_and_b32_e32 v8, 0xf0f0f0f, v97
	v_lshlrev_b32_e32 v9, 4, v6
	v_lshrrev_b16 v0, 8, v0
	v_lshrrev_b16 v5, 8, v5
	v_bitop3_b16 v2, v3, v2, 0x3f00 bitop3:0xec
	v_add_nc_u16 v3, 0xe000, v4
	v_and_or_b32 v4, 0x30303030, v9, v8
	v_bitop3_b16 v0, v7, v0, 0x3f00 bitop3:0xec
	v_bitop3_b16 v1, v1, v5, 0x3f00 bitop3:0xec
	v_lshrrev_b32_e32 v5, 4, v97
	v_add_nc_u16 v2, 0xe000, v2
	v_lshrrev_b32_e32 v7, 16, v4
	v_add_nc_u16 v0, 0xe000, v0
	v_add_nc_u16 v1, 0xe000, v1
	v_and_b32_e32 v5, 0xf0f0f0f, v5
	v_lshlrev_b16 v8, 8, v4
	v_lshlrev_b16 v9, 8, v7
	v_and_b32_e32 v3, 0xffff, v3
	v_lshlrev_b32_e32 v0, 16, v0
	v_and_b32_e32 v2, 0xffff, v2
	v_lshlrev_b32_e32 v1, 16, v1
	v_and_or_b32 v5, 0x30303030, v6, v5
	v_add_nc_u16 v6, 0xe000, v8
	v_add_nc_u16 v8, 0xe000, v9
	v_or_b32_e32 v0, v3, v0
	v_or_b32_e32 v1, v2, v1
	v_lshrrev_b32_e32 v2, 16, v5
	v_lshrrev_b16 v3, 8, v6
	v_lshrrev_b16 v6, 8, v8
	v_lshlrev_b16 v8, 8, v5
	ds_store_2addr_b32 v132, v0, v1 offset0:24 offset1:40
	v_lshlrev_b16 v0, 8, v2
	v_bitop3_b16 v1, v4, v3, 0x3f00 bitop3:0xec
	v_bitop3_b16 v3, v7, v6, 0x3f00 bitop3:0xec
	s_wait_loadcnt 0x8
	v_ashrrev_i32_e32 v6, v25, v100
	v_add_nc_u16 v4, 0xe000, v8
	v_add_nc_u16 v0, 0xe000, v0
	;; [unrolled: 1-line block ×4, first 2 shown]
	v_and_b32_e32 v7, 0xf0f0f0f, v99
	v_lshlrev_b32_e32 v8, 4, v6
	v_lshrrev_b16 v4, 8, v4
	v_lshrrev_b16 v0, 8, v0
	v_and_b32_e32 v1, 0xffff, v1
	v_lshlrev_b32_e32 v3, 16, v3
	v_and_or_b32 v7, 0x30303030, v8, v7
	v_lshrrev_b32_e32 v8, 4, v99
	v_bitop3_b16 v4, v5, v4, 0x3f00 bitop3:0xec
	v_bitop3_b16 v0, v2, v0, 0x3f00 bitop3:0xec
	v_or_b32_e32 v1, v1, v3
	v_lshrrev_b32_e32 v2, 16, v7
	v_and_b32_e32 v3, 0xf0f0f0f, v8
	v_add_nc_u16 v4, 0xe000, v4
	v_add_nc_u16 v0, 0xe000, v0
	v_lshlrev_b16 v5, 8, v7
	v_lshlrev_b16 v8, 8, v2
	v_and_or_b32 v3, 0x30303030, v6, v3
	v_and_b32_e32 v4, 0xffff, v4
	v_lshlrev_b32_e32 v0, 16, v0
	v_add_nc_u16 v5, 0xe000, v5
	v_add_nc_u16 v6, 0xe000, v8
	v_lshlrev_b16 v8, 8, v3
	s_delay_alu instid0(VALU_DEP_4) | instskip(NEXT) | instid1(VALU_DEP_4)
	v_dual_lshrrev_b32 v9, 16, v3 :: v_dual_bitop2_b32 v0, v4, v0 bitop3:0x54
	v_lshrrev_b16 v4, 8, v5
	s_delay_alu instid0(VALU_DEP_4) | instskip(NEXT) | instid1(VALU_DEP_4)
	v_lshrrev_b16 v5, 8, v6
	v_add_nc_u16 v6, 0xe000, v8
	s_delay_alu instid0(VALU_DEP_4)
	v_lshlrev_b16 v8, 8, v9
	ds_store_2addr_b32 v35, v1, v0 offset1:16
	v_bitop3_b16 v0, v7, v4, 0x3f00 bitop3:0xec
	v_bitop3_b16 v1, v2, v5, 0x3f00 bitop3:0xec
	v_lshrrev_b16 v2, 8, v6
	v_add_nc_u16 v4, 0xe000, v8
	s_wait_loadcnt 0x6
	v_ashrrev_i32_e32 v5, v25, v102
	v_add_nc_u16 v0, 0xe000, v0
	v_add_nc_u16 v1, 0xe000, v1
	v_and_b32_e32 v6, 0xf0f0f0f, v101
	v_lshrrev_b16 v4, 8, v4
	v_lshrrev_b32_e32 v7, 4, v101
	v_lshlrev_b32_e32 v8, 4, v5
	v_bitop3_b16 v2, v3, v2, 0x3f00 bitop3:0xec
	v_and_b32_e32 v0, 0xffff, v0
	v_bitop3_b16 v3, v9, v4, 0x3f00 bitop3:0xec
	v_and_b32_e32 v7, 0xf0f0f0f, v7
	v_and_or_b32 v6, 0x30303030, v8, v6
	v_add_nc_u16 v2, 0xe000, v2
	s_wait_loadcnt 0x1
	v_lshrrev_b32_e32 v11, 4, v134
	v_add_nc_u16 v3, 0xe000, v3
	v_dual_lshlrev_b32 v1, 16, v1 :: v_dual_lshrrev_b32 v4, 16, v6
	v_and_b32_e32 v2, 0xffff, v2
	v_and_b32_e32 v12, 0xf0f0f0f, v134
	s_delay_alu instid0(VALU_DEP_3) | instskip(SKIP_3) | instid1(VALU_DEP_4)
	v_dual_lshlrev_b32 v3, 16, v3 :: v_dual_bitop2_b32 v0, v0, v1 bitop3:0x54
	v_and_or_b32 v1, 0x30303030, v5, v7
	v_lshlrev_b16 v5, 8, v6
	v_lshlrev_b16 v8, 8, v4
	v_or_b32_e32 v2, v2, v3
	v_and_b32_e32 v11, 0xf0f0f0f, v11
	v_lshrrev_b32_e32 v7, 16, v1
	v_lshlrev_b16 v9, 8, v1
	v_add_nc_u16 v5, 0xe000, v5
	v_add_nc_u16 v8, 0xe000, v8
	s_delay_alu instid0(VALU_DEP_4) | instskip(NEXT) | instid1(VALU_DEP_4)
	v_lshlrev_b16 v10, 8, v7
	v_add_nc_u16 v9, 0xe000, v9
	s_delay_alu instid0(VALU_DEP_4) | instskip(NEXT) | instid1(VALU_DEP_4)
	v_lshrrev_b16 v5, 8, v5
	v_lshrrev_b16 v8, 8, v8
	s_delay_alu instid0(VALU_DEP_4) | instskip(NEXT) | instid1(VALU_DEP_4)
	v_add_nc_u16 v10, 0xe000, v10
	v_lshrrev_b16 v3, 8, v9
	s_delay_alu instid0(VALU_DEP_4) | instskip(NEXT) | instid1(VALU_DEP_4)
	v_bitop3_b16 v5, v6, v5, 0x3f00 bitop3:0xec
	v_bitop3_b16 v4, v4, v8, 0x3f00 bitop3:0xec
	v_ashrrev_i32_e32 v8, v25, v104
	v_lshrrev_b16 v6, 8, v10
	v_bitop3_b16 v1, v1, v3, 0x3f00 bitop3:0xec
	v_add_nc_u16 v3, 0xe000, v5
	v_add_nc_u16 v4, 0xe000, v4
	v_lshrrev_b32_e32 v9, 4, v103
	v_bitop3_b16 v5, v7, v6, 0x3f00 bitop3:0xec
	v_and_b32_e32 v6, 0xf0f0f0f, v103
	v_lshlrev_b32_e32 v7, 4, v8
	v_and_b32_e32 v3, 0xffff, v3
	v_add_nc_u16 v1, 0xe000, v1
	v_add_nc_u16 v5, 0xe000, v5
	ds_store_2addr_b32 v37, v0, v2 offset1:16
	v_and_or_b32 v6, 0x30303030, v7, v6
	v_lshlrev_b32_e32 v4, 16, v4
	v_and_b32_e32 v7, 0xf0f0f0f, v9
	v_and_b32_e32 v1, 0xffff, v1
	s_delay_alu instid0(VALU_DEP_4) | instskip(NEXT) | instid1(VALU_DEP_4)
	v_dual_lshrrev_b32 v9, 16, v6 :: v_dual_lshlrev_b32 v5, 16, v5
	v_or_b32_e32 v3, v3, v4
	s_delay_alu instid0(VALU_DEP_4) | instskip(SKIP_1) | instid1(VALU_DEP_4)
	v_and_or_b32 v4, 0x30303030, v8, v7
	v_lshlrev_b16 v10, 8, v6
	v_lshlrev_b16 v7, 8, v9
	v_or_b32_e32 v1, v1, v5
	s_delay_alu instid0(VALU_DEP_4) | instskip(NEXT) | instid1(VALU_DEP_4)
	v_lshlrev_b16 v0, 8, v4
	v_add_nc_u16 v5, 0xe000, v10
	s_delay_alu instid0(VALU_DEP_4)
	v_add_nc_u16 v2, 0xe000, v7
	v_lshrrev_b32_e32 v7, 16, v4
	ds_store_2addr_b32 v39, v3, v1 offset1:16
	v_add_nc_u16 v0, 0xe000, v0
	v_lshrrev_b16 v5, 8, v5
	v_lshrrev_b16 v1, 8, v2
	v_lshlrev_b16 v2, 8, v7
	s_wait_loadcnt 0x0
	v_ashrrev_i32_e32 v10, v25, v135
	v_lshrrev_b16 v0, 8, v0
	v_bitop3_b16 v3, v6, v5, 0x3f00 bitop3:0xec
	v_ashrrev_i32_e32 v5, v25, v133
	v_add_nc_u16 v2, 0xe000, v2
	v_bitop3_b16 v1, v9, v1, 0x3f00 bitop3:0xec
	v_and_b32_e32 v6, 0xf0f0f0f, v105
	v_bitop3_b16 v0, v4, v0, 0x3f00 bitop3:0xec
	v_lshlrev_b32_e32 v8, 4, v5
	v_lshrrev_b16 v2, 8, v2
	v_add_nc_u16 v3, 0xe000, v3
	v_add_nc_u16 v1, 0xe000, v1
	v_lshlrev_b32_e32 v13, 4, v10
	v_and_or_b32 v4, 0x30303030, v8, v6
	v_bitop3_b16 v2, v7, v2, 0x3f00 bitop3:0xec
	v_and_b32_e32 v3, 0xffff, v3
	v_lshlrev_b32_e32 v1, 16, v1
	v_add_nc_u16 v0, 0xe000, v0
	v_lshlrev_b16 v7, 8, v4
	v_add_nc_u16 v2, 0xe000, v2
	v_dual_lshrrev_b32 v6, 4, v105 :: v_dual_lshrrev_b32 v8, 16, v4
	v_or_b32_e32 v1, v3, v1
	s_delay_alu instid0(VALU_DEP_4) | instskip(NEXT) | instid1(VALU_DEP_4)
	v_add_nc_u16 v3, 0xe000, v7
	v_lshlrev_b32_e32 v2, 16, v2
	s_delay_alu instid0(VALU_DEP_4) | instskip(SKIP_1) | instid1(VALU_DEP_4)
	v_and_b32_e32 v6, 0xf0f0f0f, v6
	v_and_b32_e32 v0, 0xffff, v0
	v_lshrrev_b16 v3, 8, v3
	s_delay_alu instid0(VALU_DEP_3) | instskip(SKIP_1) | instid1(VALU_DEP_4)
	v_and_or_b32 v5, 0x30303030, v5, v6
	v_lshlrev_b16 v6, 8, v8
	v_or_b32_e32 v0, v0, v2
	s_delay_alu instid0(VALU_DEP_4) | instskip(NEXT) | instid1(VALU_DEP_4)
	v_bitop3_b16 v3, v4, v3, 0x3f00 bitop3:0xec
	v_lshrrev_b32_e32 v7, 16, v5
	v_lshlrev_b16 v9, 8, v5
	v_add_nc_u16 v6, 0xe000, v6
	s_delay_alu instid0(VALU_DEP_4)
	v_add_nc_u16 v3, 0xe000, v3
	ds_store_2addr_b32 v41, v1, v0 offset1:16
	v_lshlrev_b16 v4, 8, v7
	v_add_nc_u16 v9, 0xe000, v9
	v_lshrrev_b16 v6, 8, v6
	v_and_b32_e32 v3, 0xffff, v3
	v_cvt_f32_f16_e32 v0, v94
	v_add_nc_u16 v4, 0xe000, v4
	v_lshrrev_b16 v9, 8, v9
	v_bitop3_b16 v6, v8, v6, 0x3f00 bitop3:0xec
	v_and_or_b32 v8, 0x30303030, v13, v12
	s_delay_alu instid0(VALU_DEP_4) | instskip(NEXT) | instid1(VALU_DEP_4)
	v_lshrrev_b16 v4, 8, v4
	v_bitop3_b16 v5, v5, v9, 0x3f00 bitop3:0xec
	v_and_or_b32 v9, 0x30303030, v10, v11
	v_add_nc_u16 v6, 0xe000, v6
	v_lshlrev_b16 v11, 8, v8
	v_bitop3_b16 v4, v7, v4, 0x3f00 bitop3:0xec
	s_delay_alu instid0(VALU_DEP_4) | instskip(NEXT) | instid1(VALU_DEP_4)
	v_dual_lshrrev_b32 v7, 16, v8 :: v_dual_lshrrev_b32 v10, 16, v9
	v_lshlrev_b32_e32 v6, 16, v6
	v_lshlrev_b16 v13, 8, v9
	v_add_nc_u16 v11, 0xe000, v11
	s_delay_alu instid0(VALU_DEP_4)
	v_lshlrev_b16 v12, 8, v7
	v_lshlrev_b16 v14, 8, v10
	v_add_nc_u16 v5, 0xe000, v5
	v_add_nc_u16 v13, 0xe000, v13
	v_lshrrev_b16 v11, 8, v11
	v_add_nc_u16 v12, 0xe000, v12
	v_add_nc_u16 v14, 0xe000, v14
	v_add_nc_u16 v4, 0xe000, v4
	v_lshrrev_b16 v13, 8, v13
	v_bitop3_b16 v8, v8, v11, 0x3f00 bitop3:0xec
	v_lshrrev_b16 v12, 8, v12
	v_lshrrev_b16 v14, 8, v14
	v_and_b32_e32 v5, 0xffff, v5
	v_bitop3_b16 v9, v9, v13, 0x3f00 bitop3:0xec
	v_add_nc_u16 v8, 0xe000, v8
	v_bitop3_b16 v7, v7, v12, 0x3f00 bitop3:0xec
	v_bitop3_b16 v10, v10, v14, 0x3f00 bitop3:0xec
	v_or_b32_e32 v2, v3, v6
	v_add_nc_u16 v9, 0xe000, v9
	v_and_b32_e32 v8, 0xffff, v8
	v_add_nc_u16 v7, 0xe000, v7
	v_add_nc_u16 v10, 0xe000, v10
	v_lshlrev_b32_e32 v4, 16, v4
	v_and_b32_e32 v9, 0xffff, v9
	s_delay_alu instid0(VALU_DEP_3) | instskip(NEXT) | instid1(VALU_DEP_3)
	v_dual_lshlrev_b32 v7, 16, v7 :: v_dual_lshlrev_b32 v10, 16, v10
	v_or_b32_e32 v3, v5, v4
	s_delay_alu instid0(VALU_DEP_2) | instskip(NEXT) | instid1(VALU_DEP_3)
	v_or_b32_e32 v4, v8, v7
	v_or_b32_e32 v5, v9, v10
	ds_store_2addr_b32 v43, v2, v3 offset1:16
	ds_store_2addr_b32 v45, v4, v5 offset1:16
	ds_store_b32 v49, v0
	ds_store_b32 v51, v95
	;; [unrolled: 1-line block ×3, first 2 shown]
	s_cbranch_scc0 .LBB215_4
; %bb.6:                                ;   in Loop: Header=BB215_5 Depth=1
	s_lshl_b32 s17, s12, 3
	s_delay_alu instid0(SALU_CYCLE_1) | instskip(NEXT) | instid1(VALU_DEP_1)
	v_add_nc_u32_e32 v0, s17, v59
	v_cmp_gt_i32_e32 vcc_lo, s5, v0
	s_and_b32 s21, s1, vcc_lo
	s_delay_alu instid0(SALU_CYCLE_1)
	s_and_saveexec_b32 s20, s21
	s_cbranch_execz .LBB215_8
; %bb.7:                                ;   in Loop: Header=BB215_5 Depth=1
	v_add_nc_u32_e32 v0, v46, v0
	s_delay_alu instid0(VALU_DEP_1)
	v_mad_nc_i64_i32 v[0:1], v0, 36, v[52:53]
	global_load_b32 v0, v[0:1], off offset:4
	s_wait_loadcnt 0x0
	ds_store_b32 v57, v0
.LBB215_8:                              ;   in Loop: Header=BB215_5 Depth=1
	s_or_b32 exec_lo, exec_lo, s20
	v_add_nc_u32_e32 v8, s17, v23
	s_delay_alu instid0(VALU_DEP_1) | instskip(SKIP_1) | instid1(SALU_CYCLE_1)
	v_cmp_gt_i32_e32 vcc_lo, s5, v8
	s_and_b32 s21, s19, vcc_lo
	s_and_saveexec_b32 s20, s21
	s_cbranch_execz .LBB215_10
; %bb.9:                                ;   in Loop: Header=BB215_5 Depth=1
	v_add_nc_u32_e32 v0, v46, v8
	s_delay_alu instid0(VALU_DEP_1)
	v_mad_nc_i64_i32 v[0:1], v0, 36, s[2:3]
	global_load_b32 v0, v[0:1], off
	s_wait_loadcnt 0x0
	v_cvt_f32_f16_e32 v0, v0
	ds_store_b32 v116, v0
.LBB215_10:                             ;   in Loop: Header=BB215_5 Depth=1
	s_or_b32 exec_lo, exec_lo, s20
	s_wait_dscnt 0x0
	s_barrier_signal -1
	s_barrier_wait -1
	ds_load_b32 v9, v106
	ds_load_b32 v88, v108 offset:128
	ds_load_b32 v89, v109 offset:256
	;; [unrolled: 1-line block ×3, first 2 shown]
	s_mov_b32 s21, 0
	s_mov_b32 s20, -1
.LBB215_11:                             ;   Parent Loop BB215_5 Depth=1
                                        ; =>  This Inner Loop Header: Depth=2
	s_lshl_b32 s23, s21, 3
	v_lshl_or_b32 v133, s21, 1, v31
	s_lshr_b32 s22, s21, 1
	v_dual_add_nc_u32 v136, s23, v112 :: v_dual_add_nc_u32 v137, s23, v113
	s_add_co_i32 s21, s22, 0x8200
	v_dual_add_nc_u32 v138, s23, v114 :: v_dual_add_nc_u32 v139, s23, v115
	v_add3_u32 v4, s21, v119, v120
	v_add3_u32 v5, s21, v121, v122
	;; [unrolled: 1-line block ×3, first 2 shown]
	v_lshlrev_b32_e32 v140, 2, v133
	ds_load_2addr_b32 v[10:11], v136 offset0:6 offset1:7
	ds_load_2addr_b32 v[66:67], v136 offset0:10 offset1:11
	;; [unrolled: 1-line block ×9, first 2 shown]
	ds_load_u16 v141, v139 offset:32
	ds_load_b128 v[0:3], v139 offset:34
	ds_load_2addr_b32 v[84:85], v137 offset0:14 offset1:15
	ds_load_2addr_b32 v[68:69], v138 offset0:6 offset1:7
	;; [unrolled: 1-line block ×4, first 2 shown]
	ds_load_b32 v142, v4
	ds_load_2addr_b32 v[94:95], v136 offset0:12 offset1:13
	ds_load_b32 v103, v5
	ds_load_2addr_b32 v[96:97], v137 offset0:12 offset1:13
	ds_load_2addr_b32 v[98:99], v137 offset0:10 offset1:11
	ds_load_b32 v100, v6
	ds_load_2addr_b32 v[104:105], v138 offset0:11 offset1:12
	ds_load_2addr_b32 v[134:135], v138 offset0:9 offset1:10
	ds_load_b128 v[4:7], v140 offset:35440
	ds_load_b128 v[80:83], v140 offset:35424
	s_and_b32 vcc_lo, exec_lo, s20
	s_mov_b32 s20, 0
	s_wait_dscnt 0x10
	v_perm_b32 v143, v79, v79, 0x706000c
	v_perm_b32 v91, v78, v78, 0xc0c0c03
	s_wait_dscnt 0xe
	v_bfe_i32 v146, v2, 8, 8
	v_bfe_i32 v147, v2, 0, 8
	v_perm_b32 v149, v3, v0, 0xc0c0402
	v_perm_b32 v150, v2, v0, 0xc0c0600
	;; [unrolled: 1-line block ×4, first 2 shown]
	s_wait_dscnt 0x8
	v_perm_b32 v0, v92, v95, 0x7060403
	v_ashrrev_i32_e32 v102, 24, v3
	v_bfe_i32 v144, v3, 16, 8
	v_ashrrev_i32_e32 v145, 24, v1
	v_bfe_i32 v101, v1, 0, 8
	v_bfe_i32 v148, v1, 16, 8
	;; [unrolled: 1-line block ×3, first 2 shown]
	s_wait_dscnt 0x1
	v_perm_b32 v2, v94, v6, 0x6040501
	v_perm_b32 v92, v4, v92, 0x6040501
	;; [unrolled: 1-line block ×6, first 2 shown]
	v_dot4_i32_iu8 v2, v92, v2, 0 neg_lo:[1,1,0]
	v_perm_b32 v92, v84, v97, 0x7060403
	v_perm_b32 v84, v4, v84, 0x6040501
	v_perm_b32 v78, v78, v4, 0x6040503
	v_bfe_i32 v97, v6, 8, 8
	v_dot4_i32_iu8 v2, v94, v3, v2 neg_lo:[1,1,0]
	v_perm_b32 v3, v96, v6, 0x6040501
	v_perm_b32 v94, v5, v96, 0x6040503
	v_bfe_i32 v153, v5, 16, 8
	v_ashrrev_i32_e32 v154, 24, v6
	v_perm_b32 v156, v7, v5, 0xc0c0701
	v_dot4_i32_iu8 v3, v84, v3, 0 neg_lo:[1,1,0]
	v_perm_b32 v84, v105, v6, 0x6040501
	v_perm_b32 v155, v7, v4, 0xc0c0503
	s_wait_dscnt 0x0
	v_bfe_i32 v159, v81, 16, 8
	v_bfe_i32 v160, v80, 8, 8
	v_dot4_i32_iu8 v3, v95, v94, v3 neg_lo:[1,1,0]
	v_perm_b32 v94, v5, v105, 0x6040503
	v_dot4_i32_iu8 v79, v79, v84, 0 neg_lo:[1,1,0]
	v_perm_b32 v84, v6, v5, 0x7060403
	v_bfe_i32 v105, v6, 16, 8
	v_mul_i32_i24_e32 v101, v101, v159
	s_delay_alu instid0(VALU_DEP_4)
	v_dot4_i32_iu8 v78, v78, v94, v79 neg_lo:[1,1,0]
	v_or_b32_e32 v79, v143, v91
	v_dot4_i32_iu8 v0, v84, v0, v2 neg_lo:[1,1,0]
	v_dot4_i32_iu8 v3, v84, v92, v3 neg_lo:[1,1,0]
	v_bfe_i32 v2, v6, 0, 8
	v_ashrrev_i32_e32 v6, 24, v5
	v_dot4_i32_iu8 v78, v84, v79, v78 neg_lo:[1,1,0]
	v_dot4_i32_iu8 v91, v7, v93, v0 neg_lo:[1,1,0]
	v_perm_b32 v0, v70, v82, 0x6040501
	v_dot4_i32_iu8 v93, v7, v85, v3 neg_lo:[1,1,0]
	v_perm_b32 v3, v7, v5, 0xc0c0600
	v_perm_b32 v5, v80, v66, 0x6040501
	v_bfe_i32 v143, v4, 8, 8
	v_bfe_i32 v84, v4, 0, 8
	v_dot4_i32_iu8 v92, v7, v87, v78 neg_lo:[1,1,0]
	v_perm_b32 v4, v7, v4, 0xc0c0402
	v_perm_b32 v7, v81, v70, 0x6040503
	;; [unrolled: 1-line block ×3, first 2 shown]
	v_dot4_i32_iu8 v0, v5, v0, 0 neg_lo:[1,1,0]
	v_perm_b32 v5, v76, v82, 0x6040501
	v_perm_b32 v78, v134, v80, 0x6040503
	;; [unrolled: 1-line block ×4, first 2 shown]
	v_dot4_i32_iu8 v0, v70, v7, v0 neg_lo:[1,1,0]
	v_perm_b32 v7, v80, v98, 0x6040501
	v_perm_b32 v70, v81, v76, 0x6040503
	;; [unrolled: 1-line block ×3, first 2 shown]
	v_bfe_i32 v85, v82, 8, 8
	v_mul_i32_i24_e32 v102, v102, v143
	v_dot4_i32_iu8 v5, v7, v5, 0 neg_lo:[1,1,0]
	v_perm_b32 v7, v77, v80, 0x6040503
	s_delay_alu instid0(VALU_DEP_1) | instskip(SKIP_2) | instid1(VALU_DEP_1)
	v_dot4_i32_iu8 v5, v7, v70, v5 neg_lo:[1,1,0]
	v_perm_b32 v7, v86, v82, 0x6040501
	v_perm_b32 v70, v80, v135, 0x6040501
	v_dot4_i32_iu8 v7, v70, v7, 0 neg_lo:[1,1,0]
	v_perm_b32 v70, v134, v134, 0xc0c0c03
	v_perm_b32 v134, v83, v80, 0xc0c0503
	s_delay_alu instid0(VALU_DEP_3)
	v_dot4_i32_iu8 v7, v78, v76, v7 neg_lo:[1,1,0]
	ds_load_b64 v[78:79], v139 offset:50
	ds_load_u16 v157, v139 offset:58
	ds_load_b32 v158, v139 offset:60
	v_perm_b32 v76, v98, v77, 0x7060403
	v_perm_b32 v77, v82, v81, 0x7060403
	v_or_b32_e32 v70, v71, v70
	ds_load_2addr_b32 v[86:87], v138 offset0:4 offset1:5
	v_dot4_i32_iu8 v0, v77, v66, v0 neg_lo:[1,1,0]
	v_dot4_i32_iu8 v5, v77, v76, v5 neg_lo:[1,1,0]
	v_ashrrev_i32_e32 v76, 24, v82
	s_delay_alu instid0(VALU_DEP_3)
	v_dot4_i32_iu8 v94, v83, v67, v0 neg_lo:[1,1,0]
	v_ashrrev_i32_e32 v0, 24, v81
	v_dot4_i32_iu8 v7, v77, v70, v7 neg_lo:[1,1,0]
	v_dot4_i32_iu8 v95, v83, v99, v5 neg_lo:[1,1,0]
	v_bfe_i32 v5, v80, 0, 8
	v_perm_b32 v99, v83, v81, 0xc0c0600
	s_wait_dscnt 0x3
	v_bfe_i32 v66, v79, 16, 8
	v_dot4_i32_iu8 v96, v83, v104, v7 neg_lo:[1,1,0]
	v_perm_b32 v7, v83, v80, 0xc0c0402
	v_perm_b32 v104, v83, v81, 0xc0c0701
	ds_load_2addr_b32 v[80:81], v139 offset0:6 offset1:7
	v_mul_i32_i24_e32 v2, v66, v2
	s_wait_dscnt 0x2
	v_perm_b32 v66, v158, v78, 0xc0c0501
	v_bfe_i32 v70, v82, 16, 8
	v_perm_b32 v67, v158, v78, 0xc0c0602
	v_mul_i32_i24_e32 v0, v1, v0
	v_perm_b32 v1, v158, v78, 0xc0c0400
	v_dot4_i32_iu8 v98, v66, v155, v2 neg_lo:[1,1,0]
	v_bfe_i32 v66, v79, 8, 8
	v_mul_i32_i24_e32 v2, v144, v84
	v_bfe_i32 v77, v82, 0, 8
	ds_load_2addr_b32 v[82:83], v139 offset0:4 offset1:5
	v_perm_b32 v78, v158, v78, 0xc0c0703
	v_mul_i32_i24_e32 v6, v66, v6
	v_bfe_i32 v66, v157, 0, 8
	v_lshrrev_b16 v157, 8, v157
	s_delay_alu instid0(VALU_DEP_3) | instskip(NEXT) | instid1(VALU_DEP_3)
	v_dot4_i32_iu8 v155, v1, v4, v6 neg_lo:[1,1,0]
	v_mul_i32_i24_e32 v66, v66, v105
	v_mul_i32_i24_e32 v1, v147, v70
	v_bfe_i32 v6, v141, 0, 8
	s_wait_dscnt 0x1
	v_bfe_i32 v84, v81, 0, 8
	ds_load_2addr_b32 v[70:71], v139 offset0:2 offset1:3
	v_dot4_i32_iu8 v144, v67, v3, v66 neg_lo:[1,1,0]
	v_ashrrev_i32_e32 v3, 24, v79
	v_dot4_i32_iu8 v147, v149, v99, v1 neg_lo:[1,1,0]
	v_dot4_i32_iu8 v149, v150, v7, v0 neg_lo:[1,1,0]
	v_mul_i32_i24_e32 v5, v6, v5
	v_mul_i32_i24_e32 v4, v146, v76
	v_mad_i32_i24 v97, v3, v97, v2
	ds_load_b128 v[0:3], v140 offset:35408
	v_mul_i32_i24_e32 v76, v148, v77
	v_mad_i32_i24 v99, v145, v85, v5
	s_wait_dscnt 0x2
	v_bfe_i32 v77, v83, 16, 8
	v_bfe_i32 v6, v80, 16, 8
	;; [unrolled: 1-line block ×3, first 2 shown]
	v_dot4_i32_iu8 v148, v152, v134, v76 neg_lo:[1,1,0]
	v_bfe_i32 v76, v81, 8, 8
	v_dot4_i32_iu8 v146, v151, v104, v4 neg_lo:[1,1,0]
	v_ashrrev_i32_e32 v4, 24, v83
	v_perm_b32 v5, v72, v10, 0x6050401
	ds_load_2addr_b32 v[66:67], v138 offset0:2 offset1:3
	v_bfe_i32 v157, v157, 0, 8
	v_perm_b32 v10, v10, v73, 0x7060403
	v_lshrrev_b16 v83, 8, v83
	s_delay_alu instid0(VALU_DEP_3) | instskip(NEXT) | instid1(VALU_DEP_2)
	v_mul_i32_i24_e32 v154, v157, v154
	v_bfe_i32 v83, v83, 0, 8
	s_wait_dscnt 0x1
	v_bfe_i32 v85, v3, 0, 8
	s_delay_alu instid0(VALU_DEP_3) | instskip(SKIP_1) | instid1(VALU_DEP_3)
	v_dot4_i32_iu8 v78, v78, v156, v154 neg_lo:[1,1,0]
	v_ashrrev_i32_e32 v154, 24, v2
	v_mul_i32_i24_e32 v84, v84, v85
	v_bfe_i32 v85, v1, 16, 8
	s_delay_alu instid0(VALU_DEP_1) | instskip(SKIP_3) | instid1(VALU_DEP_3)
	v_mad_i32_i24 v145, v77, v85, v84
	v_bfe_i32 v84, v2, 16, 8
	v_perm_b32 v77, v74, v14, 0x6050401
	v_perm_b32 v14, v14, v75, 0x7060403
	v_mul_i32_i24_e32 v6, v6, v84
	v_bfe_i32 v84, v1, 0, 8
	s_delay_alu instid0(VALU_DEP_1) | instskip(SKIP_2) | instid1(VALU_DEP_2)
	v_mad_i32_i24 v150, v7, v84, v6
	v_bfe_i32 v6, v3, 8, 8
	v_ashrrev_i32_e32 v7, 24, v1
	v_mul_i32_i24_e32 v6, v76, v6
	v_perm_b32 v76, v0, v2, 0x6050401
	s_delay_alu instid0(VALU_DEP_2) | instskip(SKIP_2) | instid1(VALU_DEP_4)
	v_mad_i32_i24 v151, v4, v7, v6
	v_perm_b32 v4, v73, v0, 0x6040503
	v_perm_b32 v6, v1, v72, 0x6040503
	v_dot4_i32_iu8 v5, v5, v76, 0 neg_lo:[1,1,0]
	v_ashrrev_i32_e32 v73, 24, v0
	s_delay_alu instid0(VALU_DEP_2)
	v_dot4_i32_iu8 v152, v6, v4, v5 neg_lo:[1,1,0]
	v_perm_b32 v4, v75, v0, 0x6040503
	v_perm_b32 v5, v1, v74, 0x6040503
	v_dot4_i32_iu8 v6, v77, v76, 0 neg_lo:[1,1,0]
	v_bfe_i32 v74, v71, 0, 8
	v_bfe_i32 v75, v82, 0, 8
	s_delay_alu instid0(VALU_DEP_3)
	v_dot4_i32_iu8 v161, v5, v4, v6 neg_lo:[1,1,0]
	v_perm_b32 v4, v86, v68, 0x6050401
	v_perm_b32 v5, v87, v0, 0x6040503
	;; [unrolled: 1-line block ×4, first 2 shown]
	v_ashrrev_i32_e32 v87, 24, v142
	v_dot4_i32_iu8 v4, v4, v76, 0 neg_lo:[1,1,0]
	ds_load_2addr_b32 v[76:77], v139 offset1:1
	v_dot4_i32_iu8 v162, v6, v5, v4 neg_lo:[1,1,0]
	v_bfe_i32 v4, v82, 8, 8
	v_bfe_i32 v5, v0, 8, 8
	;; [unrolled: 1-line block ×3, first 2 shown]
	s_delay_alu instid0(VALU_DEP_2) | instskip(SKIP_1) | instid1(VALU_DEP_1)
	v_mul_i32_i24_e32 v4, v4, v5
	v_bfe_i32 v5, v80, 8, 8
	v_mad_i32_i24 v72, v5, v6, v4
	v_bfe_i32 v4, v81, 16, 8
	v_bfe_i32 v5, v3, 16, 8
	;; [unrolled: 1-line block ×3, first 2 shown]
	s_delay_alu instid0(VALU_DEP_2) | instskip(SKIP_2) | instid1(VALU_DEP_2)
	v_mul_i32_i24_e32 v4, v4, v5
	v_bfe_i32 v5, v80, 0, 8
	v_ashrrev_i32_e32 v80, 24, v80
	v_mad_i32_i24 v163, v5, v6, v4
	ds_load_b128 v[4:7], v140 offset:35392
	v_mul_i32_i24_e32 v80, v80, v154
	v_lshrrev_b16 v154, 8, v1
	v_perm_b32 v1, v2, v1, 0x7060403
	s_delay_alu instid0(VALU_DEP_2) | instskip(NEXT) | instid1(VALU_DEP_2)
	v_bfe_i32 v154, v154, 0, 8
	v_dot4_i32_iu8 v2, v1, v10, v152 neg_lo:[1,1,0]
	v_dot4_i32_iu8 v10, v1, v14, v161 neg_lo:[1,1,0]
	v_dot4_i32_iu8 v1, v1, v68, v162 neg_lo:[1,1,0]
	v_bfe_i32 v14, v82, 16, 8
	v_bfe_i32 v68, v0, 16, 8
	v_dot4_i32_iu8 v2, v11, v3, v2 neg_lo:[1,1,0]
	v_mul_i32_i24_e32 v83, v83, v154
	v_bfe_i32 v0, v0, 0, 8
	s_delay_alu instid0(VALU_DEP_4)
	v_mul_i32_i24_e32 v14, v14, v68
	v_ashrrev_i32_e32 v68, 24, v82
	v_lshrrev_b16 v82, 8, v141
	s_wait_dscnt 0x0
	v_bfe_i32 v84, v7, 0, 8
	v_bfe_i32 v85, v5, 16, 8
	;; [unrolled: 1-line block ×3, first 2 shown]
	v_ashrrev_i32_e32 v104, 24, v5
	v_perm_b32 v164, v4, v6, 0x6050401
	v_mul_i32_i24_e32 v74, v74, v84
	v_bfe_i32 v84, v77, 16, 8
	v_bfe_i32 v165, v6, 8, 8
	v_mul_i32_i24_e32 v68, v68, v73
	v_lshrrev_b16 v73, 8, v5
	v_bfe_i32 v166, v6, 0, 8
	v_mad_i32_i24 v74, v84, v85, v74
	v_bfe_i32 v84, v70, 16, 8
	v_bfe_i32 v85, v6, 16, 8
	v_add3_u32 v14, v14, v68, v163
	v_ashrrev_i32_e32 v68, 24, v70
	v_bfe_i32 v73, v73, 0, 8
	v_perm_b32 v141, v3, v3, 0x3020001
	v_mul_i32_i24_e32 v84, v84, v85
	v_bfe_i32 v85, v77, 0, 8
	v_add3_u32 v80, v83, v80, v151
	v_bfe_i32 v83, v142, 0, 8
	v_bfe_i32 v82, v82, 0, 8
	v_mul_i32_i24_e32 v0, v75, v0
	v_mad_i32_i24 v86, v85, v86, v84
	v_bfe_i32 v84, v71, 8, 8
	v_bfe_i32 v85, v7, 8, 8
	v_add3_u32 v80, v150, v145, v80
	v_mul_i32_i24_e32 v82, v82, v160
	s_delay_alu instid0(VALU_DEP_3) | instskip(SKIP_1) | instid1(VALU_DEP_4)
	v_mul_i32_i24_e32 v84, v84, v85
	v_ashrrev_i32_e32 v85, 24, v77
	v_add3_u32 v0, v80, v0, v72
	s_delay_alu instid0(VALU_DEP_2)
	v_mad_i32_i24 v139, v85, v104, v84
	v_add3_u32 v84, s21, v117, v118
	ds_load_b32 v140, v84
	ds_load_2addr_b32 v[84:85], v136 offset0:2 offset1:3
	ds_load_2addr_b32 v[104:105], v136 offset1:1
	s_mov_b32 s21, 8
	s_wait_dscnt 0x2
	v_bfe_i32 v75, v140, 8, 8
	s_wait_dscnt 0x0
	v_perm_b32 v134, v104, v84, 0x6050401
	v_perm_b32 v135, v105, v4, 0x6040503
	;; [unrolled: 1-line block ×3, first 2 shown]
	v_mul_lo_u32 v2, v2, v75
	s_delay_alu instid0(VALU_DEP_4) | instskip(NEXT) | instid1(VALU_DEP_1)
	v_dot4_i32_iu8 v134, v134, v164, 0 neg_lo:[1,1,0]
	v_dot4_i32_iu8 v104, v104, v135, v134 neg_lo:[1,1,0]
	ds_load_2addr_b32 v[134:135], v137 offset1:1
	s_wait_dscnt 0x0
	v_perm_b32 v136, v134, v12, 0x6050401
	v_perm_b32 v137, v135, v4, 0x6040503
	;; [unrolled: 1-line block ×4, first 2 shown]
	v_bfe_i32 v135, v100, 0, 8
	v_dot4_i32_iu8 v136, v136, v164, 0 neg_lo:[1,1,0]
	s_delay_alu instid0(VALU_DEP_1)
	v_dot4_i32_iu8 v134, v134, v137, v136 neg_lo:[1,1,0]
	ds_load_2addr_b32 v[136:137], v138 offset1:1
	s_wait_dscnt 0x0
	v_perm_b32 v138, v136, v66, 0x6050401
	v_perm_b32 v136, v5, v136, 0x6040503
	;; [unrolled: 1-line block ×4, first 2 shown]
	s_delay_alu instid0(VALU_DEP_4) | instskip(SKIP_2) | instid1(VALU_DEP_4)
	v_dot4_i32_iu8 v138, v138, v164, 0 neg_lo:[1,1,0]
	v_perm_b32 v164, v137, v4, 0x6040503
	v_ashrrev_i32_e32 v137, 24, v3
	v_dot4_i32_iu8 v12, v5, v12, v134 neg_lo:[1,1,0]
	v_dot4_i32_iu8 v3, v15, v3, v10 neg_lo:[1,1,0]
	v_bfe_i32 v134, v103, 0, 8
	v_dot4_i32_iu8 v136, v136, v164, v138 neg_lo:[1,1,0]
	v_bfe_i32 v138, v76, 8, 8
	v_bfe_i32 v164, v4, 8, 8
	v_dot4_i32_iu8 v11, v13, v7, v12 neg_lo:[1,1,0]
	s_delay_alu instid0(VALU_DEP_2) | instskip(SKIP_1) | instid1(VALU_DEP_1)
	v_mul_i32_i24_e32 v138, v138, v164
	v_bfe_i32 v164, v70, 8, 8
	v_mad_i32_i24 v138, v164, v165, v138
	v_bfe_i32 v164, v71, 16, 8
	v_bfe_i32 v165, v7, 16, 8
	v_ashrrev_i32_e32 v71, 24, v71
	s_delay_alu instid0(VALU_DEP_2) | instskip(SKIP_2) | instid1(VALU_DEP_2)
	v_mul_i32_i24_e32 v164, v164, v165
	v_bfe_i32 v165, v70, 0, 8
	v_ashrrev_i32_e32 v70, 24, v6
	v_mad_i32_i24 v164, v165, v166, v164
	s_delay_alu instid0(VALU_DEP_2) | instskip(SKIP_3) | instid1(VALU_DEP_3)
	v_mul_i32_i24_e32 v68, v68, v70
	v_lshrrev_b16 v70, 8, v77
	v_perm_b32 v77, v69, v69, 0x7060001
	v_bfe_i32 v69, v76, 16, 8
	v_bfe_i32 v70, v70, 0, 8
	s_delay_alu instid0(VALU_DEP_3) | instskip(NEXT) | instid1(VALU_DEP_2)
	v_dot4_i32_iu8 v1, v77, v141, v1 neg_lo:[1,1,0]
	v_mul_i32_i24_e32 v70, v70, v73
	v_ashrrev_i32_e32 v73, 24, v81
	v_bfe_i32 v81, v4, 16, 8
	s_delay_alu instid0(VALU_DEP_3) | instskip(SKIP_1) | instid1(VALU_DEP_3)
	v_add3_u32 v70, v70, v68, v139
	v_perm_b32 v68, v84, v105, 0x7060403
	v_mul_i32_i24_e32 v81, v69, v81
	v_dual_ashrrev_i32 v69, 24, v4 :: v_dual_ashrrev_i32 v139, 24, v7
	v_bfe_i32 v4, v4, 0, 8
	s_delay_alu instid0(VALU_DEP_4)
	v_dot4_i32_iu8 v6, v5, v68, v104 neg_lo:[1,1,0]
	v_dot4_i32_iu8 v5, v5, v66, v136 neg_lo:[1,1,0]
	v_bfe_i32 v66, v79, 0, 8
	v_dual_ashrrev_i32 v79, 24, v76 :: v_dual_lshrrev_b32 v68, 1, v133
	v_bfe_i32 v76, v76, 0, 8
	v_dual_add_nc_u32 v104, v148, v146 :: v_dual_add_nc_u32 v133, v149, v147
	s_delay_alu instid0(VALU_DEP_3)
	v_mul_i32_i24_e32 v79, v79, v69
	ds_load_b64 v[68:69], v68 offset:36944
	v_mul_i32_i24_e32 v71, v71, v139
	v_add_nc_u32_e32 v139, v155, v144
	v_mul_i32_i24_e32 v73, v73, v137
	v_add3_u32 v79, v81, v79, v164
	v_bfe_i32 v81, v142, 8, 8
	v_bfe_i32 v105, v103, 8, 8
	v_add3_u32 v82, v133, v104, v82
	v_bfe_i32 v133, v100, 8, 8
	v_mul_i32_i24_e32 v4, v76, v4
	v_mul_lo_u32 v3, v3, v81
	v_add3_u32 v10, v86, v74, v70
	v_add3_u32 v0, v0, v14, v73
	v_bfe_i32 v84, v142, 16, 8
	v_dual_ashrrev_i32 v104, 24, v103 :: v_dual_ashrrev_i32 v136, 24, v100
	v_bfe_i32 v103, v103, 16, 8
	v_bfe_i32 v100, v100, 16, 8
	;; [unrolled: 1-line block ×3, first 2 shown]
	v_mul_lo_u32 v1, v1, v105
	v_add3_u32 v4, v10, v4, v138
	v_mad_u32 v3, v11, v83, v3
	v_add3_u32 v10, v82, v99, v101
	v_mul_lo_u32 v0, v0, v133
	v_mul_lo_u32 v12, v94, v76
	;; [unrolled: 1-line block ×5, first 2 shown]
	v_mul_i32_i24_e32 v66, v66, v153
	v_bfe_i32 v137, v140, 0, 8
	v_dot4_i32_iu8 v6, v85, v7, v6 neg_lo:[1,1,0]
	v_dot4_i32_iu8 v5, v67, v7, v5 neg_lo:[1,1,0]
	v_cvt_f32_i32_e32 v3, v3
	v_add3_u32 v4, v4, v79, v71
	v_ashrrev_i32_e32 v140, 24, v140
	v_mad_u32 v2, v6, v137, v2
	v_mad_u32 v1, v5, v134, v1
	s_wait_dscnt 0x0
	v_fma_f32 v3, v68, v3, 0
	v_add_nc_u32_e32 v78, v98, v78
	v_mad_u32 v0, v4, v135, v0
	v_mad_u32 v12, v91, v140, v12
	;; [unrolled: 1-line block ×4, first 2 shown]
	v_add3_u32 v7, v139, v78, v102
	v_cvt_f32_i32_e32 v2, v2
	v_cvt_f32_i32_e32 v1, v1
	s_delay_alu instid0(VALU_DEP_3) | instskip(SKIP_3) | instid1(VALU_DEP_4)
	v_add3_u32 v7, v7, v97, v66
	v_cvt_f32_i32_e32 v0, v0
	v_cvt_f32_i32_e32 v6, v12
	v_fma_f32 v2, v68, v2, 0
	v_mad_u32 v5, v7, v136, v10
	v_cvt_f32_i32_e32 v7, v13
	v_cvt_f32_i32_e32 v4, v4
	v_fma_f32 v1, v68, v1, 0
	v_fma_f32 v0, v68, v0, 0
	s_delay_alu instid0(VALU_DEP_4) | instskip(NEXT) | instid1(VALU_DEP_3)
	v_dual_fmac_f32 v2, v69, v6 :: v_dual_fmac_f32 v3, v69, v7
	v_fmac_f32_e32 v1, v69, v4
	v_cvt_f32_i32_e32 v5, v5
	s_delay_alu instid0(VALU_DEP_2) | instskip(NEXT) | instid1(VALU_DEP_2)
	v_dual_fmac_f32 v107, v88, v3 :: v_dual_fmac_f32 v65, v89, v1
	v_fmac_f32_e32 v0, v69, v5
	s_delay_alu instid0(VALU_DEP_1)
	v_dual_fmac_f32 v110, v9, v2 :: v_dual_fmac_f32 v63, v90, v0
	s_cbranch_vccnz .LBB215_11
; %bb.12:                               ;   in Loop: Header=BB215_5 Depth=1
	s_bitset1_b32 s16, 7
	s_delay_alu instid0(SALU_CYCLE_1)
	s_cmp_ge_i32 s16, s11
	s_barrier_signal -1
	s_barrier_wait -1
	s_cbranch_scc1 .LBB215_4
; %bb.13:                               ;   in Loop: Header=BB215_5 Depth=1
	v_add_nc_u32_e32 v0, s17, v61
	s_delay_alu instid0(VALU_DEP_1) | instskip(SKIP_1) | instid1(SALU_CYCLE_1)
	v_cmp_gt_i32_e32 vcc_lo, s5, v0
	s_and_b32 s17, s1, vcc_lo
	s_and_saveexec_b32 s16, s17
	s_cbranch_execz .LBB215_15
; %bb.14:                               ;   in Loop: Header=BB215_5 Depth=1
	v_add_nc_u32_e32 v0, v46, v0
	s_delay_alu instid0(VALU_DEP_1)
	v_mad_nc_i64_i32 v[0:1], v0, 36, v[52:53]
	global_load_b32 v0, v[0:1], off offset:4
	s_wait_loadcnt 0x0
	ds_store_b32 v57, v0
.LBB215_15:                             ;   in Loop: Header=BB215_5 Depth=1
	s_or_b32 exec_lo, exec_lo, s16
	s_and_saveexec_b32 s16, s0
	s_cbranch_execz .LBB215_18
; %bb.16:                               ;   in Loop: Header=BB215_5 Depth=1
	v_or_b32_e32 v0, 4, v8
	s_delay_alu instid0(VALU_DEP_1) | instskip(SKIP_1) | instid1(SALU_CYCLE_1)
	v_cmp_gt_i32_e32 vcc_lo, s5, v0
	s_and_b32 s17, s1, vcc_lo
	s_and_b32 exec_lo, exec_lo, s17
	s_cbranch_execz .LBB215_18
; %bb.17:                               ;   in Loop: Header=BB215_5 Depth=1
	v_ashrrev_i32_e32 v9, 31, v8
	s_delay_alu instid0(VALU_DEP_1) | instskip(NEXT) | instid1(VALU_DEP_1)
	v_add_nc_u64_e32 v[0:1], v[46:47], v[8:9]
	v_mad_nc_u64_u32 v[2:3], v0, 36, s[2:3]
	s_delay_alu instid0(VALU_DEP_1)
	v_mad_i32_i24 v3, v1, 36, v3
	global_load_b32 v0, v[2:3], off offset:144
	s_wait_loadcnt 0x0
	v_cvt_f32_f16_e32 v0, v0
	ds_store_b32 v116, v0
.LBB215_18:                             ;   in Loop: Header=BB215_5 Depth=1
	s_or_b32 exec_lo, exec_lo, s16
	s_wait_dscnt 0x0
	s_barrier_signal -1
	s_barrier_wait -1
	ds_load_b32 v133, v106
	ds_load_b32 v134, v108 offset:128
	ds_load_b32 v135, v109 offset:256
	;; [unrolled: 1-line block ×3, first 2 shown]
	s_mov_b32 s16, 16
.LBB215_19:                             ;   Parent Loop BB215_5 Depth=1
                                        ; =>  This Inner Loop Header: Depth=2
	s_delay_alu instid0(SALU_CYCLE_1)
	s_lshl_b32 s17, s16, 1
	s_lshl_b32 s21, s16, 3
	v_and_or_b32 v0, s17, 16, v31
	s_lshr_b32 s20, s16, 1
	v_dual_add_nc_u32 v1, s21, v112 :: v_dual_add_nc_u32 v2, s21, v113
	s_add_co_i32 s20, s20, 0x8200
	v_dual_add_nc_u32 v3, s21, v114 :: v_dual_add_nc_u32 v4, s21, v115
	v_add3_u32 v5, s20, v117, v118
	v_add3_u32 v6, s20, v119, v120
	;; [unrolled: 1-line block ×4, first 2 shown]
	v_dual_lshlrev_b32 v12, 2, v0 :: v_dual_lshrrev_b32 v82, 1, v0
	ds_load_2addr_b32 v[66:67], v1 offset0:6 offset1:7
	ds_load_2addr_b32 v[74:75], v1 offset0:10 offset1:11
	;; [unrolled: 1-line block ×5, first 2 shown]
	ds_load_2addr_b32 v[90:91], v1 offset1:1
	ds_load_2addr_b32 v[72:73], v2 offset0:6 offset1:7
	ds_load_2addr_b32 v[102:103], v2 offset0:8 offset1:9
	;; [unrolled: 1-line block ×8, first 2 shown]
	ds_load_2addr_b32 v[98:99], v3 offset1:1
	ds_load_2addr_b32 v[144:145], v3 offset0:13 offset1:14
	ds_load_2addr_b32 v[80:81], v3 offset0:8 offset1:15
	;; [unrolled: 1-line block ×5, first 2 shown]
	ds_load_2addr_b32 v[152:153], v4 offset1:1
	ds_load_u16 v137, v4 offset:32
	ds_load_b128 v[138:141], v4 offset:34
	ds_load_b64 v[154:155], v4 offset:50
	ds_load_u16 v162, v4 offset:58
	ds_load_b32 v163, v4 offset:60
	ds_load_2addr_b32 v[84:85], v1 offset0:14 offset1:15
	ds_load_2addr_b32 v[100:101], v2 offset1:1
	ds_load_2addr_b32 v[156:157], v1 offset0:12 offset1:13
	ds_load_2addr_b32 v[158:159], v2 offset0:12 offset1:13
	;; [unrolled: 1-line block ×5, first 2 shown]
	ds_load_b32 v164, v6
	ds_load_b32 v165, v7
	;; [unrolled: 1-line block ×4, first 2 shown]
	ds_load_b128 v[0:3], v12 offset:35392
	ds_load_b128 v[4:7], v12 offset:35408
	;; [unrolled: 1-line block ×4, first 2 shown]
	ds_load_b64 v[82:83], v82 offset:36944
	s_wait_dscnt 0x27
	v_perm_b32 v168, v74, v105, 0x7060403
	s_wait_dscnt 0x1a
	v_perm_b32 v170, v145, v145, 0x706000c
	v_perm_b32 v169, v144, v144, 0xc0c0c03
	s_wait_dscnt 0x11
	v_lshrrev_b16 v177, 8, v162
	v_bfe_i32 v162, v162, 0, 8
	v_dual_ashrrev_i32 v173, 24, v155 :: v_dual_ashrrev_i32 v174, 24, v141
	s_wait_dscnt 0xd
	v_perm_b32 v216, v84, v157, 0x7060403
	s_wait_dscnt 0xc
	v_perm_b32 v217, v76, v159, 0x7060403
	;; [unrolled: 2-line block ×3, first 2 shown]
	v_bfe_i32 v176, v155, 0, 8
	v_bfe_i32 v178, v155, 16, 8
	;; [unrolled: 1-line block ×3, first 2 shown]
	v_perm_b32 v179, v163, v154, 0xc0c0602
	s_wait_dscnt 0x5
	v_bfe_i32 v230, v167, 8, 8
	v_bfe_i32 v231, v167, 0, 8
	;; [unrolled: 1-line block ×3, first 2 shown]
	s_wait_dscnt 0x2
	v_perm_b32 v74, v8, v74, 0x6040501
	s_wait_dscnt 0x1
	v_perm_b32 v233, v156, v14, 0x6040501
	v_perm_b32 v84, v12, v84, 0x6040501
	;; [unrolled: 1-line block ×6, first 2 shown]
	v_dot4_i32_iu8 v84, v84, v233, 0 neg_lo:[1,1,0]
	v_perm_b32 v105, v105, v8, 0x6040503
	v_perm_b32 v88, v8, v88, 0x6040501
	;; [unrolled: 1-line block ×3, first 2 shown]
	v_dot4_i32_iu8 v76, v76, v234, 0 neg_lo:[1,1,0]
	v_dot4_i32_iu8 v84, v157, v156, v84 neg_lo:[1,1,0]
	v_perm_b32 v157, v13, v158, 0x6040503
	v_perm_b32 v158, v159, v12, 0x6040503
	;; [unrolled: 1-line block ×5, first 2 shown]
	v_ashrrev_i32_e32 v167, 24, v167
	v_dot4_i32_iu8 v76, v158, v157, v76 neg_lo:[1,1,0]
	v_perm_b32 v158, v102, v10, 0x6040501
	v_dot4_i32_iu8 v74, v74, v159, 0 neg_lo:[1,1,0]
	v_perm_b32 v102, v9, v102, 0x6040503
	v_ashrrev_i32_e32 v159, 24, v13
	v_perm_b32 v180, v163, v154, 0xc0c0400
	v_dot4_i32_iu8 v88, v88, v158, 0 neg_lo:[1,1,0]
	v_dot4_i32_iu8 v74, v105, v104, v74 neg_lo:[1,1,0]
	v_perm_b32 v105, v87, v14, 0x6040501
	v_perm_b32 v87, v13, v87, 0x6040503
	;; [unrolled: 1-line block ×3, first 2 shown]
	v_dot4_i32_iu8 v88, v103, v102, v88 neg_lo:[1,1,0]
	v_perm_b32 v103, v144, v12, 0x6040503
	v_perm_b32 v144, v80, v10, 0x6040501
	v_dot4_i32_iu8 v105, v145, v105, 0 neg_lo:[1,1,0]
	v_perm_b32 v145, v8, v161, 0x6040501
	v_perm_b32 v80, v9, v80, 0x6040503
	;; [unrolled: 1-line block ×4, first 2 shown]
	v_dot4_i32_iu8 v87, v103, v87, v105 neg_lo:[1,1,0]
	v_bfe_i32 v105, v14, 16, 8
	v_dot4_i32_iu8 v144, v145, v144, 0 neg_lo:[1,1,0]
	v_bfe_i32 v160, v177, 0, 8
	v_perm_b32 v161, v15, v12, 0xc0c0402
	v_mul_i32_i24_e32 v155, v155, v159
	v_mul_i32_i24_e32 v105, v162, v105
	v_dot4_i32_iu8 v80, v158, v80, v144 neg_lo:[1,1,0]
	v_perm_b32 v158, v15, v13, 0xc0c0600
	v_perm_b32 v181, v163, v154, 0xc0c0703
	v_dot4_i32_iu8 v155, v180, v161, v155 neg_lo:[1,1,0]
	v_bfe_i32 v161, v14, 0, 8
	v_perm_b32 v162, v15, v13, 0xc0c0701
	v_dot4_i32_iu8 v105, v179, v158, v105 neg_lo:[1,1,0]
	v_ashrrev_i32_e32 v158, 24, v14
	v_perm_b32 v154, v163, v154, 0xc0c0501
	v_mul_i32_i24_e32 v161, v178, v161
	v_bfe_i32 v185, v140, 0, 8
	v_lshrrev_b16 v182, 8, v137
	v_mul_i32_i24_e32 v158, v160, v158
	v_bfe_i32 v137, v137, 0, 8
	v_bfe_i32 v175, v141, 16, 8
	v_bfe_i32 v186, v139, 16, 8
	v_bfe_i32 v177, v12, 0, 8
	v_dot4_i32_iu8 v158, v181, v162, v158 neg_lo:[1,1,0]
	v_perm_b32 v162, v15, v12, 0xc0c0503
	v_bfe_i32 v184, v140, 8, 8
	v_perm_b32 v187, v141, v138, 0xc0c0402
	v_perm_b32 v188, v140, v138, 0xc0c0600
	;; [unrolled: 1-line block ×3, first 2 shown]
	v_dot4_i32_iu8 v154, v154, v162, v161 neg_lo:[1,1,0]
	v_bfe_i32 v162, v10, 16, 8
	v_perm_b32 v138, v140, v138, 0xc0c0701
	v_bfe_i32 v140, v146, 8, 8
	v_dual_ashrrev_i32 v191, 24, v149 :: v_dual_ashrrev_i32 v196, 24, v146
	s_delay_alu instid0(VALU_DEP_4)
	v_mul_i32_i24_e32 v162, v185, v162
	v_bfe_i32 v185, v8, 0, 8
	v_bfe_i32 v193, v146, 0, 8
	;; [unrolled: 1-line block ×4, first 2 shown]
	v_mul_i32_i24_e32 v175, v175, v177
	v_mul_i32_i24_e32 v137, v137, v185
	v_bfe_i32 v185, v10, 0, 8
	v_dual_ashrrev_i32 v163, 24, v139 :: v_dual_ashrrev_i32 v190, 24, v148
	v_bfe_i32 v183, v139, 0, 8
	v_bfe_i32 v139, v139, 8, 8
	s_delay_alu instid0(VALU_DEP_4)
	v_mul_i32_i24_e32 v185, v186, v185
	v_bfe_i32 v186, v6, 16, 8
	v_bfe_i32 v194, v147, 8, 8
	v_ashrrev_i32_e32 v177, 24, v7
	v_mad_i32_i24 v104, v173, v104, v175
	v_ashrrev_i32_e32 v173, 24, v9
	v_perm_b32 v175, v11, v9, 0xc0c0600
	v_mul_i32_i24_e32 v146, v146, v186
	v_bfe_i32 v186, v7, 8, 8
	v_bfe_i32 v195, v147, 0, 8
	;; [unrolled: 1-line block ×3, first 2 shown]
	v_dual_ashrrev_i32 v147, 24, v147 :: v_dual_ashrrev_i32 v204, 24, v152
	v_perm_b32 v198, v92, v66, 0x6050401
	v_dot4_i32_iu8 v162, v187, v175, v162 neg_lo:[1,1,0]
	v_ashrrev_i32_e32 v175, 24, v10
	v_perm_b32 v180, v11, v8, 0xc0c0402
	v_mul_i32_i24_e32 v139, v139, v173
	v_bfe_i32 v12, v12, 8, 8
	v_mul_i32_i24_e32 v186, v194, v186
	v_perm_b32 v194, v4, v6, 0x6050401
	v_lshrrev_b16 v171, 8, v149
	v_bfe_i32 v189, v148, 16, 8
	v_perm_b32 v199, v94, v72, 0x6050401
	v_bfe_i32 v202, v150, 8, 8
	v_dual_ashrrev_i32 v205, 24, v153 :: v_dual_ashrrev_i32 v210, 24, v150
	v_bfe_i32 v207, v150, 0, 8
	v_bfe_i32 v150, v150, 16, 8
	v_lshrrev_b16 v156, 8, v5
	v_bfe_i32 v102, v13, 16, 8
	v_bfe_i32 v145, v9, 16, 8
	;; [unrolled: 1-line block ×3, first 2 shown]
	v_ashrrev_i32_e32 v160, 24, v4
	v_dot4_i32_iu8 v139, v188, v180, v139 neg_lo:[1,1,0]
	v_ashrrev_i32_e32 v180, 24, v0
	v_perm_b32 v181, v11, v9, 0xc0c0701
	v_mul_i32_i24_e32 v175, v184, v175
	v_mul_i32_i24_e32 v12, v174, v12
	v_bfe_i32 v174, v8, 8, 8
	v_bfe_i32 v182, v182, 0, 8
	v_ashrrev_i32_e32 v187, 24, v6
	v_mul_i32_i24_e32 v147, v147, v177
	v_dot4_i32_iu8 v177, v198, v194, 0 neg_lo:[1,1,0]
	v_bfe_i32 v198, v2, 16, 8
	v_bfe_i32 v188, v7, 0, 8
	v_bfe_i32 v192, v149, 0, 8
	v_perm_b32 v212, v90, v68, 0x6050401
	v_perm_b32 v213, v100, v70, 0x6050401
	;; [unrolled: 1-line block ×3, first 2 shown]
	v_lshrrev_b16 v157, 8, v1
	v_bfe_i32 v161, v7, 16, 8
	v_bfe_i32 v179, v2, 8, 8
	;; [unrolled: 1-line block ×3, first 2 shown]
	v_dot4_i32_iu8 v141, v141, v181, v175 neg_lo:[1,1,0]
	v_perm_b32 v90, v1, v90, 0x6040503
	v_perm_b32 v100, v1, v100, 0x6040503
	;; [unrolled: 1-line block ×3, first 2 shown]
	v_or_b32_e32 v181, v220, v219
	v_mul_i32_i24_e32 v102, v176, v102
	v_ashrrev_i32_e32 v176, 24, v1
	v_mul_i32_i24_e32 v174, v182, v174
	v_bfe_i32 v182, v1, 0, 8
	v_mul_i32_i24_e32 v145, v183, v145
	v_bfe_i32 v183, v1, 16, 8
	v_mul_i32_i24_e32 v159, v189, v159
	v_mul_i32_i24_e32 v160, v190, v160
	v_ashrrev_i32_e32 v189, 24, v5
	v_mul_i32_i24_e32 v187, v196, v187
	v_bfe_i32 v190, v5, 0, 8
	v_dot4_i32_iu8 v196, v199, v194, 0 neg_lo:[1,1,0]
	v_ashrrev_i32_e32 v199, 24, v2
	v_mul_i32_i24_e32 v150, v150, v198
	v_perm_b32 v8, v11, v8, 0xc0c0503
	v_bfe_i32 v171, v171, 0, 8
	v_perm_b32 v198, v0, v2, 0x6050401
	v_perm_b32 v1, v2, v1, 0x7060403
	v_bfe_i32 v2, v156, 0, 8
	v_perm_b32 v200, v96, v142, 0x6050401
	v_bfe_i32 v201, v148, 8, 8
	v_bfe_i32 v148, v148, 0, 8
	v_perm_b32 v66, v66, v93, 0x7060403
	v_perm_b32 v72, v72, v95, 0x7060403
	;; [unrolled: 1-line block ×6, first 2 shown]
	v_mul_i32_i24_e32 v188, v195, v188
	v_bfe_i32 v195, v4, 8, 8
	v_bfe_i32 v4, v4, 0, 8
	;; [unrolled: 1-line block ×4, first 2 shown]
	v_perm_b32 v92, v5, v92, 0x6040503
	v_perm_b32 v94, v5, v94, 0x6040503
	v_mul_i32_i24_e32 v161, v197, v161
	v_bfe_i32 v197, v5, 16, 8
	v_dot4_i32_iu8 v8, v138, v8, v185 neg_lo:[1,1,0]
	v_mul_i32_i24_e32 v2, v171, v2
	v_mad_i32_i24 v138, v192, v190, v146
	v_mad_i32_i24 v146, v191, v189, v186
	v_lshrrev_b16 v172, 8, v153
	v_bfe_i32 v208, v151, 8, 8
	v_mul_i32_i24_e32 v4, v148, v4
	v_bfe_i32 v148, v3, 8, 8
	v_bfe_i32 v144, v6, 8, 8
	v_bfe_i32 v178, v6, 0, 8
	v_dual_ashrrev_i32 v170, 24, v3 :: v_dual_bitop2_b32 v169, v170, v169 bitop3:0x54
	v_perm_b32 v96, v5, v96, 0x6040503
	v_dot4_i32_iu8 v194, v200, v194, 0 neg_lo:[1,1,0]
	v_mul_i32_i24_e32 v195, v201, v195
	v_perm_b32 v13, v14, v13, 0x7060403
	v_perm_b32 v9, v10, v9, 0x7060403
	;; [unrolled: 1-line block ×3, first 2 shown]
	v_mad_i32_i24 v103, v163, v103, v137
	v_mad_i32_i24 v137, v149, v197, v188
	v_dot4_i32_iu8 v92, v92, v93, v177 neg_lo:[1,1,0]
	v_dot4_i32_iu8 v93, v94, v95, v196 neg_lo:[1,1,0]
	v_add3_u32 v2, v2, v187, v146
	v_bfe_i32 v209, v151, 0, 8
	v_bfe_i32 v211, v151, 16, 8
	v_ashrrev_i32_e32 v151, 24, v151
	v_bfe_i32 v200, v3, 0, 8
	v_mul_i32_i24_e32 v148, v208, v148
	v_bfe_i32 v172, v172, 0, 8
	v_bfe_i32 v156, v157, 0, 8
	;; [unrolled: 1-line block ×5, first 2 shown]
	v_dot4_i32_iu8 v94, v96, v97, v194 neg_lo:[1,1,0]
	v_mad_i32_i24 v95, v140, v144, v195
	v_mad_i32_i24 v96, v193, v178, v161
	v_dot4_i32_iu8 v84, v13, v216, v84 neg_lo:[1,1,0]
	v_dot4_i32_iu8 v76, v13, v217, v76 neg_lo:[1,1,0]
	;; [unrolled: 1-line block ×6, first 2 shown]
	v_dual_add_nc_u32 v80, v154, v158 :: v_dual_add_nc_u32 v8, v8, v141
	v_add_nc_u32_e32 v87, v155, v105
	v_mul_i32_i24_e32 v14, v210, v199
	v_bfe_i32 v199, v0, 0, 8
	v_dot4_i32_iu8 v66, v5, v66, v92 neg_lo:[1,1,0]
	v_dot4_i32_iu8 v72, v5, v72, v93 neg_lo:[1,1,0]
	v_add3_u32 v2, v138, v137, v2
	v_bfe_i32 v206, v153, 0, 8
	v_bfe_i32 v153, v153, 16, 8
	v_perm_b32 v68, v68, v91, 0x7060403
	v_perm_b32 v70, v70, v101, 0x7060403
	v_perm_b32 v78, v78, v99, 0x7060403
	v_bfe_i32 v221, v164, 8, 8
	v_bfe_i32 v222, v164, 0, 8
	;; [unrolled: 1-line block ×3, first 2 shown]
	v_ashrrev_i32_e32 v164, 24, v164
	v_bfe_i32 v173, v0, 16, 8
	v_bfe_i32 v175, v3, 16, 8
	v_perm_b32 v91, v91, v0, 0x6040503
	v_perm_b32 v101, v101, v0, 0x6040503
	v_perm_b32 v99, v99, v0, 0x6040503
	v_mul_i32_i24_e32 v10, v209, v200
	v_mul_i32_i24_e32 v151, v151, v170
	v_bfe_i32 v0, v0, 8, 8
	v_dot4_i32_iu8 v170, v212, v198, 0 neg_lo:[1,1,0]
	v_dot4_i32_iu8 v200, v213, v198, 0 neg_lo:[1,1,0]
	v_mul_i32_i24_e32 v97, v172, v156
	v_mad_i32_i24 v144, v205, v176, v148
	v_mul_i32_i24_e32 v6, v152, v199
	v_perm_b32 v152, v7, v7, 0x3020001
	v_add3_u32 v92, v159, v160, v96
	v_dot4_i32_iu8 v74, v11, v75, v74 neg_lo:[1,1,0]
	v_dot4_i32_iu8 v75, v11, v89, v88 neg_lo:[1,1,0]
	v_dot4_i32_iu8 v9, v11, v86, v9 neg_lo:[1,1,0]
	v_add3_u32 v11, v87, v80, v12
	v_dot4_i32_iu8 v12, v67, v7, v66 neg_lo:[1,1,0]
	v_dot4_i32_iu8 v7, v73, v7, v72 neg_lo:[1,1,0]
	v_add3_u32 v2, v2, v4, v95
	v_mul_i32_i24_e32 v175, v211, v175
	v_dot4_i32_iu8 v198, v214, v198, 0 neg_lo:[1,1,0]
	v_mul_i32_i24_e32 v0, v215, v0
	v_mad_i32_i24 v10, v153, v183, v10
	v_mad_i32_i24 v140, v206, v182, v150
	v_dot4_i32_iu8 v90, v90, v91, v170 neg_lo:[1,1,0]
	v_dot4_i32_iu8 v91, v100, v101, v200 neg_lo:[1,1,0]
	v_add3_u32 v14, v97, v14, v144
	v_bfe_i32 v227, v166, 8, 8
	v_mul_lo_u32 v7, v7, v221
	v_add3_u32 v2, v2, v92, v147
	v_mul_i32_i24_e32 v173, v203, v173
	v_mul_i32_i24_e32 v180, v204, v180
	v_dot4_i32_iu8 v98, v98, v99, v198 neg_lo:[1,1,0]
	v_mad_i32_i24 v0, v202, v179, v0
	v_mad_i32_i24 v99, v207, v184, v175
	v_dot4_i32_iu8 v70, v1, v70, v91 neg_lo:[1,1,0]
	v_add3_u32 v10, v140, v10, v14
	v_mul_lo_u32 v66, v75, v223
	v_mul_lo_u32 v2, v2, v227
	v_perm_b32 v143, v143, v143, 0x7060001
	v_dot4_i32_iu8 v5, v5, v142, v94 neg_lo:[1,1,0]
	v_dot4_i32_iu8 v68, v1, v68, v90 neg_lo:[1,1,0]
	;; [unrolled: 1-line block ×3, first 2 shown]
	v_add3_u32 v78, v173, v180, v99
	v_dot4_i32_iu8 v84, v15, v85, v84 neg_lo:[1,1,0]
	v_dot4_i32_iu8 v76, v15, v77, v76 neg_lo:[1,1,0]
	;; [unrolled: 1-line block ×4, first 2 shown]
	v_add3_u32 v0, v10, v6, v0
	v_bfe_i32 v224, v165, 8, 8
	v_bfe_i32 v228, v166, 0, 8
	v_dot4_i32_iu8 v5, v143, v152, v5 neg_lo:[1,1,0]
	v_mad_u32 v7, v15, v222, v7
	v_add3_u32 v0, v0, v78, v151
	v_mad_u32 v10, v76, v164, v66
	v_bfe_i32 v225, v165, 0, 8
	v_mul_lo_u32 v5, v5, v224
	v_dot4_i32_iu8 v1, v79, v3, v1 neg_lo:[1,1,0]
	v_mad_u32 v0, v0, v228, v2
	v_dual_ashrrev_i32 v226, 24, v165 :: v_dual_ashrrev_i32 v229, 24, v166
	v_bfe_i32 v165, v165, 16, 8
	v_bfe_i32 v166, v166, 16, 8
	v_cvt_f32_i32_e32 v7, v7
	v_dot4_i32_iu8 v14, v69, v3, v68 neg_lo:[1,1,0]
	v_mul_lo_u32 v3, v74, v232
	v_mul_lo_u32 v4, v9, v165
	v_mad_u32 v1, v1, v225, v5
	v_cvt_f32_i32_e32 v5, v10
	v_cvt_f32_i32_e32 v0, v0
	s_wait_dscnt 0x0
	v_fma_f32 v7, v82, v7, 0
	v_mul_lo_u32 v9, v12, v230
	s_add_co_i32 s17, s16, 8
	s_cmp_lt_u32 s16, 24
	v_fma_f32 v0, v82, v0, 0
	v_fmac_f32_e32 v7, v83, v5
	v_add_nc_u32_e32 v100, v139, v162
	v_mad_u32 v3, v84, v167, v3
	v_mad_u32 v2, v13, v226, v4
	v_cvt_f32_i32_e32 v1, v1
	v_fmac_f32_e32 v107, v134, v7
	v_add3_u32 v8, v100, v8, v174
	v_mad_u32 v9, v14, v231, v9
	s_mov_b32 s16, s17
	v_fma_f32 v1, v82, v1, 0
	s_delay_alu instid0(VALU_DEP_3) | instskip(SKIP_3) | instid1(VALU_DEP_4)
	v_add3_u32 v6, v8, v103, v145
	v_add3_u32 v8, v11, v104, v102
	v_cvt_f32_i32_e32 v3, v3
	v_cvt_f32_i32_e32 v2, v2
	v_mul_lo_u32 v6, v6, v166
	s_delay_alu instid0(VALU_DEP_2) | instskip(NEXT) | instid1(VALU_DEP_1)
	v_fmac_f32_e32 v1, v83, v2
	v_fmac_f32_e32 v65, v135, v1
	s_delay_alu instid0(VALU_DEP_3) | instskip(SKIP_1) | instid1(VALU_DEP_1)
	v_mad_u32 v4, v8, v229, v6
	v_cvt_f32_i32_e32 v6, v9
	v_fma_f32 v6, v82, v6, 0
	s_delay_alu instid0(VALU_DEP_3) | instskip(NEXT) | instid1(VALU_DEP_1)
	v_cvt_f32_i32_e32 v4, v4
	v_dual_fmac_f32 v6, v83, v3 :: v_dual_fmac_f32 v0, v83, v4
	s_delay_alu instid0(VALU_DEP_1)
	v_dual_fmac_f32 v110, v133, v6 :: v_dual_fmac_f32 v63, v136, v0
	s_cbranch_scc1 .LBB215_19
; %bb.20:                               ;   in Loop: Header=BB215_5 Depth=1
	s_barrier_signal -1
	s_barrier_wait -1
	s_branch .LBB215_4
.LBB215_21:
	s_mul_i32 s0, s7, s4
	s_wait_loadcnt 0x0
	v_cmp_gt_i32_e32 vcc_lo, s0, v17
	s_and_saveexec_b32 s0, vcc_lo
	s_cbranch_execz .LBB215_30
; %bb.22:
	v_mul_lo_u32 v0, v17, s6
	v_add_nc_u32_e32 v1, s18, v23
	s_mov_b32 s0, exec_lo
	s_delay_alu instid0(VALU_DEP_1)
	v_cmpx_gt_u32_e64 s6, v1
	s_cbranch_execz .LBB215_24
; %bb.23:
	s_delay_alu instid0(VALU_DEP_3)
	v_add_nc_u32_e32 v2, v0, v1
	v_cvt_f16_f32_e32 v3, v110
	global_store_b16 v2, v3, s[8:9] scale_offset
.LBB215_24:
	s_wait_xcnt 0x0
	s_or_b32 exec_lo, exec_lo, s0
	v_add_nc_u32_e32 v2, 32, v1
	s_mov_b32 s0, exec_lo
	s_delay_alu instid0(VALU_DEP_1)
	v_cmpx_gt_u32_e64 s6, v2
	s_cbranch_execz .LBB215_26
; %bb.25:
	v_add_nc_u32_e32 v2, v0, v2
	v_cvt_f16_f32_e32 v3, v107
	global_store_b16 v2, v3, s[8:9] scale_offset
.LBB215_26:
	s_wait_xcnt 0x0
	s_or_b32 exec_lo, exec_lo, s0
	v_add_nc_u32_e32 v2, 64, v1
	s_mov_b32 s0, exec_lo
	s_delay_alu instid0(VALU_DEP_1)
	v_cmpx_gt_u32_e64 s6, v2
	s_cbranch_execz .LBB215_28
; %bb.27:
	v_add_nc_u32_e32 v2, v0, v2
	v_cvt_f16_f32_e32 v3, v65
	global_store_b16 v2, v3, s[8:9] scale_offset
.LBB215_28:
	s_wait_xcnt 0x0
	s_or_b32 exec_lo, exec_lo, s0
	v_add_nc_u32_e32 v1, 0x60, v1
	s_delay_alu instid0(VALU_DEP_1)
	v_cmp_gt_u32_e32 vcc_lo, s6, v1
	s_and_b32 exec_lo, exec_lo, vcc_lo
	s_cbranch_execz .LBB215_30
; %bb.29:
	v_add_nc_u32_e32 v0, v0, v1
	v_cvt_f16_f32_e32 v1, v63
	global_store_b16 v0, v1, s[8:9] scale_offset
.LBB215_30:
	s_sendmsg sendmsg(MSG_DEALLOC_VGPRS)
	s_endpgm
	.section	.rodata,"a",@progbits
	.p2align	6, 0x0
	.amdhsa_kernel _ZL8moe_q6_KIN3c104HalfELb0EEvPKvS3_PT_PKiS7_S7_iiiiiii
		.amdhsa_group_segment_fixed_size 37072
		.amdhsa_private_segment_fixed_size 0
		.amdhsa_kernarg_size 76
		.amdhsa_user_sgpr_count 2
		.amdhsa_user_sgpr_dispatch_ptr 0
		.amdhsa_user_sgpr_queue_ptr 0
		.amdhsa_user_sgpr_kernarg_segment_ptr 1
		.amdhsa_user_sgpr_dispatch_id 0
		.amdhsa_user_sgpr_kernarg_preload_length 0
		.amdhsa_user_sgpr_kernarg_preload_offset 0
		.amdhsa_user_sgpr_private_segment_size 0
		.amdhsa_wavefront_size32 1
		.amdhsa_uses_dynamic_stack 0
		.amdhsa_enable_private_segment 0
		.amdhsa_system_sgpr_workgroup_id_x 1
		.amdhsa_system_sgpr_workgroup_id_y 1
		.amdhsa_system_sgpr_workgroup_id_z 0
		.amdhsa_system_sgpr_workgroup_info 0
		.amdhsa_system_vgpr_workitem_id 1
		.amdhsa_next_free_vgpr 235
		.amdhsa_next_free_sgpr 24
		.amdhsa_named_barrier_count 0
		.amdhsa_reserve_vcc 1
		.amdhsa_float_round_mode_32 0
		.amdhsa_float_round_mode_16_64 0
		.amdhsa_float_denorm_mode_32 3
		.amdhsa_float_denorm_mode_16_64 3
		.amdhsa_fp16_overflow 0
		.amdhsa_memory_ordered 1
		.amdhsa_forward_progress 1
		.amdhsa_inst_pref_size 119
		.amdhsa_round_robin_scheduling 0
		.amdhsa_exception_fp_ieee_invalid_op 0
		.amdhsa_exception_fp_denorm_src 0
		.amdhsa_exception_fp_ieee_div_zero 0
		.amdhsa_exception_fp_ieee_overflow 0
		.amdhsa_exception_fp_ieee_underflow 0
		.amdhsa_exception_fp_ieee_inexact 0
		.amdhsa_exception_int_div_zero 0
	.end_amdhsa_kernel
	.section	.text._ZL8moe_q6_KIN3c104HalfELb0EEvPKvS3_PT_PKiS7_S7_iiiiiii,"axG",@progbits,_ZL8moe_q6_KIN3c104HalfELb0EEvPKvS3_PT_PKiS7_S7_iiiiiii,comdat
.Lfunc_end215:
	.size	_ZL8moe_q6_KIN3c104HalfELb0EEvPKvS3_PT_PKiS7_S7_iiiiiii, .Lfunc_end215-_ZL8moe_q6_KIN3c104HalfELb0EEvPKvS3_PT_PKiS7_S7_iiiiiii
                                        ; -- End function
	.set _ZL8moe_q6_KIN3c104HalfELb0EEvPKvS3_PT_PKiS7_S7_iiiiiii.num_vgpr, 235
	.set _ZL8moe_q6_KIN3c104HalfELb0EEvPKvS3_PT_PKiS7_S7_iiiiiii.num_agpr, 0
	.set _ZL8moe_q6_KIN3c104HalfELb0EEvPKvS3_PT_PKiS7_S7_iiiiiii.numbered_sgpr, 24
	.set _ZL8moe_q6_KIN3c104HalfELb0EEvPKvS3_PT_PKiS7_S7_iiiiiii.num_named_barrier, 0
	.set _ZL8moe_q6_KIN3c104HalfELb0EEvPKvS3_PT_PKiS7_S7_iiiiiii.private_seg_size, 0
	.set _ZL8moe_q6_KIN3c104HalfELb0EEvPKvS3_PT_PKiS7_S7_iiiiiii.uses_vcc, 1
	.set _ZL8moe_q6_KIN3c104HalfELb0EEvPKvS3_PT_PKiS7_S7_iiiiiii.uses_flat_scratch, 0
	.set _ZL8moe_q6_KIN3c104HalfELb0EEvPKvS3_PT_PKiS7_S7_iiiiiii.has_dyn_sized_stack, 0
	.set _ZL8moe_q6_KIN3c104HalfELb0EEvPKvS3_PT_PKiS7_S7_iiiiiii.has_recursion, 0
	.set _ZL8moe_q6_KIN3c104HalfELb0EEvPKvS3_PT_PKiS7_S7_iiiiiii.has_indirect_call, 0
	.section	.AMDGPU.csdata,"",@progbits
; Kernel info:
; codeLenInByte = 15168
; TotalNumSgprs: 26
; NumVgprs: 235
; ScratchSize: 0
; MemoryBound: 0
; FloatMode: 240
; IeeeMode: 1
; LDSByteSize: 37072 bytes/workgroup (compile time only)
; SGPRBlocks: 0
; VGPRBlocks: 14
; NumSGPRsForWavesPerEU: 26
; NumVGPRsForWavesPerEU: 235
; NamedBarCnt: 0
; Occupancy: 4
; WaveLimiterHint : 1
; COMPUTE_PGM_RSRC2:SCRATCH_EN: 0
; COMPUTE_PGM_RSRC2:USER_SGPR: 2
; COMPUTE_PGM_RSRC2:TRAP_HANDLER: 0
; COMPUTE_PGM_RSRC2:TGID_X_EN: 1
; COMPUTE_PGM_RSRC2:TGID_Y_EN: 1
; COMPUTE_PGM_RSRC2:TGID_Z_EN: 0
; COMPUTE_PGM_RSRC2:TIDIG_COMP_CNT: 1
	.section	.text._ZL8moe_q6_KIN3c104HalfELb1EEvPKvS3_PT_PKiS7_S7_iiiiiii,"axG",@progbits,_ZL8moe_q6_KIN3c104HalfELb1EEvPKvS3_PT_PKiS7_S7_iiiiiii,comdat
	.globl	_ZL8moe_q6_KIN3c104HalfELb1EEvPKvS3_PT_PKiS7_S7_iiiiiii ; -- Begin function _ZL8moe_q6_KIN3c104HalfELb1EEvPKvS3_PT_PKiS7_S7_iiiiiii
	.p2align	8
	.type	_ZL8moe_q6_KIN3c104HalfELb1EEvPKvS3_PT_PKiS7_S7_iiiiiii,@function
_ZL8moe_q6_KIN3c104HalfELb1EEvPKvS3_PT_PKiS7_S7_iiiiiii: ; @_ZL8moe_q6_KIN3c104HalfELb1EEvPKvS3_PT_PKiS7_S7_iiiiiii
; %bb.0:
	s_load_b128 s[4:7], s[0:1], 0x18
	s_bfe_u32 s2, ttmp6, 0x40010
	s_bfe_u32 s8, ttmp6, 0x40004
	s_add_co_i32 s2, s2, 1
	s_delay_alu instid0(SALU_CYCLE_1)
	s_mul_i32 s3, ttmp7, s2
	s_getreg_b32 s2, hwreg(HW_REG_IB_STS2, 6, 4)
	s_add_co_i32 s8, s8, s3
	s_cmp_eq_u32 s2, 0
	s_cselect_b32 s3, ttmp7, s8
	s_wait_kmcnt 0x0
	s_load_b32 s14, s[6:7], s3 offset:0x0 scale_offset
	s_wait_kmcnt 0x0
	s_cmp_gt_u32 s14, 0xff
	s_cbranch_scc1 .LBB216_30
; %bb.1:
	s_load_b64 s[6:7], s[0:1], 0x28
	s_lshl_b32 s3, s3, 3
	s_wait_kmcnt 0x0
	s_load_b32 s6, s[6:7], 0x0
	s_wait_kmcnt 0x0
	s_cmp_gt_u32 s3, s6
	s_cbranch_scc1 .LBB216_30
; %bb.2:
	v_bfe_u32 v1, v0, 10, 10
	s_and_b32 s11, ttmp6, 15
	v_and_b32_e32 v29, 0x3ff, v0
	v_dual_mov_b32 v112, 0 :: v_dual_mov_b32 v115, 0
	s_delay_alu instid0(VALU_DEP_3)
	v_dual_mov_b32 v109, 0 :: v_dual_add_nc_u32 v2, s3, v1
	s_bfe_u32 s3, ttmp6, 0x4000c
	v_mov_b32_e32 v119, 0
	s_add_co_i32 s3, s3, 1
	global_load_b32 v17, v2, s[4:5] scale_offset
	s_wait_xcnt 0x0
	s_clause 0x2
	s_load_b128 s[4:7], s[0:1], 0x30
	s_load_b64 s[12:13], s[0:1], 0x10
	s_load_b96 s[8:10], s[0:1], 0x40
	s_mul_i32 s3, ttmp9, s3
	s_mov_b32 s15, 0
	s_add_co_i32 s11, s11, s3
	s_cmp_eq_u32 s2, 0
	s_cselect_b32 s2, ttmp9, s11
	s_delay_alu instid0(SALU_CYCLE_1)
	s_lshl_b32 s11, s2, 7
	s_wait_kmcnt 0x0
	s_cmp_lt_i32 s5, 0x100
	s_cbranch_scc1 .LBB216_21
; %bb.3:
	s_load_b128 s[0:3], s[0:1], 0x0
	v_and_b32_e32 v2, 31, v0
	s_mul_i32 s18, s14, s4
	v_dual_lshrrev_b32 v6, 1, v0 :: v_dual_bitop2_b32 v7, 7, v0 bitop3:0x40
	s_ashr_i32 s19, s18, 31
	s_delay_alu instid0(VALU_DEP_2)
	v_cmp_gt_u32_e32 vcc_lo, 16, v2
	v_lshlrev_b32_e32 v3, 1, v2
	s_ashr_i32 s17, s8, 31
	v_and_or_b32 v6, v6, 8, v7
	v_lshlrev_b32_e32 v45, 5, v1
	s_lshr_b32 s14, s17, 27
	v_add_nc_u32_e32 v5, 0xe0, v3
	s_add_co_i32 s8, s8, s14
	s_delay_alu instid0(VALU_DEP_2) | instskip(SKIP_1) | instid1(VALU_DEP_3)
	v_dual_lshlrev_b32 v20, 2, v6 :: v_dual_add_nc_u32 v15, v45, v29
	v_bfe_u32 v23, v0, 2, 8
	v_cndmask_b32_e32 v5, v5, v3, vcc_lo
	v_add_nc_u16 v4, v2, -16
	v_bfe_u32 v16, v0, 5, 5
	s_wait_kmcnt 0x0
	s_add_nc_u64 s[18:19], s[0:1], s[18:19]
	s_not_b32 s0, s11
	s_abs_i32 s1, s10
	s_add_co_i32 s0, s6, s0
	s_cvt_f32_u32 s6, s1
	v_dual_cndmask_b32 v4, v4, v2 :: v_dual_mov_b32 v19, 0
	v_dual_lshlrev_b32 v18, 2, v2 :: v_dual_min_i32 v7, s0, v1
	s_delay_alu instid0(SALU_CYCLE_1)
	v_rcp_iflag_f32_e32 v2, s6
	v_and_b32_e32 v15, 0x7f, v15
	s_sub_co_i32 s14, 0, s1
	v_lshl_add_u32 v23, v1, 3, v23
	v_and_b32_e32 v5, 0xfe, v5
	v_add_min_i32_e64 v6, v1, 16, s0
	v_min_i32_e32 v15, s0, v15
	v_readfirstlane_b32 s6, v2
	s_wait_loadcnt 0x0
	v_sub_nc_u32_e32 v2, 0, v17
	v_and_b32_e32 v25, 0x7f, v23
	v_bitop3_b32 v23, v23, 64, 0x7f bitop3:0x6c
	v_ashrrev_i32_e32 v22, 31, v15
	s_mul_f32 s6, s6, 0x4f7ffffe
	v_max_i32_e32 v2, v17, v2
	v_min_i32_e32 v62, s0, v25
	v_dual_sub_nc_u32 v3, v3, v5 :: v_dual_bitop2_b32 v5, 15, v0 bitop3:0x40
	s_cvt_u32_f32 s6, s6
	v_dual_lshrrev_b32 v22, 27, v22 :: v_dual_min_i32 v64, s0, v23
	v_add_min_i32_e64 v8, v1, 24, s0
	s_delay_alu instid0(SALU_CYCLE_1)
	s_mul_i32 s14, s14, s6
	v_add_lshl_u32 v3, v3, v5, 2
	s_mul_hi_u32 s14, s6, s14
	v_add_nc_u32_e32 v22, v15, v22
	s_add_co_i32 s6, s6, s14
	v_add_min_i32_e64 v5, v1, 8, s0
	v_mul_hi_u32 v24, v2, s6
	v_add_min_i32_e64 v9, v1, 32, s0
	v_ashrrev_i32_e32 v22, 5, v22
	v_add_min_i32_e64 v10, v1, 40, s0
	v_add_min_i32_e64 v11, v1, 48, s0
	;; [unrolled: 1-line block ×8, first 2 shown]
	v_mul_lo_u32 v23, v24, s1
	v_add_min_i32_e64 v54, 0x68, v1, s0
	v_add_min_i32_e64 v56, 0x70, v1, s0
	;; [unrolled: 1-line block ×3, first 2 shown]
	v_dual_lshlrev_b32 v22, 2, v22 :: v_dual_lshlrev_b32 v25, 2, v15
	v_dual_lshlrev_b32 v26, 2, v0 :: v_dual_ashrrev_i32 v27, 31, v62
	v_ashrrev_i32_e32 v28, 31, v64
	v_mad_u32 v31, 0x104, v7, v3
	v_mad_u32 v33, 0x104, v5, v3
	;; [unrolled: 1-line block ×16, first 2 shown]
	v_add3_u32 v65, v22, v25, 0x8e40
	v_dual_lshrrev_b32 v3, 29, v27 :: v_dual_bitop2_b32 v22, 12, v26 bitop3:0x40
	v_dual_lshrrev_b32 v25, 29, v28 :: v_dual_sub_nc_u32 v2, v2, v23
	v_dual_mov_b32 v23, v19 :: v_dual_add_nc_u32 v26, 1, v24
	s_delay_alu instid0(VALU_DEP_2) | instskip(NEXT) | instid1(VALU_DEP_3)
	v_dual_add_nc_u32 v3, v62, v3 :: v_dual_add_nc_u32 v25, v64, v25
	v_subrev_nc_u32_e32 v27, s1, v2
	v_cmp_le_u32_e32 vcc_lo, s1, v2
	s_delay_alu instid0(VALU_DEP_3) | instskip(NEXT) | instid1(VALU_DEP_4)
	v_dual_lshlrev_b32 v28, 2, v29 :: v_dual_ashrrev_i32 v3, 3, v3
	v_dual_ashrrev_i32 v25, 3, v25 :: v_dual_lshlrev_b32 v30, 4, v64
	s_delay_alu instid0(VALU_DEP_4) | instskip(NEXT) | instid1(VALU_DEP_3)
	v_dual_cndmask_b32 v24, v24, v26, vcc_lo :: v_dual_cndmask_b32 v2, v2, v27, vcc_lo
	v_dual_lshlrev_b32 v3, 2, v3 :: v_dual_bitop2_b32 v26, s10, v17 bitop3:0x14
	s_delay_alu instid0(VALU_DEP_2) | instskip(NEXT) | instid1(VALU_DEP_3)
	v_dual_lshlrev_b32 v25, 2, v25 :: v_dual_add_nc_u32 v27, 1, v24
	v_cmp_le_u32_e32 vcc_lo, s1, v2
	s_delay_alu instid0(VALU_DEP_3) | instskip(NEXT) | instid1(VALU_DEP_3)
	v_dual_ashrrev_i32 v26, 31, v26 :: v_dual_add_nc_u32 v34, 32, v29
	v_add3_u32 v25, v25, v22, 0x8200
	s_delay_alu instid0(VALU_DEP_4)
	v_dual_mov_b32 v21, v19 :: v_dual_cndmask_b32 v2, v24, v27
	v_add3_u32 v24, v3, v22, 0x8200
	v_lshlrev_b32_e32 v27, 4, v62
	v_add_nc_u32_e32 v32, 0x9050, v28
	v_lshl_or_b32 v36, v1, 7, v18
	v_xor_b32_e32 v3, v2, v26
	v_dual_lshlrev_b32 v1, 4, v1 :: v_dual_bitop2_b32 v2, 28, v28 bitop3:0x40
	v_dual_add_nc_u32 v106, v24, v27 :: v_dual_lshrrev_b32 v107, 3, v34
	s_delay_alu instid0(VALU_DEP_3) | instskip(SKIP_4) | instid1(VALU_DEP_3)
	v_sub_nc_u32_e32 v26, v3, v26
	v_dual_add_nc_u32 v110, v25, v30 :: v_dual_lshlrev_b32 v24, 2, v16
	v_dual_add_nc_u32 v25, 64, v29 :: v_dual_mov_b32 v3, v19
	v_dual_mov_b32 v112, v19 :: v_dual_add_nc_u32 v27, 0x60, v29
	v_dual_add_nc_u32 v111, v32, v1 :: v_dual_bitop2_b32 v1, 60, v107 bitop3:0x40
	v_lshrrev_b32_e32 v30, 3, v25
	s_ashr_i32 s8, s8, 5
	v_add3_u32 v114, v24, v28, 0x8e40
	v_mul_lo_u32 v24, v26, s8
	v_lshrrev_b32_e32 v32, 3, v27
	v_bfe_u32 v113, v0, 3, 7
	v_lshlrev_b32_e32 v0, 2, v34
	v_and_b32_e32 v34, 60, v30
	s_ashr_i32 s16, s5, 31
	v_dual_mov_b32 v119, v19 :: v_dual_add_nc_u32 v108, 0x8a40, v36
	s_lshr_b32 s4, s16, 24
	v_and_b32_e32 v36, 60, v32
	v_add3_u32 v116, v28, v1, 0x8e40
	v_lshlrev_b32_e32 v1, 2, v25
	v_add3_u32 v117, v28, v34, 0x8e40
	v_lshlrev_b32_e32 v34, 2, v27
	s_add_co_i32 s4, s5, s4
	v_add3_u32 v118, v28, v36, 0x8e40
	s_ashr_i32 s4, s4, 8
	v_dual_ashrrev_i32 v25, 31, v24 :: v_dual_lshlrev_b32 v122, 2, v30
	v_dual_lshlrev_b32 v120, 2, v28 :: v_dual_lshlrev_b32 v123, 2, v1
	v_dual_lshlrev_b32 v121, 2, v0 :: v_dual_lshlrev_b32 v125, 2, v34
	;; [unrolled: 1-line block ×3, first 2 shown]
	v_mul_lo_u32 v28, v7, s4
	v_mul_lo_u32 v30, v5, s4
	;; [unrolled: 1-line block ×19, first 2 shown]
	v_cmp_lt_u16_e32 vcc_lo, 7, v4
	s_mul_i32 s16, s4, s11
	v_cmp_gt_u32_e64 s0, 4, v29
	v_cmp_gt_i32_e64 s1, s7, v26
	s_movk_i32 s6, 0x2080
	s_movk_i32 s14, 0x4100
	;; [unrolled: 1-line block ×3, first 2 shown]
	v_add_nc_u64_e32 v[26:27], s[2:3], v[2:3]
	s_ashr_i32 s17, s16, 31
	v_cndmask_b32_e64 v126, 0, 2, vcc_lo
	v_mul_u32_u24_e32 v127, 0x104, v29
	v_mad_u32_u24 v128, 0x104, v29, s6
	v_mad_u32_u24 v129, 0x104, v29, s14
	;; [unrolled: 1-line block ×3, first 2 shown]
	v_dual_mov_b32 v115, v19 :: v_dual_lshlrev_b32 v132, 2, v107
	v_mov_b32_e32 v109, v19
	s_mul_u64 s[16:17], s[16:17], 0xd2
	s_and_b32 s6, s0, s1
	s_add_nc_u64 s[16:17], s[18:19], s[16:17]
	s_mov_b32 s14, s15
	s_branch .LBB216_5
.LBB216_4:                              ;   in Loop: Header=BB216_5 Depth=1
	s_add_co_i32 s14, s14, 1
	s_delay_alu instid0(SALU_CYCLE_1)
	s_cmp_eq_u32 s14, s4
	s_cbranch_scc1 .LBB216_21
.LBB216_5:                              ; =>This Loop Header: Depth=1
                                        ;     Child Loop BB216_11 Depth 2
                                        ;     Child Loop BB216_19 Depth 2
	s_mul_u64 s[18:19], s[14:15], 0xd2
	s_delay_alu instid0(SALU_CYCLE_1) | instskip(NEXT) | instid1(SALU_CYCLE_1)
	s_add_nc_u64 s[18:19], s[16:17], s[18:19]
	v_mad_nc_u64_u32 v[0:1], 0xd2, v16, s[18:19]
	s_delay_alu instid0(VALU_DEP_1)
	v_mad_nc_i64_i32 v[2:3], 0xd2, v28, v[0:1]
	v_mad_nc_i64_i32 v[4:5], 0xd2, v30, v[0:1]
	;; [unrolled: 1-line block ×9, first 2 shown]
	v_add_nc_u64_e32 v[70:71], v[2:3], v[20:21]
	v_add_nc_u64_e32 v[72:73], v[4:5], v[20:21]
	;; [unrolled: 1-line block ×8, first 2 shown]
	s_clause 0x7
	global_load_b32 v78, v[70:71], off offset:128
	global_load_b32 v79, v[72:73], off offset:128
	global_load_b32 v80, v[74:75], off
	global_load_b32 v81, v[6:7], off offset:128
	global_load_b32 v82, v[76:77], off
	;; [unrolled: 2-line block ×3, first 2 shown]
	global_load_b32 v85, v[2:3], off
	s_wait_xcnt 0x0
	v_mad_nc_i64_i32 v[2:3], 0xd2, v46, v[0:1]
	v_add_nc_u64_e32 v[4:5], v[10:11], v[18:19]
	v_add_nc_u64_e32 v[6:7], v[10:11], v[20:21]
	;; [unrolled: 1-line block ×8, first 2 shown]
	s_clause 0x1
	global_load_b32 v74, v[4:5], off
	global_load_b32 v75, v[6:7], off offset:128
	s_wait_xcnt 0x0
	v_add_nc_u64_e32 v[6:7], v[68:69], v[20:21]
	v_add_nc_u64_e32 v[4:5], v[68:69], v[18:19]
	s_clause 0x3
	global_load_b32 v76, v[10:11], off offset:128
	global_load_b32 v77, v[8:9], off
	global_load_b32 v86, v[12:13], off
	global_load_b32 v87, v[14:15], off offset:128
	s_wait_xcnt 0x2
	v_add_nc_u64_e32 v[8:9], v[2:3], v[18:19]
	v_add_nc_u64_e32 v[2:3], v[2:3], v[20:21]
	s_clause 0x5
	global_load_b32 v88, v[66:67], off offset:128
	global_load_b32 v89, v[70:71], off
	global_load_b32 v90, v[6:7], off offset:128
	global_load_b32 v91, v[4:5], off
	;; [unrolled: 2-line block ×3, first 2 shown]
	s_wait_xcnt 0x1
	v_mad_nc_i64_i32 v[2:3], 0xd2, v62, s[18:19]
	v_mad_nc_i64_i32 v[4:5], 0xd2, v64, s[18:19]
	v_mad_nc_i64_i32 v[6:7], 0xd2, v60, s[18:19]
	s_wait_xcnt 0x0
	v_mad_nc_i64_i32 v[8:9], 0xd2, v48, v[0:1]
	v_mad_nc_i64_i32 v[10:11], 0xd2, v50, v[0:1]
	v_mad_nc_i64_i32 v[12:13], 0xd2, v52, v[0:1]
	v_mad_nc_i64_i32 v[14:15], 0xd2, v54, v[0:1]
	v_mad_nc_i64_i32 v[66:67], 0xd2, v56, v[0:1]
	v_mad_nc_i64_i32 v[0:1], 0xd2, v58, v[0:1]
	s_lshl_b32 s18, s14, 8
	v_add_nc_u64_e32 v[2:3], v[2:3], v[22:23]
	v_add_nc_u64_e32 v[4:5], v[4:5], v[22:23]
	s_clause 0x2
	global_load_u16 v94, v[6:7], off offset:208
	global_load_b32 v95, v[2:3], off offset:192
	global_load_b32 v96, v[4:5], off offset:192
	s_wait_xcnt 0x1
	v_add_nc_u64_e32 v[2:3], v[8:9], v[18:19]
	s_wait_xcnt 0x0
	v_add_nc_u64_e32 v[4:5], v[8:9], v[20:21]
	v_add_nc_u64_e32 v[6:7], v[10:11], v[18:19]
	;; [unrolled: 1-line block ×11, first 2 shown]
	s_clause 0xb
	global_load_b32 v97, v[2:3], off
	global_load_b32 v98, v[4:5], off offset:128
	global_load_b32 v99, v[6:7], off
	global_load_b32 v100, v[8:9], off offset:128
	;; [unrolled: 2-line block ×6, first 2 shown]
	s_cmp_lt_i32 s18, s5
	s_wait_loadcnt 0x21
	s_wait_xcnt 0x0
	v_dual_ashrrev_i32 v0, v126, v78 :: v_dual_ashrrev_i32 v3, v126, v79
	s_wait_loadcnt 0x1f
	v_dual_lshrrev_b32 v8, 4, v80 :: v_dual_ashrrev_i32 v6, v126, v81
	s_wait_loadcnt 0x1d
	v_dual_lshrrev_b32 v11, 4, v82 :: v_dual_ashrrev_i32 v9, v126, v83
	s_wait_loadcnt 0x1b
	v_dual_lshrrev_b32 v5, 4, v84 :: v_dual_lshrrev_b32 v2, 4, v85
	v_and_b32_e32 v1, 0xf0f0f0f, v85
	v_and_b32_e32 v7, 0xf0f0f0f, v80
	v_dual_lshlrev_b32 v80, 4, v0 :: v_dual_lshlrev_b32 v81, 4, v3
	s_delay_alu instid0(VALU_DEP_4)
	v_and_b32_e32 v2, 0xf0f0f0f, v2
	v_and_b32_e32 v4, 0xf0f0f0f, v84
	;; [unrolled: 1-line block ×4, first 2 shown]
	s_wait_loadcnt 0x19
	v_dual_lshrrev_b32 v14, 4, v74 :: v_dual_ashrrev_i32 v12, v126, v75
	s_wait_loadcnt 0x17
	v_dual_ashrrev_i32 v15, v126, v76 :: v_dual_lshrrev_b32 v67, 4, v77
	s_wait_loadcnt 0x15
	v_dual_ashrrev_i32 v68, v126, v87 :: v_dual_lshrrev_b32 v70, 4, v86
	s_wait_loadcnt 0x13
	v_dual_ashrrev_i32 v71, v126, v88 :: v_dual_lshrrev_b32 v73, 4, v89
	v_and_b32_e32 v13, 0xf0f0f0f, v74
	s_wait_loadcnt 0x11
	v_dual_ashrrev_i32 v74, v126, v90 :: v_dual_lshrrev_b32 v76, 4, v91
	v_dual_lshlrev_b32 v82, 4, v6 :: v_dual_lshlrev_b32 v83, 4, v9
	v_and_b32_e32 v8, 0xf0f0f0f, v8
	v_and_b32_e32 v11, 0xf0f0f0f, v11
	v_dual_lshlrev_b32 v84, 4, v12 :: v_dual_lshlrev_b32 v85, 4, v15
	v_and_b32_e32 v14, 0xf0f0f0f, v14
	v_and_b32_e32 v66, 0xf0f0f0f, v77
	;; [unrolled: 1-line block ×5, first 2 shown]
	v_dual_lshlrev_b32 v86, 4, v68 :: v_dual_lshlrev_b32 v87, 4, v71
	v_and_b32_e32 v70, 0xf0f0f0f, v70
	v_and_b32_e32 v73, 0xf0f0f0f, v73
	v_and_or_b32 v1, 0x30303030, v80, v1
	v_and_or_b32 v0, 0x30303030, v0, v2
	v_and_b32_e32 v75, 0xf0f0f0f, v91
	s_wait_loadcnt 0xf
	v_dual_ashrrev_i32 v77, v126, v92 :: v_dual_lshrrev_b32 v79, 4, v93
	v_lshlrev_b32_e32 v88, 4, v74
	v_and_b32_e32 v76, 0xf0f0f0f, v76
	v_and_or_b32 v2, 0x30303030, v81, v4
	v_and_or_b32 v3, 0x30303030, v3, v5
	;; [unrolled: 1-line block ×14, first 2 shown]
	v_lshlrev_b16 v68, 8, v1
	v_dual_lshrrev_b32 v69, 16, v1 :: v_dual_lshrrev_b32 v71, 16, v0
	v_lshlrev_b16 v70, 8, v0
	v_lshlrev_b32_e32 v89, 4, v77
	v_and_or_b32 v66, 0x30303030, v88, v75
	v_and_or_b32 v67, 0x30303030, v74, v76
	v_lshlrev_b16 v72, 8, v2
	v_dual_lshrrev_b32 v73, 16, v2 :: v_dual_lshrrev_b32 v75, 16, v3
	v_lshlrev_b16 v74, 8, v3
	v_lshlrev_b16 v76, 8, v4
	v_dual_lshrrev_b32 v80, 16, v4 :: v_dual_lshrrev_b32 v82, 16, v5
	v_lshlrev_b16 v81, 8, v5
	;; [unrolled: 3-line block ×4, first 2 shown]
	v_and_b32_e32 v78, 0xf0f0f0f, v93
	v_lshlrev_b16 v92, 8, v10
	v_dual_lshrrev_b32 v93, 16, v10 :: v_dual_lshrrev_b32 v137, 16, v11
	v_lshlrev_b16 v136, 8, v11
	v_lshlrev_b16 v138, 8, v12
	v_dual_lshrrev_b32 v139, 16, v12 :: v_dual_lshrrev_b32 v141, 16, v13
	v_lshlrev_b16 v140, 8, v13
	;; [unrolled: 3-line block ×3, first 2 shown]
	v_add_nc_u16 v68, 0xe000, v68
	v_lshlrev_b16 v150, 8, v69
	v_add_nc_u16 v70, 0xe000, v70
	v_lshlrev_b16 v151, 8, v71
	;; [unrolled: 2-line block ×16, first 2 shown]
	v_lshrrev_b16 v68, 8, v68
	v_add_nc_u16 v150, 0xe000, v150
	v_lshrrev_b16 v70, 8, v70
	v_add_nc_u16 v151, 0xe000, v151
	;; [unrolled: 2-line block ×16, first 2 shown]
	v_bitop3_b16 v1, v1, v68, 0x3f00 bitop3:0xec
	v_lshrrev_b16 v68, 8, v150
	v_bitop3_b16 v0, v0, v70, 0x3f00 bitop3:0xec
	v_lshrrev_b16 v70, 8, v151
	;; [unrolled: 2-line block ×10, first 2 shown]
	v_lshlrev_b16 v146, 8, v66
	v_dual_lshrrev_b32 v147, 16, v66 :: v_dual_lshrrev_b32 v149, 16, v67
	v_lshlrev_b16 v148, 8, v67
	v_bitop3_b16 v10, v10, v92, 0x3f00 bitop3:0xec
	v_lshrrev_b16 v92, 8, v160
	v_bitop3_b16 v11, v11, v136, 0x3f00 bitop3:0xec
	v_lshrrev_b16 v136, 8, v161
	;; [unrolled: 2-line block ×6, first 2 shown]
	v_bitop3_b16 v68, v69, v68, 0x3f00 bitop3:0xec
	v_bitop3_b16 v69, v71, v70, 0x3f00 bitop3:0xec
	;; [unrolled: 1-line block ×10, first 2 shown]
	v_add_nc_u16 v146, 0xe000, v146
	v_lshlrev_b16 v166, 8, v147
	v_add_nc_u16 v148, 0xe000, v148
	v_lshlrev_b16 v167, 8, v149
	v_add_nc_u16 v1, 0xe000, v1
	v_add_nc_u16 v0, 0xe000, v0
	v_bitop3_b16 v81, v93, v92, 0x3f00 bitop3:0xec
	v_bitop3_b16 v82, v137, v136, 0x3f00 bitop3:0xec
	;; [unrolled: 1-line block ×6, first 2 shown]
	v_add_nc_u16 v68, 0xe000, v68
	v_add_nc_u16 v69, 0xe000, v69
	;; [unrolled: 1-line block ×18, first 2 shown]
	v_lshrrev_b16 v146, 8, v146
	v_add_nc_u16 v166, 0xe000, v166
	v_lshrrev_b16 v148, 8, v148
	v_add_nc_u16 v167, 0xe000, v167
	v_add_nc_u16 v10, 0xe000, v10
	;; [unrolled: 1-line block ×7, first 2 shown]
	v_and_b32_e32 v1, 0xffff, v1
	v_and_b32_e32 v0, 0xffff, v0
	v_add_nc_u16 v81, 0xe000, v81
	v_add_nc_u16 v82, 0xe000, v82
	;; [unrolled: 1-line block ×6, first 2 shown]
	v_dual_lshlrev_b32 v68, 16, v68 :: v_dual_lshlrev_b32 v69, 16, v69
	v_and_b32_e32 v2, 0xffff, v2
	v_and_b32_e32 v3, 0xffff, v3
	v_dual_lshlrev_b32 v70, 16, v70 :: v_dual_lshlrev_b32 v71, 16, v71
	v_and_b32_e32 v4, 0xffff, v4
	v_and_b32_e32 v5, 0xffff, v5
	;; [unrolled: 3-line block ×4, first 2 shown]
	v_dual_lshlrev_b32 v76, 16, v76 :: v_dual_lshlrev_b32 v81, 16, v81
	v_dual_lshlrev_b32 v80, 16, v80 :: v_dual_lshlrev_b32 v82, 16, v82
	v_bitop3_b16 v66, v66, v146, 0x3f00 bitop3:0xec
	v_lshrrev_b16 v146, 8, v166
	v_bitop3_b16 v67, v67, v148, 0x3f00 bitop3:0xec
	v_lshrrev_b16 v148, 8, v167
	v_and_b32_e32 v10, 0xffff, v10
	v_and_b32_e32 v11, 0xffff, v11
	;; [unrolled: 1-line block ×6, first 2 shown]
	v_dual_lshlrev_b32 v83, 16, v83 :: v_dual_lshlrev_b32 v84, 16, v84
	v_dual_lshlrev_b32 v85, 16, v85 :: v_dual_lshlrev_b32 v86, 16, v86
	v_or_b32_e32 v1, v1, v68
	v_or_b32_e32 v0, v0, v69
	;; [unrolled: 1-line block ×10, first 2 shown]
	v_bitop3_b16 v87, v147, v146, 0x3f00 bitop3:0xec
	v_bitop3_b16 v88, v149, v148, 0x3f00 bitop3:0xec
	v_or_b32_e32 v10, v10, v81
	v_or_b32_e32 v11, v11, v82
	v_or_b32_e32 v12, v12, v83
	v_or_b32_e32 v13, v13, v84
	v_or_b32_e32 v14, v14, v85
	v_or_b32_e32 v15, v15, v86
	ds_store_2addr_b32 v31, v1, v0 offset1:16
	ds_store_2addr_b32 v33, v2, v3 offset1:16
	;; [unrolled: 1-line block ×8, first 2 shown]
	v_and_or_b32 v4, 0x30303030, v89, v78
	v_add_nc_u16 v66, 0xe000, v66
	v_add_nc_u16 v0, 0xe000, v87
	v_add_nc_u16 v2, 0xe000, v67
	v_and_b32_e32 v3, 0xf0f0f0f, v79
	v_add_nc_u16 v5, 0xe000, v88
	v_lshlrev_b16 v6, 8, v4
	v_and_b32_e32 v1, 0xffff, v66
	v_lshlrev_b32_e32 v0, 16, v0
	v_and_b32_e32 v2, 0xffff, v2
	v_and_or_b32 v3, 0x30303030, v77, v3
	v_lshlrev_b32_e32 v5, 16, v5
	v_add_nc_u16 v6, 0xe000, v6
	v_lshrrev_b32_e32 v7, 16, v4
	s_delay_alu instid0(VALU_DEP_4) | instskip(NEXT) | instid1(VALU_DEP_4)
	v_dual_lshrrev_b32 v1, 16, v3 :: v_dual_bitop2_b32 v0, v1, v0 bitop3:0x54
	v_or_b32_e32 v2, v2, v5
	v_lshlrev_b16 v8, 8, v3
	v_lshrrev_b16 v6, 8, v6
	v_lshlrev_b16 v5, 8, v7
	v_lshlrev_b16 v9, 8, v1
	ds_store_2addr_b32 v49, v0, v2 offset1:16
	v_add_nc_u16 v2, 0xe000, v8
	v_bitop3_b16 v4, v4, v6, 0x3f00 bitop3:0xec
	s_wait_loadcnt 0xa
	v_ashrrev_i32_e32 v6, v126, v98
	v_add_nc_u16 v0, 0xe000, v5
	v_add_nc_u16 v5, 0xe000, v9
	v_lshrrev_b16 v2, 8, v2
	v_and_b32_e32 v8, 0xf0f0f0f, v97
	v_lshlrev_b32_e32 v9, 4, v6
	v_lshrrev_b16 v0, 8, v0
	v_lshrrev_b16 v5, 8, v5
	v_bitop3_b16 v2, v3, v2, 0x3f00 bitop3:0xec
	v_add_nc_u16 v3, 0xe000, v4
	v_and_or_b32 v4, 0x30303030, v9, v8
	v_bitop3_b16 v0, v7, v0, 0x3f00 bitop3:0xec
	v_bitop3_b16 v1, v1, v5, 0x3f00 bitop3:0xec
	v_lshrrev_b32_e32 v5, 4, v97
	v_add_nc_u16 v2, 0xe000, v2
	v_lshrrev_b32_e32 v7, 16, v4
	v_add_nc_u16 v0, 0xe000, v0
	v_add_nc_u16 v1, 0xe000, v1
	v_and_b32_e32 v5, 0xf0f0f0f, v5
	v_lshlrev_b16 v8, 8, v4
	v_lshlrev_b16 v9, 8, v7
	v_and_b32_e32 v3, 0xffff, v3
	v_lshlrev_b32_e32 v0, 16, v0
	v_and_b32_e32 v2, 0xffff, v2
	v_lshlrev_b32_e32 v1, 16, v1
	v_and_or_b32 v5, 0x30303030, v6, v5
	v_add_nc_u16 v6, 0xe000, v8
	v_add_nc_u16 v8, 0xe000, v9
	v_or_b32_e32 v0, v3, v0
	v_or_b32_e32 v1, v2, v1
	v_lshrrev_b32_e32 v2, 16, v5
	v_lshrrev_b16 v3, 8, v6
	v_lshrrev_b16 v6, 8, v8
	v_lshlrev_b16 v8, 8, v5
	ds_store_2addr_b32 v51, v0, v1 offset1:16
	v_lshlrev_b16 v0, 8, v2
	v_bitop3_b16 v1, v4, v3, 0x3f00 bitop3:0xec
	v_bitop3_b16 v3, v7, v6, 0x3f00 bitop3:0xec
	s_wait_loadcnt 0x8
	v_ashrrev_i32_e32 v6, v126, v100
	v_add_nc_u16 v4, 0xe000, v8
	v_add_nc_u16 v0, 0xe000, v0
	;; [unrolled: 1-line block ×4, first 2 shown]
	v_and_b32_e32 v7, 0xf0f0f0f, v99
	v_lshlrev_b32_e32 v8, 4, v6
	v_lshrrev_b16 v4, 8, v4
	v_lshrrev_b16 v0, 8, v0
	v_and_b32_e32 v1, 0xffff, v1
	v_lshlrev_b32_e32 v3, 16, v3
	v_and_or_b32 v7, 0x30303030, v8, v7
	v_lshrrev_b32_e32 v8, 4, v99
	v_bitop3_b16 v4, v5, v4, 0x3f00 bitop3:0xec
	v_bitop3_b16 v0, v2, v0, 0x3f00 bitop3:0xec
	v_or_b32_e32 v1, v1, v3
	v_lshrrev_b32_e32 v2, 16, v7
	v_and_b32_e32 v3, 0xf0f0f0f, v8
	v_add_nc_u16 v4, 0xe000, v4
	v_add_nc_u16 v0, 0xe000, v0
	v_lshlrev_b16 v5, 8, v7
	v_lshlrev_b16 v8, 8, v2
	v_and_or_b32 v3, 0x30303030, v6, v3
	v_and_b32_e32 v4, 0xffff, v4
	v_lshlrev_b32_e32 v0, 16, v0
	v_add_nc_u16 v5, 0xe000, v5
	v_add_nc_u16 v6, 0xe000, v8
	v_lshlrev_b16 v8, 8, v3
	s_delay_alu instid0(VALU_DEP_4) | instskip(NEXT) | instid1(VALU_DEP_4)
	v_dual_lshrrev_b32 v9, 16, v3 :: v_dual_bitop2_b32 v0, v4, v0 bitop3:0x54
	v_lshrrev_b16 v4, 8, v5
	s_delay_alu instid0(VALU_DEP_4) | instskip(NEXT) | instid1(VALU_DEP_4)
	v_lshrrev_b16 v5, 8, v6
	v_add_nc_u16 v6, 0xe000, v8
	s_delay_alu instid0(VALU_DEP_4)
	v_lshlrev_b16 v8, 8, v9
	ds_store_2addr_b32 v53, v1, v0 offset1:16
	v_bitop3_b16 v0, v7, v4, 0x3f00 bitop3:0xec
	v_bitop3_b16 v1, v2, v5, 0x3f00 bitop3:0xec
	v_lshrrev_b16 v2, 8, v6
	v_add_nc_u16 v4, 0xe000, v8
	s_wait_loadcnt 0x6
	v_ashrrev_i32_e32 v5, v126, v102
	v_add_nc_u16 v0, 0xe000, v0
	v_add_nc_u16 v1, 0xe000, v1
	v_and_b32_e32 v6, 0xf0f0f0f, v101
	v_lshrrev_b16 v4, 8, v4
	v_lshrrev_b32_e32 v7, 4, v101
	v_lshlrev_b32_e32 v8, 4, v5
	v_bitop3_b16 v2, v3, v2, 0x3f00 bitop3:0xec
	v_and_b32_e32 v0, 0xffff, v0
	v_bitop3_b16 v3, v9, v4, 0x3f00 bitop3:0xec
	v_and_b32_e32 v7, 0xf0f0f0f, v7
	v_and_or_b32 v6, 0x30303030, v8, v6
	v_add_nc_u16 v2, 0xe000, v2
	s_wait_loadcnt 0x1
	v_lshrrev_b32_e32 v11, 4, v134
	v_add_nc_u16 v3, 0xe000, v3
	v_dual_lshlrev_b32 v1, 16, v1 :: v_dual_lshrrev_b32 v4, 16, v6
	v_and_b32_e32 v2, 0xffff, v2
	v_and_b32_e32 v12, 0xf0f0f0f, v134
	s_delay_alu instid0(VALU_DEP_3) | instskip(SKIP_4) | instid1(VALU_DEP_4)
	v_dual_lshlrev_b32 v3, 16, v3 :: v_dual_bitop2_b32 v0, v0, v1 bitop3:0x54
	v_and_or_b32 v1, 0x30303030, v5, v7
	v_lshlrev_b16 v5, 8, v6
	v_lshlrev_b16 v8, 8, v4
	v_and_b32_e32 v11, 0xf0f0f0f, v11
	v_lshrrev_b32_e32 v7, 16, v1
	v_lshlrev_b16 v9, 8, v1
	v_add_nc_u16 v5, 0xe000, v5
	v_add_nc_u16 v8, 0xe000, v8
	s_delay_alu instid0(VALU_DEP_4) | instskip(NEXT) | instid1(VALU_DEP_4)
	v_lshlrev_b16 v10, 8, v7
	v_add_nc_u16 v9, 0xe000, v9
	s_delay_alu instid0(VALU_DEP_4) | instskip(NEXT) | instid1(VALU_DEP_4)
	v_lshrrev_b16 v5, 8, v5
	v_lshrrev_b16 v8, 8, v8
	s_delay_alu instid0(VALU_DEP_4) | instskip(NEXT) | instid1(VALU_DEP_3)
	v_add_nc_u16 v10, 0xe000, v10
	v_bitop3_b16 v5, v6, v5, 0x3f00 bitop3:0xec
	s_delay_alu instid0(VALU_DEP_3)
	v_bitop3_b16 v4, v4, v8, 0x3f00 bitop3:0xec
	v_ashrrev_i32_e32 v8, v126, v104
	v_or_b32_e32 v2, v2, v3
	v_lshrrev_b16 v3, 8, v9
	v_lshrrev_b16 v6, 8, v10
	v_lshrrev_b32_e32 v9, 4, v103
	v_add_nc_u16 v4, 0xe000, v4
	s_delay_alu instid0(VALU_DEP_4)
	v_bitop3_b16 v1, v1, v3, 0x3f00 bitop3:0xec
	v_add_nc_u16 v3, 0xe000, v5
	v_bitop3_b16 v5, v7, v6, 0x3f00 bitop3:0xec
	v_and_b32_e32 v6, 0xf0f0f0f, v103
	v_lshlrev_b32_e32 v7, 4, v8
	v_add_nc_u16 v1, 0xe000, v1
	v_and_b32_e32 v3, 0xffff, v3
	v_add_nc_u16 v5, 0xe000, v5
	ds_store_2addr_b32 v55, v0, v2 offset1:16
	v_and_or_b32 v6, 0x30303030, v7, v6
	v_lshlrev_b32_e32 v4, 16, v4
	v_and_b32_e32 v7, 0xf0f0f0f, v9
	v_and_b32_e32 v1, 0xffff, v1
	s_delay_alu instid0(VALU_DEP_4) | instskip(NEXT) | instid1(VALU_DEP_4)
	v_dual_lshrrev_b32 v9, 16, v6 :: v_dual_lshlrev_b32 v5, 16, v5
	v_or_b32_e32 v3, v3, v4
	s_delay_alu instid0(VALU_DEP_4) | instskip(SKIP_1) | instid1(VALU_DEP_4)
	v_and_or_b32 v4, 0x30303030, v8, v7
	v_lshlrev_b16 v10, 8, v6
	v_lshlrev_b16 v7, 8, v9
	v_or_b32_e32 v1, v1, v5
	s_delay_alu instid0(VALU_DEP_4) | instskip(NEXT) | instid1(VALU_DEP_4)
	v_lshlrev_b16 v0, 8, v4
	v_add_nc_u16 v5, 0xe000, v10
	s_delay_alu instid0(VALU_DEP_4)
	v_add_nc_u16 v2, 0xe000, v7
	v_lshrrev_b32_e32 v7, 16, v4
	ds_store_2addr_b32 v57, v3, v1 offset1:16
	v_add_nc_u16 v0, 0xe000, v0
	v_lshrrev_b16 v5, 8, v5
	v_lshrrev_b16 v1, 8, v2
	v_lshlrev_b16 v2, 8, v7
	s_wait_loadcnt 0x0
	v_ashrrev_i32_e32 v10, v126, v135
	v_lshrrev_b16 v0, 8, v0
	v_bitop3_b16 v3, v6, v5, 0x3f00 bitop3:0xec
	v_ashrrev_i32_e32 v5, v126, v133
	v_add_nc_u16 v2, 0xe000, v2
	v_bitop3_b16 v1, v9, v1, 0x3f00 bitop3:0xec
	v_and_b32_e32 v6, 0xf0f0f0f, v105
	v_bitop3_b16 v0, v4, v0, 0x3f00 bitop3:0xec
	v_lshlrev_b32_e32 v8, 4, v5
	v_lshrrev_b16 v2, 8, v2
	v_add_nc_u16 v3, 0xe000, v3
	v_add_nc_u16 v1, 0xe000, v1
	v_lshlrev_b32_e32 v13, 4, v10
	v_and_or_b32 v4, 0x30303030, v8, v6
	v_bitop3_b16 v2, v7, v2, 0x3f00 bitop3:0xec
	v_and_b32_e32 v3, 0xffff, v3
	v_lshlrev_b32_e32 v1, 16, v1
	v_add_nc_u16 v0, 0xe000, v0
	v_lshlrev_b16 v7, 8, v4
	v_add_nc_u16 v2, 0xe000, v2
	v_dual_lshrrev_b32 v6, 4, v105 :: v_dual_lshrrev_b32 v8, 16, v4
	v_or_b32_e32 v1, v3, v1
	s_delay_alu instid0(VALU_DEP_4) | instskip(NEXT) | instid1(VALU_DEP_4)
	v_add_nc_u16 v3, 0xe000, v7
	v_lshlrev_b32_e32 v2, 16, v2
	s_delay_alu instid0(VALU_DEP_4) | instskip(SKIP_1) | instid1(VALU_DEP_4)
	v_and_b32_e32 v6, 0xf0f0f0f, v6
	v_and_b32_e32 v0, 0xffff, v0
	v_lshrrev_b16 v3, 8, v3
	s_delay_alu instid0(VALU_DEP_3) | instskip(SKIP_1) | instid1(VALU_DEP_4)
	v_and_or_b32 v5, 0x30303030, v5, v6
	v_lshlrev_b16 v6, 8, v8
	v_or_b32_e32 v0, v0, v2
	s_delay_alu instid0(VALU_DEP_4) | instskip(NEXT) | instid1(VALU_DEP_4)
	v_bitop3_b16 v3, v4, v3, 0x3f00 bitop3:0xec
	v_lshrrev_b32_e32 v7, 16, v5
	v_lshlrev_b16 v9, 8, v5
	v_add_nc_u16 v6, 0xe000, v6
	s_delay_alu instid0(VALU_DEP_4)
	v_add_nc_u16 v3, 0xe000, v3
	ds_store_2addr_b32 v59, v1, v0 offset1:16
	v_lshlrev_b16 v4, 8, v7
	v_add_nc_u16 v9, 0xe000, v9
	v_lshrrev_b16 v6, 8, v6
	v_and_b32_e32 v3, 0xffff, v3
	v_cvt_f32_f16_e32 v0, v94
	v_add_nc_u16 v4, 0xe000, v4
	v_lshrrev_b16 v9, 8, v9
	v_bitop3_b16 v6, v8, v6, 0x3f00 bitop3:0xec
	v_and_or_b32 v8, 0x30303030, v13, v12
	s_delay_alu instid0(VALU_DEP_4) | instskip(NEXT) | instid1(VALU_DEP_4)
	v_lshrrev_b16 v4, 8, v4
	v_bitop3_b16 v5, v5, v9, 0x3f00 bitop3:0xec
	v_and_or_b32 v9, 0x30303030, v10, v11
	v_add_nc_u16 v6, 0xe000, v6
	v_lshlrev_b16 v11, 8, v8
	v_bitop3_b16 v4, v7, v4, 0x3f00 bitop3:0xec
	s_delay_alu instid0(VALU_DEP_4) | instskip(NEXT) | instid1(VALU_DEP_4)
	v_dual_lshrrev_b32 v7, 16, v8 :: v_dual_lshrrev_b32 v10, 16, v9
	v_lshlrev_b32_e32 v6, 16, v6
	v_lshlrev_b16 v13, 8, v9
	v_add_nc_u16 v11, 0xe000, v11
	s_delay_alu instid0(VALU_DEP_4)
	v_lshlrev_b16 v12, 8, v7
	v_lshlrev_b16 v14, 8, v10
	v_add_nc_u16 v5, 0xe000, v5
	v_add_nc_u16 v13, 0xe000, v13
	v_lshrrev_b16 v11, 8, v11
	v_add_nc_u16 v12, 0xe000, v12
	v_add_nc_u16 v14, 0xe000, v14
	;; [unrolled: 1-line block ×3, first 2 shown]
	v_lshrrev_b16 v13, 8, v13
	v_bitop3_b16 v8, v8, v11, 0x3f00 bitop3:0xec
	v_lshrrev_b16 v12, 8, v12
	v_lshrrev_b16 v14, 8, v14
	v_and_b32_e32 v5, 0xffff, v5
	v_bitop3_b16 v9, v9, v13, 0x3f00 bitop3:0xec
	v_add_nc_u16 v8, 0xe000, v8
	v_bitop3_b16 v7, v7, v12, 0x3f00 bitop3:0xec
	v_bitop3_b16 v10, v10, v14, 0x3f00 bitop3:0xec
	v_or_b32_e32 v2, v3, v6
	v_add_nc_u16 v9, 0xe000, v9
	v_and_b32_e32 v8, 0xffff, v8
	v_add_nc_u16 v7, 0xe000, v7
	v_add_nc_u16 v10, 0xe000, v10
	v_lshlrev_b32_e32 v4, 16, v4
	v_and_b32_e32 v9, 0xffff, v9
	s_delay_alu instid0(VALU_DEP_3) | instskip(NEXT) | instid1(VALU_DEP_3)
	v_dual_lshlrev_b32 v7, 16, v7 :: v_dual_lshlrev_b32 v10, 16, v10
	v_or_b32_e32 v3, v5, v4
	s_delay_alu instid0(VALU_DEP_2) | instskip(NEXT) | instid1(VALU_DEP_3)
	v_or_b32_e32 v4, v8, v7
	v_or_b32_e32 v5, v9, v10
	ds_store_2addr_b32 v61, v2, v3 offset1:16
	ds_store_2addr_b32 v63, v4, v5 offset1:16
	ds_store_b32 v65, v0
	ds_store_b32 v106, v95
	;; [unrolled: 1-line block ×3, first 2 shown]
	s_cbranch_scc0 .LBB216_4
; %bb.6:                                ;   in Loop: Header=BB216_5 Depth=1
	s_lshl_b32 s19, s14, 3
	s_delay_alu instid0(SALU_CYCLE_1) | instskip(NEXT) | instid1(VALU_DEP_1)
	v_add_nc_u32_e32 v0, s19, v113
	v_cmp_gt_i32_e32 vcc_lo, s8, v0
	s_and_b32 s21, s1, vcc_lo
	s_delay_alu instid0(SALU_CYCLE_1)
	s_and_saveexec_b32 s20, s21
	s_cbranch_execz .LBB216_8
; %bb.7:                                ;   in Loop: Header=BB216_5 Depth=1
	v_add_nc_u32_e32 v0, v24, v0
	s_delay_alu instid0(VALU_DEP_1)
	v_mad_nc_i64_i32 v[0:1], v0, 36, v[26:27]
	global_load_b32 v0, v[0:1], off offset:4
	s_wait_loadcnt 0x0
	ds_store_b32 v108, v0
.LBB216_8:                              ;   in Loop: Header=BB216_5 Depth=1
	s_or_b32 exec_lo, exec_lo, s20
	v_add_nc_u32_e32 v8, s19, v29
	s_delay_alu instid0(VALU_DEP_1) | instskip(SKIP_1) | instid1(SALU_CYCLE_1)
	v_cmp_gt_i32_e32 vcc_lo, s8, v8
	s_and_b32 s21, s6, vcc_lo
	s_and_saveexec_b32 s20, s21
	s_cbranch_execz .LBB216_10
; %bb.9:                                ;   in Loop: Header=BB216_5 Depth=1
	v_add_nc_u32_e32 v0, v24, v8
	s_delay_alu instid0(VALU_DEP_1)
	v_mad_nc_i64_i32 v[0:1], v0, 36, s[2:3]
	global_load_b32 v0, v[0:1], off
	s_wait_loadcnt 0x0
	v_cvt_f32_f16_e32 v0, v0
	ds_store_b32 v111, v0
.LBB216_10:                             ;   in Loop: Header=BB216_5 Depth=1
	s_or_b32 exec_lo, exec_lo, s20
	s_wait_dscnt 0x0
	s_barrier_signal -1
	s_barrier_wait -1
	ds_load_b32 v9, v114
	ds_load_b32 v88, v116 offset:128
	ds_load_b32 v89, v117 offset:256
	;; [unrolled: 1-line block ×3, first 2 shown]
	s_mov_b32 s21, 0
	s_mov_b32 s20, -1
.LBB216_11:                             ;   Parent Loop BB216_5 Depth=1
                                        ; =>  This Inner Loop Header: Depth=2
	s_lshl_b32 s23, s21, 3
	v_lshl_or_b32 v133, s21, 1, v45
	s_lshr_b32 s22, s21, 1
	v_dual_add_nc_u32 v136, s23, v127 :: v_dual_add_nc_u32 v137, s23, v128
	s_add_co_i32 s21, s22, 0x8200
	v_dual_add_nc_u32 v138, s23, v129 :: v_dual_add_nc_u32 v139, s23, v130
	v_add3_u32 v4, s21, v132, v121
	v_add3_u32 v5, s21, v122, v123
	;; [unrolled: 1-line block ×3, first 2 shown]
	v_lshlrev_b32_e32 v140, 2, v133
	ds_load_2addr_b32 v[10:11], v136 offset0:6 offset1:7
	ds_load_2addr_b32 v[66:67], v136 offset0:10 offset1:11
	;; [unrolled: 1-line block ×9, first 2 shown]
	ds_load_u16 v141, v139 offset:32
	ds_load_b128 v[0:3], v139 offset:34
	ds_load_2addr_b32 v[84:85], v137 offset0:14 offset1:15
	ds_load_2addr_b32 v[68:69], v138 offset0:6 offset1:7
	;; [unrolled: 1-line block ×4, first 2 shown]
	ds_load_b32 v142, v4
	ds_load_2addr_b32 v[94:95], v136 offset0:12 offset1:13
	ds_load_b32 v103, v5
	ds_load_2addr_b32 v[96:97], v137 offset0:12 offset1:13
	ds_load_2addr_b32 v[98:99], v137 offset0:10 offset1:11
	ds_load_b32 v100, v6
	ds_load_2addr_b32 v[104:105], v138 offset0:11 offset1:12
	ds_load_2addr_b32 v[134:135], v138 offset0:9 offset1:10
	ds_load_b128 v[4:7], v140 offset:35440
	ds_load_b128 v[80:83], v140 offset:35424
	s_and_b32 vcc_lo, exec_lo, s20
	s_mov_b32 s20, 0
	s_wait_dscnt 0x10
	v_perm_b32 v143, v79, v79, 0x706000c
	v_perm_b32 v91, v78, v78, 0xc0c0c03
	s_wait_dscnt 0xe
	v_bfe_i32 v146, v2, 8, 8
	v_bfe_i32 v147, v2, 0, 8
	v_perm_b32 v149, v3, v0, 0xc0c0402
	v_perm_b32 v150, v2, v0, 0xc0c0600
	;; [unrolled: 1-line block ×4, first 2 shown]
	s_wait_dscnt 0x8
	v_perm_b32 v0, v92, v95, 0x7060403
	v_ashrrev_i32_e32 v102, 24, v3
	v_bfe_i32 v144, v3, 16, 8
	v_ashrrev_i32_e32 v145, 24, v1
	v_bfe_i32 v101, v1, 0, 8
	v_bfe_i32 v148, v1, 16, 8
	;; [unrolled: 1-line block ×3, first 2 shown]
	s_wait_dscnt 0x1
	v_perm_b32 v2, v94, v6, 0x6040501
	v_perm_b32 v92, v4, v92, 0x6040501
	;; [unrolled: 1-line block ×6, first 2 shown]
	v_dot4_i32_iu8 v2, v92, v2, 0 neg_lo:[1,1,0]
	v_perm_b32 v92, v84, v97, 0x7060403
	v_perm_b32 v84, v4, v84, 0x6040501
	;; [unrolled: 1-line block ×3, first 2 shown]
	v_bfe_i32 v97, v6, 8, 8
	v_dot4_i32_iu8 v2, v94, v3, v2 neg_lo:[1,1,0]
	v_perm_b32 v3, v96, v6, 0x6040501
	v_perm_b32 v94, v5, v96, 0x6040503
	v_bfe_i32 v153, v5, 16, 8
	v_ashrrev_i32_e32 v154, 24, v6
	v_perm_b32 v156, v7, v5, 0xc0c0701
	v_dot4_i32_iu8 v3, v84, v3, 0 neg_lo:[1,1,0]
	v_perm_b32 v84, v105, v6, 0x6040501
	v_perm_b32 v155, v7, v4, 0xc0c0503
	s_wait_dscnt 0x0
	v_bfe_i32 v159, v81, 16, 8
	v_bfe_i32 v160, v80, 8, 8
	v_dot4_i32_iu8 v3, v95, v94, v3 neg_lo:[1,1,0]
	v_perm_b32 v94, v5, v105, 0x6040503
	v_dot4_i32_iu8 v79, v79, v84, 0 neg_lo:[1,1,0]
	v_perm_b32 v84, v6, v5, 0x7060403
	v_bfe_i32 v105, v6, 16, 8
	v_mul_i32_i24_e32 v101, v101, v159
	s_delay_alu instid0(VALU_DEP_4)
	v_dot4_i32_iu8 v78, v78, v94, v79 neg_lo:[1,1,0]
	v_or_b32_e32 v79, v143, v91
	v_dot4_i32_iu8 v0, v84, v0, v2 neg_lo:[1,1,0]
	v_dot4_i32_iu8 v3, v84, v92, v3 neg_lo:[1,1,0]
	v_bfe_i32 v2, v6, 0, 8
	v_ashrrev_i32_e32 v6, 24, v5
	v_dot4_i32_iu8 v78, v84, v79, v78 neg_lo:[1,1,0]
	v_dot4_i32_iu8 v91, v7, v93, v0 neg_lo:[1,1,0]
	v_perm_b32 v0, v70, v82, 0x6040501
	v_dot4_i32_iu8 v93, v7, v85, v3 neg_lo:[1,1,0]
	v_perm_b32 v3, v7, v5, 0xc0c0600
	v_perm_b32 v5, v80, v66, 0x6040501
	v_bfe_i32 v143, v4, 8, 8
	v_bfe_i32 v84, v4, 0, 8
	v_dot4_i32_iu8 v92, v7, v87, v78 neg_lo:[1,1,0]
	v_perm_b32 v4, v7, v4, 0xc0c0402
	v_perm_b32 v7, v81, v70, 0x6040503
	;; [unrolled: 1-line block ×3, first 2 shown]
	v_dot4_i32_iu8 v0, v5, v0, 0 neg_lo:[1,1,0]
	v_perm_b32 v5, v76, v82, 0x6040501
	v_perm_b32 v78, v134, v80, 0x6040503
	v_perm_b32 v66, v66, v71, 0x7060403
	v_perm_b32 v71, v135, v135, 0x706000c
	v_dot4_i32_iu8 v0, v70, v7, v0 neg_lo:[1,1,0]
	v_perm_b32 v7, v80, v98, 0x6040501
	v_perm_b32 v70, v81, v76, 0x6040503
	;; [unrolled: 1-line block ×3, first 2 shown]
	v_bfe_i32 v85, v82, 8, 8
	v_mul_i32_i24_e32 v102, v102, v143
	v_dot4_i32_iu8 v5, v7, v5, 0 neg_lo:[1,1,0]
	v_perm_b32 v7, v77, v80, 0x6040503
	s_delay_alu instid0(VALU_DEP_1) | instskip(SKIP_2) | instid1(VALU_DEP_1)
	v_dot4_i32_iu8 v5, v7, v70, v5 neg_lo:[1,1,0]
	v_perm_b32 v7, v86, v82, 0x6040501
	v_perm_b32 v70, v80, v135, 0x6040501
	v_dot4_i32_iu8 v7, v70, v7, 0 neg_lo:[1,1,0]
	v_perm_b32 v70, v134, v134, 0xc0c0c03
	v_perm_b32 v134, v83, v80, 0xc0c0503
	s_delay_alu instid0(VALU_DEP_3)
	v_dot4_i32_iu8 v7, v78, v76, v7 neg_lo:[1,1,0]
	ds_load_b64 v[78:79], v139 offset:50
	ds_load_u16 v157, v139 offset:58
	ds_load_b32 v158, v139 offset:60
	v_perm_b32 v76, v98, v77, 0x7060403
	v_perm_b32 v77, v82, v81, 0x7060403
	v_or_b32_e32 v70, v71, v70
	ds_load_2addr_b32 v[86:87], v138 offset0:4 offset1:5
	v_dot4_i32_iu8 v0, v77, v66, v0 neg_lo:[1,1,0]
	v_dot4_i32_iu8 v5, v77, v76, v5 neg_lo:[1,1,0]
	v_ashrrev_i32_e32 v76, 24, v82
	s_delay_alu instid0(VALU_DEP_3)
	v_dot4_i32_iu8 v94, v83, v67, v0 neg_lo:[1,1,0]
	v_ashrrev_i32_e32 v0, 24, v81
	v_dot4_i32_iu8 v7, v77, v70, v7 neg_lo:[1,1,0]
	v_dot4_i32_iu8 v95, v83, v99, v5 neg_lo:[1,1,0]
	v_bfe_i32 v5, v80, 0, 8
	v_perm_b32 v99, v83, v81, 0xc0c0600
	s_wait_dscnt 0x3
	v_bfe_i32 v66, v79, 16, 8
	v_dot4_i32_iu8 v96, v83, v104, v7 neg_lo:[1,1,0]
	v_perm_b32 v7, v83, v80, 0xc0c0402
	v_perm_b32 v104, v83, v81, 0xc0c0701
	ds_load_2addr_b32 v[80:81], v139 offset0:6 offset1:7
	v_mul_i32_i24_e32 v2, v66, v2
	s_wait_dscnt 0x2
	v_perm_b32 v66, v158, v78, 0xc0c0501
	v_bfe_i32 v70, v82, 16, 8
	v_perm_b32 v67, v158, v78, 0xc0c0602
	v_mul_i32_i24_e32 v0, v1, v0
	v_perm_b32 v1, v158, v78, 0xc0c0400
	v_dot4_i32_iu8 v98, v66, v155, v2 neg_lo:[1,1,0]
	v_bfe_i32 v66, v79, 8, 8
	v_mul_i32_i24_e32 v2, v144, v84
	v_bfe_i32 v77, v82, 0, 8
	ds_load_2addr_b32 v[82:83], v139 offset0:4 offset1:5
	v_perm_b32 v78, v158, v78, 0xc0c0703
	v_mul_i32_i24_e32 v6, v66, v6
	v_bfe_i32 v66, v157, 0, 8
	v_lshrrev_b16 v157, 8, v157
	s_delay_alu instid0(VALU_DEP_3) | instskip(NEXT) | instid1(VALU_DEP_3)
	v_dot4_i32_iu8 v155, v1, v4, v6 neg_lo:[1,1,0]
	v_mul_i32_i24_e32 v66, v66, v105
	v_mul_i32_i24_e32 v1, v147, v70
	v_bfe_i32 v6, v141, 0, 8
	s_wait_dscnt 0x1
	v_bfe_i32 v84, v81, 0, 8
	ds_load_2addr_b32 v[70:71], v139 offset0:2 offset1:3
	v_dot4_i32_iu8 v144, v67, v3, v66 neg_lo:[1,1,0]
	v_ashrrev_i32_e32 v3, 24, v79
	v_dot4_i32_iu8 v147, v149, v99, v1 neg_lo:[1,1,0]
	v_dot4_i32_iu8 v149, v150, v7, v0 neg_lo:[1,1,0]
	v_mul_i32_i24_e32 v5, v6, v5
	v_mul_i32_i24_e32 v4, v146, v76
	v_mad_i32_i24 v97, v3, v97, v2
	ds_load_b128 v[0:3], v140 offset:35408
	v_mul_i32_i24_e32 v76, v148, v77
	v_mad_i32_i24 v99, v145, v85, v5
	s_wait_dscnt 0x2
	v_bfe_i32 v77, v83, 16, 8
	v_bfe_i32 v6, v80, 16, 8
	;; [unrolled: 1-line block ×3, first 2 shown]
	v_dot4_i32_iu8 v148, v152, v134, v76 neg_lo:[1,1,0]
	v_bfe_i32 v76, v81, 8, 8
	v_dot4_i32_iu8 v146, v151, v104, v4 neg_lo:[1,1,0]
	v_ashrrev_i32_e32 v4, 24, v83
	v_perm_b32 v5, v72, v10, 0x6050401
	ds_load_2addr_b32 v[66:67], v138 offset0:2 offset1:3
	v_bfe_i32 v157, v157, 0, 8
	v_perm_b32 v10, v10, v73, 0x7060403
	v_lshrrev_b16 v83, 8, v83
	s_delay_alu instid0(VALU_DEP_3) | instskip(NEXT) | instid1(VALU_DEP_2)
	v_mul_i32_i24_e32 v154, v157, v154
	v_bfe_i32 v83, v83, 0, 8
	s_wait_dscnt 0x1
	v_bfe_i32 v85, v3, 0, 8
	s_delay_alu instid0(VALU_DEP_3) | instskip(SKIP_1) | instid1(VALU_DEP_3)
	v_dot4_i32_iu8 v78, v78, v156, v154 neg_lo:[1,1,0]
	v_ashrrev_i32_e32 v154, 24, v2
	v_mul_i32_i24_e32 v84, v84, v85
	v_bfe_i32 v85, v1, 16, 8
	s_delay_alu instid0(VALU_DEP_1) | instskip(SKIP_3) | instid1(VALU_DEP_3)
	v_mad_i32_i24 v145, v77, v85, v84
	v_bfe_i32 v84, v2, 16, 8
	v_perm_b32 v77, v74, v14, 0x6050401
	v_perm_b32 v14, v14, v75, 0x7060403
	v_mul_i32_i24_e32 v6, v6, v84
	v_bfe_i32 v84, v1, 0, 8
	s_delay_alu instid0(VALU_DEP_1) | instskip(SKIP_2) | instid1(VALU_DEP_2)
	v_mad_i32_i24 v150, v7, v84, v6
	v_bfe_i32 v6, v3, 8, 8
	v_ashrrev_i32_e32 v7, 24, v1
	v_mul_i32_i24_e32 v6, v76, v6
	v_perm_b32 v76, v0, v2, 0x6050401
	s_delay_alu instid0(VALU_DEP_2) | instskip(SKIP_2) | instid1(VALU_DEP_4)
	v_mad_i32_i24 v151, v4, v7, v6
	v_perm_b32 v4, v73, v0, 0x6040503
	v_perm_b32 v6, v1, v72, 0x6040503
	v_dot4_i32_iu8 v5, v5, v76, 0 neg_lo:[1,1,0]
	v_ashrrev_i32_e32 v73, 24, v0
	s_delay_alu instid0(VALU_DEP_2)
	v_dot4_i32_iu8 v152, v6, v4, v5 neg_lo:[1,1,0]
	v_perm_b32 v4, v75, v0, 0x6040503
	v_perm_b32 v5, v1, v74, 0x6040503
	v_dot4_i32_iu8 v6, v77, v76, 0 neg_lo:[1,1,0]
	v_bfe_i32 v74, v71, 0, 8
	v_bfe_i32 v75, v82, 0, 8
	s_delay_alu instid0(VALU_DEP_3)
	v_dot4_i32_iu8 v161, v5, v4, v6 neg_lo:[1,1,0]
	v_perm_b32 v4, v86, v68, 0x6050401
	v_perm_b32 v5, v87, v0, 0x6040503
	;; [unrolled: 1-line block ×4, first 2 shown]
	v_ashrrev_i32_e32 v87, 24, v142
	v_dot4_i32_iu8 v4, v4, v76, 0 neg_lo:[1,1,0]
	ds_load_2addr_b32 v[76:77], v139 offset1:1
	v_dot4_i32_iu8 v162, v6, v5, v4 neg_lo:[1,1,0]
	v_bfe_i32 v4, v82, 8, 8
	v_bfe_i32 v5, v0, 8, 8
	;; [unrolled: 1-line block ×3, first 2 shown]
	s_delay_alu instid0(VALU_DEP_2) | instskip(SKIP_1) | instid1(VALU_DEP_1)
	v_mul_i32_i24_e32 v4, v4, v5
	v_bfe_i32 v5, v80, 8, 8
	v_mad_i32_i24 v72, v5, v6, v4
	v_bfe_i32 v4, v81, 16, 8
	v_bfe_i32 v5, v3, 16, 8
	;; [unrolled: 1-line block ×3, first 2 shown]
	s_delay_alu instid0(VALU_DEP_2) | instskip(SKIP_2) | instid1(VALU_DEP_2)
	v_mul_i32_i24_e32 v4, v4, v5
	v_bfe_i32 v5, v80, 0, 8
	v_ashrrev_i32_e32 v80, 24, v80
	v_mad_i32_i24 v163, v5, v6, v4
	ds_load_b128 v[4:7], v140 offset:35392
	v_mul_i32_i24_e32 v80, v80, v154
	v_lshrrev_b16 v154, 8, v1
	v_perm_b32 v1, v2, v1, 0x7060403
	s_delay_alu instid0(VALU_DEP_2) | instskip(NEXT) | instid1(VALU_DEP_2)
	v_bfe_i32 v154, v154, 0, 8
	v_dot4_i32_iu8 v2, v1, v10, v152 neg_lo:[1,1,0]
	v_dot4_i32_iu8 v10, v1, v14, v161 neg_lo:[1,1,0]
	v_dot4_i32_iu8 v1, v1, v68, v162 neg_lo:[1,1,0]
	v_bfe_i32 v14, v82, 16, 8
	v_bfe_i32 v68, v0, 16, 8
	v_dot4_i32_iu8 v2, v11, v3, v2 neg_lo:[1,1,0]
	v_mul_i32_i24_e32 v83, v83, v154
	v_bfe_i32 v0, v0, 0, 8
	s_delay_alu instid0(VALU_DEP_4)
	v_mul_i32_i24_e32 v14, v14, v68
	v_ashrrev_i32_e32 v68, 24, v82
	v_lshrrev_b16 v82, 8, v141
	s_wait_dscnt 0x0
	v_bfe_i32 v84, v7, 0, 8
	v_bfe_i32 v85, v5, 16, 8
	;; [unrolled: 1-line block ×3, first 2 shown]
	v_ashrrev_i32_e32 v104, 24, v5
	v_perm_b32 v164, v4, v6, 0x6050401
	v_mul_i32_i24_e32 v74, v74, v84
	v_bfe_i32 v84, v77, 16, 8
	v_bfe_i32 v165, v6, 8, 8
	v_mul_i32_i24_e32 v68, v68, v73
	v_lshrrev_b16 v73, 8, v5
	v_bfe_i32 v166, v6, 0, 8
	v_mad_i32_i24 v74, v84, v85, v74
	v_bfe_i32 v84, v70, 16, 8
	v_bfe_i32 v85, v6, 16, 8
	v_add3_u32 v14, v14, v68, v163
	v_ashrrev_i32_e32 v68, 24, v70
	v_bfe_i32 v73, v73, 0, 8
	v_perm_b32 v141, v3, v3, 0x3020001
	v_mul_i32_i24_e32 v84, v84, v85
	v_bfe_i32 v85, v77, 0, 8
	v_add3_u32 v80, v83, v80, v151
	v_bfe_i32 v83, v142, 0, 8
	v_bfe_i32 v82, v82, 0, 8
	v_mul_i32_i24_e32 v0, v75, v0
	v_mad_i32_i24 v86, v85, v86, v84
	v_bfe_i32 v84, v71, 8, 8
	v_bfe_i32 v85, v7, 8, 8
	v_add3_u32 v80, v150, v145, v80
	v_mul_i32_i24_e32 v82, v82, v160
	s_delay_alu instid0(VALU_DEP_3) | instskip(SKIP_1) | instid1(VALU_DEP_4)
	v_mul_i32_i24_e32 v84, v84, v85
	v_ashrrev_i32_e32 v85, 24, v77
	v_add3_u32 v0, v80, v0, v72
	s_delay_alu instid0(VALU_DEP_2)
	v_mad_i32_i24 v139, v85, v104, v84
	v_add3_u32 v84, s21, v131, v120
	ds_load_b32 v140, v84
	ds_load_2addr_b32 v[84:85], v136 offset0:2 offset1:3
	ds_load_2addr_b32 v[104:105], v136 offset1:1
	s_mov_b32 s21, 8
	s_wait_dscnt 0x2
	v_bfe_i32 v75, v140, 8, 8
	s_wait_dscnt 0x0
	v_perm_b32 v134, v104, v84, 0x6050401
	v_perm_b32 v135, v105, v4, 0x6040503
	;; [unrolled: 1-line block ×3, first 2 shown]
	v_mul_lo_u32 v2, v2, v75
	s_delay_alu instid0(VALU_DEP_4) | instskip(NEXT) | instid1(VALU_DEP_1)
	v_dot4_i32_iu8 v134, v134, v164, 0 neg_lo:[1,1,0]
	v_dot4_i32_iu8 v104, v104, v135, v134 neg_lo:[1,1,0]
	ds_load_2addr_b32 v[134:135], v137 offset1:1
	s_wait_dscnt 0x0
	v_perm_b32 v136, v134, v12, 0x6050401
	v_perm_b32 v137, v135, v4, 0x6040503
	;; [unrolled: 1-line block ×4, first 2 shown]
	v_bfe_i32 v135, v100, 0, 8
	v_dot4_i32_iu8 v136, v136, v164, 0 neg_lo:[1,1,0]
	s_delay_alu instid0(VALU_DEP_1)
	v_dot4_i32_iu8 v134, v134, v137, v136 neg_lo:[1,1,0]
	ds_load_2addr_b32 v[136:137], v138 offset1:1
	s_wait_dscnt 0x0
	v_perm_b32 v138, v136, v66, 0x6050401
	v_perm_b32 v136, v5, v136, 0x6040503
	;; [unrolled: 1-line block ×4, first 2 shown]
	s_delay_alu instid0(VALU_DEP_4) | instskip(SKIP_2) | instid1(VALU_DEP_4)
	v_dot4_i32_iu8 v138, v138, v164, 0 neg_lo:[1,1,0]
	v_perm_b32 v164, v137, v4, 0x6040503
	v_ashrrev_i32_e32 v137, 24, v3
	v_dot4_i32_iu8 v12, v5, v12, v134 neg_lo:[1,1,0]
	v_dot4_i32_iu8 v3, v15, v3, v10 neg_lo:[1,1,0]
	v_bfe_i32 v134, v103, 0, 8
	v_dot4_i32_iu8 v136, v136, v164, v138 neg_lo:[1,1,0]
	v_bfe_i32 v138, v76, 8, 8
	v_bfe_i32 v164, v4, 8, 8
	v_dot4_i32_iu8 v11, v13, v7, v12 neg_lo:[1,1,0]
	s_delay_alu instid0(VALU_DEP_2) | instskip(SKIP_1) | instid1(VALU_DEP_1)
	v_mul_i32_i24_e32 v138, v138, v164
	v_bfe_i32 v164, v70, 8, 8
	v_mad_i32_i24 v138, v164, v165, v138
	v_bfe_i32 v164, v71, 16, 8
	v_bfe_i32 v165, v7, 16, 8
	v_ashrrev_i32_e32 v71, 24, v71
	s_delay_alu instid0(VALU_DEP_2) | instskip(SKIP_2) | instid1(VALU_DEP_2)
	v_mul_i32_i24_e32 v164, v164, v165
	v_bfe_i32 v165, v70, 0, 8
	v_ashrrev_i32_e32 v70, 24, v6
	v_mad_i32_i24 v164, v165, v166, v164
	s_delay_alu instid0(VALU_DEP_2) | instskip(SKIP_3) | instid1(VALU_DEP_3)
	v_mul_i32_i24_e32 v68, v68, v70
	v_lshrrev_b16 v70, 8, v77
	v_perm_b32 v77, v69, v69, 0x7060001
	v_bfe_i32 v69, v76, 16, 8
	v_bfe_i32 v70, v70, 0, 8
	s_delay_alu instid0(VALU_DEP_3) | instskip(NEXT) | instid1(VALU_DEP_2)
	v_dot4_i32_iu8 v1, v77, v141, v1 neg_lo:[1,1,0]
	v_mul_i32_i24_e32 v70, v70, v73
	v_ashrrev_i32_e32 v73, 24, v81
	v_bfe_i32 v81, v4, 16, 8
	s_delay_alu instid0(VALU_DEP_3) | instskip(SKIP_1) | instid1(VALU_DEP_3)
	v_add3_u32 v70, v70, v68, v139
	v_perm_b32 v68, v84, v105, 0x7060403
	v_mul_i32_i24_e32 v81, v69, v81
	v_dual_ashrrev_i32 v69, 24, v4 :: v_dual_ashrrev_i32 v139, 24, v7
	v_bfe_i32 v4, v4, 0, 8
	s_delay_alu instid0(VALU_DEP_4)
	v_dot4_i32_iu8 v6, v5, v68, v104 neg_lo:[1,1,0]
	v_dot4_i32_iu8 v5, v5, v66, v136 neg_lo:[1,1,0]
	v_bfe_i32 v66, v79, 0, 8
	v_dual_ashrrev_i32 v79, 24, v76 :: v_dual_lshrrev_b32 v68, 1, v133
	v_bfe_i32 v76, v76, 0, 8
	v_dual_add_nc_u32 v104, v148, v146 :: v_dual_add_nc_u32 v133, v149, v147
	s_delay_alu instid0(VALU_DEP_3)
	v_mul_i32_i24_e32 v79, v79, v69
	ds_load_b64 v[68:69], v68 offset:36944
	v_mul_i32_i24_e32 v71, v71, v139
	v_add_nc_u32_e32 v139, v155, v144
	v_mul_i32_i24_e32 v73, v73, v137
	v_add3_u32 v79, v81, v79, v164
	v_bfe_i32 v81, v142, 8, 8
	v_bfe_i32 v105, v103, 8, 8
	v_add3_u32 v82, v133, v104, v82
	v_bfe_i32 v133, v100, 8, 8
	v_mul_i32_i24_e32 v4, v76, v4
	v_mul_lo_u32 v3, v3, v81
	v_add3_u32 v10, v86, v74, v70
	v_add3_u32 v0, v0, v14, v73
	v_bfe_i32 v84, v142, 16, 8
	v_dual_ashrrev_i32 v104, 24, v103 :: v_dual_ashrrev_i32 v136, 24, v100
	v_bfe_i32 v103, v103, 16, 8
	v_bfe_i32 v100, v100, 16, 8
	;; [unrolled: 1-line block ×3, first 2 shown]
	v_mul_lo_u32 v1, v1, v105
	v_add3_u32 v4, v10, v4, v138
	v_mad_u32 v3, v11, v83, v3
	v_add3_u32 v10, v82, v99, v101
	v_mul_lo_u32 v0, v0, v133
	v_mul_lo_u32 v12, v94, v76
	;; [unrolled: 1-line block ×5, first 2 shown]
	v_mul_i32_i24_e32 v66, v66, v153
	v_bfe_i32 v137, v140, 0, 8
	v_dot4_i32_iu8 v6, v85, v7, v6 neg_lo:[1,1,0]
	v_dot4_i32_iu8 v5, v67, v7, v5 neg_lo:[1,1,0]
	v_cvt_f32_i32_e32 v3, v3
	v_add3_u32 v4, v4, v79, v71
	v_ashrrev_i32_e32 v140, 24, v140
	v_mad_u32 v2, v6, v137, v2
	v_mad_u32 v1, v5, v134, v1
	s_wait_dscnt 0x0
	v_fma_f32 v3, v68, v3, 0
	v_add_nc_u32_e32 v78, v98, v78
	v_mad_u32 v0, v4, v135, v0
	v_mad_u32 v12, v91, v140, v12
	;; [unrolled: 1-line block ×4, first 2 shown]
	v_add3_u32 v7, v139, v78, v102
	v_cvt_f32_i32_e32 v2, v2
	v_cvt_f32_i32_e32 v1, v1
	s_delay_alu instid0(VALU_DEP_3) | instskip(SKIP_3) | instid1(VALU_DEP_4)
	v_add3_u32 v7, v7, v97, v66
	v_cvt_f32_i32_e32 v0, v0
	v_cvt_f32_i32_e32 v6, v12
	v_fma_f32 v2, v68, v2, 0
	v_mad_u32 v5, v7, v136, v10
	v_cvt_f32_i32_e32 v7, v13
	v_cvt_f32_i32_e32 v4, v4
	v_fma_f32 v1, v68, v1, 0
	v_fma_f32 v0, v68, v0, 0
	s_delay_alu instid0(VALU_DEP_4) | instskip(NEXT) | instid1(VALU_DEP_3)
	v_dual_fmac_f32 v2, v69, v6 :: v_dual_fmac_f32 v3, v69, v7
	v_fmac_f32_e32 v1, v69, v4
	v_cvt_f32_i32_e32 v5, v5
	s_delay_alu instid0(VALU_DEP_2) | instskip(NEXT) | instid1(VALU_DEP_2)
	v_dual_fmac_f32 v115, v88, v3 :: v_dual_fmac_f32 v112, v89, v1
	v_fmac_f32_e32 v0, v69, v5
	s_delay_alu instid0(VALU_DEP_1)
	v_dual_fmac_f32 v119, v9, v2 :: v_dual_fmac_f32 v109, v90, v0
	s_cbranch_vccnz .LBB216_11
; %bb.12:                               ;   in Loop: Header=BB216_5 Depth=1
	s_bitset1_b32 s18, 7
	s_delay_alu instid0(SALU_CYCLE_1)
	s_cmp_ge_i32 s18, s5
	s_barrier_signal -1
	s_barrier_wait -1
	s_cbranch_scc1 .LBB216_4
; %bb.13:                               ;   in Loop: Header=BB216_5 Depth=1
	v_add_nc_u32_e32 v0, s19, v107
	s_delay_alu instid0(VALU_DEP_1) | instskip(SKIP_1) | instid1(SALU_CYCLE_1)
	v_cmp_gt_i32_e32 vcc_lo, s8, v0
	s_and_b32 s19, s1, vcc_lo
	s_and_saveexec_b32 s18, s19
	s_cbranch_execz .LBB216_15
; %bb.14:                               ;   in Loop: Header=BB216_5 Depth=1
	v_add_nc_u32_e32 v0, v24, v0
	s_delay_alu instid0(VALU_DEP_1)
	v_mad_nc_i64_i32 v[0:1], v0, 36, v[26:27]
	global_load_b32 v0, v[0:1], off offset:4
	s_wait_loadcnt 0x0
	ds_store_b32 v108, v0
.LBB216_15:                             ;   in Loop: Header=BB216_5 Depth=1
	s_or_b32 exec_lo, exec_lo, s18
	s_and_saveexec_b32 s18, s0
	s_cbranch_execz .LBB216_18
; %bb.16:                               ;   in Loop: Header=BB216_5 Depth=1
	v_or_b32_e32 v0, 4, v8
	s_delay_alu instid0(VALU_DEP_1) | instskip(SKIP_1) | instid1(SALU_CYCLE_1)
	v_cmp_gt_i32_e32 vcc_lo, s8, v0
	s_and_b32 s19, s1, vcc_lo
	s_and_b32 exec_lo, exec_lo, s19
	s_cbranch_execz .LBB216_18
; %bb.17:                               ;   in Loop: Header=BB216_5 Depth=1
	v_ashrrev_i32_e32 v9, 31, v8
	s_delay_alu instid0(VALU_DEP_1) | instskip(NEXT) | instid1(VALU_DEP_1)
	v_add_nc_u64_e32 v[0:1], v[24:25], v[8:9]
	v_mad_nc_u64_u32 v[2:3], v0, 36, s[2:3]
	s_delay_alu instid0(VALU_DEP_1)
	v_mad_i32_i24 v3, v1, 36, v3
	global_load_b32 v0, v[2:3], off offset:144
	s_wait_loadcnt 0x0
	v_cvt_f32_f16_e32 v0, v0
	ds_store_b32 v111, v0
.LBB216_18:                             ;   in Loop: Header=BB216_5 Depth=1
	s_or_b32 exec_lo, exec_lo, s18
	s_wait_dscnt 0x0
	s_barrier_signal -1
	s_barrier_wait -1
	ds_load_b32 v133, v114
	ds_load_b32 v134, v116 offset:128
	ds_load_b32 v135, v117 offset:256
	;; [unrolled: 1-line block ×3, first 2 shown]
	s_mov_b32 s18, 16
.LBB216_19:                             ;   Parent Loop BB216_5 Depth=1
                                        ; =>  This Inner Loop Header: Depth=2
	s_delay_alu instid0(SALU_CYCLE_1)
	s_lshl_b32 s19, s18, 1
	s_lshl_b32 s21, s18, 3
	v_and_or_b32 v0, s19, 16, v45
	s_lshr_b32 s20, s18, 1
	v_dual_add_nc_u32 v1, s21, v127 :: v_dual_add_nc_u32 v2, s21, v128
	s_add_co_i32 s20, s20, 0x8200
	v_dual_add_nc_u32 v3, s21, v129 :: v_dual_add_nc_u32 v4, s21, v130
	v_add3_u32 v5, s20, v131, v120
	v_add3_u32 v6, s20, v132, v121
	;; [unrolled: 1-line block ×4, first 2 shown]
	v_dual_lshlrev_b32 v12, 2, v0 :: v_dual_lshrrev_b32 v82, 1, v0
	ds_load_2addr_b32 v[66:67], v1 offset0:6 offset1:7
	ds_load_2addr_b32 v[74:75], v1 offset0:10 offset1:11
	;; [unrolled: 1-line block ×5, first 2 shown]
	ds_load_2addr_b32 v[90:91], v1 offset1:1
	ds_load_2addr_b32 v[72:73], v2 offset0:6 offset1:7
	ds_load_2addr_b32 v[102:103], v2 offset0:8 offset1:9
	;; [unrolled: 1-line block ×8, first 2 shown]
	ds_load_2addr_b32 v[98:99], v3 offset1:1
	ds_load_2addr_b32 v[144:145], v3 offset0:13 offset1:14
	ds_load_2addr_b32 v[80:81], v3 offset0:8 offset1:15
	;; [unrolled: 1-line block ×5, first 2 shown]
	ds_load_2addr_b32 v[152:153], v4 offset1:1
	ds_load_u16 v137, v4 offset:32
	ds_load_b128 v[138:141], v4 offset:34
	ds_load_b64 v[154:155], v4 offset:50
	ds_load_u16 v162, v4 offset:58
	ds_load_b32 v163, v4 offset:60
	ds_load_2addr_b32 v[84:85], v1 offset0:14 offset1:15
	ds_load_2addr_b32 v[100:101], v2 offset1:1
	ds_load_2addr_b32 v[156:157], v1 offset0:12 offset1:13
	ds_load_2addr_b32 v[158:159], v2 offset0:12 offset1:13
	;; [unrolled: 1-line block ×5, first 2 shown]
	ds_load_b32 v164, v6
	ds_load_b32 v165, v7
	;; [unrolled: 1-line block ×4, first 2 shown]
	ds_load_b128 v[0:3], v12 offset:35392
	ds_load_b128 v[4:7], v12 offset:35408
	;; [unrolled: 1-line block ×4, first 2 shown]
	ds_load_b64 v[82:83], v82 offset:36944
	s_wait_dscnt 0x27
	v_perm_b32 v168, v74, v105, 0x7060403
	s_wait_dscnt 0x1a
	v_perm_b32 v170, v145, v145, 0x706000c
	v_perm_b32 v169, v144, v144, 0xc0c0c03
	s_wait_dscnt 0x11
	v_lshrrev_b16 v177, 8, v162
	v_bfe_i32 v162, v162, 0, 8
	v_dual_ashrrev_i32 v173, 24, v155 :: v_dual_ashrrev_i32 v174, 24, v141
	s_wait_dscnt 0xd
	v_perm_b32 v216, v84, v157, 0x7060403
	s_wait_dscnt 0xc
	v_perm_b32 v217, v76, v159, 0x7060403
	;; [unrolled: 2-line block ×3, first 2 shown]
	v_bfe_i32 v176, v155, 0, 8
	v_bfe_i32 v178, v155, 16, 8
	v_bfe_i32 v155, v155, 8, 8
	v_perm_b32 v179, v163, v154, 0xc0c0602
	s_wait_dscnt 0x5
	v_bfe_i32 v230, v167, 8, 8
	v_bfe_i32 v231, v167, 0, 8
	;; [unrolled: 1-line block ×3, first 2 shown]
	s_wait_dscnt 0x2
	v_perm_b32 v74, v8, v74, 0x6040501
	s_wait_dscnt 0x1
	v_perm_b32 v233, v156, v14, 0x6040501
	v_perm_b32 v84, v12, v84, 0x6040501
	v_perm_b32 v156, v13, v156, 0x6040503
	v_perm_b32 v157, v157, v12, 0x6040503
	v_perm_b32 v234, v158, v14, 0x6040501
	v_perm_b32 v76, v12, v76, 0x6040501
	v_dot4_i32_iu8 v84, v84, v233, 0 neg_lo:[1,1,0]
	v_perm_b32 v105, v105, v8, 0x6040503
	v_perm_b32 v88, v8, v88, 0x6040501
	;; [unrolled: 1-line block ×3, first 2 shown]
	v_dot4_i32_iu8 v76, v76, v234, 0 neg_lo:[1,1,0]
	v_dot4_i32_iu8 v84, v157, v156, v84 neg_lo:[1,1,0]
	v_perm_b32 v157, v13, v158, 0x6040503
	v_perm_b32 v158, v159, v12, 0x6040503
	;; [unrolled: 1-line block ×5, first 2 shown]
	v_ashrrev_i32_e32 v167, 24, v167
	v_dot4_i32_iu8 v76, v158, v157, v76 neg_lo:[1,1,0]
	v_perm_b32 v158, v102, v10, 0x6040501
	v_dot4_i32_iu8 v74, v74, v159, 0 neg_lo:[1,1,0]
	v_perm_b32 v102, v9, v102, 0x6040503
	v_ashrrev_i32_e32 v159, 24, v13
	v_perm_b32 v180, v163, v154, 0xc0c0400
	v_dot4_i32_iu8 v88, v88, v158, 0 neg_lo:[1,1,0]
	v_dot4_i32_iu8 v74, v105, v104, v74 neg_lo:[1,1,0]
	v_perm_b32 v105, v87, v14, 0x6040501
	v_perm_b32 v87, v13, v87, 0x6040503
	;; [unrolled: 1-line block ×3, first 2 shown]
	v_dot4_i32_iu8 v88, v103, v102, v88 neg_lo:[1,1,0]
	v_perm_b32 v103, v144, v12, 0x6040503
	v_perm_b32 v144, v80, v10, 0x6040501
	v_dot4_i32_iu8 v105, v145, v105, 0 neg_lo:[1,1,0]
	v_perm_b32 v145, v8, v161, 0x6040501
	v_perm_b32 v80, v9, v80, 0x6040503
	;; [unrolled: 1-line block ×4, first 2 shown]
	v_dot4_i32_iu8 v87, v103, v87, v105 neg_lo:[1,1,0]
	v_bfe_i32 v105, v14, 16, 8
	v_dot4_i32_iu8 v144, v145, v144, 0 neg_lo:[1,1,0]
	v_bfe_i32 v160, v177, 0, 8
	v_perm_b32 v161, v15, v12, 0xc0c0402
	v_mul_i32_i24_e32 v155, v155, v159
	v_mul_i32_i24_e32 v105, v162, v105
	v_dot4_i32_iu8 v80, v158, v80, v144 neg_lo:[1,1,0]
	v_perm_b32 v158, v15, v13, 0xc0c0600
	v_perm_b32 v181, v163, v154, 0xc0c0703
	v_dot4_i32_iu8 v155, v180, v161, v155 neg_lo:[1,1,0]
	v_bfe_i32 v161, v14, 0, 8
	v_perm_b32 v162, v15, v13, 0xc0c0701
	v_dot4_i32_iu8 v105, v179, v158, v105 neg_lo:[1,1,0]
	v_ashrrev_i32_e32 v158, 24, v14
	v_perm_b32 v154, v163, v154, 0xc0c0501
	v_mul_i32_i24_e32 v161, v178, v161
	v_bfe_i32 v185, v140, 0, 8
	v_lshrrev_b16 v182, 8, v137
	v_mul_i32_i24_e32 v158, v160, v158
	v_bfe_i32 v137, v137, 0, 8
	v_bfe_i32 v175, v141, 16, 8
	;; [unrolled: 1-line block ×4, first 2 shown]
	v_dot4_i32_iu8 v158, v181, v162, v158 neg_lo:[1,1,0]
	v_perm_b32 v162, v15, v12, 0xc0c0503
	v_bfe_i32 v184, v140, 8, 8
	v_perm_b32 v187, v141, v138, 0xc0c0402
	v_perm_b32 v188, v140, v138, 0xc0c0600
	;; [unrolled: 1-line block ×3, first 2 shown]
	v_dot4_i32_iu8 v154, v154, v162, v161 neg_lo:[1,1,0]
	v_bfe_i32 v162, v10, 16, 8
	v_perm_b32 v138, v140, v138, 0xc0c0701
	v_bfe_i32 v140, v146, 8, 8
	v_dual_ashrrev_i32 v191, 24, v149 :: v_dual_ashrrev_i32 v196, 24, v146
	s_delay_alu instid0(VALU_DEP_4)
	v_mul_i32_i24_e32 v162, v185, v162
	v_bfe_i32 v185, v8, 0, 8
	v_bfe_i32 v193, v146, 0, 8
	;; [unrolled: 1-line block ×4, first 2 shown]
	v_mul_i32_i24_e32 v175, v175, v177
	v_mul_i32_i24_e32 v137, v137, v185
	v_bfe_i32 v185, v10, 0, 8
	v_dual_ashrrev_i32 v163, 24, v139 :: v_dual_ashrrev_i32 v190, 24, v148
	v_bfe_i32 v183, v139, 0, 8
	v_bfe_i32 v139, v139, 8, 8
	s_delay_alu instid0(VALU_DEP_4)
	v_mul_i32_i24_e32 v185, v186, v185
	v_bfe_i32 v186, v6, 16, 8
	v_bfe_i32 v194, v147, 8, 8
	v_ashrrev_i32_e32 v177, 24, v7
	v_mad_i32_i24 v104, v173, v104, v175
	v_ashrrev_i32_e32 v173, 24, v9
	v_perm_b32 v175, v11, v9, 0xc0c0600
	v_mul_i32_i24_e32 v146, v146, v186
	v_bfe_i32 v186, v7, 8, 8
	v_bfe_i32 v195, v147, 0, 8
	;; [unrolled: 1-line block ×3, first 2 shown]
	v_dual_ashrrev_i32 v147, 24, v147 :: v_dual_ashrrev_i32 v204, 24, v152
	v_perm_b32 v198, v92, v66, 0x6050401
	v_dot4_i32_iu8 v162, v187, v175, v162 neg_lo:[1,1,0]
	v_ashrrev_i32_e32 v175, 24, v10
	v_perm_b32 v180, v11, v8, 0xc0c0402
	v_mul_i32_i24_e32 v139, v139, v173
	v_bfe_i32 v12, v12, 8, 8
	v_mul_i32_i24_e32 v186, v194, v186
	v_perm_b32 v194, v4, v6, 0x6050401
	v_lshrrev_b16 v171, 8, v149
	v_bfe_i32 v189, v148, 16, 8
	v_perm_b32 v199, v94, v72, 0x6050401
	v_bfe_i32 v202, v150, 8, 8
	v_dual_ashrrev_i32 v205, 24, v153 :: v_dual_ashrrev_i32 v210, 24, v150
	v_bfe_i32 v207, v150, 0, 8
	v_bfe_i32 v150, v150, 16, 8
	v_lshrrev_b16 v156, 8, v5
	v_bfe_i32 v102, v13, 16, 8
	v_bfe_i32 v145, v9, 16, 8
	;; [unrolled: 1-line block ×3, first 2 shown]
	v_ashrrev_i32_e32 v160, 24, v4
	v_dot4_i32_iu8 v139, v188, v180, v139 neg_lo:[1,1,0]
	v_ashrrev_i32_e32 v180, 24, v0
	v_perm_b32 v181, v11, v9, 0xc0c0701
	v_mul_i32_i24_e32 v175, v184, v175
	v_mul_i32_i24_e32 v12, v174, v12
	v_bfe_i32 v174, v8, 8, 8
	v_bfe_i32 v182, v182, 0, 8
	v_ashrrev_i32_e32 v187, 24, v6
	v_mul_i32_i24_e32 v147, v147, v177
	v_dot4_i32_iu8 v177, v198, v194, 0 neg_lo:[1,1,0]
	v_bfe_i32 v198, v2, 16, 8
	v_bfe_i32 v188, v7, 0, 8
	;; [unrolled: 1-line block ×3, first 2 shown]
	v_perm_b32 v212, v90, v68, 0x6050401
	v_perm_b32 v213, v100, v70, 0x6050401
	;; [unrolled: 1-line block ×3, first 2 shown]
	v_lshrrev_b16 v157, 8, v1
	v_bfe_i32 v161, v7, 16, 8
	v_bfe_i32 v179, v2, 8, 8
	v_bfe_i32 v184, v2, 0, 8
	v_dot4_i32_iu8 v141, v141, v181, v175 neg_lo:[1,1,0]
	v_perm_b32 v90, v1, v90, 0x6040503
	v_perm_b32 v100, v1, v100, 0x6040503
	;; [unrolled: 1-line block ×3, first 2 shown]
	v_or_b32_e32 v181, v220, v219
	v_mul_i32_i24_e32 v102, v176, v102
	v_ashrrev_i32_e32 v176, 24, v1
	v_mul_i32_i24_e32 v174, v182, v174
	v_bfe_i32 v182, v1, 0, 8
	v_mul_i32_i24_e32 v145, v183, v145
	v_bfe_i32 v183, v1, 16, 8
	v_mul_i32_i24_e32 v159, v189, v159
	v_mul_i32_i24_e32 v160, v190, v160
	v_ashrrev_i32_e32 v189, 24, v5
	v_mul_i32_i24_e32 v187, v196, v187
	v_bfe_i32 v190, v5, 0, 8
	v_dot4_i32_iu8 v196, v199, v194, 0 neg_lo:[1,1,0]
	v_ashrrev_i32_e32 v199, 24, v2
	v_mul_i32_i24_e32 v150, v150, v198
	v_perm_b32 v8, v11, v8, 0xc0c0503
	v_bfe_i32 v171, v171, 0, 8
	v_perm_b32 v198, v0, v2, 0x6050401
	v_perm_b32 v1, v2, v1, 0x7060403
	v_bfe_i32 v2, v156, 0, 8
	v_perm_b32 v200, v96, v142, 0x6050401
	v_bfe_i32 v201, v148, 8, 8
	v_bfe_i32 v148, v148, 0, 8
	v_perm_b32 v66, v66, v93, 0x7060403
	v_perm_b32 v72, v72, v95, 0x7060403
	;; [unrolled: 1-line block ×6, first 2 shown]
	v_mul_i32_i24_e32 v188, v195, v188
	v_bfe_i32 v195, v4, 8, 8
	v_bfe_i32 v4, v4, 0, 8
	;; [unrolled: 1-line block ×4, first 2 shown]
	v_perm_b32 v92, v5, v92, 0x6040503
	v_perm_b32 v94, v5, v94, 0x6040503
	v_mul_i32_i24_e32 v161, v197, v161
	v_bfe_i32 v197, v5, 16, 8
	v_dot4_i32_iu8 v8, v138, v8, v185 neg_lo:[1,1,0]
	v_mul_i32_i24_e32 v2, v171, v2
	v_mad_i32_i24 v138, v192, v190, v146
	v_mad_i32_i24 v146, v191, v189, v186
	v_lshrrev_b16 v172, 8, v153
	v_bfe_i32 v208, v151, 8, 8
	v_mul_i32_i24_e32 v4, v148, v4
	v_bfe_i32 v148, v3, 8, 8
	v_bfe_i32 v144, v6, 8, 8
	;; [unrolled: 1-line block ×3, first 2 shown]
	v_dual_ashrrev_i32 v170, 24, v3 :: v_dual_bitop2_b32 v169, v170, v169 bitop3:0x54
	v_perm_b32 v96, v5, v96, 0x6040503
	v_dot4_i32_iu8 v194, v200, v194, 0 neg_lo:[1,1,0]
	v_mul_i32_i24_e32 v195, v201, v195
	v_perm_b32 v13, v14, v13, 0x7060403
	v_perm_b32 v9, v10, v9, 0x7060403
	;; [unrolled: 1-line block ×3, first 2 shown]
	v_mad_i32_i24 v103, v163, v103, v137
	v_mad_i32_i24 v137, v149, v197, v188
	v_dot4_i32_iu8 v92, v92, v93, v177 neg_lo:[1,1,0]
	v_dot4_i32_iu8 v93, v94, v95, v196 neg_lo:[1,1,0]
	v_add3_u32 v2, v2, v187, v146
	v_bfe_i32 v209, v151, 0, 8
	v_bfe_i32 v211, v151, 16, 8
	v_ashrrev_i32_e32 v151, 24, v151
	v_bfe_i32 v200, v3, 0, 8
	v_mul_i32_i24_e32 v148, v208, v148
	v_bfe_i32 v172, v172, 0, 8
	v_bfe_i32 v156, v157, 0, 8
	;; [unrolled: 1-line block ×5, first 2 shown]
	v_dot4_i32_iu8 v94, v96, v97, v194 neg_lo:[1,1,0]
	v_mad_i32_i24 v95, v140, v144, v195
	v_mad_i32_i24 v96, v193, v178, v161
	v_dot4_i32_iu8 v84, v13, v216, v84 neg_lo:[1,1,0]
	v_dot4_i32_iu8 v76, v13, v217, v76 neg_lo:[1,1,0]
	;; [unrolled: 1-line block ×6, first 2 shown]
	v_dual_add_nc_u32 v80, v154, v158 :: v_dual_add_nc_u32 v8, v8, v141
	v_add_nc_u32_e32 v87, v155, v105
	v_mul_i32_i24_e32 v14, v210, v199
	v_bfe_i32 v199, v0, 0, 8
	v_dot4_i32_iu8 v66, v5, v66, v92 neg_lo:[1,1,0]
	v_dot4_i32_iu8 v72, v5, v72, v93 neg_lo:[1,1,0]
	v_add3_u32 v2, v138, v137, v2
	v_bfe_i32 v206, v153, 0, 8
	v_bfe_i32 v153, v153, 16, 8
	v_perm_b32 v68, v68, v91, 0x7060403
	v_perm_b32 v70, v70, v101, 0x7060403
	;; [unrolled: 1-line block ×3, first 2 shown]
	v_bfe_i32 v221, v164, 8, 8
	v_bfe_i32 v222, v164, 0, 8
	;; [unrolled: 1-line block ×3, first 2 shown]
	v_ashrrev_i32_e32 v164, 24, v164
	v_bfe_i32 v173, v0, 16, 8
	v_bfe_i32 v175, v3, 16, 8
	v_perm_b32 v91, v91, v0, 0x6040503
	v_perm_b32 v101, v101, v0, 0x6040503
	;; [unrolled: 1-line block ×3, first 2 shown]
	v_mul_i32_i24_e32 v10, v209, v200
	v_mul_i32_i24_e32 v151, v151, v170
	v_bfe_i32 v0, v0, 8, 8
	v_dot4_i32_iu8 v170, v212, v198, 0 neg_lo:[1,1,0]
	v_dot4_i32_iu8 v200, v213, v198, 0 neg_lo:[1,1,0]
	v_mul_i32_i24_e32 v97, v172, v156
	v_mad_i32_i24 v144, v205, v176, v148
	v_mul_i32_i24_e32 v6, v152, v199
	v_perm_b32 v152, v7, v7, 0x3020001
	v_add3_u32 v92, v159, v160, v96
	v_dot4_i32_iu8 v74, v11, v75, v74 neg_lo:[1,1,0]
	v_dot4_i32_iu8 v75, v11, v89, v88 neg_lo:[1,1,0]
	;; [unrolled: 1-line block ×3, first 2 shown]
	v_add3_u32 v11, v87, v80, v12
	v_dot4_i32_iu8 v12, v67, v7, v66 neg_lo:[1,1,0]
	v_dot4_i32_iu8 v7, v73, v7, v72 neg_lo:[1,1,0]
	v_add3_u32 v2, v2, v4, v95
	v_mul_i32_i24_e32 v175, v211, v175
	v_dot4_i32_iu8 v198, v214, v198, 0 neg_lo:[1,1,0]
	v_mul_i32_i24_e32 v0, v215, v0
	v_mad_i32_i24 v10, v153, v183, v10
	v_mad_i32_i24 v140, v206, v182, v150
	v_dot4_i32_iu8 v90, v90, v91, v170 neg_lo:[1,1,0]
	v_dot4_i32_iu8 v91, v100, v101, v200 neg_lo:[1,1,0]
	v_add3_u32 v14, v97, v14, v144
	v_bfe_i32 v227, v166, 8, 8
	v_mul_lo_u32 v7, v7, v221
	v_add3_u32 v2, v2, v92, v147
	v_mul_i32_i24_e32 v173, v203, v173
	v_mul_i32_i24_e32 v180, v204, v180
	v_dot4_i32_iu8 v98, v98, v99, v198 neg_lo:[1,1,0]
	v_mad_i32_i24 v0, v202, v179, v0
	v_mad_i32_i24 v99, v207, v184, v175
	v_dot4_i32_iu8 v70, v1, v70, v91 neg_lo:[1,1,0]
	v_add3_u32 v10, v140, v10, v14
	v_mul_lo_u32 v66, v75, v223
	v_mul_lo_u32 v2, v2, v227
	v_perm_b32 v143, v143, v143, 0x7060001
	v_dot4_i32_iu8 v5, v5, v142, v94 neg_lo:[1,1,0]
	v_dot4_i32_iu8 v68, v1, v68, v90 neg_lo:[1,1,0]
	v_dot4_i32_iu8 v1, v1, v78, v98 neg_lo:[1,1,0]
	v_add3_u32 v78, v173, v180, v99
	v_dot4_i32_iu8 v84, v15, v85, v84 neg_lo:[1,1,0]
	v_dot4_i32_iu8 v76, v15, v77, v76 neg_lo:[1,1,0]
	;; [unrolled: 1-line block ×4, first 2 shown]
	v_add3_u32 v0, v10, v6, v0
	v_bfe_i32 v224, v165, 8, 8
	v_bfe_i32 v228, v166, 0, 8
	v_dot4_i32_iu8 v5, v143, v152, v5 neg_lo:[1,1,0]
	v_mad_u32 v7, v15, v222, v7
	v_add3_u32 v0, v0, v78, v151
	v_mad_u32 v10, v76, v164, v66
	v_bfe_i32 v225, v165, 0, 8
	v_mul_lo_u32 v5, v5, v224
	v_dot4_i32_iu8 v1, v79, v3, v1 neg_lo:[1,1,0]
	v_mad_u32 v0, v0, v228, v2
	v_dual_ashrrev_i32 v226, 24, v165 :: v_dual_ashrrev_i32 v229, 24, v166
	v_bfe_i32 v165, v165, 16, 8
	v_bfe_i32 v166, v166, 16, 8
	v_cvt_f32_i32_e32 v7, v7
	v_dot4_i32_iu8 v14, v69, v3, v68 neg_lo:[1,1,0]
	v_mul_lo_u32 v3, v74, v232
	v_mul_lo_u32 v4, v9, v165
	v_mad_u32 v1, v1, v225, v5
	v_cvt_f32_i32_e32 v5, v10
	v_cvt_f32_i32_e32 v0, v0
	s_wait_dscnt 0x0
	v_fma_f32 v7, v82, v7, 0
	v_mul_lo_u32 v9, v12, v230
	s_add_co_i32 s19, s18, 8
	s_cmp_lt_u32 s18, 24
	v_fma_f32 v0, v82, v0, 0
	v_fmac_f32_e32 v7, v83, v5
	v_add_nc_u32_e32 v100, v139, v162
	v_mad_u32 v3, v84, v167, v3
	v_mad_u32 v2, v13, v226, v4
	v_cvt_f32_i32_e32 v1, v1
	v_fmac_f32_e32 v115, v134, v7
	v_add3_u32 v8, v100, v8, v174
	v_mad_u32 v9, v14, v231, v9
	s_mov_b32 s18, s19
	v_fma_f32 v1, v82, v1, 0
	s_delay_alu instid0(VALU_DEP_3) | instskip(SKIP_3) | instid1(VALU_DEP_4)
	v_add3_u32 v6, v8, v103, v145
	v_add3_u32 v8, v11, v104, v102
	v_cvt_f32_i32_e32 v3, v3
	v_cvt_f32_i32_e32 v2, v2
	v_mul_lo_u32 v6, v6, v166
	s_delay_alu instid0(VALU_DEP_2) | instskip(NEXT) | instid1(VALU_DEP_1)
	v_fmac_f32_e32 v1, v83, v2
	v_fmac_f32_e32 v112, v135, v1
	s_delay_alu instid0(VALU_DEP_3) | instskip(SKIP_1) | instid1(VALU_DEP_1)
	v_mad_u32 v4, v8, v229, v6
	v_cvt_f32_i32_e32 v6, v9
	v_fma_f32 v6, v82, v6, 0
	s_delay_alu instid0(VALU_DEP_3) | instskip(NEXT) | instid1(VALU_DEP_1)
	v_cvt_f32_i32_e32 v4, v4
	v_dual_fmac_f32 v6, v83, v3 :: v_dual_fmac_f32 v0, v83, v4
	s_delay_alu instid0(VALU_DEP_1)
	v_dual_fmac_f32 v119, v133, v6 :: v_dual_fmac_f32 v109, v136, v0
	s_cbranch_scc1 .LBB216_19
; %bb.20:                               ;   in Loop: Header=BB216_5 Depth=1
	s_barrier_signal -1
	s_barrier_wait -1
	s_branch .LBB216_4
.LBB216_21:
	s_mul_i32 s0, s10, s7
	s_wait_loadcnt 0x0
	v_cmp_gt_i32_e32 vcc_lo, s0, v17
	s_and_saveexec_b32 s0, vcc_lo
	s_cbranch_execz .LBB216_30
; %bb.22:
	v_mul_lo_u32 v0, v17, s9
	v_add_nc_u32_e32 v1, s11, v29
	s_mov_b32 s0, exec_lo
	s_delay_alu instid0(VALU_DEP_1)
	v_cmpx_gt_u32_e64 s9, v1
	s_cbranch_execz .LBB216_24
; %bb.23:
	s_delay_alu instid0(VALU_DEP_3)
	v_add_nc_u32_e32 v2, v0, v1
	v_cvt_f16_f32_e32 v3, v119
	global_store_b16 v2, v3, s[12:13] scale_offset
.LBB216_24:
	s_wait_xcnt 0x0
	s_or_b32 exec_lo, exec_lo, s0
	v_add_nc_u32_e32 v2, 32, v1
	s_mov_b32 s0, exec_lo
	s_delay_alu instid0(VALU_DEP_1)
	v_cmpx_gt_u32_e64 s9, v2
	s_cbranch_execz .LBB216_26
; %bb.25:
	v_add_nc_u32_e32 v2, v0, v2
	v_cvt_f16_f32_e32 v3, v115
	global_store_b16 v2, v3, s[12:13] scale_offset
.LBB216_26:
	s_wait_xcnt 0x0
	s_or_b32 exec_lo, exec_lo, s0
	v_add_nc_u32_e32 v2, 64, v1
	s_mov_b32 s0, exec_lo
	s_delay_alu instid0(VALU_DEP_1)
	v_cmpx_gt_u32_e64 s9, v2
	s_cbranch_execz .LBB216_28
; %bb.27:
	v_add_nc_u32_e32 v2, v0, v2
	v_cvt_f16_f32_e32 v3, v112
	global_store_b16 v2, v3, s[12:13] scale_offset
.LBB216_28:
	s_wait_xcnt 0x0
	s_or_b32 exec_lo, exec_lo, s0
	v_add_nc_u32_e32 v1, 0x60, v1
	s_delay_alu instid0(VALU_DEP_1)
	v_cmp_gt_u32_e32 vcc_lo, s9, v1
	s_and_b32 exec_lo, exec_lo, vcc_lo
	s_cbranch_execz .LBB216_30
; %bb.29:
	v_add_nc_u32_e32 v0, v0, v1
	v_cvt_f16_f32_e32 v1, v109
	global_store_b16 v0, v1, s[12:13] scale_offset
.LBB216_30:
	s_sendmsg sendmsg(MSG_DEALLOC_VGPRS)
	s_endpgm
	.section	.rodata,"a",@progbits
	.p2align	6, 0x0
	.amdhsa_kernel _ZL8moe_q6_KIN3c104HalfELb1EEvPKvS3_PT_PKiS7_S7_iiiiiii
		.amdhsa_group_segment_fixed_size 37072
		.amdhsa_private_segment_fixed_size 0
		.amdhsa_kernarg_size 76
		.amdhsa_user_sgpr_count 2
		.amdhsa_user_sgpr_dispatch_ptr 0
		.amdhsa_user_sgpr_queue_ptr 0
		.amdhsa_user_sgpr_kernarg_segment_ptr 1
		.amdhsa_user_sgpr_dispatch_id 0
		.amdhsa_user_sgpr_kernarg_preload_length 0
		.amdhsa_user_sgpr_kernarg_preload_offset 0
		.amdhsa_user_sgpr_private_segment_size 0
		.amdhsa_wavefront_size32 1
		.amdhsa_uses_dynamic_stack 0
		.amdhsa_enable_private_segment 0
		.amdhsa_system_sgpr_workgroup_id_x 1
		.amdhsa_system_sgpr_workgroup_id_y 1
		.amdhsa_system_sgpr_workgroup_id_z 0
		.amdhsa_system_sgpr_workgroup_info 0
		.amdhsa_system_vgpr_workitem_id 1
		.amdhsa_next_free_vgpr 235
		.amdhsa_next_free_sgpr 24
		.amdhsa_named_barrier_count 0
		.amdhsa_reserve_vcc 1
		.amdhsa_float_round_mode_32 0
		.amdhsa_float_round_mode_16_64 0
		.amdhsa_float_denorm_mode_32 3
		.amdhsa_float_denorm_mode_16_64 3
		.amdhsa_fp16_overflow 0
		.amdhsa_memory_ordered 1
		.amdhsa_forward_progress 1
		.amdhsa_inst_pref_size 121
		.amdhsa_round_robin_scheduling 0
		.amdhsa_exception_fp_ieee_invalid_op 0
		.amdhsa_exception_fp_denorm_src 0
		.amdhsa_exception_fp_ieee_div_zero 0
		.amdhsa_exception_fp_ieee_overflow 0
		.amdhsa_exception_fp_ieee_underflow 0
		.amdhsa_exception_fp_ieee_inexact 0
		.amdhsa_exception_int_div_zero 0
	.end_amdhsa_kernel
	.section	.text._ZL8moe_q6_KIN3c104HalfELb1EEvPKvS3_PT_PKiS7_S7_iiiiiii,"axG",@progbits,_ZL8moe_q6_KIN3c104HalfELb1EEvPKvS3_PT_PKiS7_S7_iiiiiii,comdat
.Lfunc_end216:
	.size	_ZL8moe_q6_KIN3c104HalfELb1EEvPKvS3_PT_PKiS7_S7_iiiiiii, .Lfunc_end216-_ZL8moe_q6_KIN3c104HalfELb1EEvPKvS3_PT_PKiS7_S7_iiiiiii
                                        ; -- End function
	.set _ZL8moe_q6_KIN3c104HalfELb1EEvPKvS3_PT_PKiS7_S7_iiiiiii.num_vgpr, 235
	.set _ZL8moe_q6_KIN3c104HalfELb1EEvPKvS3_PT_PKiS7_S7_iiiiiii.num_agpr, 0
	.set _ZL8moe_q6_KIN3c104HalfELb1EEvPKvS3_PT_PKiS7_S7_iiiiiii.numbered_sgpr, 24
	.set _ZL8moe_q6_KIN3c104HalfELb1EEvPKvS3_PT_PKiS7_S7_iiiiiii.num_named_barrier, 0
	.set _ZL8moe_q6_KIN3c104HalfELb1EEvPKvS3_PT_PKiS7_S7_iiiiiii.private_seg_size, 0
	.set _ZL8moe_q6_KIN3c104HalfELb1EEvPKvS3_PT_PKiS7_S7_iiiiiii.uses_vcc, 1
	.set _ZL8moe_q6_KIN3c104HalfELb1EEvPKvS3_PT_PKiS7_S7_iiiiiii.uses_flat_scratch, 0
	.set _ZL8moe_q6_KIN3c104HalfELb1EEvPKvS3_PT_PKiS7_S7_iiiiiii.has_dyn_sized_stack, 0
	.set _ZL8moe_q6_KIN3c104HalfELb1EEvPKvS3_PT_PKiS7_S7_iiiiiii.has_recursion, 0
	.set _ZL8moe_q6_KIN3c104HalfELb1EEvPKvS3_PT_PKiS7_S7_iiiiiii.has_indirect_call, 0
	.section	.AMDGPU.csdata,"",@progbits
; Kernel info:
; codeLenInByte = 15476
; TotalNumSgprs: 26
; NumVgprs: 235
; ScratchSize: 0
; MemoryBound: 0
; FloatMode: 240
; IeeeMode: 1
; LDSByteSize: 37072 bytes/workgroup (compile time only)
; SGPRBlocks: 0
; VGPRBlocks: 14
; NumSGPRsForWavesPerEU: 26
; NumVGPRsForWavesPerEU: 235
; NamedBarCnt: 0
; Occupancy: 4
; WaveLimiterHint : 1
; COMPUTE_PGM_RSRC2:SCRATCH_EN: 0
; COMPUTE_PGM_RSRC2:USER_SGPR: 2
; COMPUTE_PGM_RSRC2:TRAP_HANDLER: 0
; COMPUTE_PGM_RSRC2:TGID_X_EN: 1
; COMPUTE_PGM_RSRC2:TGID_Y_EN: 1
; COMPUTE_PGM_RSRC2:TGID_Z_EN: 0
; COMPUTE_PGM_RSRC2:TIDIG_COMP_CNT: 1
	.section	.text._ZL8moe_q4_0IN3c108BFloat16ELb0EEvPKvS3_PT_PKiS7_S7_iiiiiii,"axG",@progbits,_ZL8moe_q4_0IN3c108BFloat16ELb0EEvPKvS3_PT_PKiS7_S7_iiiiiii,comdat
	.globl	_ZL8moe_q4_0IN3c108BFloat16ELb0EEvPKvS3_PT_PKiS7_S7_iiiiiii ; -- Begin function _ZL8moe_q4_0IN3c108BFloat16ELb0EEvPKvS3_PT_PKiS7_S7_iiiiiii
	.p2align	8
	.type	_ZL8moe_q4_0IN3c108BFloat16ELb0EEvPKvS3_PT_PKiS7_S7_iiiiiii,@function
_ZL8moe_q4_0IN3c108BFloat16ELb0EEvPKvS3_PT_PKiS7_S7_iiiiiii: ; @_ZL8moe_q4_0IN3c108BFloat16ELb0EEvPKvS3_PT_PKiS7_S7_iiiiiii
; %bb.0:
	s_load_b128 s[4:7], s[0:1], 0x18
	s_bfe_u32 s2, ttmp6, 0x40010
	s_bfe_u32 s8, ttmp6, 0x40004
	s_add_co_i32 s2, s2, 1
	s_delay_alu instid0(SALU_CYCLE_1)
	s_mul_i32 s3, ttmp7, s2
	s_getreg_b32 s2, hwreg(HW_REG_IB_STS2, 6, 4)
	s_add_co_i32 s8, s8, s3
	s_cmp_eq_u32 s2, 0
	s_cselect_b32 s3, ttmp7, s8
	s_wait_kmcnt 0x0
	s_load_b32 s12, s[6:7], s3 offset:0x0 scale_offset
	s_wait_kmcnt 0x0
	s_cmp_gt_u32 s12, 0xff
	s_cbranch_scc1 .LBB217_31
; %bb.1:
	s_load_b64 s[6:7], s[0:1], 0x28
	s_lshl_b32 s3, s3, 3
	s_wait_kmcnt 0x0
	s_load_b32 s6, s[6:7], 0x0
	s_wait_kmcnt 0x0
	s_cmp_gt_u32 s3, s6
	s_cbranch_scc1 .LBB217_31
; %bb.2:
	v_bfe_u32 v1, v0, 10, 10
	s_and_b32 s13, ttmp6, 15
	v_and_b32_e32 v5, 0x3ff, v0
	s_delay_alu instid0(VALU_DEP_2) | instskip(SKIP_1) | instid1(SALU_CYCLE_1)
	v_add_nc_u32_e32 v2, s3, v1
	s_bfe_u32 s3, ttmp6, 0x4000c
	s_add_co_i32 s3, s3, 1
	s_delay_alu instid0(SALU_CYCLE_1)
	s_mul_i32 s3, ttmp9, s3
	global_load_b32 v3, v2, s[4:5] scale_offset
	s_clause 0x2
	s_load_b64 s[10:11], s[0:1], 0x30
	s_load_b64 s[8:9], s[0:1], 0x10
	s_load_b128 s[4:7], s[0:1], 0x3c
	s_add_co_i32 s13, s13, s3
	s_cmp_eq_u32 s2, 0
	s_cselect_b32 s2, ttmp9, s13
	s_mov_b32 s13, 0
	s_lshl_b32 s18, s2, 7
	s_wait_kmcnt 0x0
	s_cmp_lt_i32 s11, 32
	s_cbranch_scc1 .LBB217_21
; %bb.3:
	s_load_b128 s[0:3], s[0:1], 0x0
	s_ashr_i32 s14, s11, 31
	s_mul_i32 s16, s12, s10
	s_abs_i32 s12, s7
	s_lshr_b32 s10, s14, 27
	s_cvt_f32_u32 s20, s12
	s_add_co_i32 s19, s11, s10
	s_ashr_i32 s17, s16, 31
	s_ashr_i32 s10, s19, 5
	v_rcp_iflag_f32_e32 v10, s20
	v_mul_lo_u32 v2, s10, v1
	v_bfe_u32 v33, v0, 3, 7
	s_sub_co_i32 s20, 0, s12
	v_lshl_add_u32 v49, v1, 7, 0x5280
	v_lshl_add_u32 v51, v1, 4, 0x5680
	s_ashr_i32 s15, s5, 31
	v_lshl_add_u32 v18, v1, 2, v33
	s_lshr_b32 s14, s15, 27
	v_bfe_u32 v4, v0, 2, 8
	s_add_co_i32 s5, s5, s14
	s_wait_kmcnt 0x0
	s_add_nc_u64 s[16:17], s[0:1], s[16:17]
	v_readfirstlane_b32 s0, v10
	s_lshl_b32 s1, s10, 3
	s_delay_alu instid0(SALU_CYCLE_1)
	v_dual_lshlrev_b32 v24, 2, v5 :: v_dual_add_nc_u32 v6, s1, v2
	v_and_b32_e32 v20, 0x1ffc, v18
	s_mul_f32 s0, s0, 0x4f7ffffe
	s_wait_loadcnt 0x0
	v_sub_nc_u32_e32 v12, 0, v3
	v_mad_u32_u24 v7, 0x84, v1, v24
	v_add_nc_u32_e32 v10, s1, v6
	s_cvt_u32_f32 s0, s0
	v_dual_mov_b32 v9, 0 :: v_dual_bitop2_b32 v8, 12, v24 bitop3:0x40
	v_dual_add_nc_u32 v22, 32, v18 :: v_dual_max_i32 v16, v3, v12
	s_delay_alu instid0(SALU_CYCLE_1) | instskip(SKIP_2) | instid1(VALU_DEP_2)
	s_mul_i32 s20, s20, s0
	v_dual_add_nc_u32 v30, 64, v18 :: v_dual_bitop2_b32 v12, 7, v0 bitop3:0x40
	s_mul_hi_u32 s20, s0, s20
	v_and_b32_e32 v29, 0x3ffc, v22
	s_add_co_i32 s0, s0, s20
	s_delay_alu instid0(VALU_DEP_2) | instskip(SKIP_3) | instid1(VALU_DEP_4)
	v_dual_lshlrev_b32 v26, 2, v12 :: v_dual_lshlrev_b32 v44, 5, v18
	v_mul_hi_u32 v17, v16, s0
	v_mul_lo_u32 v14, s10, v18
	v_add_nc_u32_e32 v18, 0x60, v18
	v_add3_u32 v42, v20, v26, 0x4200
	v_and_b32_e32 v20, 0x3ffc, v30
	v_add3_u32 v46, v29, v26, 0x4200
	s_ashr_i32 s5, s5, 5
	v_add_nc_u32_e32 v36, 0x60, v5
	s_and_not1_b32 s19, s19, 31
	v_add3_u32 v50, v20, v26, 0x4200
	v_add_nc_u32_e32 v84, v42, v44
	v_mul_lo_u32 v28, v17, s12
	s_mul_i32 s14, s10, s18
	v_add_nc_u32_e32 v15, 0xc60, v7
	s_ashr_i32 s15, s14, 31
	v_add_nc_u32_e32 v19, 0x1080, v7
	v_add_nc_u32_e32 v21, 0x14a0, v7
	;; [unrolled: 1-line block ×3, first 2 shown]
	v_dual_lshlrev_b32 v48, 5, v22 :: v_dual_add_nc_u32 v22, 1, v17
	v_lshlrev_b32_e32 v52, 5, v30
	v_add_nc_u32_e32 v25, 0x1ce0, v7
	v_sub_nc_u32_e32 v16, v16, v28
	s_delay_alu instid0(VALU_DEP_4)
	v_add_nc_u32_e32 v85, v46, v48
	v_add_nc_u32_e32 v27, 0x2100, v7
	v_add_nc_u32_e32 v35, 0x2520, v7
	v_add_nc_u32_e32 v37, 0x2940, v7
	v_subrev_nc_u32_e32 v28, s12, v16
	v_cmp_le_u32_e32 vcc_lo, s12, v16
	v_add_nc_u32_e32 v11, 0x420, v7
	v_add_nc_u32_e32 v39, 0x2d60, v7
	;; [unrolled: 1-line block ×4, first 2 shown]
	v_dual_cndmask_b32 v17, v17, v22 :: v_dual_cndmask_b32 v16, v16, v28
	v_add_nc_u32_e32 v72, v51, v24
	v_add_nc_u32_e32 v45, 0x39c0, v7
	;; [unrolled: 1-line block ×3, first 2 shown]
	s_delay_alu instid0(VALU_DEP_4)
	v_add_nc_u32_e32 v22, 1, v17
	v_cmp_le_u32_e32 vcc_lo, s12, v16
	v_add_nc_u32_e32 v13, 0x840, v7
	v_and_b32_e32 v16, 28, v24
	v_mul_u32_u24_e32 v73, 0x84, v5
	v_mad_u32_u24 v79, 0x84, v5, 64
	v_cndmask_b32_e32 v22, v17, v22, vcc_lo
	v_mov_b32_e32 v17, v9
	v_and_b32_e32 v20, 0x3ffc, v18
	v_lshlrev_b32_e32 v55, 5, v18
	v_add_nc_u32_e32 v18, s1, v10
	v_cmp_gt_u32_e32 vcc_lo, 4, v5
	v_add_nc_u64_e32 v[30:31], s[2:3], v[16:17]
	v_add3_u32 v54, v20, v26, 0x4200
	v_xor_b32_e32 v20, s7, v3
	v_dual_add_nc_u32 v29, 32, v5 :: v_dual_bitop2_b32 v26, 31, v0 bitop3:0x40
	v_add_nc_u32_e32 v34, 64, v5
	v_and_b32_e32 v0, 0xfc, v0
	s_delay_alu instid0(VALU_DEP_4) | instskip(NEXT) | instid1(VALU_DEP_4)
	v_dual_ashrrev_i32 v28, 31, v20 :: v_dual_add_nc_u32 v20, s1, v18
	v_lshl_or_b32 v53, v26, 2, v49
	s_delay_alu instid0(VALU_DEP_4) | instskip(SKIP_1) | instid1(VALU_DEP_4)
	v_and_b32_e32 v17, 0x1fc, v34
	v_add_nc_u32_e32 v86, v50, v52
	v_xor_b32_e32 v1, v22, v28
	v_add_nc_u32_e32 v22, s1, v20
	s_mul_u64 s[14:15], s[14:15], 18
	s_mov_b32 s12, s13
	s_add_nc_u64 s[14:15], s[16:17], s[14:15]
	s_delay_alu instid0(VALU_DEP_1) | instskip(SKIP_3) | instid1(VALU_DEP_4)
	v_dual_sub_nc_u32 v1, v1, v28 :: v_dual_add_nc_u32 v24, s1, v22
	v_lshrrev_b32_e32 v74, 3, v29
	v_and_b32_e32 v29, 0x1fc, v29
	v_add_nc_u32_e32 v44, s19, v14
	v_cmp_gt_i32_e64 s0, s4, v1
	v_add_nc_u32_e32 v26, s1, v24
	v_mul_lo_u32 v28, v1, s5
	s_delay_alu instid0(VALU_DEP_4) | instskip(SKIP_1) | instid1(VALU_DEP_3)
	v_dual_lshlrev_b32 v1, 5, v5 :: v_dual_add_nc_u32 v48, s19, v44
	s_and_b32 s16, vcc_lo, s0
	v_dual_add_nc_u32 v32, s1, v26 :: v_dual_add_nc_u32 v87, v54, v55
	s_delay_alu instid0(VALU_DEP_2) | instskip(NEXT) | instid1(VALU_DEP_3)
	v_add_nc_u32_e32 v17, v1, v17
	v_dual_add_nc_u32 v56, v1, v29 :: v_dual_add_nc_u32 v52, s19, v48
	s_delay_alu instid0(VALU_DEP_3) | instskip(SKIP_1) | instid1(VALU_DEP_4)
	v_add_nc_u32_e32 v34, s1, v32
	v_add_nc_u32_e32 v0, v1, v0
	;; [unrolled: 1-line block ×4, first 2 shown]
	v_mov_b32_e32 v17, v9
	v_and_b32_e32 v16, 0x1fc, v36
	v_add_nc_u32_e32 v36, s1, v34
	v_add_nc_u32_e32 v77, 0x4600, v56
	;; [unrolled: 1-line block ×6, first 2 shown]
	v_ashrrev_i32_e32 v29, 31, v28
	v_dual_mov_b32 v0, v9 :: v_dual_add_nc_u32 v83, 0x4210, v0
	s_delay_alu instid0(VALU_DEP_4) | instskip(NEXT) | instid1(VALU_DEP_4)
	v_add_nc_u32_e32 v75, 0x4e00, v16
	v_add_nc_u32_e32 v40, s1, v38
	;; [unrolled: 1-line block ×3, first 2 shown]
	v_dual_mov_b32 v16, v9 :: v_dual_mov_b32 v1, v9
	s_delay_alu instid0(VALU_DEP_3) | instskip(NEXT) | instid1(VALU_DEP_1)
	v_dual_mov_b32 v55, 0x41000000 :: v_dual_add_nc_u32 v42, s1, v40
	v_add_nc_u32_e32 v46, s1, v42
	s_delay_alu instid0(VALU_DEP_1)
	v_add_nc_u32_e32 v50, s1, v46
	s_branch .LBB217_5
.LBB217_4:                              ;   in Loop: Header=BB217_5 Depth=1
	s_add_co_i32 s12, s12, 8
	s_delay_alu instid0(SALU_CYCLE_1)
	s_cmp_ge_i32 s12, s10
	s_cbranch_scc1 .LBB217_22
.LBB217_5:                              ; =>This Loop Header: Depth=1
                                        ;     Child Loop BB217_11 Depth 2
                                        ;     Child Loop BB217_19 Depth 2
	s_mul_u64 s[20:21], s[12:13], 18
	s_lshl_b32 s17, s12, 5
	s_add_nc_u64 s[20:21], s[14:15], s[20:21]
	s_cmp_lt_i32 s17, s11
	v_mad_nc_u64_u32 v[56:57], v4, 18, s[20:21]
	v_mad_nc_u64_u32 v[58:59], v12, 18, s[20:21]
	s_delay_alu instid0(VALU_DEP_2)
	v_mad_nc_u64_u32 v[60:61], v2, 18, v[56:57]
	v_mad_nc_u64_u32 v[62:63], v6, 18, v[56:57]
	;; [unrolled: 1-line block ×11, first 2 shown]
	v_add_nc_u64_e32 v[60:61], v[60:61], v[8:9]
	v_add_nc_u64_e32 v[62:63], v[62:63], v[8:9]
	;; [unrolled: 1-line block ×6, first 2 shown]
	v_mad_nc_u64_u32 v[98:99], v44, 18, v[58:59]
	v_add_nc_u64_e32 v[88:89], v[88:89], v[8:9]
	v_mad_nc_u64_u32 v[100:101], v48, 18, v[58:59]
	v_add_nc_u64_e32 v[90:91], v[90:91], v[8:9]
	s_clause 0x7
	global_load_b32 v54, v[60:61], off offset:2
	global_load_b32 v102, v[62:63], off offset:2
	;; [unrolled: 1-line block ×8, first 2 shown]
	s_wait_xcnt 0x7
	v_mad_nc_u64_u32 v[60:61], v36, 18, v[56:57]
	v_mad_nc_u64_u32 v[58:59], v52, 18, v[58:59]
	s_wait_xcnt 0x6
	v_mad_nc_u64_u32 v[62:63], v38, 18, v[56:57]
	s_wait_xcnt 0x5
	;; [unrolled: 2-line block ×4, first 2 shown]
	v_mad_nc_u64_u32 v[68:69], v46, 18, v[56:57]
	v_mad_nc_u64_u32 v[56:57], v50, 18, v[56:57]
	s_clause 0x3
	global_load_u16 v88, v[96:97], off
	global_load_u16 v89, v[98:99], off
	;; [unrolled: 1-line block ×4, first 2 shown]
	s_wait_xcnt 0x0
	v_add_nc_u64_e32 v[58:59], v[92:93], v[8:9]
	v_add_nc_u64_e32 v[70:71], v[94:95], v[8:9]
	;; [unrolled: 1-line block ×8, first 2 shown]
	s_clause 0x7
	global_load_b32 v92, v[58:59], off offset:2
	global_load_b32 v93, v[70:71], off offset:2
	;; [unrolled: 1-line block ×8, first 2 shown]
	s_wait_loadcnt 0xb
	s_wait_xcnt 0x0
	v_cvt_f32_f16_e32 v56, v88
	s_wait_loadcnt 0xa
	v_cvt_f32_f16_e32 v57, v89
	s_wait_loadcnt 0x9
	;; [unrolled: 2-line block ×3, first 2 shown]
	v_cvt_f32_f16_e32 v59, v91
	ds_store_b32 v7, v54
	ds_store_b32 v11, v102
	;; [unrolled: 1-line block ×8, first 2 shown]
	s_wait_loadcnt 0x7
	ds_store_b32 v27, v92
	s_wait_loadcnt 0x6
	ds_store_b32 v35, v93
	;; [unrolled: 2-line block ×8, first 2 shown]
	ds_store_b32 v84, v56
	ds_store_b32 v85, v57
	;; [unrolled: 1-line block ×4, first 2 shown]
	s_cbranch_scc0 .LBB217_4
; %bb.6:                                ;   in Loop: Header=BB217_5 Depth=1
	v_add_nc_u32_e32 v54, s12, v33
	s_delay_alu instid0(VALU_DEP_1) | instskip(SKIP_1) | instid1(SALU_CYCLE_1)
	v_cmp_gt_i32_e64 s1, s5, v54
	s_and_b32 s19, s0, s1
	s_and_saveexec_b32 s1, s19
	s_cbranch_execz .LBB217_8
; %bb.7:                                ;   in Loop: Header=BB217_5 Depth=1
	v_add_nc_u32_e32 v54, v28, v54
	s_delay_alu instid0(VALU_DEP_1)
	v_mad_nc_i64_i32 v[56:57], v54, 36, v[30:31]
	global_load_b32 v54, v[56:57], off offset:4
	s_wait_loadcnt 0x0
	ds_store_b32 v53, v54
.LBB217_8:                              ;   in Loop: Header=BB217_5 Depth=1
	s_or_b32 exec_lo, exec_lo, s1
	v_add_nc_u32_e32 v56, s12, v5
	s_delay_alu instid0(VALU_DEP_1) | instskip(SKIP_1) | instid1(SALU_CYCLE_1)
	v_cmp_gt_i32_e64 s1, s5, v56
	s_and_b32 s19, s16, s1
	s_and_saveexec_b32 s1, s19
	s_cbranch_execz .LBB217_10
; %bb.9:                                ;   in Loop: Header=BB217_5 Depth=1
	v_add_nc_u32_e32 v54, v28, v56
	s_delay_alu instid0(VALU_DEP_1)
	v_mad_nc_i64_i32 v[58:59], v54, 36, s[2:3]
	global_load_b32 v54, v[58:59], off
	s_wait_loadcnt 0x0
	ds_store_b32 v72, v54
.LBB217_10:                             ;   in Loop: Header=BB217_5 Depth=1
	s_or_b32 exec_lo, exec_lo, s1
	v_dual_mov_b32 v57, v49 :: v_dual_mov_b32 v88, v51
	v_dual_mov_b32 v89, v78 :: v_dual_mov_b32 v90, v77
	;; [unrolled: 1-line block ×3, first 2 shown]
	v_mov_b32_e32 v93, v73
	s_mov_b32 s1, -4
	s_wait_dscnt 0x0
	s_barrier_signal -1
	s_barrier_wait -1
.LBB217_11:                             ;   Parent Loop BB217_5 Depth=1
                                        ; =>  This Inner Loop Header: Depth=2
	ds_load_2addr_b32 v[60:61], v57 offset0:4 offset1:7
	ds_load_2addr_b32 v[68:69], v93 offset1:1
	ds_load_2addr_b32 v[62:63], v93 offset0:2 offset1:3
	ds_load_2addr_b32 v[64:65], v57 offset1:3
	ds_load_2addr_b32 v[70:71], v57 offset0:1 offset1:2
	ds_load_2addr_b32 v[66:67], v57 offset0:5 offset1:6
	v_add_nc_u32_e32 v54, 0x1080, v93
	v_add_nc_u32_e32 v98, 0x1088, v93
	;; [unrolled: 1-line block ×6, first 2 shown]
	ds_load_b32 v59, v92
	ds_load_b32 v108, v88
	;; [unrolled: 1-line block ×5, first 2 shown]
	ds_load_2addr_b32 v[96:97], v54 offset1:1
	ds_load_2addr_b32 v[98:99], v98 offset1:1
	;; [unrolled: 1-line block ×6, first 2 shown]
	v_dual_add_nc_u32 v93, 16, v93 :: v_dual_add_nc_u32 v92, 4, v92
	v_add_nc_u32_e32 v89, 4, v89
	v_add_nc_u32_e32 v57, 32, v57
	s_add_co_i32 s1, s1, 4
	v_add_nc_u32_e32 v90, 4, v90
	s_wait_dscnt 0x10
	v_lshrrev_b16 v54, 8, v60
	s_wait_dscnt 0xf
	v_dual_lshrrev_b32 v110, 28, v69 :: v_dual_bitop2_b32 v116, 15, v68 bitop3:0x40
	s_wait_dscnt 0xd
	v_lshrrev_b16 v113, 8, v64
	v_ashrrev_i32_e32 v114, 24, v64
	v_bfe_i32 v115, v64, 16, 8
	v_bfe_i32 v64, v64, 0, 8
	v_bfe_u32 v117, v68, 8, 4
	s_wait_dscnt 0xc
	v_ashrrev_i32_e32 v123, 24, v70
	v_bfe_i32 v113, v113, 0, 8
	s_wait_dscnt 0x5
	v_and_b32_e32 v162, 15, v96
	v_mul_i32_i24_e32 v116, v64, v116
	v_bfe_u32 v118, v68, 24, 4
	v_bfe_u32 v119, v68, 16, 4
	v_dual_ashrrev_i32 v155, 24, v61 :: v_dual_lshrrev_b32 v160, 28, v63
	v_bfe_i32 v156, v61, 16, 8
	v_bfe_i32 v157, v61, 8, 8
	;; [unrolled: 1-line block ×3, first 2 shown]
	v_bfe_u32 v61, v63, 4, 4
	s_wait_dscnt 0x1
	v_dual_lshrrev_b32 v161, 16, v108 :: v_dual_lshrrev_b32 v177, 28, v105
	v_bfe_u32 v163, v96, 8, 4
	v_bfe_u32 v164, v96, 24, 4
	;; [unrolled: 1-line block ×3, first 2 shown]
	s_wait_dscnt 0x0
	v_dual_lshrrev_b32 v189, 28, v106 :: v_dual_bitop2_b32 v167, 15, v100 bitop3:0x40
	v_mad_i32_i24 v116, v113, v117, v116
	v_mul_i32_i24_e32 v117, v64, v162
	v_bfe_u32 v109, v68, 12, 4
	v_dual_ashrrev_i32 v120, 24, v60 :: v_dual_ashrrev_i32 v126, 24, v66
	v_bfe_i32 v121, v60, 16, 8
	v_bfe_i32 v122, v60, 0, 8
	;; [unrolled: 1-line block ×5, first 2 shown]
	v_dual_lshrrev_b32 v129, 28, v68 :: v_dual_bitop2_b32 v131, 15, v69 bitop3:0x40
	v_bfe_u32 v130, v68, 20, 4
	v_bfe_u32 v68, v68, 4, 4
	v_mul_i32_i24_e32 v119, v115, v119
	v_mul_i32_i24_e32 v118, v114, v118
	v_bfe_u32 v166, v104, 4, 4
	v_dual_lshrrev_b32 v172, 28, v104 :: v_dual_bitop2_b32 v168, 15, v104 bitop3:0x40
	v_bfe_u32 v169, v104, 20, 4
	v_bfe_u32 v171, v100, 16, 4
	;; [unrolled: 1-line block ×4, first 2 shown]
	v_bfe_i32 v54, v54, 0, 8
	v_bfe_u32 v176, v105, 24, 4
	v_bfe_u32 v178, v105, 16, 4
	v_and_b32_e32 v180, 15, v105
	v_bfe_u32 v182, v100, 4, 4
	v_bfe_u32 v183, v100, 12, 4
	;; [unrolled: 1-line block ×5, first 2 shown]
	v_lshrrev_b32_e32 v100, 28, v100
	v_mul_i32_i24_e32 v246, v158, v61
	v_cvt_f32_f16_e64 v61, v161
	v_mul_i32_i24_e32 v161, v115, v165
	v_mul_i32_i24_e32 v162, v114, v164
	;; [unrolled: 1-line block ×3, first 2 shown]
	v_mad_i32_i24 v117, v113, v163, v117
	v_bfe_i32 v127, v66, 16, 8
	v_bfe_i32 v128, v66, 8, 8
	v_bfe_i32 v66, v66, 0, 8
	v_mul_i32_i24_e32 v68, v122, v68
	v_bfe_u32 v179, v105, 20, 4
	v_bfe_u32 v181, v105, 4, 4
	;; [unrolled: 1-line block ×3, first 2 shown]
	v_lshrrev_b32_e32 v96, 28, v96
	v_mul_i32_i24_e32 v164, v166, v122
	v_mul_i32_i24_e32 v166, v169, v121
	;; [unrolled: 1-line block ×12, first 2 shown]
	v_add3_u32 v116, v116, v119, v118
	v_mad_i32_i24 v118, v113, v175, v165
	v_add3_u32 v117, v117, v161, v162
	v_bfe_u32 v132, v69, 8, 4
	v_bfe_i32 v138, v71, 16, 8
	v_dual_ashrrev_i32 v140, 24, v67 :: v_dual_bitop2_b32 v146, 15, v62 bitop3:0x40
	v_mul_i32_i24_e32 v130, v121, v130
	v_mul_i32_i24_e32 v129, v120, v129
	v_bfe_u32 v192, v106, 16, 4
	v_and_b32_e32 v194, 15, v101
	v_and_b32_e32 v205, 15, v97
	v_bfe_u32 v207, v97, 8, 4
	v_mul_i32_i24_e32 v174, v126, v177
	v_mul_i32_i24_e32 v177, v127, v179
	;; [unrolled: 1-line block ×7, first 2 shown]
	v_add3_u32 v118, v118, v167, v171
	v_add3_u32 v68, v116, v109, v68
	;; [unrolled: 1-line block ×3, first 2 shown]
	v_bfe_u32 v133, v69, 24, 4
	v_bfe_u32 v134, v69, 16, 4
	v_dual_ashrrev_i32 v137, 24, v71 :: v_dual_ashrrev_i32 v143, 24, v65
	v_bfe_i32 v139, v71, 8, 8
	v_bfe_i32 v71, v71, 0, 8
	;; [unrolled: 1-line block ×5, first 2 shown]
	v_bfe_u32 v170, v104, 16, 4
	v_bfe_u32 v173, v104, 24, 4
	;; [unrolled: 1-line block ×3, first 2 shown]
	v_and_b32_e32 v190, 15, v106
	v_bfe_u32 v191, v106, 4, 4
	v_bfe_u32 v193, v106, 20, 4
	;; [unrolled: 1-line block ×5, first 2 shown]
	v_mul_i32_i24_e32 v131, v70, v131
	v_mul_i32_i24_e32 v132, v125, v132
	v_and_b32_e32 v208, 0xf0f0f0f, v104
	v_lshrrev_b32_e32 v104, 4, v104
	v_bfe_u32 v211, v97, 24, 4
	v_bfe_u32 v212, v97, 16, 4
	v_and_b32_e32 v216, 0xf0f0f0f, v106
	v_lshrrev_b32_e32 v106, 4, v106
	v_mul_i32_i24_e32 v184, v140, v189
	v_mul_i32_i24_e32 v189, v138, v192
	;; [unrolled: 1-line block ×6, first 2 shown]
	v_add3_u32 v118, v118, v181, v180
	v_add3_u32 v68, v68, v130, v129
	;; [unrolled: 1-line block ×3, first 2 shown]
	v_bfe_u32 v135, v69, 4, 4
	v_bfe_u32 v136, v69, 12, 4
	;; [unrolled: 1-line block ×5, first 2 shown]
	v_lshrrev_b32_e32 v101, 28, v101
	v_mul_i32_i24_e32 v134, v124, v134
	v_mul_i32_i24_e32 v133, v123, v133
	v_bfe_u32 v213, v97, 4, 4
	v_bfe_u32 v214, v97, 12, 4
	v_mul_i32_i24_e32 v183, v137, v188
	v_mul_i32_i24_e32 v185, v71, v190
	;; [unrolled: 1-line block ×9, first 2 shown]
	v_add3_u32 v100, v118, v186, v100
	v_add3_u32 v68, v68, v132, v131
	;; [unrolled: 1-line block ×3, first 2 shown]
	v_bfe_u32 v69, v69, 20, 4
	v_dual_lshrrev_b32 v201, 28, v97 :: v_dual_bitop2_b32 v202, 15, v102 bitop3:0x40
	v_bfe_u32 v97, v97, 20, 4
	v_mul_i32_i24_e32 v135, v66, v135
	v_mul_i32_i24_e32 v136, v128, v136
	;; [unrolled: 1-line block ×4, first 2 shown]
	v_add3_u32 v100, v100, v191, v120
	v_add3_u32 v68, v68, v134, v133
	v_add3_u32 v70, v70, v124, v123
	v_bfe_u32 v147, v62, 24, 4
	v_bfe_u32 v148, v62, 16, 4
	;; [unrolled: 1-line block ×4, first 2 shown]
	v_dual_lshrrev_b32 v151, 28, v62 :: v_dual_bitop2_b32 v153, 15, v63 bitop3:0x40
	v_bfe_u32 v152, v62, 20, 4
	v_bfe_u32 v62, v62, 8, 4
	v_dual_lshrrev_b32 v239, 28, v98 :: v_dual_bitop2_b32 v230, 15, v107 bitop3:0x40
	v_dual_lshrrev_b32 v245, 28, v99 :: v_dual_bitop2_b32 v234, 15, v98 bitop3:0x40
	v_bfe_u32 v235, v98, 24, 4
	v_bfe_u32 v236, v98, 16, 4
	;; [unrolled: 1-line block ×6, first 2 shown]
	v_mul_i32_i24_e32 v110, v126, v110
	v_mul_i32_i24_e32 v69, v127, v69
	;; [unrolled: 1-line block ×6, first 2 shown]
	v_add3_u32 v100, v100, v193, v194
	v_add3_u32 v68, v68, v135, v136
	;; [unrolled: 1-line block ×3, first 2 shown]
	v_bfe_u32 v203, v102, 8, 4
	v_bfe_u32 v204, v102, 16, 4
	;; [unrolled: 1-line block ×3, first 2 shown]
	v_and_b32_e32 v209, 0xf0f0f0f, v105
	v_dual_lshrrev_b32 v105, 4, v105 :: v_dual_lshrrev_b32 v217, 28, v102
	v_mul_i32_i24_e32 v146, v71, v146
	v_mul_i32_i24_e32 v62, v139, v62
	;; [unrolled: 1-line block ×7, first 2 shown]
	v_lshrrev_b16 v104, 8, v104
	v_add3_u32 v66, v100, v66, v197
	v_add3_u32 v68, v68, v69, v110
	;; [unrolled: 1-line block ×3, first 2 shown]
	v_bfe_i32 v145, v65, 0, 8
	v_bfe_u32 v210, v102, 4, 4
	v_dual_lshrrev_b32 v224, 28, v103 :: v_dual_bitop2_b32 v219, 15, v103 bitop3:0x40
	v_mul_i32_i24_e32 v148, v138, v148
	v_mul_i32_i24_e32 v147, v137, v147
	;; [unrolled: 1-line block ×6, first 2 shown]
	v_lshrrev_b16 v208, 8, v208
	v_lshrrev_b16 v209, 8, v209
	v_mul_i32_i24_e32 v203, v139, v203
	v_lshrrev_b16 v105, 8, v105
	v_dual_add_nc_u32 v91, 4, v91 :: v_dual_bitop2_b32 v104, 15, v104 bitop3:0x40
	v_add3_u32 v66, v66, v126, v101
	v_add3_u32 v62, v68, v62, v146
	;; [unrolled: 1-line block ×3, first 2 shown]
	v_bfe_u32 v215, v102, 12, 4
	v_bfe_u32 v102, v102, 20, 4
	;; [unrolled: 1-line block ×3, first 2 shown]
	v_and_b32_e32 v226, 0xf0f0f0f, v107
	v_dual_lshrrev_b32 v227, 4, v107 :: v_dual_lshrrev_b32 v228, 28, v107
	v_mul_i32_i24_e32 v149, v67, v149
	v_mul_i32_i24_e32 v150, v142, v150
	;; [unrolled: 1-line block ×5, first 2 shown]
	v_lshrrev_b16 v214, 8, v216
	v_lshrrev_b16 v106, 8, v106
	v_mul_i32_i24_e32 v219, v142, v238
	v_mad_i32_i24 v115, v170, v115, v166
	v_mad_i32_i24 v114, v173, v114, v169
	v_and_b32_e32 v119, 0xffff, v208
	v_and_b32_e32 v163, 0xffff, v209
	v_dual_add_nc_u32 v88, 4, v88 :: v_dual_bitop2_b32 v105, 15, v105 bitop3:0x40
	v_and_b32_e32 v104, 0xffff, v104
	v_add3_u32 v66, v66, v203, v127
	v_add3_u32 v62, v62, v148, v147
	;; [unrolled: 1-line block ×3, first 2 shown]
	v_bfe_i32 v144, v65, 8, 8
	v_bfe_u32 v154, v63, 8, 4
	v_bfe_u32 v218, v103, 8, 4
	v_and_b32_e32 v241, 15, v99
	v_bfe_u32 v242, v99, 8, 4
	v_mul_i32_i24_e32 v152, v141, v152
	v_mul_i32_i24_e32 v151, v140, v151
	;; [unrolled: 1-line block ×7, first 2 shown]
	v_lshrrev_b16 v216, 8, v226
	v_mul_i32_i24_e32 v215, v142, v215
	v_lshrrev_b16 v220, 8, v227
	v_mad_i32_i24 v64, v168, v64, v164
	v_and_b32_e32 v164, 0xffff, v214
	v_and_b32_e32 v106, 15, v106
	v_add3_u32 v109, v114, v172, v174
	v_add3_u32 v114, v115, v176, v177
	v_mul_i32_i24_e32 v113, v119, v113
	v_mul_i32_i24_e32 v115, v125, v163
	v_and_b32_e32 v105, 0xffff, v105
	v_mul_i32_i24_e32 v54, v104, v54
	v_add3_u32 v66, v66, v187, v199
	v_add3_u32 v62, v62, v149, v150
	;; [unrolled: 1-line block ×3, first 2 shown]
	v_bfe_u32 v111, v63, 16, 4
	v_bfe_u32 v112, v63, 24, 4
	v_bfe_i32 v65, v65, 16, 8
	v_bfe_u32 v225, v107, 24, 4
	v_bfe_u32 v232, v99, 16, 4
	v_bfe_u32 v233, v99, 24, 4
	v_mul_i32_i24_e32 v153, v145, v153
	v_mul_i32_i24_e32 v154, v144, v154
	;; [unrolled: 1-line block ×5, first 2 shown]
	v_and_b32_e32 v165, 0xffff, v216
	v_and_b32_e32 v166, 15, v220
	v_mul_i32_i24_e32 v116, v139, v164
	v_and_b32_e32 v106, 0xffff, v106
	v_mul_i32_i24_e32 v96, v128, v105
	v_add3_u32 v54, v113, v54, v115
	v_add3_u32 v66, v66, v200, v215
	;; [unrolled: 1-line block ×4, first 2 shown]
	v_bfe_u32 v159, v63, 12, 4
	v_bfe_u32 v221, v103, 16, 4
	;; [unrolled: 1-line block ×9, first 2 shown]
	v_mul_i32_i24_e32 v111, v65, v111
	v_mul_i32_i24_e32 v112, v143, v112
	;; [unrolled: 1-line block ×6, first 2 shown]
	v_add3_u32 v64, v64, v178, v179
	v_mul_i32_i24_e32 v119, v144, v165
	v_and_b32_e32 v125, 0xffff, v166
	v_add3_u32 v109, v109, v183, v184
	v_mul_i32_i24_e32 v104, v142, v106
	v_add3_u32 v54, v54, v96, v116
	v_add3_u32 v66, v66, v102, v201
	;; [unrolled: 1-line block ×4, first 2 shown]
	v_bfe_u32 v63, v63, 20, 4
	v_bfe_u32 v103, v103, 20, 4
	v_bfe_u32 v99, v99, 20, 4
	v_mul_i32_i24_e32 v159, v157, v159
	v_mul_i32_i24_e32 v145, v145, v230
	;; [unrolled: 1-line block ×10, first 2 shown]
	v_add3_u32 v64, v64, v185, v188
	v_add3_u32 v114, v114, v189, v190
	v_mul_i32_i24_e32 v105, v157, v125
	v_add3_u32 v69, v109, v210, v213
	v_add3_u32 v54, v54, v104, v119
	;; [unrolled: 1-line block ×5, first 2 shown]
	v_mul_i32_i24_e32 v63, v156, v63
	v_mul_i32_i24_e32 v160, v155, v160
	;; [unrolled: 1-line block ×6, first 2 shown]
	v_add3_u32 v65, v114, v65, v212
	v_add3_u32 v64, v64, v145, v107
	;; [unrolled: 1-line block ×6, first 2 shown]
	v_cvt_f32_f16_e32 v60, v108
	v_add3_u32 v54, v64, v65, v54
	v_add3_u32 v64, v66, v211, v221
	;; [unrolled: 1-line block ×4, first 2 shown]
	s_cmp_lt_u32 s1, 12
	v_cvt_f32_i32_e32 v54, v54
	v_add3_u32 v66, v64, v103, v156
	v_cvt_f32_i32_e32 v62, v62
	v_cvt_f32_i32_e32 v63, v63
	s_delay_alu instid0(VALU_DEP_4) | instskip(NEXT) | instid1(VALU_DEP_4)
	v_pk_mul_f32 v[64:65], v[54:55], v[60:61]
	v_cvt_f32_i32_e32 v54, v66
	s_delay_alu instid0(VALU_DEP_3) | instskip(NEXT) | instid1(VALU_DEP_3)
	v_pk_mul_f32 v[60:61], v[60:61], v[62:63] op_sel_hi:[0,1]
	v_sub_f32_e32 v63, v64, v65
	s_delay_alu instid0(VALU_DEP_3) | instskip(NEXT) | instid1(VALU_DEP_3)
	v_fma_mix_f32 v62, v108, v54, -v65 op_sel_hi:[1,0,0]
	v_dual_sub_f32 v61, v61, v65 :: v_dual_sub_f32 v60, v60, v65
	s_delay_alu instid0(VALU_DEP_2) | instskip(NEXT) | instid1(VALU_DEP_2)
	v_pk_fma_f32 v[0:1], v[58:59], v[62:63], v[0:1]
	v_pk_fma_f32 v[16:17], v[94:95], v[60:61], v[16:17]
	s_cbranch_scc1 .LBB217_11
; %bb.12:                               ;   in Loop: Header=BB217_5 Depth=1
	s_bitset1_b32 s17, 7
	s_delay_alu instid0(SALU_CYCLE_1)
	s_cmp_ge_i32 s17, s11
	s_barrier_signal -1
	s_barrier_wait -1
	s_cbranch_scc1 .LBB217_4
; %bb.13:                               ;   in Loop: Header=BB217_5 Depth=1
	v_add_nc_u32_e32 v54, s12, v74
	s_delay_alu instid0(VALU_DEP_1) | instskip(SKIP_1) | instid1(SALU_CYCLE_1)
	v_cmp_gt_i32_e64 s1, s5, v54
	s_and_b32 s17, s0, s1
	s_and_saveexec_b32 s1, s17
	s_cbranch_execz .LBB217_15
; %bb.14:                               ;   in Loop: Header=BB217_5 Depth=1
	v_add_nc_u32_e32 v54, v28, v54
	s_delay_alu instid0(VALU_DEP_1)
	v_mad_nc_i64_i32 v[58:59], v54, 36, v[30:31]
	global_load_b32 v54, v[58:59], off offset:4
	s_wait_loadcnt 0x0
	ds_store_b32 v53, v54
.LBB217_15:                             ;   in Loop: Header=BB217_5 Depth=1
	s_or_b32 exec_lo, exec_lo, s1
	s_and_saveexec_b32 s17, vcc_lo
	s_cbranch_execz .LBB217_18
; %bb.16:                               ;   in Loop: Header=BB217_5 Depth=1
	v_or_b32_e32 v54, 4, v56
	s_delay_alu instid0(VALU_DEP_1) | instskip(SKIP_1) | instid1(SALU_CYCLE_1)
	v_cmp_gt_i32_e64 s1, s5, v54
	s_and_b32 s1, s0, s1
	s_and_b32 exec_lo, exec_lo, s1
	s_cbranch_execz .LBB217_18
; %bb.17:                               ;   in Loop: Header=BB217_5 Depth=1
	v_ashrrev_i32_e32 v57, 31, v56
	s_delay_alu instid0(VALU_DEP_1) | instskip(NEXT) | instid1(VALU_DEP_1)
	v_add_nc_u64_e32 v[56:57], v[28:29], v[56:57]
	v_mad_nc_u64_u32 v[58:59], v56, 36, s[2:3]
	s_delay_alu instid0(VALU_DEP_1)
	v_mad_i32_i24 v59, v57, 36, v59
	global_load_b32 v54, v[58:59], off offset:144
	s_wait_loadcnt 0x0
	ds_store_b32 v72, v54
.LBB217_18:                             ;   in Loop: Header=BB217_5 Depth=1
	s_or_b32 exec_lo, exec_lo, s17
	v_dual_mov_b32 v60, v51 :: v_dual_mov_b32 v61, v49
	v_dual_mov_b32 v62, v83 :: v_dual_mov_b32 v63, v82
	;; [unrolled: 1-line block ×3, first 2 shown]
	v_mov_b32_e32 v66, v79
	s_mov_b32 s1, 12
	s_wait_dscnt 0x0
	s_barrier_signal -1
	s_barrier_wait -1
.LBB217_19:                             ;   Parent Loop BB217_5 Depth=1
                                        ; =>  This Inner Loop Header: Depth=2
	ds_load_2addr_b32 v[68:69], v61 offset1:3
	ds_load_2addr_b32 v[70:71], v61 offset0:4 offset1:7
	ds_load_2addr_b32 v[88:89], v61 offset0:1 offset1:2
	ds_load_b32 v67, v60
	ds_load_2addr_b32 v[90:91], v66 offset1:1
	ds_load_2addr_b32 v[92:93], v66 offset0:2 offset1:3
	v_add_nc_u32_e32 v54, 0x1080, v66
	v_add_nc_u32_e32 v98, 0x1088, v66
	;; [unrolled: 1-line block ×6, first 2 shown]
	ds_load_2addr_b32 v[94:95], v61 offset0:5 offset1:6
	ds_load_b32 v56, v62
	ds_load_b32 v57, v63
	ds_load_b32 v58, v64
	ds_load_b32 v59, v65
	ds_load_2addr_b32 v[96:97], v54 offset1:1
	ds_load_2addr_b32 v[98:99], v98 offset1:1
	;; [unrolled: 1-line block ×6, first 2 shown]
	v_dual_add_nc_u32 v66, 16, v66 :: v_dual_add_nc_u32 v65, 4, v65
	v_add_nc_u32_e32 v60, 4, v60
	s_add_co_i32 s1, s1, 4
	v_add_nc_u32_e32 v64, 4, v64
	s_cmp_lt_u32 s1, 28
	s_wait_dscnt 0x10
	v_lshrrev_b16 v112, 8, v68
	v_bfe_i32 v115, v68, 0, 8
	s_wait_dscnt 0xe
	v_ashrrev_i32_e32 v122, 24, v88
	v_lshrrev_b16 v54, 8, v70
	s_wait_dscnt 0xc
	v_and_b32_e32 v116, 15, v90
	v_bfe_u32 v117, v90, 8, 4
	v_bfe_i32 v112, v112, 0, 8
	v_dual_lshrrev_b32 v109, 28, v91 :: v_dual_ashrrev_i32 v113, 24, v68
	s_delay_alu instid0(VALU_DEP_4)
	v_mul_i32_i24_e32 v116, v115, v116
	s_wait_dscnt 0x5
	v_and_b32_e32 v190, 15, v96
	v_bfe_i32 v114, v68, 16, 8
	v_bfe_u32 v118, v90, 24, 4
	v_bfe_u32 v119, v90, 16, 4
	v_dual_ashrrev_i32 v120, 24, v70 :: v_dual_bitop2_b32 v130, 15, v91 bitop3:0x40
	v_bfe_i32 v121, v70, 16, 8
	v_bfe_i32 v70, v70, 0, 8
	s_wait_dscnt 0x3
	v_and_b32_e32 v166, 15, v100
	s_wait_dscnt 0x1
	v_dual_lshrrev_b32 v187, 4, v104 :: v_dual_bitop2_b32 v179, 15, v102 bitop3:0x40
	v_bfe_u32 v185, v104, 24, 4
	v_and_b32_e32 v186, 0xf0f0f0f, v104
	v_dual_lshrrev_b32 v188, 28, v104 :: v_dual_bitop2_b32 v194, 15, v104 bitop3:0x40
	v_bfe_u32 v189, v96, 8, 4
	v_bfe_u32 v191, v96, 24, 4
	;; [unrolled: 1-line block ×6, first 2 shown]
	v_lshrrev_b32_e32 v198, 4, v105
	v_mad_i32_i24 v116, v112, v117, v116
	v_mul_i32_i24_e32 v117, v115, v190
	v_bfe_u32 v108, v90, 12, 4
	v_dual_lshrrev_b32 v128, 28, v90 :: v_dual_ashrrev_i32 v139, 24, v95
	v_bfe_u32 v129, v90, 20, 4
	v_bfe_u32 v90, v90, 4, 4
	;; [unrolled: 1-line block ×9, first 2 shown]
	v_lshrrev_b32_e32 v100, 28, v100
	v_mul_i32_i24_e32 v119, v114, v119
	v_mul_i32_i24_e32 v118, v113, v118
	v_bfe_i32 v54, v54, 0, 8
	v_dual_lshrrev_b32 v202, 28, v96 :: v_dual_bitop2_b32 v204, 15, v97 bitop3:0x40
	v_bfe_u32 v203, v96, 20, 4
	v_bfe_u32 v96, v96, 4, 4
	v_mul_i32_i24_e32 v190, v114, v192
	v_mul_i32_i24_e32 v191, v113, v191
	;; [unrolled: 1-line block ×4, first 2 shown]
	v_mad_i32_i24 v117, v112, v189, v117
	v_bfe_i32 v123, v88, 16, 8
	v_bfe_i32 v124, v88, 8, 8
	;; [unrolled: 1-line block ×3, first 2 shown]
	v_dual_ashrrev_i32 v125, 24, v94 :: v_dual_ashrrev_i32 v136, 24, v89
	v_bfe_i32 v126, v94, 16, 8
	v_bfe_i32 v127, v94, 8, 8
	;; [unrolled: 1-line block ×3, first 2 shown]
	v_bfe_u32 v134, v91, 4, 4
	v_bfe_u32 v177, v101, 4, 4
	;; [unrolled: 1-line block ×3, first 2 shown]
	v_and_b32_e32 v197, 0xf0f0f0f, v105
	v_dual_lshrrev_b32 v199, 28, v105 :: v_dual_bitop2_b32 v201, 15, v105 bitop3:0x40
	v_bfe_u32 v200, v105, 16, 4
	v_bfe_u32 v208, v97, 4, 4
	v_mul_i32_i24_e32 v90, v70, v90
	v_bfe_u32 v210, v105, 20, 4
	v_bfe_u32 v105, v105, 4, 4
	v_mul_i32_i24_e32 v168, v114, v168
	v_mul_i32_i24_e32 v169, v113, v169
	;; [unrolled: 1-line block ×6, first 2 shown]
	v_add3_u32 v116, v116, v119, v118
	v_mad_i32_i24 v118, v112, v167, v166
	v_mad_i32_i24 v104, v194, v115, v104
	v_add3_u32 v115, v117, v190, v191
	v_bfe_u32 v131, v91, 8, 4
	v_and_b32_e32 v173, 15, v101
	v_bfe_u32 v205, v97, 8, 4
	v_mul_i32_i24_e32 v129, v121, v129
	v_mul_i32_i24_e32 v128, v120, v128
	;; [unrolled: 1-line block ×7, first 2 shown]
	v_lshrrev_b16 v195, 8, v197
	v_lshrrev_b16 v197, 8, v198
	v_mul_i32_i24_e32 v198, v88, v201
	v_mul_i32_i24_e32 v177, v94, v177
	;; [unrolled: 1-line block ×6, first 2 shown]
	v_add3_u32 v117, v118, v168, v169
	v_add3_u32 v90, v116, v108, v90
	v_add3_u32 v70, v115, v161, v70
	v_bfe_u32 v132, v91, 24, 4
	v_bfe_u32 v133, v91, 16, 4
	;; [unrolled: 1-line block ×7, first 2 shown]
	v_lshrrev_b32_e32 v101, 28, v101
	v_bfe_u32 v206, v97, 24, 4
	v_bfe_u32 v207, v97, 16, 4
	v_mul_i32_i24_e32 v130, v88, v130
	v_mul_i32_i24_e32 v131, v124, v131
	;; [unrolled: 1-line block ×6, first 2 shown]
	v_add3_u32 v94, v104, v198, v94
	v_add3_u32 v104, v117, v171, v170
	;; [unrolled: 1-line block ×4, first 2 shown]
	v_bfe_u32 v135, v91, 12, 4
	v_bfe_u32 v209, v97, 12, 4
	v_mul_i32_i24_e32 v133, v123, v133
	v_mul_i32_i24_e32 v132, v122, v132
	;; [unrolled: 1-line block ×9, first 2 shown]
	v_add3_u32 v100, v104, v165, v100
	v_add3_u32 v90, v90, v131, v130
	;; [unrolled: 1-line block ×3, first 2 shown]
	v_bfe_u32 v91, v91, 20, 4
	v_dual_lshrrev_b32 v157, 16, v67 :: v_dual_lshrrev_b32 v162, 28, v97
	v_bfe_u32 v97, v97, 20, 4
	v_mul_i32_i24_e32 v135, v127, v135
	v_mul_i32_i24_e32 v202, v127, v209
	v_add3_u32 v100, v100, v174, v173
	v_add3_u32 v90, v90, v133, v132
	;; [unrolled: 1-line block ×3, first 2 shown]
	v_bfe_i32 v137, v89, 16, 8
	v_bfe_i32 v138, v89, 8, 8
	;; [unrolled: 1-line block ×3, first 2 shown]
	v_ashrrev_i32_e32 v142, 24, v69
	v_bfe_i32 v143, v69, 8, 8
	v_bfe_i32 v144, v69, 0, 8
	;; [unrolled: 1-line block ×3, first 2 shown]
	v_and_b32_e32 v69, 15, v92
	v_bfe_u32 v146, v92, 24, 4
	v_bfe_u32 v147, v92, 16, 4
	;; [unrolled: 1-line block ×4, first 2 shown]
	v_dual_lshrrev_b32 v150, 28, v92 :: v_dual_bitop2_b32 v152, 15, v93 bitop3:0x40
	v_bfe_u32 v151, v92, 20, 4
	v_bfe_u32 v92, v92, 8, 4
	v_mul_i32_i24_e32 v109, v125, v109
	v_mul_i32_i24_e32 v91, v126, v91
	s_wait_dscnt 0x0
	v_dual_lshrrev_b32 v221, 4, v107 :: v_dual_bitop2_b32 v216, 15, v106 bitop3:0x40
	v_dual_lshrrev_b32 v232, 28, v98 :: v_dual_bitop2_b32 v224, 15, v103 bitop3:0x40
	;; [unrolled: 1-line block ×3, first 2 shown]
	v_bfe_u32 v228, v98, 24, 4
	v_bfe_u32 v229, v98, 16, 4
	;; [unrolled: 1-line block ×6, first 2 shown]
	v_mul_i32_i24_e32 v162, v125, v162
	v_mul_i32_i24_e32 v178, v127, v178
	;; [unrolled: 1-line block ×3, first 2 shown]
	v_add3_u32 v100, v100, v175, v176
	v_add3_u32 v90, v90, v134, v135
	;; [unrolled: 1-line block ×3, first 2 shown]
	v_bfe_u32 v110, v93, 16, 4
	v_bfe_u32 v111, v93, 24, 4
	;; [unrolled: 1-line block ×3, first 2 shown]
	v_dual_ashrrev_i32 v154, 24, v71 :: v_dual_lshrrev_b32 v160, 28, v93
	v_bfe_i32 v155, v71, 16, 8
	v_bfe_u32 v158, v93, 4, 4
	v_bfe_u32 v159, v93, 12, 4
	;; [unrolled: 1-line block ×9, first 2 shown]
	v_and_b32_e32 v212, 0xf0f0f0f, v106
	v_bfe_u32 v215, v106, 16, 4
	v_bfe_u32 v223, v103, 8, 4
	;; [unrolled: 1-line block ×4, first 2 shown]
	v_dual_lshrrev_b32 v244, 28, v99 :: v_dual_bitop2_b32 v234, 15, v99 bitop3:0x40
	v_bfe_u32 v235, v99, 8, 4
	v_mul_i32_i24_e32 v236, v89, v69
	v_mul_i32_i24_e32 v92, v138, v92
	v_bfe_u32 v239, v103, 12, 4
	v_bfe_u32 v240, v103, 4, 4
	;; [unrolled: 1-line block ×4, first 2 shown]
	v_cvt_f32_f16_e64 v69, v157
	v_bfe_u32 v157, v99, 4, 4
	v_bfe_u32 v243, v99, 12, 4
	;; [unrolled: 1-line block ×3, first 2 shown]
	v_lshrrev_b16 v187, 8, v187
	v_mul_i32_i24_e32 v172, v126, v172
	v_mul_i32_i24_e32 v101, v125, v101
	v_mul_i32_i24_e32 v179, v89, v179
	v_mul_i32_i24_e32 v203, v89, v216
	v_mul_i32_i24_e32 v89, v89, v227
	v_mul_i32_i24_e32 v98, v138, v98
	v_add3_u32 v100, v100, v177, v178
	v_add3_u32 v90, v90, v91, v109
	;; [unrolled: 1-line block ×3, first 2 shown]
	v_bfe_i32 v140, v95, 16, 8
	v_bfe_i32 v141, v95, 8, 8
	;; [unrolled: 1-line block ×3, first 2 shown]
	v_bfe_u32 v183, v102, 4, 4
	v_dual_lshrrev_b32 v213, 4, v106 :: v_dual_lshrrev_b32 v214, 28, v106
	v_bfe_u32 v218, v106, 20, 4
	v_bfe_u32 v106, v106, 4, 4
	;; [unrolled: 1-line block ×3, first 2 shown]
	v_mul_i32_i24_e32 v147, v137, v147
	v_mul_i32_i24_e32 v146, v136, v146
	;; [unrolled: 1-line block ×3, first 2 shown]
	v_lshrrev_b16 v186, 8, v186
	v_mul_i32_i24_e32 v105, v126, v210
	v_lshrrev_b16 v126, 8, v212
	v_mul_i32_i24_e32 v180, v138, v180
	v_mul_i32_i24_e32 v181, v137, v181
	v_mul_i32_i24_e32 v182, v136, v182
	v_mul_i32_i24_e32 v204, v137, v215
	v_mul_i32_i24_e32 v205, v136, v211
	v_mul_i32_i24_e32 v212, v143, v223
	v_mul_i32_i24_e32 v137, v137, v229
	v_mul_i32_i24_e32 v136, v136, v228
	v_mul_i32_i24_e32 v103, v155, v103
	v_mul_i32_i24_e32 v223, v155, v242
	v_mul_i32_i24_e32 v99, v155, v99
	v_and_b32_e32 v155, 15, v187
	v_add3_u32 v91, v100, v172, v101
	v_add3_u32 v90, v90, v92, v236
	;; [unrolled: 1-line block ×3, first 2 shown]
	v_bfe_u32 v184, v102, 12, 4
	v_dual_lshrrev_b32 v217, 28, v102 :: v_dual_lshrrev_b32 v222, 28, v107
	v_bfe_u32 v102, v102, 20, 4
	v_and_b32_e32 v220, 0xf0f0f0f, v107
	v_mul_i32_i24_e32 v148, v95, v148
	v_mul_i32_i24_e32 v149, v141, v149
	;; [unrolled: 1-line block ×4, first 2 shown]
	v_lshrrev_b16 v199, 8, v213
	v_mul_i32_i24_e32 v183, v95, v183
	v_mul_i32_i24_e32 v106, v95, v106
	;; [unrolled: 1-line block ×9, first 2 shown]
	v_and_b32_e32 v119, 0xffff, v186
	v_dual_add_nc_u32 v63, 4, v63 :: v_dual_bitop2_b32 v164, 15, v197 bitop3:0x40
	v_and_b32_e32 v166, 0xffff, v195
	v_and_b32_e32 v118, 0xffff, v155
	v_add3_u32 v89, v91, v180, v179
	v_add3_u32 v90, v90, v147, v146
	;; [unrolled: 1-line block ×3, first 2 shown]
	v_mul_i32_i24_e32 v151, v140, v151
	v_mul_i32_i24_e32 v150, v139, v150
	;; [unrolled: 1-line block ×5, first 2 shown]
	v_lshrrev_b16 v209, 8, v220
	v_lshrrev_b16 v210, 8, v221
	v_mul_i32_i24_e32 v140, v140, v233
	v_mul_i32_i24_e32 v139, v139, v232
	v_dual_add_nc_u32 v62, 4, v62 :: v_dual_bitop2_b32 v167, 15, v199 bitop3:0x40
	v_and_b32_e32 v126, 0xffff, v126
	v_mad_i32_i24 v113, v185, v113, v188
	v_mul_i32_i24_e32 v112, v119, v112
	v_mul_i32_i24_e32 v119, v124, v166
	v_and_b32_e32 v108, 0xffff, v164
	v_mul_i32_i24_e32 v54, v118, v54
	v_add3_u32 v89, v89, v181, v182
	v_add3_u32 v90, v90, v148, v149
	;; [unrolled: 1-line block ×3, first 2 shown]
	v_mul_i32_i24_e32 v152, v144, v152
	v_mul_i32_i24_e32 v153, v143, v153
	;; [unrolled: 1-line block ×4, first 2 shown]
	v_dual_add_nc_u32 v61, 32, v61 :: v_dual_bitop2_b32 v186, 15, v210 bitop3:0x40
	v_and_b32_e32 v187, 0xffff, v209
	v_mad_i32_i24 v114, v193, v114, v192
	v_mul_i32_i24_e32 v116, v138, v126
	v_and_b32_e32 v124, 0xffff, v167
	v_add3_u32 v113, v113, v196, v125
	v_mul_i32_i24_e32 v108, v127, v108
	v_add3_u32 v54, v112, v54, v119
	v_add3_u32 v89, v89, v183, v184
	;; [unrolled: 1-line block ×4, first 2 shown]
	v_bfe_i32 v156, v71, 8, 8
	v_bfe_i32 v71, v71, 0, 8
	v_mul_i32_i24_e32 v110, v145, v110
	v_bfe_u32 v237, v107, 16, 4
	v_and_b32_e32 v238, 15, v107
	v_bfe_u32 v107, v107, 4, 4
	v_mul_i32_i24_e32 v163, v145, v163
	v_mul_i32_i24_e32 v211, v144, v224
	;; [unrolled: 1-line block ×4, first 2 shown]
	v_and_b32_e32 v138, 0xffff, v186
	v_add3_u32 v105, v114, v200, v105
	v_mul_i32_i24_e32 v114, v141, v124
	v_add3_u32 v88, v113, v205, v208
	v_add3_u32 v54, v54, v108, v116
	;; [unrolled: 1-line block ×5, first 2 shown]
	v_mul_i32_i24_e32 v158, v71, v158
	v_mul_i32_i24_e32 v159, v156, v159
	;; [unrolled: 1-line block ×10, first 2 shown]
	v_add3_u32 v94, v94, v203, v106
	v_add3_u32 v104, v105, v204, v207
	;; [unrolled: 1-line block ×7, first 2 shown]
	v_mul_i32_i24_e32 v160, v154, v160
	v_mul_i32_i24_e32 v220, v156, v239
	;; [unrolled: 1-line block ×4, first 2 shown]
	v_add3_u32 v91, v104, v145, v223
	v_add3_u32 v92, v94, v144, v107
	;; [unrolled: 1-line block ×6, first 2 shown]
	v_cvt_f32_f16_e32 v68, v67
	v_add3_u32 v54, v92, v91, v54
	v_add3_u32 v71, v88, v219, v220
	;; [unrolled: 1-line block ×4, first 2 shown]
	s_delay_alu instid0(VALU_DEP_4) | instskip(NEXT) | instid1(VALU_DEP_4)
	v_cvt_f32_i32_e32 v54, v54
	v_add3_u32 v90, v71, v103, v221
	s_delay_alu instid0(VALU_DEP_4) | instskip(NEXT) | instid1(VALU_DEP_4)
	v_cvt_f32_i32_e32 v70, v88
	v_cvt_f32_i32_e32 v71, v89
	s_delay_alu instid0(VALU_DEP_4) | instskip(NEXT) | instid1(VALU_DEP_4)
	v_pk_mul_f32 v[88:89], v[54:55], v[68:69]
	v_cvt_f32_i32_e32 v54, v90
	s_delay_alu instid0(VALU_DEP_3) | instskip(NEXT) | instid1(VALU_DEP_3)
	v_pk_mul_f32 v[68:69], v[68:69], v[70:71] op_sel_hi:[0,1]
	v_sub_f32_e32 v71, v88, v89
	s_delay_alu instid0(VALU_DEP_3) | instskip(NEXT) | instid1(VALU_DEP_3)
	v_fma_mix_f32 v70, v67, v54, -v89 op_sel_hi:[1,0,0]
	v_dual_sub_f32 v69, v69, v89 :: v_dual_sub_f32 v68, v68, v89
	s_delay_alu instid0(VALU_DEP_2) | instskip(NEXT) | instid1(VALU_DEP_2)
	v_pk_fma_f32 v[0:1], v[58:59], v[70:71], v[0:1]
	v_pk_fma_f32 v[16:17], v[56:57], v[68:69], v[16:17]
	s_cbranch_scc1 .LBB217_19
; %bb.20:                               ;   in Loop: Header=BB217_5 Depth=1
	s_barrier_signal -1
	s_barrier_wait -1
	s_branch .LBB217_4
.LBB217_21:
	v_mov_b32_e32 v16, 0
	s_delay_alu instid0(VALU_DEP_1)
	v_dual_mov_b32 v17, v16 :: v_dual_mov_b32 v0, v16
	v_mov_b32_e32 v1, v16
.LBB217_22:
	s_mul_i32 s0, s7, s4
	s_wait_loadcnt 0x0
	v_cmp_gt_i32_e32 vcc_lo, s0, v3
	s_and_saveexec_b32 s0, vcc_lo
	s_cbranch_execz .LBB217_31
; %bb.23:
	v_mul_lo_u32 v2, v3, s6
	v_add_nc_u32_e32 v3, s18, v5
	s_mov_b32 s0, exec_lo
	s_delay_alu instid0(VALU_DEP_1)
	v_cmpx_gt_u32_e64 s6, v3
	s_cbranch_execz .LBB217_25
; %bb.24:
	v_bfe_u32 v4, v16, 16, 1
	v_cmp_o_f32_e32 vcc_lo, v16, v16
	v_add_nc_u32_e32 v5, v2, v3
	s_delay_alu instid0(VALU_DEP_3) | instskip(NEXT) | instid1(VALU_DEP_1)
	v_add3_u32 v4, v16, v4, 0x7fff
	v_lshrrev_b32_e32 v4, 16, v4
	s_delay_alu instid0(VALU_DEP_1)
	v_cndmask_b32_e32 v4, 0x7fc0, v4, vcc_lo
	global_store_b16 v5, v4, s[8:9] scale_offset
.LBB217_25:
	s_wait_xcnt 0x0
	s_or_b32 exec_lo, exec_lo, s0
	v_add_nc_u32_e32 v4, 32, v3
	s_mov_b32 s0, exec_lo
	s_delay_alu instid0(VALU_DEP_1)
	v_cmpx_gt_u32_e64 s6, v4
	s_cbranch_execz .LBB217_27
; %bb.26:
	v_bfe_u32 v5, v17, 16, 1
	v_cmp_o_f32_e32 vcc_lo, v17, v17
	v_add_nc_u32_e32 v4, v2, v4
	s_delay_alu instid0(VALU_DEP_3) | instskip(NEXT) | instid1(VALU_DEP_1)
	v_add3_u32 v5, v17, v5, 0x7fff
	v_lshrrev_b32_e32 v5, 16, v5
	s_delay_alu instid0(VALU_DEP_1)
	v_cndmask_b32_e32 v5, 0x7fc0, v5, vcc_lo
	global_store_b16 v4, v5, s[8:9] scale_offset
.LBB217_27:
	s_wait_xcnt 0x0
	s_or_b32 exec_lo, exec_lo, s0
	;; [unrolled: 18-line block ×3, first 2 shown]
	v_add_nc_u32_e32 v0, 0x60, v3
	s_delay_alu instid0(VALU_DEP_1)
	v_cmp_gt_u32_e32 vcc_lo, s6, v0
	s_and_b32 exec_lo, exec_lo, vcc_lo
	s_cbranch_execz .LBB217_31
; %bb.30:
	v_bfe_u32 v3, v1, 16, 1
	v_cmp_o_f32_e32 vcc_lo, v1, v1
	v_add_nc_u32_e32 v0, v2, v0
	s_delay_alu instid0(VALU_DEP_3) | instskip(NEXT) | instid1(VALU_DEP_1)
	v_add3_u32 v3, v1, v3, 0x7fff
	v_lshrrev_b32_e32 v3, 16, v3
	s_delay_alu instid0(VALU_DEP_1)
	v_cndmask_b32_e32 v1, 0x7fc0, v3, vcc_lo
	global_store_b16 v0, v1, s[8:9] scale_offset
.LBB217_31:
	s_sendmsg sendmsg(MSG_DEALLOC_VGPRS)
	s_endpgm
	.section	.rodata,"a",@progbits
	.p2align	6, 0x0
	.amdhsa_kernel _ZL8moe_q4_0IN3c108BFloat16ELb0EEvPKvS3_PT_PKiS7_S7_iiiiiii
		.amdhsa_group_segment_fixed_size 22272
		.amdhsa_private_segment_fixed_size 0
		.amdhsa_kernarg_size 76
		.amdhsa_user_sgpr_count 2
		.amdhsa_user_sgpr_dispatch_ptr 0
		.amdhsa_user_sgpr_queue_ptr 0
		.amdhsa_user_sgpr_kernarg_segment_ptr 1
		.amdhsa_user_sgpr_dispatch_id 0
		.amdhsa_user_sgpr_kernarg_preload_length 0
		.amdhsa_user_sgpr_kernarg_preload_offset 0
		.amdhsa_user_sgpr_private_segment_size 0
		.amdhsa_wavefront_size32 1
		.amdhsa_uses_dynamic_stack 0
		.amdhsa_enable_private_segment 0
		.amdhsa_system_sgpr_workgroup_id_x 1
		.amdhsa_system_sgpr_workgroup_id_y 1
		.amdhsa_system_sgpr_workgroup_id_z 0
		.amdhsa_system_sgpr_workgroup_info 0
		.amdhsa_system_vgpr_workitem_id 1
		.amdhsa_next_free_vgpr 247
		.amdhsa_next_free_sgpr 22
		.amdhsa_named_barrier_count 0
		.amdhsa_reserve_vcc 1
		.amdhsa_float_round_mode_32 0
		.amdhsa_float_round_mode_16_64 0
		.amdhsa_float_denorm_mode_32 3
		.amdhsa_float_denorm_mode_16_64 3
		.amdhsa_fp16_overflow 0
		.amdhsa_memory_ordered 1
		.amdhsa_forward_progress 1
		.amdhsa_inst_pref_size 65
		.amdhsa_round_robin_scheduling 0
		.amdhsa_exception_fp_ieee_invalid_op 0
		.amdhsa_exception_fp_denorm_src 0
		.amdhsa_exception_fp_ieee_div_zero 0
		.amdhsa_exception_fp_ieee_overflow 0
		.amdhsa_exception_fp_ieee_underflow 0
		.amdhsa_exception_fp_ieee_inexact 0
		.amdhsa_exception_int_div_zero 0
	.end_amdhsa_kernel
	.section	.text._ZL8moe_q4_0IN3c108BFloat16ELb0EEvPKvS3_PT_PKiS7_S7_iiiiiii,"axG",@progbits,_ZL8moe_q4_0IN3c108BFloat16ELb0EEvPKvS3_PT_PKiS7_S7_iiiiiii,comdat
.Lfunc_end217:
	.size	_ZL8moe_q4_0IN3c108BFloat16ELb0EEvPKvS3_PT_PKiS7_S7_iiiiiii, .Lfunc_end217-_ZL8moe_q4_0IN3c108BFloat16ELb0EEvPKvS3_PT_PKiS7_S7_iiiiiii
                                        ; -- End function
	.set _ZL8moe_q4_0IN3c108BFloat16ELb0EEvPKvS3_PT_PKiS7_S7_iiiiiii.num_vgpr, 247
	.set _ZL8moe_q4_0IN3c108BFloat16ELb0EEvPKvS3_PT_PKiS7_S7_iiiiiii.num_agpr, 0
	.set _ZL8moe_q4_0IN3c108BFloat16ELb0EEvPKvS3_PT_PKiS7_S7_iiiiiii.numbered_sgpr, 22
	.set _ZL8moe_q4_0IN3c108BFloat16ELb0EEvPKvS3_PT_PKiS7_S7_iiiiiii.num_named_barrier, 0
	.set _ZL8moe_q4_0IN3c108BFloat16ELb0EEvPKvS3_PT_PKiS7_S7_iiiiiii.private_seg_size, 0
	.set _ZL8moe_q4_0IN3c108BFloat16ELb0EEvPKvS3_PT_PKiS7_S7_iiiiiii.uses_vcc, 1
	.set _ZL8moe_q4_0IN3c108BFloat16ELb0EEvPKvS3_PT_PKiS7_S7_iiiiiii.uses_flat_scratch, 0
	.set _ZL8moe_q4_0IN3c108BFloat16ELb0EEvPKvS3_PT_PKiS7_S7_iiiiiii.has_dyn_sized_stack, 0
	.set _ZL8moe_q4_0IN3c108BFloat16ELb0EEvPKvS3_PT_PKiS7_S7_iiiiiii.has_recursion, 0
	.set _ZL8moe_q4_0IN3c108BFloat16ELb0EEvPKvS3_PT_PKiS7_S7_iiiiiii.has_indirect_call, 0
	.section	.AMDGPU.csdata,"",@progbits
; Kernel info:
; codeLenInByte = 8260
; TotalNumSgprs: 24
; NumVgprs: 247
; ScratchSize: 0
; MemoryBound: 0
; FloatMode: 240
; IeeeMode: 1
; LDSByteSize: 22272 bytes/workgroup (compile time only)
; SGPRBlocks: 0
; VGPRBlocks: 15
; NumSGPRsForWavesPerEU: 24
; NumVGPRsForWavesPerEU: 247
; NamedBarCnt: 0
; Occupancy: 4
; WaveLimiterHint : 1
; COMPUTE_PGM_RSRC2:SCRATCH_EN: 0
; COMPUTE_PGM_RSRC2:USER_SGPR: 2
; COMPUTE_PGM_RSRC2:TRAP_HANDLER: 0
; COMPUTE_PGM_RSRC2:TGID_X_EN: 1
; COMPUTE_PGM_RSRC2:TGID_Y_EN: 1
; COMPUTE_PGM_RSRC2:TGID_Z_EN: 0
; COMPUTE_PGM_RSRC2:TIDIG_COMP_CNT: 1
	.section	.text._ZL8moe_q4_0IN3c108BFloat16ELb1EEvPKvS3_PT_PKiS7_S7_iiiiiii,"axG",@progbits,_ZL8moe_q4_0IN3c108BFloat16ELb1EEvPKvS3_PT_PKiS7_S7_iiiiiii,comdat
	.globl	_ZL8moe_q4_0IN3c108BFloat16ELb1EEvPKvS3_PT_PKiS7_S7_iiiiiii ; -- Begin function _ZL8moe_q4_0IN3c108BFloat16ELb1EEvPKvS3_PT_PKiS7_S7_iiiiiii
	.p2align	8
	.type	_ZL8moe_q4_0IN3c108BFloat16ELb1EEvPKvS3_PT_PKiS7_S7_iiiiiii,@function
_ZL8moe_q4_0IN3c108BFloat16ELb1EEvPKvS3_PT_PKiS7_S7_iiiiiii: ; @_ZL8moe_q4_0IN3c108BFloat16ELb1EEvPKvS3_PT_PKiS7_S7_iiiiiii
; %bb.0:
	s_load_b128 s[4:7], s[0:1], 0x18
	s_bfe_u32 s2, ttmp6, 0x40010
	s_bfe_u32 s8, ttmp6, 0x40004
	s_add_co_i32 s2, s2, 1
	s_delay_alu instid0(SALU_CYCLE_1)
	s_mul_i32 s3, ttmp7, s2
	s_getreg_b32 s2, hwreg(HW_REG_IB_STS2, 6, 4)
	s_add_co_i32 s8, s8, s3
	s_cmp_eq_u32 s2, 0
	s_cselect_b32 s3, ttmp7, s8
	s_wait_kmcnt 0x0
	s_load_b32 s14, s[6:7], s3 offset:0x0 scale_offset
	s_wait_kmcnt 0x0
	s_cmp_gt_u32 s14, 0xff
	s_cbranch_scc1 .LBB218_31
; %bb.1:
	s_load_b64 s[6:7], s[0:1], 0x28
	s_lshl_b32 s3, s3, 3
	s_wait_kmcnt 0x0
	s_load_b32 s6, s[6:7], 0x0
	s_wait_kmcnt 0x0
	s_cmp_gt_u32 s3, s6
	s_cbranch_scc1 .LBB218_31
; %bb.2:
	v_bfe_u32 v6, v0, 10, 10
	s_and_b32 s11, ttmp6, 15
	v_and_b32_e32 v5, 0x3ff, v0
	s_mov_b32 s15, 0
	s_delay_alu instid0(VALU_DEP_2) | instskip(SKIP_1) | instid1(SALU_CYCLE_1)
	v_add_nc_u32_e32 v1, s3, v6
	s_bfe_u32 s3, ttmp6, 0x4000c
	s_add_co_i32 s3, s3, 1
	s_delay_alu instid0(SALU_CYCLE_1)
	s_mul_i32 s3, ttmp9, s3
	global_load_b32 v1, v1, s[4:5] scale_offset
	s_wait_xcnt 0x0
	s_clause 0x2
	s_load_b128 s[4:7], s[0:1], 0x30
	s_load_b64 s[12:13], s[0:1], 0x10
	s_load_b96 s[8:10], s[0:1], 0x40
	s_add_co_i32 s11, s11, s3
	s_cmp_eq_u32 s2, 0
	s_cselect_b32 s2, ttmp9, s11
	s_delay_alu instid0(SALU_CYCLE_1)
	s_lshl_b32 s11, s2, 7
	s_wait_kmcnt 0x0
	s_cmp_lt_i32 s5, 32
	s_cbranch_scc1 .LBB218_21
; %bb.3:
	s_load_b128 s[0:3], s[0:1], 0x0
	s_mul_i32 s18, s14, s4
	v_bfe_u32 v31, v0, 3, 7
	s_ashr_i32 s19, s18, 31
	s_not_b32 s4, s11
	v_dual_mov_b32 v3, 0 :: v_dual_lshlrev_b32 v7, 2, v5
	s_delay_alu instid0(VALU_DEP_2)
	v_lshl_add_u32 v8, v6, 2, v31
	s_add_co_i32 s20, s6, s4
	s_ashr_i32 s16, s5, 31
	s_ashr_i32 s17, s8, 31
	s_lshr_b32 s14, s16, 27
	v_min_i32_e32 v46, s20, v8
	s_lshr_b32 s16, s17, 27
	v_min_i32_e32 v14, s20, v6
	v_and_b32_e32 v2, 12, v7
	s_add_co_i32 s6, s8, s16
	v_ashrrev_i32_e32 v9, 31, v46
	v_add_min_i32_e64 v48, v8, 32, s20
	v_add_min_i32_e64 v50, v8, 64, s20
	s_wait_kmcnt 0x0
	s_add_nc_u64 s[18:19], s[0:1], s[18:19]
	s_abs_i32 s0, s10
	v_add_min_i32_e64 v52, 0x60, v8, s20
	s_cvt_f32_u32 s1, s0
	s_sub_co_i32 s8, 0, s0
	v_and_b32_e32 v57, 0xfc, v0
	s_ashr_i32 s6, s6, 5
	v_rcp_iflag_f32_e32 v4, s1
	v_add_min_i32_e64 v16, v6, 8, s20
	v_add_min_i32_e64 v18, v6, 16, s20
	;; [unrolled: 1-line block ×6, first 2 shown]
	v_readfirstlane_b32 s1, v4
	s_wait_loadcnt 0x0
	v_sub_nc_u32_e32 v4, 0, v1
	v_add_min_i32_e64 v28, v6, 56, s20
	v_add_min_i32_e64 v30, v6, 64, s20
	;; [unrolled: 1-line block ×3, first 2 shown]
	s_mul_f32 s1, s1, 0x4f7ffffe
	v_dual_lshrrev_b32 v4, 30, v9 :: v_dual_max_i32 v10, v1, v4
	v_add_min_i32_e64 v34, 0x50, v6, s20
	s_delay_alu instid0(SALU_CYCLE_1)
	s_cvt_u32_f32 s1, s1
	v_lshlrev_b32_e32 v51, 5, v46
	v_add_min_i32_e64 v36, 0x58, v6, s20
	v_add_nc_u32_e32 v11, v46, v4
	s_mul_i32 s8, s8, s1
	v_ashrrev_i32_e32 v12, 31, v48
	s_mul_hi_u32 s8, s1, s8
	v_and_b32_e32 v4, 7, v0
	s_add_co_i32 s1, s1, s8
	v_and_b32_e32 v11, -4, v11
	v_mul_hi_u32 v9, v10, s1
	s_delay_alu instid0(VALU_DEP_3)
	v_dual_ashrrev_i32 v8, 31, v50 :: v_dual_lshlrev_b32 v49, 2, v4
	v_add_min_i32_e64 v38, 0x60, v6, s20
	v_add_min_i32_e64 v40, 0x68, v6, s20
	;; [unrolled: 1-line block ×4, first 2 shown]
	v_add3_u32 v11, v11, v49, 0x4200
	s_add_co_i32 s4, s5, s14
	v_mad_u32 v15, 0x84, v14, v7
	s_ashr_i32 s4, s4, 5
	v_mul_lo_u32 v13, v9, s0
	v_lshrrev_b32_e32 v12, 30, v12
	v_mad_u32 v17, 0x84, v16, v7
	v_mad_u32 v19, 0x84, v18, v7
	;; [unrolled: 1-line block ×9, first 2 shown]
	v_dual_sub_nc_u32 v10, v10, v13 :: v_dual_add_nc_u32 v12, v48, v12
	v_add_nc_u32_e32 v13, 1, v9
	v_mad_u32 v37, 0x84, v34, v7
	v_mad_u32 v39, 0x84, v36, v7
	s_delay_alu instid0(VALU_DEP_4)
	v_subrev_nc_u32_e32 v54, s0, v10
	v_cmp_le_u32_e32 vcc_lo, s0, v10
	v_ashrrev_i32_e32 v53, 31, v52
	v_and_b32_e32 v12, -4, v12
	v_mad_u32 v41, 0x84, v38, v7
	v_mad_u32 v43, 0x84, v40, v7
	v_dual_cndmask_b32 v10, v10, v54, vcc_lo :: v_dual_lshrrev_b32 v8, 30, v8
	v_cndmask_b32_e32 v9, v9, v13, vcc_lo
	v_lshrrev_b32_e32 v13, 30, v53
	v_xor_b32_e32 v53, s10, v1
	s_delay_alu instid0(VALU_DEP_4) | instskip(NEXT) | instid1(VALU_DEP_4)
	v_cmp_le_u32_e32 vcc_lo, s0, v10
	v_dual_add_nc_u32 v8, v50, v8 :: v_dual_add_nc_u32 v54, 1, v9
	v_add3_u32 v12, v12, v49, 0x4200
	s_delay_alu instid0(VALU_DEP_4) | instskip(SKIP_1) | instid1(VALU_DEP_4)
	v_ashrrev_i32_e32 v53, 31, v53
	v_mad_u32 v45, 0x84, v42, v7
	v_dual_add_nc_u32 v13, v52, v13 :: v_dual_bitop2_b32 v8, -4, v8 bitop3:0x40
	v_cndmask_b32_e32 v9, v9, v54, vcc_lo
	v_lshlrev_b32_e32 v58, 5, v50
	v_mad_u32 v47, 0x84, v44, v7
	s_delay_alu instid0(VALU_DEP_4) | instskip(SKIP_4) | instid1(VALU_DEP_4)
	v_add3_u32 v8, v8, v49, 0x4200
	v_dual_lshlrev_b32 v13, 5, v48 :: v_dual_bitop2_b32 v10, -4, v13 bitop3:0x40
	v_xor_b32_e32 v9, v9, v53
	v_add_nc_u32_e32 v55, 32, v5
	v_mul_lo_u32 v14, v14, s4
	v_add3_u32 v54, v10, v49, 0x4200
	v_add_nc_u32_e32 v10, 0x60, v5
	v_add_nc_u32_e32 v49, 64, v5
	v_mul_lo_u32 v16, v16, s4
	v_mul_lo_u32 v18, v18, s4
	v_mul_lo_u32 v20, v20, s4
	v_and_b32_e32 v10, 0x1fc, v10
	v_sub_nc_u32_e32 v56, v9, v53
	v_lshlrev_b32_e32 v9, 5, v5
	v_and_b32_e32 v49, 0x1fc, v49
	v_and_b32_e32 v53, 0x1fc, v55
	v_mul_lo_u32 v22, v22, s4
	v_mul_lo_u32 v24, v24, s4
	;; [unrolled: 1-line block ×3, first 2 shown]
	v_dual_add_nc_u32 v60, v9, v49 :: v_dual_add_nc_u32 v49, v11, v51
	v_dual_add_nc_u32 v59, v9, v10 :: v_dual_bitop2_b32 v11, 31, v0 bitop3:0x40
	v_dual_add_nc_u32 v61, v9, v53 :: v_dual_add_nc_u32 v53, v8, v58
	v_dual_add_nc_u32 v57, v9, v57 :: v_dual_bitop2_b32 v8, 28, v7 bitop3:0x40
	v_lshlrev_b32_e32 v9, 5, v52
	v_mul_lo_u32 v10, v56, s6
	v_mul_lo_u32 v28, v28, s4
	;; [unrolled: 1-line block ×4, first 2 shown]
	v_dual_add_nc_u32 v72, v54, v9 :: v_dual_lshrrev_b32 v77, 3, v55
	v_mov_b32_e32 v9, v3
	v_mul_lo_u32 v34, v34, s4
	v_mul_lo_u32 v36, v36, s4
	;; [unrolled: 1-line block ×10, first 2 shown]
	v_lshl_add_u32 v73, v6, 7, 0x5280
	v_lshl_add_u32 v74, v6, 4, 0x5680
	s_mul_i32 s16, s4, s11
	v_add_nc_u32_e32 v51, v12, v13
	v_cmp_gt_u32_e32 vcc_lo, 4, v5
	v_cmp_gt_i32_e64 s0, s7, v56
	v_add_nc_u64_e32 v[12:13], s[2:3], v[8:9]
	s_ashr_i32 s17, s16, 31
	v_lshl_or_b32 v75, v11, 2, v73
	v_dual_add_nc_u32 v76, v74, v7 :: v_dual_ashrrev_i32 v11, 31, v10
	v_mov_b32_e32 v8, v3
	v_dual_mov_b32 v7, v3 :: v_dual_add_nc_u32 v78, 0x4e00, v59
	v_dual_mov_b32 v6, v3 :: v_dual_add_nc_u32 v79, 0x4e10, v59
	v_add_nc_u32_e32 v80, 0x4a00, v60
	v_add_nc_u32_e32 v81, 0x4a10, v60
	;; [unrolled: 1-line block ×6, first 2 shown]
	v_bfe_u32 v0, v0, 2, 8
	v_mul_u32_u24_e32 v86, 0x84, v5
	v_mad_u32_u24 v87, 0x84, v5, 64
	v_mov_b32_e32 v55, 0x41000000
	s_mul_u64 s[16:17], s[16:17], 18
	s_and_b32 s8, vcc_lo, s0
	s_add_nc_u64 s[16:17], s[18:19], s[16:17]
	s_mov_b32 s14, s15
	s_branch .LBB218_5
.LBB218_4:                              ;   in Loop: Header=BB218_5 Depth=1
	s_add_co_i32 s14, s14, 8
	s_delay_alu instid0(SALU_CYCLE_1)
	s_cmp_ge_i32 s14, s4
	s_cbranch_scc1 .LBB218_22
.LBB218_5:                              ; =>This Loop Header: Depth=1
                                        ;     Child Loop BB218_11 Depth 2
                                        ;     Child Loop BB218_19 Depth 2
	s_mul_u64 s[18:19], s[14:15], 18
	s_delay_alu instid0(SALU_CYCLE_1) | instskip(NEXT) | instid1(SALU_CYCLE_1)
	s_add_nc_u64 s[18:19], s[16:17], s[18:19]
	v_mad_nc_u64_u32 v[56:57], v0, 18, s[18:19]
	v_mad_nc_u64_u32 v[58:59], v4, 18, s[18:19]
	s_lshl_b32 s18, s14, 5
	s_delay_alu instid0(SALU_CYCLE_1) | instskip(NEXT) | instid1(VALU_DEP_2)
	s_cmp_lt_i32 s18, s5
	v_mad_nc_i64_i32 v[60:61], v14, 18, v[56:57]
	v_mad_nc_i64_i32 v[62:63], v16, 18, v[56:57]
	;; [unrolled: 1-line block ×17, first 2 shown]
	v_add_nc_u64_e32 v[60:61], v[60:61], v[2:3]
	v_mad_nc_i64_i32 v[108:109], v40, 18, v[56:57]
	v_add_nc_u64_e32 v[62:63], v[62:63], v[2:3]
	v_mad_nc_i64_i32 v[110:111], v42, 18, v[56:57]
	;; [unrolled: 2-line block ×3, first 2 shown]
	v_add_nc_u64_e32 v[66:67], v[66:67], v[2:3]
	v_add_nc_u64_e32 v[68:69], v[68:69], v[2:3]
	;; [unrolled: 1-line block ×4, first 2 shown]
	s_clause 0x3
	global_load_u16 v54, v[98:99], off
	global_load_u16 v112, v[100:101], off
	;; [unrolled: 1-line block ×4, first 2 shown]
	s_wait_xcnt 0x0
	v_add_nc_u64_e32 v[58:59], v[92:93], v[2:3]
	v_add_nc_u64_e32 v[90:91], v[90:91], v[2:3]
	s_clause 0x7
	global_load_b32 v98, v[60:61], off offset:2
	global_load_b32 v99, v[62:63], off offset:2
	;; [unrolled: 1-line block ×8, first 2 shown]
	s_wait_xcnt 0x7
	v_add_nc_u64_e32 v[60:61], v[94:95], v[2:3]
	s_wait_xcnt 0x6
	v_add_nc_u64_e32 v[62:63], v[96:97], v[2:3]
	;; [unrolled: 2-line block ×6, first 2 shown]
	v_add_nc_u64_e32 v[56:57], v[56:57], v[2:3]
	s_clause 0x7
	global_load_b32 v88, v[58:59], off offset:2
	global_load_b32 v89, v[60:61], off offset:2
	;; [unrolled: 1-line block ×8, first 2 shown]
	s_wait_loadcnt 0x13
	v_cvt_f32_f16_e32 v54, v54
	s_wait_loadcnt 0x12
	s_wait_xcnt 0x0
	v_cvt_f32_f16_e32 v56, v112
	s_wait_loadcnt 0x11
	v_cvt_f32_f16_e32 v57, v113
	s_wait_loadcnt 0x10
	;; [unrolled: 2-line block ×3, first 2 shown]
	ds_store_b32 v15, v98
	ds_store_b32 v49, v54
	s_wait_loadcnt 0xe
	ds_store_b32 v17, v99
	ds_store_b32 v51, v56
	s_wait_loadcnt 0xd
	;; [unrolled: 3-line block ×3, first 2 shown]
	ds_store_b32 v21, v101
	s_wait_loadcnt 0xb
	ds_store_b32 v23, v102
	s_wait_loadcnt 0xa
	;; [unrolled: 2-line block ×12, first 2 shown]
	ds_store_b32 v47, v95
	ds_store_b32 v72, v58
	s_cbranch_scc0 .LBB218_4
; %bb.6:                                ;   in Loop: Header=BB218_5 Depth=1
	v_add_nc_u32_e32 v54, s14, v31
	s_delay_alu instid0(VALU_DEP_1) | instskip(SKIP_1) | instid1(SALU_CYCLE_1)
	v_cmp_gt_i32_e64 s1, s6, v54
	s_and_b32 s19, s0, s1
	s_and_saveexec_b32 s1, s19
	s_cbranch_execz .LBB218_8
; %bb.7:                                ;   in Loop: Header=BB218_5 Depth=1
	v_add_nc_u32_e32 v54, v10, v54
	s_delay_alu instid0(VALU_DEP_1)
	v_mad_nc_i64_i32 v[56:57], v54, 36, v[12:13]
	global_load_b32 v54, v[56:57], off offset:4
	s_wait_loadcnt 0x0
	ds_store_b32 v75, v54
.LBB218_8:                              ;   in Loop: Header=BB218_5 Depth=1
	s_or_b32 exec_lo, exec_lo, s1
	v_add_nc_u32_e32 v56, s14, v5
	s_delay_alu instid0(VALU_DEP_1) | instskip(SKIP_1) | instid1(SALU_CYCLE_1)
	v_cmp_gt_i32_e64 s1, s6, v56
	s_and_b32 s19, s8, s1
	s_and_saveexec_b32 s1, s19
	s_cbranch_execz .LBB218_10
; %bb.9:                                ;   in Loop: Header=BB218_5 Depth=1
	v_add_nc_u32_e32 v54, v10, v56
	s_delay_alu instid0(VALU_DEP_1)
	v_mad_nc_i64_i32 v[58:59], v54, 36, s[2:3]
	global_load_b32 v54, v[58:59], off
	s_wait_loadcnt 0x0
	ds_store_b32 v76, v54
.LBB218_10:                             ;   in Loop: Header=BB218_5 Depth=1
	s_or_b32 exec_lo, exec_lo, s1
	v_dual_mov_b32 v57, v73 :: v_dual_mov_b32 v88, v74
	v_dual_mov_b32 v89, v84 :: v_dual_mov_b32 v90, v82
	;; [unrolled: 1-line block ×3, first 2 shown]
	v_mov_b32_e32 v93, v86
	s_mov_b32 s1, -4
	s_wait_dscnt 0x0
	s_barrier_signal -1
	s_barrier_wait -1
.LBB218_11:                             ;   Parent Loop BB218_5 Depth=1
                                        ; =>  This Inner Loop Header: Depth=2
	ds_load_2addr_b32 v[60:61], v57 offset0:4 offset1:7
	ds_load_2addr_b32 v[68:69], v93 offset1:1
	ds_load_2addr_b32 v[62:63], v93 offset0:2 offset1:3
	ds_load_2addr_b32 v[64:65], v57 offset1:3
	ds_load_2addr_b32 v[70:71], v57 offset0:1 offset1:2
	ds_load_2addr_b32 v[66:67], v57 offset0:5 offset1:6
	v_add_nc_u32_e32 v54, 0x1080, v93
	v_add_nc_u32_e32 v98, 0x1088, v93
	;; [unrolled: 1-line block ×6, first 2 shown]
	ds_load_b32 v59, v92
	ds_load_b32 v108, v88
	;; [unrolled: 1-line block ×5, first 2 shown]
	ds_load_2addr_b32 v[96:97], v54 offset1:1
	ds_load_2addr_b32 v[98:99], v98 offset1:1
	;; [unrolled: 1-line block ×6, first 2 shown]
	v_dual_add_nc_u32 v93, 16, v93 :: v_dual_add_nc_u32 v92, 4, v92
	v_add_nc_u32_e32 v89, 4, v89
	v_add_nc_u32_e32 v57, 32, v57
	s_add_co_i32 s1, s1, 4
	v_add_nc_u32_e32 v90, 4, v90
	s_wait_dscnt 0x10
	v_lshrrev_b16 v54, 8, v60
	s_wait_dscnt 0xf
	v_dual_lshrrev_b32 v110, 28, v69 :: v_dual_bitop2_b32 v116, 15, v68 bitop3:0x40
	s_wait_dscnt 0xd
	v_lshrrev_b16 v113, 8, v64
	v_ashrrev_i32_e32 v114, 24, v64
	v_bfe_i32 v115, v64, 16, 8
	v_bfe_i32 v64, v64, 0, 8
	v_bfe_u32 v117, v68, 8, 4
	s_wait_dscnt 0xc
	v_ashrrev_i32_e32 v123, 24, v70
	v_bfe_i32 v113, v113, 0, 8
	s_wait_dscnt 0x5
	v_and_b32_e32 v162, 15, v96
	v_mul_i32_i24_e32 v116, v64, v116
	v_bfe_u32 v118, v68, 24, 4
	v_bfe_u32 v119, v68, 16, 4
	v_dual_ashrrev_i32 v155, 24, v61 :: v_dual_lshrrev_b32 v160, 28, v63
	v_bfe_i32 v156, v61, 16, 8
	v_bfe_i32 v157, v61, 8, 8
	;; [unrolled: 1-line block ×3, first 2 shown]
	v_bfe_u32 v61, v63, 4, 4
	s_wait_dscnt 0x1
	v_dual_lshrrev_b32 v161, 16, v108 :: v_dual_lshrrev_b32 v177, 28, v105
	v_bfe_u32 v163, v96, 8, 4
	v_bfe_u32 v164, v96, 24, 4
	;; [unrolled: 1-line block ×3, first 2 shown]
	s_wait_dscnt 0x0
	v_dual_lshrrev_b32 v189, 28, v106 :: v_dual_bitop2_b32 v167, 15, v100 bitop3:0x40
	v_mad_i32_i24 v116, v113, v117, v116
	v_mul_i32_i24_e32 v117, v64, v162
	v_bfe_u32 v109, v68, 12, 4
	v_dual_ashrrev_i32 v120, 24, v60 :: v_dual_ashrrev_i32 v126, 24, v66
	v_bfe_i32 v121, v60, 16, 8
	v_bfe_i32 v122, v60, 0, 8
	;; [unrolled: 1-line block ×5, first 2 shown]
	v_dual_lshrrev_b32 v129, 28, v68 :: v_dual_bitop2_b32 v131, 15, v69 bitop3:0x40
	v_bfe_u32 v130, v68, 20, 4
	v_bfe_u32 v68, v68, 4, 4
	v_mul_i32_i24_e32 v119, v115, v119
	v_mul_i32_i24_e32 v118, v114, v118
	v_bfe_u32 v166, v104, 4, 4
	v_dual_lshrrev_b32 v172, 28, v104 :: v_dual_bitop2_b32 v168, 15, v104 bitop3:0x40
	v_bfe_u32 v169, v104, 20, 4
	v_bfe_u32 v171, v100, 16, 4
	;; [unrolled: 1-line block ×4, first 2 shown]
	v_bfe_i32 v54, v54, 0, 8
	v_bfe_u32 v176, v105, 24, 4
	v_bfe_u32 v178, v105, 16, 4
	v_and_b32_e32 v180, 15, v105
	v_bfe_u32 v182, v100, 4, 4
	v_bfe_u32 v183, v100, 12, 4
	v_bfe_u32 v184, v96, 12, 4
	v_bfe_u32 v185, v96, 4, 4
	v_bfe_u32 v186, v100, 20, 4
	v_lshrrev_b32_e32 v100, 28, v100
	v_mul_i32_i24_e32 v246, v158, v61
	v_cvt_f32_f16_e64 v61, v161
	v_mul_i32_i24_e32 v161, v115, v165
	v_mul_i32_i24_e32 v162, v114, v164
	;; [unrolled: 1-line block ×3, first 2 shown]
	v_mad_i32_i24 v117, v113, v163, v117
	v_bfe_i32 v127, v66, 16, 8
	v_bfe_i32 v128, v66, 8, 8
	;; [unrolled: 1-line block ×3, first 2 shown]
	v_mul_i32_i24_e32 v68, v122, v68
	v_bfe_u32 v179, v105, 20, 4
	v_bfe_u32 v181, v105, 4, 4
	;; [unrolled: 1-line block ×3, first 2 shown]
	v_lshrrev_b32_e32 v96, 28, v96
	v_mul_i32_i24_e32 v164, v166, v122
	v_mul_i32_i24_e32 v166, v169, v121
	;; [unrolled: 1-line block ×12, first 2 shown]
	v_add3_u32 v116, v116, v119, v118
	v_mad_i32_i24 v118, v113, v175, v165
	v_add3_u32 v117, v117, v161, v162
	v_bfe_u32 v132, v69, 8, 4
	v_bfe_i32 v138, v71, 16, 8
	v_dual_ashrrev_i32 v140, 24, v67 :: v_dual_bitop2_b32 v146, 15, v62 bitop3:0x40
	v_mul_i32_i24_e32 v130, v121, v130
	v_mul_i32_i24_e32 v129, v120, v129
	v_bfe_u32 v192, v106, 16, 4
	v_and_b32_e32 v194, 15, v101
	v_and_b32_e32 v205, 15, v97
	v_bfe_u32 v207, v97, 8, 4
	v_mul_i32_i24_e32 v174, v126, v177
	v_mul_i32_i24_e32 v177, v127, v179
	;; [unrolled: 1-line block ×7, first 2 shown]
	v_add3_u32 v118, v118, v167, v171
	v_add3_u32 v68, v116, v109, v68
	;; [unrolled: 1-line block ×3, first 2 shown]
	v_bfe_u32 v133, v69, 24, 4
	v_bfe_u32 v134, v69, 16, 4
	v_dual_ashrrev_i32 v137, 24, v71 :: v_dual_ashrrev_i32 v143, 24, v65
	v_bfe_i32 v139, v71, 8, 8
	v_bfe_i32 v71, v71, 0, 8
	;; [unrolled: 1-line block ×5, first 2 shown]
	v_bfe_u32 v170, v104, 16, 4
	v_bfe_u32 v173, v104, 24, 4
	;; [unrolled: 1-line block ×3, first 2 shown]
	v_and_b32_e32 v190, 15, v106
	v_bfe_u32 v191, v106, 4, 4
	v_bfe_u32 v193, v106, 20, 4
	;; [unrolled: 1-line block ×5, first 2 shown]
	v_mul_i32_i24_e32 v131, v70, v131
	v_mul_i32_i24_e32 v132, v125, v132
	v_and_b32_e32 v208, 0xf0f0f0f, v104
	v_lshrrev_b32_e32 v104, 4, v104
	v_bfe_u32 v211, v97, 24, 4
	v_bfe_u32 v212, v97, 16, 4
	v_and_b32_e32 v216, 0xf0f0f0f, v106
	v_lshrrev_b32_e32 v106, 4, v106
	v_mul_i32_i24_e32 v184, v140, v189
	v_mul_i32_i24_e32 v189, v138, v192
	;; [unrolled: 1-line block ×6, first 2 shown]
	v_add3_u32 v118, v118, v181, v180
	v_add3_u32 v68, v68, v130, v129
	;; [unrolled: 1-line block ×3, first 2 shown]
	v_bfe_u32 v135, v69, 4, 4
	v_bfe_u32 v136, v69, 12, 4
	;; [unrolled: 1-line block ×5, first 2 shown]
	v_lshrrev_b32_e32 v101, 28, v101
	v_mul_i32_i24_e32 v134, v124, v134
	v_mul_i32_i24_e32 v133, v123, v133
	v_bfe_u32 v213, v97, 4, 4
	v_bfe_u32 v214, v97, 12, 4
	v_mul_i32_i24_e32 v183, v137, v188
	v_mul_i32_i24_e32 v185, v71, v190
	v_mul_i32_i24_e32 v188, v67, v191
	v_mul_i32_i24_e32 v190, v141, v193
	v_mul_i32_i24_e32 v191, v125, v195
	v_mul_i32_i24_e32 v193, v124, v196
	v_mul_i32_i24_e32 v194, v123, v197
	v_mul_i32_i24_e32 v124, v124, v212
	v_mul_i32_i24_e32 v123, v123, v211
	v_add3_u32 v100, v118, v186, v100
	v_add3_u32 v68, v68, v132, v131
	;; [unrolled: 1-line block ×3, first 2 shown]
	v_bfe_u32 v69, v69, 20, 4
	v_dual_lshrrev_b32 v201, 28, v97 :: v_dual_bitop2_b32 v202, 15, v102 bitop3:0x40
	v_bfe_u32 v97, v97, 20, 4
	v_mul_i32_i24_e32 v135, v66, v135
	v_mul_i32_i24_e32 v136, v128, v136
	;; [unrolled: 1-line block ×4, first 2 shown]
	v_add3_u32 v100, v100, v191, v120
	v_add3_u32 v68, v68, v134, v133
	;; [unrolled: 1-line block ×3, first 2 shown]
	v_bfe_u32 v147, v62, 24, 4
	v_bfe_u32 v148, v62, 16, 4
	;; [unrolled: 1-line block ×4, first 2 shown]
	v_dual_lshrrev_b32 v151, 28, v62 :: v_dual_bitop2_b32 v153, 15, v63 bitop3:0x40
	v_bfe_u32 v152, v62, 20, 4
	v_bfe_u32 v62, v62, 8, 4
	v_dual_lshrrev_b32 v239, 28, v98 :: v_dual_bitop2_b32 v230, 15, v107 bitop3:0x40
	v_dual_lshrrev_b32 v245, 28, v99 :: v_dual_bitop2_b32 v234, 15, v98 bitop3:0x40
	v_bfe_u32 v235, v98, 24, 4
	v_bfe_u32 v236, v98, 16, 4
	v_bfe_u32 v237, v98, 4, 4
	v_bfe_u32 v238, v98, 12, 4
	v_bfe_u32 v240, v98, 20, 4
	v_bfe_u32 v98, v98, 8, 4
	v_mul_i32_i24_e32 v110, v126, v110
	v_mul_i32_i24_e32 v69, v127, v69
	v_mul_i32_i24_e32 v66, v66, v198
	v_mul_i32_i24_e32 v197, v128, v199
	v_mul_i32_i24_e32 v198, v126, v201
	v_mul_i32_i24_e32 v97, v127, v97
	v_add3_u32 v100, v100, v193, v194
	v_add3_u32 v68, v68, v135, v136
	;; [unrolled: 1-line block ×3, first 2 shown]
	v_bfe_u32 v203, v102, 8, 4
	v_bfe_u32 v204, v102, 16, 4
	v_bfe_u32 v206, v102, 24, 4
	v_and_b32_e32 v209, 0xf0f0f0f, v105
	v_dual_lshrrev_b32 v105, 4, v105 :: v_dual_lshrrev_b32 v217, 28, v102
	v_mul_i32_i24_e32 v146, v71, v146
	v_mul_i32_i24_e32 v62, v139, v62
	;; [unrolled: 1-line block ×7, first 2 shown]
	v_lshrrev_b16 v104, 8, v104
	v_add3_u32 v66, v100, v66, v197
	v_add3_u32 v68, v68, v69, v110
	;; [unrolled: 1-line block ×3, first 2 shown]
	v_bfe_i32 v145, v65, 0, 8
	v_bfe_u32 v210, v102, 4, 4
	v_dual_lshrrev_b32 v224, 28, v103 :: v_dual_bitop2_b32 v219, 15, v103 bitop3:0x40
	v_mul_i32_i24_e32 v148, v138, v148
	v_mul_i32_i24_e32 v147, v137, v147
	;; [unrolled: 1-line block ×6, first 2 shown]
	v_lshrrev_b16 v208, 8, v208
	v_lshrrev_b16 v209, 8, v209
	v_mul_i32_i24_e32 v203, v139, v203
	v_lshrrev_b16 v105, 8, v105
	v_dual_add_nc_u32 v91, 4, v91 :: v_dual_bitop2_b32 v104, 15, v104 bitop3:0x40
	v_add3_u32 v66, v66, v126, v101
	v_add3_u32 v62, v68, v62, v146
	;; [unrolled: 1-line block ×3, first 2 shown]
	v_bfe_u32 v215, v102, 12, 4
	v_bfe_u32 v102, v102, 20, 4
	;; [unrolled: 1-line block ×3, first 2 shown]
	v_and_b32_e32 v226, 0xf0f0f0f, v107
	v_dual_lshrrev_b32 v227, 4, v107 :: v_dual_lshrrev_b32 v228, 28, v107
	v_mul_i32_i24_e32 v149, v67, v149
	v_mul_i32_i24_e32 v150, v142, v150
	;; [unrolled: 1-line block ×5, first 2 shown]
	v_lshrrev_b16 v214, 8, v216
	v_lshrrev_b16 v106, 8, v106
	v_mul_i32_i24_e32 v219, v142, v238
	v_mad_i32_i24 v115, v170, v115, v166
	v_mad_i32_i24 v114, v173, v114, v169
	v_and_b32_e32 v119, 0xffff, v208
	v_and_b32_e32 v163, 0xffff, v209
	v_dual_add_nc_u32 v88, 4, v88 :: v_dual_bitop2_b32 v105, 15, v105 bitop3:0x40
	v_and_b32_e32 v104, 0xffff, v104
	v_add3_u32 v66, v66, v203, v127
	v_add3_u32 v62, v62, v148, v147
	;; [unrolled: 1-line block ×3, first 2 shown]
	v_bfe_i32 v144, v65, 8, 8
	v_bfe_u32 v154, v63, 8, 4
	v_bfe_u32 v218, v103, 8, 4
	v_and_b32_e32 v241, 15, v99
	v_bfe_u32 v242, v99, 8, 4
	v_mul_i32_i24_e32 v152, v141, v152
	v_mul_i32_i24_e32 v151, v140, v151
	;; [unrolled: 1-line block ×7, first 2 shown]
	v_lshrrev_b16 v216, 8, v226
	v_mul_i32_i24_e32 v215, v142, v215
	v_lshrrev_b16 v220, 8, v227
	v_mad_i32_i24 v64, v168, v64, v164
	v_and_b32_e32 v164, 0xffff, v214
	v_and_b32_e32 v106, 15, v106
	v_add3_u32 v109, v114, v172, v174
	v_add3_u32 v114, v115, v176, v177
	v_mul_i32_i24_e32 v113, v119, v113
	v_mul_i32_i24_e32 v115, v125, v163
	v_and_b32_e32 v105, 0xffff, v105
	v_mul_i32_i24_e32 v54, v104, v54
	v_add3_u32 v66, v66, v187, v199
	v_add3_u32 v62, v62, v149, v150
	v_add3_u32 v67, v68, v67, v219
	v_bfe_u32 v111, v63, 16, 4
	v_bfe_u32 v112, v63, 24, 4
	v_bfe_i32 v65, v65, 16, 8
	v_bfe_u32 v225, v107, 24, 4
	v_bfe_u32 v232, v99, 16, 4
	;; [unrolled: 1-line block ×3, first 2 shown]
	v_mul_i32_i24_e32 v153, v145, v153
	v_mul_i32_i24_e32 v154, v144, v154
	;; [unrolled: 1-line block ×5, first 2 shown]
	v_and_b32_e32 v165, 0xffff, v216
	v_and_b32_e32 v166, 15, v220
	v_mul_i32_i24_e32 v116, v139, v164
	v_and_b32_e32 v106, 0xffff, v106
	v_mul_i32_i24_e32 v96, v128, v105
	v_add3_u32 v54, v113, v54, v115
	v_add3_u32 v66, v66, v200, v215
	;; [unrolled: 1-line block ×4, first 2 shown]
	v_bfe_u32 v159, v63, 12, 4
	v_bfe_u32 v221, v103, 16, 4
	v_bfe_u32 v222, v103, 12, 4
	v_bfe_u32 v223, v103, 4, 4
	v_bfe_u32 v229, v107, 16, 4
	v_bfe_u32 v231, v107, 20, 4
	v_bfe_u32 v107, v107, 4, 4
	v_bfe_u32 v243, v99, 4, 4
	v_bfe_u32 v244, v99, 12, 4
	v_mul_i32_i24_e32 v111, v65, v111
	v_mul_i32_i24_e32 v112, v143, v112
	v_mul_i32_i24_e32 v205, v65, v232
	v_mul_i32_i24_e32 v210, v143, v225
	v_mul_i32_i24_e32 v143, v143, v233
	v_mul_i32_i24_e32 v213, v155, v228
	v_add3_u32 v64, v64, v178, v179
	v_mul_i32_i24_e32 v119, v144, v165
	v_and_b32_e32 v125, 0xffff, v166
	v_add3_u32 v109, v109, v183, v184
	v_mul_i32_i24_e32 v104, v142, v106
	v_add3_u32 v54, v54, v96, v116
	v_add3_u32 v66, v66, v102, v201
	;; [unrolled: 1-line block ×4, first 2 shown]
	v_bfe_u32 v63, v63, 20, 4
	v_bfe_u32 v103, v103, 20, 4
	;; [unrolled: 1-line block ×3, first 2 shown]
	v_mul_i32_i24_e32 v159, v157, v159
	v_mul_i32_i24_e32 v145, v145, v230
	;; [unrolled: 1-line block ×10, first 2 shown]
	v_add3_u32 v64, v64, v185, v188
	v_add3_u32 v114, v114, v189, v190
	v_mul_i32_i24_e32 v105, v157, v125
	v_add3_u32 v69, v109, v210, v213
	v_add3_u32 v54, v54, v104, v119
	;; [unrolled: 1-line block ×5, first 2 shown]
	v_mul_i32_i24_e32 v63, v156, v63
	v_mul_i32_i24_e32 v160, v155, v160
	;; [unrolled: 1-line block ×6, first 2 shown]
	v_add3_u32 v65, v114, v65, v212
	v_add3_u32 v64, v64, v145, v107
	;; [unrolled: 1-line block ×6, first 2 shown]
	v_cvt_f32_f16_e32 v60, v108
	v_add3_u32 v54, v64, v65, v54
	v_add3_u32 v64, v66, v211, v221
	;; [unrolled: 1-line block ×4, first 2 shown]
	s_cmp_lt_u32 s1, 12
	v_cvt_f32_i32_e32 v54, v54
	v_add3_u32 v66, v64, v103, v156
	v_cvt_f32_i32_e32 v62, v62
	v_cvt_f32_i32_e32 v63, v63
	s_delay_alu instid0(VALU_DEP_4) | instskip(NEXT) | instid1(VALU_DEP_4)
	v_pk_mul_f32 v[64:65], v[54:55], v[60:61]
	v_cvt_f32_i32_e32 v54, v66
	s_delay_alu instid0(VALU_DEP_3) | instskip(NEXT) | instid1(VALU_DEP_3)
	v_pk_mul_f32 v[60:61], v[60:61], v[62:63] op_sel_hi:[0,1]
	v_sub_f32_e32 v63, v64, v65
	s_delay_alu instid0(VALU_DEP_3) | instskip(NEXT) | instid1(VALU_DEP_3)
	v_fma_mix_f32 v62, v108, v54, -v65 op_sel_hi:[1,0,0]
	v_dual_sub_f32 v61, v61, v65 :: v_dual_sub_f32 v60, v60, v65
	s_delay_alu instid0(VALU_DEP_2) | instskip(NEXT) | instid1(VALU_DEP_2)
	v_pk_fma_f32 v[6:7], v[58:59], v[62:63], v[6:7]
	v_pk_fma_f32 v[8:9], v[94:95], v[60:61], v[8:9]
	s_cbranch_scc1 .LBB218_11
; %bb.12:                               ;   in Loop: Header=BB218_5 Depth=1
	s_bitset1_b32 s18, 7
	s_delay_alu instid0(SALU_CYCLE_1)
	s_cmp_ge_i32 s18, s5
	s_barrier_signal -1
	s_barrier_wait -1
	s_cbranch_scc1 .LBB218_4
; %bb.13:                               ;   in Loop: Header=BB218_5 Depth=1
	v_add_nc_u32_e32 v54, s14, v77
	s_delay_alu instid0(VALU_DEP_1) | instskip(SKIP_1) | instid1(SALU_CYCLE_1)
	v_cmp_gt_i32_e64 s1, s6, v54
	s_and_b32 s18, s0, s1
	s_and_saveexec_b32 s1, s18
	s_cbranch_execz .LBB218_15
; %bb.14:                               ;   in Loop: Header=BB218_5 Depth=1
	v_add_nc_u32_e32 v54, v10, v54
	s_delay_alu instid0(VALU_DEP_1)
	v_mad_nc_i64_i32 v[58:59], v54, 36, v[12:13]
	global_load_b32 v54, v[58:59], off offset:4
	s_wait_loadcnt 0x0
	ds_store_b32 v75, v54
.LBB218_15:                             ;   in Loop: Header=BB218_5 Depth=1
	s_or_b32 exec_lo, exec_lo, s1
	s_and_saveexec_b32 s18, vcc_lo
	s_cbranch_execz .LBB218_18
; %bb.16:                               ;   in Loop: Header=BB218_5 Depth=1
	v_or_b32_e32 v54, 4, v56
	s_delay_alu instid0(VALU_DEP_1) | instskip(SKIP_1) | instid1(SALU_CYCLE_1)
	v_cmp_gt_i32_e64 s1, s6, v54
	s_and_b32 s1, s0, s1
	s_and_b32 exec_lo, exec_lo, s1
	s_cbranch_execz .LBB218_18
; %bb.17:                               ;   in Loop: Header=BB218_5 Depth=1
	v_ashrrev_i32_e32 v57, 31, v56
	s_delay_alu instid0(VALU_DEP_1) | instskip(NEXT) | instid1(VALU_DEP_1)
	v_add_nc_u64_e32 v[56:57], v[10:11], v[56:57]
	v_mad_nc_u64_u32 v[58:59], v56, 36, s[2:3]
	s_delay_alu instid0(VALU_DEP_1)
	v_mad_i32_i24 v59, v57, 36, v59
	global_load_b32 v54, v[58:59], off offset:144
	s_wait_loadcnt 0x0
	ds_store_b32 v76, v54
.LBB218_18:                             ;   in Loop: Header=BB218_5 Depth=1
	s_or_b32 exec_lo, exec_lo, s18
	v_dual_mov_b32 v60, v74 :: v_dual_mov_b32 v61, v73
	v_dual_mov_b32 v62, v85 :: v_dual_mov_b32 v63, v83
	;; [unrolled: 1-line block ×3, first 2 shown]
	v_mov_b32_e32 v66, v87
	s_mov_b32 s1, 12
	s_wait_dscnt 0x0
	s_barrier_signal -1
	s_barrier_wait -1
.LBB218_19:                             ;   Parent Loop BB218_5 Depth=1
                                        ; =>  This Inner Loop Header: Depth=2
	ds_load_2addr_b32 v[68:69], v61 offset1:3
	ds_load_2addr_b32 v[70:71], v61 offset0:4 offset1:7
	ds_load_2addr_b32 v[88:89], v61 offset0:1 offset1:2
	ds_load_b32 v67, v60
	ds_load_2addr_b32 v[90:91], v66 offset1:1
	ds_load_2addr_b32 v[92:93], v66 offset0:2 offset1:3
	v_add_nc_u32_e32 v54, 0x1080, v66
	v_add_nc_u32_e32 v98, 0x1088, v66
	;; [unrolled: 1-line block ×6, first 2 shown]
	ds_load_2addr_b32 v[94:95], v61 offset0:5 offset1:6
	ds_load_b32 v56, v62
	ds_load_b32 v57, v63
	;; [unrolled: 1-line block ×4, first 2 shown]
	ds_load_2addr_b32 v[96:97], v54 offset1:1
	ds_load_2addr_b32 v[98:99], v98 offset1:1
	;; [unrolled: 1-line block ×6, first 2 shown]
	v_dual_add_nc_u32 v66, 16, v66 :: v_dual_add_nc_u32 v65, 4, v65
	v_add_nc_u32_e32 v60, 4, v60
	s_add_co_i32 s1, s1, 4
	v_add_nc_u32_e32 v64, 4, v64
	s_cmp_lt_u32 s1, 28
	s_wait_dscnt 0x10
	v_lshrrev_b16 v112, 8, v68
	v_bfe_i32 v115, v68, 0, 8
	s_wait_dscnt 0xe
	v_ashrrev_i32_e32 v122, 24, v88
	v_lshrrev_b16 v54, 8, v70
	s_wait_dscnt 0xc
	v_and_b32_e32 v116, 15, v90
	v_bfe_u32 v117, v90, 8, 4
	v_bfe_i32 v112, v112, 0, 8
	v_dual_lshrrev_b32 v109, 28, v91 :: v_dual_ashrrev_i32 v113, 24, v68
	s_delay_alu instid0(VALU_DEP_4)
	v_mul_i32_i24_e32 v116, v115, v116
	s_wait_dscnt 0x5
	v_and_b32_e32 v190, 15, v96
	v_bfe_i32 v114, v68, 16, 8
	v_bfe_u32 v118, v90, 24, 4
	v_bfe_u32 v119, v90, 16, 4
	v_dual_ashrrev_i32 v120, 24, v70 :: v_dual_bitop2_b32 v130, 15, v91 bitop3:0x40
	v_bfe_i32 v121, v70, 16, 8
	v_bfe_i32 v70, v70, 0, 8
	s_wait_dscnt 0x3
	v_and_b32_e32 v166, 15, v100
	s_wait_dscnt 0x1
	v_dual_lshrrev_b32 v187, 4, v104 :: v_dual_bitop2_b32 v179, 15, v102 bitop3:0x40
	v_bfe_u32 v185, v104, 24, 4
	v_and_b32_e32 v186, 0xf0f0f0f, v104
	v_dual_lshrrev_b32 v188, 28, v104 :: v_dual_bitop2_b32 v194, 15, v104 bitop3:0x40
	v_bfe_u32 v189, v96, 8, 4
	v_bfe_u32 v191, v96, 24, 4
	v_bfe_u32 v192, v96, 16, 4
	v_bfe_u32 v193, v104, 16, 4
	v_bfe_u32 v195, v104, 20, 4
	v_bfe_u32 v104, v104, 4, 4
	v_lshrrev_b32_e32 v198, 4, v105
	v_mad_i32_i24 v116, v112, v117, v116
	v_mul_i32_i24_e32 v117, v115, v190
	v_bfe_u32 v108, v90, 12, 4
	v_dual_lshrrev_b32 v128, 28, v90 :: v_dual_ashrrev_i32 v139, 24, v95
	v_bfe_u32 v129, v90, 20, 4
	v_bfe_u32 v90, v90, 4, 4
	;; [unrolled: 1-line block ×9, first 2 shown]
	v_lshrrev_b32_e32 v100, 28, v100
	v_mul_i32_i24_e32 v119, v114, v119
	v_mul_i32_i24_e32 v118, v113, v118
	v_bfe_i32 v54, v54, 0, 8
	v_dual_lshrrev_b32 v202, 28, v96 :: v_dual_bitop2_b32 v204, 15, v97 bitop3:0x40
	v_bfe_u32 v203, v96, 20, 4
	v_bfe_u32 v96, v96, 4, 4
	v_mul_i32_i24_e32 v190, v114, v192
	v_mul_i32_i24_e32 v191, v113, v191
	;; [unrolled: 1-line block ×4, first 2 shown]
	v_mad_i32_i24 v117, v112, v189, v117
	v_bfe_i32 v123, v88, 16, 8
	v_bfe_i32 v124, v88, 8, 8
	;; [unrolled: 1-line block ×3, first 2 shown]
	v_dual_ashrrev_i32 v125, 24, v94 :: v_dual_ashrrev_i32 v136, 24, v89
	v_bfe_i32 v126, v94, 16, 8
	v_bfe_i32 v127, v94, 8, 8
	;; [unrolled: 1-line block ×3, first 2 shown]
	v_bfe_u32 v134, v91, 4, 4
	v_bfe_u32 v177, v101, 4, 4
	;; [unrolled: 1-line block ×3, first 2 shown]
	v_and_b32_e32 v197, 0xf0f0f0f, v105
	v_dual_lshrrev_b32 v199, 28, v105 :: v_dual_bitop2_b32 v201, 15, v105 bitop3:0x40
	v_bfe_u32 v200, v105, 16, 4
	v_bfe_u32 v208, v97, 4, 4
	v_mul_i32_i24_e32 v90, v70, v90
	v_bfe_u32 v210, v105, 20, 4
	v_bfe_u32 v105, v105, 4, 4
	v_mul_i32_i24_e32 v168, v114, v168
	v_mul_i32_i24_e32 v169, v113, v169
	;; [unrolled: 1-line block ×6, first 2 shown]
	v_add3_u32 v116, v116, v119, v118
	v_mad_i32_i24 v118, v112, v167, v166
	v_mad_i32_i24 v104, v194, v115, v104
	v_add3_u32 v115, v117, v190, v191
	v_bfe_u32 v131, v91, 8, 4
	v_and_b32_e32 v173, 15, v101
	v_bfe_u32 v205, v97, 8, 4
	v_mul_i32_i24_e32 v129, v121, v129
	v_mul_i32_i24_e32 v128, v120, v128
	;; [unrolled: 1-line block ×7, first 2 shown]
	v_lshrrev_b16 v195, 8, v197
	v_lshrrev_b16 v197, 8, v198
	v_mul_i32_i24_e32 v198, v88, v201
	v_mul_i32_i24_e32 v177, v94, v177
	;; [unrolled: 1-line block ×6, first 2 shown]
	v_add3_u32 v117, v118, v168, v169
	v_add3_u32 v90, v116, v108, v90
	;; [unrolled: 1-line block ×3, first 2 shown]
	v_bfe_u32 v132, v91, 24, 4
	v_bfe_u32 v133, v91, 16, 4
	;; [unrolled: 1-line block ×7, first 2 shown]
	v_lshrrev_b32_e32 v101, 28, v101
	v_bfe_u32 v206, v97, 24, 4
	v_bfe_u32 v207, v97, 16, 4
	v_mul_i32_i24_e32 v130, v88, v130
	v_mul_i32_i24_e32 v131, v124, v131
	v_mul_i32_i24_e32 v165, v121, v165
	v_mul_i32_i24_e32 v173, v88, v173
	v_mul_i32_i24_e32 v88, v88, v204
	v_mul_i32_i24_e32 v121, v124, v205
	v_add3_u32 v94, v104, v198, v94
	v_add3_u32 v104, v117, v171, v170
	;; [unrolled: 1-line block ×4, first 2 shown]
	v_bfe_u32 v135, v91, 12, 4
	v_bfe_u32 v209, v97, 12, 4
	v_mul_i32_i24_e32 v133, v123, v133
	v_mul_i32_i24_e32 v132, v122, v132
	;; [unrolled: 1-line block ×9, first 2 shown]
	v_add3_u32 v100, v104, v165, v100
	v_add3_u32 v90, v90, v131, v130
	;; [unrolled: 1-line block ×3, first 2 shown]
	v_bfe_u32 v91, v91, 20, 4
	v_dual_lshrrev_b32 v157, 16, v67 :: v_dual_lshrrev_b32 v162, 28, v97
	v_bfe_u32 v97, v97, 20, 4
	v_mul_i32_i24_e32 v135, v127, v135
	v_mul_i32_i24_e32 v202, v127, v209
	v_add3_u32 v100, v100, v174, v173
	v_add3_u32 v90, v90, v133, v132
	;; [unrolled: 1-line block ×3, first 2 shown]
	v_bfe_i32 v137, v89, 16, 8
	v_bfe_i32 v138, v89, 8, 8
	;; [unrolled: 1-line block ×3, first 2 shown]
	v_ashrrev_i32_e32 v142, 24, v69
	v_bfe_i32 v143, v69, 8, 8
	v_bfe_i32 v144, v69, 0, 8
	;; [unrolled: 1-line block ×3, first 2 shown]
	v_and_b32_e32 v69, 15, v92
	v_bfe_u32 v146, v92, 24, 4
	v_bfe_u32 v147, v92, 16, 4
	;; [unrolled: 1-line block ×4, first 2 shown]
	v_dual_lshrrev_b32 v150, 28, v92 :: v_dual_bitop2_b32 v152, 15, v93 bitop3:0x40
	v_bfe_u32 v151, v92, 20, 4
	v_bfe_u32 v92, v92, 8, 4
	v_mul_i32_i24_e32 v109, v125, v109
	v_mul_i32_i24_e32 v91, v126, v91
	s_wait_dscnt 0x0
	v_dual_lshrrev_b32 v221, 4, v107 :: v_dual_bitop2_b32 v216, 15, v106 bitop3:0x40
	v_dual_lshrrev_b32 v232, 28, v98 :: v_dual_bitop2_b32 v224, 15, v103 bitop3:0x40
	;; [unrolled: 1-line block ×3, first 2 shown]
	v_bfe_u32 v228, v98, 24, 4
	v_bfe_u32 v229, v98, 16, 4
	;; [unrolled: 1-line block ×6, first 2 shown]
	v_mul_i32_i24_e32 v162, v125, v162
	v_mul_i32_i24_e32 v178, v127, v178
	;; [unrolled: 1-line block ×3, first 2 shown]
	v_add3_u32 v100, v100, v175, v176
	v_add3_u32 v90, v90, v134, v135
	v_add3_u32 v70, v70, v201, v202
	v_bfe_u32 v110, v93, 16, 4
	v_bfe_u32 v111, v93, 24, 4
	;; [unrolled: 1-line block ×3, first 2 shown]
	v_dual_ashrrev_i32 v154, 24, v71 :: v_dual_lshrrev_b32 v160, 28, v93
	v_bfe_i32 v155, v71, 16, 8
	v_bfe_u32 v158, v93, 4, 4
	v_bfe_u32 v159, v93, 12, 4
	;; [unrolled: 1-line block ×9, first 2 shown]
	v_and_b32_e32 v212, 0xf0f0f0f, v106
	v_bfe_u32 v215, v106, 16, 4
	v_bfe_u32 v223, v103, 8, 4
	;; [unrolled: 1-line block ×4, first 2 shown]
	v_dual_lshrrev_b32 v244, 28, v99 :: v_dual_bitop2_b32 v234, 15, v99 bitop3:0x40
	v_bfe_u32 v235, v99, 8, 4
	v_mul_i32_i24_e32 v236, v89, v69
	v_mul_i32_i24_e32 v92, v138, v92
	v_bfe_u32 v239, v103, 12, 4
	v_bfe_u32 v240, v103, 4, 4
	v_bfe_u32 v103, v103, 20, 4
	v_bfe_u32 v242, v107, 20, 4
	v_cvt_f32_f16_e64 v69, v157
	v_bfe_u32 v157, v99, 4, 4
	v_bfe_u32 v243, v99, 12, 4
	v_bfe_u32 v99, v99, 20, 4
	v_lshrrev_b16 v187, 8, v187
	v_mul_i32_i24_e32 v172, v126, v172
	v_mul_i32_i24_e32 v101, v125, v101
	;; [unrolled: 1-line block ×6, first 2 shown]
	v_add3_u32 v100, v100, v177, v178
	v_add3_u32 v90, v90, v91, v109
	;; [unrolled: 1-line block ×3, first 2 shown]
	v_bfe_i32 v140, v95, 16, 8
	v_bfe_i32 v141, v95, 8, 8
	;; [unrolled: 1-line block ×3, first 2 shown]
	v_bfe_u32 v183, v102, 4, 4
	v_dual_lshrrev_b32 v213, 4, v106 :: v_dual_lshrrev_b32 v214, 28, v106
	v_bfe_u32 v218, v106, 20, 4
	v_bfe_u32 v106, v106, 4, 4
	;; [unrolled: 1-line block ×3, first 2 shown]
	v_mul_i32_i24_e32 v147, v137, v147
	v_mul_i32_i24_e32 v146, v136, v146
	;; [unrolled: 1-line block ×3, first 2 shown]
	v_lshrrev_b16 v186, 8, v186
	v_mul_i32_i24_e32 v105, v126, v210
	v_lshrrev_b16 v126, 8, v212
	v_mul_i32_i24_e32 v180, v138, v180
	v_mul_i32_i24_e32 v181, v137, v181
	;; [unrolled: 1-line block ×11, first 2 shown]
	v_and_b32_e32 v155, 15, v187
	v_add3_u32 v91, v100, v172, v101
	v_add3_u32 v90, v90, v92, v236
	;; [unrolled: 1-line block ×3, first 2 shown]
	v_bfe_u32 v184, v102, 12, 4
	v_dual_lshrrev_b32 v217, 28, v102 :: v_dual_lshrrev_b32 v222, 28, v107
	v_bfe_u32 v102, v102, 20, 4
	v_and_b32_e32 v220, 0xf0f0f0f, v107
	v_mul_i32_i24_e32 v148, v95, v148
	v_mul_i32_i24_e32 v149, v141, v149
	;; [unrolled: 1-line block ×4, first 2 shown]
	v_lshrrev_b16 v199, 8, v213
	v_mul_i32_i24_e32 v183, v95, v183
	v_mul_i32_i24_e32 v106, v95, v106
	;; [unrolled: 1-line block ×9, first 2 shown]
	v_and_b32_e32 v119, 0xffff, v186
	v_dual_add_nc_u32 v63, 4, v63 :: v_dual_bitop2_b32 v164, 15, v197 bitop3:0x40
	v_and_b32_e32 v166, 0xffff, v195
	v_and_b32_e32 v118, 0xffff, v155
	v_add3_u32 v89, v91, v180, v179
	v_add3_u32 v90, v90, v147, v146
	;; [unrolled: 1-line block ×3, first 2 shown]
	v_mul_i32_i24_e32 v151, v140, v151
	v_mul_i32_i24_e32 v150, v139, v150
	;; [unrolled: 1-line block ×5, first 2 shown]
	v_lshrrev_b16 v209, 8, v220
	v_lshrrev_b16 v210, 8, v221
	v_mul_i32_i24_e32 v140, v140, v233
	v_mul_i32_i24_e32 v139, v139, v232
	v_dual_add_nc_u32 v62, 4, v62 :: v_dual_bitop2_b32 v167, 15, v199 bitop3:0x40
	v_and_b32_e32 v126, 0xffff, v126
	v_mad_i32_i24 v113, v185, v113, v188
	v_mul_i32_i24_e32 v112, v119, v112
	v_mul_i32_i24_e32 v119, v124, v166
	v_and_b32_e32 v108, 0xffff, v164
	v_mul_i32_i24_e32 v54, v118, v54
	v_add3_u32 v89, v89, v181, v182
	v_add3_u32 v90, v90, v148, v149
	;; [unrolled: 1-line block ×3, first 2 shown]
	v_mul_i32_i24_e32 v152, v144, v152
	v_mul_i32_i24_e32 v153, v143, v153
	;; [unrolled: 1-line block ×4, first 2 shown]
	v_dual_add_nc_u32 v61, 32, v61 :: v_dual_bitop2_b32 v186, 15, v210 bitop3:0x40
	v_and_b32_e32 v187, 0xffff, v209
	v_mad_i32_i24 v114, v193, v114, v192
	v_mul_i32_i24_e32 v116, v138, v126
	v_and_b32_e32 v124, 0xffff, v167
	v_add3_u32 v113, v113, v196, v125
	v_mul_i32_i24_e32 v108, v127, v108
	v_add3_u32 v54, v112, v54, v119
	v_add3_u32 v89, v89, v183, v184
	;; [unrolled: 1-line block ×4, first 2 shown]
	v_bfe_i32 v156, v71, 8, 8
	v_bfe_i32 v71, v71, 0, 8
	v_mul_i32_i24_e32 v110, v145, v110
	v_bfe_u32 v237, v107, 16, 4
	v_and_b32_e32 v238, 15, v107
	v_bfe_u32 v107, v107, 4, 4
	v_mul_i32_i24_e32 v163, v145, v163
	v_mul_i32_i24_e32 v211, v144, v224
	;; [unrolled: 1-line block ×4, first 2 shown]
	v_and_b32_e32 v138, 0xffff, v186
	v_add3_u32 v105, v114, v200, v105
	v_mul_i32_i24_e32 v114, v141, v124
	v_add3_u32 v88, v113, v205, v208
	v_add3_u32 v54, v54, v108, v116
	v_add3_u32 v89, v89, v102, v206
	v_add3_u32 v90, v90, v153, v152
	v_add3_u32 v70, v70, v217, v216
	v_mul_i32_i24_e32 v158, v71, v158
	v_mul_i32_i24_e32 v159, v156, v159
	;; [unrolled: 1-line block ×10, first 2 shown]
	v_add3_u32 v94, v94, v203, v106
	v_add3_u32 v104, v105, v204, v207
	;; [unrolled: 1-line block ×7, first 2 shown]
	v_mul_i32_i24_e32 v160, v154, v160
	v_mul_i32_i24_e32 v220, v156, v239
	;; [unrolled: 1-line block ×4, first 2 shown]
	v_add3_u32 v91, v104, v145, v223
	v_add3_u32 v92, v94, v144, v107
	;; [unrolled: 1-line block ×6, first 2 shown]
	v_cvt_f32_f16_e32 v68, v67
	v_add3_u32 v54, v92, v91, v54
	v_add3_u32 v71, v88, v219, v220
	;; [unrolled: 1-line block ×4, first 2 shown]
	s_delay_alu instid0(VALU_DEP_4) | instskip(NEXT) | instid1(VALU_DEP_4)
	v_cvt_f32_i32_e32 v54, v54
	v_add3_u32 v90, v71, v103, v221
	s_delay_alu instid0(VALU_DEP_4) | instskip(NEXT) | instid1(VALU_DEP_4)
	v_cvt_f32_i32_e32 v70, v88
	v_cvt_f32_i32_e32 v71, v89
	s_delay_alu instid0(VALU_DEP_4) | instskip(NEXT) | instid1(VALU_DEP_4)
	v_pk_mul_f32 v[88:89], v[54:55], v[68:69]
	v_cvt_f32_i32_e32 v54, v90
	s_delay_alu instid0(VALU_DEP_3) | instskip(NEXT) | instid1(VALU_DEP_3)
	v_pk_mul_f32 v[68:69], v[68:69], v[70:71] op_sel_hi:[0,1]
	v_sub_f32_e32 v71, v88, v89
	s_delay_alu instid0(VALU_DEP_3) | instskip(NEXT) | instid1(VALU_DEP_3)
	v_fma_mix_f32 v70, v67, v54, -v89 op_sel_hi:[1,0,0]
	v_dual_sub_f32 v69, v69, v89 :: v_dual_sub_f32 v68, v68, v89
	s_delay_alu instid0(VALU_DEP_2) | instskip(NEXT) | instid1(VALU_DEP_2)
	v_pk_fma_f32 v[6:7], v[58:59], v[70:71], v[6:7]
	v_pk_fma_f32 v[8:9], v[56:57], v[68:69], v[8:9]
	s_cbranch_scc1 .LBB218_19
; %bb.20:                               ;   in Loop: Header=BB218_5 Depth=1
	s_barrier_signal -1
	s_barrier_wait -1
	s_branch .LBB218_4
.LBB218_21:
	v_mov_b32_e32 v8, 0
	s_delay_alu instid0(VALU_DEP_1)
	v_dual_mov_b32 v9, v8 :: v_dual_mov_b32 v6, v8
	v_mov_b32_e32 v7, v8
.LBB218_22:
	s_mul_i32 s0, s10, s7
	s_wait_loadcnt 0x0
	v_cmp_gt_i32_e32 vcc_lo, s0, v1
	s_and_saveexec_b32 s0, vcc_lo
	s_cbranch_execz .LBB218_31
; %bb.23:
	v_mul_lo_u32 v0, v1, s9
	v_add_nc_u32_e32 v1, s11, v5
	s_mov_b32 s0, exec_lo
	s_delay_alu instid0(VALU_DEP_1)
	v_cmpx_gt_u32_e64 s9, v1
	s_cbranch_execz .LBB218_25
; %bb.24:
	v_bfe_u32 v2, v8, 16, 1
	v_cmp_o_f32_e32 vcc_lo, v8, v8
	v_add_nc_u32_e32 v3, v0, v1
	s_delay_alu instid0(VALU_DEP_3) | instskip(NEXT) | instid1(VALU_DEP_1)
	v_add3_u32 v2, v8, v2, 0x7fff
	v_lshrrev_b32_e32 v2, 16, v2
	s_delay_alu instid0(VALU_DEP_1)
	v_cndmask_b32_e32 v2, 0x7fc0, v2, vcc_lo
	global_store_b16 v3, v2, s[12:13] scale_offset
.LBB218_25:
	s_wait_xcnt 0x0
	s_or_b32 exec_lo, exec_lo, s0
	v_add_nc_u32_e32 v2, 32, v1
	s_mov_b32 s0, exec_lo
	s_delay_alu instid0(VALU_DEP_1)
	v_cmpx_gt_u32_e64 s9, v2
	s_cbranch_execz .LBB218_27
; %bb.26:
	v_bfe_u32 v3, v9, 16, 1
	v_cmp_o_f32_e32 vcc_lo, v9, v9
	v_add_nc_u32_e32 v2, v0, v2
	s_delay_alu instid0(VALU_DEP_3) | instskip(NEXT) | instid1(VALU_DEP_1)
	v_add3_u32 v3, v9, v3, 0x7fff
	v_lshrrev_b32_e32 v3, 16, v3
	s_delay_alu instid0(VALU_DEP_1)
	v_cndmask_b32_e32 v3, 0x7fc0, v3, vcc_lo
	global_store_b16 v2, v3, s[12:13] scale_offset
.LBB218_27:
	s_wait_xcnt 0x0
	s_or_b32 exec_lo, exec_lo, s0
	;; [unrolled: 18-line block ×3, first 2 shown]
	v_add_nc_u32_e32 v1, 0x60, v1
	s_delay_alu instid0(VALU_DEP_1)
	v_cmp_gt_u32_e32 vcc_lo, s9, v1
	s_and_b32 exec_lo, exec_lo, vcc_lo
	s_cbranch_execz .LBB218_31
; %bb.30:
	v_bfe_u32 v2, v7, 16, 1
	v_cmp_o_f32_e32 vcc_lo, v7, v7
	v_add_nc_u32_e32 v0, v0, v1
	s_delay_alu instid0(VALU_DEP_3) | instskip(NEXT) | instid1(VALU_DEP_1)
	v_add3_u32 v2, v7, v2, 0x7fff
	v_lshrrev_b32_e32 v2, 16, v2
	s_delay_alu instid0(VALU_DEP_1)
	v_cndmask_b32_e32 v2, 0x7fc0, v2, vcc_lo
	global_store_b16 v0, v2, s[12:13] scale_offset
.LBB218_31:
	s_sendmsg sendmsg(MSG_DEALLOC_VGPRS)
	s_endpgm
	.section	.rodata,"a",@progbits
	.p2align	6, 0x0
	.amdhsa_kernel _ZL8moe_q4_0IN3c108BFloat16ELb1EEvPKvS3_PT_PKiS7_S7_iiiiiii
		.amdhsa_group_segment_fixed_size 22272
		.amdhsa_private_segment_fixed_size 0
		.amdhsa_kernarg_size 76
		.amdhsa_user_sgpr_count 2
		.amdhsa_user_sgpr_dispatch_ptr 0
		.amdhsa_user_sgpr_queue_ptr 0
		.amdhsa_user_sgpr_kernarg_segment_ptr 1
		.amdhsa_user_sgpr_dispatch_id 0
		.amdhsa_user_sgpr_kernarg_preload_length 0
		.amdhsa_user_sgpr_kernarg_preload_offset 0
		.amdhsa_user_sgpr_private_segment_size 0
		.amdhsa_wavefront_size32 1
		.amdhsa_uses_dynamic_stack 0
		.amdhsa_enable_private_segment 0
		.amdhsa_system_sgpr_workgroup_id_x 1
		.amdhsa_system_sgpr_workgroup_id_y 1
		.amdhsa_system_sgpr_workgroup_id_z 0
		.amdhsa_system_sgpr_workgroup_info 0
		.amdhsa_system_vgpr_workitem_id 1
		.amdhsa_next_free_vgpr 247
		.amdhsa_next_free_sgpr 21
		.amdhsa_named_barrier_count 0
		.amdhsa_reserve_vcc 1
		.amdhsa_float_round_mode_32 0
		.amdhsa_float_round_mode_16_64 0
		.amdhsa_float_denorm_mode_32 3
		.amdhsa_float_denorm_mode_16_64 3
		.amdhsa_fp16_overflow 0
		.amdhsa_memory_ordered 1
		.amdhsa_forward_progress 1
		.amdhsa_inst_pref_size 68
		.amdhsa_round_robin_scheduling 0
		.amdhsa_exception_fp_ieee_invalid_op 0
		.amdhsa_exception_fp_denorm_src 0
		.amdhsa_exception_fp_ieee_div_zero 0
		.amdhsa_exception_fp_ieee_overflow 0
		.amdhsa_exception_fp_ieee_underflow 0
		.amdhsa_exception_fp_ieee_inexact 0
		.amdhsa_exception_int_div_zero 0
	.end_amdhsa_kernel
	.section	.text._ZL8moe_q4_0IN3c108BFloat16ELb1EEvPKvS3_PT_PKiS7_S7_iiiiiii,"axG",@progbits,_ZL8moe_q4_0IN3c108BFloat16ELb1EEvPKvS3_PT_PKiS7_S7_iiiiiii,comdat
.Lfunc_end218:
	.size	_ZL8moe_q4_0IN3c108BFloat16ELb1EEvPKvS3_PT_PKiS7_S7_iiiiiii, .Lfunc_end218-_ZL8moe_q4_0IN3c108BFloat16ELb1EEvPKvS3_PT_PKiS7_S7_iiiiiii
                                        ; -- End function
	.set _ZL8moe_q4_0IN3c108BFloat16ELb1EEvPKvS3_PT_PKiS7_S7_iiiiiii.num_vgpr, 247
	.set _ZL8moe_q4_0IN3c108BFloat16ELb1EEvPKvS3_PT_PKiS7_S7_iiiiiii.num_agpr, 0
	.set _ZL8moe_q4_0IN3c108BFloat16ELb1EEvPKvS3_PT_PKiS7_S7_iiiiiii.numbered_sgpr, 21
	.set _ZL8moe_q4_0IN3c108BFloat16ELb1EEvPKvS3_PT_PKiS7_S7_iiiiiii.num_named_barrier, 0
	.set _ZL8moe_q4_0IN3c108BFloat16ELb1EEvPKvS3_PT_PKiS7_S7_iiiiiii.private_seg_size, 0
	.set _ZL8moe_q4_0IN3c108BFloat16ELb1EEvPKvS3_PT_PKiS7_S7_iiiiiii.uses_vcc, 1
	.set _ZL8moe_q4_0IN3c108BFloat16ELb1EEvPKvS3_PT_PKiS7_S7_iiiiiii.uses_flat_scratch, 0
	.set _ZL8moe_q4_0IN3c108BFloat16ELb1EEvPKvS3_PT_PKiS7_S7_iiiiiii.has_dyn_sized_stack, 0
	.set _ZL8moe_q4_0IN3c108BFloat16ELb1EEvPKvS3_PT_PKiS7_S7_iiiiiii.has_recursion, 0
	.set _ZL8moe_q4_0IN3c108BFloat16ELb1EEvPKvS3_PT_PKiS7_S7_iiiiiii.has_indirect_call, 0
	.section	.AMDGPU.csdata,"",@progbits
; Kernel info:
; codeLenInByte = 8616
; TotalNumSgprs: 23
; NumVgprs: 247
; ScratchSize: 0
; MemoryBound: 0
; FloatMode: 240
; IeeeMode: 1
; LDSByteSize: 22272 bytes/workgroup (compile time only)
; SGPRBlocks: 0
; VGPRBlocks: 15
; NumSGPRsForWavesPerEU: 23
; NumVGPRsForWavesPerEU: 247
; NamedBarCnt: 0
; Occupancy: 4
; WaveLimiterHint : 1
; COMPUTE_PGM_RSRC2:SCRATCH_EN: 0
; COMPUTE_PGM_RSRC2:USER_SGPR: 2
; COMPUTE_PGM_RSRC2:TRAP_HANDLER: 0
; COMPUTE_PGM_RSRC2:TGID_X_EN: 1
; COMPUTE_PGM_RSRC2:TGID_Y_EN: 1
; COMPUTE_PGM_RSRC2:TGID_Z_EN: 0
; COMPUTE_PGM_RSRC2:TIDIG_COMP_CNT: 1
	.section	.text._ZL8moe_q4_1IN3c108BFloat16ELb0EEvPKvS3_PT_PKiS7_S7_iiiiiii,"axG",@progbits,_ZL8moe_q4_1IN3c108BFloat16ELb0EEvPKvS3_PT_PKiS7_S7_iiiiiii,comdat
	.globl	_ZL8moe_q4_1IN3c108BFloat16ELb0EEvPKvS3_PT_PKiS7_S7_iiiiiii ; -- Begin function _ZL8moe_q4_1IN3c108BFloat16ELb0EEvPKvS3_PT_PKiS7_S7_iiiiiii
	.p2align	8
	.type	_ZL8moe_q4_1IN3c108BFloat16ELb0EEvPKvS3_PT_PKiS7_S7_iiiiiii,@function
_ZL8moe_q4_1IN3c108BFloat16ELb0EEvPKvS3_PT_PKiS7_S7_iiiiiii: ; @_ZL8moe_q4_1IN3c108BFloat16ELb0EEvPKvS3_PT_PKiS7_S7_iiiiiii
; %bb.0:
	s_load_b128 s[4:7], s[0:1], 0x18
	s_bfe_u32 s2, ttmp6, 0x40010
	s_bfe_u32 s8, ttmp6, 0x40004
	s_add_co_i32 s2, s2, 1
	s_delay_alu instid0(SALU_CYCLE_1)
	s_mul_i32 s3, ttmp7, s2
	s_getreg_b32 s2, hwreg(HW_REG_IB_STS2, 6, 4)
	s_add_co_i32 s8, s8, s3
	s_cmp_eq_u32 s2, 0
	s_cselect_b32 s3, ttmp7, s8
	s_wait_kmcnt 0x0
	s_load_b32 s12, s[6:7], s3 offset:0x0 scale_offset
	s_wait_kmcnt 0x0
	s_cmp_gt_u32 s12, 0xff
	s_cbranch_scc1 .LBB219_31
; %bb.1:
	s_load_b64 s[6:7], s[0:1], 0x28
	s_lshl_b32 s3, s3, 3
	s_wait_kmcnt 0x0
	s_load_b32 s6, s[6:7], 0x0
	s_wait_kmcnt 0x0
	s_cmp_gt_u32 s3, s6
	s_cbranch_scc1 .LBB219_31
; %bb.2:
	v_bfe_u32 v1, v0, 10, 10
	s_and_b32 s13, ttmp6, 15
	v_and_b32_e32 v5, 0x3ff, v0
	s_delay_alu instid0(VALU_DEP_2) | instskip(SKIP_1) | instid1(SALU_CYCLE_1)
	v_add_nc_u32_e32 v2, s3, v1
	s_bfe_u32 s3, ttmp6, 0x4000c
	s_add_co_i32 s3, s3, 1
	s_delay_alu instid0(SALU_CYCLE_1)
	s_mul_i32 s3, ttmp9, s3
	global_load_b32 v3, v2, s[4:5] scale_offset
	s_clause 0x2
	s_load_b64 s[10:11], s[0:1], 0x30
	s_load_b64 s[8:9], s[0:1], 0x10
	s_load_b128 s[4:7], s[0:1], 0x3c
	s_add_co_i32 s13, s13, s3
	s_cmp_eq_u32 s2, 0
	s_cselect_b32 s2, ttmp9, s13
	s_mov_b32 s13, 0
	s_lshl_b32 s18, s2, 7
	s_wait_kmcnt 0x0
	s_cmp_lt_i32 s11, 32
	s_cbranch_scc1 .LBB219_21
; %bb.3:
	s_load_b128 s[0:3], s[0:1], 0x0
	s_ashr_i32 s14, s11, 31
	s_mul_i32 s16, s12, s10
	s_abs_i32 s12, s7
	s_lshr_b32 s10, s14, 27
	s_cvt_f32_u32 s20, s12
	s_add_co_i32 s19, s11, s10
	s_ashr_i32 s17, s16, 31
	s_ashr_i32 s10, s19, 5
	v_rcp_iflag_f32_e32 v10, s20
	v_mul_lo_u32 v2, s10, v1
	v_bfe_u32 v33, v0, 3, 7
	s_sub_co_i32 s20, 0, s12
	v_lshl_add_u32 v49, v1, 7, 0x5280
	v_lshl_add_u32 v51, v1, 4, 0x5680
	s_ashr_i32 s15, s5, 31
	v_lshl_add_u32 v18, v1, 2, v33
	s_lshr_b32 s14, s15, 27
	v_bfe_u32 v4, v0, 2, 8
	s_add_co_i32 s5, s5, s14
	s_wait_kmcnt 0x0
	s_add_nc_u64 s[16:17], s[0:1], s[16:17]
	v_readfirstlane_b32 s0, v10
	s_lshl_b32 s1, s10, 3
	s_delay_alu instid0(SALU_CYCLE_1)
	v_dual_lshlrev_b32 v24, 2, v5 :: v_dual_add_nc_u32 v6, s1, v2
	v_and_b32_e32 v20, 0x1ffc, v18
	s_mul_f32 s0, s0, 0x4f7ffffe
	s_wait_loadcnt 0x0
	v_sub_nc_u32_e32 v12, 0, v3
	v_mad_u32_u24 v7, 0x84, v1, v24
	v_add_nc_u32_e32 v10, s1, v6
	s_cvt_u32_f32 s0, s0
	v_dual_mov_b32 v9, 0 :: v_dual_bitop2_b32 v8, 12, v24 bitop3:0x40
	v_dual_add_nc_u32 v22, 32, v18 :: v_dual_max_i32 v16, v3, v12
	s_delay_alu instid0(SALU_CYCLE_1) | instskip(SKIP_2) | instid1(VALU_DEP_2)
	s_mul_i32 s20, s20, s0
	v_dual_add_nc_u32 v30, 64, v18 :: v_dual_bitop2_b32 v12, 7, v0 bitop3:0x40
	s_mul_hi_u32 s20, s0, s20
	v_and_b32_e32 v29, 0x3ffc, v22
	s_add_co_i32 s0, s0, s20
	s_delay_alu instid0(VALU_DEP_2) | instskip(SKIP_3) | instid1(VALU_DEP_4)
	v_dual_lshlrev_b32 v26, 2, v12 :: v_dual_lshlrev_b32 v44, 5, v18
	v_mul_hi_u32 v17, v16, s0
	v_mul_lo_u32 v14, s10, v18
	v_add_nc_u32_e32 v18, 0x60, v18
	v_add3_u32 v42, v20, v26, 0x4200
	v_and_b32_e32 v20, 0x3ffc, v30
	v_add3_u32 v46, v29, v26, 0x4200
	s_ashr_i32 s5, s5, 5
	v_add_nc_u32_e32 v36, 0x60, v5
	s_and_not1_b32 s19, s19, 31
	v_add3_u32 v50, v20, v26, 0x4200
	v_add_nc_u32_e32 v80, v42, v44
	v_mul_lo_u32 v28, v17, s12
	s_mul_i32 s14, s10, s18
	v_add_nc_u32_e32 v15, 0xc60, v7
	s_ashr_i32 s15, s14, 31
	v_add_nc_u32_e32 v19, 0x1080, v7
	v_add_nc_u32_e32 v21, 0x14a0, v7
	;; [unrolled: 1-line block ×3, first 2 shown]
	v_dual_lshlrev_b32 v48, 5, v22 :: v_dual_add_nc_u32 v22, 1, v17
	v_lshlrev_b32_e32 v52, 5, v30
	v_add_nc_u32_e32 v25, 0x1ce0, v7
	v_sub_nc_u32_e32 v16, v16, v28
	s_delay_alu instid0(VALU_DEP_4)
	v_add_nc_u32_e32 v81, v46, v48
	v_add_nc_u32_e32 v27, 0x2100, v7
	;; [unrolled: 1-line block ×4, first 2 shown]
	v_subrev_nc_u32_e32 v28, s12, v16
	v_cmp_le_u32_e32 vcc_lo, s12, v16
	v_add_nc_u32_e32 v11, 0x420, v7
	v_add_nc_u32_e32 v39, 0x2d60, v7
	;; [unrolled: 1-line block ×4, first 2 shown]
	v_dual_cndmask_b32 v17, v17, v22 :: v_dual_cndmask_b32 v16, v16, v28
	v_add_nc_u32_e32 v68, v51, v24
	v_add_nc_u32_e32 v45, 0x39c0, v7
	;; [unrolled: 1-line block ×3, first 2 shown]
	s_delay_alu instid0(VALU_DEP_4)
	v_add_nc_u32_e32 v22, 1, v17
	v_cmp_le_u32_e32 vcc_lo, s12, v16
	v_add_nc_u32_e32 v13, 0x840, v7
	v_and_b32_e32 v16, 28, v24
	v_mul_u32_u24_e32 v69, 0x84, v5
	v_mad_u32_u24 v75, 0x84, v5, 64
	v_cndmask_b32_e32 v22, v17, v22, vcc_lo
	v_mov_b32_e32 v17, v9
	v_and_b32_e32 v20, 0x3ffc, v18
	v_lshlrev_b32_e32 v55, 5, v18
	v_add_nc_u32_e32 v18, s1, v10
	v_cmp_gt_u32_e32 vcc_lo, 4, v5
	v_add_nc_u64_e32 v[30:31], s[2:3], v[16:17]
	v_add3_u32 v54, v20, v26, 0x4200
	v_xor_b32_e32 v20, s7, v3
	v_dual_add_nc_u32 v29, 32, v5 :: v_dual_bitop2_b32 v26, 31, v0 bitop3:0x40
	v_add_nc_u32_e32 v34, 64, v5
	v_and_b32_e32 v0, 0xfc, v0
	s_delay_alu instid0(VALU_DEP_4) | instskip(NEXT) | instid1(VALU_DEP_4)
	v_dual_ashrrev_i32 v28, 31, v20 :: v_dual_add_nc_u32 v20, s1, v18
	v_lshl_or_b32 v53, v26, 2, v49
	s_delay_alu instid0(VALU_DEP_4) | instskip(SKIP_1) | instid1(VALU_DEP_4)
	v_and_b32_e32 v17, 0x1fc, v34
	v_add_nc_u32_e32 v82, v50, v52
	v_xor_b32_e32 v1, v22, v28
	v_add_nc_u32_e32 v22, s1, v20
	s_mul_u64 s[14:15], s[14:15], 20
	s_mov_b32 s12, s13
	s_add_nc_u64 s[14:15], s[16:17], s[14:15]
	s_delay_alu instid0(VALU_DEP_1) | instskip(SKIP_3) | instid1(VALU_DEP_4)
	v_dual_sub_nc_u32 v1, v1, v28 :: v_dual_add_nc_u32 v24, s1, v22
	v_lshrrev_b32_e32 v70, 3, v29
	v_and_b32_e32 v29, 0x1fc, v29
	v_add_nc_u32_e32 v44, s19, v14
	v_cmp_gt_i32_e64 s0, s4, v1
	v_add_nc_u32_e32 v26, s1, v24
	v_mul_lo_u32 v28, v1, s5
	s_delay_alu instid0(VALU_DEP_4) | instskip(SKIP_1) | instid1(VALU_DEP_3)
	v_dual_lshlrev_b32 v1, 5, v5 :: v_dual_add_nc_u32 v48, s19, v44
	s_and_b32 s16, vcc_lo, s0
	v_dual_add_nc_u32 v32, s1, v26 :: v_dual_add_nc_u32 v83, v54, v55
	s_delay_alu instid0(VALU_DEP_2) | instskip(NEXT) | instid1(VALU_DEP_3)
	v_add_nc_u32_e32 v17, v1, v17
	v_dual_add_nc_u32 v56, v1, v29 :: v_dual_add_nc_u32 v52, s19, v48
	s_delay_alu instid0(VALU_DEP_3) | instskip(SKIP_1) | instid1(VALU_DEP_4)
	v_add_nc_u32_e32 v34, s1, v32
	v_add_nc_u32_e32 v0, v1, v0
	;; [unrolled: 1-line block ×4, first 2 shown]
	v_mov_b32_e32 v17, v9
	v_and_b32_e32 v16, 0x1fc, v36
	v_add_nc_u32_e32 v36, s1, v34
	v_add_nc_u32_e32 v73, 0x4600, v56
	;; [unrolled: 1-line block ×6, first 2 shown]
	v_ashrrev_i32_e32 v29, 31, v28
	v_dual_mov_b32 v0, v9 :: v_dual_add_nc_u32 v79, 0x4210, v0
	s_delay_alu instid0(VALU_DEP_4) | instskip(NEXT) | instid1(VALU_DEP_4)
	v_add_nc_u32_e32 v71, 0x4e00, v16
	v_add_nc_u32_e32 v40, s1, v38
	;; [unrolled: 1-line block ×3, first 2 shown]
	v_dual_mov_b32 v16, v9 :: v_dual_mov_b32 v1, v9
	s_delay_alu instid0(VALU_DEP_3) | instskip(NEXT) | instid1(VALU_DEP_1)
	v_add_nc_u32_e32 v42, s1, v40
	v_add_nc_u32_e32 v46, s1, v42
	s_delay_alu instid0(VALU_DEP_1)
	v_add_nc_u32_e32 v50, s1, v46
	s_branch .LBB219_5
.LBB219_4:                              ;   in Loop: Header=BB219_5 Depth=1
	s_add_co_i32 s12, s12, 8
	s_delay_alu instid0(SALU_CYCLE_1)
	s_cmp_ge_i32 s12, s10
	s_cbranch_scc1 .LBB219_22
.LBB219_5:                              ; =>This Loop Header: Depth=1
                                        ;     Child Loop BB219_11 Depth 2
                                        ;     Child Loop BB219_19 Depth 2
	s_mul_u64 s[20:21], s[12:13], 20
	s_lshl_b32 s17, s12, 5
	s_add_nc_u64 s[20:21], s[14:15], s[20:21]
	s_cmp_lt_i32 s17, s11
	s_wait_xcnt 0x4
	v_mad_nc_u64_u32 v[54:55], v4, 20, s[20:21]
	s_wait_xcnt 0x0
	v_mad_nc_u64_u32 v[56:57], v12, 20, s[20:21]
	s_delay_alu instid0(VALU_DEP_2)
	v_mad_nc_u64_u32 v[58:59], v2, 20, v[54:55]
	v_mad_nc_u64_u32 v[60:61], v6, 20, v[54:55]
	;; [unrolled: 1-line block ×13, first 2 shown]
	v_add_nc_u64_e32 v[58:59], v[58:59], v[8:9]
	v_mad_nc_u64_u32 v[100:101], v42, 20, v[54:55]
	v_add_nc_u64_e32 v[60:61], v[60:61], v[8:9]
	v_mad_nc_u64_u32 v[102:103], v46, 20, v[54:55]
	;; [unrolled: 2-line block ×3, first 2 shown]
	v_add_nc_u64_e32 v[64:65], v[64:65], v[8:9]
	v_add_nc_u64_e32 v[66:67], v[66:67], v[8:9]
	;; [unrolled: 1-line block ×5, first 2 shown]
	s_clause 0x7
	global_load_b32 v104, v[58:59], off offset:4
	global_load_b32 v105, v[60:61], off offset:4
	global_load_b32 v106, v[62:63], off offset:4
	global_load_b32 v107, v[64:65], off offset:4
	global_load_b32 v108, v[66:67], off offset:4
	global_load_b32 v109, v[84:85], off offset:4
	global_load_b32 v110, v[86:87], off offset:4
	global_load_b32 v111, v[88:89], off offset:4
	s_wait_xcnt 0x7
	v_add_nc_u64_e32 v[58:59], v[90:91], v[8:9]
	s_wait_xcnt 0x6
	v_add_nc_u64_e32 v[60:61], v[92:93], v[8:9]
	;; [unrolled: 2-line block ×5, first 2 shown]
	s_wait_xcnt 0x0
	v_mad_nc_u64_u32 v[88:89], v14, 20, v[56:57]
	v_add_nc_u64_e32 v[84:85], v[100:101], v[8:9]
	v_mad_nc_u64_u32 v[90:91], v44, 20, v[56:57]
	v_add_nc_u64_e32 v[86:87], v[102:103], v[8:9]
	;; [unrolled: 2-line block ×3, first 2 shown]
	v_mad_nc_u64_u32 v[56:57], v52, 20, v[56:57]
	s_clause 0xb
	global_load_b32 v94, v[58:59], off offset:4
	global_load_b32 v95, v[60:61], off offset:4
	;; [unrolled: 1-line block ×8, first 2 shown]
	global_load_b32 v102, v[88:89], off
	global_load_b32 v103, v[90:91], off
	;; [unrolled: 1-line block ×4, first 2 shown]
	s_wait_loadcnt 0x13
	ds_store_b32 v7, v104
	s_wait_loadcnt 0x12
	ds_store_b32 v11, v105
	;; [unrolled: 2-line block ×20, first 2 shown]
	s_cbranch_scc0 .LBB219_4
; %bb.6:                                ;   in Loop: Header=BB219_5 Depth=1
	s_wait_xcnt 0x4
	v_add_nc_u32_e32 v54, s12, v33
	s_delay_alu instid0(VALU_DEP_1)
	v_cmp_gt_i32_e64 s1, s5, v54
	s_and_b32 s19, s0, s1
	s_wait_xcnt 0x0
	s_and_saveexec_b32 s1, s19
	s_cbranch_execz .LBB219_8
; %bb.7:                                ;   in Loop: Header=BB219_5 Depth=1
	v_add_nc_u32_e32 v54, v28, v54
	s_delay_alu instid0(VALU_DEP_1)
	v_mad_nc_i64_i32 v[54:55], v54, 36, v[30:31]
	global_load_b32 v54, v[54:55], off offset:4
	s_wait_loadcnt 0x0
	ds_store_b32 v53, v54
.LBB219_8:                              ;   in Loop: Header=BB219_5 Depth=1
	s_or_b32 exec_lo, exec_lo, s1
	v_add_nc_u32_e32 v54, s12, v5
	s_delay_alu instid0(VALU_DEP_1) | instskip(SKIP_1) | instid1(SALU_CYCLE_1)
	v_cmp_gt_i32_e64 s1, s5, v54
	s_and_b32 s19, s16, s1
	s_and_saveexec_b32 s1, s19
	s_cbranch_execz .LBB219_10
; %bb.9:                                ;   in Loop: Header=BB219_5 Depth=1
	v_add_nc_u32_e32 v55, v28, v54
	s_delay_alu instid0(VALU_DEP_1)
	v_mad_nc_i64_i32 v[56:57], v55, 36, s[2:3]
	global_load_b32 v55, v[56:57], off
	s_wait_loadcnt 0x0
	ds_store_b32 v68, v55
.LBB219_10:                             ;   in Loop: Header=BB219_5 Depth=1
	s_or_b32 exec_lo, exec_lo, s1
	v_dual_mov_b32 v55, v49 :: v_dual_mov_b32 v84, v51
	v_dual_mov_b32 v85, v74 :: v_dual_mov_b32 v86, v73
	;; [unrolled: 1-line block ×3, first 2 shown]
	v_mov_b32_e32 v89, v69
	s_mov_b32 s1, -4
	s_wait_dscnt 0x0
	s_barrier_signal -1
	s_barrier_wait -1
.LBB219_11:                             ;   Parent Loop BB219_5 Depth=1
                                        ; =>  This Inner Loop Header: Depth=2
	v_add_nc_u32_e32 v90, 0x1080, v89
	v_add_nc_u32_e32 v92, 0x1088, v89
	ds_load_2addr_b32 v[56:57], v55 offset0:4 offset1:7
	ds_load_2addr_b32 v[64:65], v89 offset1:1
	ds_load_2addr_b32 v[60:61], v55 offset1:3
	ds_load_2addr_b32 v[58:59], v89 offset0:2 offset1:3
	ds_load_2addr_b32 v[66:67], v55 offset0:1 offset1:2
	;; [unrolled: 1-line block ×3, first 2 shown]
	v_add_nc_u32_e32 v94, 0x2100, v89
	v_add_nc_u32_e32 v96, 0x2108, v89
	;; [unrolled: 1-line block ×4, first 2 shown]
	ds_load_b32 v102, v88
	ds_load_b32 v103, v84
	;; [unrolled: 1-line block ×5, first 2 shown]
	ds_load_2addr_b32 v[90:91], v90 offset1:1
	ds_load_2addr_b32 v[92:93], v92 offset1:1
	;; [unrolled: 1-line block ×6, first 2 shown]
	v_add_nc_u32_e32 v89, 16, v89
	v_dual_add_nc_u32 v85, 4, v85 :: v_dual_add_nc_u32 v84, 4, v84
	v_add_nc_u32_e32 v55, 32, v55
	s_add_co_i32 s1, s1, 4
	v_add_nc_u32_e32 v88, 4, v88
	s_cmp_lt_u32 s1, 12
	v_add_nc_u32_e32 v87, 4, v87
	s_wait_dscnt 0x10
	v_lshrrev_b16 v107, 8, v56
	s_wait_dscnt 0xf
	v_lshrrev_b32_e32 v111, 28, v65
	s_wait_dscnt 0xe
	v_lshrrev_b16 v113, 8, v60
	v_ashrrev_i32_e32 v114, 24, v60
	v_bfe_i32 v115, v60, 16, 8
	v_bfe_i32 v116, v60, 0, 8
	v_dual_lshrrev_b32 v60, 8, v64 :: v_dual_bitop2_b32 v117, 15, v64 bitop3:0x40
	s_wait_dscnt 0xc
	v_dual_ashrrev_i32 v121, 24, v66 :: v_dual_ashrrev_i32 v118, 24, v56
	s_wait_dscnt 0xb
	v_ashrrev_i32_e32 v124, 24, v62
	v_bfe_i32 v119, v56, 16, 8
	v_bfe_i32 v120, v56, 0, 8
	v_bfe_u32 v56, v64, 4, 4
	v_bfe_i32 v113, v113, 0, 8
	s_wait_dscnt 0x1
	v_bfe_u32 v175, v98, 4, 4
	v_bfe_u32 v179, v94, 4, 4
	v_bfe_i32 v107, v107, 0, 8
	v_bfe_u32 v181, v90, 4, 4
	v_bfe_u32 v182, v90, 12, 4
	;; [unrolled: 1-line block ×3, first 2 shown]
	v_and_b32_e32 v60, 15, v60
	v_dual_lshrrev_b32 v171, 28, v99 :: v_dual_bitop2_b32 v161, 15, v94 bitop3:0x40
	v_and_b32_e32 v166, 15, v90
	v_and_b32_e32 v185, 15, v95
	v_bfe_u32 v186, v95, 8, 4
	v_bfe_u32 v187, v95, 20, 4
	v_mul_i32_i24_e32 v189, v120, v56
	v_bfe_u32 v191, v95, 16, 4
	v_bfe_u32 v192, v95, 24, 4
	;; [unrolled: 1-line block ×4, first 2 shown]
	v_lshrrev_b32_e32 v95, 28, v95
	v_mul_i32_i24_e32 v175, v175, v120
	v_mul_i32_i24_e32 v179, v120, v179
	;; [unrolled: 1-line block ×5, first 2 shown]
	v_perm_b32 v117, v60, v117, 0x5040100
	v_perm_b32 v183, v113, v116, 0x5040100
	v_dual_ashrrev_i32 v137, 24, v63 :: v_dual_bitop2_b32 v144, 15, v58 bitop3:0x40
	v_bfe_i32 v138, v63, 16, 8
	v_dual_lshrrev_b32 v150, 28, v58 :: v_dual_bitop2_b32 v143, 15, v59 bitop3:0x40
	v_bfe_u32 v145, v58, 8, 4
	v_bfe_u32 v146, v58, 24, 4
	;; [unrolled: 1-line block ×6, first 2 shown]
	v_pk_mul_f16 v104, v103, v104
	v_pk_mul_f16 v105, v103, v105
	;; [unrolled: 1-line block ×4, first 2 shown]
	v_bfe_u32 v103, v90, 16, 4
	v_bfe_u32 v160, v90, 24, 4
	;; [unrolled: 1-line block ×5, first 2 shown]
	v_lshrrev_b32_e32 v90, 28, v90
	v_mul_i32_i24_e32 v161, v116, v161
	v_mul_i32_i24_e32 v166, v116, v166
	v_pk_mul_lo_u16 v117, v117, v183
	v_bfe_u32 v108, v64, 16, 4
	v_bfe_u32 v109, v64, 24, 4
	;; [unrolled: 1-line block ×7, first 2 shown]
	v_and_b32_e32 v177, 15, v99
	v_bfe_u32 v178, v99, 4, 4
	v_and_b32_e32 v200, 15, v96
	v_and_b32_e32 v202, 0xf0f0f0f, v99
	v_lshrrev_b32_e32 v99, 4, v99
	v_mul_i32_i24_e32 v244, v138, v58
	v_cvt_f32_f16_e32 v58, v106
	v_lshrrev_b32_e32 v106, 16, v106
	v_mad_i32_i24 v161, v113, v162, v161
	v_mad_i32_i24 v162, v113, v168, v166
	v_bfe_i32 v166, v117, 0, 16
	v_dual_ashrrev_i32 v117, 16, v117 :: v_dual_lshrrev_b32 v127, 28, v64
	v_and_b32_e32 v129, 15, v65
	v_bfe_u32 v128, v64, 20, 4
	v_bfe_u32 v64, v64, 12, 4
	;; [unrolled: 1-line block ×3, first 2 shown]
	v_mul_i32_i24_e32 v108, v115, v108
	v_mul_i32_i24_e32 v109, v114, v109
	;; [unrolled: 1-line block ×6, first 2 shown]
	v_lshrrev_b16 v99, 8, v99
	v_add_nc_u32_e32 v117, v117, v166
	v_bfe_u32 v172, v98, 20, 4
	v_lshrrev_b32_e32 v94, 28, v94
	v_mul_i32_i24_e32 v180, v107, v180
	v_mul_i32_i24_e32 v64, v107, v64
	v_and_b32_e32 v99, 15, v99
	v_add3_u32 v161, v161, v163, v164
	v_add3_u32 v103, v162, v103, v160
	;; [unrolled: 1-line block ×3, first 2 shown]
	v_bfe_i32 v122, v66, 16, 8
	v_bfe_i32 v123, v66, 8, 8
	;; [unrolled: 1-line block ×3, first 2 shown]
	v_bfe_u32 v130, v65, 8, 4
	v_dual_lshrrev_b32 v167, 28, v98 :: v_dual_bitop2_b32 v176, 15, v98 bitop3:0x40
	v_dual_lshrrev_b32 v196, 28, v91 :: v_dual_bitop2_b32 v188, 15, v91 bitop3:0x40
	v_bfe_u32 v190, v91, 8, 4
	v_mul_i32_i24_e32 v128, v119, v128
	v_mul_i32_i24_e32 v127, v118, v127
	;; [unrolled: 1-line block ×6, first 2 shown]
	v_add3_u32 v117, v161, v180, v179
	v_add3_u32 v103, v103, v181, v120
	;; [unrolled: 1-line block ×3, first 2 shown]
	v_bfe_u32 v131, v65, 24, 4
	v_bfe_u32 v132, v65, 16, 4
	;; [unrolled: 1-line block ×6, first 2 shown]
	v_and_b32_e32 v201, 0xf0f0f0f, v98
	v_lshrrev_b32_e32 v98, 4, v98
	v_mul_i32_i24_e32 v129, v66, v129
	v_mul_i32_i24_e32 v130, v123, v130
	;; [unrolled: 1-line block ×8, first 2 shown]
	v_add3_u32 v94, v117, v182, v94
	v_add3_u32 v90, v103, v119, v90
	;; [unrolled: 1-line block ×3, first 2 shown]
	v_bfe_u32 v110, v65, 20, 4
	v_bfe_i32 v125, v62, 8, 8
	v_bfe_i32 v126, v62, 0, 8
	v_bfe_u32 v133, v65, 4, 4
	v_bfe_u32 v65, v65, 12, 4
	;; [unrolled: 1-line block ×5, first 2 shown]
	v_mul_i32_i24_e32 v132, v122, v132
	v_mul_i32_i24_e32 v131, v121, v131
	;; [unrolled: 1-line block ×8, first 2 shown]
	v_add3_u32 v94, v94, v184, v118
	v_add3_u32 v66, v90, v185, v66
	;; [unrolled: 1-line block ×3, first 2 shown]
	v_bfe_i32 v62, v62, 16, 8
	v_mul_i32_i24_e32 v133, v126, v133
	v_mul_i32_i24_e32 v65, v125, v65
	;; [unrolled: 1-line block ×7, first 2 shown]
	v_add3_u32 v94, v94, v186, v188
	v_add3_u32 v66, v66, v122, v121
	;; [unrolled: 1-line block ×3, first 2 shown]
	v_dual_ashrrev_i32 v134, 24, v67 :: v_dual_ashrrev_i32 v140, 24, v61
	v_bfe_i32 v135, v67, 16, 8
	v_bfe_i32 v136, v67, 8, 8
	;; [unrolled: 1-line block ×3, first 2 shown]
	v_bfe_u32 v204, v96, 8, 4
	v_mul_i32_i24_e32 v110, v62, v110
	v_dual_lshrrev_b32 v224, 28, v97 :: v_dual_bitop2_b32 v215, 15, v92 bitop3:0x40
	v_bfe_u32 v216, v92, 8, 4
	v_mul_i32_i24_e32 v111, v124, v111
	v_mul_i32_i24_e32 v171, v124, v171
	v_mul_i32_i24_e32 v174, v62, v174
	v_mul_i32_i24_e32 v187, v62, v187
	v_mul_i32_i24_e32 v95, v124, v95
	v_mul_i32_i24_e32 v62, v62, v195
	v_mul_i32_i24_e32 v124, v124, v196
	v_add3_u32 v94, v94, v126, v191
	v_add3_u32 v66, v66, v190, v91
	v_add3_u32 v64, v64, v133, v65
	v_bfe_u32 v205, v96, 16, 4
	v_bfe_u32 v206, v96, 24, 4
	;; [unrolled: 1-line block ×4, first 2 shown]
	s_wait_dscnt 0x0
	v_bfe_u32 v230, v100, 24, 4
	v_bfe_u32 v234, v100, 16, 4
	v_mul_i32_i24_e32 v144, v67, v144
	v_mul_i32_i24_e32 v145, v136, v145
	;; [unrolled: 1-line block ×6, first 2 shown]
	v_lshrrev_b16 v98, 8, v98
	v_add3_u32 v94, v94, v187, v95
	v_add3_u32 v62, v66, v62, v124
	;; [unrolled: 1-line block ×3, first 2 shown]
	v_bfe_i32 v139, v63, 8, 8
	v_bfe_i32 v63, v63, 0, 8
	v_bfe_u32 v207, v96, 12, 4
	v_bfe_u32 v208, v96, 4, 4
	;; [unrolled: 1-line block ×4, first 2 shown]
	v_dual_lshrrev_b32 v228, 28, v93 :: v_dual_lshrrev_b32 v232, 4, v100
	v_and_b32_e32 v231, 0xf0f0f0f, v100
	v_dual_lshrrev_b32 v233, 28, v100 :: v_dual_bitop2_b32 v235, 15, v100 bitop3:0x40
	v_bfe_u32 v236, v100, 20, 4
	v_bfe_u32 v100, v100, 4, 4
	v_mul_i32_i24_e32 v147, v135, v147
	v_mul_i32_i24_e32 v146, v134, v146
	;; [unrolled: 1-line block ×8, first 2 shown]
	v_lshrrev_b16 v201, 8, v201
	v_lshrrev_b16 v202, 8, v202
	v_and_b32_e32 v98, 15, v98
	v_add3_u32 v94, v94, v193, v192
	v_add3_u32 v62, v62, v195, v194
	;; [unrolled: 1-line block ×3, first 2 shown]
	v_dual_lshrrev_b32 v209, 28, v96 :: v_dual_bitop2_b32 v210, 15, v93 bitop3:0x40
	v_bfe_u32 v96, v96, 20, 4
	v_dual_lshrrev_b32 v221, 28, v92 :: v_dual_bitop2_b32 v212, 15, v97 bitop3:0x40
	v_bfe_u32 v92, v92, 20, 4
	v_and_b32_e32 v238, 0xf0f0f0f, v101
	v_dual_lshrrev_b32 v239, 4, v101 :: v_dual_lshrrev_b32 v240, 28, v101
	v_mul_i32_i24_e32 v148, v63, v148
	v_mul_i32_i24_e32 v149, v139, v149
	;; [unrolled: 1-line block ×5, first 2 shown]
	v_lshrrev_b16 v215, 8, v231
	v_lshrrev_b16 v218, 8, v232
	v_mul_i32_i24_e32 v207, v139, v207
	v_mul_i32_i24_e32 v220, v139, v220
	v_mad_i32_i24 v114, v165, v114, v167
	v_and_b32_e32 v165, 0xffff, v201
	v_and_b32_e32 v167, 0xffff, v202
	;; [unrolled: 1-line block ×3, first 2 shown]
	v_add3_u32 v94, v94, v196, v199
	v_add3_u32 v62, v62, v135, v134
	v_add3_u32 v64, v64, v147, v146
	v_bfe_i32 v141, v61, 16, 8
	v_bfe_i32 v142, v61, 8, 8
	;; [unrolled: 1-line block ×3, first 2 shown]
	v_bfe_u32 v151, v59, 8, 4
	v_bfe_u32 v211, v97, 8, 4
	;; [unrolled: 1-line block ×3, first 2 shown]
	v_mul_i32_i24_e32 v150, v137, v150
	v_mul_i32_i24_e32 v96, v138, v96
	;; [unrolled: 1-line block ×7, first 2 shown]
	v_lshrrev_b16 v216, 8, v238
	v_lshrrev_b16 v219, 8, v239
	v_and_b32_e32 v168, 0xffff, v215
	v_and_b32_e32 v166, 15, v218
	v_mul_i32_i24_e32 v103, v165, v113
	v_mul_i32_i24_e32 v113, v123, v167
	v_and_b32_e32 v99, 0xffff, v99
	v_mul_i32_i24_e32 v66, v98, v107
	v_add3_u32 v94, v94, v203, v207
	v_add3_u32 v62, v62, v63, v220
	;; [unrolled: 1-line block ×3, first 2 shown]
	v_bfe_u32 v112, v59, 24, 4
	v_dual_ashrrev_i32 v152, 24, v57 :: v_dual_lshrrev_b32 v158, 28, v59
	v_bfe_i32 v153, v57, 16, 8
	v_bfe_i32 v154, v57, 8, 8
	;; [unrolled: 1-line block ×3, first 2 shown]
	v_bfe_u32 v156, v59, 4, 4
	v_bfe_u32 v157, v59, 12, 4
	;; [unrolled: 1-line block ×13, first 2 shown]
	v_and_b32_e32 v242, 15, v101
	v_mul_i32_i24_e32 v143, v61, v143
	v_cvt_f32_f16_e32 v57, v105
	v_cvt_f32_f16_e32 v56, v104
	v_dual_lshrrev_b32 v105, 16, v105 :: v_dual_lshrrev_b32 v104, 16, v104
	v_mul_i32_i24_e32 v151, v142, v151
	v_mul_i32_i24_e32 v206, v61, v210
	;; [unrolled: 1-line block ×5, first 2 shown]
	v_mad_i32_i24 v115, v169, v115, v172
	v_mad_i32_i24 v116, v176, v116, v175
	v_and_b32_e32 v169, 0xffff, v216
	v_dual_add_nc_u32 v86, 4, v86 :: v_dual_bitop2_b32 v109, 15, v219 bitop3:0x40
	v_add3_u32 v114, v114, v170, v171
	v_mul_i32_i24_e32 v90, v136, v168
	v_and_b32_e32 v65, 0xffff, v166
	v_mul_i32_i24_e32 v95, v125, v99
	v_add3_u32 v66, v103, v66, v113
	v_add3_u32 v94, v94, v96, v138
	;; [unrolled: 1-line block ×4, first 2 shown]
	v_bfe_u32 v222, v97, 12, 4
	v_bfe_u32 v223, v97, 4, 4
	;; [unrolled: 1-line block ×5, first 2 shown]
	v_mul_i32_i24_e32 v245, v141, v59
	v_mul_i32_i24_e32 v112, v140, v112
	;; [unrolled: 1-line block ×3, first 2 shown]
	v_cvt_f32_f16_e32 v59, v102
	v_lshrrev_b32_e32 v102, 16, v102
	v_mul_i32_i24_e32 v67, v67, v235
	v_mul_i32_i24_e32 v209, v61, v242
	v_cvt_f32_f16_e32 v61, v105
	v_cvt_f32_f16_e32 v60, v104
	v_mul_i32_i24_e32 v104, v141, v214
	v_mul_i32_i24_e32 v105, v141, v241
	;; [unrolled: 1-line block ×9, first 2 shown]
	v_add3_u32 v108, v115, v173, v174
	v_add3_u32 v115, v116, v177, v178
	v_mul_i32_i24_e32 v116, v142, v169
	v_and_b32_e32 v91, 0xffff, v109
	v_mul_i32_i24_e32 v65, v139, v65
	v_add3_u32 v98, v114, v200, v205
	v_add3_u32 v66, v66, v95, v90
	;; [unrolled: 1-line block ×5, first 2 shown]
	v_mul_i32_i24_e32 v156, v155, v156
	v_mul_i32_i24_e32 v159, v153, v159
	;; [unrolled: 1-line block ×12, first 2 shown]
	v_add3_u32 v67, v115, v67, v100
	v_add3_u32 v64, v108, v198, v204
	;; [unrolled: 1-line block ×13, first 2 shown]
	v_cvt_f32_f16_e32 v63, v102
	v_add3_u32 v64, v67, v64, v65
	v_add3_u32 v66, v66, v97, v213
	;; [unrolled: 1-line block ×4, first 2 shown]
	v_cvt_f32_f16_e32 v62, v106
	v_cvt_f32_i32_e32 v65, v64
	v_cvt_f32_i32_e32 v64, v66
	;; [unrolled: 1-line block ×4, first 2 shown]
	s_delay_alu instid0(VALU_DEP_3) | instskip(NEXT) | instid1(VALU_DEP_2)
	v_pk_fma_f32 v[58:59], v[58:59], v[64:65], v[62:63]
	v_pk_fma_f32 v[56:57], v[56:57], v[66:67], v[60:61]
	s_delay_alu instid0(VALU_DEP_2) | instskip(NEXT) | instid1(VALU_DEP_2)
	v_pk_add_f32 v[0:1], v[0:1], v[58:59]
	v_pk_add_f32 v[16:17], v[16:17], v[56:57]
	s_cbranch_scc1 .LBB219_11
; %bb.12:                               ;   in Loop: Header=BB219_5 Depth=1
	s_bitset1_b32 s17, 7
	s_delay_alu instid0(SALU_CYCLE_1)
	s_cmp_ge_i32 s17, s11
	s_barrier_signal -1
	s_barrier_wait -1
	s_cbranch_scc1 .LBB219_4
; %bb.13:                               ;   in Loop: Header=BB219_5 Depth=1
	v_add_nc_u32_e32 v55, s12, v70
	s_delay_alu instid0(VALU_DEP_1) | instskip(SKIP_1) | instid1(SALU_CYCLE_1)
	v_cmp_gt_i32_e64 s1, s5, v55
	s_and_b32 s17, s0, s1
	s_and_saveexec_b32 s1, s17
	s_cbranch_execz .LBB219_15
; %bb.14:                               ;   in Loop: Header=BB219_5 Depth=1
	v_add_nc_u32_e32 v55, v28, v55
	s_delay_alu instid0(VALU_DEP_1)
	v_mad_nc_i64_i32 v[56:57], v55, 36, v[30:31]
	global_load_b32 v55, v[56:57], off offset:4
	s_wait_loadcnt 0x0
	ds_store_b32 v53, v55
.LBB219_15:                             ;   in Loop: Header=BB219_5 Depth=1
	s_or_b32 exec_lo, exec_lo, s1
	s_and_saveexec_b32 s17, vcc_lo
	s_cbranch_execz .LBB219_18
; %bb.16:                               ;   in Loop: Header=BB219_5 Depth=1
	v_or_b32_e32 v55, 4, v54
	s_delay_alu instid0(VALU_DEP_1) | instskip(SKIP_1) | instid1(SALU_CYCLE_1)
	v_cmp_gt_i32_e64 s1, s5, v55
	s_and_b32 s1, s0, s1
	s_and_b32 exec_lo, exec_lo, s1
	s_cbranch_execz .LBB219_18
; %bb.17:                               ;   in Loop: Header=BB219_5 Depth=1
	v_ashrrev_i32_e32 v55, 31, v54
	s_delay_alu instid0(VALU_DEP_1) | instskip(NEXT) | instid1(VALU_DEP_1)
	v_add_nc_u64_e32 v[54:55], v[28:29], v[54:55]
	v_mad_nc_u64_u32 v[56:57], v54, 36, s[2:3]
	s_delay_alu instid0(VALU_DEP_1)
	v_mad_i32_i24 v57, v55, 36, v57
	global_load_b32 v54, v[56:57], off offset:144
	s_wait_loadcnt 0x0
	ds_store_b32 v68, v54
.LBB219_18:                             ;   in Loop: Header=BB219_5 Depth=1
	s_or_b32 exec_lo, exec_lo, s17
	v_dual_mov_b32 v54, v51 :: v_dual_mov_b32 v55, v49
	v_dual_mov_b32 v56, v79 :: v_dual_mov_b32 v57, v78
	;; [unrolled: 1-line block ×3, first 2 shown]
	v_mov_b32_e32 v60, v75
	s_mov_b32 s1, 12
	s_wait_dscnt 0x0
	s_barrier_signal -1
	s_barrier_wait -1
.LBB219_19:                             ;   Parent Loop BB219_5 Depth=1
                                        ; =>  This Inner Loop Header: Depth=2
	ds_load_2addr_b32 v[62:63], v55 offset1:3
	ds_load_2addr_b32 v[64:65], v55 offset0:4 offset1:7
	ds_load_2addr_b32 v[66:67], v55 offset0:1 offset1:2
	ds_load_b32 v61, v54
	ds_load_b32 v102, v56
	ds_load_2addr_b32 v[84:85], v60 offset1:1
	ds_load_2addr_b32 v[86:87], v60 offset0:2 offset1:3
	v_add_nc_u32_e32 v90, 0x1080, v60
	v_add_nc_u32_e32 v92, 0x1088, v60
	v_add_nc_u32_e32 v94, 0x2100, v60
	v_add_nc_u32_e32 v96, 0x2108, v60
	v_add_nc_u32_e32 v98, 0x3180, v60
	v_add_nc_u32_e32 v100, 0x3188, v60
	ds_load_b32 v103, v57
	ds_load_b32 v104, v58
	ds_load_2addr_b32 v[88:89], v55 offset0:5 offset1:6
	ds_load_b32 v105, v59
	ds_load_2addr_b32 v[90:91], v90 offset1:1
	ds_load_2addr_b32 v[92:93], v92 offset1:1
	;; [unrolled: 1-line block ×6, first 2 shown]
	v_dual_add_nc_u32 v60, 16, v60 :: v_dual_add_nc_u32 v58, 4, v58
	v_dual_add_nc_u32 v57, 4, v57 :: v_dual_add_nc_u32 v56, 4, v56
	v_add_nc_u32_e32 v55, 32, v55
	s_wait_dscnt 0x10
	v_lshrrev_b16 v112, 8, v62
	v_ashrrev_i32_e32 v113, 24, v62
	v_bfe_i32 v114, v62, 16, 8
	v_bfe_i32 v115, v62, 0, 8
	s_wait_dscnt 0xb
	v_dual_ashrrev_i32 v139, 24, v63 :: v_dual_lshrrev_b32 v62, 8, v84
	v_dual_ashrrev_i32 v120, 24, v66 :: v_dual_bitop2_b32 v116, 15, v84 bitop3:0x40
	v_bfe_i32 v112, v112, 0, 8
	v_bfe_i32 v140, v63, 16, 8
	s_delay_alu instid0(VALU_DEP_4)
	v_and_b32_e32 v184, 15, v62
	s_wait_dscnt 0x9
	v_pk_mul_f16 v103, v61, v103
	v_bfe_i32 v141, v63, 8, 8
	v_bfe_i32 v142, v63, 0, 8
	v_dual_lshrrev_b32 v149, 28, v86 :: v_dual_bitop2_b32 v63, 15, v87 bitop3:0x40
	s_wait_dscnt 0x1
	v_dual_lshrrev_b32 v182, 4, v98 :: v_dual_lshrrev_b32 v183, 28, v98
	v_dual_lshrrev_b32 v193, 28, v99 :: v_dual_bitop2_b32 v186, 15, v90 bitop3:0x40
	v_lshrrev_b32_e32 v192, 4, v99
	v_perm_b32 v116, v184, v116, 0x5040100
	v_perm_b32 v184, v112, v115, 0x5040100
	v_lshrrev_b16 v106, 8, v64
	v_lshrrev_b32_e32 v110, 28, v85
	v_pk_mul_f16 v104, v61, v104
	v_dual_ashrrev_i32 v117, 24, v64 :: v_dual_bitop2_b32 v128, 15, v85 bitop3:0x40
	v_bfe_i32 v118, v64, 16, 8
	v_bfe_i32 v119, v64, 0, 8
	;; [unrolled: 1-line block ×5, first 2 shown]
	v_dual_ashrrev_i32 v123, 24, v88 :: v_dual_ashrrev_i32 v133, 24, v67
	v_bfe_i32 v125, v88, 0, 8
	v_bfe_u32 v64, v84, 4, 4
	v_dual_lshrrev_b32 v126, 28, v84 :: v_dual_ashrrev_i32 v136, 24, v89
	v_bfe_u32 v127, v84, 20, 4
	v_bfe_u32 v132, v85, 4, 4
	v_bfe_i32 v134, v67, 16, 8
	v_bfe_i32 v135, v67, 8, 8
	;; [unrolled: 1-line block ×6, first 2 shown]
	v_dual_ashrrev_i32 v151, 24, v65 :: v_dual_bitop2_b32 v143, 15, v86 bitop3:0x40
	v_lshrrev_b32_e32 v156, 28, v87
	v_bfe_i32 v152, v65, 16, 8
	v_bfe_i32 v153, v65, 8, 8
	;; [unrolled: 1-line block ×3, first 2 shown]
	v_bfe_u32 v65, v87, 4, 4
	v_dual_lshrrev_b32 v160, 28, v91 :: v_dual_bitop2_b32 v163, 15, v94 bitop3:0x40
	v_bfe_u32 v162, v94, 20, 4
	v_bfe_u32 v164, v94, 8, 4
	;; [unrolled: 1-line block ×6, first 2 shown]
	v_dual_lshrrev_b32 v94, 28, v94 :: v_dual_bitop2_b32 v170, 15, v95 bitop3:0x40
	v_bfe_u32 v169, v95, 20, 4
	v_bfe_u32 v171, v95, 8, 4
	;; [unrolled: 1-line block ×6, first 2 shown]
	v_dual_lshrrev_b32 v95, 28, v95 :: v_dual_bitop2_b32 v176, 15, v96 bitop3:0x40
	v_bfe_u32 v180, v98, 24, 4
	v_and_b32_e32 v181, 0xf0f0f0f, v98
	v_bfe_u32 v185, v90, 8, 4
	v_bfe_u32 v187, v98, 16, 4
	s_wait_dscnt 0x0
	v_dual_lshrrev_b32 v208, 4, v100 :: v_dual_bitop2_b32 v188, 15, v98 bitop3:0x40
	v_bfe_u32 v189, v98, 20, 4
	v_bfe_u32 v98, v98, 4, 4
	;; [unrolled: 1-line block ×3, first 2 shown]
	v_and_b32_e32 v191, 0xf0f0f0f, v99
	v_bfe_u32 v194, v99, 16, 4
	v_dual_lshrrev_b32 v197, 28, v90 :: v_dual_bitop2_b32 v195, 15, v99 bitop3:0x40
	v_bfe_u32 v196, v90, 4, 4
	v_bfe_u32 v198, v90, 20, 4
	v_dual_lshrrev_b32 v209, 28, v100 :: v_dual_bitop2_b32 v199, 15, v91 bitop3:0x40
	v_bfe_u32 v200, v91, 8, 4
	v_bfe_u32 v203, v91, 4, 4
	;; [unrolled: 1-line block ×4, first 2 shown]
	v_dual_lshrrev_b32 v218, 4, v101 :: v_dual_bitop2_b32 v211, 15, v100 bitop3:0x40
	v_bfe_u32 v213, v96, 4, 4
	v_dual_lshrrev_b32 v214, 28, v96 :: v_dual_lshrrev_b32 v219, 28, v101
	v_bfe_u32 v216, v101, 24, 4
	v_and_b32_e32 v217, 0xf0f0f0f, v101
	v_mul_i32_i24_e32 v221, v142, v63
	v_bfe_u32 v222, v97, 8, 4
	v_dual_lshrrev_b32 v241, 28, v93 :: v_dual_bitop2_b32 v226, 15, v92 bitop3:0x40
	v_bfe_u32 v234, v101, 16, 4
	v_and_b32_e32 v235, 15, v101
	v_bfe_u32 v237, v97, 4, 4
	v_bfe_u32 v239, v93, 4, 4
	v_cvt_f32_f16_e32 v63, v103
	v_lshrrev_b32_e32 v103, 16, v103
	v_bfe_u32 v244, v101, 20, 4
	v_bfe_u32 v101, v101, 4, 4
	v_lshrrev_b16 v182, 8, v182
	v_mul_i32_i24_e32 v186, v115, v186
	v_pk_mul_lo_u16 v116, v116, v184
	v_bfe_u32 v107, v84, 16, 4
	v_bfe_u32 v108, v84, 24, 4
	v_pk_mul_f16 v102, v61, v102
	v_pk_mul_f16 v61, v61, v105
	v_bfe_u32 v105, v90, 16, 4
	v_bfe_u32 v158, v90, 24, 4
	v_mul_i32_i24_e32 v204, v119, v64
	v_mul_i32_i24_e32 v127, v118, v127
	;; [unrolled: 1-line block ×7, first 2 shown]
	v_cvt_f32_f16_e32 v64, v104
	v_lshrrev_b32_e32 v104, 16, v104
	v_lshrrev_b16 v181, 8, v181
	v_mul_i32_i24_e32 v163, v115, v163
	v_mul_i32_i24_e32 v167, v119, v167
	;; [unrolled: 1-line block ×7, first 2 shown]
	v_lshrrev_b16 v192, 8, v192
	v_mul_i32_i24_e32 v174, v125, v174
	v_mul_i32_i24_e32 v95, v123, v95
	;; [unrolled: 1-line block ×10, first 2 shown]
	v_lshrrev_b16 v199, 8, v208
	v_mul_i32_i24_e32 v176, v67, v176
	v_mul_i32_i24_e32 v200, v67, v211
	v_mul_i32_i24_e32 v203, v89, v213
	v_mul_i32_i24_e32 v213, v141, v222
	v_mul_i32_i24_e32 v123, v123, v160
	v_mul_i32_i24_e32 v160, v67, v226
	v_mul_i32_i24_e32 v222, v154, v237
	v_cvt_f32_f16_e32 v67, v103
	v_mul_i32_i24_e32 v103, v154, v239
	v_mul_i32_i24_e32 v101, v154, v101
	v_and_b32_e32 v154, 15, v182
	v_mad_i32_i24 v182, v112, v185, v186
	v_bfe_i32 v185, v116, 0, 16
	v_dual_ashrrev_i32 v116, 16, v116 :: v_dual_bitop2_b32 v186, 15, v199 bitop3:0x40
	v_bfe_u32 v84, v84, 12, 4
	v_mul_i32_i24_e32 v107, v114, v107
	v_mul_i32_i24_e32 v108, v113, v108
	v_bfe_i32 v106, v106, 0, 8
	v_bfe_u32 v90, v90, 12, 4
	v_mul_i32_i24_e32 v105, v114, v105
	v_mul_i32_i24_e32 v158, v113, v158
	;; [unrolled: 1-line block ×4, first 2 shown]
	v_mad_i32_i24 v163, v112, v164, v163
	v_and_b32_e32 v164, 0xffff, v181
	v_dual_add_nc_u32 v116, v116, v185 :: v_dual_bitop2_b32 v181, 15, v192 bitop3:0x40
	v_mul_i32_i24_e32 v168, v106, v168
	v_mul_i32_i24_e32 v84, v106, v84
	;; [unrolled: 1-line block ×3, first 2 shown]
	v_mad_i32_i24 v98, v188, v115, v98
	v_add3_u32 v115, v163, v165, v166
	v_add3_u32 v105, v182, v105, v158
	;; [unrolled: 1-line block ×3, first 2 shown]
	v_bfe_u32 v129, v85, 8, 4
	v_mad_i32_i24 v108, v180, v113, v183
	v_add3_u32 v113, v115, v168, v167
	v_add3_u32 v90, v105, v90, v119
	;; [unrolled: 1-line block ×3, first 2 shown]
	v_bfe_u32 v130, v85, 24, 4
	v_bfe_u32 v131, v85, 16, 4
	;; [unrolled: 1-line block ×4, first 2 shown]
	v_mul_i32_i24_e32 v128, v66, v128
	v_mul_i32_i24_e32 v129, v122, v129
	;; [unrolled: 1-line block ×4, first 2 shown]
	v_add3_u32 v94, v113, v162, v94
	v_add3_u32 v90, v90, v118, v117
	;; [unrolled: 1-line block ×3, first 2 shown]
	v_bfe_u32 v109, v85, 20, 4
	v_bfe_i32 v124, v88, 8, 8
	v_bfe_u32 v85, v85, 12, 4
	v_bfe_u32 v159, v91, 20, 4
	;; [unrolled: 1-line block ×3, first 2 shown]
	v_mul_i32_i24_e32 v131, v121, v131
	v_mul_i32_i24_e32 v130, v120, v130
	v_mul_i32_i24_e32 v172, v121, v172
	v_mul_i32_i24_e32 v173, v120, v173
	v_mul_i32_i24_e32 v194, v121, v194
	v_mul_i32_i24_e32 v190, v120, v190
	v_mul_i32_i24_e32 v121, v121, v202
	v_mul_i32_i24_e32 v120, v120, v201
	v_add3_u32 v94, v94, v171, v170
	v_add3_u32 v90, v90, v197, v196
	;; [unrolled: 1-line block ×3, first 2 shown]
	v_bfe_i32 v88, v88, 16, 8
	v_mul_i32_i24_e32 v85, v124, v85
	v_mul_i32_i24_e32 v175, v124, v175
	;; [unrolled: 1-line block ×3, first 2 shown]
	v_add3_u32 v94, v94, v172, v173
	v_add3_u32 v90, v90, v121, v120
	;; [unrolled: 1-line block ×3, first 2 shown]
	v_bfe_u32 v144, v86, 8, 4
	v_bfe_u32 v177, v96, 8, 4
	v_mul_i32_i24_e32 v109, v88, v109
	v_bfe_u32 v227, v92, 8, 4
	v_mul_i32_i24_e32 v159, v88, v159
	v_mul_i32_i24_e32 v169, v88, v169
	v_add3_u32 v94, v94, v174, v175
	v_add3_u32 v90, v90, v198, v91
	;; [unrolled: 1-line block ×3, first 2 shown]
	v_bfe_u32 v145, v86, 24, 4
	v_bfe_u32 v146, v86, 16, 4
	;; [unrolled: 1-line block ×8, first 2 shown]
	v_mul_i32_i24_e32 v144, v135, v144
	v_mul_i32_i24_e32 v177, v135, v177
	;; [unrolled: 1-line block ×3, first 2 shown]
	v_lshrrev_b16 v209, 8, v217
	v_mul_i32_i24_e32 v217, v135, v227
	v_add3_u32 v91, v94, v169, v95
	v_add3_u32 v90, v90, v159, v123
	v_add3_u32 v84, v84, v109, v110
	v_bfe_u32 v147, v86, 4, 4
	v_bfe_u32 v148, v86, 12, 4
	v_and_b32_e32 v207, 0xf0f0f0f, v100
	v_bfe_u32 v212, v96, 12, 4
	v_bfe_u32 v215, v100, 20, 4
	;; [unrolled: 1-line block ×5, first 2 shown]
	v_mul_i32_i24_e32 v146, v134, v146
	v_mul_i32_i24_e32 v145, v133, v145
	v_lshrrev_b16 v191, 8, v191
	v_mul_i32_i24_e32 v178, v134, v178
	v_mul_i32_i24_e32 v179, v133, v179
	;; [unrolled: 1-line block ×6, first 2 shown]
	v_add3_u32 v91, v91, v177, v176
	v_add3_u32 v90, v90, v217, v160
	;; [unrolled: 1-line block ×3, first 2 shown]
	v_bfe_u32 v86, v86, 20, 4
	v_bfe_u32 v96, v96, 20, 4
	v_dual_lshrrev_b32 v232, 28, v92 :: v_dual_bitop2_b32 v220, 15, v93 bitop3:0x40
	v_bfe_u32 v92, v92, 20, 4
	v_mul_i32_i24_e32 v147, v89, v147
	v_mul_i32_i24_e32 v148, v138, v148
	v_mul_i32_i24_e32 v88, v88, v205
	v_lshrrev_b16 v193, 8, v207
	v_mul_i32_i24_e32 v205, v138, v212
	v_mul_i32_i24_e32 v100, v89, v100
	v_lshrrev_b16 v210, 8, v218
	v_mul_i32_i24_e32 v89, v89, v230
	v_mul_i32_i24_e32 v218, v138, v231
	v_and_b32_e32 v184, 0xffff, v191
	v_and_b32_e32 v105, 0xffff, v154
	v_add3_u32 v91, v91, v178, v179
	v_add3_u32 v90, v90, v134, v133
	;; [unrolled: 1-line block ×3, first 2 shown]
	v_bfe_u32 v150, v87, 8, 4
	v_dual_lshrrev_b32 v238, 28, v97 :: v_dual_bitop2_b32 v223, 15, v97 bitop3:0x40
	v_bfe_u32 v233, v93, 8, 4
	v_mul_i32_i24_e32 v86, v137, v86
	v_mul_i32_i24_e32 v149, v136, v149
	;; [unrolled: 1-line block ×6, first 2 shown]
	v_and_b32_e32 v191, 0xffff, v193
	v_mad_i32_i24 v114, v187, v114, v189
	v_mul_i32_i24_e32 v112, v164, v112
	v_mul_i32_i24_e32 v107, v122, v184
	v_and_b32_e32 v113, 0xffff, v181
	v_mul_i32_i24_e32 v94, v105, v106
	v_add3_u32 v91, v91, v203, v205
	v_add3_u32 v89, v90, v89, v218
	;; [unrolled: 1-line block ×3, first 2 shown]
	v_bfe_u32 v111, v87, 24, 4
	v_bfe_u32 v155, v87, 12, 4
	;; [unrolled: 1-line block ×7, first 2 shown]
	v_mul_i32_i24_e32 v150, v141, v150
	v_bfe_u32 v236, v97, 12, 4
	v_bfe_u32 v97, v97, 20, 4
	;; [unrolled: 1-line block ×4, first 2 shown]
	v_cvt_f32_f16_e32 v62, v102
	v_lshrrev_b32_e32 v102, 16, v102
	v_bfe_u32 v93, v93, 16, 4
	v_mul_i32_i24_e32 v195, v66, v195
	v_mul_i32_i24_e32 v207, v137, v215
	;; [unrolled: 1-line block ×5, first 2 shown]
	v_dual_add_nc_u32 v59, 4, v59 :: v_dual_bitop2_b32 v192, 15, v210 bitop3:0x40
	v_and_b32_e32 v193, 0xffff, v209
	v_mul_i32_i24_e32 v115, v135, v191
	v_and_b32_e32 v116, 0xffff, v186
	v_add3_u32 v108, v108, v190, v125
	v_add3_u32 v85, v114, v194, v88
	v_mul_i32_i24_e32 v95, v124, v113
	v_add3_u32 v90, v112, v94, v107
	v_add3_u32 v91, v91, v96, v206
	;; [unrolled: 1-line block ×4, first 2 shown]
	v_mul_i32_i24_e32 v87, v140, v87
	v_mul_i32_i24_e32 v111, v139, v111
	;; [unrolled: 1-line block ×4, first 2 shown]
	v_cvt_f32_f16_e32 v65, v61
	v_lshrrev_b32_e32 v61, 16, v61
	v_mul_i32_i24_e32 v214, v140, v225
	v_mul_i32_i24_e32 v215, v139, v224
	;; [unrolled: 1-line block ×6, first 2 shown]
	v_cvt_f32_f16_e32 v66, v102
	v_mul_i32_i24_e32 v93, v140, v93
	v_mul_i32_i24_e32 v102, v139, v161
	v_mul_i32_i24_e32 v140, v152, v242
	v_mul_i32_i24_e32 v161, v151, v241
	v_mul_i32_i24_e32 v152, v152, v244
	v_mul_i32_i24_e32 v151, v151, v219
	v_mul_i32_i24_e32 v117, v141, v193
	v_and_b32_e32 v118, 0xffff, v192
	v_add3_u32 v88, v98, v195, v99
	v_mul_i32_i24_e32 v98, v138, v116
	v_add3_u32 v105, v108, v202, v208
	v_add3_u32 v85, v85, v201, v207
	;; [unrolled: 1-line block ×6, first 2 shown]
	v_mul_i32_i24_e32 v155, v153, v155
	v_mul_i32_i24_e32 v142, v142, v235
	;; [unrolled: 1-line block ×5, first 2 shown]
	v_add3_u32 v88, v88, v200, v100
	v_add3_u32 v86, v105, v216, v151
	;; [unrolled: 1-line block ×12, first 2 shown]
	v_cvt_f32_f16_e32 v85, v61
	v_add3_u32 v61, v87, v92, v86
	v_add3_u32 v86, v88, v97, v224
	v_add3_u32 v88, v89, v140, v161
	v_add3_u32 v90, v84, v157, v156
	v_cvt_f32_f16_e32 v84, v104
	v_cvt_f32_i32_e32 v87, v61
	v_cvt_f32_i32_e32 v86, v86
	;; [unrolled: 1-line block ×4, first 2 shown]
	v_add_nc_u32_e32 v54, 4, v54
	s_add_co_i32 s1, s1, 4
	v_pk_fma_f32 v[64:65], v[64:65], v[86:87], v[84:85]
	s_cmp_lt_u32 s1, 28
	v_pk_fma_f32 v[62:63], v[62:63], v[88:89], v[66:67]
	s_delay_alu instid0(VALU_DEP_2) | instskip(NEXT) | instid1(VALU_DEP_2)
	v_pk_add_f32 v[0:1], v[0:1], v[64:65]
	v_pk_add_f32 v[16:17], v[16:17], v[62:63]
	s_cbranch_scc1 .LBB219_19
; %bb.20:                               ;   in Loop: Header=BB219_5 Depth=1
	s_barrier_signal -1
	s_barrier_wait -1
	s_branch .LBB219_4
.LBB219_21:
	v_mov_b32_e32 v16, 0
	s_delay_alu instid0(VALU_DEP_1)
	v_dual_mov_b32 v17, v16 :: v_dual_mov_b32 v0, v16
	v_mov_b32_e32 v1, v16
.LBB219_22:
	s_mul_i32 s0, s7, s4
	s_wait_loadcnt 0x0
	v_cmp_gt_i32_e32 vcc_lo, s0, v3
	s_wait_xcnt 0x0
	s_and_saveexec_b32 s0, vcc_lo
	s_cbranch_execz .LBB219_31
; %bb.23:
	v_mul_lo_u32 v2, v3, s6
	v_add_nc_u32_e32 v3, s18, v5
	s_mov_b32 s0, exec_lo
	s_delay_alu instid0(VALU_DEP_1)
	v_cmpx_gt_u32_e64 s6, v3
	s_cbranch_execz .LBB219_25
; %bb.24:
	v_bfe_u32 v4, v16, 16, 1
	v_cmp_o_f32_e32 vcc_lo, v16, v16
	v_add_nc_u32_e32 v5, v2, v3
	s_delay_alu instid0(VALU_DEP_3) | instskip(NEXT) | instid1(VALU_DEP_1)
	v_add3_u32 v4, v16, v4, 0x7fff
	v_lshrrev_b32_e32 v4, 16, v4
	s_delay_alu instid0(VALU_DEP_1)
	v_cndmask_b32_e32 v4, 0x7fc0, v4, vcc_lo
	global_store_b16 v5, v4, s[8:9] scale_offset
.LBB219_25:
	s_wait_xcnt 0x0
	s_or_b32 exec_lo, exec_lo, s0
	v_add_nc_u32_e32 v4, 32, v3
	s_mov_b32 s0, exec_lo
	s_delay_alu instid0(VALU_DEP_1)
	v_cmpx_gt_u32_e64 s6, v4
	s_cbranch_execz .LBB219_27
; %bb.26:
	v_bfe_u32 v5, v17, 16, 1
	v_cmp_o_f32_e32 vcc_lo, v17, v17
	v_add_nc_u32_e32 v4, v2, v4
	s_delay_alu instid0(VALU_DEP_3) | instskip(NEXT) | instid1(VALU_DEP_1)
	v_add3_u32 v5, v17, v5, 0x7fff
	v_lshrrev_b32_e32 v5, 16, v5
	s_delay_alu instid0(VALU_DEP_1)
	v_cndmask_b32_e32 v5, 0x7fc0, v5, vcc_lo
	global_store_b16 v4, v5, s[8:9] scale_offset
.LBB219_27:
	s_wait_xcnt 0x0
	s_or_b32 exec_lo, exec_lo, s0
	;; [unrolled: 18-line block ×3, first 2 shown]
	v_add_nc_u32_e32 v0, 0x60, v3
	s_delay_alu instid0(VALU_DEP_1)
	v_cmp_gt_u32_e32 vcc_lo, s6, v0
	s_and_b32 exec_lo, exec_lo, vcc_lo
	s_cbranch_execz .LBB219_31
; %bb.30:
	v_bfe_u32 v3, v1, 16, 1
	v_cmp_o_f32_e32 vcc_lo, v1, v1
	v_add_nc_u32_e32 v0, v2, v0
	s_delay_alu instid0(VALU_DEP_3) | instskip(NEXT) | instid1(VALU_DEP_1)
	v_add3_u32 v3, v1, v3, 0x7fff
	v_lshrrev_b32_e32 v3, 16, v3
	s_delay_alu instid0(VALU_DEP_1)
	v_cndmask_b32_e32 v1, 0x7fc0, v3, vcc_lo
	global_store_b16 v0, v1, s[8:9] scale_offset
.LBB219_31:
	s_sendmsg sendmsg(MSG_DEALLOC_VGPRS)
	s_endpgm
	.section	.rodata,"a",@progbits
	.p2align	6, 0x0
	.amdhsa_kernel _ZL8moe_q4_1IN3c108BFloat16ELb0EEvPKvS3_PT_PKiS7_S7_iiiiiii
		.amdhsa_group_segment_fixed_size 22272
		.amdhsa_private_segment_fixed_size 0
		.amdhsa_kernarg_size 76
		.amdhsa_user_sgpr_count 2
		.amdhsa_user_sgpr_dispatch_ptr 0
		.amdhsa_user_sgpr_queue_ptr 0
		.amdhsa_user_sgpr_kernarg_segment_ptr 1
		.amdhsa_user_sgpr_dispatch_id 0
		.amdhsa_user_sgpr_kernarg_preload_length 0
		.amdhsa_user_sgpr_kernarg_preload_offset 0
		.amdhsa_user_sgpr_private_segment_size 0
		.amdhsa_wavefront_size32 1
		.amdhsa_uses_dynamic_stack 0
		.amdhsa_enable_private_segment 0
		.amdhsa_system_sgpr_workgroup_id_x 1
		.amdhsa_system_sgpr_workgroup_id_y 1
		.amdhsa_system_sgpr_workgroup_id_z 0
		.amdhsa_system_sgpr_workgroup_info 0
		.amdhsa_system_vgpr_workitem_id 1
		.amdhsa_next_free_vgpr 246
		.amdhsa_next_free_sgpr 22
		.amdhsa_named_barrier_count 0
		.amdhsa_reserve_vcc 1
		.amdhsa_float_round_mode_32 0
		.amdhsa_float_round_mode_16_64 0
		.amdhsa_float_denorm_mode_32 3
		.amdhsa_float_denorm_mode_16_64 3
		.amdhsa_fp16_overflow 0
		.amdhsa_memory_ordered 1
		.amdhsa_forward_progress 1
		.amdhsa_inst_pref_size 66
		.amdhsa_round_robin_scheduling 0
		.amdhsa_exception_fp_ieee_invalid_op 0
		.amdhsa_exception_fp_denorm_src 0
		.amdhsa_exception_fp_ieee_div_zero 0
		.amdhsa_exception_fp_ieee_overflow 0
		.amdhsa_exception_fp_ieee_underflow 0
		.amdhsa_exception_fp_ieee_inexact 0
		.amdhsa_exception_int_div_zero 0
	.end_amdhsa_kernel
	.section	.text._ZL8moe_q4_1IN3c108BFloat16ELb0EEvPKvS3_PT_PKiS7_S7_iiiiiii,"axG",@progbits,_ZL8moe_q4_1IN3c108BFloat16ELb0EEvPKvS3_PT_PKiS7_S7_iiiiiii,comdat
.Lfunc_end219:
	.size	_ZL8moe_q4_1IN3c108BFloat16ELb0EEvPKvS3_PT_PKiS7_S7_iiiiiii, .Lfunc_end219-_ZL8moe_q4_1IN3c108BFloat16ELb0EEvPKvS3_PT_PKiS7_S7_iiiiiii
                                        ; -- End function
	.set _ZL8moe_q4_1IN3c108BFloat16ELb0EEvPKvS3_PT_PKiS7_S7_iiiiiii.num_vgpr, 246
	.set _ZL8moe_q4_1IN3c108BFloat16ELb0EEvPKvS3_PT_PKiS7_S7_iiiiiii.num_agpr, 0
	.set _ZL8moe_q4_1IN3c108BFloat16ELb0EEvPKvS3_PT_PKiS7_S7_iiiiiii.numbered_sgpr, 22
	.set _ZL8moe_q4_1IN3c108BFloat16ELb0EEvPKvS3_PT_PKiS7_S7_iiiiiii.num_named_barrier, 0
	.set _ZL8moe_q4_1IN3c108BFloat16ELb0EEvPKvS3_PT_PKiS7_S7_iiiiiii.private_seg_size, 0
	.set _ZL8moe_q4_1IN3c108BFloat16ELb0EEvPKvS3_PT_PKiS7_S7_iiiiiii.uses_vcc, 1
	.set _ZL8moe_q4_1IN3c108BFloat16ELb0EEvPKvS3_PT_PKiS7_S7_iiiiiii.uses_flat_scratch, 0
	.set _ZL8moe_q4_1IN3c108BFloat16ELb0EEvPKvS3_PT_PKiS7_S7_iiiiiii.has_dyn_sized_stack, 0
	.set _ZL8moe_q4_1IN3c108BFloat16ELb0EEvPKvS3_PT_PKiS7_S7_iiiiiii.has_recursion, 0
	.set _ZL8moe_q4_1IN3c108BFloat16ELb0EEvPKvS3_PT_PKiS7_S7_iiiiiii.has_indirect_call, 0
	.section	.AMDGPU.csdata,"",@progbits
; Kernel info:
; codeLenInByte = 8420
; TotalNumSgprs: 24
; NumVgprs: 246
; ScratchSize: 0
; MemoryBound: 0
; FloatMode: 240
; IeeeMode: 1
; LDSByteSize: 22272 bytes/workgroup (compile time only)
; SGPRBlocks: 0
; VGPRBlocks: 15
; NumSGPRsForWavesPerEU: 24
; NumVGPRsForWavesPerEU: 246
; NamedBarCnt: 0
; Occupancy: 4
; WaveLimiterHint : 1
; COMPUTE_PGM_RSRC2:SCRATCH_EN: 0
; COMPUTE_PGM_RSRC2:USER_SGPR: 2
; COMPUTE_PGM_RSRC2:TRAP_HANDLER: 0
; COMPUTE_PGM_RSRC2:TGID_X_EN: 1
; COMPUTE_PGM_RSRC2:TGID_Y_EN: 1
; COMPUTE_PGM_RSRC2:TGID_Z_EN: 0
; COMPUTE_PGM_RSRC2:TIDIG_COMP_CNT: 1
	.section	.text._ZL8moe_q4_1IN3c108BFloat16ELb1EEvPKvS3_PT_PKiS7_S7_iiiiiii,"axG",@progbits,_ZL8moe_q4_1IN3c108BFloat16ELb1EEvPKvS3_PT_PKiS7_S7_iiiiiii,comdat
	.globl	_ZL8moe_q4_1IN3c108BFloat16ELb1EEvPKvS3_PT_PKiS7_S7_iiiiiii ; -- Begin function _ZL8moe_q4_1IN3c108BFloat16ELb1EEvPKvS3_PT_PKiS7_S7_iiiiiii
	.p2align	8
	.type	_ZL8moe_q4_1IN3c108BFloat16ELb1EEvPKvS3_PT_PKiS7_S7_iiiiiii,@function
_ZL8moe_q4_1IN3c108BFloat16ELb1EEvPKvS3_PT_PKiS7_S7_iiiiiii: ; @_ZL8moe_q4_1IN3c108BFloat16ELb1EEvPKvS3_PT_PKiS7_S7_iiiiiii
; %bb.0:
	s_load_b128 s[4:7], s[0:1], 0x18
	s_bfe_u32 s2, ttmp6, 0x40010
	s_bfe_u32 s8, ttmp6, 0x40004
	s_add_co_i32 s2, s2, 1
	s_delay_alu instid0(SALU_CYCLE_1)
	s_mul_i32 s3, ttmp7, s2
	s_getreg_b32 s2, hwreg(HW_REG_IB_STS2, 6, 4)
	s_add_co_i32 s8, s8, s3
	s_cmp_eq_u32 s2, 0
	s_cselect_b32 s3, ttmp7, s8
	s_wait_kmcnt 0x0
	s_load_b32 s14, s[6:7], s3 offset:0x0 scale_offset
	s_wait_kmcnt 0x0
	s_cmp_gt_u32 s14, 0xff
	s_cbranch_scc1 .LBB220_31
; %bb.1:
	s_load_b64 s[6:7], s[0:1], 0x28
	s_lshl_b32 s3, s3, 3
	s_wait_kmcnt 0x0
	s_load_b32 s6, s[6:7], 0x0
	s_wait_kmcnt 0x0
	s_cmp_gt_u32 s3, s6
	s_cbranch_scc1 .LBB220_31
; %bb.2:
	v_bfe_u32 v6, v0, 10, 10
	s_and_b32 s11, ttmp6, 15
	v_and_b32_e32 v5, 0x3ff, v0
	s_mov_b32 s15, 0
	s_delay_alu instid0(VALU_DEP_2) | instskip(SKIP_1) | instid1(SALU_CYCLE_1)
	v_add_nc_u32_e32 v1, s3, v6
	s_bfe_u32 s3, ttmp6, 0x4000c
	s_add_co_i32 s3, s3, 1
	s_delay_alu instid0(SALU_CYCLE_1)
	s_mul_i32 s3, ttmp9, s3
	global_load_b32 v1, v1, s[4:5] scale_offset
	s_wait_xcnt 0x0
	s_clause 0x2
	s_load_b128 s[4:7], s[0:1], 0x30
	s_load_b64 s[12:13], s[0:1], 0x10
	s_load_b96 s[8:10], s[0:1], 0x40
	s_add_co_i32 s11, s11, s3
	s_cmp_eq_u32 s2, 0
	s_cselect_b32 s2, ttmp9, s11
	s_delay_alu instid0(SALU_CYCLE_1)
	s_lshl_b32 s11, s2, 7
	s_wait_kmcnt 0x0
	s_cmp_lt_i32 s5, 32
	s_cbranch_scc1 .LBB220_21
; %bb.3:
	s_load_b128 s[0:3], s[0:1], 0x0
	s_mul_i32 s18, s14, s4
	v_bfe_u32 v31, v0, 3, 7
	s_ashr_i32 s19, s18, 31
	s_not_b32 s4, s11
	v_dual_mov_b32 v3, 0 :: v_dual_lshlrev_b32 v7, 2, v5
	s_delay_alu instid0(VALU_DEP_2)
	v_lshl_add_u32 v8, v6, 2, v31
	s_add_co_i32 s20, s6, s4
	s_ashr_i32 s16, s5, 31
	s_ashr_i32 s17, s8, 31
	s_lshr_b32 s14, s16, 27
	v_min_i32_e32 v46, s20, v8
	s_lshr_b32 s16, s17, 27
	v_min_i32_e32 v14, s20, v6
	v_and_b32_e32 v2, 12, v7
	s_add_co_i32 s6, s8, s16
	v_ashrrev_i32_e32 v9, 31, v46
	v_add_min_i32_e64 v48, v8, 32, s20
	v_add_min_i32_e64 v50, v8, 64, s20
	s_wait_kmcnt 0x0
	s_add_nc_u64 s[18:19], s[0:1], s[18:19]
	s_abs_i32 s0, s10
	v_add_min_i32_e64 v52, 0x60, v8, s20
	s_cvt_f32_u32 s1, s0
	s_sub_co_i32 s8, 0, s0
	v_and_b32_e32 v57, 0xfc, v0
	s_ashr_i32 s6, s6, 5
	v_rcp_iflag_f32_e32 v4, s1
	v_add_min_i32_e64 v16, v6, 8, s20
	v_add_min_i32_e64 v18, v6, 16, s20
	;; [unrolled: 1-line block ×6, first 2 shown]
	v_readfirstlane_b32 s1, v4
	s_wait_loadcnt 0x0
	v_sub_nc_u32_e32 v4, 0, v1
	v_add_min_i32_e64 v28, v6, 56, s20
	v_add_min_i32_e64 v30, v6, 64, s20
	;; [unrolled: 1-line block ×3, first 2 shown]
	s_mul_f32 s1, s1, 0x4f7ffffe
	v_dual_lshrrev_b32 v4, 30, v9 :: v_dual_max_i32 v10, v1, v4
	v_add_min_i32_e64 v34, 0x50, v6, s20
	s_delay_alu instid0(SALU_CYCLE_1)
	s_cvt_u32_f32 s1, s1
	v_lshlrev_b32_e32 v51, 5, v46
	v_add_min_i32_e64 v36, 0x58, v6, s20
	v_add_nc_u32_e32 v11, v46, v4
	s_mul_i32 s8, s8, s1
	v_ashrrev_i32_e32 v12, 31, v48
	s_mul_hi_u32 s8, s1, s8
	v_and_b32_e32 v4, 7, v0
	s_add_co_i32 s1, s1, s8
	v_and_b32_e32 v11, -4, v11
	v_mul_hi_u32 v9, v10, s1
	s_delay_alu instid0(VALU_DEP_3)
	v_dual_ashrrev_i32 v8, 31, v50 :: v_dual_lshlrev_b32 v49, 2, v4
	v_add_min_i32_e64 v38, 0x60, v6, s20
	v_add_min_i32_e64 v40, 0x68, v6, s20
	;; [unrolled: 1-line block ×4, first 2 shown]
	v_add3_u32 v11, v11, v49, 0x4200
	s_add_co_i32 s4, s5, s14
	v_mad_u32 v15, 0x84, v14, v7
	s_ashr_i32 s4, s4, 5
	v_mul_lo_u32 v13, v9, s0
	v_lshrrev_b32_e32 v12, 30, v12
	v_mad_u32 v17, 0x84, v16, v7
	v_mad_u32 v19, 0x84, v18, v7
	;; [unrolled: 1-line block ×9, first 2 shown]
	v_dual_sub_nc_u32 v10, v10, v13 :: v_dual_add_nc_u32 v12, v48, v12
	v_add_nc_u32_e32 v13, 1, v9
	v_mad_u32 v37, 0x84, v34, v7
	v_mad_u32 v39, 0x84, v36, v7
	s_delay_alu instid0(VALU_DEP_4)
	v_subrev_nc_u32_e32 v54, s0, v10
	v_cmp_le_u32_e32 vcc_lo, s0, v10
	v_ashrrev_i32_e32 v53, 31, v52
	v_and_b32_e32 v12, -4, v12
	v_mad_u32 v41, 0x84, v38, v7
	v_mad_u32 v43, 0x84, v40, v7
	v_dual_cndmask_b32 v10, v10, v54, vcc_lo :: v_dual_lshrrev_b32 v8, 30, v8
	v_cndmask_b32_e32 v9, v9, v13, vcc_lo
	v_lshrrev_b32_e32 v13, 30, v53
	v_xor_b32_e32 v53, s10, v1
	s_delay_alu instid0(VALU_DEP_4) | instskip(NEXT) | instid1(VALU_DEP_4)
	v_cmp_le_u32_e32 vcc_lo, s0, v10
	v_dual_add_nc_u32 v8, v50, v8 :: v_dual_add_nc_u32 v54, 1, v9
	v_add3_u32 v12, v12, v49, 0x4200
	s_delay_alu instid0(VALU_DEP_4) | instskip(SKIP_1) | instid1(VALU_DEP_4)
	v_ashrrev_i32_e32 v53, 31, v53
	v_mad_u32 v45, 0x84, v42, v7
	v_dual_add_nc_u32 v13, v52, v13 :: v_dual_bitop2_b32 v8, -4, v8 bitop3:0x40
	v_cndmask_b32_e32 v9, v9, v54, vcc_lo
	v_lshlrev_b32_e32 v58, 5, v50
	v_mad_u32 v47, 0x84, v44, v7
	s_delay_alu instid0(VALU_DEP_4) | instskip(SKIP_4) | instid1(VALU_DEP_4)
	v_add3_u32 v8, v8, v49, 0x4200
	v_dual_lshlrev_b32 v13, 5, v48 :: v_dual_bitop2_b32 v10, -4, v13 bitop3:0x40
	v_xor_b32_e32 v9, v9, v53
	v_add_nc_u32_e32 v55, 32, v5
	v_mul_lo_u32 v14, v14, s4
	v_add3_u32 v54, v10, v49, 0x4200
	v_add_nc_u32_e32 v10, 0x60, v5
	v_add_nc_u32_e32 v49, 64, v5
	v_mul_lo_u32 v16, v16, s4
	v_mul_lo_u32 v18, v18, s4
	v_mul_lo_u32 v20, v20, s4
	v_and_b32_e32 v10, 0x1fc, v10
	v_sub_nc_u32_e32 v56, v9, v53
	v_lshlrev_b32_e32 v9, 5, v5
	v_and_b32_e32 v49, 0x1fc, v49
	v_and_b32_e32 v53, 0x1fc, v55
	v_mul_lo_u32 v22, v22, s4
	v_mul_lo_u32 v24, v24, s4
	;; [unrolled: 1-line block ×3, first 2 shown]
	v_dual_add_nc_u32 v60, v9, v49 :: v_dual_add_nc_u32 v49, v11, v51
	v_dual_add_nc_u32 v59, v9, v10 :: v_dual_bitop2_b32 v11, 31, v0 bitop3:0x40
	v_dual_add_nc_u32 v61, v9, v53 :: v_dual_add_nc_u32 v53, v8, v58
	v_dual_add_nc_u32 v57, v9, v57 :: v_dual_bitop2_b32 v8, 28, v7 bitop3:0x40
	v_lshlrev_b32_e32 v9, 5, v52
	v_mul_lo_u32 v10, v56, s6
	v_mul_lo_u32 v28, v28, s4
	;; [unrolled: 1-line block ×4, first 2 shown]
	v_dual_add_nc_u32 v68, v54, v9 :: v_dual_lshrrev_b32 v73, 3, v55
	v_mov_b32_e32 v9, v3
	v_mul_lo_u32 v34, v34, s4
	v_mul_lo_u32 v36, v36, s4
	;; [unrolled: 1-line block ×10, first 2 shown]
	v_lshl_add_u32 v69, v6, 7, 0x5280
	v_lshl_add_u32 v70, v6, 4, 0x5680
	s_mul_i32 s16, s4, s11
	v_add_nc_u32_e32 v51, v12, v13
	v_cmp_gt_u32_e32 vcc_lo, 4, v5
	v_cmp_gt_i32_e64 s0, s7, v56
	v_add_nc_u64_e32 v[12:13], s[2:3], v[8:9]
	s_ashr_i32 s17, s16, 31
	v_lshl_or_b32 v71, v11, 2, v69
	v_dual_add_nc_u32 v72, v70, v7 :: v_dual_ashrrev_i32 v11, 31, v10
	v_mov_b32_e32 v8, v3
	v_dual_mov_b32 v7, v3 :: v_dual_add_nc_u32 v74, 0x4e00, v59
	v_dual_mov_b32 v6, v3 :: v_dual_add_nc_u32 v75, 0x4e10, v59
	v_add_nc_u32_e32 v76, 0x4a00, v60
	v_add_nc_u32_e32 v77, 0x4a10, v60
	;; [unrolled: 1-line block ×6, first 2 shown]
	v_bfe_u32 v0, v0, 2, 8
	v_mul_u32_u24_e32 v82, 0x84, v5
	v_mad_u32_u24 v83, 0x84, v5, 64
	s_mul_u64 s[16:17], s[16:17], 20
	s_and_b32 s8, vcc_lo, s0
	s_add_nc_u64 s[16:17], s[18:19], s[16:17]
	s_mov_b32 s14, s15
	s_branch .LBB220_5
.LBB220_4:                              ;   in Loop: Header=BB220_5 Depth=1
	s_add_co_i32 s14, s14, 8
	s_delay_alu instid0(SALU_CYCLE_1)
	s_cmp_ge_i32 s14, s4
	s_cbranch_scc1 .LBB220_22
.LBB220_5:                              ; =>This Loop Header: Depth=1
                                        ;     Child Loop BB220_11 Depth 2
                                        ;     Child Loop BB220_19 Depth 2
	s_mul_u64 s[18:19], s[14:15], 20
	s_delay_alu instid0(SALU_CYCLE_1)
	s_add_nc_u64 s[18:19], s[16:17], s[18:19]
	s_wait_xcnt 0x4
	v_mad_nc_u64_u32 v[54:55], v0, 20, s[18:19]
	s_wait_xcnt 0x0
	v_mad_nc_u64_u32 v[56:57], v4, 20, s[18:19]
	s_lshl_b32 s18, s14, 5
	s_delay_alu instid0(SALU_CYCLE_1) | instskip(NEXT) | instid1(VALU_DEP_2)
	s_cmp_lt_i32 s18, s5
	v_mad_nc_i64_i32 v[58:59], v14, 20, v[54:55]
	v_mad_nc_i64_i32 v[60:61], v16, 20, v[54:55]
	;; [unrolled: 1-line block ×13, first 2 shown]
	v_add_nc_u64_e32 v[58:59], v[58:59], v[2:3]
	v_mad_nc_i64_i32 v[100:101], v40, 20, v[54:55]
	v_add_nc_u64_e32 v[60:61], v[60:61], v[2:3]
	v_mad_nc_i64_i32 v[102:103], v42, 20, v[54:55]
	;; [unrolled: 2-line block ×3, first 2 shown]
	v_add_nc_u64_e32 v[64:65], v[64:65], v[2:3]
	v_add_nc_u64_e32 v[66:67], v[66:67], v[2:3]
	;; [unrolled: 1-line block ×5, first 2 shown]
	s_clause 0x7
	global_load_b32 v104, v[58:59], off offset:4
	global_load_b32 v105, v[60:61], off offset:4
	;; [unrolled: 1-line block ×8, first 2 shown]
	s_wait_xcnt 0x7
	v_add_nc_u64_e32 v[58:59], v[90:91], v[2:3]
	s_wait_xcnt 0x6
	v_add_nc_u64_e32 v[60:61], v[92:93], v[2:3]
	;; [unrolled: 2-line block ×5, first 2 shown]
	s_wait_xcnt 0x0
	v_mad_nc_i64_i32 v[88:89], v46, 20, v[56:57]
	v_add_nc_u64_e32 v[84:85], v[100:101], v[2:3]
	v_mad_nc_i64_i32 v[90:91], v48, 20, v[56:57]
	v_add_nc_u64_e32 v[86:87], v[102:103], v[2:3]
	;; [unrolled: 2-line block ×3, first 2 shown]
	v_mad_nc_i64_i32 v[56:57], v52, 20, v[56:57]
	s_clause 0xb
	global_load_b32 v94, v[58:59], off offset:4
	global_load_b32 v95, v[60:61], off offset:4
	;; [unrolled: 1-line block ×8, first 2 shown]
	global_load_b32 v102, v[88:89], off
	global_load_b32 v103, v[90:91], off
	;; [unrolled: 1-line block ×4, first 2 shown]
	s_wait_loadcnt 0x13
	ds_store_b32 v15, v104
	s_wait_loadcnt 0x12
	ds_store_b32 v17, v105
	;; [unrolled: 2-line block ×20, first 2 shown]
	s_cbranch_scc0 .LBB220_4
; %bb.6:                                ;   in Loop: Header=BB220_5 Depth=1
	s_wait_xcnt 0x4
	v_add_nc_u32_e32 v54, s14, v31
	s_delay_alu instid0(VALU_DEP_1)
	v_cmp_gt_i32_e64 s1, s6, v54
	s_and_b32 s19, s0, s1
	s_wait_xcnt 0x0
	s_and_saveexec_b32 s1, s19
	s_cbranch_execz .LBB220_8
; %bb.7:                                ;   in Loop: Header=BB220_5 Depth=1
	v_add_nc_u32_e32 v54, v10, v54
	s_delay_alu instid0(VALU_DEP_1)
	v_mad_nc_i64_i32 v[54:55], v54, 36, v[12:13]
	global_load_b32 v54, v[54:55], off offset:4
	s_wait_loadcnt 0x0
	ds_store_b32 v71, v54
.LBB220_8:                              ;   in Loop: Header=BB220_5 Depth=1
	s_or_b32 exec_lo, exec_lo, s1
	v_add_nc_u32_e32 v54, s14, v5
	s_delay_alu instid0(VALU_DEP_1) | instskip(SKIP_1) | instid1(SALU_CYCLE_1)
	v_cmp_gt_i32_e64 s1, s6, v54
	s_and_b32 s19, s8, s1
	s_and_saveexec_b32 s1, s19
	s_cbranch_execz .LBB220_10
; %bb.9:                                ;   in Loop: Header=BB220_5 Depth=1
	v_add_nc_u32_e32 v55, v10, v54
	s_delay_alu instid0(VALU_DEP_1)
	v_mad_nc_i64_i32 v[56:57], v55, 36, s[2:3]
	global_load_b32 v55, v[56:57], off
	s_wait_loadcnt 0x0
	ds_store_b32 v72, v55
.LBB220_10:                             ;   in Loop: Header=BB220_5 Depth=1
	s_or_b32 exec_lo, exec_lo, s1
	v_dual_mov_b32 v55, v69 :: v_dual_mov_b32 v84, v70
	v_dual_mov_b32 v85, v80 :: v_dual_mov_b32 v86, v78
	;; [unrolled: 1-line block ×3, first 2 shown]
	v_mov_b32_e32 v89, v82
	s_mov_b32 s1, -4
	s_wait_dscnt 0x0
	s_barrier_signal -1
	s_barrier_wait -1
.LBB220_11:                             ;   Parent Loop BB220_5 Depth=1
                                        ; =>  This Inner Loop Header: Depth=2
	v_add_nc_u32_e32 v90, 0x1080, v89
	v_add_nc_u32_e32 v92, 0x1088, v89
	ds_load_2addr_b32 v[56:57], v55 offset0:4 offset1:7
	ds_load_2addr_b32 v[64:65], v89 offset1:1
	ds_load_2addr_b32 v[60:61], v55 offset1:3
	ds_load_2addr_b32 v[58:59], v89 offset0:2 offset1:3
	ds_load_2addr_b32 v[66:67], v55 offset0:1 offset1:2
	;; [unrolled: 1-line block ×3, first 2 shown]
	v_add_nc_u32_e32 v94, 0x2100, v89
	v_add_nc_u32_e32 v96, 0x2108, v89
	;; [unrolled: 1-line block ×4, first 2 shown]
	ds_load_b32 v102, v88
	ds_load_b32 v103, v84
	;; [unrolled: 1-line block ×5, first 2 shown]
	ds_load_2addr_b32 v[90:91], v90 offset1:1
	ds_load_2addr_b32 v[92:93], v92 offset1:1
	;; [unrolled: 1-line block ×6, first 2 shown]
	v_add_nc_u32_e32 v89, 16, v89
	v_dual_add_nc_u32 v85, 4, v85 :: v_dual_add_nc_u32 v84, 4, v84
	v_add_nc_u32_e32 v55, 32, v55
	s_add_co_i32 s1, s1, 4
	v_add_nc_u32_e32 v88, 4, v88
	s_cmp_lt_u32 s1, 12
	v_add_nc_u32_e32 v87, 4, v87
	s_wait_dscnt 0x10
	v_lshrrev_b16 v107, 8, v56
	s_wait_dscnt 0xf
	v_lshrrev_b32_e32 v111, 28, v65
	s_wait_dscnt 0xe
	v_lshrrev_b16 v113, 8, v60
	v_ashrrev_i32_e32 v114, 24, v60
	v_bfe_i32 v115, v60, 16, 8
	v_bfe_i32 v116, v60, 0, 8
	v_dual_lshrrev_b32 v60, 8, v64 :: v_dual_bitop2_b32 v117, 15, v64 bitop3:0x40
	s_wait_dscnt 0xc
	v_dual_ashrrev_i32 v121, 24, v66 :: v_dual_ashrrev_i32 v118, 24, v56
	s_wait_dscnt 0xb
	v_ashrrev_i32_e32 v124, 24, v62
	v_bfe_i32 v119, v56, 16, 8
	v_bfe_i32 v120, v56, 0, 8
	v_bfe_u32 v56, v64, 4, 4
	v_bfe_i32 v113, v113, 0, 8
	s_wait_dscnt 0x1
	v_bfe_u32 v175, v98, 4, 4
	v_bfe_u32 v179, v94, 4, 4
	v_bfe_i32 v107, v107, 0, 8
	v_bfe_u32 v181, v90, 4, 4
	v_bfe_u32 v182, v90, 12, 4
	;; [unrolled: 1-line block ×3, first 2 shown]
	v_and_b32_e32 v60, 15, v60
	v_dual_lshrrev_b32 v171, 28, v99 :: v_dual_bitop2_b32 v161, 15, v94 bitop3:0x40
	v_and_b32_e32 v166, 15, v90
	v_and_b32_e32 v185, 15, v95
	v_bfe_u32 v186, v95, 8, 4
	v_bfe_u32 v187, v95, 20, 4
	v_mul_i32_i24_e32 v189, v120, v56
	v_bfe_u32 v191, v95, 16, 4
	v_bfe_u32 v192, v95, 24, 4
	;; [unrolled: 1-line block ×4, first 2 shown]
	v_lshrrev_b32_e32 v95, 28, v95
	v_mul_i32_i24_e32 v175, v175, v120
	v_mul_i32_i24_e32 v179, v120, v179
	;; [unrolled: 1-line block ×5, first 2 shown]
	v_perm_b32 v117, v60, v117, 0x5040100
	v_perm_b32 v183, v113, v116, 0x5040100
	v_dual_ashrrev_i32 v137, 24, v63 :: v_dual_bitop2_b32 v144, 15, v58 bitop3:0x40
	v_bfe_i32 v138, v63, 16, 8
	v_dual_lshrrev_b32 v150, 28, v58 :: v_dual_bitop2_b32 v143, 15, v59 bitop3:0x40
	v_bfe_u32 v145, v58, 8, 4
	v_bfe_u32 v146, v58, 24, 4
	;; [unrolled: 1-line block ×6, first 2 shown]
	v_pk_mul_f16 v104, v103, v104
	v_pk_mul_f16 v105, v103, v105
	;; [unrolled: 1-line block ×4, first 2 shown]
	v_bfe_u32 v103, v90, 16, 4
	v_bfe_u32 v160, v90, 24, 4
	;; [unrolled: 1-line block ×5, first 2 shown]
	v_lshrrev_b32_e32 v90, 28, v90
	v_mul_i32_i24_e32 v161, v116, v161
	v_mul_i32_i24_e32 v166, v116, v166
	v_pk_mul_lo_u16 v117, v117, v183
	v_bfe_u32 v108, v64, 16, 4
	v_bfe_u32 v109, v64, 24, 4
	;; [unrolled: 1-line block ×7, first 2 shown]
	v_and_b32_e32 v177, 15, v99
	v_bfe_u32 v178, v99, 4, 4
	v_and_b32_e32 v200, 15, v96
	v_and_b32_e32 v202, 0xf0f0f0f, v99
	v_lshrrev_b32_e32 v99, 4, v99
	v_mul_i32_i24_e32 v244, v138, v58
	v_cvt_f32_f16_e32 v58, v106
	v_lshrrev_b32_e32 v106, 16, v106
	v_mad_i32_i24 v161, v113, v162, v161
	v_mad_i32_i24 v162, v113, v168, v166
	v_bfe_i32 v166, v117, 0, 16
	v_dual_ashrrev_i32 v117, 16, v117 :: v_dual_lshrrev_b32 v127, 28, v64
	v_and_b32_e32 v129, 15, v65
	v_bfe_u32 v128, v64, 20, 4
	v_bfe_u32 v64, v64, 12, 4
	;; [unrolled: 1-line block ×3, first 2 shown]
	v_mul_i32_i24_e32 v108, v115, v108
	v_mul_i32_i24_e32 v109, v114, v109
	;; [unrolled: 1-line block ×6, first 2 shown]
	v_lshrrev_b16 v99, 8, v99
	v_add_nc_u32_e32 v117, v117, v166
	v_bfe_u32 v172, v98, 20, 4
	v_lshrrev_b32_e32 v94, 28, v94
	v_mul_i32_i24_e32 v180, v107, v180
	v_mul_i32_i24_e32 v64, v107, v64
	v_and_b32_e32 v99, 15, v99
	v_add3_u32 v161, v161, v163, v164
	v_add3_u32 v103, v162, v103, v160
	;; [unrolled: 1-line block ×3, first 2 shown]
	v_bfe_i32 v122, v66, 16, 8
	v_bfe_i32 v123, v66, 8, 8
	v_bfe_i32 v66, v66, 0, 8
	v_bfe_u32 v130, v65, 8, 4
	v_dual_lshrrev_b32 v167, 28, v98 :: v_dual_bitop2_b32 v176, 15, v98 bitop3:0x40
	v_dual_lshrrev_b32 v196, 28, v91 :: v_dual_bitop2_b32 v188, 15, v91 bitop3:0x40
	v_bfe_u32 v190, v91, 8, 4
	v_mul_i32_i24_e32 v128, v119, v128
	v_mul_i32_i24_e32 v127, v118, v127
	v_mul_i32_i24_e32 v172, v172, v119
	v_mul_i32_i24_e32 v94, v118, v94
	v_mul_i32_i24_e32 v119, v119, v184
	v_mul_i32_i24_e32 v90, v118, v90
	v_add3_u32 v117, v161, v180, v179
	v_add3_u32 v103, v103, v181, v120
	;; [unrolled: 1-line block ×3, first 2 shown]
	v_bfe_u32 v131, v65, 24, 4
	v_bfe_u32 v132, v65, 16, 4
	;; [unrolled: 1-line block ×6, first 2 shown]
	v_and_b32_e32 v201, 0xf0f0f0f, v98
	v_lshrrev_b32_e32 v98, 4, v98
	v_mul_i32_i24_e32 v129, v66, v129
	v_mul_i32_i24_e32 v130, v123, v130
	;; [unrolled: 1-line block ×8, first 2 shown]
	v_add3_u32 v94, v117, v182, v94
	v_add3_u32 v90, v103, v119, v90
	;; [unrolled: 1-line block ×3, first 2 shown]
	v_bfe_u32 v110, v65, 20, 4
	v_bfe_i32 v125, v62, 8, 8
	v_bfe_i32 v126, v62, 0, 8
	v_bfe_u32 v133, v65, 4, 4
	v_bfe_u32 v65, v65, 12, 4
	;; [unrolled: 1-line block ×5, first 2 shown]
	v_mul_i32_i24_e32 v132, v122, v132
	v_mul_i32_i24_e32 v131, v121, v131
	;; [unrolled: 1-line block ×8, first 2 shown]
	v_add3_u32 v94, v94, v184, v118
	v_add3_u32 v66, v90, v185, v66
	;; [unrolled: 1-line block ×3, first 2 shown]
	v_bfe_i32 v62, v62, 16, 8
	v_mul_i32_i24_e32 v133, v126, v133
	v_mul_i32_i24_e32 v65, v125, v65
	;; [unrolled: 1-line block ×7, first 2 shown]
	v_add3_u32 v94, v94, v186, v188
	v_add3_u32 v66, v66, v122, v121
	;; [unrolled: 1-line block ×3, first 2 shown]
	v_dual_ashrrev_i32 v134, 24, v67 :: v_dual_ashrrev_i32 v140, 24, v61
	v_bfe_i32 v135, v67, 16, 8
	v_bfe_i32 v136, v67, 8, 8
	;; [unrolled: 1-line block ×3, first 2 shown]
	v_bfe_u32 v204, v96, 8, 4
	v_mul_i32_i24_e32 v110, v62, v110
	v_dual_lshrrev_b32 v224, 28, v97 :: v_dual_bitop2_b32 v215, 15, v92 bitop3:0x40
	v_bfe_u32 v216, v92, 8, 4
	v_mul_i32_i24_e32 v111, v124, v111
	v_mul_i32_i24_e32 v171, v124, v171
	;; [unrolled: 1-line block ×7, first 2 shown]
	v_add3_u32 v94, v94, v126, v191
	v_add3_u32 v66, v66, v190, v91
	v_add3_u32 v64, v64, v133, v65
	v_bfe_u32 v205, v96, 16, 4
	v_bfe_u32 v206, v96, 24, 4
	;; [unrolled: 1-line block ×4, first 2 shown]
	s_wait_dscnt 0x0
	v_bfe_u32 v230, v100, 24, 4
	v_bfe_u32 v234, v100, 16, 4
	v_mul_i32_i24_e32 v144, v67, v144
	v_mul_i32_i24_e32 v145, v136, v145
	;; [unrolled: 1-line block ×6, first 2 shown]
	v_lshrrev_b16 v98, 8, v98
	v_add3_u32 v94, v94, v187, v95
	v_add3_u32 v62, v66, v62, v124
	;; [unrolled: 1-line block ×3, first 2 shown]
	v_bfe_i32 v139, v63, 8, 8
	v_bfe_i32 v63, v63, 0, 8
	v_bfe_u32 v207, v96, 12, 4
	v_bfe_u32 v208, v96, 4, 4
	v_bfe_u32 v219, v92, 4, 4
	v_bfe_u32 v220, v92, 12, 4
	v_dual_lshrrev_b32 v228, 28, v93 :: v_dual_lshrrev_b32 v232, 4, v100
	v_and_b32_e32 v231, 0xf0f0f0f, v100
	v_dual_lshrrev_b32 v233, 28, v100 :: v_dual_bitop2_b32 v235, 15, v100 bitop3:0x40
	v_bfe_u32 v236, v100, 20, 4
	v_bfe_u32 v100, v100, 4, 4
	v_mul_i32_i24_e32 v147, v135, v147
	v_mul_i32_i24_e32 v146, v134, v146
	v_mul_i32_i24_e32 v196, v135, v205
	v_mul_i32_i24_e32 v198, v135, v234
	v_mul_i32_i24_e32 v135, v135, v218
	v_mul_i32_i24_e32 v199, v134, v206
	v_mul_i32_i24_e32 v200, v134, v230
	v_mul_i32_i24_e32 v134, v134, v217
	v_lshrrev_b16 v201, 8, v201
	v_lshrrev_b16 v202, 8, v202
	v_and_b32_e32 v98, 15, v98
	v_add3_u32 v94, v94, v193, v192
	v_add3_u32 v62, v62, v195, v194
	;; [unrolled: 1-line block ×3, first 2 shown]
	v_dual_lshrrev_b32 v209, 28, v96 :: v_dual_bitop2_b32 v210, 15, v93 bitop3:0x40
	v_bfe_u32 v96, v96, 20, 4
	v_dual_lshrrev_b32 v221, 28, v92 :: v_dual_bitop2_b32 v212, 15, v97 bitop3:0x40
	v_bfe_u32 v92, v92, 20, 4
	v_and_b32_e32 v238, 0xf0f0f0f, v101
	v_dual_lshrrev_b32 v239, 4, v101 :: v_dual_lshrrev_b32 v240, 28, v101
	v_mul_i32_i24_e32 v148, v63, v148
	v_mul_i32_i24_e32 v149, v139, v149
	;; [unrolled: 1-line block ×5, first 2 shown]
	v_lshrrev_b16 v215, 8, v231
	v_lshrrev_b16 v218, 8, v232
	v_mul_i32_i24_e32 v207, v139, v207
	v_mul_i32_i24_e32 v220, v139, v220
	v_mad_i32_i24 v114, v165, v114, v167
	v_and_b32_e32 v165, 0xffff, v201
	v_and_b32_e32 v167, 0xffff, v202
	;; [unrolled: 1-line block ×3, first 2 shown]
	v_add3_u32 v94, v94, v196, v199
	v_add3_u32 v62, v62, v135, v134
	;; [unrolled: 1-line block ×3, first 2 shown]
	v_bfe_i32 v141, v61, 16, 8
	v_bfe_i32 v142, v61, 8, 8
	;; [unrolled: 1-line block ×3, first 2 shown]
	v_bfe_u32 v151, v59, 8, 4
	v_bfe_u32 v211, v97, 8, 4
	;; [unrolled: 1-line block ×3, first 2 shown]
	v_mul_i32_i24_e32 v150, v137, v150
	v_mul_i32_i24_e32 v96, v138, v96
	;; [unrolled: 1-line block ×7, first 2 shown]
	v_lshrrev_b16 v216, 8, v238
	v_lshrrev_b16 v219, 8, v239
	v_and_b32_e32 v168, 0xffff, v215
	v_and_b32_e32 v166, 15, v218
	v_mul_i32_i24_e32 v103, v165, v113
	v_mul_i32_i24_e32 v113, v123, v167
	v_and_b32_e32 v99, 0xffff, v99
	v_mul_i32_i24_e32 v66, v98, v107
	v_add3_u32 v94, v94, v203, v207
	v_add3_u32 v62, v62, v63, v220
	;; [unrolled: 1-line block ×3, first 2 shown]
	v_bfe_u32 v112, v59, 24, 4
	v_dual_ashrrev_i32 v152, 24, v57 :: v_dual_lshrrev_b32 v158, 28, v59
	v_bfe_i32 v153, v57, 16, 8
	v_bfe_i32 v154, v57, 8, 8
	;; [unrolled: 1-line block ×3, first 2 shown]
	v_bfe_u32 v156, v59, 4, 4
	v_bfe_u32 v157, v59, 12, 4
	;; [unrolled: 1-line block ×13, first 2 shown]
	v_and_b32_e32 v242, 15, v101
	v_mul_i32_i24_e32 v143, v61, v143
	v_cvt_f32_f16_e32 v57, v105
	v_cvt_f32_f16_e32 v56, v104
	v_dual_lshrrev_b32 v105, 16, v105 :: v_dual_lshrrev_b32 v104, 16, v104
	v_mul_i32_i24_e32 v151, v142, v151
	v_mul_i32_i24_e32 v206, v61, v210
	v_mul_i32_i24_e32 v208, v61, v212
	v_mul_i32_i24_e32 v211, v142, v211
	v_mul_i32_i24_e32 v217, v142, v225
	v_mad_i32_i24 v115, v169, v115, v172
	v_mad_i32_i24 v116, v176, v116, v175
	v_and_b32_e32 v169, 0xffff, v216
	v_dual_add_nc_u32 v86, 4, v86 :: v_dual_bitop2_b32 v109, 15, v219 bitop3:0x40
	v_add3_u32 v114, v114, v170, v171
	v_mul_i32_i24_e32 v90, v136, v168
	v_and_b32_e32 v65, 0xffff, v166
	v_mul_i32_i24_e32 v95, v125, v99
	v_add3_u32 v66, v103, v66, v113
	v_add3_u32 v94, v94, v96, v138
	;; [unrolled: 1-line block ×4, first 2 shown]
	v_bfe_u32 v222, v97, 12, 4
	v_bfe_u32 v223, v97, 4, 4
	;; [unrolled: 1-line block ×5, first 2 shown]
	v_mul_i32_i24_e32 v245, v141, v59
	v_mul_i32_i24_e32 v112, v140, v112
	;; [unrolled: 1-line block ×3, first 2 shown]
	v_cvt_f32_f16_e32 v59, v102
	v_lshrrev_b32_e32 v102, 16, v102
	v_mul_i32_i24_e32 v67, v67, v235
	v_mul_i32_i24_e32 v209, v61, v242
	v_cvt_f32_f16_e32 v61, v105
	v_cvt_f32_f16_e32 v60, v104
	v_mul_i32_i24_e32 v104, v141, v214
	v_mul_i32_i24_e32 v105, v141, v241
	v_mul_i32_i24_e32 v93, v141, v93
	v_mul_i32_i24_e32 v141, v140, v213
	v_mul_i32_i24_e32 v210, v140, v237
	v_mul_i32_i24_e32 v140, v140, v197
	v_mul_i32_i24_e32 v213, v152, v224
	v_mul_i32_i24_e32 v214, v152, v228
	v_mul_i32_i24_e32 v152, v152, v240
	v_add3_u32 v108, v115, v173, v174
	v_add3_u32 v115, v116, v177, v178
	v_mul_i32_i24_e32 v116, v142, v169
	v_and_b32_e32 v91, 0xffff, v109
	v_mul_i32_i24_e32 v65, v139, v65
	v_add3_u32 v98, v114, v200, v205
	v_add3_u32 v66, v66, v95, v90
	;; [unrolled: 1-line block ×5, first 2 shown]
	v_mul_i32_i24_e32 v156, v155, v156
	v_mul_i32_i24_e32 v159, v153, v159
	;; [unrolled: 1-line block ×12, first 2 shown]
	v_add3_u32 v67, v115, v67, v100
	v_add3_u32 v64, v108, v198, v204
	;; [unrolled: 1-line block ×13, first 2 shown]
	v_cvt_f32_f16_e32 v63, v102
	v_add3_u32 v64, v67, v64, v65
	v_add3_u32 v66, v66, v97, v213
	;; [unrolled: 1-line block ×4, first 2 shown]
	v_cvt_f32_f16_e32 v62, v106
	v_cvt_f32_i32_e32 v65, v64
	v_cvt_f32_i32_e32 v64, v66
	;; [unrolled: 1-line block ×4, first 2 shown]
	s_delay_alu instid0(VALU_DEP_3) | instskip(NEXT) | instid1(VALU_DEP_2)
	v_pk_fma_f32 v[58:59], v[58:59], v[64:65], v[62:63]
	v_pk_fma_f32 v[56:57], v[56:57], v[66:67], v[60:61]
	s_delay_alu instid0(VALU_DEP_2) | instskip(NEXT) | instid1(VALU_DEP_2)
	v_pk_add_f32 v[6:7], v[6:7], v[58:59]
	v_pk_add_f32 v[8:9], v[8:9], v[56:57]
	s_cbranch_scc1 .LBB220_11
; %bb.12:                               ;   in Loop: Header=BB220_5 Depth=1
	s_bitset1_b32 s18, 7
	s_delay_alu instid0(SALU_CYCLE_1)
	s_cmp_ge_i32 s18, s5
	s_barrier_signal -1
	s_barrier_wait -1
	s_cbranch_scc1 .LBB220_4
; %bb.13:                               ;   in Loop: Header=BB220_5 Depth=1
	v_add_nc_u32_e32 v55, s14, v73
	s_delay_alu instid0(VALU_DEP_1) | instskip(SKIP_1) | instid1(SALU_CYCLE_1)
	v_cmp_gt_i32_e64 s1, s6, v55
	s_and_b32 s18, s0, s1
	s_and_saveexec_b32 s1, s18
	s_cbranch_execz .LBB220_15
; %bb.14:                               ;   in Loop: Header=BB220_5 Depth=1
	v_add_nc_u32_e32 v55, v10, v55
	s_delay_alu instid0(VALU_DEP_1)
	v_mad_nc_i64_i32 v[56:57], v55, 36, v[12:13]
	global_load_b32 v55, v[56:57], off offset:4
	s_wait_loadcnt 0x0
	ds_store_b32 v71, v55
.LBB220_15:                             ;   in Loop: Header=BB220_5 Depth=1
	s_or_b32 exec_lo, exec_lo, s1
	s_and_saveexec_b32 s18, vcc_lo
	s_cbranch_execz .LBB220_18
; %bb.16:                               ;   in Loop: Header=BB220_5 Depth=1
	v_or_b32_e32 v55, 4, v54
	s_delay_alu instid0(VALU_DEP_1) | instskip(SKIP_1) | instid1(SALU_CYCLE_1)
	v_cmp_gt_i32_e64 s1, s6, v55
	s_and_b32 s1, s0, s1
	s_and_b32 exec_lo, exec_lo, s1
	s_cbranch_execz .LBB220_18
; %bb.17:                               ;   in Loop: Header=BB220_5 Depth=1
	v_ashrrev_i32_e32 v55, 31, v54
	s_delay_alu instid0(VALU_DEP_1) | instskip(NEXT) | instid1(VALU_DEP_1)
	v_add_nc_u64_e32 v[54:55], v[10:11], v[54:55]
	v_mad_nc_u64_u32 v[56:57], v54, 36, s[2:3]
	s_delay_alu instid0(VALU_DEP_1)
	v_mad_i32_i24 v57, v55, 36, v57
	global_load_b32 v54, v[56:57], off offset:144
	s_wait_loadcnt 0x0
	ds_store_b32 v72, v54
.LBB220_18:                             ;   in Loop: Header=BB220_5 Depth=1
	s_or_b32 exec_lo, exec_lo, s18
	v_dual_mov_b32 v54, v70 :: v_dual_mov_b32 v55, v69
	v_dual_mov_b32 v56, v81 :: v_dual_mov_b32 v57, v79
	;; [unrolled: 1-line block ×3, first 2 shown]
	v_mov_b32_e32 v60, v83
	s_mov_b32 s1, 12
	s_wait_dscnt 0x0
	s_barrier_signal -1
	s_barrier_wait -1
.LBB220_19:                             ;   Parent Loop BB220_5 Depth=1
                                        ; =>  This Inner Loop Header: Depth=2
	ds_load_2addr_b32 v[62:63], v55 offset1:3
	ds_load_2addr_b32 v[64:65], v55 offset0:4 offset1:7
	ds_load_2addr_b32 v[66:67], v55 offset0:1 offset1:2
	ds_load_b32 v61, v54
	ds_load_b32 v102, v56
	ds_load_2addr_b32 v[84:85], v60 offset1:1
	ds_load_2addr_b32 v[86:87], v60 offset0:2 offset1:3
	v_add_nc_u32_e32 v90, 0x1080, v60
	v_add_nc_u32_e32 v92, 0x1088, v60
	;; [unrolled: 1-line block ×6, first 2 shown]
	ds_load_b32 v103, v57
	ds_load_b32 v104, v58
	ds_load_2addr_b32 v[88:89], v55 offset0:5 offset1:6
	ds_load_b32 v105, v59
	ds_load_2addr_b32 v[90:91], v90 offset1:1
	ds_load_2addr_b32 v[92:93], v92 offset1:1
	;; [unrolled: 1-line block ×6, first 2 shown]
	v_dual_add_nc_u32 v60, 16, v60 :: v_dual_add_nc_u32 v58, 4, v58
	v_dual_add_nc_u32 v57, 4, v57 :: v_dual_add_nc_u32 v56, 4, v56
	v_add_nc_u32_e32 v55, 32, v55
	s_wait_dscnt 0x10
	v_lshrrev_b16 v112, 8, v62
	v_ashrrev_i32_e32 v113, 24, v62
	v_bfe_i32 v114, v62, 16, 8
	v_bfe_i32 v115, v62, 0, 8
	s_wait_dscnt 0xb
	v_dual_ashrrev_i32 v139, 24, v63 :: v_dual_lshrrev_b32 v62, 8, v84
	v_dual_ashrrev_i32 v120, 24, v66 :: v_dual_bitop2_b32 v116, 15, v84 bitop3:0x40
	v_bfe_i32 v112, v112, 0, 8
	v_bfe_i32 v140, v63, 16, 8
	s_delay_alu instid0(VALU_DEP_4)
	v_and_b32_e32 v184, 15, v62
	s_wait_dscnt 0x9
	v_pk_mul_f16 v103, v61, v103
	v_bfe_i32 v141, v63, 8, 8
	v_bfe_i32 v142, v63, 0, 8
	v_dual_lshrrev_b32 v149, 28, v86 :: v_dual_bitop2_b32 v63, 15, v87 bitop3:0x40
	s_wait_dscnt 0x1
	v_dual_lshrrev_b32 v182, 4, v98 :: v_dual_lshrrev_b32 v183, 28, v98
	v_dual_lshrrev_b32 v193, 28, v99 :: v_dual_bitop2_b32 v186, 15, v90 bitop3:0x40
	v_lshrrev_b32_e32 v192, 4, v99
	v_perm_b32 v116, v184, v116, 0x5040100
	v_perm_b32 v184, v112, v115, 0x5040100
	v_lshrrev_b16 v106, 8, v64
	v_lshrrev_b32_e32 v110, 28, v85
	v_pk_mul_f16 v104, v61, v104
	v_dual_ashrrev_i32 v117, 24, v64 :: v_dual_bitop2_b32 v128, 15, v85 bitop3:0x40
	v_bfe_i32 v118, v64, 16, 8
	v_bfe_i32 v119, v64, 0, 8
	;; [unrolled: 1-line block ×5, first 2 shown]
	v_dual_ashrrev_i32 v123, 24, v88 :: v_dual_ashrrev_i32 v133, 24, v67
	v_bfe_i32 v125, v88, 0, 8
	v_bfe_u32 v64, v84, 4, 4
	v_dual_lshrrev_b32 v126, 28, v84 :: v_dual_ashrrev_i32 v136, 24, v89
	v_bfe_u32 v127, v84, 20, 4
	v_bfe_u32 v132, v85, 4, 4
	v_bfe_i32 v134, v67, 16, 8
	v_bfe_i32 v135, v67, 8, 8
	;; [unrolled: 1-line block ×6, first 2 shown]
	v_dual_ashrrev_i32 v151, 24, v65 :: v_dual_bitop2_b32 v143, 15, v86 bitop3:0x40
	v_lshrrev_b32_e32 v156, 28, v87
	v_bfe_i32 v152, v65, 16, 8
	v_bfe_i32 v153, v65, 8, 8
	;; [unrolled: 1-line block ×3, first 2 shown]
	v_bfe_u32 v65, v87, 4, 4
	v_dual_lshrrev_b32 v160, 28, v91 :: v_dual_bitop2_b32 v163, 15, v94 bitop3:0x40
	v_bfe_u32 v162, v94, 20, 4
	v_bfe_u32 v164, v94, 8, 4
	;; [unrolled: 1-line block ×6, first 2 shown]
	v_dual_lshrrev_b32 v94, 28, v94 :: v_dual_bitop2_b32 v170, 15, v95 bitop3:0x40
	v_bfe_u32 v169, v95, 20, 4
	v_bfe_u32 v171, v95, 8, 4
	;; [unrolled: 1-line block ×6, first 2 shown]
	v_dual_lshrrev_b32 v95, 28, v95 :: v_dual_bitop2_b32 v176, 15, v96 bitop3:0x40
	v_bfe_u32 v180, v98, 24, 4
	v_and_b32_e32 v181, 0xf0f0f0f, v98
	v_bfe_u32 v185, v90, 8, 4
	v_bfe_u32 v187, v98, 16, 4
	s_wait_dscnt 0x0
	v_dual_lshrrev_b32 v208, 4, v100 :: v_dual_bitop2_b32 v188, 15, v98 bitop3:0x40
	v_bfe_u32 v189, v98, 20, 4
	v_bfe_u32 v98, v98, 4, 4
	;; [unrolled: 1-line block ×3, first 2 shown]
	v_and_b32_e32 v191, 0xf0f0f0f, v99
	v_bfe_u32 v194, v99, 16, 4
	v_dual_lshrrev_b32 v197, 28, v90 :: v_dual_bitop2_b32 v195, 15, v99 bitop3:0x40
	v_bfe_u32 v196, v90, 4, 4
	v_bfe_u32 v198, v90, 20, 4
	v_dual_lshrrev_b32 v209, 28, v100 :: v_dual_bitop2_b32 v199, 15, v91 bitop3:0x40
	v_bfe_u32 v200, v91, 8, 4
	v_bfe_u32 v203, v91, 4, 4
	;; [unrolled: 1-line block ×4, first 2 shown]
	v_dual_lshrrev_b32 v218, 4, v101 :: v_dual_bitop2_b32 v211, 15, v100 bitop3:0x40
	v_bfe_u32 v213, v96, 4, 4
	v_dual_lshrrev_b32 v214, 28, v96 :: v_dual_lshrrev_b32 v219, 28, v101
	v_bfe_u32 v216, v101, 24, 4
	v_and_b32_e32 v217, 0xf0f0f0f, v101
	v_mul_i32_i24_e32 v221, v142, v63
	v_bfe_u32 v222, v97, 8, 4
	v_dual_lshrrev_b32 v241, 28, v93 :: v_dual_bitop2_b32 v226, 15, v92 bitop3:0x40
	v_bfe_u32 v234, v101, 16, 4
	v_and_b32_e32 v235, 15, v101
	v_bfe_u32 v237, v97, 4, 4
	v_bfe_u32 v239, v93, 4, 4
	v_cvt_f32_f16_e32 v63, v103
	v_lshrrev_b32_e32 v103, 16, v103
	v_bfe_u32 v244, v101, 20, 4
	v_bfe_u32 v101, v101, 4, 4
	v_lshrrev_b16 v182, 8, v182
	v_mul_i32_i24_e32 v186, v115, v186
	v_pk_mul_lo_u16 v116, v116, v184
	v_bfe_u32 v107, v84, 16, 4
	v_bfe_u32 v108, v84, 24, 4
	v_pk_mul_f16 v102, v61, v102
	v_pk_mul_f16 v61, v61, v105
	v_bfe_u32 v105, v90, 16, 4
	v_bfe_u32 v158, v90, 24, 4
	v_mul_i32_i24_e32 v204, v119, v64
	v_mul_i32_i24_e32 v127, v118, v127
	;; [unrolled: 1-line block ×7, first 2 shown]
	v_cvt_f32_f16_e32 v64, v104
	v_lshrrev_b32_e32 v104, 16, v104
	v_lshrrev_b16 v181, 8, v181
	v_mul_i32_i24_e32 v163, v115, v163
	v_mul_i32_i24_e32 v167, v119, v167
	;; [unrolled: 1-line block ×7, first 2 shown]
	v_lshrrev_b16 v192, 8, v192
	v_mul_i32_i24_e32 v174, v125, v174
	v_mul_i32_i24_e32 v95, v123, v95
	;; [unrolled: 1-line block ×10, first 2 shown]
	v_lshrrev_b16 v199, 8, v208
	v_mul_i32_i24_e32 v176, v67, v176
	v_mul_i32_i24_e32 v200, v67, v211
	;; [unrolled: 1-line block ×7, first 2 shown]
	v_cvt_f32_f16_e32 v67, v103
	v_mul_i32_i24_e32 v103, v154, v239
	v_mul_i32_i24_e32 v101, v154, v101
	v_and_b32_e32 v154, 15, v182
	v_mad_i32_i24 v182, v112, v185, v186
	v_bfe_i32 v185, v116, 0, 16
	v_dual_ashrrev_i32 v116, 16, v116 :: v_dual_bitop2_b32 v186, 15, v199 bitop3:0x40
	v_bfe_u32 v84, v84, 12, 4
	v_mul_i32_i24_e32 v107, v114, v107
	v_mul_i32_i24_e32 v108, v113, v108
	v_bfe_i32 v106, v106, 0, 8
	v_bfe_u32 v90, v90, 12, 4
	v_mul_i32_i24_e32 v105, v114, v105
	v_mul_i32_i24_e32 v158, v113, v158
	;; [unrolled: 1-line block ×4, first 2 shown]
	v_mad_i32_i24 v163, v112, v164, v163
	v_and_b32_e32 v164, 0xffff, v181
	v_dual_add_nc_u32 v116, v116, v185 :: v_dual_bitop2_b32 v181, 15, v192 bitop3:0x40
	v_mul_i32_i24_e32 v168, v106, v168
	v_mul_i32_i24_e32 v84, v106, v84
	;; [unrolled: 1-line block ×3, first 2 shown]
	v_mad_i32_i24 v98, v188, v115, v98
	v_add3_u32 v115, v163, v165, v166
	v_add3_u32 v105, v182, v105, v158
	;; [unrolled: 1-line block ×3, first 2 shown]
	v_bfe_u32 v129, v85, 8, 4
	v_mad_i32_i24 v108, v180, v113, v183
	v_add3_u32 v113, v115, v168, v167
	v_add3_u32 v90, v105, v90, v119
	;; [unrolled: 1-line block ×3, first 2 shown]
	v_bfe_u32 v130, v85, 24, 4
	v_bfe_u32 v131, v85, 16, 4
	;; [unrolled: 1-line block ×4, first 2 shown]
	v_mul_i32_i24_e32 v128, v66, v128
	v_mul_i32_i24_e32 v129, v122, v129
	;; [unrolled: 1-line block ×4, first 2 shown]
	v_add3_u32 v94, v113, v162, v94
	v_add3_u32 v90, v90, v118, v117
	;; [unrolled: 1-line block ×3, first 2 shown]
	v_bfe_u32 v109, v85, 20, 4
	v_bfe_i32 v124, v88, 8, 8
	v_bfe_u32 v85, v85, 12, 4
	v_bfe_u32 v159, v91, 20, 4
	;; [unrolled: 1-line block ×3, first 2 shown]
	v_mul_i32_i24_e32 v131, v121, v131
	v_mul_i32_i24_e32 v130, v120, v130
	v_mul_i32_i24_e32 v172, v121, v172
	v_mul_i32_i24_e32 v173, v120, v173
	v_mul_i32_i24_e32 v194, v121, v194
	v_mul_i32_i24_e32 v190, v120, v190
	v_mul_i32_i24_e32 v121, v121, v202
	v_mul_i32_i24_e32 v120, v120, v201
	v_add3_u32 v94, v94, v171, v170
	v_add3_u32 v90, v90, v197, v196
	;; [unrolled: 1-line block ×3, first 2 shown]
	v_bfe_i32 v88, v88, 16, 8
	v_mul_i32_i24_e32 v85, v124, v85
	v_mul_i32_i24_e32 v175, v124, v175
	;; [unrolled: 1-line block ×3, first 2 shown]
	v_add3_u32 v94, v94, v172, v173
	v_add3_u32 v90, v90, v121, v120
	;; [unrolled: 1-line block ×3, first 2 shown]
	v_bfe_u32 v144, v86, 8, 4
	v_bfe_u32 v177, v96, 8, 4
	v_mul_i32_i24_e32 v109, v88, v109
	v_bfe_u32 v227, v92, 8, 4
	v_mul_i32_i24_e32 v159, v88, v159
	v_mul_i32_i24_e32 v169, v88, v169
	v_add3_u32 v94, v94, v174, v175
	v_add3_u32 v90, v90, v198, v91
	;; [unrolled: 1-line block ×3, first 2 shown]
	v_bfe_u32 v145, v86, 24, 4
	v_bfe_u32 v146, v86, 16, 4
	;; [unrolled: 1-line block ×8, first 2 shown]
	v_mul_i32_i24_e32 v144, v135, v144
	v_mul_i32_i24_e32 v177, v135, v177
	;; [unrolled: 1-line block ×3, first 2 shown]
	v_lshrrev_b16 v209, 8, v217
	v_mul_i32_i24_e32 v217, v135, v227
	v_add3_u32 v91, v94, v169, v95
	v_add3_u32 v90, v90, v159, v123
	;; [unrolled: 1-line block ×3, first 2 shown]
	v_bfe_u32 v147, v86, 4, 4
	v_bfe_u32 v148, v86, 12, 4
	v_and_b32_e32 v207, 0xf0f0f0f, v100
	v_bfe_u32 v212, v96, 12, 4
	v_bfe_u32 v215, v100, 20, 4
	;; [unrolled: 1-line block ×5, first 2 shown]
	v_mul_i32_i24_e32 v146, v134, v146
	v_mul_i32_i24_e32 v145, v133, v145
	v_lshrrev_b16 v191, 8, v191
	v_mul_i32_i24_e32 v178, v134, v178
	v_mul_i32_i24_e32 v179, v133, v179
	;; [unrolled: 1-line block ×6, first 2 shown]
	v_add3_u32 v91, v91, v177, v176
	v_add3_u32 v90, v90, v217, v160
	;; [unrolled: 1-line block ×3, first 2 shown]
	v_bfe_u32 v86, v86, 20, 4
	v_bfe_u32 v96, v96, 20, 4
	v_dual_lshrrev_b32 v232, 28, v92 :: v_dual_bitop2_b32 v220, 15, v93 bitop3:0x40
	v_bfe_u32 v92, v92, 20, 4
	v_mul_i32_i24_e32 v147, v89, v147
	v_mul_i32_i24_e32 v148, v138, v148
	;; [unrolled: 1-line block ×3, first 2 shown]
	v_lshrrev_b16 v193, 8, v207
	v_mul_i32_i24_e32 v205, v138, v212
	v_mul_i32_i24_e32 v100, v89, v100
	v_lshrrev_b16 v210, 8, v218
	v_mul_i32_i24_e32 v89, v89, v230
	v_mul_i32_i24_e32 v218, v138, v231
	v_and_b32_e32 v184, 0xffff, v191
	v_and_b32_e32 v105, 0xffff, v154
	v_add3_u32 v91, v91, v178, v179
	v_add3_u32 v90, v90, v134, v133
	;; [unrolled: 1-line block ×3, first 2 shown]
	v_bfe_u32 v150, v87, 8, 4
	v_dual_lshrrev_b32 v238, 28, v97 :: v_dual_bitop2_b32 v223, 15, v97 bitop3:0x40
	v_bfe_u32 v233, v93, 8, 4
	v_mul_i32_i24_e32 v86, v137, v86
	v_mul_i32_i24_e32 v149, v136, v149
	;; [unrolled: 1-line block ×6, first 2 shown]
	v_and_b32_e32 v191, 0xffff, v193
	v_mad_i32_i24 v114, v187, v114, v189
	v_mul_i32_i24_e32 v112, v164, v112
	v_mul_i32_i24_e32 v107, v122, v184
	v_and_b32_e32 v113, 0xffff, v181
	v_mul_i32_i24_e32 v94, v105, v106
	v_add3_u32 v91, v91, v203, v205
	v_add3_u32 v89, v90, v89, v218
	;; [unrolled: 1-line block ×3, first 2 shown]
	v_bfe_u32 v111, v87, 24, 4
	v_bfe_u32 v155, v87, 12, 4
	;; [unrolled: 1-line block ×7, first 2 shown]
	v_mul_i32_i24_e32 v150, v141, v150
	v_bfe_u32 v236, v97, 12, 4
	v_bfe_u32 v97, v97, 20, 4
	;; [unrolled: 1-line block ×4, first 2 shown]
	v_cvt_f32_f16_e32 v62, v102
	v_lshrrev_b32_e32 v102, 16, v102
	v_bfe_u32 v93, v93, 16, 4
	v_mul_i32_i24_e32 v195, v66, v195
	v_mul_i32_i24_e32 v207, v137, v215
	;; [unrolled: 1-line block ×5, first 2 shown]
	v_dual_add_nc_u32 v59, 4, v59 :: v_dual_bitop2_b32 v192, 15, v210 bitop3:0x40
	v_and_b32_e32 v193, 0xffff, v209
	v_mul_i32_i24_e32 v115, v135, v191
	v_and_b32_e32 v116, 0xffff, v186
	v_add3_u32 v108, v108, v190, v125
	v_add3_u32 v85, v114, v194, v88
	v_mul_i32_i24_e32 v95, v124, v113
	v_add3_u32 v90, v112, v94, v107
	v_add3_u32 v91, v91, v96, v206
	;; [unrolled: 1-line block ×4, first 2 shown]
	v_mul_i32_i24_e32 v87, v140, v87
	v_mul_i32_i24_e32 v111, v139, v111
	;; [unrolled: 1-line block ×4, first 2 shown]
	v_cvt_f32_f16_e32 v65, v61
	v_lshrrev_b32_e32 v61, 16, v61
	v_mul_i32_i24_e32 v214, v140, v225
	v_mul_i32_i24_e32 v215, v139, v224
	;; [unrolled: 1-line block ×6, first 2 shown]
	v_cvt_f32_f16_e32 v66, v102
	v_mul_i32_i24_e32 v93, v140, v93
	v_mul_i32_i24_e32 v102, v139, v161
	;; [unrolled: 1-line block ×7, first 2 shown]
	v_and_b32_e32 v118, 0xffff, v192
	v_add3_u32 v88, v98, v195, v99
	v_mul_i32_i24_e32 v98, v138, v116
	v_add3_u32 v105, v108, v202, v208
	v_add3_u32 v85, v85, v201, v207
	;; [unrolled: 1-line block ×6, first 2 shown]
	v_mul_i32_i24_e32 v155, v153, v155
	v_mul_i32_i24_e32 v142, v142, v235
	v_mul_i32_i24_e32 v223, v153, v236
	v_mul_i32_i24_e32 v139, v153, v240
	v_mul_i32_i24_e32 v99, v153, v118
	v_add3_u32 v88, v88, v200, v100
	v_add3_u32 v86, v105, v216, v151
	;; [unrolled: 1-line block ×12, first 2 shown]
	v_cvt_f32_f16_e32 v85, v61
	v_add3_u32 v61, v87, v92, v86
	v_add3_u32 v86, v88, v97, v224
	;; [unrolled: 1-line block ×4, first 2 shown]
	v_cvt_f32_f16_e32 v84, v104
	v_cvt_f32_i32_e32 v87, v61
	v_cvt_f32_i32_e32 v86, v86
	;; [unrolled: 1-line block ×4, first 2 shown]
	v_add_nc_u32_e32 v54, 4, v54
	s_add_co_i32 s1, s1, 4
	v_pk_fma_f32 v[64:65], v[64:65], v[86:87], v[84:85]
	s_cmp_lt_u32 s1, 28
	v_pk_fma_f32 v[62:63], v[62:63], v[88:89], v[66:67]
	s_delay_alu instid0(VALU_DEP_2) | instskip(NEXT) | instid1(VALU_DEP_2)
	v_pk_add_f32 v[6:7], v[6:7], v[64:65]
	v_pk_add_f32 v[8:9], v[8:9], v[62:63]
	s_cbranch_scc1 .LBB220_19
; %bb.20:                               ;   in Loop: Header=BB220_5 Depth=1
	s_barrier_signal -1
	s_barrier_wait -1
	s_branch .LBB220_4
.LBB220_21:
	v_mov_b32_e32 v8, 0
	s_delay_alu instid0(VALU_DEP_1)
	v_dual_mov_b32 v9, v8 :: v_dual_mov_b32 v6, v8
	v_mov_b32_e32 v7, v8
.LBB220_22:
	s_mul_i32 s0, s10, s7
	s_wait_loadcnt 0x0
	v_cmp_gt_i32_e32 vcc_lo, s0, v1
	s_wait_xcnt 0x0
	s_and_saveexec_b32 s0, vcc_lo
	s_cbranch_execz .LBB220_31
; %bb.23:
	v_mul_lo_u32 v0, v1, s9
	v_add_nc_u32_e32 v1, s11, v5
	s_mov_b32 s0, exec_lo
	s_delay_alu instid0(VALU_DEP_1)
	v_cmpx_gt_u32_e64 s9, v1
	s_cbranch_execz .LBB220_25
; %bb.24:
	v_bfe_u32 v2, v8, 16, 1
	v_cmp_o_f32_e32 vcc_lo, v8, v8
	v_add_nc_u32_e32 v3, v0, v1
	s_delay_alu instid0(VALU_DEP_3) | instskip(NEXT) | instid1(VALU_DEP_1)
	v_add3_u32 v2, v8, v2, 0x7fff
	v_lshrrev_b32_e32 v2, 16, v2
	s_delay_alu instid0(VALU_DEP_1)
	v_cndmask_b32_e32 v2, 0x7fc0, v2, vcc_lo
	global_store_b16 v3, v2, s[12:13] scale_offset
.LBB220_25:
	s_wait_xcnt 0x0
	s_or_b32 exec_lo, exec_lo, s0
	v_add_nc_u32_e32 v2, 32, v1
	s_mov_b32 s0, exec_lo
	s_delay_alu instid0(VALU_DEP_1)
	v_cmpx_gt_u32_e64 s9, v2
	s_cbranch_execz .LBB220_27
; %bb.26:
	v_bfe_u32 v3, v9, 16, 1
	v_cmp_o_f32_e32 vcc_lo, v9, v9
	v_add_nc_u32_e32 v2, v0, v2
	s_delay_alu instid0(VALU_DEP_3) | instskip(NEXT) | instid1(VALU_DEP_1)
	v_add3_u32 v3, v9, v3, 0x7fff
	v_lshrrev_b32_e32 v3, 16, v3
	s_delay_alu instid0(VALU_DEP_1)
	v_cndmask_b32_e32 v3, 0x7fc0, v3, vcc_lo
	global_store_b16 v2, v3, s[12:13] scale_offset
.LBB220_27:
	s_wait_xcnt 0x0
	s_or_b32 exec_lo, exec_lo, s0
	;; [unrolled: 18-line block ×3, first 2 shown]
	v_add_nc_u32_e32 v1, 0x60, v1
	s_delay_alu instid0(VALU_DEP_1)
	v_cmp_gt_u32_e32 vcc_lo, s9, v1
	s_and_b32 exec_lo, exec_lo, vcc_lo
	s_cbranch_execz .LBB220_31
; %bb.30:
	v_bfe_u32 v2, v7, 16, 1
	v_cmp_o_f32_e32 vcc_lo, v7, v7
	v_add_nc_u32_e32 v0, v0, v1
	s_delay_alu instid0(VALU_DEP_3) | instskip(NEXT) | instid1(VALU_DEP_1)
	v_add3_u32 v2, v7, v2, 0x7fff
	v_lshrrev_b32_e32 v2, 16, v2
	s_delay_alu instid0(VALU_DEP_1)
	v_cndmask_b32_e32 v2, 0x7fc0, v2, vcc_lo
	global_store_b16 v0, v2, s[12:13] scale_offset
.LBB220_31:
	s_sendmsg sendmsg(MSG_DEALLOC_VGPRS)
	s_endpgm
	.section	.rodata,"a",@progbits
	.p2align	6, 0x0
	.amdhsa_kernel _ZL8moe_q4_1IN3c108BFloat16ELb1EEvPKvS3_PT_PKiS7_S7_iiiiiii
		.amdhsa_group_segment_fixed_size 22272
		.amdhsa_private_segment_fixed_size 0
		.amdhsa_kernarg_size 76
		.amdhsa_user_sgpr_count 2
		.amdhsa_user_sgpr_dispatch_ptr 0
		.amdhsa_user_sgpr_queue_ptr 0
		.amdhsa_user_sgpr_kernarg_segment_ptr 1
		.amdhsa_user_sgpr_dispatch_id 0
		.amdhsa_user_sgpr_kernarg_preload_length 0
		.amdhsa_user_sgpr_kernarg_preload_offset 0
		.amdhsa_user_sgpr_private_segment_size 0
		.amdhsa_wavefront_size32 1
		.amdhsa_uses_dynamic_stack 0
		.amdhsa_enable_private_segment 0
		.amdhsa_system_sgpr_workgroup_id_x 1
		.amdhsa_system_sgpr_workgroup_id_y 1
		.amdhsa_system_sgpr_workgroup_id_z 0
		.amdhsa_system_sgpr_workgroup_info 0
		.amdhsa_system_vgpr_workitem_id 1
		.amdhsa_next_free_vgpr 246
		.amdhsa_next_free_sgpr 21
		.amdhsa_named_barrier_count 0
		.amdhsa_reserve_vcc 1
		.amdhsa_float_round_mode_32 0
		.amdhsa_float_round_mode_16_64 0
		.amdhsa_float_denorm_mode_32 3
		.amdhsa_float_denorm_mode_16_64 3
		.amdhsa_fp16_overflow 0
		.amdhsa_memory_ordered 1
		.amdhsa_forward_progress 1
		.amdhsa_inst_pref_size 69
		.amdhsa_round_robin_scheduling 0
		.amdhsa_exception_fp_ieee_invalid_op 0
		.amdhsa_exception_fp_denorm_src 0
		.amdhsa_exception_fp_ieee_div_zero 0
		.amdhsa_exception_fp_ieee_overflow 0
		.amdhsa_exception_fp_ieee_underflow 0
		.amdhsa_exception_fp_ieee_inexact 0
		.amdhsa_exception_int_div_zero 0
	.end_amdhsa_kernel
	.section	.text._ZL8moe_q4_1IN3c108BFloat16ELb1EEvPKvS3_PT_PKiS7_S7_iiiiiii,"axG",@progbits,_ZL8moe_q4_1IN3c108BFloat16ELb1EEvPKvS3_PT_PKiS7_S7_iiiiiii,comdat
.Lfunc_end220:
	.size	_ZL8moe_q4_1IN3c108BFloat16ELb1EEvPKvS3_PT_PKiS7_S7_iiiiiii, .Lfunc_end220-_ZL8moe_q4_1IN3c108BFloat16ELb1EEvPKvS3_PT_PKiS7_S7_iiiiiii
                                        ; -- End function
	.set _ZL8moe_q4_1IN3c108BFloat16ELb1EEvPKvS3_PT_PKiS7_S7_iiiiiii.num_vgpr, 246
	.set _ZL8moe_q4_1IN3c108BFloat16ELb1EEvPKvS3_PT_PKiS7_S7_iiiiiii.num_agpr, 0
	.set _ZL8moe_q4_1IN3c108BFloat16ELb1EEvPKvS3_PT_PKiS7_S7_iiiiiii.numbered_sgpr, 21
	.set _ZL8moe_q4_1IN3c108BFloat16ELb1EEvPKvS3_PT_PKiS7_S7_iiiiiii.num_named_barrier, 0
	.set _ZL8moe_q4_1IN3c108BFloat16ELb1EEvPKvS3_PT_PKiS7_S7_iiiiiii.private_seg_size, 0
	.set _ZL8moe_q4_1IN3c108BFloat16ELb1EEvPKvS3_PT_PKiS7_S7_iiiiiii.uses_vcc, 1
	.set _ZL8moe_q4_1IN3c108BFloat16ELb1EEvPKvS3_PT_PKiS7_S7_iiiiiii.uses_flat_scratch, 0
	.set _ZL8moe_q4_1IN3c108BFloat16ELb1EEvPKvS3_PT_PKiS7_S7_iiiiiii.has_dyn_sized_stack, 0
	.set _ZL8moe_q4_1IN3c108BFloat16ELb1EEvPKvS3_PT_PKiS7_S7_iiiiiii.has_recursion, 0
	.set _ZL8moe_q4_1IN3c108BFloat16ELb1EEvPKvS3_PT_PKiS7_S7_iiiiiii.has_indirect_call, 0
	.section	.AMDGPU.csdata,"",@progbits
; Kernel info:
; codeLenInByte = 8740
; TotalNumSgprs: 23
; NumVgprs: 246
; ScratchSize: 0
; MemoryBound: 0
; FloatMode: 240
; IeeeMode: 1
; LDSByteSize: 22272 bytes/workgroup (compile time only)
; SGPRBlocks: 0
; VGPRBlocks: 15
; NumSGPRsForWavesPerEU: 23
; NumVGPRsForWavesPerEU: 246
; NamedBarCnt: 0
; Occupancy: 4
; WaveLimiterHint : 1
; COMPUTE_PGM_RSRC2:SCRATCH_EN: 0
; COMPUTE_PGM_RSRC2:USER_SGPR: 2
; COMPUTE_PGM_RSRC2:TRAP_HANDLER: 0
; COMPUTE_PGM_RSRC2:TGID_X_EN: 1
; COMPUTE_PGM_RSRC2:TGID_Y_EN: 1
; COMPUTE_PGM_RSRC2:TGID_Z_EN: 0
; COMPUTE_PGM_RSRC2:TIDIG_COMP_CNT: 1
	.section	.text._ZL8moe_q5_0IN3c108BFloat16ELb0EEvPKvS3_PT_PKiS7_S7_iiiiiii,"axG",@progbits,_ZL8moe_q5_0IN3c108BFloat16ELb0EEvPKvS3_PT_PKiS7_S7_iiiiiii,comdat
	.globl	_ZL8moe_q5_0IN3c108BFloat16ELb0EEvPKvS3_PT_PKiS7_S7_iiiiiii ; -- Begin function _ZL8moe_q5_0IN3c108BFloat16ELb0EEvPKvS3_PT_PKiS7_S7_iiiiiii
	.p2align	8
	.type	_ZL8moe_q5_0IN3c108BFloat16ELb0EEvPKvS3_PT_PKiS7_S7_iiiiiii,@function
_ZL8moe_q5_0IN3c108BFloat16ELb0EEvPKvS3_PT_PKiS7_S7_iiiiiii: ; @_ZL8moe_q5_0IN3c108BFloat16ELb0EEvPKvS3_PT_PKiS7_S7_iiiiiii
; %bb.0:
	s_load_b128 s[4:7], s[0:1], 0x18
	s_bfe_u32 s2, ttmp6, 0x40010
	s_bfe_u32 s8, ttmp6, 0x40004
	s_add_co_i32 s2, s2, 1
	s_delay_alu instid0(SALU_CYCLE_1)
	s_mul_i32 s3, ttmp7, s2
	s_getreg_b32 s2, hwreg(HW_REG_IB_STS2, 6, 4)
	s_add_co_i32 s8, s8, s3
	s_cmp_eq_u32 s2, 0
	s_cselect_b32 s3, ttmp7, s8
	s_wait_kmcnt 0x0
	s_load_b32 s12, s[6:7], s3 offset:0x0 scale_offset
	s_wait_kmcnt 0x0
	s_cmp_gt_u32 s12, 0xff
	s_cbranch_scc1 .LBB221_30
; %bb.1:
	s_load_b64 s[6:7], s[0:1], 0x28
	s_lshl_b32 s3, s3, 3
	s_wait_kmcnt 0x0
	s_load_b32 s6, s[6:7], 0x0
	s_wait_kmcnt 0x0
	s_cmp_gt_u32 s3, s6
	s_cbranch_scc1 .LBB221_30
; %bb.2:
	v_bfe_u32 v20, v0, 10, 10
	s_and_b32 s13, ttmp6, 15
	v_and_b32_e32 v3, 0x3ff, v0
	s_delay_alu instid0(VALU_DEP_2) | instskip(SKIP_1) | instid1(SALU_CYCLE_1)
	v_dual_mov_b32 v17, 0 :: v_dual_add_nc_u32 v1, s3, v20
	s_bfe_u32 s3, ttmp6, 0x4000c
	s_add_co_i32 s3, s3, 1
	s_delay_alu instid0(VALU_DEP_1)
	v_dual_mov_b32 v16, v17 :: v_dual_mov_b32 v45, v17
	global_load_b32 v1, v1, s[4:5] scale_offset
	s_clause 0x2
	s_load_b64 s[10:11], s[0:1], 0x30
	s_load_b64 s[8:9], s[0:1], 0x10
	s_load_b128 s[4:7], s[0:1], 0x3c
	s_mul_i32 s3, ttmp9, s3
	v_mov_b32_e32 v57, v17
	s_add_co_i32 s13, s13, s3
	s_cmp_eq_u32 s2, 0
	s_cselect_b32 s2, ttmp9, s13
	s_mov_b32 s13, 0
	s_lshl_b32 s18, s2, 7
	s_wait_kmcnt 0x0
	s_cmp_lt_i32 s11, 32
	s_cbranch_scc1 .LBB221_21
; %bb.3:
	s_load_b128 s[0:3], s[0:1], 0x0
	s_mul_i32 s16, s12, s10
	s_abs_i32 s12, s7
	s_ashr_i32 s17, s16, 31
	s_cvt_f32_u32 s20, s12
	v_dual_lshlrev_b32 v24, 2, v3 :: v_dual_lshlrev_b32 v4, 3, v3
	s_wait_loadcnt 0x0
	v_sub_nc_u32_e32 v12, 0, v1
	v_rcp_iflag_f32_e32 v7, s20
	v_bfe_u32 v25, v0, 3, 7
	v_and_b32_e32 v8, 12, v24
	s_ashr_i32 s14, s11, 31
	v_max_i32_e32 v16, v1, v12
	s_lshr_b32 s10, s14, 27
	v_lshl_add_u32 v18, v20, 2, v25
	v_and_b32_e32 v12, 7, v0
	s_add_co_i32 s19, s11, s10
	v_mad_u32_u24 v5, 0x104, v20, v4
	s_ashr_i32 s10, s19, 5
	v_add_nc_u32_e32 v31, 64, v18
	s_wait_kmcnt 0x0
	s_add_nc_u64 s[16:17], s[0:1], s[16:17]
	v_readfirstlane_b32 s0, v7
	s_sub_co_i32 s1, 0, s12
	v_lshlrev_b32_e32 v28, 2, v12
	v_mul_lo_u32 v2, s10, v20
	s_lshl_b32 s20, s10, 3
	s_mul_f32 s0, s0, 0x4f7ffffe
	v_mov_b32_e32 v9, 0
	v_and_b32_e32 v22, 0x1ffc, v18
	v_add_nc_u32_e32 v26, 32, v18
	s_cvt_u32_f32 s0, s0
	v_mul_lo_u32 v14, s10, v18
	v_lshl_add_u32 v47, v20, 7, 0x9280
	v_add3_u32 v40, v22, v28, 0x8200
	s_mul_i32 s1, s1, s0
	v_add_nc_u32_e32 v4, s20, v2
	s_mul_hi_u32 s1, s0, s1
	v_and_b32_e32 v30, 0x3ffc, v26
	s_add_co_i32 s0, s0, s1
	v_and_b32_e32 v22, 0x3ffc, v31
	v_mul_hi_u32 v17, v16, s0
	v_dual_add_nc_u32 v10, s20, v4 :: v_dual_lshlrev_b32 v45, 5, v26
	v_add3_u32 v44, v30, v28, 0x8200
	s_delay_alu instid0(VALU_DEP_4)
	v_add3_u32 v46, v22, v28, 0x8200
	v_lshl_add_u32 v49, v20, 4, 0x9680
	v_dual_mov_b32 v57, v9 :: v_dual_add_nc_u32 v32, 0x60, v3
	v_bfe_u32 v6, v0, 2, 8
	v_and_b32_e32 v36, 0xfc, v0
	s_ashr_i32 s15, s5, 31
	v_mul_lo_u32 v29, v17, s12
	v_lshlrev_b32_e32 v42, 5, v18
	v_add_nc_u32_e32 v18, 0x60, v18
	v_add_nc_u32_e32 v26, 1, v17
	s_lshr_b32 s14, s15, 27
	s_and_not1_b32 s19, s19, 31
	s_add_co_i32 s5, s5, s14
	v_and_b32_e32 v22, 0x3ffc, v18
	s_ashr_i32 s5, s5, 5
	s_mul_i32 s14, s10, s18
	s_movk_i32 s1, 0x80
	v_sub_nc_u32_e32 v16, v16, v29
	v_add3_u32 v50, v22, v28, 0x8200
	v_xor_b32_e32 v22, s7, v1
	s_ashr_i32 s15, s14, 31
	v_add_nc_u32_e32 v11, 0x1860, v5
	v_subrev_nc_u32_e32 v29, s12, v16
	v_cmp_le_u32_e32 vcc_lo, s12, v16
	v_add_nc_u32_e32 v13, 0x2080, v5
	v_add_nc_u32_e32 v15, 0x28a0, v5
	v_dual_lshlrev_b32 v48, 5, v31 :: v_dual_bitop2_b32 v28, 31, v0 bitop3:0x40
	v_dual_cndmask_b32 v16, v16, v29 :: v_dual_cndmask_b32 v17, v17, v26
	v_add_nc_u32_e32 v19, 0x30c0, v5
	v_ashrrev_i32_e32 v29, 31, v22
	s_delay_alu instid0(VALU_DEP_4) | instskip(NEXT) | instid1(VALU_DEP_4)
	v_lshl_or_b32 v51, v28, 2, v47
	v_cmp_le_u32_e32 vcc_lo, s12, v16
	v_add_nc_u32_e32 v26, 1, v17
	v_add_nc_u32_e32 v7, 0x1040, v5
	v_and_b32_e32 v16, 28, v24
	v_add_nc_u32_e32 v21, 0x38e0, v5
	s_delay_alu instid0(VALU_DEP_4) | instskip(SKIP_3) | instid1(VALU_DEP_4)
	v_dual_cndmask_b32 v22, v17, v26 :: v_dual_add_nc_u32 v23, 0x4100, v5
	v_dual_mov_b32 v17, v9 :: v_dual_lshlrev_b32 v52, 5, v18
	v_add_nc_u32_e32 v18, s20, v10
	v_cmp_gt_u32_e32 vcc_lo, 4, v3
	v_dual_add_nc_u32 v56, v49, v24 :: v_dual_bitop2_b32 v26, v22, v29 bitop3:0x14
	s_delay_alu instid0(VALU_DEP_3) | instskip(SKIP_1) | instid1(VALU_DEP_3)
	v_dual_add_nc_u32 v34, 32, v3 :: v_dual_add_nc_u32 v20, s20, v18
	v_add_nc_u64_e32 v[30:31], s[2:3], v[16:17]
	v_sub_nc_u32_e32 v28, v26, v29
	v_and_b32_e32 v17, 0x1fc, v32
	v_add_nc_u32_e32 v27, 0x4920, v5
	v_dual_add_nc_u32 v22, s20, v20 :: v_dual_add_nc_u32 v29, 64, v3
	s_delay_alu instid0(VALU_DEP_4) | instskip(SKIP_2) | instid1(VALU_DEP_4)
	v_cmp_gt_i32_e64 s0, s4, v28
	v_mul_lo_u32 v28, v28, s5
	v_add_nc_u32_e32 v33, 0x5140, v5
	v_add_nc_u32_e32 v24, s20, v22
	v_lshrrev_b32_e32 v59, 3, v34
	v_and_b32_e32 v29, 0x1fc, v29
	v_and_b32_e32 v34, 0x1fc, v34
	v_add_nc_u32_e32 v35, 0x5960, v5
	v_dual_add_nc_u32 v26, s20, v24 :: v_dual_lshlrev_b32 v16, 5, v3
	v_add_nc_u32_e32 v69, v40, v42
	v_add_nc_u32_e32 v37, 0x6180, v5
	;; [unrolled: 1-line block ×3, first 2 shown]
	s_delay_alu instid0(VALU_DEP_4) | instskip(SKIP_1) | instid1(VALU_DEP_2)
	v_dual_add_nc_u32 v32, s20, v26 :: v_dual_add_nc_u32 v17, v16, v17
	v_dual_add_nc_u32 v38, v16, v29 :: v_dual_add_nc_u32 v53, v16, v34
	;; [unrolled: 1-line block ×3, first 2 shown]
	v_ashrrev_i32_e32 v29, 31, v28
	s_delay_alu instid0(VALU_DEP_3)
	v_add_nc_u32_e32 v61, 0x8a00, v38
	v_add_nc_u32_e32 v65, 0x8a10, v38
	;; [unrolled: 1-line block ×6, first 2 shown]
	v_mul_u32_u24_e32 v58, 0x104, v3
	v_add_nc_u32_e32 v42, s19, v14
	v_dual_add_nc_u32 v36, s20, v34 :: v_dual_add_nc_u32 v72, v50, v52
	v_dual_mov_b32 v45, v9 :: v_dual_add_nc_u32 v60, 0x8e00, v17
	v_add_nc_u32_e32 v71, v46, v48
	s_delay_alu instid0(VALU_DEP_3) | instskip(SKIP_3) | instid1(VALU_DEP_4)
	v_dual_add_nc_u32 v38, s20, v36 :: v_dual_add_nc_u32 v46, s19, v42
	v_add_nc_u32_e32 v62, 0x8600, v53
	v_add_nc_u32_e32 v63, 0x8200, v16
	;; [unrolled: 1-line block ×6, first 2 shown]
	v_mad_u32_u24 v68, 0x104, v3, s1
	s_delay_alu instid0(VALU_DEP_4) | instskip(SKIP_3) | instid1(VALU_DEP_2)
	v_dual_mov_b32 v16, v9 :: v_dual_add_nc_u32 v44, s20, v40
	v_dual_mov_b32 v17, v9 :: v_dual_add_nc_u32 v50, s19, v46
	s_mul_u64 s[14:15], s[14:15], 22
	s_and_b32 s19, vcc_lo, s0
	v_add_nc_u32_e32 v48, s20, v44
	s_add_nc_u64 s[14:15], s[16:17], s[14:15]
	s_mov_b32 s12, s13
	s_branch .LBB221_5
.LBB221_4:                              ;   in Loop: Header=BB221_5 Depth=1
	s_add_co_i32 s12, s12, 8
	s_delay_alu instid0(SALU_CYCLE_1)
	s_cmp_ge_i32 s12, s10
	s_cbranch_scc1 .LBB221_21
.LBB221_5:                              ; =>This Loop Header: Depth=1
                                        ;     Child Loop BB221_11 Depth 2
                                        ;     Child Loop BB221_19 Depth 2
	s_mul_u64 s[16:17], s[12:13], 22
	s_delay_alu instid0(SALU_CYCLE_1) | instskip(NEXT) | instid1(SALU_CYCLE_1)
	s_add_nc_u64 s[16:17], s[14:15], s[16:17]
	v_mad_nc_u64_u32 v[52:53], v6, 22, s[16:17]
	s_delay_alu instid0(VALU_DEP_1)
	v_mad_nc_u64_u32 v[54:55], v2, 22, v[52:53]
	v_mad_nc_u64_u32 v[78:79], v18, 22, v[52:53]
	;; [unrolled: 1-line block ×11, first 2 shown]
	s_clause 0x7
	global_load_b32 v93, v[54:55], off offset:2
	global_load_b32 v94, v[74:75], off offset:2
	;; [unrolled: 1-line block ×8, first 2 shown]
	s_wait_xcnt 0x4
	v_add_nc_u64_e32 v[78:79], v[78:79], v[8:9]
	v_add_nc_u64_e32 v[76:77], v[76:77], v[8:9]
	;; [unrolled: 1-line block ×4, first 2 shown]
	v_mad_nc_u64_u32 v[104:105], v32, 22, v[52:53]
	s_clause 0x3
	global_load_b32 v88, v[78:79], off offset:6
	global_load_b32 v89, v[76:77], off offset:6
	;; [unrolled: 1-line block ×4, first 2 shown]
	s_wait_xcnt 0x0
	v_add_nc_u64_e32 v[54:55], v[86:87], v[8:9]
	v_add_nc_u64_e32 v[74:75], v[84:85], v[8:9]
	;; [unrolled: 1-line block ×4, first 2 shown]
	s_clause 0x3
	global_load_b32 v92, v[54:55], off offset:6
	global_load_b32 v99, v[74:75], off offset:6
	;; [unrolled: 1-line block ×4, first 2 shown]
	s_wait_xcnt 0x3
	v_mad_nc_u64_u32 v[54:55], v12, 22, s[16:17]
	v_mad_nc_u64_u32 v[112:113], v38, 22, v[52:53]
	;; [unrolled: 1-line block ×5, first 2 shown]
	v_add_nc_u64_e32 v[126:127], v[110:111], v[8:9]
	v_add_nc_u64_e32 v[124:125], v[108:109], v[8:9]
	;; [unrolled: 1-line block ×4, first 2 shown]
	s_lshl_b32 s16, s12, 5
	s_wait_xcnt 0x2
	v_mad_nc_u64_u32 v[74:75], v14, 22, v[54:55]
	v_add_nc_u64_e32 v[128:129], v[112:113], v[8:9]
	v_add_nc_u64_e32 v[130:131], v[114:115], v[8:9]
	;; [unrolled: 1-line block ×4, first 2 shown]
	s_cmp_lt_i32 s16, s11
	s_clause 0x10
	global_load_u16 v83, v[74:75], off
	global_load_b32 v80, v[110:111], off offset:2
	global_load_b32 v82, v[108:109], off offset:2
	;; [unrolled: 1-line block ×15, first 2 shown]
	; meta instruction
	; meta instruction
	;; [unrolled: 1-line block ×15, first 2 shown]
	global_load_b32 v78, v[128:129], off offset:6
	s_wait_loadcnt 0x1f
	v_dual_ashrrev_i32 v93, v8, v93 :: v_dual_ashrrev_i32 v94, v8, v94
	s_wait_loadcnt 0x1d
	v_dual_ashrrev_i32 v95, v8, v95 :: v_dual_ashrrev_i32 v96, v8, v96
	;; [unrolled: 2-line block ×4, first 2 shown]
	s_wait_xcnt 0xc
	v_dual_lshlrev_b32 v104, 4, v93 :: v_dual_lshlrev_b32 v105, 11, v93
	v_dual_lshlrev_b32 v106, 18, v93 :: v_dual_lshlrev_b32 v107, 25, v93
	s_wait_xcnt 0x4
	v_dual_lshlrev_b32 v111, 4, v94 :: v_dual_lshlrev_b32 v112, 11, v94
	s_delay_alu instid0(VALU_DEP_3)
	v_dual_lshlrev_b32 v155, 18, v101 :: v_dual_bitop2_b32 v104, 16, v104 bitop3:0x40
	s_wait_loadcnt 0x15
	v_and_b32_e32 v156, 0xf0f0f0f, v91
	v_and_b32_e32 v105, 0x1000, v105
	;; [unrolled: 1-line block ×4, first 2 shown]
	v_dual_lshlrev_b32 v113, 18, v94 :: v_dual_lshlrev_b32 v114, 25, v94
	v_dual_lshlrev_b32 v118, 4, v95 :: v_dual_lshlrev_b32 v119, 11, v95
	;; [unrolled: 1-line block ×4, first 2 shown]
	v_dual_lshlrev_b32 v157, 25, v101 :: v_dual_lshrrev_b32 v158, 12, v101
	v_or3_b32 v104, v104, v156, v105
	v_lshrrev_b32_e32 v105, 5, v101
	v_or3_b32 v106, v156, v106, v107
	v_dual_lshlrev_b32 v107, 2, v101 :: v_dual_lshlrev_b32 v101, 9, v101
	v_and_b32_e32 v111, 16, v111
	v_and_b32_e32 v156, 0xf0f0f0f, v90
	v_and_b32_e32 v112, 0x1000, v112
	v_dual_lshrrev_b32 v108, 12, v93 :: v_dual_lshrrev_b32 v109, 5, v93
	v_dual_lshlrev_b32 v110, 2, v93 :: v_dual_lshlrev_b32 v93, 9, v93
	v_dual_lshrrev_b32 v115, 12, v94 :: v_dual_lshrrev_b32 v116, 5, v94
	v_dual_lshlrev_b32 v117, 2, v94 :: v_dual_lshlrev_b32 v94, 9, v94
	v_dual_lshlrev_b32 v125, 4, v96 :: v_dual_lshlrev_b32 v126, 11, v96
	s_wait_xcnt 0x0
	v_dual_lshlrev_b32 v127, 18, v96 :: v_dual_lshlrev_b32 v128, 25, v96
	v_dual_lshrrev_b32 v91, 4, v91 :: v_dual_lshrrev_b32 v90, 4, v90
	v_and_b32_e32 v113, 0x100000, v113
	v_and_b32_e32 v114, 0x10000000, v114
	v_or3_b32 v111, v111, v156, v112
	v_and_b32_e32 v112, 0xf0f0f0f, v89
	v_and_b32_e32 v118, 16, v118
	;; [unrolled: 1-line block ×5, first 2 shown]
	v_dual_lshrrev_b32 v122, 12, v95 :: v_dual_lshrrev_b32 v123, 5, v95
	v_dual_lshlrev_b32 v124, 2, v95 :: v_dual_lshlrev_b32 v95, 9, v95
	v_dual_lshrrev_b32 v129, 12, v96 :: v_dual_lshrrev_b32 v130, 5, v96
	v_dual_lshlrev_b32 v131, 2, v96 :: v_dual_lshlrev_b32 v96, 9, v96
	v_dual_lshlrev_b32 v132, 4, v97 :: v_dual_lshlrev_b32 v133, 11, v97
	;; [unrolled: 1-line block ×3, first 2 shown]
	v_dual_lshrrev_b32 v136, 12, v97 :: v_dual_lshrrev_b32 v137, 5, v97
	v_dual_lshlrev_b32 v138, 2, v97 :: v_dual_lshlrev_b32 v97, 9, v97
	v_dual_lshlrev_b32 v139, 4, v98 :: v_dual_lshlrev_b32 v140, 11, v98
	;; [unrolled: 1-line block ×3, first 2 shown]
	v_lshrrev_b32_e32 v89, 4, v89
	v_or3_b32 v113, v156, v113, v114
	v_and_b32_e32 v114, 0xf0f0f0f, v88
	v_lshrrev_b32_e32 v88, 4, v88
	s_wait_loadcnt 0x11
	v_and_b32_e32 v156, 0xf0f0f0f, v103
	v_lshrrev_b32_e32 v103, 4, v103
	v_or3_b32 v118, v118, v112, v119
	v_or3_b32 v112, v112, v120, v121
	v_and_b32_e32 v121, 0xf0f0f0f, v92
	v_dual_lshrrev_b32 v92, 4, v92 :: v_dual_bitop2_b32 v115, 16, v115 bitop3:0x40
	v_and_b32_e32 v108, 16, v108
	v_and_b32_e32 v109, 0x1000, v109
	;; [unrolled: 1-line block ×13, first 2 shown]
	v_dual_lshrrev_b32 v143, 12, v98 :: v_dual_lshrrev_b32 v144, 5, v98
	v_dual_lshlrev_b32 v145, 2, v98 :: v_dual_lshlrev_b32 v98, 9, v98
	v_dual_lshlrev_b32 v146, 4, v100 :: v_dual_lshlrev_b32 v147, 11, v100
	;; [unrolled: 1-line block ×3, first 2 shown]
	v_dual_lshrrev_b32 v150, 12, v100 :: v_dual_lshrrev_b32 v151, 5, v100
	v_dual_lshlrev_b32 v152, 2, v100 :: v_dual_lshlrev_b32 v100, 9, v100
	v_and_b32_e32 v119, 0xf0f0f0f, v102
	v_lshrrev_b32_e32 v102, 4, v102
	v_and_b32_e32 v120, 0xf0f0f0f, v99
	v_dual_lshrrev_b32 v99, 4, v99 :: v_dual_bitop2_b32 v122, 16, v122 bitop3:0x40
	v_and_b32_e32 v123, 0x1000, v123
	v_and_b32_e32 v124, 0x100000, v124
	;; [unrolled: 1-line block ×16, first 2 shown]
	v_or3_b32 v108, v108, v91, v109
	v_or3_b32 v91, v91, v110, v93
	;; [unrolled: 1-line block ×4, first 2 shown]
	v_dual_lshrrev_b32 v110, 16, v112 :: v_dual_bitop2_b32 v139, 16, v139 bitop3:0x40
	v_or3_b32 v125, v125, v114, v126
	v_or3_b32 v114, v114, v127, v128
	v_and_b32_e32 v129, 16, v129
	v_and_b32_e32 v137, 0x1000, v137
	;; [unrolled: 1-line block ×14, first 2 shown]
	v_or3_b32 v127, v156, v134, v135
	v_or3_b32 v94, v122, v89, v123
	;; [unrolled: 1-line block ×3, first 2 shown]
	v_and_b32_e32 v143, 16, v143
	v_or3_b32 v95, v129, v88, v130
	v_or3_b32 v88, v88, v131, v96
	v_and_b32_e32 v150, 16, v150
	v_or3_b32 v97, v103, v138, v97
	v_and_b32_e32 v158, 16, v158
	v_lshrrev_b32_e32 v90, 16, v90
	v_or3_b32 v128, v139, v119, v140
	v_or3_b32 v119, v119, v141, v142
	v_and_b32_e32 v136, 16, v136
	v_dual_lshrrev_b32 v122, 16, v127 :: v_dual_bitop2_b32 v132, 16, v132 bitop3:0x40
	v_and_b32_e32 v133, 0x1000, v133
	v_dual_lshrrev_b32 v91, 16, v91 :: v_dual_bitop2_b32 v146, 16, v146 bitop3:0x40
	v_and_b32_e32 v147, 0x1000, v147
	v_and_b32_e32 v154, 0x1000, v154
	v_or3_b32 v98, v102, v145, v98
	v_dual_lshrrev_b32 v119, 16, v119 :: v_dual_bitop2_b32 v153, 16, v153 bitop3:0x40
	v_or3_b32 v96, v136, v103, v137
	v_and_b32_e32 v127, 0x1f00, v93
	v_lshlrev_b16 v93, 8, v93
	v_lshlrev_b16 v129, 8, v108
	v_lshrrev_b32_e32 v89, 16, v89
	v_or3_b32 v103, v143, v102, v144
	v_lshrrev_b32_e32 v88, 16, v88
	v_or3_b32 v102, v150, v99, v151
	v_or3_b32 v99, v99, v152, v100
	v_lshrrev_b32_e32 v97, 16, v97
	v_or3_b32 v100, v158, v92, v105
	v_or3_b32 v92, v92, v107, v101
	v_and_b32_e32 v101, 0x1f00, v104
	v_lshlrev_b16 v104, 8, v104
	v_dual_lshrrev_b32 v105, 16, v106 :: v_dual_lshrrev_b32 v106, 16, v113
	v_lshlrev_b16 v107, 8, v111
	v_or3_b32 v126, v132, v156, v133
	v_or3_b32 v132, v146, v120, v147
	v_or3_b32 v133, v153, v121, v154
	v_add_nc_u16 v101, 0xf000, v101
	v_add_nc_u16 v104, 0xf000, v104
	v_and_b32_e32 v134, 0x1f00, v105
	v_lshlrev_b16 v105, 8, v105
	v_and_b32_e32 v135, 0x1f00, v106
	v_lshlrev_b16 v106, 8, v106
	v_add_nc_u16 v107, 0xf000, v107
	v_add_nc_u16 v127, 0xf000, v127
	;; [unrolled: 1-line block ×4, first 2 shown]
	v_lshlrev_b16 v109, 8, v118
	v_lshlrev_b16 v112, 8, v125
	v_lshrrev_b32_e32 v113, 16, v114
	v_and_b32_e32 v114, 0x1f00, v132
	v_lshlrev_b16 v115, 8, v132
	v_and_b32_e32 v116, 0x1f00, v133
	v_lshlrev_b16 v117, 8, v133
	v_lshlrev_b16 v123, 8, v126
	v_and_b32_e32 v130, 0x1f00, v94
	v_lshlrev_b16 v94, 8, v94
	v_and_b32_e32 v141, 0x1f00, v90
	v_lshlrev_b16 v90, 8, v90
	v_perm_b32 v101, v104, v101, 0xc0c0105
	v_add_nc_u16 v104, 0xf000, v134
	v_add_nc_u16 v105, 0xf000, v105
	;; [unrolled: 1-line block ×4, first 2 shown]
	v_lshrrev_b16 v107, 8, v107
	v_perm_b32 v93, v93, v127, 0xc0c0105
	v_lshrrev_b16 v127, 8, v129
	v_add_nc_u16 v109, 0xf000, v109
	v_and_b32_e32 v136, 0x1f00, v110
	v_lshlrev_b16 v110, 8, v110
	v_add_nc_u16 v112, 0xf000, v112
	v_add_nc_u16 v114, 0xf000, v114
	;; [unrolled: 1-line block ×5, first 2 shown]
	v_and_b32_e32 v138, 0x1f00, v122
	v_lshlrev_b16 v122, 8, v122
	v_add_nc_u16 v123, 0xf000, v123
	v_and_b32_e32 v140, 0x1f00, v91
	v_lshlrev_b16 v91, 8, v91
	v_add_nc_u16 v130, 0xf000, v130
	v_add_nc_u16 v94, 0xf000, v94
	v_and_b32_e32 v142, 0x1f00, v89
	v_lshlrev_b16 v89, 8, v89
	v_add_nc_u16 v129, 0xf000, v141
	v_add_nc_u16 v90, 0xf000, v90
	v_perm_b32 v104, v105, v104, 0xc0c0105
	v_perm_b32 v105, v106, v134, 0xc0c0105
	v_bitop3_b16 v106, v111, v107, 0x1f00 bitop3:0xec
	v_bitop3_b16 v108, v108, v127, 0x1f00 bitop3:0xec
	v_lshrrev_b16 v109, 8, v109
	v_and_b32_e32 v131, 0x1f00, v95
	v_lshlrev_b16 v95, 8, v95
	v_add_nc_u16 v135, 0xf000, v136
	v_add_nc_u16 v110, 0xf000, v110
	v_lshrrev_b16 v112, 8, v112
	v_perm_b32 v114, v115, v114, 0xc0c0105
	v_perm_b32 v115, v117, v116, 0xc0c0105
	v_add_nc_u16 v117, 0xf000, v122
	v_lshrrev_b16 v122, 8, v123
	v_add_nc_u16 v123, 0xf000, v140
	v_add_nc_u16 v91, 0xf000, v91
	v_perm_b32 v94, v94, v130, 0xc0c0105
	v_add_nc_u16 v130, 0xf000, v142
	v_add_nc_u16 v89, 0xf000, v89
	v_perm_b32 v90, v90, v129, 0xc0c0105
	v_lshl_or_b32 v101, v104, 16, v101
	v_add_nc_u16 v104, 0xf000, v106
	v_add_nc_u16 v106, 0xf000, v108
	v_bitop3_b16 v107, v118, v109, 0x1f00 bitop3:0xec
	v_and_b32_e32 v137, 0x1f00, v113
	v_lshlrev_b16 v113, 8, v113
	v_add_nc_u16 v131, 0xf000, v131
	v_add_nc_u16 v95, 0xf000, v95
	v_and_b32_e32 v143, 0x1f00, v88
	v_lshlrev_b16 v88, 8, v88
	v_perm_b32 v109, v110, v135, 0xc0c0105
	v_bitop3_b16 v110, v125, v112, 0x1f00 bitop3:0xec
	v_perm_b32 v91, v91, v123, 0xc0c0105
	v_perm_b32 v89, v89, v130, 0xc0c0105
	v_lshl_or_b32 v90, v90, 16, v93
	v_and_b32_e32 v93, 0xffff, v106
	v_add_nc_u16 v107, 0xf000, v107
	v_add_nc_u16 v136, 0xf000, v137
	v_add_nc_u16 v113, 0xf000, v113
	v_perm_b32 v95, v95, v131, 0xc0c0105
	v_add_nc_u16 v131, 0xf000, v143
	v_add_nc_u16 v88, 0xf000, v88
	;; [unrolled: 1-line block ×3, first 2 shown]
	v_and_b32_e32 v132, 0x1f00, v96
	v_lshlrev_b16 v96, 8, v96
	v_lshl_or_b32 v89, v89, 16, v94
	v_and_b32_e32 v94, 0xffff, v104
	v_lshl_or_b32 v91, v91, 16, v93
	v_and_b32_e32 v104, 0xffff, v107
	v_perm_b32 v111, v113, v136, 0xc0c0105
	v_perm_b32 v88, v88, v131, 0xc0c0105
	v_and_b32_e32 v106, 0xffff, v108
	v_and_b32_e32 v148, 0x100000, v148
	;; [unrolled: 1-line block ×3, first 2 shown]
	v_lshlrev_b16 v124, 8, v128
	v_and_b32_e32 v139, 0x1f00, v119
	v_lshlrev_b16 v119, 8, v119
	v_add_nc_u16 v132, 0xf000, v132
	v_add_nc_u16 v96, 0xf000, v96
	v_and_b32_e32 v144, 0x1f00, v97
	v_lshlrev_b16 v97, 8, v97
	v_lshl_or_b32 v93, v105, 16, v94
	ds_store_2addr_b32 v5, v101, v91 offset1:1
	v_add_nc_u32_e32 v91, 0x820, v5
	v_lshl_or_b32 v94, v109, 16, v104
	v_lshl_or_b32 v88, v88, 16, v95
	;; [unrolled: 1-line block ×3, first 2 shown]
	v_or3_b32 v120, v120, v148, v149
	v_perm_b32 v96, v96, v132, 0xc0c0105
	v_add_nc_u16 v132, 0xf000, v144
	v_add_nc_u16 v97, 0xf000, v97
	ds_store_2addr_b32 v91, v93, v90 offset1:1
	ds_store_2addr_b32 v7, v94, v89 offset1:1
	;; [unrolled: 1-line block ×3, first 2 shown]
	v_add_nc_u16 v88, 0xf000, v139
	v_lshrrev_b32_e32 v89, 16, v98
	v_add_nc_u16 v90, 0xf000, v119
	v_add_nc_u16 v93, 0xf000, v124
	v_and_b32_e32 v133, 0x1f00, v103
	v_lshlrev_b16 v103, 8, v103
	v_perm_b32 v94, v97, v132, 0xc0c0105
	v_and_b32_e32 v95, 0x1f00, v89
	v_perm_b32 v88, v90, v88, 0xc0c0105
	v_lshlrev_b16 v89, 8, v89
	v_lshrrev_b16 v90, 8, v93
	v_dual_lshrrev_b32 v93, 16, v120 :: v_dual_lshrrev_b32 v97, 16, v99
	v_lshlrev_b16 v98, 8, v102
	v_and_b32_e32 v155, 0x100000, v155
	v_and_b32_e32 v157, 0x10000000, v157
	v_add_nc_u16 v133, 0xf000, v133
	v_add_nc_u16 v103, 0xf000, v103
	;; [unrolled: 1-line block ×4, first 2 shown]
	v_and_b32_e32 v99, 0x1f00, v93
	v_lshlrev_b16 v93, 8, v93
	v_and_b32_e32 v101, 0x1f00, v97
	v_lshlrev_b16 v97, 8, v97
	v_add_nc_u16 v98, 0xf000, v98
	v_or3_b32 v121, v121, v155, v157
	v_perm_b32 v103, v103, v133, 0xc0c0105
	v_bitop3_b16 v91, v126, v122, 0x1f00 bitop3:0xec
	v_add_nc_u16 v99, 0xf000, v99
	v_add_nc_u16 v93, 0xf000, v93
	v_add_nc_u16 v101, 0xf000, v101
	v_add_nc_u16 v97, 0xf000, v97
	v_lshrrev_b16 v98, 8, v98
	v_bitop3_b16 v90, v128, v90, 0x1f00 bitop3:0xec
	v_perm_b32 v89, v89, v95, 0xc0c0105
	v_perm_b32 v93, v93, v99, 0xc0c0105
	v_perm_b32 v95, v97, v101, 0xc0c0105
	v_bitop3_b16 v97, v102, v98, 0x1f00 bitop3:0xec
	v_add_nc_u16 v91, 0xf000, v91
	v_lshl_or_b32 v94, v94, 16, v96
	v_dual_lshrrev_b32 v96, 16, v121 :: v_dual_lshrrev_b32 v92, 16, v92
	v_lshl_or_b32 v98, v89, 16, v103
	v_add_nc_u16 v89, 0xf000, v90
	v_and_b32_e32 v90, 0xffff, v91
	v_lshl_or_b32 v91, v93, 16, v114
	v_and_b32_e32 v93, 0x1f00, v96
	v_lshlrev_b16 v96, 8, v96
	v_and_b32_e32 v89, 0xffff, v89
	v_lshlrev_b16 v99, 8, v100
	s_wait_loadcnt 0xc
	v_ashrrev_i32_e32 v87, v8, v87
	v_add_nc_u16 v93, 0xf000, v93
	v_add_nc_u16 v96, 0xf000, v96
	v_lshl_or_b32 v101, v88, 16, v89
	v_add_nc_u16 v88, 0xf000, v97
	v_add_nc_u16 v89, 0xf000, v99
	v_lshlrev_b32_e32 v97, 4, v87
	v_perm_b32 v93, v96, v93, 0xc0c0105
	v_and_b32_e32 v96, 0x1f00, v92
	v_lshlrev_b16 v92, 8, v92
	v_lshrrev_b16 v89, 8, v89
	v_dual_lshlrev_b32 v99, 11, v87 :: v_dual_bitop2_b32 v97, 16, v97 bitop3:0x40
	v_and_b32_e32 v88, 0xffff, v88
	v_add_nc_u16 v96, 0xf000, v96
	s_delay_alu instid0(VALU_DEP_4)
	v_bitop3_b16 v89, v100, v89, 0x1f00 bitop3:0xec
	v_add_nc_u16 v92, 0xf000, v92
	v_and_b32_e32 v99, 0x1000, v99
	s_wait_loadcnt 0x8
	v_and_b32_e32 v100, 0xf0f0f0f, v86
	v_lshl_or_b32 v95, v95, 16, v88
	v_lshrrev_b32_e32 v86, 4, v86
	v_perm_b32 v88, v92, v96, 0xc0c0105
	v_lshrrev_b32_e32 v96, 12, v87
	v_or3_b32 v92, v97, v100, v99
	v_dual_lshrrev_b32 v97, 5, v87 :: v_dual_lshlrev_b32 v99, 18, v87
	s_delay_alu instid0(VALU_DEP_3) | instskip(SKIP_1) | instid1(VALU_DEP_3)
	v_dual_lshlrev_b32 v102, 25, v87 :: v_dual_bitop2_b32 v96, 16, v96 bitop3:0x40
	v_and_b32_e32 v86, 0xf0f0f0f, v86
	v_and_b32_e32 v97, 0x1000, v97
	v_dual_lshlrev_b32 v103, 2, v87 :: v_dual_lshlrev_b32 v87, 9, v87
	v_and_b32_e32 v99, 0x100000, v99
	v_and_b32_e32 v102, 0x10000000, v102
	s_delay_alu instid0(VALU_DEP_4) | instskip(NEXT) | instid1(VALU_DEP_4)
	v_or3_b32 v96, v96, v86, v97
	v_and_b32_e32 v97, 0x100000, v103
	v_and_b32_e32 v87, 0x10000000, v87
	v_add_nc_u16 v89, 0xf000, v89
	v_or3_b32 v99, v100, v99, v102
	v_lshlrev_b16 v100, 8, v96
	v_and_b32_e32 v102, 0x1f00, v92
	v_or3_b32 v86, v86, v97, v87
	v_lshlrev_b16 v87, 8, v92
	v_lshrrev_b32_e32 v92, 16, v99
	v_add_nc_u16 v97, 0xf000, v100
	v_add_nc_u16 v99, 0xf000, v102
	v_lshrrev_b32_e32 v86, 16, v86
	v_and_b32_e32 v89, 0xffff, v89
	v_add_nc_u16 v116, 0xf000, v138
	v_lshrrev_b16 v97, 8, v97
	v_add_nc_u16 v87, 0xf000, v87
	v_and_b32_e32 v102, 0x1f00, v86
	v_lshlrev_b16 v86, 8, v86
	v_and_b32_e32 v100, 0x1f00, v92
	v_bitop3_b16 v96, v96, v97, 0x1f00 bitop3:0xec
	v_lshlrev_b16 v92, 8, v92
	v_add_nc_u16 v97, 0xf000, v102
	v_add_nc_u16 v86, 0xf000, v86
	v_lshl_or_b32 v102, v88, 16, v89
	v_add_nc_u16 v88, 0xf000, v96
	v_perm_b32 v104, v117, v116, 0xc0c0105
	v_perm_b32 v96, v87, v99, 0xc0c0105
	;; [unrolled: 1-line block ×3, first 2 shown]
	v_mad_nc_u64_u32 v[86:87], v42, 22, v[54:55]
	v_add_nc_u16 v100, 0xf000, v100
	v_add_nc_u16 v92, 0xf000, v92
	v_and_b32_e32 v99, 0xffff, v88
	v_mad_nc_u64_u32 v[88:89], v46, 22, v[54:55]
	v_mad_nc_u64_u32 v[54:55], v50, 22, v[54:55]
	v_lshl_or_b32 v90, v104, 16, v90
	v_perm_b32 v92, v92, v100, 0xc0c0105
	v_lshl_or_b32 v93, v93, 16, v115
	ds_store_2addr_b32 v13, v90, v94 offset1:1
	ds_store_2addr_b32 v15, v101, v98 offset1:1
	;; [unrolled: 1-line block ×4, first 2 shown]
	v_lshl_or_b32 v90, v92, 16, v96
	v_lshl_or_b32 v91, v97, 16, v99
	s_clause 0x2
	global_load_u16 v95, v[86:87], off
	global_load_u16 v96, v[88:89], off
	;; [unrolled: 1-line block ×3, first 2 shown]
	v_ashrrev_i32_e32 v85, v8, v85
	v_and_b32_e32 v94, 0xf0f0f0f, v84
	v_ashrrev_i32_e32 v82, v8, v82
	ds_store_2addr_b32 v23, v90, v91 offset1:1
	v_dual_ashrrev_i32 v80, v8, v80 :: v_dual_lshlrev_b32 v100, 4, v85
	s_wait_loadcnt 0x7
	v_dual_ashrrev_i32 v77, v8, v77 :: v_dual_ashrrev_i32 v76, v8, v76
	v_dual_ashrrev_i32 v74, v8, v74 :: v_dual_ashrrev_i32 v53, v8, v53
	s_delay_alu instid0(VALU_DEP_3) | instskip(SKIP_4) | instid1(VALU_DEP_3)
	v_and_b32_e32 v92, 16, v100
	s_wait_xcnt 0x0
	v_dual_lshrrev_b32 v54, 4, v84 :: v_dual_lshrrev_b32 v55, 12, v85
	v_dual_lshrrev_b32 v84, 5, v85 :: v_dual_lshlrev_b32 v87, 18, v85
	v_lshlrev_b32_e32 v103, 11, v85
	v_and_b32_e32 v54, 0xf0f0f0f, v54
	s_delay_alu instid0(VALU_DEP_4) | instskip(NEXT) | instid1(VALU_DEP_4)
	v_dual_lshlrev_b32 v88, 25, v85 :: v_dual_bitop2_b32 v55, 16, v55 bitop3:0x40
	v_and_b32_e32 v84, 0x1000, v84
	s_delay_alu instid0(VALU_DEP_4) | instskip(SKIP_2) | instid1(VALU_DEP_4)
	v_and_b32_e32 v93, 0x1000, v103
	v_dual_lshlrev_b32 v89, 2, v85 :: v_dual_lshlrev_b32 v85, 9, v85
	v_and_b32_e32 v87, 0x100000, v87
	v_or3_b32 v55, v55, v54, v84
	s_delay_alu instid0(VALU_DEP_4)
	v_or3_b32 v86, v92, v94, v93
	v_and_b32_e32 v84, 0x10000000, v88
	v_and_b32_e32 v88, 0x100000, v89
	;; [unrolled: 1-line block ×3, first 2 shown]
	v_lshlrev_b16 v89, 8, v55
	v_cvt_f32_f16_e32 v83, v83
	v_or3_b32 v84, v94, v87, v84
	v_and_b32_e32 v87, 0x1f00, v86
	v_or3_b32 v54, v54, v88, v85
	v_lshlrev_b16 v85, 8, v86
	v_add_nc_u16 v86, 0xf000, v89
	v_lshrrev_b32_e32 v84, 16, v84
	v_add_nc_u16 v87, 0xf000, v87
	v_lshrrev_b32_e32 v54, 16, v54
	v_add_nc_u16 v85, 0xf000, v85
	v_lshrrev_b16 v86, 8, v86
	v_and_b32_e32 v88, 0x1f00, v84
	v_lshlrev_b16 v84, 8, v84
	v_and_b32_e32 v89, 0x1f00, v54
	v_lshlrev_b16 v54, 8, v54
	v_bitop3_b16 v55, v55, v86, 0x1f00 bitop3:0xec
	v_add_nc_u16 v86, 0xf000, v88
	v_add_nc_u16 v84, 0xf000, v84
	;; [unrolled: 1-line block ×5, first 2 shown]
	v_perm_b32 v85, v85, v87, 0xc0c0105
	v_perm_b32 v84, v84, v86, 0xc0c0105
	v_lshlrev_b32_e32 v86, 4, v82
	v_perm_b32 v54, v54, v88, 0xc0c0105
	v_and_b32_e32 v55, 0xffff, v55
	v_lshlrev_b32_e32 v89, 4, v80
	v_lshl_or_b32 v84, v84, 16, v85
	v_lshlrev_b32_e32 v90, 11, v80
	s_delay_alu instid0(VALU_DEP_4)
	v_lshl_or_b32 v54, v54, 16, v55
	v_and_b32_e32 v55, 16, v86
	v_and_b32_e32 v86, 0xf0f0f0f, v81
	v_dual_lshrrev_b32 v81, 4, v81 :: v_dual_lshlrev_b32 v87, 11, v82
	v_lshlrev_b32_e32 v88, 25, v82
	ds_store_2addr_b32 v27, v84, v54 offset1:1
	v_and_b32_e32 v81, 0xf0f0f0f, v81
	v_and_b32_e32 v85, 0x1000, v87
	v_lshlrev_b32_e32 v87, 18, v82
	v_and_b32_e32 v84, 0x10000000, v88
	v_lshlrev_b32_e32 v88, 2, v82
	s_delay_alu instid0(VALU_DEP_4) | instskip(NEXT) | instid1(VALU_DEP_4)
	v_or3_b32 v54, v55, v86, v85
	v_and_b32_e32 v55, 0x100000, v87
	v_dual_lshrrev_b32 v85, 12, v82 :: v_dual_lshrrev_b32 v87, 5, v82
	v_lshlrev_b32_e32 v82, 9, v82
	v_and_b32_e32 v88, 0x100000, v88
	s_delay_alu instid0(VALU_DEP_4) | instskip(NEXT) | instid1(VALU_DEP_4)
	v_or3_b32 v55, v86, v55, v84
	v_and_b32_e32 v85, 16, v85
	v_and_b32_e32 v87, 0x1000, v87
	;; [unrolled: 1-line block ×4, first 2 shown]
	v_lshrrev_b32_e32 v79, 4, v79
	s_delay_alu instid0(VALU_DEP_4) | instskip(NEXT) | instid1(VALU_DEP_4)
	v_or3_b32 v84, v85, v81, v87
	v_or3_b32 v81, v81, v88, v82
	v_and_b32_e32 v82, 16, v89
	v_and_b32_e32 v85, 0x1000, v90
	v_dual_lshlrev_b32 v87, 18, v80 :: v_dual_lshlrev_b32 v88, 25, v80
	v_dual_lshrrev_b32 v89, 12, v80 :: v_dual_lshrrev_b32 v90, 5, v80
	v_and_b32_e32 v79, 0xf0f0f0f, v79
	s_delay_alu instid0(VALU_DEP_3) | instskip(NEXT) | instid1(VALU_DEP_4)
	v_and_b32_e32 v87, 0x100000, v87
	v_and_b32_e32 v88, 0x10000000, v88
	s_delay_alu instid0(VALU_DEP_4) | instskip(SKIP_4) | instid1(VALU_DEP_4)
	v_and_b32_e32 v89, 16, v89
	v_and_b32_e32 v90, 0x1000, v90
	v_dual_lshrrev_b32 v55, 16, v55 :: v_dual_lshrrev_b32 v81, 16, v81
	v_or3_b32 v82, v82, v86, v85
	v_or3_b32 v85, v86, v87, v88
	;; [unrolled: 1-line block ×3, first 2 shown]
	v_and_b32_e32 v88, 0x1f00, v54
	v_lshlrev_b16 v54, 8, v54
	v_and_b32_e32 v89, 0x1f00, v55
	v_lshlrev_b16 v55, 8, v55
	v_lshlrev_b16 v90, 8, v84
	v_dual_lshlrev_b32 v86, 2, v80 :: v_dual_lshlrev_b32 v80, 9, v80
	v_add_nc_u16 v88, 0xf000, v88
	v_add_nc_u16 v54, 0xf000, v54
	;; [unrolled: 1-line block ×4, first 2 shown]
	v_and_b32_e32 v91, 0x1f00, v81
	v_lshlrev_b16 v81, 8, v81
	v_add_nc_u16 v90, 0xf000, v90
	v_and_b32_e32 v86, 0x100000, v86
	v_and_b32_e32 v80, 0x10000000, v80
	v_perm_b32 v54, v54, v88, 0xc0c0105
	v_perm_b32 v55, v55, v89, 0xc0c0105
	v_add_nc_u16 v88, 0xf000, v91
	v_add_nc_u16 v81, 0xf000, v81
	v_lshrrev_b16 v89, 8, v90
	v_or3_b32 v79, v79, v86, v80
	v_lshl_or_b32 v54, v55, 16, v54
	v_lshrrev_b32_e32 v55, 16, v85
	v_perm_b32 v80, v81, v88, 0xc0c0105
	v_bitop3_b16 v81, v84, v89, 0x1f00 bitop3:0xec
	v_and_b32_e32 v84, 0x1f00, v82
	v_lshlrev_b16 v82, 8, v82
	v_lshlrev_b16 v86, 8, v87
	v_lshrrev_b32_e32 v79, 16, v79
	v_and_b32_e32 v85, 0x1f00, v55
	v_lshlrev_b16 v55, 8, v55
	v_add_nc_u16 v84, 0xf000, v84
	v_add_nc_u16 v82, 0xf000, v82
	;; [unrolled: 1-line block ×6, first 2 shown]
	v_perm_b32 v82, v82, v84, 0xc0c0105
	v_lshrrev_b16 v84, 8, v86
	s_delay_alu instid0(VALU_DEP_4) | instskip(NEXT) | instid1(VALU_DEP_4)
	v_perm_b32 v55, v55, v85, 0xc0c0105
	v_and_b32_e32 v81, 0xffff, v81
	v_and_b32_e32 v85, 0x1f00, v79
	v_lshlrev_b16 v79, 8, v79
	v_bitop3_b16 v84, v87, v84, 0x1f00 bitop3:0xec
	s_wait_loadcnt 0x3
	v_and_b32_e32 v87, 0xf0f0f0f, v78
	v_lshl_or_b32 v80, v80, 16, v81
	v_add_nc_u16 v81, 0xf000, v85
	v_add_nc_u16 v79, 0xf000, v79
	;; [unrolled: 1-line block ×3, first 2 shown]
	v_dual_lshrrev_b32 v78, 4, v78 :: v_dual_lshlrev_b32 v85, 4, v77
	v_lshlrev_b32_e32 v86, 11, v77
	v_lshl_or_b32 v55, v55, 16, v82
	v_perm_b32 v79, v79, v81, 0xc0c0105
	v_and_b32_e32 v81, 0xffff, v84
	v_and_b32_e32 v82, 16, v85
	;; [unrolled: 1-line block ×3, first 2 shown]
	v_dual_lshlrev_b32 v85, 18, v77 :: v_dual_lshlrev_b32 v86, 25, v77
	v_dual_lshrrev_b32 v88, 12, v77 :: v_dual_lshrrev_b32 v89, 5, v77
	v_and_b32_e32 v78, 0xf0f0f0f, v78
	s_delay_alu instid0(VALU_DEP_3) | instskip(NEXT) | instid1(VALU_DEP_4)
	v_and_b32_e32 v85, 0x100000, v85
	v_and_b32_e32 v86, 0x10000000, v86
	s_delay_alu instid0(VALU_DEP_4)
	v_dual_lshlrev_b32 v90, 2, v77 :: v_dual_bitop2_b32 v88, 16, v88 bitop3:0x40
	v_lshlrev_b32_e32 v77, 9, v77
	v_and_b32_e32 v89, 0x1000, v89
	v_or3_b32 v82, v82, v87, v84
	v_or3_b32 v84, v87, v85, v86
	v_and_b32_e32 v85, 0x100000, v90
	v_and_b32_e32 v77, 0x10000000, v77
	v_or3_b32 v86, v88, v78, v89
	v_lshl_or_b32 v79, v79, 16, v81
	v_lshrrev_b32_e32 v84, 16, v84
	v_and_b32_e32 v81, 0x1f00, v82
	v_or3_b32 v77, v78, v85, v77
	v_lshlrev_b16 v78, 8, v86
	v_lshlrev_b16 v82, 8, v82
	v_and_b32_e32 v85, 0x1f00, v84
	v_lshlrev_b16 v84, 8, v84
	v_add_nc_u16 v81, 0xf000, v81
	v_add_nc_u16 v78, 0xf000, v78
	;; [unrolled: 1-line block ×3, first 2 shown]
	v_lshrrev_b32_e32 v77, 16, v77
	v_add_nc_u16 v85, 0xf000, v85
	v_add_nc_u16 v84, 0xf000, v84
	v_lshrrev_b16 v78, 8, v78
	v_perm_b32 v81, v82, v81, 0xc0c0105
	ds_store_2addr_b32 v33, v54, v80 offset1:1
	v_dual_lshlrev_b32 v87, 18, v74 :: v_dual_lshlrev_b32 v88, 25, v74
	v_bitop3_b16 v78, v86, v78, 0x1f00 bitop3:0xec
	v_perm_b32 v84, v84, v85, 0xc0c0105
	v_and_b32_e32 v85, 0xf0f0f0f, v75
	v_dual_lshrrev_b32 v75, 4, v75 :: v_dual_lshlrev_b32 v89, 4, v53
	v_lshlrev_b32_e32 v90, 11, v53
	v_add_nc_u16 v54, 0xf000, v78
	v_lshlrev_b32_e32 v78, 4, v76
	v_and_b32_e32 v82, 0x1f00, v77
	v_lshlrev_b16 v77, 8, v77
	v_lshl_or_b32 v80, v84, 16, v81
	s_delay_alu instid0(VALU_DEP_4) | instskip(NEXT) | instid1(VALU_DEP_4)
	v_dual_lshlrev_b32 v81, 11, v76 :: v_dual_bitop2_b32 v78, 16, v78 bitop3:0x40
	v_add_nc_u16 v82, 0xf000, v82
	s_delay_alu instid0(VALU_DEP_4) | instskip(SKIP_3) | instid1(VALU_DEP_4)
	v_add_nc_u16 v77, 0xf000, v77
	v_and_b32_e32 v54, 0xffff, v54
	v_lshlrev_b32_e32 v84, 25, v76
	v_and_b32_e32 v81, 0x1000, v81
	v_perm_b32 v77, v77, v82, 0xc0c0105
	v_lshlrev_b32_e32 v82, 18, v76
	s_delay_alu instid0(VALU_DEP_3) | instskip(SKIP_1) | instid1(VALU_DEP_4)
	v_or3_b32 v78, v78, v85, v81
	v_lshrrev_b32_e32 v81, 12, v76
	v_lshl_or_b32 v54, v77, 16, v54
	s_delay_alu instid0(VALU_DEP_4) | instskip(SKIP_4) | instid1(VALU_DEP_4)
	v_and_b32_e32 v77, 0x100000, v82
	v_and_b32_e32 v82, 0x10000000, v84
	v_lshrrev_b32_e32 v84, 5, v76
	v_and_b32_e32 v75, 0xf0f0f0f, v75
	v_and_b32_e32 v81, 16, v81
	v_or3_b32 v77, v85, v77, v82
	s_delay_alu instid0(VALU_DEP_4) | instskip(SKIP_2) | instid1(VALU_DEP_3)
	v_and_b32_e32 v82, 0x1000, v84
	v_dual_lshlrev_b32 v84, 2, v76 :: v_dual_lshlrev_b32 v76, 9, v76
	v_dual_lshlrev_b32 v85, 4, v74 :: v_dual_lshlrev_b32 v86, 11, v74
	v_or3_b32 v81, v81, v75, v82
	s_delay_alu instid0(VALU_DEP_3) | instskip(NEXT) | instid1(VALU_DEP_4)
	v_and_b32_e32 v82, 0x100000, v84
	v_and_b32_e32 v76, 0x10000000, v76
	s_delay_alu instid0(VALU_DEP_4)
	v_and_b32_e32 v84, 16, v85
	v_and_b32_e32 v85, 0x1000, v86
	;; [unrolled: 1-line block ×3, first 2 shown]
	v_lshrrev_b32_e32 v73, 4, v73
	v_or3_b32 v75, v75, v82, v76
	v_and_b32_e32 v82, 0x100000, v87
	v_lshrrev_b32_e32 v87, 5, v74
	v_or3_b32 v76, v84, v86, v85
	v_and_b32_e32 v84, 0x10000000, v88
	v_dual_lshrrev_b32 v85, 12, v74 :: v_dual_lshlrev_b32 v88, 2, v74
	v_lshlrev_b32_e32 v74, 9, v74
	v_and_b32_e32 v73, 0xf0f0f0f, v73
	v_and_b32_e32 v87, 0x1000, v87
	s_delay_alu instid0(VALU_DEP_4)
	v_and_b32_e32 v85, 16, v85
	v_and_b32_e32 v88, 0x100000, v88
	;; [unrolled: 1-line block ×3, first 2 shown]
	v_or3_b32 v82, v86, v82, v84
	v_and_b32_e32 v86, 0xf0f0f0f, v52
	v_lshrrev_b32_e32 v52, 4, v52
	v_or3_b32 v84, v85, v73, v87
	v_or3_b32 v73, v73, v88, v74
	v_dual_lshlrev_b32 v87, 18, v53 :: v_dual_lshlrev_b32 v88, 25, v53
	v_dual_lshrrev_b32 v75, 16, v75 :: v_dual_bitop2_b32 v74, 16, v89 bitop3:0x40
	v_and_b32_e32 v85, 0x1000, v90
	v_dual_lshrrev_b32 v89, 12, v53 :: v_dual_lshrrev_b32 v90, 5, v53
	s_delay_alu instid0(VALU_DEP_4) | instskip(SKIP_2) | instid1(VALU_DEP_4)
	v_and_b32_e32 v87, 0x100000, v87
	v_and_b32_e32 v88, 0x10000000, v88
	;; [unrolled: 1-line block ×5, first 2 shown]
	v_or3_b32 v74, v74, v86, v85
	v_or3_b32 v86, v86, v87, v88
	v_lshrrev_b32_e32 v77, 16, v77
	v_and_b32_e32 v88, 0x1f00, v78
	v_or3_b32 v87, v89, v52, v90
	v_lshlrev_b16 v78, 8, v78
	v_lshrrev_b32_e32 v86, 16, v86
	v_and_b32_e32 v89, 0x1f00, v77
	v_lshlrev_b16 v77, 8, v77
	v_dual_lshlrev_b32 v85, 2, v53 :: v_dual_lshlrev_b32 v53, 9, v53
	v_add_nc_u16 v88, 0xf000, v88
	v_add_nc_u16 v78, 0xf000, v78
	;; [unrolled: 1-line block ×4, first 2 shown]
	v_lshlrev_b16 v90, 8, v81
	v_and_b32_e32 v85, 0x100000, v85
	v_and_b32_e32 v53, 0x10000000, v53
	v_perm_b32 v78, v78, v88, 0xc0c0105
	v_perm_b32 v77, v77, v89, 0xc0c0105
	v_add_nc_u16 v88, 0xf000, v90
	v_and_b32_e32 v91, 0x1f00, v75
	v_or3_b32 v52, v52, v85, v53
	v_lshrrev_b32_e32 v73, 16, v73
	v_lshl_or_b32 v53, v77, 16, v78
	v_lshrrev_b32_e32 v78, 16, v82
	v_and_b32_e32 v82, 0x1f00, v76
	v_lshlrev_b16 v76, 8, v76
	v_lshrrev_b16 v77, 8, v88
	v_lshlrev_b16 v88, 8, v84
	v_lshrrev_b32_e32 v52, 16, v52
	v_add_nc_u16 v82, 0xf000, v82
	v_add_nc_u16 v76, 0xf000, v76
	v_bitop3_b16 v77, v81, v77, 0x1f00 bitop3:0xec
	v_and_b32_e32 v81, 0x1f00, v78
	v_lshlrev_b16 v78, 8, v78
	v_and_b32_e32 v85, 0x1f00, v73
	v_lshlrev_b16 v73, 8, v73
	v_perm_b32 v76, v76, v82, 0xc0c0105
	v_lshlrev_b16 v82, 8, v87
	v_add_nc_u16 v81, 0xf000, v81
	v_add_nc_u16 v78, 0xf000, v78
	;; [unrolled: 1-line block ×6, first 2 shown]
	v_perm_b32 v78, v78, v81, 0xc0c0105
	v_lshrrev_b16 v81, 8, v88
	v_lshlrev_b16 v75, 8, v75
	v_perm_b32 v73, v73, v85, 0xc0c0105
	v_and_b32_e32 v85, 0x1f00, v74
	v_lshrrev_b16 v82, 8, v82
	v_bitop3_b16 v81, v84, v81, 0x1f00 bitop3:0xec
	v_lshlrev_b16 v74, 8, v74
	v_and_b32_e32 v88, 0x1f00, v52
	v_add_nc_u16 v84, 0xf000, v85
	v_and_b32_e32 v85, 0x1f00, v86
	v_lshlrev_b16 v86, 8, v86
	v_lshlrev_b16 v52, 8, v52
	v_bitop3_b16 v82, v87, v82, 0x1f00 bitop3:0xec
	v_add_nc_u16 v89, 0xf000, v91
	v_add_nc_u16 v75, 0xf000, v75
	;; [unrolled: 1-line block ×10, first 2 shown]
	v_perm_b32 v75, v75, v89, 0xc0c0105
	v_and_b32_e32 v77, 0xffff, v77
	v_and_b32_e32 v81, 0xffff, v81
	v_perm_b32 v74, v74, v84, 0xc0c0105
	v_perm_b32 v84, v86, v85, 0xc0c0105
	;; [unrolled: 1-line block ×3, first 2 shown]
	v_and_b32_e32 v82, 0xffff, v82
	v_lshl_or_b32 v75, v75, 16, v77
	v_lshl_or_b32 v76, v78, 16, v76
	;; [unrolled: 1-line block ×5, first 2 shown]
	ds_store_2addr_b32 v35, v55, v79 offset1:1
	ds_store_2addr_b32 v37, v80, v54 offset1:1
	;; [unrolled: 1-line block ×5, first 2 shown]
	s_wait_loadcnt 0x2
	v_cvt_f32_f16_e32 v52, v95
	s_wait_loadcnt 0x1
	v_cvt_f32_f16_e32 v53, v96
	;; [unrolled: 2-line block ×3, first 2 shown]
	ds_store_b32 v69, v83
	ds_store_b32 v70, v52
	;; [unrolled: 1-line block ×4, first 2 shown]
	s_cbranch_scc0 .LBB221_4
; %bb.6:                                ;   in Loop: Header=BB221_5 Depth=1
	v_add_nc_u32_e32 v52, s12, v25
	s_delay_alu instid0(VALU_DEP_1) | instskip(SKIP_1) | instid1(SALU_CYCLE_1)
	v_cmp_gt_i32_e64 s1, s5, v52
	s_and_b32 s17, s0, s1
	s_and_saveexec_b32 s1, s17
	s_cbranch_execz .LBB221_8
; %bb.7:                                ;   in Loop: Header=BB221_5 Depth=1
	v_add_nc_u32_e32 v52, v28, v52
	s_delay_alu instid0(VALU_DEP_1)
	v_mad_nc_i64_i32 v[52:53], v52, 36, v[30:31]
	global_load_b32 v52, v[52:53], off offset:4
	s_wait_loadcnt 0x0
	ds_store_b32 v51, v52
.LBB221_8:                              ;   in Loop: Header=BB221_5 Depth=1
	s_or_b32 exec_lo, exec_lo, s1
	v_add_nc_u32_e32 v52, s12, v3
	s_delay_alu instid0(VALU_DEP_1) | instskip(SKIP_1) | instid1(SALU_CYCLE_1)
	v_cmp_gt_i32_e64 s1, s5, v52
	s_and_b32 s17, s19, s1
	s_and_saveexec_b32 s1, s17
	s_cbranch_execz .LBB221_10
; %bb.9:                                ;   in Loop: Header=BB221_5 Depth=1
	v_add_nc_u32_e32 v53, v28, v52
	s_delay_alu instid0(VALU_DEP_1)
	v_mad_nc_i64_i32 v[54:55], v53, 36, s[2:3]
	global_load_b32 v53, v[54:55], off
	s_wait_loadcnt 0x0
	v_cvt_f32_f16_e32 v53, v53
	ds_store_b32 v56, v53
.LBB221_10:                             ;   in Loop: Header=BB221_5 Depth=1
	s_or_b32 exec_lo, exec_lo, s1
	v_dual_mov_b32 v53, v47 :: v_dual_mov_b32 v54, v58
	v_dual_mov_b32 v55, v49 :: v_dual_mov_b32 v73, v63
	;; [unrolled: 1-line block ×3, first 2 shown]
	v_mov_b32_e32 v76, v60
	s_mov_b32 s1, -4
	s_wait_dscnt 0x0
	s_barrier_signal -1
	s_barrier_wait -1
.LBB221_11:                             ;   Parent Loop BB221_5 Depth=1
                                        ; =>  This Inner Loop Header: Depth=2
	ds_load_2addr_b32 v[78:79], v53 offset0:3 offset1:4
	ds_load_2addr_b32 v[80:81], v53 offset0:5 offset1:6
	ds_load_2addr_b32 v[82:83], v54 offset1:1
	ds_load_2addr_b32 v[84:85], v53 offset0:1 offset1:2
	ds_load_2addr_b32 v[86:87], v53 offset1:7
	ds_load_b32 v122, v73
	ds_load_b32 v123, v74
	;; [unrolled: 1-line block ×5, first 2 shown]
	ds_load_2addr_b32 v[92:93], v54 offset0:2 offset1:3
	ds_load_2addr_b32 v[94:95], v54 offset0:4 offset1:5
	;; [unrolled: 1-line block ×3, first 2 shown]
	v_add_nc_u32_e32 v77, 0x2080, v54
	v_add_nc_u32_e32 v91, 0x2088, v54
	;; [unrolled: 1-line block ×11, first 2 shown]
	v_dual_add_nc_u32 v55, 4, v55 :: v_dual_add_nc_u32 v76, 4, v76
	v_add_nc_u32_e32 v75, 4, v75
	s_wait_dscnt 0xc
	v_dual_lshlrev_b32 v129, 24, v79 :: v_dual_lshlrev_b32 v130, 16, v79
	s_wait_dscnt 0x3
	v_dual_mul_f32 v122, v90, v122 :: v_dual_lshlrev_b32 v131, 24, v84
	v_add_nc_u32_e32 v102, 0x2090, v54
	ds_load_2addr_b32 v[98:99], v77 offset1:1
	ds_load_2addr_b32 v[100:101], v91 offset1:1
	;; [unrolled: 1-line block ×12, first 2 shown]
	v_dual_lshlrev_b32 v77, 8, v79 :: v_dual_lshlrev_b32 v124, 8, v80
	v_dual_lshlrev_b32 v132, 16, v84 :: v_dual_lshlrev_b32 v135, 24, v85
	;; [unrolled: 1-line block ×8, first 2 shown]
	v_lshlrev_b32_e32 v141, 24, v87
	v_perm_b32 v143, v80, v84, 0x7030c0c
	v_perm_b32 v146, v130, v129, 0xc0c0703
	;; [unrolled: 1-line block ×5, first 2 shown]
	s_wait_dscnt 0x3
	v_perm_b32 v130, v114, v130, 0xc0c0503
	v_perm_b32 v132, v134, v132, 0x7030c0c
	s_wait_dscnt 0x2
	v_perm_b32 v134, v117, v116, 0x5010c0c
	v_perm_b32 v154, v86, v115, 0xc0c0501
	;; [unrolled: 1-line block ×5, first 2 shown]
	v_dot4_i32_iu8 v82, v86, v82, 0 neg_lo:[1,1,0]
	v_perm_b32 v144, v81, v85, 0xc0c0703
	v_perm_b32 v145, v87, v78, 0x7030c0c
	v_lshlrev_b32_e32 v142, 16, v87
	v_dot4_i32_iu8 v98, v86, v98, 0 neg_lo:[1,1,0]
	v_dot4_i32_iu8 v106, v86, v106, 0 neg_lo:[1,1,0]
	v_perm_b32 v84, v84, v91, 0x7030c0c
	v_perm_b32 v80, v80, v124, 0x7030c0c
	;; [unrolled: 1-line block ×18, first 2 shown]
	s_wait_dscnt 0x1
	v_perm_b32 v137, v119, v118, 0xc0c0703
	s_wait_dscnt 0x0
	v_perm_b32 v139, v121, v120, 0x7030c0c
	v_or_b32_e32 v130, v132, v130
	v_or_b32_e32 v132, v134, v154
	;; [unrolled: 1-line block ×4, first 2 shown]
	v_perm_b32 v150, v136, v135, 0xc0c0703
	v_or_b32_e32 v135, v145, v144
	v_or_b32_e32 v86, v114, v86
	;; [unrolled: 1-line block ×4, first 2 shown]
	v_dot4_i32_iu8 v79, v79, v134, 0 neg_lo:[1,1,0]
	v_perm_b32 v85, v85, v125, 0x7030c0c
	v_perm_b32 v81, v81, v126, 0x7030c0c
	;; [unrolled: 1-line block ×9, first 2 shown]
	v_dot4_i32_iu8 v79, v135, v117, v79 neg_lo:[1,1,0]
	v_or_b32_e32 v136, v147, v146
	v_dual_add_nc_u32 v54, 32, v54 :: v_dual_bitop2_b32 v84, v84, v148 bitop3:0x54
	v_or_b32_e32 v80, v80, v149
	v_perm_b32 v121, v142, v140, 0x7030c0c
	s_delay_alu instid0(VALU_DEP_4) | instskip(SKIP_3) | instid1(VALU_DEP_4)
	v_dot4_i32_iu8 v82, v136, v83, v82 neg_lo:[1,1,0]
	v_dot4_i32_iu8 v83, v136, v99, v98 neg_lo:[1,1,0]
	;; [unrolled: 1-line block ×3, first 2 shown]
	v_dual_add_nc_u32 v53, 32, v53 :: v_dual_bitop2_b32 v85, v85, v150 bitop3:0x54
	v_dot4_i32_iu8 v82, v84, v92, v82 neg_lo:[1,1,0]
	s_delay_alu instid0(VALU_DEP_4) | instskip(NEXT) | instid1(VALU_DEP_4)
	v_dot4_i32_iu8 v83, v84, v100, v83 neg_lo:[1,1,0]
	v_dot4_i32_iu8 v84, v84, v108, v98 neg_lo:[1,1,0]
	v_or_b32_e32 v81, v81, v151
	v_or_b32_e32 v129, v131, v129
	v_dot4_i32_iu8 v82, v80, v93, v82 neg_lo:[1,1,0]
	v_dot4_i32_iu8 v83, v80, v101, v83 neg_lo:[1,1,0]
	;; [unrolled: 1-line block ×3, first 2 shown]
	v_or_b32_e32 v131, v133, v157
	v_or_b32_e32 v77, v91, v77
	v_or_b32_e32 v118, v119, v118
	v_or_b32_e32 v99, v121, v120
	v_dot4_i32_iu8 v106, v130, v132, 0 neg_lo:[1,1,0]
	v_dot4_i32_iu8 v82, v85, v94, v82 neg_lo:[1,1,0]
	v_dot4_i32_iu8 v83, v85, v102, v83 neg_lo:[1,1,0]
	v_dot4_i32_iu8 v80, v85, v110, v80 neg_lo:[1,1,0]
	v_perm_b32 v153, v142, v141, 0xc0c0703
	v_or_b32_e32 v78, v78, v152
	v_or_b32_e32 v91, v116, v115
	;; [unrolled: 1-line block ×4, first 2 shown]
	v_dot4_i32_iu8 v77, v77, v86, 0 neg_lo:[1,1,0]
	v_dot4_i32_iu8 v84, v129, v131, 0 neg_lo:[1,1,0]
	;; [unrolled: 1-line block ×6, first 2 shown]
	v_or_b32_e32 v87, v87, v153
	v_dot4_i32_iu8 v77, v114, v91, v77 neg_lo:[1,1,0]
	v_dot4_i32_iu8 v81, v116, v115, v84 neg_lo:[1,1,0]
	v_add_nc_u32_e32 v79, v85, v79
	v_dot4_i32_iu8 v82, v78, v96, v82 neg_lo:[1,1,0]
	v_dot4_i32_iu8 v83, v78, v104, v83 neg_lo:[1,1,0]
	v_dot4_i32_iu8 v78, v78, v112, v80 neg_lo:[1,1,0]
	v_mul_f32_e32 v84, v90, v123
	v_add3_u32 v77, v81, v77, v79
	v_dot4_i32_iu8 v80, v87, v97, v82 neg_lo:[1,1,0]
	v_dot4_i32_iu8 v82, v87, v105, v83 neg_lo:[1,1,0]
	;; [unrolled: 1-line block ×3, first 2 shown]
	v_pk_mul_f32 v[78:79], v[90:91], v[88:89] op_sel_hi:[0,1]
	v_cvt_f32_i32_e32 v81, v77
	v_cvt_f32_i32_e32 v77, v80
	;; [unrolled: 1-line block ×4, first 2 shown]
	v_dual_add_nc_u32 v74, 4, v74 :: v_dual_add_nc_u32 v73, 4, v73
	s_delay_alu instid0(VALU_DEP_4) | instskip(NEXT) | instid1(VALU_DEP_4)
	v_fmac_f32_e32 v57, v122, v77
	v_fmac_f32_e32 v45, v84, v82
	s_delay_alu instid0(VALU_DEP_4) | instskip(SKIP_1) | instid1(SALU_CYCLE_1)
	v_pk_fma_f32 v[16:17], v[78:79], v[80:81], v[16:17]
	s_add_co_i32 s1, s1, 4
	s_cmp_lt_u32 s1, 12
	s_cbranch_scc1 .LBB221_11
; %bb.12:                               ;   in Loop: Header=BB221_5 Depth=1
	s_bitset1_b32 s16, 7
	s_delay_alu instid0(SALU_CYCLE_1)
	s_cmp_ge_i32 s16, s11
	s_barrier_signal -1
	s_barrier_wait -1
	s_cbranch_scc1 .LBB221_4
; %bb.13:                               ;   in Loop: Header=BB221_5 Depth=1
	v_add_nc_u32_e32 v53, s12, v59
	s_delay_alu instid0(VALU_DEP_1) | instskip(SKIP_1) | instid1(SALU_CYCLE_1)
	v_cmp_gt_i32_e64 s1, s5, v53
	s_and_b32 s16, s0, s1
	s_and_saveexec_b32 s1, s16
	s_cbranch_execz .LBB221_15
; %bb.14:                               ;   in Loop: Header=BB221_5 Depth=1
	v_add_nc_u32_e32 v53, v28, v53
	s_delay_alu instid0(VALU_DEP_1)
	v_mad_nc_i64_i32 v[54:55], v53, 36, v[30:31]
	global_load_b32 v53, v[54:55], off offset:4
	s_wait_loadcnt 0x0
	ds_store_b32 v51, v53
.LBB221_15:                             ;   in Loop: Header=BB221_5 Depth=1
	s_or_b32 exec_lo, exec_lo, s1
	s_and_saveexec_b32 s16, vcc_lo
	s_cbranch_execz .LBB221_18
; %bb.16:                               ;   in Loop: Header=BB221_5 Depth=1
	v_or_b32_e32 v53, 4, v52
	s_delay_alu instid0(VALU_DEP_1) | instskip(SKIP_1) | instid1(SALU_CYCLE_1)
	v_cmp_gt_i32_e64 s1, s5, v53
	s_and_b32 s1, s0, s1
	s_and_b32 exec_lo, exec_lo, s1
	s_cbranch_execz .LBB221_18
; %bb.17:                               ;   in Loop: Header=BB221_5 Depth=1
	v_ashrrev_i32_e32 v53, 31, v52
	s_delay_alu instid0(VALU_DEP_1) | instskip(NEXT) | instid1(VALU_DEP_1)
	v_add_nc_u64_e32 v[52:53], v[28:29], v[52:53]
	v_mad_nc_u64_u32 v[54:55], v52, 36, s[2:3]
	s_delay_alu instid0(VALU_DEP_1)
	v_mad_i32_i24 v55, v53, 36, v55
	global_load_b32 v52, v[54:55], off offset:144
	s_wait_loadcnt 0x0
	v_cvt_f32_f16_e32 v52, v52
	ds_store_b32 v56, v52
.LBB221_18:                             ;   in Loop: Header=BB221_5 Depth=1
	s_or_b32 exec_lo, exec_lo, s16
	v_dual_mov_b32 v52, v49 :: v_dual_mov_b32 v53, v47
	v_dual_mov_b32 v54, v68 :: v_dual_mov_b32 v55, v67
	v_dual_mov_b32 v73, v66 :: v_dual_mov_b32 v74, v65
	v_mov_b32_e32 v75, v64
	s_mov_b32 s1, 12
	s_wait_dscnt 0x0
	s_barrier_signal -1
	s_barrier_wait -1
.LBB221_19:                             ;   Parent Loop BB221_5 Depth=1
                                        ; =>  This Inner Loop Header: Depth=2
	ds_load_2addr_b32 v[76:77], v53 offset1:7
	ds_load_2addr_b32 v[78:79], v53 offset0:3 offset1:4
	ds_load_2addr_b32 v[80:81], v53 offset0:5 offset1:6
	;; [unrolled: 1-line block ×3, first 2 shown]
	ds_load_b32 v84, v52
	ds_load_b32 v120, v55
	;; [unrolled: 1-line block ×5, first 2 shown]
	v_add_nc_u32_e32 v85, 0x2080, v54
	v_add_nc_u32_e32 v100, 0x2090, v54
	;; [unrolled: 1-line block ×11, first 2 shown]
	ds_load_2addr_b32 v[88:89], v54 offset1:1
	ds_load_2addr_b32 v[90:91], v54 offset0:2 offset1:3
	ds_load_2addr_b32 v[92:93], v54 offset0:4 offset1:5
	;; [unrolled: 1-line block ×3, first 2 shown]
	v_dual_add_nc_u32 v75, 4, v75 :: v_dual_add_nc_u32 v74, 4, v74
	s_wait_dscnt 0xc
	v_dual_lshlrev_b32 v140, 24, v77 :: v_dual_lshlrev_b32 v141, 16, v77
	s_wait_dscnt 0xb
	v_dual_lshlrev_b32 v128, 24, v79 :: v_dual_lshlrev_b32 v129, 16, v79
	s_wait_dscnt 0x7
	v_mul_f32_e32 v120, v84, v120
	v_add_nc_u32_e32 v98, 0x2088, v54
	v_add_nc_u32_e32 v54, 32, v54
	v_dual_lshlrev_b32 v130, 24, v82 :: v_dual_lshlrev_b32 v131, 16, v82
	ds_load_2addr_b32 v[96:97], v85 offset1:1
	ds_load_2addr_b32 v[98:99], v98 offset1:1
	;; [unrolled: 1-line block ×12, first 2 shown]
	v_dual_lshlrev_b32 v85, 8, v79 :: v_dual_lshlrev_b32 v132, 24, v80
	v_dual_lshlrev_b32 v133, 16, v80 :: v_dual_lshlrev_b32 v122, 8, v82
	v_dual_lshlrev_b32 v123, 8, v80 :: v_dual_lshlrev_b32 v124, 8, v83
	v_dual_lshlrev_b32 v125, 8, v81 :: v_dual_lshlrev_b32 v126, 8, v78
	v_dual_lshlrev_b32 v127, 8, v77 :: v_dual_lshlrev_b32 v134, 24, v83
	v_dual_lshlrev_b32 v135, 16, v83 :: v_dual_lshlrev_b32 v136, 24, v81
	v_dual_lshlrev_b32 v137, 16, v81 :: v_dual_lshlrev_b32 v138, 24, v78
	v_lshlrev_b32_e32 v139, 16, v78
	v_perm_b32 v142, v80, v82, 0x7030c0c
	v_perm_b32 v145, v129, v128, 0xc0c0703
	;; [unrolled: 1-line block ×5, first 2 shown]
	s_wait_dscnt 0x3
	v_perm_b32 v129, v112, v129, 0xc0c0503
	v_perm_b32 v131, v133, v131, 0x7030c0c
	s_wait_dscnt 0x2
	v_perm_b32 v133, v115, v114, 0x5010c0c
	v_perm_b32 v153, v76, v113, 0xc0c0501
	;; [unrolled: 1-line block ×5, first 2 shown]
	v_dot4_i32_iu8 v88, v76, v88, 0 neg_lo:[1,1,0]
	v_perm_b32 v143, v81, v83, 0xc0c0703
	v_perm_b32 v144, v77, v78, 0x7030c0c
	v_dot4_i32_iu8 v96, v76, v96, 0 neg_lo:[1,1,0]
	v_dot4_i32_iu8 v104, v76, v104, 0 neg_lo:[1,1,0]
	v_perm_b32 v82, v82, v122, 0x7030c0c
	v_perm_b32 v80, v80, v123, 0x7030c0c
	;; [unrolled: 1-line block ×14, first 2 shown]
	s_wait_dscnt 0x1
	v_perm_b32 v113, v117, v116, 0xc0c0602
	s_wait_dscnt 0x0
	v_perm_b32 v115, v119, v118, 0x6020c0c
	v_perm_b32 v122, v125, v124, 0xc0c0703
	v_perm_b32 v123, v127, v126, 0x7030c0c
	v_perm_b32 v126, v136, v134, 0xc0c0703
	v_perm_b32 v127, v140, v138, 0x7030c0c
	v_perm_b32 v136, v117, v116, 0xc0c0703
	v_perm_b32 v138, v119, v118, 0x7030c0c
	v_or_b32_e32 v129, v131, v129
	v_or_b32_e32 v131, v133, v153
	;; [unrolled: 1-line block ×4, first 2 shown]
	v_perm_b32 v149, v135, v134, 0xc0c0703
	v_dual_add_nc_u32 v53, 32, v53 :: v_dual_bitop2_b32 v134, v144, v143 bitop3:0x54
	v_or_b32_e32 v85, v112, v85
	v_or_b32_e32 v112, v115, v113
	;; [unrolled: 1-line block ×4, first 2 shown]
	v_dot4_i32_iu8 v79, v79, v133, 0 neg_lo:[1,1,0]
	v_perm_b32 v83, v83, v124, 0x7030c0c
	v_perm_b32 v81, v81, v125, 0x7030c0c
	;; [unrolled: 1-line block ×7, first 2 shown]
	v_dot4_i32_iu8 v79, v134, v122, v79 neg_lo:[1,1,0]
	v_or_b32_e32 v135, v146, v145
	v_or_b32_e32 v82, v82, v147
	;; [unrolled: 1-line block ×4, first 2 shown]
	v_perm_b32 v119, v141, v139, 0x7030c0c
	v_dot4_i32_iu8 v88, v135, v89, v88 neg_lo:[1,1,0]
	v_dot4_i32_iu8 v89, v135, v97, v96 neg_lo:[1,1,0]
	;; [unrolled: 1-line block ×3, first 2 shown]
	v_dual_add_nc_u32 v52, 4, v52 :: v_dual_bitop2_b32 v83, v83, v149 bitop3:0x54
	s_delay_alu instid0(VALU_DEP_4) | instskip(NEXT) | instid1(VALU_DEP_4)
	v_dot4_i32_iu8 v88, v82, v90, v88 neg_lo:[1,1,0]
	v_dot4_i32_iu8 v89, v82, v98, v89 neg_lo:[1,1,0]
	s_delay_alu instid0(VALU_DEP_4)
	v_dot4_i32_iu8 v82, v82, v106, v96 neg_lo:[1,1,0]
	v_dot4_i32_iu8 v76, v85, v76, 0 neg_lo:[1,1,0]
	v_or_b32_e32 v81, v81, v150
	v_dot4_i32_iu8 v85, v80, v91, v88 neg_lo:[1,1,0]
	v_dot4_i32_iu8 v88, v80, v99, v89 neg_lo:[1,1,0]
	;; [unrolled: 1-line block ×3, first 2 shown]
	v_or_b32_e32 v128, v130, v128
	v_or_b32_e32 v130, v132, v156
	;; [unrolled: 1-line block ×4, first 2 shown]
	v_dot4_i32_iu8 v104, v129, v131, 0 neg_lo:[1,1,0]
	v_dot4_i32_iu8 v85, v83, v92, v85 neg_lo:[1,1,0]
	v_dot4_i32_iu8 v88, v83, v100, v88 neg_lo:[1,1,0]
	v_dot4_i32_iu8 v80, v83, v108, v80 neg_lo:[1,1,0]
	v_perm_b32 v152, v141, v140, 0xc0c0703
	v_or_b32_e32 v78, v78, v151
	v_or_b32_e32 v114, v125, v124
	v_or_b32_e32 v115, v127, v126
	v_dot4_i32_iu8 v82, v128, v130, 0 neg_lo:[1,1,0]
	v_dot4_i32_iu8 v83, v97, v116, v104 neg_lo:[1,1,0]
	;; [unrolled: 1-line block ×5, first 2 shown]
	v_or_b32_e32 v77, v77, v152
	v_dot4_i32_iu8 v76, v113, v112, v76 neg_lo:[1,1,0]
	v_dot4_i32_iu8 v81, v115, v114, v82 neg_lo:[1,1,0]
	v_add_nc_u32_e32 v79, v83, v79
	v_dot4_i32_iu8 v82, v78, v94, v85 neg_lo:[1,1,0]
	v_dot4_i32_iu8 v83, v78, v102, v88 neg_lo:[1,1,0]
	;; [unrolled: 1-line block ×3, first 2 shown]
	v_mul_f32_e32 v80, v84, v121
	v_add3_u32 v79, v81, v76, v79
	v_dot4_i32_iu8 v81, v77, v95, v82 neg_lo:[1,1,0]
	v_dot4_i32_iu8 v82, v77, v103, v83 neg_lo:[1,1,0]
	;; [unrolled: 1-line block ×3, first 2 shown]
	v_pk_mul_f32 v[76:77], v[84:85], v[86:87] op_sel_hi:[0,1]
	v_cvt_f32_i32_e32 v79, v79
	v_cvt_f32_i32_e32 v81, v81
	;; [unrolled: 1-line block ×4, first 2 shown]
	v_dual_add_nc_u32 v73, 4, v73 :: v_dual_add_nc_u32 v55, 4, v55
	s_delay_alu instid0(VALU_DEP_4) | instskip(NEXT) | instid1(VALU_DEP_4)
	v_fmac_f32_e32 v57, v120, v81
	v_fmac_f32_e32 v45, v80, v82
	s_delay_alu instid0(VALU_DEP_4) | instskip(SKIP_1) | instid1(SALU_CYCLE_1)
	v_pk_fma_f32 v[16:17], v[76:77], v[78:79], v[16:17]
	s_add_co_i32 s1, s1, 4
	s_cmp_lt_u32 s1, 28
	s_cbranch_scc1 .LBB221_19
; %bb.20:                               ;   in Loop: Header=BB221_5 Depth=1
	s_barrier_signal -1
	s_barrier_wait -1
	s_branch .LBB221_4
.LBB221_21:
	s_mul_i32 s0, s7, s4
	s_wait_loadcnt 0x0
	v_cmp_gt_i32_e32 vcc_lo, s0, v1
	s_and_saveexec_b32 s0, vcc_lo
	s_cbranch_execz .LBB221_30
; %bb.22:
	v_mul_lo_u32 v0, v1, s6
	v_add_nc_u32_e32 v1, s18, v3
	s_mov_b32 s0, exec_lo
	s_delay_alu instid0(VALU_DEP_1)
	v_cmpx_gt_u32_e64 s6, v1
	s_cbranch_execz .LBB221_24
; %bb.23:
	v_bfe_u32 v2, v57, 16, 1
	v_cmp_o_f32_e32 vcc_lo, v57, v57
	v_add_nc_u32_e32 v3, v0, v1
	s_delay_alu instid0(VALU_DEP_3) | instskip(NEXT) | instid1(VALU_DEP_1)
	v_add3_u32 v2, v57, v2, 0x7fff
	v_lshrrev_b32_e32 v2, 16, v2
	s_delay_alu instid0(VALU_DEP_1)
	v_cndmask_b32_e32 v2, 0x7fc0, v2, vcc_lo
	global_store_b16 v3, v2, s[8:9] scale_offset
.LBB221_24:
	s_wait_xcnt 0x0
	s_or_b32 exec_lo, exec_lo, s0
	v_add_nc_u32_e32 v2, 32, v1
	s_mov_b32 s0, exec_lo
	s_delay_alu instid0(VALU_DEP_1)
	v_cmpx_gt_u32_e64 s6, v2
	s_cbranch_execz .LBB221_26
; %bb.25:
	v_bfe_u32 v3, v45, 16, 1
	v_cmp_o_f32_e32 vcc_lo, v45, v45
	v_add_nc_u32_e32 v2, v0, v2
	s_delay_alu instid0(VALU_DEP_3) | instskip(NEXT) | instid1(VALU_DEP_1)
	v_add3_u32 v3, v45, v3, 0x7fff
	v_lshrrev_b32_e32 v3, 16, v3
	s_delay_alu instid0(VALU_DEP_1)
	v_cndmask_b32_e32 v3, 0x7fc0, v3, vcc_lo
	global_store_b16 v2, v3, s[8:9] scale_offset
.LBB221_26:
	s_wait_xcnt 0x0
	s_or_b32 exec_lo, exec_lo, s0
	;; [unrolled: 18-line block ×3, first 2 shown]
	v_add_nc_u32_e32 v1, 0x60, v1
	s_delay_alu instid0(VALU_DEP_1)
	v_cmp_gt_u32_e32 vcc_lo, s6, v1
	s_and_b32 exec_lo, exec_lo, vcc_lo
	s_cbranch_execz .LBB221_30
; %bb.29:
	v_bfe_u32 v2, v17, 16, 1
	v_cmp_o_f32_e32 vcc_lo, v17, v17
	v_add_nc_u32_e32 v0, v0, v1
	s_delay_alu instid0(VALU_DEP_3) | instskip(NEXT) | instid1(VALU_DEP_1)
	v_add3_u32 v2, v17, v2, 0x7fff
	v_lshrrev_b32_e32 v2, 16, v2
	s_delay_alu instid0(VALU_DEP_1)
	v_cndmask_b32_e32 v2, 0x7fc0, v2, vcc_lo
	global_store_b16 v0, v2, s[8:9] scale_offset
.LBB221_30:
	s_sendmsg sendmsg(MSG_DEALLOC_VGPRS)
	s_endpgm
	.section	.rodata,"a",@progbits
	.p2align	6, 0x0
	.amdhsa_kernel _ZL8moe_q5_0IN3c108BFloat16ELb0EEvPKvS3_PT_PKiS7_S7_iiiiiii
		.amdhsa_group_segment_fixed_size 38656
		.amdhsa_private_segment_fixed_size 0
		.amdhsa_kernarg_size 76
		.amdhsa_user_sgpr_count 2
		.amdhsa_user_sgpr_dispatch_ptr 0
		.amdhsa_user_sgpr_queue_ptr 0
		.amdhsa_user_sgpr_kernarg_segment_ptr 1
		.amdhsa_user_sgpr_dispatch_id 0
		.amdhsa_user_sgpr_kernarg_preload_length 0
		.amdhsa_user_sgpr_kernarg_preload_offset 0
		.amdhsa_user_sgpr_private_segment_size 0
		.amdhsa_wavefront_size32 1
		.amdhsa_uses_dynamic_stack 0
		.amdhsa_enable_private_segment 0
		.amdhsa_system_sgpr_workgroup_id_x 1
		.amdhsa_system_sgpr_workgroup_id_y 1
		.amdhsa_system_sgpr_workgroup_id_z 0
		.amdhsa_system_sgpr_workgroup_info 0
		.amdhsa_system_vgpr_workitem_id 1
		.amdhsa_next_free_vgpr 159
		.amdhsa_next_free_sgpr 21
		.amdhsa_named_barrier_count 0
		.amdhsa_reserve_vcc 1
		.amdhsa_float_round_mode_32 0
		.amdhsa_float_round_mode_16_64 0
		.amdhsa_float_denorm_mode_32 3
		.amdhsa_float_denorm_mode_16_64 3
		.amdhsa_fp16_overflow 0
		.amdhsa_memory_ordered 1
		.amdhsa_forward_progress 1
		.amdhsa_inst_pref_size 99
		.amdhsa_round_robin_scheduling 0
		.amdhsa_exception_fp_ieee_invalid_op 0
		.amdhsa_exception_fp_denorm_src 0
		.amdhsa_exception_fp_ieee_div_zero 0
		.amdhsa_exception_fp_ieee_overflow 0
		.amdhsa_exception_fp_ieee_underflow 0
		.amdhsa_exception_fp_ieee_inexact 0
		.amdhsa_exception_int_div_zero 0
	.end_amdhsa_kernel
	.section	.text._ZL8moe_q5_0IN3c108BFloat16ELb0EEvPKvS3_PT_PKiS7_S7_iiiiiii,"axG",@progbits,_ZL8moe_q5_0IN3c108BFloat16ELb0EEvPKvS3_PT_PKiS7_S7_iiiiiii,comdat
.Lfunc_end221:
	.size	_ZL8moe_q5_0IN3c108BFloat16ELb0EEvPKvS3_PT_PKiS7_S7_iiiiiii, .Lfunc_end221-_ZL8moe_q5_0IN3c108BFloat16ELb0EEvPKvS3_PT_PKiS7_S7_iiiiiii
                                        ; -- End function
	.set _ZL8moe_q5_0IN3c108BFloat16ELb0EEvPKvS3_PT_PKiS7_S7_iiiiiii.num_vgpr, 159
	.set _ZL8moe_q5_0IN3c108BFloat16ELb0EEvPKvS3_PT_PKiS7_S7_iiiiiii.num_agpr, 0
	.set _ZL8moe_q5_0IN3c108BFloat16ELb0EEvPKvS3_PT_PKiS7_S7_iiiiiii.numbered_sgpr, 21
	.set _ZL8moe_q5_0IN3c108BFloat16ELb0EEvPKvS3_PT_PKiS7_S7_iiiiiii.num_named_barrier, 0
	.set _ZL8moe_q5_0IN3c108BFloat16ELb0EEvPKvS3_PT_PKiS7_S7_iiiiiii.private_seg_size, 0
	.set _ZL8moe_q5_0IN3c108BFloat16ELb0EEvPKvS3_PT_PKiS7_S7_iiiiiii.uses_vcc, 1
	.set _ZL8moe_q5_0IN3c108BFloat16ELb0EEvPKvS3_PT_PKiS7_S7_iiiiiii.uses_flat_scratch, 0
	.set _ZL8moe_q5_0IN3c108BFloat16ELb0EEvPKvS3_PT_PKiS7_S7_iiiiiii.has_dyn_sized_stack, 0
	.set _ZL8moe_q5_0IN3c108BFloat16ELb0EEvPKvS3_PT_PKiS7_S7_iiiiiii.has_recursion, 0
	.set _ZL8moe_q5_0IN3c108BFloat16ELb0EEvPKvS3_PT_PKiS7_S7_iiiiiii.has_indirect_call, 0
	.section	.AMDGPU.csdata,"",@progbits
; Kernel info:
; codeLenInByte = 12556
; TotalNumSgprs: 23
; NumVgprs: 159
; ScratchSize: 0
; MemoryBound: 0
; FloatMode: 240
; IeeeMode: 1
; LDSByteSize: 38656 bytes/workgroup (compile time only)
; SGPRBlocks: 0
; VGPRBlocks: 9
; NumSGPRsForWavesPerEU: 23
; NumVGPRsForWavesPerEU: 159
; NamedBarCnt: 0
; Occupancy: 6
; WaveLimiterHint : 1
; COMPUTE_PGM_RSRC2:SCRATCH_EN: 0
; COMPUTE_PGM_RSRC2:USER_SGPR: 2
; COMPUTE_PGM_RSRC2:TRAP_HANDLER: 0
; COMPUTE_PGM_RSRC2:TGID_X_EN: 1
; COMPUTE_PGM_RSRC2:TGID_Y_EN: 1
; COMPUTE_PGM_RSRC2:TGID_Z_EN: 0
; COMPUTE_PGM_RSRC2:TIDIG_COMP_CNT: 1
	.section	.text._ZL8moe_q5_0IN3c108BFloat16ELb1EEvPKvS3_PT_PKiS7_S7_iiiiiii,"axG",@progbits,_ZL8moe_q5_0IN3c108BFloat16ELb1EEvPKvS3_PT_PKiS7_S7_iiiiiii,comdat
	.globl	_ZL8moe_q5_0IN3c108BFloat16ELb1EEvPKvS3_PT_PKiS7_S7_iiiiiii ; -- Begin function _ZL8moe_q5_0IN3c108BFloat16ELb1EEvPKvS3_PT_PKiS7_S7_iiiiiii
	.p2align	8
	.type	_ZL8moe_q5_0IN3c108BFloat16ELb1EEvPKvS3_PT_PKiS7_S7_iiiiiii,@function
_ZL8moe_q5_0IN3c108BFloat16ELb1EEvPKvS3_PT_PKiS7_S7_iiiiiii: ; @_ZL8moe_q5_0IN3c108BFloat16ELb1EEvPKvS3_PT_PKiS7_S7_iiiiiii
; %bb.0:
	s_load_b128 s[4:7], s[0:1], 0x18
	s_bfe_u32 s2, ttmp6, 0x40010
	s_bfe_u32 s8, ttmp6, 0x40004
	s_add_co_i32 s2, s2, 1
	s_delay_alu instid0(SALU_CYCLE_1)
	s_mul_i32 s3, ttmp7, s2
	s_getreg_b32 s2, hwreg(HW_REG_IB_STS2, 6, 4)
	s_add_co_i32 s8, s8, s3
	s_cmp_eq_u32 s2, 0
	s_cselect_b32 s3, ttmp7, s8
	s_wait_kmcnt 0x0
	s_load_b32 s14, s[6:7], s3 offset:0x0 scale_offset
	s_wait_kmcnt 0x0
	s_cmp_gt_u32 s14, 0xff
	s_cbranch_scc1 .LBB222_30
; %bb.1:
	s_load_b64 s[6:7], s[0:1], 0x28
	s_lshl_b32 s3, s3, 3
	s_wait_kmcnt 0x0
	s_load_b32 s6, s[6:7], 0x0
	s_wait_kmcnt 0x0
	s_cmp_gt_u32 s3, s6
	s_cbranch_scc1 .LBB222_30
; %bb.2:
	v_bfe_u32 v9, v0, 10, 10
	s_and_b32 s11, ttmp6, 15
	v_and_b32_e32 v5, 0x3ff, v0
	s_mov_b32 s15, 0
	s_delay_alu instid0(VALU_DEP_2) | instskip(SKIP_1) | instid1(SALU_CYCLE_1)
	v_dual_mov_b32 v7, 0 :: v_dual_add_nc_u32 v1, s3, v9
	s_bfe_u32 s3, ttmp6, 0x4000c
	s_add_co_i32 s3, s3, 1
	s_delay_alu instid0(VALU_DEP_1)
	v_dual_mov_b32 v6, v7 :: v_dual_mov_b32 v66, v7
	global_load_b32 v1, v1, s[4:5] scale_offset
	s_wait_xcnt 0x0
	s_clause 0x2
	s_load_b128 s[4:7], s[0:1], 0x30
	s_load_b64 s[12:13], s[0:1], 0x10
	s_load_b96 s[8:10], s[0:1], 0x40
	s_mul_i32 s3, ttmp9, s3
	v_mov_b32_e32 v75, v7
	s_add_co_i32 s11, s11, s3
	s_cmp_eq_u32 s2, 0
	s_cselect_b32 s2, ttmp9, s11
	s_delay_alu instid0(SALU_CYCLE_1)
	s_lshl_b32 s11, s2, 7
	s_wait_kmcnt 0x0
	s_cmp_lt_i32 s5, 32
	s_cbranch_scc1 .LBB222_21
; %bb.3:
	s_load_b128 s[0:3], s[0:1], 0x0
	s_mul_i32 s18, s14, s4
	v_bfe_u32 v29, v0, 3, 7
	s_ashr_i32 s19, s18, 31
	s_not_b32 s4, s11
	s_ashr_i32 s16, s5, 31
	s_add_co_i32 s20, s6, s4
	v_lshl_add_u32 v7, v9, 2, v29
	s_ashr_i32 s17, s8, 31
	s_lshr_b32 s14, s16, 27
	s_lshr_b32 s16, s17, 27
	v_dual_mov_b32 v3, 0 :: v_dual_lshlrev_b32 v10, 2, v5
	v_min_i32_e32 v44, s20, v7
	s_add_co_i32 s6, s8, s16
	v_add_min_i32_e64 v46, v7, 32, s20
	s_delay_alu instid0(VALU_DEP_3)
	v_dual_lshlrev_b32 v6, 3, v5 :: v_dual_bitop2_b32 v2, 12, v10 bitop3:0x40
	v_add_min_i32_e64 v14, v9, 8, s20
	v_add_min_i32_e64 v16, v9, 16, s20
	s_wait_kmcnt 0x0
	s_add_nc_u64 s[18:19], s[0:1], s[18:19]
	s_abs_i32 s0, s10
	v_add_min_i32_e64 v18, v9, 24, s20
	s_cvt_f32_u32 s1, s0
	s_sub_co_i32 s8, 0, s0
	v_add_min_i32_e64 v20, v9, 32, s20
	v_add_min_i32_e64 v22, v9, 40, s20
	v_rcp_iflag_f32_e32 v4, s1
	v_add_min_i32_e64 v24, v9, 48, s20
	v_add_min_i32_e64 v26, v9, 56, s20
	v_add_min_i32_e64 v28, v9, 64, s20
	v_add_min_i32_e64 v30, 0x48, v9, s20
	v_add_min_i32_e64 v32, 0x50, v9, s20
	v_add_min_i32_e64 v34, 0x58, v9, s20
	v_readfirstlane_b32 s1, v4
	s_wait_loadcnt 0x0
	v_sub_nc_u32_e32 v4, 0, v1
	v_dual_ashrrev_i32 v8, 31, v44 :: v_dual_min_i32 v12, s20, v9
	v_ashrrev_i32_e32 v43, 31, v46
	s_mul_f32 s1, s1, 0x4f7ffffe
	s_delay_alu instid0(VALU_DEP_3)
	v_max_i32_e32 v11, v1, v4
	v_add_min_i32_e64 v36, 0x60, v9, s20
	v_lshrrev_b32_e32 v4, 30, v8
	s_cvt_u32_f32 s1, s1
	v_add_min_i32_e64 v38, 0x68, v9, s20
	v_add_min_i32_e64 v42, 0x70, v9, s20
	;; [unrolled: 1-line block ×3, first 2 shown]
	s_mul_i32 s8, s8, s1
	v_add_nc_u32_e32 v40, v44, v4
	s_mul_hi_u32 s8, s1, s8
	v_dual_lshrrev_b32 v50, 30, v43 :: v_dual_bitop2_b32 v4, 7, v0 bitop3:0x40
	s_add_co_i32 s1, s1, s8
	v_add_min_i32_e64 v52, v7, 64, s20
	v_mul_hi_u32 v8, v11, s1
	s_delay_alu instid0(VALU_DEP_3)
	v_lshlrev_b32_e32 v49, 2, v4
	v_add_min_i32_e64 v53, 0x60, v7, s20
	v_mad_u32 v13, 0x104, v12, v6
	v_mad_u32 v15, 0x104, v14, v6
	;; [unrolled: 1-line block ×8, first 2 shown]
	v_mul_lo_u32 v47, v8, s0
	v_and_b32_e32 v40, -4, v40
	v_mad_u32 v31, 0x104, v28, v6
	v_mad_u32 v33, 0x104, v30, v6
	;; [unrolled: 1-line block ×8, first 2 shown]
	v_dual_ashrrev_i32 v51, 31, v53 :: v_dual_sub_nc_u32 v11, v11, v47
	v_add3_u32 v6, v40, v49, 0x8200
	v_dual_add_nc_u32 v40, v46, v50 :: v_dual_lshlrev_b32 v50, 5, v44
	v_add_nc_u32_e32 v47, 1, v8
	s_delay_alu instid0(VALU_DEP_4)
	v_subrev_nc_u32_e32 v54, s0, v11
	v_cmp_le_u32_e32 vcc_lo, s0, v11
	v_ashrrev_i32_e32 v7, 31, v52
	v_and_b32_e32 v57, 0xfc, v0
	s_ashr_i32 s6, s6, 5
	v_dual_lshlrev_b32 v60, 5, v53 :: v_dual_cndmask_b32 v8, v8, v47, vcc_lo
	s_delay_alu instid0(VALU_DEP_3) | instskip(SKIP_1) | instid1(VALU_DEP_3)
	v_dual_lshrrev_b32 v7, 30, v7 :: v_dual_bitop2_b32 v40, -4, v40 bitop3:0x40
	v_dual_lshrrev_b32 v47, 30, v51 :: v_dual_bitop2_b32 v51, s10, v1 bitop3:0x14
	v_dual_cndmask_b32 v11, v11, v54 :: v_dual_add_nc_u32 v54, 1, v8
	s_delay_alu instid0(VALU_DEP_3) | instskip(NEXT) | instid1(VALU_DEP_4)
	v_add_nc_u32_e32 v7, v52, v7
	v_add3_u32 v40, v40, v49, 0x8200
	s_delay_alu instid0(VALU_DEP_4) | instskip(NEXT) | instid1(VALU_DEP_4)
	v_ashrrev_i32_e32 v51, 31, v51
	v_cmp_le_u32_e32 vcc_lo, s0, v11
	v_add_nc_u32_e32 v47, v53, v47
	v_dual_add_nc_u32 v55, 32, v5 :: v_dual_bitop2_b32 v7, -4, v7 bitop3:0x40
	v_dual_lshlrev_b32 v58, 5, v52 :: v_dual_cndmask_b32 v8, v8, v54, vcc_lo
	s_delay_alu instid0(VALU_DEP_3) | instskip(NEXT) | instid1(VALU_DEP_3)
	v_dual_lshlrev_b32 v54, 5, v46 :: v_dual_bitop2_b32 v11, -4, v47 bitop3:0x40
	v_add3_u32 v7, v7, v49, 0x8200
	v_add_nc_u32_e32 v47, 0x60, v5
	v_lshl_add_u32 v61, v9, 7, 0x9280
	s_delay_alu instid0(VALU_DEP_4) | instskip(SKIP_1) | instid1(VALU_DEP_4)
	v_add3_u32 v11, v11, v49, 0x8200
	v_dual_add_nc_u32 v49, 64, v5 :: v_dual_bitop2_b32 v8, v8, v51 bitop3:0x14
	v_and_b32_e32 v47, 0x1fc, v47
	s_add_co_i32 s14, s5, s14
	v_lshl_add_u32 v62, v9, 4, 0x9680
	s_delay_alu instid0(VALU_DEP_3)
	v_and_b32_e32 v49, 0x1fc, v49
	v_dual_sub_nc_u32 v56, v8, v51 :: v_dual_lshlrev_b32 v8, 5, v5
	v_and_b32_e32 v51, 0x1fc, v55
	s_ashr_i32 s4, s14, 5
	v_cmp_gt_u32_e32 vcc_lo, 4, v5
	v_mul_lo_u32 v12, v12, s4
	v_dual_add_nc_u32 v59, v8, v47 :: v_dual_add_nc_u32 v66, v8, v49
	v_dual_add_nc_u32 v72, v8, v51 :: v_dual_add_nc_u32 v57, v8, v57
	v_dual_add_nc_u32 v47, v6, v50 :: v_dual_bitop2_b32 v50, 31, v0 bitop3:0x40
	v_add_nc_u32_e32 v49, v40, v54
	v_mul_lo_u32 v8, v56, s6
	v_dual_add_nc_u32 v51, v7, v58 :: v_dual_lshrrev_b32 v65, 3, v55
	v_dual_add_nc_u32 v60, v11, v60 :: v_dual_bitop2_b32 v6, 28, v10 bitop3:0x40
	v_dual_mov_b32 v7, v3 :: v_dual_add_nc_u32 v64, v62, v10
	v_lshl_or_b32 v63, v50, 2, v61
	v_mul_lo_u32 v14, v14, s4
	v_mul_lo_u32 v16, v16, s4
	;; [unrolled: 1-line block ×19, first 2 shown]
	s_mul_i32 s16, s4, s11
	v_cmp_gt_i32_e64 s0, s7, v56
	v_add_nc_u64_e32 v[10:11], s[2:3], v[6:7]
	s_movk_i32 s1, 0x80
	s_ashr_i32 s17, s16, 31
	v_dual_ashrrev_i32 v9, 31, v8 :: v_dual_mov_b32 v75, v3
	v_add_nc_u32_e32 v67, 0x8e00, v59
	v_add_nc_u32_e32 v68, 0x8e10, v59
	;; [unrolled: 1-line block ×8, first 2 shown]
	v_mov_b32_e32 v6, v3
	v_bfe_u32 v0, v0, 2, 8
	v_mad_u32_u24 v76, 0x104, v5, s1
	v_mov_b32_e32 v66, v3
	s_mul_u64 s[16:17], s[16:17], 22
	s_and_b32 s8, vcc_lo, s0
	s_add_nc_u64 s[16:17], s[18:19], s[16:17]
	s_mov_b32 s14, s15
	s_branch .LBB222_5
.LBB222_4:                              ;   in Loop: Header=BB222_5 Depth=1
	s_add_co_i32 s14, s14, 8
	s_delay_alu instid0(SALU_CYCLE_1)
	s_cmp_ge_i32 s14, s4
	s_cbranch_scc1 .LBB222_21
.LBB222_5:                              ; =>This Loop Header: Depth=1
                                        ;     Child Loop BB222_11 Depth 2
                                        ;     Child Loop BB222_19 Depth 2
	s_mul_u64 s[18:19], s[14:15], 22
	s_delay_alu instid0(SALU_CYCLE_1) | instskip(NEXT) | instid1(SALU_CYCLE_1)
	s_add_nc_u64 s[18:19], s[16:17], s[18:19]
	v_mad_nc_u64_u32 v[52:53], v0, 22, s[18:19]
	s_delay_alu instid0(VALU_DEP_1) | instskip(SKIP_1) | instid1(VALU_DEP_2)
	v_mad_nc_i64_i32 v[54:55], v18, 22, v[52:53]
	v_mad_nc_i64_i32 v[56:57], v16, 22, v[52:53]
	v_add_nc_u64_e32 v[58:59], v[54:55], v[2:3]
	s_delay_alu instid0(VALU_DEP_2)
	v_add_nc_u64_e32 v[80:81], v[56:57], v[2:3]
	s_clause 0x1
	global_load_b32 v77, v[58:59], off offset:6
	global_load_b32 v78, v[80:81], off offset:6
	s_wait_xcnt 0x1
	v_mad_nc_i64_i32 v[58:59], v14, 22, v[52:53]
	s_clause 0x1
	global_load_b32 v56, v[56:57], off offset:2
	global_load_b32 v54, v[54:55], off offset:2
	s_wait_xcnt 0x2
	v_add_nc_u64_e32 v[80:81], v[58:59], v[2:3]
	s_clause 0x1
	global_load_b32 v58, v[58:59], off offset:2
	global_load_b32 v79, v[80:81], off offset:6
	s_wait_xcnt 0x0
	v_mad_nc_i64_i32 v[80:81], v12, 22, v[52:53]
	global_load_b32 v82, v[80:81], off offset:2
	s_wait_xcnt 0x0
	v_add_nc_u64_e32 v[80:81], v[80:81], v[2:3]
	global_load_b32 v80, v[80:81], off offset:6
	s_wait_loadcnt 0x4
	v_dual_ashrrev_i32 v89, v2, v56 :: v_dual_ashrrev_i32 v92, v2, v54
	s_delay_alu instid0(VALU_DEP_1) | instskip(SKIP_1) | instid1(VALU_DEP_1)
	v_dual_lshlrev_b32 v56, 4, v89 :: v_dual_lshlrev_b32 v54, 4, v92
	s_wait_loadcnt 0x3
	v_dual_ashrrev_i32 v86, v2, v58 :: v_dual_bitop2_b32 v56, 16, v56 bitop3:0x40
	s_delay_alu instid0(VALU_DEP_2) | instskip(NEXT) | instid1(VALU_DEP_2)
	v_dual_lshlrev_b32 v57, 11, v89 :: v_dual_bitop2_b32 v54, 16, v54 bitop3:0x40
	v_dual_lshlrev_b32 v55, 11, v92 :: v_dual_lshlrev_b32 v58, 4, v86
	s_delay_alu instid0(VALU_DEP_2) | instskip(NEXT) | instid1(VALU_DEP_2)
	v_and_b32_e32 v57, 0x1000, v57
	v_and_b32_e32 v55, 0x1000, v55
	s_delay_alu instid0(VALU_DEP_3) | instskip(SKIP_1) | instid1(VALU_DEP_1)
	v_and_b32_e32 v58, 16, v58
	v_lshlrev_b32_e32 v59, 11, v86
	v_and_b32_e32 v59, 0x1000, v59
	s_wait_loadcnt 0x1
	s_wait_xcnt 0x0
	v_ashrrev_i32_e32 v81, v2, v82
	s_delay_alu instid0(VALU_DEP_1) | instskip(SKIP_2) | instid1(VALU_DEP_2)
	v_lshlrev_b32_e32 v82, 4, v81
	s_wait_loadcnt 0x0
	v_and_b32_e32 v84, 0xf0f0f0f, v80
	v_dual_lshlrev_b32 v83, 11, v81 :: v_dual_bitop2_b32 v82, 16, v82 bitop3:0x40
	v_lshrrev_b32_e32 v80, 4, v80
	s_delay_alu instid0(VALU_DEP_2) | instskip(NEXT) | instid1(VALU_DEP_1)
	v_and_b32_e32 v83, 0x1000, v83
	v_or3_b32 v85, v82, v84, v83
	v_dual_lshlrev_b32 v82, 18, v81 :: v_dual_lshlrev_b32 v83, 25, v81
	s_delay_alu instid0(VALU_DEP_1) | instskip(NEXT) | instid1(VALU_DEP_2)
	v_and_b32_e32 v82, 0x100000, v82
	v_and_b32_e32 v83, 0x10000000, v83
	s_delay_alu instid0(VALU_DEP_1) | instskip(SKIP_2) | instid1(VALU_DEP_2)
	v_or3_b32 v84, v84, v82, v83
	v_and_b32_e32 v82, 0xf0f0f0f, v79
	v_lshrrev_b32_e32 v79, 4, v79
	v_or3_b32 v87, v58, v82, v59
	v_dual_lshlrev_b32 v58, 18, v86 :: v_dual_lshlrev_b32 v59, 25, v86
	s_delay_alu instid0(VALU_DEP_1) | instskip(NEXT) | instid1(VALU_DEP_2)
	v_and_b32_e32 v58, 0x100000, v58
	v_and_b32_e32 v59, 0x10000000, v59
	s_delay_alu instid0(VALU_DEP_1) | instskip(SKIP_2) | instid1(VALU_DEP_2)
	v_or3_b32 v88, v82, v58, v59
	v_and_b32_e32 v58, 0xf0f0f0f, v78
	v_lshrrev_b32_e32 v78, 4, v78
	;; [unrolled: 9-line block ×3, first 2 shown]
	v_or3_b32 v93, v54, v56, v55
	v_dual_lshlrev_b32 v54, 18, v92 :: v_dual_lshlrev_b32 v55, 25, v92
	s_delay_alu instid0(VALU_DEP_1) | instskip(NEXT) | instid1(VALU_DEP_2)
	v_and_b32_e32 v54, 0x100000, v54
	v_and_b32_e32 v55, 0x10000000, v55
	s_delay_alu instid0(VALU_DEP_1) | instskip(SKIP_1) | instid1(VALU_DEP_1)
	v_or3_b32 v94, v56, v54, v55
	v_mad_nc_i64_i32 v[54:55], v26, 22, v[52:53]
	v_add_nc_u64_e32 v[56:57], v[54:55], v[2:3]
	s_clause 0x1
	global_load_b32 v54, v[54:55], off offset:2
	global_load_b32 v95, v[56:57], off offset:6
	s_wait_xcnt 0x0
	v_mad_nc_i64_i32 v[56:57], v24, 22, v[52:53]
	s_delay_alu instid0(VALU_DEP_1)
	v_add_nc_u64_e32 v[58:59], v[56:57], v[2:3]
	s_clause 0x1
	global_load_b32 v56, v[56:57], off offset:2
	global_load_b32 v96, v[58:59], off offset:6
	s_wait_xcnt 0x0
	v_mad_nc_i64_i32 v[58:59], v22, 22, v[52:53]
	s_delay_alu instid0(VALU_DEP_1)
	v_add_nc_u64_e32 v[82:83], v[58:59], v[2:3]
	s_clause 0x1
	global_load_b32 v58, v[58:59], off offset:2
	global_load_b32 v97, v[82:83], off offset:6
	s_wait_xcnt 0x0
	v_mad_nc_i64_i32 v[82:83], v20, 22, v[52:53]
	global_load_b32 v98, v[82:83], off offset:2
	s_wait_xcnt 0x0
	v_add_nc_u64_e32 v[82:83], v[82:83], v[2:3]
	global_load_b32 v99, v[82:83], off offset:6
	s_wait_loadcnt 0x7
	v_ashrrev_i32_e32 v108, v2, v54
	s_delay_alu instid0(VALU_DEP_1) | instskip(NEXT) | instid1(VALU_DEP_1)
	v_lshlrev_b32_e32 v54, 4, v108
	v_dual_lshlrev_b32 v55, 11, v108 :: v_dual_bitop2_b32 v54, 16, v54 bitop3:0x40
	s_delay_alu instid0(VALU_DEP_1) | instskip(SKIP_2) | instid1(VALU_DEP_1)
	v_and_b32_e32 v55, 0x1000, v55
	s_wait_loadcnt 0x5
	v_ashrrev_i32_e32 v105, v2, v56
	v_dual_lshlrev_b32 v56, 4, v105 :: v_dual_lshlrev_b32 v57, 11, v105
	s_delay_alu instid0(VALU_DEP_1) | instskip(NEXT) | instid1(VALU_DEP_2)
	v_and_b32_e32 v56, 16, v56
	v_and_b32_e32 v57, 0x1000, v57
	s_wait_loadcnt 0x3
	v_ashrrev_i32_e32 v102, v2, v58
	s_delay_alu instid0(VALU_DEP_1) | instskip(NEXT) | instid1(VALU_DEP_1)
	v_lshlrev_b32_e32 v58, 4, v102
	v_and_b32_e32 v58, 16, v58
	v_lshlrev_b32_e32 v59, 11, v102
	s_delay_alu instid0(VALU_DEP_1) | instskip(SKIP_3) | instid1(VALU_DEP_1)
	v_and_b32_e32 v59, 0x1000, v59
	s_wait_loadcnt 0x1
	v_ashrrev_i32_e32 v98, v2, v98
	s_wait_xcnt 0x0
	v_dual_lshlrev_b32 v82, 4, v98 :: v_dual_lshlrev_b32 v83, 11, v98
	s_wait_loadcnt 0x0
	v_and_b32_e32 v100, 0xf0f0f0f, v99
	s_delay_alu instid0(VALU_DEP_2) | instskip(NEXT) | instid1(VALU_DEP_3)
	v_and_b32_e32 v82, 16, v82
	v_and_b32_e32 v83, 0x1000, v83
	s_delay_alu instid0(VALU_DEP_1) | instskip(SKIP_1) | instid1(VALU_DEP_1)
	v_or3_b32 v101, v82, v100, v83
	v_dual_lshlrev_b32 v82, 18, v98 :: v_dual_lshlrev_b32 v83, 25, v98
	v_and_b32_e32 v82, 0x100000, v82
	s_delay_alu instid0(VALU_DEP_2) | instskip(NEXT) | instid1(VALU_DEP_1)
	v_and_b32_e32 v83, 0x10000000, v83
	v_or3_b32 v100, v100, v82, v83
	v_and_b32_e32 v82, 0xf0f0f0f, v97
	s_delay_alu instid0(VALU_DEP_1) | instskip(SKIP_1) | instid1(VALU_DEP_1)
	v_or3_b32 v103, v58, v82, v59
	v_dual_lshlrev_b32 v58, 18, v102 :: v_dual_lshlrev_b32 v59, 25, v102
	v_and_b32_e32 v58, 0x100000, v58
	s_delay_alu instid0(VALU_DEP_2) | instskip(NEXT) | instid1(VALU_DEP_1)
	v_and_b32_e32 v59, 0x10000000, v59
	v_or3_b32 v104, v82, v58, v59
	;; [unrolled: 8-line block ×4, first 2 shown]
	v_mad_nc_i64_i32 v[54:55], v34, 22, v[52:53]
	s_delay_alu instid0(VALU_DEP_1)
	v_add_nc_u64_e32 v[56:57], v[54:55], v[2:3]
	s_clause 0x1
	global_load_b32 v54, v[54:55], off offset:2
	global_load_b32 v111, v[56:57], off offset:6
	s_wait_xcnt 0x0
	v_mad_nc_i64_i32 v[56:57], v32, 22, v[52:53]
	s_delay_alu instid0(VALU_DEP_1)
	v_add_nc_u64_e32 v[58:59], v[56:57], v[2:3]
	s_clause 0x1
	global_load_b32 v56, v[56:57], off offset:2
	global_load_b32 v112, v[58:59], off offset:6
	s_wait_xcnt 0x0
	;; [unrolled: 7-line block ×3, first 2 shown]
	v_mad_nc_i64_i32 v[82:83], v28, 22, v[52:53]
	global_load_b32 v114, v[82:83], off offset:2
	s_wait_xcnt 0x0
	v_add_nc_u64_e32 v[82:83], v[82:83], v[2:3]
	global_load_b32 v82, v[82:83], off offset:6
	s_wait_loadcnt 0x7
	v_ashrrev_i32_e32 v54, v2, v54
	s_delay_alu instid0(VALU_DEP_1) | instskip(SKIP_1) | instid1(VALU_DEP_1)
	v_lshlrev_b32_e32 v55, 4, v54
	s_wait_loadcnt 0x5
	v_dual_ashrrev_i32 v56, v2, v56 :: v_dual_bitop2_b32 v55, 16, v55 bitop3:0x40
	s_delay_alu instid0(VALU_DEP_1) | instskip(SKIP_1) | instid1(VALU_DEP_1)
	v_lshlrev_b32_e32 v57, 4, v56
	s_wait_loadcnt 0x3
	v_dual_ashrrev_i32 v58, v2, v58 :: v_dual_bitop2_b32 v57, 16, v57 bitop3:0x40
	s_delay_alu instid0(VALU_DEP_1) | instskip(SKIP_2) | instid1(VALU_DEP_1)
	v_lshlrev_b32_e32 v59, 4, v58
	s_wait_loadcnt 0x1
	s_wait_xcnt 0x0
	v_dual_ashrrev_i32 v83, v2, v114 :: v_dual_bitop2_b32 v59, 16, v59 bitop3:0x40
	s_delay_alu instid0(VALU_DEP_1) | instskip(SKIP_2) | instid1(VALU_DEP_2)
	v_lshlrev_b32_e32 v114, 4, v83
	s_wait_loadcnt 0x0
	v_and_b32_e32 v116, 0xf0f0f0f, v82
	v_dual_lshlrev_b32 v115, 11, v83 :: v_dual_bitop2_b32 v114, 16, v114 bitop3:0x40
	v_lshlrev_b32_e32 v117, 25, v83
	s_delay_alu instid0(VALU_DEP_2) | instskip(NEXT) | instid1(VALU_DEP_2)
	v_and_b32_e32 v115, 0x1000, v115
	v_and_b32_e32 v117, 0x10000000, v117
	s_delay_alu instid0(VALU_DEP_2) | instskip(SKIP_1) | instid1(VALU_DEP_1)
	v_or3_b32 v114, v114, v116, v115
	v_lshlrev_b32_e32 v115, 18, v83
	v_and_b32_e32 v115, 0x100000, v115
	s_delay_alu instid0(VALU_DEP_1) | instskip(SKIP_2) | instid1(VALU_DEP_2)
	v_or3_b32 v115, v116, v115, v117
	v_dual_lshrrev_b32 v116, 12, v81 :: v_dual_lshrrev_b32 v117, 5, v81
	v_and_b32_e32 v80, 0xf0f0f0f, v80
	v_and_b32_e32 v116, 16, v116
	s_delay_alu instid0(VALU_DEP_3) | instskip(NEXT) | instid1(VALU_DEP_1)
	v_and_b32_e32 v117, 0x1000, v117
	v_or3_b32 v116, v116, v80, v117
	v_dual_lshlrev_b32 v117, 2, v81 :: v_dual_lshlrev_b32 v81, 9, v81
	s_delay_alu instid0(VALU_DEP_1) | instskip(NEXT) | instid1(VALU_DEP_2)
	v_and_b32_e32 v117, 0x100000, v117
	v_and_b32_e32 v81, 0x10000000, v81
	s_delay_alu instid0(VALU_DEP_1) | instskip(SKIP_2) | instid1(VALU_DEP_2)
	v_or3_b32 v117, v80, v117, v81
	v_dual_lshrrev_b32 v80, 12, v86 :: v_dual_lshrrev_b32 v81, 5, v86
	v_and_b32_e32 v79, 0xf0f0f0f, v79
	v_and_b32_e32 v80, 16, v80
	s_delay_alu instid0(VALU_DEP_3) | instskip(NEXT) | instid1(VALU_DEP_1)
	v_and_b32_e32 v81, 0x1000, v81
	v_or3_b32 v118, v80, v79, v81
	v_dual_lshlrev_b32 v80, 2, v86 :: v_dual_lshlrev_b32 v81, 9, v86
	s_delay_alu instid0(VALU_DEP_1) | instskip(NEXT) | instid1(VALU_DEP_2)
	v_and_b32_e32 v80, 0x100000, v80
	;; [unrolled: 12-line block ×3, first 2 shown]
	v_and_b32_e32 v80, 0x10000000, v80
	s_delay_alu instid0(VALU_DEP_1) | instskip(SKIP_3) | instid1(VALU_DEP_3)
	v_or3_b32 v89, v78, v79, v80
	v_dual_lshrrev_b32 v78, 12, v92 :: v_dual_lshrrev_b32 v79, 5, v92
	v_and_b32_e32 v77, 0xf0f0f0f, v77
	v_lshrrev_b32_e32 v80, 5, v98
	v_and_b32_e32 v78, 16, v78
	s_delay_alu instid0(VALU_DEP_4) | instskip(NEXT) | instid1(VALU_DEP_3)
	v_and_b32_e32 v79, 0x1000, v79
	v_and_b32_e32 v80, 0x1000, v80
	s_delay_alu instid0(VALU_DEP_2) | instskip(SKIP_1) | instid1(VALU_DEP_1)
	v_or3_b32 v120, v78, v77, v79
	v_dual_lshlrev_b32 v78, 2, v92 :: v_dual_lshlrev_b32 v79, 9, v92
	v_and_b32_e32 v78, 0x100000, v78
	s_delay_alu instid0(VALU_DEP_2) | instskip(NEXT) | instid1(VALU_DEP_1)
	v_and_b32_e32 v79, 0x10000000, v79
	v_or3_b32 v77, v77, v78, v79
	v_dual_lshrrev_b32 v78, 4, v99 :: v_dual_lshrrev_b32 v79, 12, v98
	s_delay_alu instid0(VALU_DEP_2) | instskip(NEXT) | instid1(VALU_DEP_2)
	v_lshrrev_b32_e32 v77, 16, v77
	v_and_b32_e32 v78, 0xf0f0f0f, v78
	s_delay_alu instid0(VALU_DEP_3) | instskip(NEXT) | instid1(VALU_DEP_1)
	v_and_b32_e32 v79, 16, v79
	v_or3_b32 v92, v79, v78, v80
	v_dual_lshlrev_b32 v79, 2, v98 :: v_dual_lshlrev_b32 v80, 9, v98
	s_delay_alu instid0(VALU_DEP_1) | instskip(NEXT) | instid1(VALU_DEP_2)
	v_and_b32_e32 v79, 0x100000, v79
	v_and_b32_e32 v80, 0x10000000, v80
	s_delay_alu instid0(VALU_DEP_1) | instskip(SKIP_2) | instid1(VALU_DEP_2)
	v_or3_b32 v98, v78, v79, v80
	v_dual_lshrrev_b32 v78, 4, v97 :: v_dual_lshrrev_b32 v79, 12, v102
	v_lshrrev_b32_e32 v80, 5, v102
	v_and_b32_e32 v78, 0xf0f0f0f, v78
	s_delay_alu instid0(VALU_DEP_3) | instskip(NEXT) | instid1(VALU_DEP_3)
	v_and_b32_e32 v79, 16, v79
	v_and_b32_e32 v80, 0x1000, v80
	s_delay_alu instid0(VALU_DEP_1) | instskip(SKIP_1) | instid1(VALU_DEP_1)
	v_or3_b32 v97, v79, v78, v80
	v_dual_lshlrev_b32 v79, 2, v102 :: v_dual_lshlrev_b32 v80, 9, v102
	v_and_b32_e32 v79, 0x100000, v79
	s_delay_alu instid0(VALU_DEP_2) | instskip(NEXT) | instid1(VALU_DEP_1)
	v_and_b32_e32 v80, 0x10000000, v80
	v_or3_b32 v99, v78, v79, v80
	v_dual_lshrrev_b32 v78, 4, v96 :: v_dual_lshrrev_b32 v79, 12, v105
	v_lshrrev_b32_e32 v80, 5, v105
	s_delay_alu instid0(VALU_DEP_2) | instskip(NEXT) | instid1(VALU_DEP_3)
	v_and_b32_e32 v78, 0xf0f0f0f, v78
	v_and_b32_e32 v79, 16, v79
	s_delay_alu instid0(VALU_DEP_3) | instskip(NEXT) | instid1(VALU_DEP_1)
	v_and_b32_e32 v80, 0x1000, v80
	v_or3_b32 v96, v79, v78, v80
	v_dual_lshlrev_b32 v79, 2, v105 :: v_dual_lshlrev_b32 v80, 9, v105
	s_delay_alu instid0(VALU_DEP_1) | instskip(NEXT) | instid1(VALU_DEP_2)
	v_and_b32_e32 v79, 0x100000, v79
	v_and_b32_e32 v80, 0x10000000, v80
	s_delay_alu instid0(VALU_DEP_1) | instskip(SKIP_2) | instid1(VALU_DEP_2)
	v_or3_b32 v102, v78, v79, v80
	v_dual_lshrrev_b32 v78, 4, v95 :: v_dual_lshrrev_b32 v79, 12, v108
	v_lshrrev_b32_e32 v80, 5, v108
	v_and_b32_e32 v78, 0xf0f0f0f, v78
	s_delay_alu instid0(VALU_DEP_3) | instskip(NEXT) | instid1(VALU_DEP_3)
	v_and_b32_e32 v79, 16, v79
	v_and_b32_e32 v80, 0x1000, v80
	s_delay_alu instid0(VALU_DEP_1) | instskip(SKIP_1) | instid1(VALU_DEP_1)
	v_or3_b32 v95, v79, v78, v80
	v_dual_lshlrev_b32 v79, 2, v108 :: v_dual_lshlrev_b32 v80, 9, v108
	v_and_b32_e32 v79, 0x100000, v79
	s_delay_alu instid0(VALU_DEP_2) | instskip(NEXT) | instid1(VALU_DEP_1)
	v_and_b32_e32 v80, 0x10000000, v80
	v_or3_b32 v105, v78, v79, v80
	v_mad_nc_u64_u32 v[78:79], v4, 22, s[18:19]
	s_lshl_b32 s18, s14, 5
	s_delay_alu instid0(SALU_CYCLE_1) | instskip(NEXT) | instid1(VALU_DEP_1)
	s_cmp_lt_i32 s18, s5
	v_mad_nc_i64_i32 v[80:81], v44, 22, v[78:79]
	global_load_u16 v108, v[80:81], off
	s_wait_xcnt 0x0
	v_mad_nc_i64_i32 v[80:81], v46, 22, v[78:79]
	global_load_u16 v121, v[80:81], off
	s_wait_xcnt 0x0
	v_mad_nc_i64_i32 v[80:81], v48, 22, v[78:79]
	v_mad_nc_i64_i32 v[78:79], v50, 22, v[78:79]
	s_clause 0x1
	global_load_u16 v80, v[80:81], off
	global_load_u16 v78, v[78:79], off
	s_wait_xcnt 0x0
	v_and_b32_e32 v79, 0x1f00, v85
	v_lshlrev_b16 v81, 8, v85
	v_lshrrev_b32_e32 v85, 16, v117
	s_delay_alu instid0(VALU_DEP_3) | instskip(NEXT) | instid1(VALU_DEP_3)
	v_add_nc_u16 v79, 0xf000, v79
	v_add_nc_u16 v81, 0xf000, v81
	s_delay_alu instid0(VALU_DEP_1) | instskip(SKIP_1) | instid1(VALU_DEP_1)
	v_perm_b32 v79, v81, v79, 0xc0c0105
	v_lshrrev_b32_e32 v81, 16, v84
	v_and_b32_e32 v84, 0x1f00, v81
	v_lshlrev_b16 v81, 8, v81
	s_delay_alu instid0(VALU_DEP_2) | instskip(NEXT) | instid1(VALU_DEP_2)
	v_add_nc_u16 v84, 0xf000, v84
	v_add_nc_u16 v81, 0xf000, v81
	s_delay_alu instid0(VALU_DEP_1) | instskip(SKIP_1) | instid1(VALU_DEP_2)
	v_perm_b32 v81, v81, v84, 0xc0c0105
	v_lshlrev_b16 v84, 8, v116
	v_lshl_or_b32 v79, v81, 16, v79
	s_delay_alu instid0(VALU_DEP_2) | instskip(NEXT) | instid1(VALU_DEP_1)
	v_add_nc_u16 v84, 0xf000, v84
	v_lshrrev_b16 v84, 8, v84
	s_delay_alu instid0(VALU_DEP_1) | instskip(SKIP_2) | instid1(VALU_DEP_3)
	v_bitop3_b16 v84, v116, v84, 0x1f00 bitop3:0xec
	v_and_b32_e32 v116, 0x1f00, v85
	v_lshlrev_b16 v85, 8, v85
	v_add_nc_u16 v81, 0xf000, v84
	s_delay_alu instid0(VALU_DEP_3) | instskip(NEXT) | instid1(VALU_DEP_3)
	v_add_nc_u16 v116, 0xf000, v116
	v_add_nc_u16 v85, 0xf000, v85
	s_delay_alu instid0(VALU_DEP_3) | instskip(NEXT) | instid1(VALU_DEP_2)
	v_and_b32_e32 v81, 0xffff, v81
	v_perm_b32 v85, v85, v116, 0xc0c0105
	s_delay_alu instid0(VALU_DEP_1) | instskip(SKIP_1) | instid1(VALU_DEP_1)
	v_lshl_or_b32 v81, v85, 16, v81
	v_lshrrev_b32_e32 v85, 16, v86
	v_and_b32_e32 v86, 0x1f00, v85
	v_lshlrev_b16 v85, 8, v85
	s_delay_alu instid0(VALU_DEP_2) | instskip(NEXT) | instid1(VALU_DEP_2)
	v_add_nc_u16 v86, 0xf000, v86
	v_add_nc_u16 v85, 0xf000, v85
	s_delay_alu instid0(VALU_DEP_1)
	v_perm_b32 v85, v85, v86, 0xc0c0105
	v_lshrrev_b32_e32 v86, 16, v88
	s_wait_loadcnt 0x3
	v_cvt_f32_f16_e32 v84, v108
	ds_store_2addr_b32 v13, v79, v81 offset1:1
	v_and_b32_e32 v79, 0x1f00, v118
	v_lshlrev_b16 v81, 8, v118
	ds_store_b32 v47, v84
	v_add_nc_u16 v79, 0xf000, v79
	v_add_nc_u16 v81, 0xf000, v81
	s_wait_loadcnt 0x2
	v_cvt_f32_f16_e32 v84, v121
	s_delay_alu instid0(VALU_DEP_2)
	v_perm_b32 v79, v81, v79, 0xc0c0105
	v_lshlrev_b16 v81, 8, v87
	ds_store_b32 v49, v84
	v_lshl_or_b32 v79, v85, 16, v79
	v_add_nc_u16 v81, 0xf000, v81
	v_lshrrev_b32_e32 v85, 16, v89
	v_and_b32_e32 v84, 0x1f00, v77
	v_lshlrev_b16 v77, 8, v77
	s_delay_alu instid0(VALU_DEP_4)
	v_lshrrev_b16 v81, 8, v81
	s_wait_loadcnt 0x1
	v_cvt_f32_f16_e32 v80, v80
	v_add_nc_u16 v84, 0xf000, v84
	v_add_nc_u16 v77, 0xf000, v77
	v_bitop3_b16 v81, v87, v81, 0x1f00 bitop3:0xec
	v_and_b32_e32 v87, 0x1f00, v86
	v_lshlrev_b16 v86, 8, v86
	s_delay_alu instid0(VALU_DEP_4)
	v_perm_b32 v77, v77, v84, 0xc0c0105
	v_lshrrev_b32_e32 v84, 16, v94
	v_add_nc_u16 v81, 0xf000, v81
	v_add_nc_u16 v87, 0xf000, v87
	;; [unrolled: 1-line block ×3, first 2 shown]
	ds_store_b32 v51, v80
	s_wait_loadcnt 0x0
	v_cvt_f32_f16_e32 v80, v78
	v_and_b32_e32 v81, 0xffff, v81
	v_lshlrev_b16 v78, 8, v92
	v_perm_b32 v86, v86, v87, 0xc0c0105
	s_delay_alu instid0(VALU_DEP_2) | instskip(NEXT) | instid1(VALU_DEP_2)
	v_add_nc_u16 v78, 0xf000, v78
	v_lshl_or_b32 v81, v86, 16, v81
	v_and_b32_e32 v86, 0x1f00, v85
	v_lshlrev_b16 v85, 8, v85
	ds_store_2addr_b32 v15, v81, v79 offset1:1
	v_and_b32_e32 v79, 0x1f00, v119
	v_lshlrev_b16 v81, 8, v119
	v_add_nc_u16 v86, 0xf000, v86
	v_add_nc_u16 v85, 0xf000, v85
	s_delay_alu instid0(VALU_DEP_4) | instskip(NEXT) | instid1(VALU_DEP_4)
	v_add_nc_u16 v79, 0xf000, v79
	v_add_nc_u16 v81, 0xf000, v81
	s_delay_alu instid0(VALU_DEP_3) | instskip(SKIP_1) | instid1(VALU_DEP_3)
	v_perm_b32 v85, v85, v86, 0xc0c0105
	v_lshrrev_b32_e32 v86, 16, v91
	v_perm_b32 v79, v81, v79, 0xc0c0105
	v_lshlrev_b16 v81, 8, v90
	s_delay_alu instid0(VALU_DEP_3) | instskip(SKIP_1) | instid1(VALU_DEP_4)
	v_and_b32_e32 v87, 0x1f00, v86
	v_lshlrev_b16 v86, 8, v86
	v_lshl_or_b32 v79, v85, 16, v79
	s_delay_alu instid0(VALU_DEP_4)
	v_add_nc_u16 v81, 0xf000, v81
	v_and_b32_e32 v85, 0x1f00, v84
	v_add_nc_u16 v87, 0xf000, v87
	v_add_nc_u16 v86, 0xf000, v86
	v_lshlrev_b16 v84, 8, v84
	v_lshrrev_b16 v81, 8, v81
	v_add_nc_u16 v85, 0xf000, v85
	s_delay_alu instid0(VALU_DEP_4) | instskip(NEXT) | instid1(VALU_DEP_4)
	v_perm_b32 v86, v86, v87, 0xc0c0105
	v_add_nc_u16 v84, 0xf000, v84
	s_delay_alu instid0(VALU_DEP_4) | instskip(NEXT) | instid1(VALU_DEP_2)
	v_bitop3_b16 v81, v90, v81, 0x1f00 bitop3:0xec
	v_perm_b32 v84, v84, v85, 0xc0c0105
	s_delay_alu instid0(VALU_DEP_2) | instskip(NEXT) | instid1(VALU_DEP_1)
	v_add_nc_u16 v81, 0xf000, v81
	v_and_b32_e32 v81, 0xffff, v81
	s_delay_alu instid0(VALU_DEP_1) | instskip(SKIP_3) | instid1(VALU_DEP_2)
	v_lshl_or_b32 v81, v86, 16, v81
	ds_store_2addr_b32 v17, v81, v79 offset1:1
	v_and_b32_e32 v79, 0x1f00, v120
	v_lshlrev_b16 v81, 8, v120
	v_add_nc_u16 v79, 0xf000, v79
	s_delay_alu instid0(VALU_DEP_2) | instskip(NEXT) | instid1(VALU_DEP_1)
	v_add_nc_u16 v81, 0xf000, v81
	v_perm_b32 v79, v81, v79, 0xc0c0105
	v_lshlrev_b16 v81, 8, v93
	s_delay_alu instid0(VALU_DEP_2) | instskip(NEXT) | instid1(VALU_DEP_2)
	v_lshl_or_b32 v77, v77, 16, v79
	v_add_nc_u16 v81, 0xf000, v81
	s_delay_alu instid0(VALU_DEP_1) | instskip(NEXT) | instid1(VALU_DEP_1)
	v_lshrrev_b16 v81, 8, v81
	v_bitop3_b16 v81, v93, v81, 0x1f00 bitop3:0xec
	s_delay_alu instid0(VALU_DEP_1) | instskip(NEXT) | instid1(VALU_DEP_1)
	v_add_nc_u16 v79, 0xf000, v81
	v_and_b32_e32 v79, 0xffff, v79
	s_delay_alu instid0(VALU_DEP_1) | instskip(SKIP_3) | instid1(VALU_DEP_2)
	v_lshl_or_b32 v79, v84, 16, v79
	ds_store_2addr_b32 v19, v79, v77 offset1:1
	v_and_b32_e32 v77, 0x1f00, v92
	v_lshrrev_b32_e32 v79, 16, v98
	v_add_nc_u16 v77, 0xf000, v77
	s_delay_alu instid0(VALU_DEP_2) | instskip(SKIP_1) | instid1(VALU_DEP_3)
	v_and_b32_e32 v81, 0x1f00, v79
	v_lshlrev_b16 v79, 8, v79
	v_perm_b32 v77, v78, v77, 0xc0c0105
	v_lshlrev_b16 v78, 8, v101
	s_delay_alu instid0(VALU_DEP_4) | instskip(NEXT) | instid1(VALU_DEP_4)
	v_add_nc_u16 v81, 0xf000, v81
	v_add_nc_u16 v79, 0xf000, v79
	s_delay_alu instid0(VALU_DEP_3) | instskip(NEXT) | instid1(VALU_DEP_2)
	v_add_nc_u16 v78, 0xf000, v78
	v_perm_b32 v79, v79, v81, 0xc0c0105
	v_lshrrev_b32_e32 v81, 16, v100
	s_delay_alu instid0(VALU_DEP_3) | instskip(NEXT) | instid1(VALU_DEP_3)
	v_lshrrev_b16 v78, 8, v78
	v_lshl_or_b32 v77, v79, 16, v77
	s_delay_alu instid0(VALU_DEP_3) | instskip(SKIP_1) | instid1(VALU_DEP_4)
	v_and_b32_e32 v84, 0x1f00, v81
	v_lshlrev_b16 v81, 8, v81
	v_bitop3_b16 v78, v101, v78, 0x1f00 bitop3:0xec
	v_lshrrev_b32_e32 v79, 5, v83
	s_delay_alu instid0(VALU_DEP_4) | instskip(NEXT) | instid1(VALU_DEP_4)
	v_add_nc_u16 v84, 0xf000, v84
	v_add_nc_u16 v81, 0xf000, v81
	s_delay_alu instid0(VALU_DEP_4) | instskip(NEXT) | instid1(VALU_DEP_4)
	v_add_nc_u16 v78, 0xf000, v78
	v_and_b32_e32 v79, 0x1000, v79
	s_delay_alu instid0(VALU_DEP_3) | instskip(NEXT) | instid1(VALU_DEP_3)
	v_perm_b32 v81, v81, v84, 0xc0c0105
	v_and_b32_e32 v78, 0xffff, v78
	s_delay_alu instid0(VALU_DEP_1) | instskip(SKIP_4) | instid1(VALU_DEP_2)
	v_lshl_or_b32 v78, v81, 16, v78
	v_lshlrev_b32_e32 v81, 9, v83
	ds_store_2addr_b32 v21, v78, v77 offset1:1
	v_dual_lshrrev_b32 v77, 4, v82 :: v_dual_lshrrev_b32 v78, 12, v83
	v_and_b32_e32 v81, 0x10000000, v81
	v_and_b32_e32 v77, 0xf0f0f0f, v77
	s_delay_alu instid0(VALU_DEP_3) | instskip(NEXT) | instid1(VALU_DEP_1)
	v_and_b32_e32 v78, 16, v78
	v_or3_b32 v78, v78, v77, v79
	v_lshlrev_b32_e32 v79, 2, v83
	v_lshrrev_b32_e32 v83, 16, v99
	s_delay_alu instid0(VALU_DEP_2) | instskip(NEXT) | instid1(VALU_DEP_2)
	v_and_b32_e32 v79, 0x100000, v79
	v_and_b32_e32 v84, 0x1f00, v83
	v_lshlrev_b16 v83, 8, v83
	s_delay_alu instid0(VALU_DEP_3)
	v_or3_b32 v77, v77, v79, v81
	v_and_b32_e32 v79, 0x1f00, v103
	v_lshlrev_b16 v81, 8, v103
	v_add_nc_u16 v84, 0xf000, v84
	v_add_nc_u16 v83, 0xf000, v83
	v_lshrrev_b32_e32 v77, 16, v77
	v_add_nc_u16 v79, 0xf000, v79
	v_add_nc_u16 v81, 0xf000, v81
	s_delay_alu instid0(VALU_DEP_4) | instskip(NEXT) | instid1(VALU_DEP_2)
	v_perm_b32 v83, v83, v84, 0xc0c0105
	v_perm_b32 v79, v81, v79, 0xc0c0105
	v_lshrrev_b32_e32 v81, 16, v104
	s_delay_alu instid0(VALU_DEP_1) | instskip(SKIP_1) | instid1(VALU_DEP_2)
	v_and_b32_e32 v82, 0x1f00, v81
	v_lshlrev_b16 v81, 8, v81
	v_add_nc_u16 v82, 0xf000, v82
	s_delay_alu instid0(VALU_DEP_2) | instskip(NEXT) | instid1(VALU_DEP_1)
	v_add_nc_u16 v81, 0xf000, v81
	v_perm_b32 v81, v81, v82, 0xc0c0105
	v_lshlrev_b16 v82, 8, v97
	s_delay_alu instid0(VALU_DEP_2) | instskip(NEXT) | instid1(VALU_DEP_2)
	v_lshl_or_b32 v79, v81, 16, v79
	v_add_nc_u16 v82, 0xf000, v82
	s_delay_alu instid0(VALU_DEP_1) | instskip(NEXT) | instid1(VALU_DEP_1)
	v_lshrrev_b16 v82, 8, v82
	v_bitop3_b16 v82, v97, v82, 0x1f00 bitop3:0xec
	s_delay_alu instid0(VALU_DEP_1) | instskip(NEXT) | instid1(VALU_DEP_1)
	v_add_nc_u16 v81, 0xf000, v82
	v_and_b32_e32 v81, 0xffff, v81
	s_delay_alu instid0(VALU_DEP_1) | instskip(SKIP_3) | instid1(VALU_DEP_2)
	v_lshl_or_b32 v81, v83, 16, v81
	ds_store_2addr_b32 v23, v79, v81 offset1:1
	v_and_b32_e32 v79, 0x1f00, v106
	v_lshlrev_b16 v81, 8, v106
	v_add_nc_u16 v79, 0xf000, v79
	s_delay_alu instid0(VALU_DEP_2) | instskip(NEXT) | instid1(VALU_DEP_1)
	v_add_nc_u16 v81, 0xf000, v81
	v_perm_b32 v79, v81, v79, 0xc0c0105
	v_lshrrev_b32_e32 v81, 16, v107
	s_delay_alu instid0(VALU_DEP_1) | instskip(SKIP_1) | instid1(VALU_DEP_2)
	v_and_b32_e32 v82, 0x1f00, v81
	v_lshlrev_b16 v81, 8, v81
	v_add_nc_u16 v82, 0xf000, v82
	s_delay_alu instid0(VALU_DEP_2) | instskip(NEXT) | instid1(VALU_DEP_1)
	v_add_nc_u16 v81, 0xf000, v81
	v_perm_b32 v81, v81, v82, 0xc0c0105
	v_lshrrev_b32_e32 v82, 16, v102
	s_delay_alu instid0(VALU_DEP_2) | instskip(SKIP_1) | instid1(VALU_DEP_3)
	v_lshl_or_b32 v79, v81, 16, v79
	v_lshlrev_b16 v81, 8, v96
	v_and_b32_e32 v83, 0x1f00, v82
	v_lshlrev_b16 v82, 8, v82
	s_delay_alu instid0(VALU_DEP_3) | instskip(NEXT) | instid1(VALU_DEP_3)
	v_add_nc_u16 v81, 0xf000, v81
	v_add_nc_u16 v83, 0xf000, v83
	s_delay_alu instid0(VALU_DEP_3) | instskip(NEXT) | instid1(VALU_DEP_3)
	v_add_nc_u16 v82, 0xf000, v82
	v_lshrrev_b16 v81, 8, v81
	s_delay_alu instid0(VALU_DEP_2) | instskip(NEXT) | instid1(VALU_DEP_2)
	v_perm_b32 v82, v82, v83, 0xc0c0105
	v_bitop3_b16 v81, v96, v81, 0x1f00 bitop3:0xec
	s_delay_alu instid0(VALU_DEP_1) | instskip(NEXT) | instid1(VALU_DEP_1)
	v_add_nc_u16 v81, 0xf000, v81
	v_and_b32_e32 v81, 0xffff, v81
	s_delay_alu instid0(VALU_DEP_1) | instskip(SKIP_3) | instid1(VALU_DEP_2)
	v_lshl_or_b32 v81, v82, 16, v81
	ds_store_2addr_b32 v25, v79, v81 offset1:1
	v_and_b32_e32 v79, 0x1f00, v109
	v_lshlrev_b16 v81, 8, v109
	v_add_nc_u16 v79, 0xf000, v79
	s_delay_alu instid0(VALU_DEP_2) | instskip(NEXT) | instid1(VALU_DEP_1)
	v_add_nc_u16 v81, 0xf000, v81
	v_perm_b32 v79, v81, v79, 0xc0c0105
	v_lshrrev_b32_e32 v81, 16, v110
	s_delay_alu instid0(VALU_DEP_1) | instskip(SKIP_1) | instid1(VALU_DEP_2)
	v_and_b32_e32 v82, 0x1f00, v81
	v_lshlrev_b16 v81, 8, v81
	v_add_nc_u16 v82, 0xf000, v82
	s_delay_alu instid0(VALU_DEP_2) | instskip(NEXT) | instid1(VALU_DEP_1)
	v_add_nc_u16 v81, 0xf000, v81
	v_perm_b32 v81, v81, v82, 0xc0c0105
	v_lshlrev_b16 v82, 8, v95
	s_delay_alu instid0(VALU_DEP_2) | instskip(NEXT) | instid1(VALU_DEP_2)
	v_lshl_or_b32 v79, v81, 16, v79
	v_add_nc_u16 v82, 0xf000, v82
	v_lshrrev_b32_e32 v81, 16, v105
	s_delay_alu instid0(VALU_DEP_2) | instskip(NEXT) | instid1(VALU_DEP_2)
	v_lshrrev_b16 v82, 8, v82
	v_and_b32_e32 v83, 0x1f00, v81
	v_lshlrev_b16 v81, 8, v81
	s_delay_alu instid0(VALU_DEP_3) | instskip(NEXT) | instid1(VALU_DEP_3)
	v_bitop3_b16 v82, v95, v82, 0x1f00 bitop3:0xec
	v_add_nc_u16 v83, 0xf000, v83
	s_delay_alu instid0(VALU_DEP_3) | instskip(NEXT) | instid1(VALU_DEP_3)
	v_add_nc_u16 v81, 0xf000, v81
	v_add_nc_u16 v82, 0xf000, v82
	s_delay_alu instid0(VALU_DEP_2) | instskip(NEXT) | instid1(VALU_DEP_2)
	v_perm_b32 v81, v81, v83, 0xc0c0105
	v_and_b32_e32 v82, 0xffff, v82
	s_delay_alu instid0(VALU_DEP_1) | instskip(SKIP_3) | instid1(VALU_DEP_2)
	v_lshl_or_b32 v81, v81, 16, v82
	ds_store_2addr_b32 v27, v79, v81 offset1:1
	v_lshlrev_b16 v79, 8, v78
	v_lshlrev_b16 v81, 8, v114
	v_add_nc_u16 v79, 0xf000, v79
	s_delay_alu instid0(VALU_DEP_2) | instskip(NEXT) | instid1(VALU_DEP_2)
	v_add_nc_u16 v81, 0xf000, v81
	v_lshrrev_b16 v79, 8, v79
	s_delay_alu instid0(VALU_DEP_1) | instskip(SKIP_1) | instid1(VALU_DEP_2)
	v_bitop3_b16 v78, v78, v79, 0x1f00 bitop3:0xec
	v_and_b32_e32 v79, 0x1f00, v114
	v_add_nc_u16 v78, 0xf000, v78
	s_delay_alu instid0(VALU_DEP_2) | instskip(NEXT) | instid1(VALU_DEP_2)
	v_add_nc_u16 v79, 0xf000, v79
	v_and_b32_e32 v78, 0xffff, v78
	s_delay_alu instid0(VALU_DEP_2) | instskip(SKIP_1) | instid1(VALU_DEP_1)
	v_perm_b32 v79, v81, v79, 0xc0c0105
	v_lshrrev_b32_e32 v81, 16, v115
	v_and_b32_e32 v82, 0x1f00, v81
	v_lshlrev_b16 v81, 8, v81
	s_delay_alu instid0(VALU_DEP_2) | instskip(NEXT) | instid1(VALU_DEP_2)
	v_add_nc_u16 v82, 0xf000, v82
	v_add_nc_u16 v81, 0xf000, v81
	s_delay_alu instid0(VALU_DEP_1) | instskip(SKIP_2) | instid1(VALU_DEP_3)
	v_perm_b32 v81, v81, v82, 0xc0c0105
	v_and_b32_e32 v82, 0x1f00, v77
	v_lshlrev_b16 v77, 8, v77
	v_lshl_or_b32 v79, v81, 16, v79
	s_delay_alu instid0(VALU_DEP_3) | instskip(NEXT) | instid1(VALU_DEP_3)
	v_add_nc_u16 v82, 0xf000, v82
	v_add_nc_u16 v77, 0xf000, v77
	s_delay_alu instid0(VALU_DEP_1) | instskip(NEXT) | instid1(VALU_DEP_1)
	v_perm_b32 v77, v77, v82, 0xc0c0105
	v_lshl_or_b32 v77, v77, 16, v78
	v_and_b32_e32 v78, 0xf0f0f0f, v113
	ds_store_2addr_b32 v31, v79, v77 offset1:1
	v_dual_lshlrev_b32 v77, 11, v58 :: v_dual_lshlrev_b32 v79, 25, v58
	s_delay_alu instid0(VALU_DEP_1) | instskip(NEXT) | instid1(VALU_DEP_2)
	v_and_b32_e32 v77, 0x1000, v77
	v_and_b32_e32 v79, 0x10000000, v79
	s_delay_alu instid0(VALU_DEP_2) | instskip(SKIP_1) | instid1(VALU_DEP_1)
	v_or3_b32 v77, v59, v78, v77
	v_lshlrev_b32_e32 v59, 18, v58
	v_and_b32_e32 v59, 0x100000, v59
	s_delay_alu instid0(VALU_DEP_1) | instskip(SKIP_2) | instid1(VALU_DEP_2)
	v_or3_b32 v81, v78, v59, v79
	v_dual_lshrrev_b32 v59, 4, v113 :: v_dual_lshrrev_b32 v78, 12, v58
	v_lshrrev_b32_e32 v79, 5, v58
	v_and_b32_e32 v59, 0xf0f0f0f, v59
	s_delay_alu instid0(VALU_DEP_3) | instskip(NEXT) | instid1(VALU_DEP_3)
	v_and_b32_e32 v78, 16, v78
	v_and_b32_e32 v79, 0x1000, v79
	s_delay_alu instid0(VALU_DEP_1) | instskip(SKIP_1) | instid1(VALU_DEP_1)
	v_or3_b32 v82, v78, v59, v79
	v_dual_lshlrev_b32 v78, 2, v58 :: v_dual_lshlrev_b32 v58, 9, v58
	v_and_b32_e32 v78, 0x100000, v78
	s_delay_alu instid0(VALU_DEP_2) | instskip(NEXT) | instid1(VALU_DEP_1)
	v_and_b32_e32 v58, 0x10000000, v58
	v_or3_b32 v83, v59, v78, v58
	v_lshlrev_b32_e32 v58, 11, v56
	v_and_b32_e32 v59, 0xf0f0f0f, v112
	s_delay_alu instid0(VALU_DEP_2) | instskip(NEXT) | instid1(VALU_DEP_1)
	v_and_b32_e32 v58, 0x1000, v58
	v_or3_b32 v84, v57, v59, v58
	v_dual_lshlrev_b32 v57, 18, v56 :: v_dual_lshlrev_b32 v58, 25, v56
	s_delay_alu instid0(VALU_DEP_1) | instskip(NEXT) | instid1(VALU_DEP_2)
	v_and_b32_e32 v57, 0x100000, v57
	v_and_b32_e32 v58, 0x10000000, v58
	s_delay_alu instid0(VALU_DEP_1) | instskip(SKIP_1) | instid1(VALU_DEP_1)
	v_or3_b32 v85, v59, v57, v58
	v_dual_lshrrev_b32 v58, 12, v56 :: v_dual_lshrrev_b32 v59, 5, v56
	v_dual_lshrrev_b32 v57, 4, v112 :: v_dual_bitop2_b32 v58, 16, v58 bitop3:0x40
	s_delay_alu instid0(VALU_DEP_2) | instskip(NEXT) | instid1(VALU_DEP_2)
	v_and_b32_e32 v59, 0x1000, v59
	v_and_b32_e32 v57, 0xf0f0f0f, v57
	s_delay_alu instid0(VALU_DEP_1) | instskip(SKIP_1) | instid1(VALU_DEP_1)
	v_or3_b32 v86, v58, v57, v59
	v_dual_lshlrev_b32 v58, 2, v56 :: v_dual_lshlrev_b32 v56, 9, v56
	v_and_b32_e32 v58, 0x100000, v58
	s_delay_alu instid0(VALU_DEP_2) | instskip(NEXT) | instid1(VALU_DEP_1)
	v_and_b32_e32 v56, 0x10000000, v56
	v_or3_b32 v87, v57, v58, v56
	v_lshlrev_b32_e32 v56, 11, v54
	v_and_b32_e32 v57, 0xf0f0f0f, v111
	s_delay_alu instid0(VALU_DEP_2) | instskip(NEXT) | instid1(VALU_DEP_1)
	v_and_b32_e32 v56, 0x1000, v56
	v_or3_b32 v88, v55, v57, v56
	v_dual_lshlrev_b32 v55, 18, v54 :: v_dual_lshlrev_b32 v56, 25, v54
	s_delay_alu instid0(VALU_DEP_1) | instskip(NEXT) | instid1(VALU_DEP_2)
	v_and_b32_e32 v55, 0x100000, v55
	v_and_b32_e32 v56, 0x10000000, v56
	s_delay_alu instid0(VALU_DEP_1) | instskip(SKIP_2) | instid1(VALU_DEP_2)
	v_or3_b32 v89, v57, v55, v56
	v_dual_lshrrev_b32 v55, 4, v111 :: v_dual_lshrrev_b32 v56, 12, v54
	v_lshrrev_b32_e32 v57, 5, v54
	v_and_b32_e32 v55, 0xf0f0f0f, v55
	s_delay_alu instid0(VALU_DEP_3) | instskip(NEXT) | instid1(VALU_DEP_3)
	v_and_b32_e32 v56, 16, v56
	v_and_b32_e32 v57, 0x1000, v57
	s_delay_alu instid0(VALU_DEP_1) | instskip(SKIP_1) | instid1(VALU_DEP_1)
	v_or3_b32 v90, v56, v55, v57
	v_dual_lshlrev_b32 v56, 2, v54 :: v_dual_lshlrev_b32 v54, 9, v54
	v_and_b32_e32 v56, 0x100000, v56
	s_delay_alu instid0(VALU_DEP_2) | instskip(NEXT) | instid1(VALU_DEP_1)
	v_and_b32_e32 v54, 0x10000000, v54
	v_or3_b32 v91, v55, v56, v54
	v_mad_nc_i64_i32 v[54:55], v42, 22, v[52:53]
	s_delay_alu instid0(VALU_DEP_1)
	v_add_nc_u64_e32 v[56:57], v[54:55], v[2:3]
	s_clause 0x1
	global_load_b32 v54, v[54:55], off offset:2
	global_load_b32 v92, v[56:57], off offset:6
	s_wait_xcnt 0x0
	v_mad_nc_i64_i32 v[56:57], v40, 22, v[52:53]
	s_delay_alu instid0(VALU_DEP_1)
	v_add_nc_u64_e32 v[58:59], v[56:57], v[2:3]
	s_clause 0x1
	global_load_b32 v56, v[56:57], off offset:2
	global_load_b32 v93, v[58:59], off offset:6
	s_wait_xcnt 0x0
	v_mad_nc_i64_i32 v[58:59], v38, 22, v[52:53]
	v_mad_nc_i64_i32 v[52:53], v36, 22, v[52:53]
	s_delay_alu instid0(VALU_DEP_2)
	v_add_nc_u64_e32 v[78:79], v[58:59], v[2:3]
	s_clause 0x1
	global_load_b32 v78, v[78:79], off offset:6
	global_load_b32 v79, v[52:53], off offset:2
	s_wait_xcnt 0x0
	v_add_nc_u64_e32 v[52:53], v[52:53], v[2:3]
	global_load_b32 v52, v[52:53], off offset:6
	s_wait_loadcnt 0x6
	v_ashrrev_i32_e32 v54, v2, v54
	s_delay_alu instid0(VALU_DEP_1) | instskip(SKIP_1) | instid1(VALU_DEP_1)
	v_lshlrev_b32_e32 v55, 4, v54
	s_wait_loadcnt 0x4
	v_dual_ashrrev_i32 v56, v2, v56 :: v_dual_bitop2_b32 v55, 16, v55 bitop3:0x40
	s_delay_alu instid0(VALU_DEP_1) | instskip(SKIP_2) | instid1(VALU_DEP_1)
	v_lshlrev_b32_e32 v57, 4, v56
	s_wait_loadcnt 0x1
	s_wait_xcnt 0x0
	v_dual_ashrrev_i32 v53, v2, v79 :: v_dual_bitop2_b32 v57, 16, v57 bitop3:0x40
	s_delay_alu instid0(VALU_DEP_1) | instskip(SKIP_2) | instid1(VALU_DEP_2)
	v_lshlrev_b32_e32 v79, 4, v53
	s_wait_loadcnt 0x0
	v_and_b32_e32 v95, 0xf0f0f0f, v52
	v_dual_lshlrev_b32 v94, 11, v53 :: v_dual_bitop2_b32 v79, 16, v79 bitop3:0x40
	v_dual_lshlrev_b32 v96, 25, v53 :: v_dual_lshrrev_b32 v52, 4, v52
	s_delay_alu instid0(VALU_DEP_2) | instskip(NEXT) | instid1(VALU_DEP_2)
	v_and_b32_e32 v94, 0x1000, v94
	v_and_b32_e32 v96, 0x10000000, v96
	s_delay_alu instid0(VALU_DEP_2) | instskip(SKIP_1) | instid1(VALU_DEP_1)
	v_or3_b32 v79, v79, v95, v94
	v_lshlrev_b32_e32 v94, 18, v53
	v_and_b32_e32 v94, 0x100000, v94
	s_delay_alu instid0(VALU_DEP_1) | instskip(SKIP_2) | instid1(VALU_DEP_2)
	v_or3_b32 v94, v95, v94, v96
	v_dual_lshrrev_b32 v95, 12, v53 :: v_dual_lshrrev_b32 v96, 5, v53
	v_and_b32_e32 v52, 0xf0f0f0f, v52
	v_and_b32_e32 v95, 16, v95
	s_delay_alu instid0(VALU_DEP_3) | instskip(NEXT) | instid1(VALU_DEP_1)
	v_and_b32_e32 v96, 0x1000, v96
	v_or3_b32 v95, v95, v52, v96
	v_dual_lshlrev_b32 v96, 2, v53 :: v_dual_lshlrev_b32 v53, 9, v53
	s_delay_alu instid0(VALU_DEP_1) | instskip(NEXT) | instid1(VALU_DEP_2)
	v_and_b32_e32 v96, 0x100000, v96
	v_and_b32_e32 v53, 0x10000000, v53
	s_delay_alu instid0(VALU_DEP_1) | instskip(SKIP_2) | instid1(VALU_DEP_3)
	v_or3_b32 v52, v52, v96, v53
	v_and_b32_e32 v53, 0x1f00, v77
	v_lshlrev_b16 v77, 8, v77
	v_lshrrev_b32_e32 v52, 16, v52
	s_delay_alu instid0(VALU_DEP_3) | instskip(NEXT) | instid1(VALU_DEP_3)
	v_add_nc_u16 v53, 0xf000, v53
	v_add_nc_u16 v77, 0xf000, v77
	s_delay_alu instid0(VALU_DEP_1) | instskip(SKIP_1) | instid1(VALU_DEP_1)
	v_perm_b32 v53, v77, v53, 0xc0c0105
	v_lshrrev_b32_e32 v77, 16, v81
	v_and_b32_e32 v81, 0x1f00, v77
	v_lshlrev_b16 v77, 8, v77
	s_delay_alu instid0(VALU_DEP_2) | instskip(NEXT) | instid1(VALU_DEP_2)
	v_add_nc_u16 v81, 0xf000, v81
	v_add_nc_u16 v77, 0xf000, v77
	s_delay_alu instid0(VALU_DEP_1) | instskip(SKIP_1) | instid1(VALU_DEP_2)
	v_perm_b32 v77, v77, v81, 0xc0c0105
	v_dual_lshrrev_b32 v81, 16, v83 :: v_dual_lshrrev_b32 v83, 5, v54
	v_lshl_or_b32 v53, v77, 16, v53
	v_lshlrev_b16 v77, 8, v82
	s_delay_alu instid0(VALU_DEP_3) | instskip(NEXT) | instid1(VALU_DEP_2)
	v_and_b32_e32 v83, 0x1000, v83
	v_add_nc_u16 v77, 0xf000, v77
	s_delay_alu instid0(VALU_DEP_1) | instskip(NEXT) | instid1(VALU_DEP_1)
	v_lshrrev_b16 v77, 8, v77
	v_bitop3_b16 v77, v82, v77, 0x1f00 bitop3:0xec
	v_and_b32_e32 v82, 0x1f00, v81
	v_lshlrev_b16 v81, 8, v81
	s_delay_alu instid0(VALU_DEP_3) | instskip(NEXT) | instid1(VALU_DEP_3)
	v_add_nc_u16 v77, 0xf000, v77
	v_add_nc_u16 v82, 0xf000, v82
	s_delay_alu instid0(VALU_DEP_3) | instskip(NEXT) | instid1(VALU_DEP_3)
	v_add_nc_u16 v81, 0xf000, v81
	v_and_b32_e32 v77, 0xffff, v77
	s_delay_alu instid0(VALU_DEP_2) | instskip(NEXT) | instid1(VALU_DEP_1)
	v_perm_b32 v81, v81, v82, 0xc0c0105
	v_lshl_or_b32 v77, v81, 16, v77
	ds_store_2addr_b32 v33, v53, v77 offset1:1
	v_and_b32_e32 v53, 0x1f00, v84
	v_lshlrev_b16 v77, 8, v84
	s_delay_alu instid0(VALU_DEP_2) | instskip(NEXT) | instid1(VALU_DEP_2)
	v_add_nc_u16 v53, 0xf000, v53
	v_add_nc_u16 v77, 0xf000, v77
	s_delay_alu instid0(VALU_DEP_1) | instskip(SKIP_1) | instid1(VALU_DEP_1)
	v_perm_b32 v53, v77, v53, 0xc0c0105
	v_lshrrev_b32_e32 v77, 16, v85
	v_and_b32_e32 v81, 0x1f00, v77
	v_lshlrev_b16 v77, 8, v77
	s_delay_alu instid0(VALU_DEP_2) | instskip(NEXT) | instid1(VALU_DEP_2)
	v_add_nc_u16 v81, 0xf000, v81
	v_add_nc_u16 v77, 0xf000, v77
	s_delay_alu instid0(VALU_DEP_1) | instskip(SKIP_1) | instid1(VALU_DEP_2)
	v_perm_b32 v77, v77, v81, 0xc0c0105
	v_lshrrev_b32_e32 v81, 16, v87
	v_lshl_or_b32 v53, v77, 16, v53
	v_lshlrev_b16 v77, 8, v86
	s_delay_alu instid0(VALU_DEP_3) | instskip(SKIP_1) | instid1(VALU_DEP_3)
	v_and_b32_e32 v82, 0x1f00, v81
	v_lshlrev_b16 v81, 8, v81
	v_add_nc_u16 v77, 0xf000, v77
	s_delay_alu instid0(VALU_DEP_3) | instskip(NEXT) | instid1(VALU_DEP_3)
	v_add_nc_u16 v82, 0xf000, v82
	v_add_nc_u16 v81, 0xf000, v81
	s_delay_alu instid0(VALU_DEP_3) | instskip(NEXT) | instid1(VALU_DEP_2)
	v_lshrrev_b16 v77, 8, v77
	v_perm_b32 v81, v81, v82, 0xc0c0105
	s_delay_alu instid0(VALU_DEP_2) | instskip(NEXT) | instid1(VALU_DEP_1)
	v_bitop3_b16 v77, v86, v77, 0x1f00 bitop3:0xec
	v_add_nc_u16 v77, 0xf000, v77
	s_delay_alu instid0(VALU_DEP_1) | instskip(NEXT) | instid1(VALU_DEP_1)
	v_and_b32_e32 v77, 0xffff, v77
	v_lshl_or_b32 v77, v81, 16, v77
	ds_store_2addr_b32 v35, v53, v77 offset1:1
	v_and_b32_e32 v53, 0x1f00, v88
	v_lshlrev_b16 v77, 8, v88
	s_delay_alu instid0(VALU_DEP_2) | instskip(NEXT) | instid1(VALU_DEP_2)
	v_add_nc_u16 v53, 0xf000, v53
	v_add_nc_u16 v77, 0xf000, v77
	s_delay_alu instid0(VALU_DEP_1) | instskip(SKIP_1) | instid1(VALU_DEP_1)
	v_perm_b32 v53, v77, v53, 0xc0c0105
	v_lshrrev_b32_e32 v77, 16, v89
	v_and_b32_e32 v81, 0x1f00, v77
	v_lshlrev_b16 v77, 8, v77
	s_delay_alu instid0(VALU_DEP_2) | instskip(NEXT) | instid1(VALU_DEP_2)
	v_add_nc_u16 v81, 0xf000, v81
	v_add_nc_u16 v77, 0xf000, v77
	s_delay_alu instid0(VALU_DEP_1) | instskip(SKIP_1) | instid1(VALU_DEP_2)
	v_perm_b32 v77, v77, v81, 0xc0c0105
	v_lshlrev_b16 v81, 8, v90
	v_lshl_or_b32 v53, v77, 16, v53
	s_delay_alu instid0(VALU_DEP_2) | instskip(SKIP_1) | instid1(VALU_DEP_2)
	v_add_nc_u16 v81, 0xf000, v81
	v_lshrrev_b32_e32 v77, 16, v91
	v_lshrrev_b16 v81, 8, v81
	s_delay_alu instid0(VALU_DEP_2) | instskip(SKIP_1) | instid1(VALU_DEP_3)
	v_and_b32_e32 v82, 0x1f00, v77
	v_lshlrev_b16 v77, 8, v77
	v_bitop3_b16 v81, v90, v81, 0x1f00 bitop3:0xec
	s_delay_alu instid0(VALU_DEP_3) | instskip(NEXT) | instid1(VALU_DEP_3)
	v_add_nc_u16 v82, 0xf000, v82
	v_add_nc_u16 v77, 0xf000, v77
	s_delay_alu instid0(VALU_DEP_3) | instskip(NEXT) | instid1(VALU_DEP_2)
	v_add_nc_u16 v81, 0xf000, v81
	v_perm_b32 v77, v77, v82, 0xc0c0105
	v_lshlrev_b32_e32 v82, 25, v54
	s_delay_alu instid0(VALU_DEP_3) | instskip(NEXT) | instid1(VALU_DEP_2)
	v_and_b32_e32 v81, 0xffff, v81
	v_and_b32_e32 v82, 0x10000000, v82
	s_delay_alu instid0(VALU_DEP_2) | instskip(SKIP_4) | instid1(VALU_DEP_3)
	v_lshl_or_b32 v77, v77, 16, v81
	ds_store_2addr_b32 v37, v53, v77 offset1:1
	v_and_b32_e32 v77, 0x1f00, v79
	v_lshlrev_b16 v79, 8, v79
	v_lshlrev_b16 v53, 8, v95
	v_add_nc_u16 v77, 0xf000, v77
	s_delay_alu instid0(VALU_DEP_3) | instskip(NEXT) | instid1(VALU_DEP_3)
	v_add_nc_u16 v79, 0xf000, v79
	v_add_nc_u16 v53, 0xf000, v53
	s_delay_alu instid0(VALU_DEP_2) | instskip(SKIP_1) | instid1(VALU_DEP_3)
	v_perm_b32 v77, v79, v77, 0xc0c0105
	v_lshrrev_b32_e32 v79, 16, v94
	v_lshrrev_b16 v53, 8, v53
	s_delay_alu instid0(VALU_DEP_2) | instskip(SKIP_1) | instid1(VALU_DEP_3)
	v_and_b32_e32 v81, 0x1f00, v79
	v_lshlrev_b16 v79, 8, v79
	v_bitop3_b16 v53, v95, v53, 0x1f00 bitop3:0xec
	s_delay_alu instid0(VALU_DEP_3) | instskip(NEXT) | instid1(VALU_DEP_3)
	v_add_nc_u16 v81, 0xf000, v81
	v_add_nc_u16 v79, 0xf000, v79
	s_delay_alu instid0(VALU_DEP_3) | instskip(NEXT) | instid1(VALU_DEP_2)
	v_add_nc_u16 v53, 0xf000, v53
	v_perm_b32 v79, v79, v81, 0xc0c0105
	v_and_b32_e32 v81, 0x1f00, v52
	v_lshlrev_b16 v52, 8, v52
	s_delay_alu instid0(VALU_DEP_4) | instskip(NEXT) | instid1(VALU_DEP_4)
	v_and_b32_e32 v53, 0xffff, v53
	v_lshl_or_b32 v77, v79, 16, v77
	s_delay_alu instid0(VALU_DEP_4) | instskip(NEXT) | instid1(VALU_DEP_4)
	v_add_nc_u16 v81, 0xf000, v81
	v_add_nc_u16 v52, 0xf000, v52
	v_lshlrev_b32_e32 v79, 25, v56
	s_delay_alu instid0(VALU_DEP_2) | instskip(NEXT) | instid1(VALU_DEP_2)
	v_perm_b32 v52, v52, v81, 0xc0c0105
	v_and_b32_e32 v79, 0x10000000, v79
	v_lshrrev_b32_e32 v81, 5, v56
	s_delay_alu instid0(VALU_DEP_3) | instskip(NEXT) | instid1(VALU_DEP_2)
	v_lshl_or_b32 v52, v52, 16, v53
	v_and_b32_e32 v81, 0x1000, v81
	ds_store_2addr_b32 v39, v77, v52 offset1:1
	global_load_b32 v52, v[58:59], off offset:2
	s_wait_xcnt 0x0
	v_and_b32_e32 v59, 0xf0f0f0f, v78
	s_wait_loadcnt 0x0
	v_ashrrev_i32_e32 v52, v2, v52
	s_delay_alu instid0(VALU_DEP_1) | instskip(NEXT) | instid1(VALU_DEP_1)
	v_lshlrev_b32_e32 v53, 4, v52
	v_dual_lshlrev_b32 v58, 11, v52 :: v_dual_bitop2_b32 v53, 16, v53 bitop3:0x40
	v_lshlrev_b32_e32 v77, 25, v52
	s_delay_alu instid0(VALU_DEP_2) | instskip(NEXT) | instid1(VALU_DEP_2)
	v_and_b32_e32 v58, 0x1000, v58
	v_and_b32_e32 v77, 0x10000000, v77
	s_delay_alu instid0(VALU_DEP_2) | instskip(SKIP_1) | instid1(VALU_DEP_1)
	v_or3_b32 v53, v53, v59, v58
	v_lshlrev_b32_e32 v58, 18, v52
	v_and_b32_e32 v58, 0x100000, v58
	s_delay_alu instid0(VALU_DEP_1) | instskip(SKIP_2) | instid1(VALU_DEP_2)
	v_or3_b32 v58, v59, v58, v77
	v_dual_lshrrev_b32 v59, 4, v78 :: v_dual_lshrrev_b32 v77, 12, v52
	v_lshrrev_b32_e32 v78, 5, v52
	v_and_b32_e32 v59, 0xf0f0f0f, v59
	s_delay_alu instid0(VALU_DEP_3) | instskip(NEXT) | instid1(VALU_DEP_3)
	v_and_b32_e32 v77, 16, v77
	v_and_b32_e32 v78, 0x1000, v78
	s_delay_alu instid0(VALU_DEP_1) | instskip(SKIP_1) | instid1(VALU_DEP_1)
	v_or3_b32 v77, v77, v59, v78
	v_dual_lshlrev_b32 v78, 2, v52 :: v_dual_lshlrev_b32 v52, 9, v52
	v_and_b32_e32 v78, 0x100000, v78
	s_delay_alu instid0(VALU_DEP_2) | instskip(NEXT) | instid1(VALU_DEP_1)
	v_and_b32_e32 v52, 0x10000000, v52
	v_or3_b32 v52, v59, v78, v52
	v_lshlrev_b32_e32 v59, 11, v56
	v_and_b32_e32 v78, 0xf0f0f0f, v93
	s_delay_alu instid0(VALU_DEP_3) | instskip(NEXT) | instid1(VALU_DEP_3)
	v_lshrrev_b32_e32 v52, 16, v52
	v_and_b32_e32 v59, 0x1000, v59
	s_delay_alu instid0(VALU_DEP_1) | instskip(SKIP_1) | instid1(VALU_DEP_1)
	v_or3_b32 v57, v57, v78, v59
	v_lshlrev_b32_e32 v59, 18, v56
	v_and_b32_e32 v59, 0x100000, v59
	s_delay_alu instid0(VALU_DEP_1) | instskip(SKIP_1) | instid1(VALU_DEP_2)
	v_or3_b32 v59, v78, v59, v79
	v_dual_lshrrev_b32 v78, 4, v93 :: v_dual_lshrrev_b32 v79, 12, v56
	v_lshrrev_b32_e32 v59, 16, v59
	s_delay_alu instid0(VALU_DEP_2) | instskip(NEXT) | instid1(VALU_DEP_3)
	v_and_b32_e32 v78, 0xf0f0f0f, v78
	v_and_b32_e32 v79, 16, v79
	s_delay_alu instid0(VALU_DEP_1) | instskip(SKIP_1) | instid1(VALU_DEP_1)
	v_or3_b32 v79, v79, v78, v81
	v_dual_lshlrev_b32 v81, 2, v56 :: v_dual_lshlrev_b32 v56, 9, v56
	v_and_b32_e32 v81, 0x100000, v81
	s_delay_alu instid0(VALU_DEP_2) | instskip(NEXT) | instid1(VALU_DEP_1)
	v_and_b32_e32 v56, 0x10000000, v56
	v_or3_b32 v56, v78, v81, v56
	v_lshlrev_b32_e32 v78, 11, v54
	v_and_b32_e32 v81, 0xf0f0f0f, v92
	s_delay_alu instid0(VALU_DEP_3) | instskip(NEXT) | instid1(VALU_DEP_3)
	v_dual_lshrrev_b32 v58, 16, v58 :: v_dual_lshrrev_b32 v56, 16, v56
	v_and_b32_e32 v78, 0x1000, v78
	s_delay_alu instid0(VALU_DEP_1) | instskip(SKIP_1) | instid1(VALU_DEP_1)
	v_or3_b32 v55, v55, v81, v78
	v_lshlrev_b32_e32 v78, 18, v54
	v_and_b32_e32 v78, 0x100000, v78
	s_delay_alu instid0(VALU_DEP_1) | instskip(SKIP_1) | instid1(VALU_DEP_2)
	v_or3_b32 v78, v81, v78, v82
	v_dual_lshrrev_b32 v81, 4, v92 :: v_dual_lshrrev_b32 v82, 12, v54
	v_lshrrev_b32_e32 v78, 16, v78
	s_delay_alu instid0(VALU_DEP_2) | instskip(NEXT) | instid1(VALU_DEP_3)
	v_and_b32_e32 v81, 0xf0f0f0f, v81
	v_and_b32_e32 v82, 16, v82
	s_delay_alu instid0(VALU_DEP_1) | instskip(SKIP_1) | instid1(VALU_DEP_1)
	v_or3_b32 v82, v82, v81, v83
	v_dual_lshlrev_b32 v83, 2, v54 :: v_dual_lshlrev_b32 v54, 9, v54
	v_and_b32_e32 v83, 0x100000, v83
	s_delay_alu instid0(VALU_DEP_2) | instskip(NEXT) | instid1(VALU_DEP_1)
	v_and_b32_e32 v54, 0x10000000, v54
	v_or3_b32 v54, v81, v83, v54
	v_and_b32_e32 v81, 0x1f00, v53
	v_lshlrev_b16 v53, 8, v53
	s_delay_alu instid0(VALU_DEP_3) | instskip(NEXT) | instid1(VALU_DEP_3)
	v_lshrrev_b32_e32 v54, 16, v54
	v_add_nc_u16 v81, 0xf000, v81
	s_delay_alu instid0(VALU_DEP_3) | instskip(NEXT) | instid1(VALU_DEP_1)
	v_add_nc_u16 v53, 0xf000, v53
	v_perm_b32 v53, v53, v81, 0xc0c0105
	v_and_b32_e32 v81, 0x1f00, v58
	v_lshlrev_b16 v58, 8, v58
	s_delay_alu instid0(VALU_DEP_2) | instskip(NEXT) | instid1(VALU_DEP_2)
	v_add_nc_u16 v81, 0xf000, v81
	v_add_nc_u16 v58, 0xf000, v58
	s_delay_alu instid0(VALU_DEP_1) | instskip(SKIP_2) | instid1(VALU_DEP_3)
	v_perm_b32 v58, v58, v81, 0xc0c0105
	v_and_b32_e32 v81, 0x1f00, v55
	v_lshlrev_b16 v55, 8, v55
	v_lshl_or_b32 v53, v58, 16, v53
	v_and_b32_e32 v58, 0x1f00, v52
	v_lshlrev_b16 v52, 8, v52
	v_add_nc_u16 v81, 0xf000, v81
	v_add_nc_u16 v55, 0xf000, v55
	s_delay_alu instid0(VALU_DEP_4) | instskip(NEXT) | instid1(VALU_DEP_4)
	v_add_nc_u16 v58, 0xf000, v58
	v_add_nc_u16 v52, 0xf000, v52
	s_delay_alu instid0(VALU_DEP_3) | instskip(SKIP_2) | instid1(VALU_DEP_4)
	v_perm_b32 v55, v55, v81, 0xc0c0105
	v_and_b32_e32 v81, 0x1f00, v78
	v_lshlrev_b16 v78, 8, v78
	v_perm_b32 v52, v52, v58, 0xc0c0105
	v_lshlrev_b16 v58, 8, v77
	s_delay_alu instid0(VALU_DEP_4) | instskip(NEXT) | instid1(VALU_DEP_4)
	v_add_nc_u16 v81, 0xf000, v81
	v_add_nc_u16 v78, 0xf000, v78
	s_delay_alu instid0(VALU_DEP_3) | instskip(NEXT) | instid1(VALU_DEP_2)
	v_add_nc_u16 v58, 0xf000, v58
	v_perm_b32 v78, v78, v81, 0xc0c0105
	v_and_b32_e32 v81, 0x1f00, v54
	s_delay_alu instid0(VALU_DEP_3) | instskip(SKIP_1) | instid1(VALU_DEP_4)
	v_lshrrev_b16 v58, 8, v58
	v_lshlrev_b16 v54, 8, v54
	v_lshl_or_b32 v55, v78, 16, v55
	s_delay_alu instid0(VALU_DEP_4) | instskip(NEXT) | instid1(VALU_DEP_4)
	v_add_nc_u16 v81, 0xf000, v81
	v_bitop3_b16 v58, v77, v58, 0x1f00 bitop3:0xec
	v_and_b32_e32 v77, 0x1f00, v57
	v_lshlrev_b16 v57, 8, v57
	v_add_nc_u16 v54, 0xf000, v54
	s_delay_alu instid0(VALU_DEP_4) | instskip(NEXT) | instid1(VALU_DEP_4)
	v_add_nc_u16 v58, 0xf000, v58
	v_add_nc_u16 v77, 0xf000, v77
	s_delay_alu instid0(VALU_DEP_4) | instskip(NEXT) | instid1(VALU_DEP_4)
	v_add_nc_u16 v57, 0xf000, v57
	v_perm_b32 v54, v54, v81, 0xc0c0105
	s_delay_alu instid0(VALU_DEP_4) | instskip(NEXT) | instid1(VALU_DEP_3)
	v_and_b32_e32 v58, 0xffff, v58
	v_perm_b32 v57, v57, v77, 0xc0c0105
	v_and_b32_e32 v77, 0x1f00, v59
	v_lshlrev_b16 v59, 8, v59
	s_delay_alu instid0(VALU_DEP_4) | instskip(NEXT) | instid1(VALU_DEP_3)
	v_lshl_or_b32 v52, v52, 16, v58
	v_add_nc_u16 v77, 0xf000, v77
	s_delay_alu instid0(VALU_DEP_3) | instskip(SKIP_4) | instid1(VALU_DEP_3)
	v_add_nc_u16 v59, 0xf000, v59
	ds_store_2addr_b32 v41, v53, v52 offset1:1
	v_perm_b32 v59, v59, v77, 0xc0c0105
	v_and_b32_e32 v77, 0x1f00, v56
	v_lshlrev_b16 v56, 8, v56
	v_lshl_or_b32 v57, v59, 16, v57
	s_delay_alu instid0(VALU_DEP_3) | instskip(NEXT) | instid1(VALU_DEP_3)
	v_add_nc_u16 v77, 0xf000, v77
	v_add_nc_u16 v56, 0xf000, v56
	s_delay_alu instid0(VALU_DEP_1) | instskip(SKIP_1) | instid1(VALU_DEP_1)
	v_perm_b32 v56, v56, v77, 0xc0c0105
	v_lshlrev_b16 v77, 8, v79
	v_add_nc_u16 v77, 0xf000, v77
	s_delay_alu instid0(VALU_DEP_1) | instskip(NEXT) | instid1(VALU_DEP_1)
	v_lshrrev_b16 v77, 8, v77
	v_bitop3_b16 v77, v79, v77, 0x1f00 bitop3:0xec
	v_lshlrev_b16 v79, 8, v82
	s_delay_alu instid0(VALU_DEP_2) | instskip(NEXT) | instid1(VALU_DEP_2)
	v_add_nc_u16 v58, 0xf000, v77
	v_add_nc_u16 v79, 0xf000, v79
	s_delay_alu instid0(VALU_DEP_2) | instskip(NEXT) | instid1(VALU_DEP_2)
	v_and_b32_e32 v58, 0xffff, v58
	v_lshrrev_b16 v79, 8, v79
	s_delay_alu instid0(VALU_DEP_2) | instskip(NEXT) | instid1(VALU_DEP_2)
	v_lshl_or_b32 v56, v56, 16, v58
	v_bitop3_b16 v79, v82, v79, 0x1f00 bitop3:0xec
	ds_store_2addr_b32 v43, v57, v56 offset1:1
	v_add_nc_u16 v59, 0xf000, v79
	s_delay_alu instid0(VALU_DEP_1) | instskip(NEXT) | instid1(VALU_DEP_1)
	v_and_b32_e32 v59, 0xffff, v59
	v_lshl_or_b32 v54, v54, 16, v59
	ds_store_2addr_b32 v45, v55, v54 offset1:1
	ds_store_b32 v60, v80
	s_cbranch_scc0 .LBB222_4
; %bb.6:                                ;   in Loop: Header=BB222_5 Depth=1
	v_add_nc_u32_e32 v52, s14, v29
	s_delay_alu instid0(VALU_DEP_1) | instskip(SKIP_1) | instid1(SALU_CYCLE_1)
	v_cmp_gt_i32_e64 s1, s6, v52
	s_and_b32 s19, s0, s1
	s_and_saveexec_b32 s1, s19
	s_cbranch_execz .LBB222_8
; %bb.7:                                ;   in Loop: Header=BB222_5 Depth=1
	v_add_nc_u32_e32 v52, v8, v52
	s_delay_alu instid0(VALU_DEP_1)
	v_mad_nc_i64_i32 v[52:53], v52, 36, v[10:11]
	global_load_b32 v52, v[52:53], off offset:4
	s_wait_loadcnt 0x0
	ds_store_b32 v63, v52
.LBB222_8:                              ;   in Loop: Header=BB222_5 Depth=1
	s_or_b32 exec_lo, exec_lo, s1
	v_add_nc_u32_e32 v52, s14, v5
	s_delay_alu instid0(VALU_DEP_1) | instskip(SKIP_1) | instid1(SALU_CYCLE_1)
	v_cmp_gt_i32_e64 s1, s6, v52
	s_and_b32 s19, s8, s1
	s_and_saveexec_b32 s1, s19
	s_cbranch_execz .LBB222_10
; %bb.9:                                ;   in Loop: Header=BB222_5 Depth=1
	v_add_nc_u32_e32 v53, v8, v52
	s_delay_alu instid0(VALU_DEP_1)
	v_mad_nc_i64_i32 v[54:55], v53, 36, s[2:3]
	global_load_b32 v53, v[54:55], off
	s_wait_loadcnt 0x0
	v_cvt_f32_f16_e32 v53, v53
	ds_store_b32 v64, v53
.LBB222_10:                             ;   in Loop: Header=BB222_5 Depth=1
	s_or_b32 exec_lo, exec_lo, s1
	v_dual_mov_b32 v53, v61 :: v_dual_mov_b32 v55, v62
	v_mul_u32_u24_e32 v54, 0x104, v5
	v_dual_mov_b32 v56, v73 :: v_dual_mov_b32 v57, v71
	v_dual_mov_b32 v58, v69 :: v_dual_mov_b32 v59, v67
	s_mov_b32 s1, -4
	s_wait_dscnt 0x0
	s_barrier_signal -1
	s_barrier_wait -1
.LBB222_11:                             ;   Parent Loop BB222_5 Depth=1
                                        ; =>  This Inner Loop Header: Depth=2
	ds_load_2addr_b32 v[78:79], v53 offset0:3 offset1:4
	ds_load_2addr_b32 v[80:81], v53 offset0:5 offset1:6
	ds_load_2addr_b32 v[82:83], v54 offset1:1
	ds_load_2addr_b32 v[84:85], v53 offset0:1 offset1:2
	ds_load_2addr_b32 v[86:87], v53 offset1:7
	ds_load_b32 v122, v56
	ds_load_b32 v123, v57
	;; [unrolled: 1-line block ×5, first 2 shown]
	ds_load_2addr_b32 v[92:93], v54 offset0:2 offset1:3
	ds_load_2addr_b32 v[94:95], v54 offset0:4 offset1:5
	;; [unrolled: 1-line block ×3, first 2 shown]
	v_add_nc_u32_e32 v77, 0x2080, v54
	v_add_nc_u32_e32 v91, 0x2088, v54
	v_add_nc_u32_e32 v104, 0x2098, v54
	v_add_nc_u32_e32 v106, 0x4100, v54
	v_add_nc_u32_e32 v108, 0x4108, v54
	v_add_nc_u32_e32 v110, 0x4110, v54
	v_add_nc_u32_e32 v112, 0x4118, v54
	v_add_nc_u32_e32 v114, 0x6180, v54
	v_add_nc_u32_e32 v116, 0x6188, v54
	v_add_nc_u32_e32 v118, 0x6190, v54
	v_add_nc_u32_e32 v120, 0x6198, v54
	v_add_nc_u32_e32 v55, 4, v55
	v_dual_add_nc_u32 v59, 4, v59 :: v_dual_add_nc_u32 v58, 4, v58
	s_wait_dscnt 0xc
	v_dual_lshlrev_b32 v129, 24, v79 :: v_dual_lshlrev_b32 v130, 16, v79
	s_wait_dscnt 0x3
	v_dual_mul_f32 v122, v90, v122 :: v_dual_lshlrev_b32 v131, 24, v84
	v_add_nc_u32_e32 v102, 0x2090, v54
	ds_load_2addr_b32 v[98:99], v77 offset1:1
	ds_load_2addr_b32 v[100:101], v91 offset1:1
	;; [unrolled: 1-line block ×12, first 2 shown]
	v_dual_lshlrev_b32 v77, 8, v79 :: v_dual_lshlrev_b32 v124, 8, v80
	v_dual_lshlrev_b32 v132, 16, v84 :: v_dual_lshlrev_b32 v135, 24, v85
	;; [unrolled: 1-line block ×8, first 2 shown]
	v_lshlrev_b32_e32 v141, 24, v87
	v_perm_b32 v143, v80, v84, 0x7030c0c
	v_perm_b32 v146, v130, v129, 0xc0c0703
	;; [unrolled: 1-line block ×5, first 2 shown]
	s_wait_dscnt 0x3
	v_perm_b32 v130, v114, v130, 0xc0c0503
	v_perm_b32 v132, v134, v132, 0x7030c0c
	s_wait_dscnt 0x2
	v_perm_b32 v134, v117, v116, 0x5010c0c
	v_perm_b32 v154, v86, v115, 0xc0c0501
	;; [unrolled: 1-line block ×5, first 2 shown]
	v_dot4_i32_iu8 v82, v86, v82, 0 neg_lo:[1,1,0]
	v_perm_b32 v144, v81, v85, 0xc0c0703
	v_perm_b32 v145, v87, v78, 0x7030c0c
	v_lshlrev_b32_e32 v142, 16, v87
	v_dot4_i32_iu8 v98, v86, v98, 0 neg_lo:[1,1,0]
	v_dot4_i32_iu8 v106, v86, v106, 0 neg_lo:[1,1,0]
	v_perm_b32 v84, v84, v91, 0x7030c0c
	v_perm_b32 v80, v80, v124, 0x7030c0c
	;; [unrolled: 1-line block ×18, first 2 shown]
	s_wait_dscnt 0x1
	v_perm_b32 v137, v119, v118, 0xc0c0703
	s_wait_dscnt 0x0
	v_perm_b32 v139, v121, v120, 0x7030c0c
	v_or_b32_e32 v130, v132, v130
	v_or_b32_e32 v132, v134, v154
	;; [unrolled: 1-line block ×4, first 2 shown]
	v_perm_b32 v150, v136, v135, 0xc0c0703
	v_or_b32_e32 v135, v145, v144
	v_or_b32_e32 v86, v114, v86
	;; [unrolled: 1-line block ×4, first 2 shown]
	v_dot4_i32_iu8 v79, v79, v134, 0 neg_lo:[1,1,0]
	v_perm_b32 v85, v85, v125, 0x7030c0c
	v_perm_b32 v81, v81, v126, 0x7030c0c
	;; [unrolled: 1-line block ×9, first 2 shown]
	v_dot4_i32_iu8 v79, v135, v117, v79 neg_lo:[1,1,0]
	v_or_b32_e32 v136, v147, v146
	v_dual_add_nc_u32 v54, 32, v54 :: v_dual_bitop2_b32 v84, v84, v148 bitop3:0x54
	v_or_b32_e32 v80, v80, v149
	v_perm_b32 v121, v142, v140, 0x7030c0c
	s_delay_alu instid0(VALU_DEP_4) | instskip(SKIP_3) | instid1(VALU_DEP_4)
	v_dot4_i32_iu8 v82, v136, v83, v82 neg_lo:[1,1,0]
	v_dot4_i32_iu8 v83, v136, v99, v98 neg_lo:[1,1,0]
	;; [unrolled: 1-line block ×3, first 2 shown]
	v_dual_add_nc_u32 v53, 32, v53 :: v_dual_bitop2_b32 v85, v85, v150 bitop3:0x54
	v_dot4_i32_iu8 v82, v84, v92, v82 neg_lo:[1,1,0]
	s_delay_alu instid0(VALU_DEP_4) | instskip(NEXT) | instid1(VALU_DEP_4)
	v_dot4_i32_iu8 v83, v84, v100, v83 neg_lo:[1,1,0]
	v_dot4_i32_iu8 v84, v84, v108, v98 neg_lo:[1,1,0]
	v_or_b32_e32 v81, v81, v151
	v_or_b32_e32 v129, v131, v129
	v_dot4_i32_iu8 v82, v80, v93, v82 neg_lo:[1,1,0]
	v_dot4_i32_iu8 v83, v80, v101, v83 neg_lo:[1,1,0]
	;; [unrolled: 1-line block ×3, first 2 shown]
	v_or_b32_e32 v131, v133, v157
	v_or_b32_e32 v77, v91, v77
	;; [unrolled: 1-line block ×4, first 2 shown]
	v_dot4_i32_iu8 v106, v130, v132, 0 neg_lo:[1,1,0]
	v_dot4_i32_iu8 v82, v85, v94, v82 neg_lo:[1,1,0]
	;; [unrolled: 1-line block ×4, first 2 shown]
	v_perm_b32 v153, v142, v141, 0xc0c0703
	v_or_b32_e32 v78, v78, v152
	v_or_b32_e32 v91, v116, v115
	;; [unrolled: 1-line block ×4, first 2 shown]
	v_dot4_i32_iu8 v77, v77, v86, 0 neg_lo:[1,1,0]
	v_dot4_i32_iu8 v84, v129, v131, 0 neg_lo:[1,1,0]
	;; [unrolled: 1-line block ×6, first 2 shown]
	v_or_b32_e32 v87, v87, v153
	v_dot4_i32_iu8 v77, v114, v91, v77 neg_lo:[1,1,0]
	v_dot4_i32_iu8 v81, v116, v115, v84 neg_lo:[1,1,0]
	v_add_nc_u32_e32 v79, v85, v79
	v_dot4_i32_iu8 v82, v78, v96, v82 neg_lo:[1,1,0]
	v_dot4_i32_iu8 v83, v78, v104, v83 neg_lo:[1,1,0]
	;; [unrolled: 1-line block ×3, first 2 shown]
	v_mul_f32_e32 v84, v90, v123
	v_add3_u32 v77, v81, v77, v79
	v_dot4_i32_iu8 v80, v87, v97, v82 neg_lo:[1,1,0]
	v_dot4_i32_iu8 v82, v87, v105, v83 neg_lo:[1,1,0]
	;; [unrolled: 1-line block ×3, first 2 shown]
	v_pk_mul_f32 v[78:79], v[90:91], v[88:89] op_sel_hi:[0,1]
	v_cvt_f32_i32_e32 v81, v77
	v_cvt_f32_i32_e32 v77, v80
	;; [unrolled: 1-line block ×4, first 2 shown]
	v_dual_add_nc_u32 v57, 4, v57 :: v_dual_add_nc_u32 v56, 4, v56
	s_delay_alu instid0(VALU_DEP_3) | instskip(NEXT) | instid1(VALU_DEP_3)
	v_dual_fmac_f32 v75, v122, v77 :: v_dual_fmac_f32 v66, v84, v82
	v_pk_fma_f32 v[6:7], v[78:79], v[80:81], v[6:7]
	s_add_co_i32 s1, s1, 4
	s_delay_alu instid0(SALU_CYCLE_1)
	s_cmp_lt_u32 s1, 12
	s_cbranch_scc1 .LBB222_11
; %bb.12:                               ;   in Loop: Header=BB222_5 Depth=1
	s_bitset1_b32 s18, 7
	s_delay_alu instid0(SALU_CYCLE_1)
	s_cmp_ge_i32 s18, s5
	s_barrier_signal -1
	s_barrier_wait -1
	s_cbranch_scc1 .LBB222_4
; %bb.13:                               ;   in Loop: Header=BB222_5 Depth=1
	v_add_nc_u32_e32 v53, s14, v65
	s_delay_alu instid0(VALU_DEP_1) | instskip(SKIP_1) | instid1(SALU_CYCLE_1)
	v_cmp_gt_i32_e64 s1, s6, v53
	s_and_b32 s18, s0, s1
	s_and_saveexec_b32 s1, s18
	s_cbranch_execz .LBB222_15
; %bb.14:                               ;   in Loop: Header=BB222_5 Depth=1
	v_add_nc_u32_e32 v53, v8, v53
	s_delay_alu instid0(VALU_DEP_1)
	v_mad_nc_i64_i32 v[54:55], v53, 36, v[10:11]
	global_load_b32 v53, v[54:55], off offset:4
	s_wait_loadcnt 0x0
	ds_store_b32 v63, v53
.LBB222_15:                             ;   in Loop: Header=BB222_5 Depth=1
	s_or_b32 exec_lo, exec_lo, s1
	s_and_saveexec_b32 s18, vcc_lo
	s_cbranch_execz .LBB222_18
; %bb.16:                               ;   in Loop: Header=BB222_5 Depth=1
	v_or_b32_e32 v53, 4, v52
	s_delay_alu instid0(VALU_DEP_1) | instskip(SKIP_1) | instid1(SALU_CYCLE_1)
	v_cmp_gt_i32_e64 s1, s6, v53
	s_and_b32 s1, s0, s1
	s_and_b32 exec_lo, exec_lo, s1
	s_cbranch_execz .LBB222_18
; %bb.17:                               ;   in Loop: Header=BB222_5 Depth=1
	v_ashrrev_i32_e32 v53, 31, v52
	s_delay_alu instid0(VALU_DEP_1) | instskip(NEXT) | instid1(VALU_DEP_1)
	v_add_nc_u64_e32 v[52:53], v[8:9], v[52:53]
	v_mad_nc_u64_u32 v[54:55], v52, 36, s[2:3]
	s_delay_alu instid0(VALU_DEP_1)
	v_mad_i32_i24 v55, v53, 36, v55
	global_load_b32 v52, v[54:55], off offset:144
	s_wait_loadcnt 0x0
	v_cvt_f32_f16_e32 v52, v52
	ds_store_b32 v64, v52
.LBB222_18:                             ;   in Loop: Header=BB222_5 Depth=1
	s_or_b32 exec_lo, exec_lo, s18
	v_dual_mov_b32 v52, v62 :: v_dual_mov_b32 v53, v61
	v_dual_mov_b32 v54, v76 :: v_dual_mov_b32 v55, v74
	;; [unrolled: 1-line block ×3, first 2 shown]
	v_mov_b32_e32 v58, v68
	s_mov_b32 s1, 12
	s_wait_dscnt 0x0
	s_barrier_signal -1
	s_barrier_wait -1
.LBB222_19:                             ;   Parent Loop BB222_5 Depth=1
                                        ; =>  This Inner Loop Header: Depth=2
	ds_load_2addr_b32 v[78:79], v53 offset1:7
	ds_load_2addr_b32 v[80:81], v53 offset0:3 offset1:4
	ds_load_2addr_b32 v[82:83], v53 offset0:5 offset1:6
	;; [unrolled: 1-line block ×3, first 2 shown]
	ds_load_b32 v86, v52
	ds_load_b32 v122, v55
	;; [unrolled: 1-line block ×5, first 2 shown]
	v_add_nc_u32_e32 v59, 0x2080, v54
	v_add_nc_u32_e32 v77, 0x2088, v54
	;; [unrolled: 1-line block ×11, first 2 shown]
	ds_load_2addr_b32 v[90:91], v54 offset1:1
	ds_load_2addr_b32 v[92:93], v54 offset0:2 offset1:3
	ds_load_2addr_b32 v[94:95], v54 offset0:4 offset1:5
	;; [unrolled: 1-line block ×3, first 2 shown]
	v_dual_add_nc_u32 v58, 4, v58 :: v_dual_add_nc_u32 v57, 4, v57
	v_dual_add_nc_u32 v56, 4, v56 :: v_dual_add_nc_u32 v55, 4, v55
	s_wait_dscnt 0x9
	v_dual_lshlrev_b32 v129, 16, v81 :: v_dual_lshlrev_b32 v130, 24, v84
	s_wait_dscnt 0x7
	v_dual_mul_f32 v122, v86, v122 :: v_dual_lshlrev_b32 v128, 24, v81
	v_add_nc_u32_e32 v104, 0x2098, v54
	ds_load_2addr_b32 v[98:99], v59 offset1:1
	ds_load_2addr_b32 v[100:101], v77 offset1:1
	;; [unrolled: 1-line block ×12, first 2 shown]
	v_dual_add_nc_u32 v54, 32, v54 :: v_dual_lshlrev_b32 v59, 8, v81
	v_dual_lshlrev_b32 v77, 8, v84 :: v_dual_lshlrev_b32 v87, 8, v82
	v_dual_lshlrev_b32 v124, 8, v85 :: v_dual_lshlrev_b32 v125, 8, v83
	;; [unrolled: 1-line block ×8, first 2 shown]
	v_perm_b32 v145, v129, v128, 0xc0c0703
	v_perm_b32 v146, v81, v59, 0x7030c0c
	s_wait_dscnt 0xf
	v_dot4_i32_iu8 v90, v78, v90, 0 neg_lo:[1,1,0]
	v_lshlrev_b32_e32 v141, 16, v79
	v_perm_b32 v142, v82, v84, 0x7030c0c
	v_perm_b32 v143, v83, v85, 0xc0c0703
	;; [unrolled: 1-line block ×3, first 2 shown]
	s_wait_dscnt 0xb
	v_dot4_i32_iu8 v98, v78, v98, 0 neg_lo:[1,1,0]
	s_wait_dscnt 0x7
	v_dot4_i32_iu8 v106, v78, v106, 0 neg_lo:[1,1,0]
	v_perm_b32 v147, v131, v130, 0xc0c0703
	v_perm_b32 v84, v84, v77, 0x7030c0c
	;; [unrolled: 1-line block ×11, first 2 shown]
	s_wait_dscnt 0x3
	v_perm_b32 v129, v114, v129, 0xc0c0503
	v_perm_b32 v131, v133, v131, 0x7030c0c
	s_wait_dscnt 0x2
	v_perm_b32 v133, v117, v116, 0x5010c0c
	v_perm_b32 v153, v78, v115, 0xc0c0501
	;; [unrolled: 1-line block ×13, first 2 shown]
	s_wait_dscnt 0x1
	v_perm_b32 v114, v119, v118, 0xc0c0602
	s_wait_dscnt 0x0
	v_perm_b32 v115, v121, v120, 0x6020c0c
	v_perm_b32 v116, v125, v124, 0xc0c0703
	;; [unrolled: 1-line block ×12, first 2 shown]
	v_or_b32_e32 v135, v146, v145
	v_dual_add_nc_u32 v53, 32, v53 :: v_dual_bitop2_b32 v84, v84, v147 bitop3:0x54
	v_perm_b32 v121, v141, v139, 0x7030c0c
	v_or_b32_e32 v82, v82, v148
	s_delay_alu instid0(VALU_DEP_4)
	v_dot4_i32_iu8 v90, v135, v91, v90 neg_lo:[1,1,0]
	v_dot4_i32_iu8 v91, v135, v99, v98 neg_lo:[1,1,0]
	;; [unrolled: 1-line block ×3, first 2 shown]
	v_or_b32_e32 v129, v131, v129
	v_or_b32_e32 v131, v133, v153
	;; [unrolled: 1-line block ×4, first 2 shown]
	v_dot4_i32_iu8 v90, v84, v92, v90 neg_lo:[1,1,0]
	v_dot4_i32_iu8 v91, v84, v100, v91 neg_lo:[1,1,0]
	;; [unrolled: 1-line block ×3, first 2 shown]
	v_dual_add_nc_u32 v52, 4, v52 :: v_dual_bitop2_b32 v85, v85, v149 bitop3:0x54
	v_or_b32_e32 v133, v154, v155
	v_or_b32_e32 v81, v142, v81
	;; [unrolled: 1-line block ×6, first 2 shown]
	v_dot4_i32_iu8 v106, v129, v131, 0 neg_lo:[1,1,0]
	v_dot4_i32_iu8 v59, v59, v77, 0 neg_lo:[1,1,0]
	;; [unrolled: 1-line block ×5, first 2 shown]
	v_or_b32_e32 v83, v83, v150
	v_or_b32_e32 v128, v130, v128
	;; [unrolled: 1-line block ×4, first 2 shown]
	v_dot4_i32_iu8 v81, v81, v133, 0 neg_lo:[1,1,0]
	v_dot4_i32_iu8 v59, v87, v78, v59 neg_lo:[1,1,0]
	;; [unrolled: 1-line block ×6, first 2 shown]
	v_or_b32_e32 v134, v144, v143
	v_perm_b32 v152, v141, v140, 0xc0c0703
	v_or_b32_e32 v80, v80, v151
	v_or_b32_e32 v114, v125, v124
	;; [unrolled: 1-line block ×3, first 2 shown]
	v_dot4_i32_iu8 v84, v128, v130, 0 neg_lo:[1,1,0]
	v_dot4_i32_iu8 v81, v134, v116, v81 neg_lo:[1,1,0]
	;; [unrolled: 1-line block ×5, first 2 shown]
	v_or_b32_e32 v79, v79, v152
	v_dot4_i32_iu8 v83, v115, v114, v84 neg_lo:[1,1,0]
	v_add_nc_u32_e32 v81, v85, v81
	v_dot4_i32_iu8 v77, v80, v96, v77 neg_lo:[1,1,0]
	v_dot4_i32_iu8 v78, v80, v104, v78 neg_lo:[1,1,0]
	;; [unrolled: 1-line block ×3, first 2 shown]
	v_mul_f32_e32 v82, v86, v123
	v_add3_u32 v59, v83, v59, v81
	v_dot4_i32_iu8 v77, v79, v97, v77 neg_lo:[1,1,0]
	v_dot4_i32_iu8 v83, v79, v105, v78 neg_lo:[1,1,0]
	;; [unrolled: 1-line block ×3, first 2 shown]
	v_pk_mul_f32 v[78:79], v[86:87], v[88:89] op_sel_hi:[0,1]
	v_cvt_f32_i32_e32 v81, v59
	v_cvt_f32_i32_e32 v59, v77
	;; [unrolled: 1-line block ×4, first 2 shown]
	s_add_co_i32 s1, s1, 4
	s_delay_alu instid0(VALU_DEP_3) | instskip(NEXT) | instid1(VALU_DEP_3)
	v_fmac_f32_e32 v75, v122, v59
	v_fmac_f32_e32 v66, v82, v77
	s_delay_alu instid0(VALU_DEP_3)
	v_pk_fma_f32 v[6:7], v[78:79], v[80:81], v[6:7]
	s_cmp_lt_u32 s1, 28
	s_cbranch_scc1 .LBB222_19
; %bb.20:                               ;   in Loop: Header=BB222_5 Depth=1
	s_barrier_signal -1
	s_barrier_wait -1
	s_branch .LBB222_4
.LBB222_21:
	s_mul_i32 s0, s10, s7
	s_wait_loadcnt 0x0
	v_cmp_gt_i32_e32 vcc_lo, s0, v1
	s_and_saveexec_b32 s0, vcc_lo
	s_cbranch_execz .LBB222_30
; %bb.22:
	v_mul_lo_u32 v0, v1, s9
	v_add_nc_u32_e32 v1, s11, v5
	s_mov_b32 s0, exec_lo
	s_delay_alu instid0(VALU_DEP_1)
	v_cmpx_gt_u32_e64 s9, v1
	s_cbranch_execz .LBB222_24
; %bb.23:
	v_bfe_u32 v2, v75, 16, 1
	v_cmp_o_f32_e32 vcc_lo, v75, v75
	v_add_nc_u32_e32 v3, v0, v1
	s_delay_alu instid0(VALU_DEP_3) | instskip(NEXT) | instid1(VALU_DEP_1)
	v_add3_u32 v2, v75, v2, 0x7fff
	v_lshrrev_b32_e32 v2, 16, v2
	s_delay_alu instid0(VALU_DEP_1)
	v_cndmask_b32_e32 v2, 0x7fc0, v2, vcc_lo
	global_store_b16 v3, v2, s[12:13] scale_offset
.LBB222_24:
	s_wait_xcnt 0x0
	s_or_b32 exec_lo, exec_lo, s0
	v_add_nc_u32_e32 v2, 32, v1
	s_mov_b32 s0, exec_lo
	s_delay_alu instid0(VALU_DEP_1)
	v_cmpx_gt_u32_e64 s9, v2
	s_cbranch_execz .LBB222_26
; %bb.25:
	v_bfe_u32 v3, v66, 16, 1
	v_cmp_o_f32_e32 vcc_lo, v66, v66
	v_add_nc_u32_e32 v2, v0, v2
	s_delay_alu instid0(VALU_DEP_3) | instskip(NEXT) | instid1(VALU_DEP_1)
	v_add3_u32 v3, v66, v3, 0x7fff
	v_lshrrev_b32_e32 v3, 16, v3
	s_delay_alu instid0(VALU_DEP_1)
	v_cndmask_b32_e32 v3, 0x7fc0, v3, vcc_lo
	global_store_b16 v2, v3, s[12:13] scale_offset
.LBB222_26:
	s_wait_xcnt 0x0
	s_or_b32 exec_lo, exec_lo, s0
	;; [unrolled: 18-line block ×3, first 2 shown]
	v_add_nc_u32_e32 v1, 0x60, v1
	s_delay_alu instid0(VALU_DEP_1)
	v_cmp_gt_u32_e32 vcc_lo, s9, v1
	s_and_b32 exec_lo, exec_lo, vcc_lo
	s_cbranch_execz .LBB222_30
; %bb.29:
	v_bfe_u32 v2, v7, 16, 1
	v_cmp_o_f32_e32 vcc_lo, v7, v7
	v_add_nc_u32_e32 v0, v0, v1
	s_delay_alu instid0(VALU_DEP_3) | instskip(NEXT) | instid1(VALU_DEP_1)
	v_add3_u32 v2, v7, v2, 0x7fff
	v_lshrrev_b32_e32 v2, 16, v2
	s_delay_alu instid0(VALU_DEP_1)
	v_cndmask_b32_e32 v2, 0x7fc0, v2, vcc_lo
	global_store_b16 v0, v2, s[12:13] scale_offset
.LBB222_30:
	s_sendmsg sendmsg(MSG_DEALLOC_VGPRS)
	s_endpgm
	.section	.rodata,"a",@progbits
	.p2align	6, 0x0
	.amdhsa_kernel _ZL8moe_q5_0IN3c108BFloat16ELb1EEvPKvS3_PT_PKiS7_S7_iiiiiii
		.amdhsa_group_segment_fixed_size 38656
		.amdhsa_private_segment_fixed_size 0
		.amdhsa_kernarg_size 76
		.amdhsa_user_sgpr_count 2
		.amdhsa_user_sgpr_dispatch_ptr 0
		.amdhsa_user_sgpr_queue_ptr 0
		.amdhsa_user_sgpr_kernarg_segment_ptr 1
		.amdhsa_user_sgpr_dispatch_id 0
		.amdhsa_user_sgpr_kernarg_preload_length 0
		.amdhsa_user_sgpr_kernarg_preload_offset 0
		.amdhsa_user_sgpr_private_segment_size 0
		.amdhsa_wavefront_size32 1
		.amdhsa_uses_dynamic_stack 0
		.amdhsa_enable_private_segment 0
		.amdhsa_system_sgpr_workgroup_id_x 1
		.amdhsa_system_sgpr_workgroup_id_y 1
		.amdhsa_system_sgpr_workgroup_id_z 0
		.amdhsa_system_sgpr_workgroup_info 0
		.amdhsa_system_vgpr_workitem_id 1
		.amdhsa_next_free_vgpr 158
		.amdhsa_next_free_sgpr 21
		.amdhsa_named_barrier_count 0
		.amdhsa_reserve_vcc 1
		.amdhsa_float_round_mode_32 0
		.amdhsa_float_round_mode_16_64 0
		.amdhsa_float_denorm_mode_32 3
		.amdhsa_float_denorm_mode_16_64 3
		.amdhsa_fp16_overflow 0
		.amdhsa_memory_ordered 1
		.amdhsa_forward_progress 1
		.amdhsa_inst_pref_size 109
		.amdhsa_round_robin_scheduling 0
		.amdhsa_exception_fp_ieee_invalid_op 0
		.amdhsa_exception_fp_denorm_src 0
		.amdhsa_exception_fp_ieee_div_zero 0
		.amdhsa_exception_fp_ieee_overflow 0
		.amdhsa_exception_fp_ieee_underflow 0
		.amdhsa_exception_fp_ieee_inexact 0
		.amdhsa_exception_int_div_zero 0
	.end_amdhsa_kernel
	.section	.text._ZL8moe_q5_0IN3c108BFloat16ELb1EEvPKvS3_PT_PKiS7_S7_iiiiiii,"axG",@progbits,_ZL8moe_q5_0IN3c108BFloat16ELb1EEvPKvS3_PT_PKiS7_S7_iiiiiii,comdat
.Lfunc_end222:
	.size	_ZL8moe_q5_0IN3c108BFloat16ELb1EEvPKvS3_PT_PKiS7_S7_iiiiiii, .Lfunc_end222-_ZL8moe_q5_0IN3c108BFloat16ELb1EEvPKvS3_PT_PKiS7_S7_iiiiiii
                                        ; -- End function
	.set _ZL8moe_q5_0IN3c108BFloat16ELb1EEvPKvS3_PT_PKiS7_S7_iiiiiii.num_vgpr, 158
	.set _ZL8moe_q5_0IN3c108BFloat16ELb1EEvPKvS3_PT_PKiS7_S7_iiiiiii.num_agpr, 0
	.set _ZL8moe_q5_0IN3c108BFloat16ELb1EEvPKvS3_PT_PKiS7_S7_iiiiiii.numbered_sgpr, 21
	.set _ZL8moe_q5_0IN3c108BFloat16ELb1EEvPKvS3_PT_PKiS7_S7_iiiiiii.num_named_barrier, 0
	.set _ZL8moe_q5_0IN3c108BFloat16ELb1EEvPKvS3_PT_PKiS7_S7_iiiiiii.private_seg_size, 0
	.set _ZL8moe_q5_0IN3c108BFloat16ELb1EEvPKvS3_PT_PKiS7_S7_iiiiiii.uses_vcc, 1
	.set _ZL8moe_q5_0IN3c108BFloat16ELb1EEvPKvS3_PT_PKiS7_S7_iiiiiii.uses_flat_scratch, 0
	.set _ZL8moe_q5_0IN3c108BFloat16ELb1EEvPKvS3_PT_PKiS7_S7_iiiiiii.has_dyn_sized_stack, 0
	.set _ZL8moe_q5_0IN3c108BFloat16ELb1EEvPKvS3_PT_PKiS7_S7_iiiiiii.has_recursion, 0
	.set _ZL8moe_q5_0IN3c108BFloat16ELb1EEvPKvS3_PT_PKiS7_S7_iiiiiii.has_indirect_call, 0
	.section	.AMDGPU.csdata,"",@progbits
; Kernel info:
; codeLenInByte = 13896
; TotalNumSgprs: 23
; NumVgprs: 158
; ScratchSize: 0
; MemoryBound: 0
; FloatMode: 240
; IeeeMode: 1
; LDSByteSize: 38656 bytes/workgroup (compile time only)
; SGPRBlocks: 0
; VGPRBlocks: 9
; NumSGPRsForWavesPerEU: 23
; NumVGPRsForWavesPerEU: 158
; NamedBarCnt: 0
; Occupancy: 6
; WaveLimiterHint : 1
; COMPUTE_PGM_RSRC2:SCRATCH_EN: 0
; COMPUTE_PGM_RSRC2:USER_SGPR: 2
; COMPUTE_PGM_RSRC2:TRAP_HANDLER: 0
; COMPUTE_PGM_RSRC2:TGID_X_EN: 1
; COMPUTE_PGM_RSRC2:TGID_Y_EN: 1
; COMPUTE_PGM_RSRC2:TGID_Z_EN: 0
; COMPUTE_PGM_RSRC2:TIDIG_COMP_CNT: 1
	.section	.text._ZL8moe_q5_1IN3c108BFloat16ELb0EEvPKvS3_PT_PKiS7_S7_iiiiiii,"axG",@progbits,_ZL8moe_q5_1IN3c108BFloat16ELb0EEvPKvS3_PT_PKiS7_S7_iiiiiii,comdat
	.globl	_ZL8moe_q5_1IN3c108BFloat16ELb0EEvPKvS3_PT_PKiS7_S7_iiiiiii ; -- Begin function _ZL8moe_q5_1IN3c108BFloat16ELb0EEvPKvS3_PT_PKiS7_S7_iiiiiii
	.p2align	8
	.type	_ZL8moe_q5_1IN3c108BFloat16ELb0EEvPKvS3_PT_PKiS7_S7_iiiiiii,@function
_ZL8moe_q5_1IN3c108BFloat16ELb0EEvPKvS3_PT_PKiS7_S7_iiiiiii: ; @_ZL8moe_q5_1IN3c108BFloat16ELb0EEvPKvS3_PT_PKiS7_S7_iiiiiii
; %bb.0:
	s_load_b128 s[4:7], s[0:1], 0x18
	s_bfe_u32 s2, ttmp6, 0x40010
	s_bfe_u32 s8, ttmp6, 0x40004
	s_add_co_i32 s2, s2, 1
	s_delay_alu instid0(SALU_CYCLE_1)
	s_mul_i32 s3, ttmp7, s2
	s_getreg_b32 s2, hwreg(HW_REG_IB_STS2, 6, 4)
	s_add_co_i32 s8, s8, s3
	s_cmp_eq_u32 s2, 0
	s_cselect_b32 s3, ttmp7, s8
	s_wait_kmcnt 0x0
	s_load_b32 s12, s[6:7], s3 offset:0x0 scale_offset
	s_wait_kmcnt 0x0
	s_cmp_gt_u32 s12, 0xff
	s_cbranch_scc1 .LBB223_30
; %bb.1:
	s_load_b64 s[6:7], s[0:1], 0x28
	s_lshl_b32 s3, s3, 3
	s_wait_kmcnt 0x0
	s_load_b32 s6, s[6:7], 0x0
	s_wait_kmcnt 0x0
	s_cmp_gt_u32 s3, s6
	s_cbranch_scc1 .LBB223_30
; %bb.2:
	v_bfe_u32 v20, v0, 10, 10
	s_and_b32 s13, ttmp6, 15
	v_and_b32_e32 v3, 0x3ff, v0
	s_delay_alu instid0(VALU_DEP_2) | instskip(SKIP_1) | instid1(SALU_CYCLE_1)
	v_dual_mov_b32 v17, 0 :: v_dual_add_nc_u32 v1, s3, v20
	s_bfe_u32 s3, ttmp6, 0x4000c
	s_add_co_i32 s3, s3, 1
	s_delay_alu instid0(VALU_DEP_1)
	v_dual_mov_b32 v16, v17 :: v_dual_mov_b32 v45, v17
	global_load_b32 v1, v1, s[4:5] scale_offset
	s_clause 0x2
	s_load_b64 s[10:11], s[0:1], 0x30
	s_load_b64 s[8:9], s[0:1], 0x10
	s_load_b128 s[4:7], s[0:1], 0x3c
	s_mul_i32 s3, ttmp9, s3
	v_mov_b32_e32 v55, v17
	s_add_co_i32 s13, s13, s3
	s_cmp_eq_u32 s2, 0
	s_cselect_b32 s2, ttmp9, s13
	s_mov_b32 s13, 0
	s_lshl_b32 s18, s2, 7
	s_wait_kmcnt 0x0
	s_cmp_lt_i32 s11, 32
	s_cbranch_scc1 .LBB223_21
; %bb.3:
	s_load_b128 s[0:3], s[0:1], 0x0
	s_mul_i32 s16, s12, s10
	s_abs_i32 s12, s7
	s_ashr_i32 s17, s16, 31
	s_cvt_f32_u32 s20, s12
	v_dual_lshlrev_b32 v24, 2, v3 :: v_dual_lshlrev_b32 v4, 3, v3
	s_wait_loadcnt 0x0
	v_sub_nc_u32_e32 v12, 0, v1
	v_rcp_iflag_f32_e32 v7, s20
	v_bfe_u32 v25, v0, 3, 7
	v_and_b32_e32 v8, 12, v24
	s_ashr_i32 s14, s11, 31
	v_max_i32_e32 v16, v1, v12
	s_lshr_b32 s10, s14, 27
	v_lshl_add_u32 v18, v20, 2, v25
	v_and_b32_e32 v12, 7, v0
	s_add_co_i32 s19, s11, s10
	v_mad_u32_u24 v5, 0x104, v20, v4
	s_ashr_i32 s10, s19, 5
	v_add_nc_u32_e32 v31, 64, v18
	s_wait_kmcnt 0x0
	s_add_nc_u64 s[16:17], s[0:1], s[16:17]
	v_readfirstlane_b32 s0, v7
	s_sub_co_i32 s1, 0, s12
	v_lshlrev_b32_e32 v28, 2, v12
	v_mul_lo_u32 v2, s10, v20
	s_lshl_b32 s20, s10, 3
	s_mul_f32 s0, s0, 0x4f7ffffe
	v_mov_b32_e32 v9, 0
	v_and_b32_e32 v22, 0x1ffc, v18
	v_add_nc_u32_e32 v26, 32, v18
	s_cvt_u32_f32 s0, s0
	v_mul_lo_u32 v14, s10, v18
	v_lshl_add_u32 v47, v20, 7, 0x9280
	v_add3_u32 v40, v22, v28, 0x8200
	s_mul_i32 s1, s1, s0
	v_add_nc_u32_e32 v4, s20, v2
	s_mul_hi_u32 s1, s0, s1
	v_and_b32_e32 v30, 0x3ffc, v26
	s_add_co_i32 s0, s0, s1
	v_and_b32_e32 v22, 0x3ffc, v31
	v_mul_hi_u32 v17, v16, s0
	v_dual_add_nc_u32 v10, s20, v4 :: v_dual_lshlrev_b32 v45, 5, v26
	v_add3_u32 v44, v30, v28, 0x8200
	s_delay_alu instid0(VALU_DEP_4)
	v_add3_u32 v46, v22, v28, 0x8200
	v_lshl_add_u32 v49, v20, 4, 0x9680
	v_dual_mov_b32 v55, v9 :: v_dual_add_nc_u32 v32, 0x60, v3
	v_bfe_u32 v6, v0, 2, 8
	v_and_b32_e32 v36, 0xfc, v0
	s_ashr_i32 s15, s5, 31
	v_mul_lo_u32 v29, v17, s12
	v_lshlrev_b32_e32 v42, 5, v18
	v_add_nc_u32_e32 v18, 0x60, v18
	v_add_nc_u32_e32 v26, 1, v17
	s_lshr_b32 s14, s15, 27
	s_and_not1_b32 s19, s19, 31
	s_add_co_i32 s5, s5, s14
	v_and_b32_e32 v22, 0x3ffc, v18
	s_ashr_i32 s5, s5, 5
	s_mul_i32 s14, s10, s18
	s_movk_i32 s1, 0x80
	v_sub_nc_u32_e32 v16, v16, v29
	v_add3_u32 v50, v22, v28, 0x8200
	v_xor_b32_e32 v22, s7, v1
	s_ashr_i32 s15, s14, 31
	v_add_nc_u32_e32 v11, 0x1860, v5
	v_subrev_nc_u32_e32 v29, s12, v16
	v_cmp_le_u32_e32 vcc_lo, s12, v16
	v_add_nc_u32_e32 v13, 0x2080, v5
	v_add_nc_u32_e32 v15, 0x28a0, v5
	v_dual_lshlrev_b32 v48, 5, v31 :: v_dual_bitop2_b32 v28, 31, v0 bitop3:0x40
	v_dual_cndmask_b32 v16, v16, v29 :: v_dual_cndmask_b32 v17, v17, v26
	v_add_nc_u32_e32 v19, 0x30c0, v5
	v_ashrrev_i32_e32 v29, 31, v22
	s_delay_alu instid0(VALU_DEP_4) | instskip(NEXT) | instid1(VALU_DEP_4)
	v_lshl_or_b32 v51, v28, 2, v47
	v_cmp_le_u32_e32 vcc_lo, s12, v16
	v_add_nc_u32_e32 v26, 1, v17
	v_add_nc_u32_e32 v7, 0x1040, v5
	v_and_b32_e32 v16, 28, v24
	v_add_nc_u32_e32 v21, 0x38e0, v5
	s_delay_alu instid0(VALU_DEP_4) | instskip(SKIP_3) | instid1(VALU_DEP_4)
	v_dual_cndmask_b32 v22, v17, v26 :: v_dual_add_nc_u32 v23, 0x4100, v5
	v_dual_mov_b32 v17, v9 :: v_dual_lshlrev_b32 v52, 5, v18
	v_add_nc_u32_e32 v18, s20, v10
	v_cmp_gt_u32_e32 vcc_lo, 4, v3
	v_dual_add_nc_u32 v54, v49, v24 :: v_dual_bitop2_b32 v26, v22, v29 bitop3:0x14
	s_delay_alu instid0(VALU_DEP_3) | instskip(SKIP_1) | instid1(VALU_DEP_3)
	v_dual_add_nc_u32 v34, 32, v3 :: v_dual_add_nc_u32 v20, s20, v18
	v_add_nc_u64_e32 v[30:31], s[2:3], v[16:17]
	v_sub_nc_u32_e32 v28, v26, v29
	v_and_b32_e32 v17, 0x1fc, v32
	v_add_nc_u32_e32 v27, 0x4920, v5
	v_dual_add_nc_u32 v22, s20, v20 :: v_dual_add_nc_u32 v29, 64, v3
	s_delay_alu instid0(VALU_DEP_4) | instskip(SKIP_2) | instid1(VALU_DEP_4)
	v_cmp_gt_i32_e64 s0, s4, v28
	v_mul_lo_u32 v28, v28, s5
	v_add_nc_u32_e32 v33, 0x5140, v5
	v_add_nc_u32_e32 v24, s20, v22
	v_lshrrev_b32_e32 v57, 3, v34
	v_and_b32_e32 v29, 0x1fc, v29
	v_and_b32_e32 v34, 0x1fc, v34
	v_add_nc_u32_e32 v35, 0x5960, v5
	v_dual_add_nc_u32 v26, s20, v24 :: v_dual_lshlrev_b32 v16, 5, v3
	v_add_nc_u32_e32 v67, v40, v42
	v_add_nc_u32_e32 v37, 0x6180, v5
	;; [unrolled: 1-line block ×3, first 2 shown]
	s_delay_alu instid0(VALU_DEP_4) | instskip(SKIP_1) | instid1(VALU_DEP_2)
	v_dual_add_nc_u32 v32, s20, v26 :: v_dual_add_nc_u32 v17, v16, v17
	v_dual_add_nc_u32 v38, v16, v29 :: v_dual_add_nc_u32 v53, v16, v34
	;; [unrolled: 1-line block ×3, first 2 shown]
	v_ashrrev_i32_e32 v29, 31, v28
	s_delay_alu instid0(VALU_DEP_3)
	v_add_nc_u32_e32 v59, 0x8a00, v38
	v_add_nc_u32_e32 v63, 0x8a10, v38
	;; [unrolled: 1-line block ×6, first 2 shown]
	v_mul_u32_u24_e32 v56, 0x104, v3
	v_add_nc_u32_e32 v42, s19, v14
	v_dual_add_nc_u32 v36, s20, v34 :: v_dual_add_nc_u32 v70, v50, v52
	v_dual_mov_b32 v45, v9 :: v_dual_add_nc_u32 v58, 0x8e00, v17
	v_add_nc_u32_e32 v69, v46, v48
	s_delay_alu instid0(VALU_DEP_3) | instskip(SKIP_3) | instid1(VALU_DEP_4)
	v_dual_add_nc_u32 v38, s20, v36 :: v_dual_add_nc_u32 v46, s19, v42
	v_add_nc_u32_e32 v60, 0x8600, v53
	v_add_nc_u32_e32 v61, 0x8200, v16
	;; [unrolled: 1-line block ×6, first 2 shown]
	v_mad_u32_u24 v66, 0x104, v3, s1
	s_delay_alu instid0(VALU_DEP_4) | instskip(SKIP_3) | instid1(VALU_DEP_2)
	v_dual_mov_b32 v16, v9 :: v_dual_add_nc_u32 v44, s20, v40
	v_dual_mov_b32 v17, v9 :: v_dual_add_nc_u32 v50, s19, v46
	s_mul_u64 s[14:15], s[14:15], 24
	s_and_b32 s19, vcc_lo, s0
	v_add_nc_u32_e32 v48, s20, v44
	s_add_nc_u64 s[14:15], s[16:17], s[14:15]
	s_mov_b32 s12, s13
	s_branch .LBB223_5
.LBB223_4:                              ;   in Loop: Header=BB223_5 Depth=1
	s_add_co_i32 s12, s12, 8
	s_delay_alu instid0(SALU_CYCLE_1)
	s_cmp_ge_i32 s12, s10
	s_cbranch_scc1 .LBB223_21
.LBB223_5:                              ; =>This Loop Header: Depth=1
                                        ;     Child Loop BB223_11 Depth 2
                                        ;     Child Loop BB223_19 Depth 2
	s_mul_u64 s[16:17], s[12:13], 24
	s_delay_alu instid0(SALU_CYCLE_1) | instskip(NEXT) | instid1(SALU_CYCLE_1)
	s_add_nc_u64 s[16:17], s[14:15], s[16:17]
	v_mad_nc_u64_u32 v[52:53], v6, 24, s[16:17]
	s_delay_alu instid0(VALU_DEP_1)
	v_mad_nc_u64_u32 v[72:73], v2, 24, v[52:53]
	v_mad_nc_u64_u32 v[78:79], v18, 24, v[52:53]
	;; [unrolled: 1-line block ×11, first 2 shown]
	s_clause 0xa
	global_load_b32 v104, v[72:73], off offset:4
	global_load_b32 v105, v[74:75], off offset:4
	;; [unrolled: 1-line block ×11, first 2 shown]
	s_wait_xcnt 0x7
	v_add_nc_u64_e32 v[78:79], v[78:79], v[8:9]
	v_add_nc_u64_e32 v[76:77], v[76:77], v[8:9]
	;; [unrolled: 1-line block ×4, first 2 shown]
	v_mad_nc_u64_u32 v[94:95], v36, 24, v[52:53]
	s_clause 0x3
	global_load_b32 v115, v[78:79], off offset:8
	global_load_b32 v116, v[76:77], off offset:8
	;; [unrolled: 1-line block ×4, first 2 shown]
	s_wait_xcnt 0x0
	v_add_nc_u64_e32 v[72:73], v[86:87], v[8:9]
	v_add_nc_u64_e32 v[74:75], v[84:85], v[8:9]
	;; [unrolled: 1-line block ×4, first 2 shown]
	s_clause 0x3
	global_load_b32 v119, v[72:73], off offset:8
	global_load_b32 v120, v[74:75], off offset:8
	;; [unrolled: 1-line block ×4, first 2 shown]
	s_wait_xcnt 0x3
	v_add_nc_u64_e32 v[72:73], v[94:95], v[8:9]
	s_wait_xcnt 0x2
	v_add_nc_u64_e32 v[74:75], v[92:93], v[8:9]
	;; [unrolled: 2-line block ×4, first 2 shown]
	s_clause 0x3
	global_load_b32 v71, v[72:73], off offset:8
	global_load_b32 v123, v[74:75], off offset:8
	;; [unrolled: 1-line block ×4, first 2 shown]
	s_wait_xcnt 0x3
	v_mad_nc_u64_u32 v[72:73], v12, 24, s[16:17]
	v_mad_nc_u64_u32 v[80:81], v38, 24, v[52:53]
	;; [unrolled: 1-line block ×5, first 2 shown]
	global_load_b32 v126, v[94:95], off offset:4
	s_lshl_b32 s16, s12, 5
	s_delay_alu instid0(SALU_CYCLE_1)
	s_cmp_lt_i32 s16, s11
	v_mad_nc_u64_u32 v[88:89], v14, 24, v[72:73]
	v_mad_nc_u64_u32 v[90:91], v42, 24, v[72:73]
	;; [unrolled: 1-line block ×4, first 2 shown]
	s_wait_xcnt 0x0
	v_add_nc_u64_e32 v[94:95], v[80:81], v[8:9]
	v_add_nc_u64_e32 v[98:99], v[82:83], v[8:9]
	;; [unrolled: 1-line block ×4, first 2 shown]
	s_clause 0xb
	global_load_b32 v73, v[88:89], off
	global_load_b32 v72, v[90:91], off
	;; [unrolled: 1-line block ×4, first 2 shown]
	global_load_b32 v75, v[86:87], off offset:4
	global_load_b32 v77, v[84:85], off offset:4
	;; [unrolled: 1-line block ×8, first 2 shown]
	s_wait_loadcnt 0x22
	s_wait_xcnt 0x4
	v_dual_ashrrev_i32 v80, v8, v104 :: v_dual_ashrrev_i32 v81, v8, v105
	s_wait_loadcnt 0x20
	v_dual_ashrrev_i32 v82, v8, v106 :: v_dual_ashrrev_i32 v83, v8, v107
	s_wait_loadcnt 0x1e
	v_dual_ashrrev_i32 v84, v8, v108 :: v_dual_ashrrev_i32 v85, v8, v109
	s_wait_xcnt 0x0
	s_delay_alu instid0(VALU_DEP_2) | instskip(SKIP_1) | instid1(VALU_DEP_3)
	v_dual_lshlrev_b32 v94, 4, v81 :: v_dual_lshrrev_b32 v95, 12, v82
	v_dual_lshlrev_b32 v96, 4, v82 :: v_dual_lshrrev_b32 v97, 12, v83
	;; [unrolled: 1-line block ×3, first 2 shown]
	s_delay_alu instid0(VALU_DEP_3)
	v_and_b32_e32 v94, 16, v94
	s_wait_loadcnt 0x1c
	v_dual_ashrrev_i32 v86, v8, v110 :: v_dual_ashrrev_i32 v87, v8, v111
	s_wait_loadcnt 0x1a
	v_dual_ashrrev_i32 v88, v8, v112 :: v_dual_ashrrev_i32 v89, v8, v113
	s_wait_loadcnt 0x16
	v_and_b32_e32 v157, 0xf0f0f0f, v117
	v_dual_lshlrev_b32 v92, 4, v80 :: v_dual_lshrrev_b32 v93, 12, v81
	v_dual_lshlrev_b32 v136, 4, v85 :: v_dual_lshrrev_b32 v137, 12, v86
	v_and_b32_e32 v158, 0xf0f0f0f, v116
	v_and_b32_e32 v96, 16, v96
	v_dual_lshrrev_b32 v116, 4, v116 :: v_dual_bitop2_b32 v134, 16, v134 bitop3:0x40
	v_lshrrev_b32_e32 v117, 4, v117
	v_or_b32_e32 v94, v94, v157
	s_wait_loadcnt 0x11
	v_and_b32_e32 v157, 0xf0f0f0f, v122
	v_dual_ashrrev_i32 v90, v8, v114 :: v_dual_lshrrev_b32 v91, 12, v80
	v_dual_lshlrev_b32 v98, 4, v83 :: v_dual_lshrrev_b32 v99, 5, v80
	v_dual_lshlrev_b32 v100, 11, v80 :: v_dual_lshrrev_b32 v101, 5, v81
	;; [unrolled: 1-line block ×4, first 2 shown]
	v_dual_lshlrev_b32 v106, 11, v83 :: v_dual_lshlrev_b32 v107, 2, v80
	v_dual_lshlrev_b32 v108, 18, v80 :: v_dual_lshlrev_b32 v109, 2, v81
	;; [unrolled: 1-line block ×8, first 2 shown]
	v_dual_lshlrev_b32 v83, 25, v83 :: v_dual_lshrrev_b32 v133, 12, v84
	v_dual_lshlrev_b32 v154, 4, v88 :: v_dual_lshlrev_b32 v156, 4, v89
	v_and_b32_e32 v155, 0xf0f0f0f, v118
	v_and_b32_e32 v92, 16, v92
	;; [unrolled: 1-line block ×3, first 2 shown]
	v_dual_lshrrev_b32 v122, 4, v122 :: v_dual_bitop2_b32 v134, v134, v157 bitop3:0x54
	v_lshrrev_b32_e32 v118, 4, v118
	v_or_b32_e32 v96, v96, v158
	v_and_b32_e32 v158, 0xf0f0f0f, v121
	v_or_b32_e32 v92, v92, v155
	v_and_b32_e32 v155, 0xf0f0f0f, v115
	v_and_b32_e32 v154, 16, v154
	;; [unrolled: 1-line block ×4, first 2 shown]
	v_dual_lshrrev_b32 v115, 4, v115 :: v_dual_bitop2_b32 v136, v136, v158 bitop3:0x54
	v_lshrrev_b32_e32 v121, 4, v121
	s_wait_loadcnt 0xd
	v_and_b32_e32 v158, 0xf0f0f0f, v125
	v_and_b32_e32 v133, 16, v133
	;; [unrolled: 1-line block ×6, first 2 shown]
	v_dual_lshrrev_b32 v125, 4, v125 :: v_dual_bitop2_b32 v91, v91, v118 bitop3:0x54
	s_delay_alu instid0(VALU_DEP_4)
	v_dual_lshlrev_b32 v118, 18, v87 :: v_dual_bitop2_b32 v94, v94, v102 bitop3:0x54
	v_lshrrev_b32_e32 v102, 5, v90
	v_dual_lshlrev_b32 v133, 9, v87 :: v_dual_bitop2_b32 v122, v133, v122 bitop3:0x54
	v_or_b32_e32 v154, v154, v158
	v_dual_lshlrev_b32 v158, 4, v90 :: v_dual_lshlrev_b32 v140, 4, v87
	v_dual_lshrrev_b32 v141, 5, v84 :: v_dual_bitop2_b32 v121, v135, v121 bitop3:0x54
	s_delay_alu instid0(VALU_DEP_2)
	v_dual_lshrrev_b32 v135, 12, v88 :: v_dual_bitop2_b32 v158, 16, v158 bitop3:0x40
	v_dual_lshlrev_b32 v138, 4, v86 :: v_dual_lshrrev_b32 v139, 12, v87
	v_and_b32_e32 v157, 0xf0f0f0f, v119
	v_and_b32_e32 v140, 16, v140
	;; [unrolled: 1-line block ×6, first 2 shown]
	v_dual_lshlrev_b32 v142, 11, v84 :: v_dual_lshrrev_b32 v143, 5, v85
	v_dual_lshlrev_b32 v144, 11, v85 :: v_dual_lshrrev_b32 v145, 5, v86
	v_dual_lshlrev_b32 v150, 18, v84 :: v_dual_lshlrev_b32 v151, 2, v85
	v_dual_lshlrev_b32 v152, 18, v85 :: v_dual_lshlrev_b32 v153, 2, v86
	v_and_b32_e32 v138, 16, v138
	v_and_b32_e32 v156, 16, v156
	v_dual_lshrrev_b32 v135, 5, v88 :: v_dual_bitop2_b32 v125, v135, v125 bitop3:0x54
	v_dual_lshlrev_b32 v116, 9, v85 :: v_dual_bitop2_b32 v95, v95, v116 bitop3:0x54
	v_lshlrev_b32_e32 v85, 25, v85
	v_or_b32_e32 v140, v140, v157
	v_and_b32_e32 v157, 0xf0f0f0f, v124
	v_and_b32_e32 v98, 16, v98
	v_and_b32_e32 v137, 16, v137
	v_and_b32_e32 v142, 0x1000, v142
	s_delay_alu instid0(VALU_DEP_4) | instskip(SKIP_3) | instid1(VALU_DEP_3)
	v_dual_lshrrev_b32 v119, 4, v119 :: v_dual_bitop2_b32 v156, v156, v157 bitop3:0x54
	v_and_b32_e32 v157, 0xf0f0f0f, v123
	v_dual_lshlrev_b32 v146, 11, v86 :: v_dual_lshrrev_b32 v147, 5, v87
	v_dual_lshrrev_b32 v124, 4, v124 :: v_dual_bitop2_b32 v93, 16, v93 bitop3:0x40
	v_dual_lshlrev_b32 v158, 2, v87 :: v_dual_bitop2_b32 v157, v158, v157 bitop3:0x54
	v_or_b32_e32 v98, v98, v155
	v_and_b32_e32 v155, 0xf0f0f0f, v120
	v_dual_lshrrev_b32 v120, 4, v120 :: v_dual_bitop2_b32 v134, v134, v142 bitop3:0x54
	v_lshlrev_b32_e32 v142, 18, v88
	v_and_b32_e32 v117, 0xf0f0f0f, v117
	v_and_b32_e32 v139, 16, v139
	s_delay_alu instid0(VALU_DEP_4)
	v_and_b32_e32 v120, 0xf0f0f0f, v120
	v_and_b32_e32 v119, 0xf0f0f0f, v119
	;; [unrolled: 1-line block ×4, first 2 shown]
	v_or_b32_e32 v138, v138, v155
	v_dual_lshrrev_b32 v137, 12, v89 :: v_dual_bitop2_b32 v120, v137, v120 bitop3:0x54
	v_dual_lshlrev_b32 v155, 18, v86 :: v_dual_bitop2_b32 v97, 16, v97 bitop3:0x40
	v_and_b32_e32 v115, 0xf0f0f0f, v115
	v_and_b32_e32 v124, 0xf0f0f0f, v124
	s_delay_alu instid0(VALU_DEP_4)
	v_and_b32_e32 v137, 16, v137
	v_and_b32_e32 v100, 0x1000, v100
	;; [unrolled: 1-line block ×4, first 2 shown]
	v_dual_lshrrev_b32 v123, 4, v123 :: v_dual_bitop2_b32 v93, v93, v117 bitop3:0x54
	v_lshlrev_b32_e32 v117, 9, v84
	v_dual_lshlrev_b32 v104, 11, v90 :: v_dual_bitop2_b32 v96, v96, v104 bitop3:0x54
	v_dual_lshlrev_b32 v144, 2, v89 :: v_dual_bitop2_b32 v136, v136, v144 bitop3:0x54
	v_dual_lshrrev_b32 v139, 12, v90 :: v_dual_bitop2_b32 v119, v139, v119 bitop3:0x54
	v_dual_lshlrev_b32 v148, 11, v87 :: v_dual_lshlrev_b32 v149, 2, v84
	v_or_b32_e32 v124, v137, v124
	v_dual_lshlrev_b32 v137, 11, v88 :: v_dual_bitop2_b32 v97, v97, v115 bitop3:0x54
	v_dual_lshlrev_b32 v115, 9, v86 :: v_dual_bitop2_b32 v92, v92, v100 bitop3:0x54
	;; [unrolled: 1-line block ×3, first 2 shown]
	v_or_b32_e32 v91, v91, v99
	v_and_b32_e32 v101, 0x1000, v101
	v_and_b32_e32 v105, 0x1000, v105
	;; [unrolled: 1-line block ×22, first 2 shown]
	v_or_b32_e32 v93, v93, v101
	v_or_b32_e32 v97, v97, v105
	;; [unrolled: 1-line block ×4, first 2 shown]
	s_wait_loadcnt 0x6
	v_dual_ashrrev_i32 v77, v8, v77 :: v_dual_bitop2_b32 v112, v138, v155 bitop3:0x54
	v_or_b32_e32 v91, v91, v107
	v_dual_lshlrev_b32 v157, 9, v89 :: v_dual_bitop2_b32 v104, v157, v104 bitop3:0x54
	v_dual_lshrrev_b32 v139, 5, v89 :: v_dual_bitop2_b32 v123, v139, v123 bitop3:0x54
	v_and_b32_e32 v111, 0x100000, v111
	v_dual_lshlrev_b32 v84, 25, v84 :: v_dual_bitop2_b32 v95, v95, v103 bitop3:0x54
	v_or_b32_e32 v98, v98, v106
	v_and_b32_e32 v114, 0x100000, v114
	v_lshlrev_b32_e32 v106, 2, v88
	v_and_b32_e32 v149, 0x100000, v149
	v_and_b32_e32 v150, 0x100000, v150
	v_dual_lshlrev_b32 v86, 25, v86 :: v_dual_bitop2_b32 v101, v122, v141 bitop3:0x54
	v_dual_lshlrev_b32 v148, 2, v90 :: v_dual_bitop2_b32 v140, v140, v148 bitop3:0x54
	v_and_b32_e32 v151, 0x100000, v151
	v_and_b32_e32 v152, 0x100000, v152
	v_or_b32_e32 v103, v121, v143
	v_lshlrev_b32_e32 v87, 25, v87
	v_and_b32_e32 v137, 0x1000, v137
	v_dual_lshlrev_b32 v146, 18, v89 :: v_dual_bitop2_b32 v100, v156, v100 bitop3:0x54
	v_lshlrev_b32_e32 v156, 9, v88
	v_and_b32_e32 v130, 0x10000000, v130
	v_and_b32_e32 v81, 0x10000000, v81
	;; [unrolled: 1-line block ×6, first 2 shown]
	v_or_b32_e32 v105, v120, v145
	v_or_b32_e32 v119, v119, v147
	;; [unrolled: 1-line block ×4, first 2 shown]
	v_dual_ashrrev_i32 v75, v8, v75 :: v_dual_bitop2_b32 v97, v97, v113 bitop3:0x54
	v_or_b32_e32 v80, v92, v80
	v_or_b32_e32 v91, v91, v129
	v_and_b32_e32 v131, 0x10000000, v131
	v_and_b32_e32 v82, 0x10000000, v82
	v_or_b32_e32 v95, v95, v111
	v_and_b32_e32 v132, 0x10000000, v132
	v_and_b32_e32 v83, 0x10000000, v83
	;; [unrolled: 3-line block ×3, first 2 shown]
	v_or_b32_e32 v108, v134, v150
	v_or_b32_e32 v101, v101, v149
	v_and_b32_e32 v116, 0x10000000, v116
	v_and_b32_e32 v85, 0x10000000, v85
	v_or_b32_e32 v110, v136, v152
	v_or_b32_e32 v103, v103, v151
	v_dual_lshlrev_b32 v88, 25, v88 :: v_dual_bitop2_b32 v137, v154, v137 bitop3:0x54
	v_lshlrev_b32_e32 v99, 9, v90
	v_and_b32_e32 v115, 0x10000000, v115
	v_and_b32_e32 v86, 0x10000000, v86
	;; [unrolled: 1-line block ×6, first 2 shown]
	v_or_b32_e32 v120, v125, v135
	v_or_b32_e32 v114, v140, v118
	;; [unrolled: 1-line block ×6, first 2 shown]
	ds_store_2addr_b32 v5, v80, v91 offset1:1
	v_add_nc_u32_e32 v80, 0x820, v5
	v_or_b32_e32 v82, v96, v82
	v_or_b32_e32 v93, v95, v131
	;; [unrolled: 1-line block ×8, first 2 shown]
	v_and_b32_e32 v139, 0x1000, v139
	v_and_b32_e32 v156, 0x10000000, v156
	;; [unrolled: 1-line block ×3, first 2 shown]
	v_or_b32_e32 v106, v120, v106
	v_or_b32_e32 v86, v112, v86
	;; [unrolled: 1-line block ×5, first 2 shown]
	ds_store_2addr_b32 v80, v81, v92 offset1:1
	ds_store_2addr_b32 v7, v82, v93 offset1:1
	;; [unrolled: 1-line block ×7, first 2 shown]
	v_ashrrev_i32_e32 v84, v8, v126
	v_dual_lshlrev_b32 v89, 25, v89 :: v_dual_bitop2_b32 v118, v137, v142 bitop3:0x54
	v_and_b32_e32 v144, 0x100000, v144
	v_and_b32_e32 v146, 0x100000, v146
	v_or_b32_e32 v121, v124, v139
	s_delay_alu instid0(VALU_DEP_4)
	v_or_b32_e32 v88, v118, v88
	v_dual_lshrrev_b32 v85, 4, v71 :: v_dual_bitop2_b32 v101, v106, v156 bitop3:0x54
	v_dual_lshrrev_b32 v86, 12, v84 :: v_dual_lshlrev_b32 v154, 18, v90
	v_and_b32_e32 v102, 0x1000, v102
	v_and_b32_e32 v157, 0x10000000, v157
	v_or_b32_e32 v100, v100, v146
	v_or_b32_e32 v109, v121, v144
	v_and_b32_e32 v81, 0x10000000, v89
	ds_store_2addr_b32 v23, v88, v101 offset1:1
	v_lshlrev_b32_e32 v87, 4, v84
	v_and_b32_e32 v85, 0xf0f0f0f, v85
	v_dual_lshrrev_b32 v88, 5, v84 :: v_dual_bitop2_b32 v86, 16, v86 bitop3:0x40
	v_and_b32_e32 v148, 0x100000, v148
	v_and_b32_e32 v154, 0x100000, v154
	v_lshlrev_b32_e32 v80, 25, v90
	s_wait_loadcnt 0x5
	v_dual_ashrrev_i32 v79, v8, v79 :: v_dual_bitop2_b32 v102, v123, v102 bitop3:0x54
	v_or_b32_e32 v83, v109, v157
	v_or_b32_e32 v81, v100, v81
	v_and_b32_e32 v71, 0xf0f0f0f, v71
	v_dual_lshlrev_b32 v89, 11, v84 :: v_dual_bitop2_b32 v87, 16, v87 bitop3:0x40
	v_or_b32_e32 v85, v86, v85
	v_and_b32_e32 v86, 0x1000, v88
	v_lshlrev_b32_e32 v88, 2, v84
	v_or_b32_e32 v102, v102, v148
	v_and_b32_e32 v82, 0x10000000, v99
	v_and_b32_e32 v80, 0x10000000, v80
	v_or_b32_e32 v71, v87, v71
	v_and_b32_e32 v87, 0x1000, v89
	ds_store_2addr_b32 v27, v81, v83 offset1:1
	v_or_b32_e32 v81, v85, v86
	v_and_b32_e32 v83, 0x100000, v88
	s_wait_loadcnt 0x4
	v_dual_lshlrev_b32 v85, 18, v84 :: v_dual_ashrrev_i32 v86, v8, v127
	v_or_b32_e32 v104, v104, v154
	v_dual_lshlrev_b32 v87, 9, v84 :: v_dual_bitop2_b32 v71, v71, v87 bitop3:0x54
	v_or_b32_e32 v81, v81, v83
	s_delay_alu instid0(VALU_DEP_4) | instskip(NEXT) | instid1(VALU_DEP_4)
	v_and_b32_e32 v83, 0x100000, v85
	v_or_b32_e32 v80, v104, v80
	s_wait_loadcnt 0x0
	v_dual_lshrrev_b32 v85, 4, v128 :: v_dual_lshrrev_b32 v88, 12, v86
	v_dual_lshrrev_b32 v89, 5, v75 :: v_dual_bitop2_b32 v82, v102, v82 bitop3:0x54
	v_and_b32_e32 v87, 0x10000000, v87
	v_dual_lshlrev_b32 v83, 4, v86 :: v_dual_bitop2_b32 v71, v71, v83 bitop3:0x54
	v_lshlrev_b32_e32 v84, 25, v84
	ds_store_2addr_b32 v33, v80, v82 offset1:1
	v_and_b32_e32 v80, 0xf0f0f0f, v85
	v_dual_lshrrev_b32 v85, 5, v86 :: v_dual_bitop2_b32 v82, 16, v88 bitop3:0x40
	v_or_b32_e32 v81, v81, v87
	v_dual_lshlrev_b32 v87, 11, v86 :: v_dual_bitop2_b32 v83, 16, v83 bitop3:0x40
	s_delay_alu instid0(VALU_DEP_3) | instskip(SKIP_4) | instid1(VALU_DEP_4)
	v_or_b32_e32 v80, v82, v80
	v_and_b32_e32 v82, 0xf0f0f0f, v128
	v_and_b32_e32 v85, 0x1000, v85
	v_lshlrev_b32_e32 v88, 2, v86
	v_and_b32_e32 v84, 0x10000000, v84
	v_dual_lshlrev_b32 v90, 11, v75 :: v_dual_bitop2_b32 v82, v83, v82 bitop3:0x54
	s_delay_alu instid0(VALU_DEP_4) | instskip(SKIP_4) | instid1(VALU_DEP_4)
	v_or_b32_e32 v80, v80, v85
	v_and_b32_e32 v83, 0x1000, v87
	v_lshlrev_b32_e32 v85, 18, v86
	v_and_b32_e32 v87, 0x100000, v88
	v_dual_lshrrev_b32 v84, 4, v78 :: v_dual_bitop2_b32 v71, v71, v84 bitop3:0x54
	v_or_b32_e32 v82, v82, v83
	s_delay_alu instid0(VALU_DEP_4) | instskip(NEXT) | instid1(VALU_DEP_4)
	v_and_b32_e32 v83, 0x100000, v85
	v_or_b32_e32 v80, v80, v87
	v_dual_lshrrev_b32 v85, 12, v79 :: v_dual_lshlrev_b32 v87, 9, v86
	v_and_b32_e32 v84, 0xf0f0f0f, v84
	s_delay_alu instid0(VALU_DEP_4) | instskip(NEXT) | instid1(VALU_DEP_3)
	v_dual_lshlrev_b32 v83, 25, v86 :: v_dual_bitop2_b32 v82, v82, v83 bitop3:0x54
	v_and_b32_e32 v85, 16, v85
	s_delay_alu instid0(VALU_DEP_4) | instskip(SKIP_2) | instid1(VALU_DEP_4)
	v_and_b32_e32 v86, 0x10000000, v87
	v_dual_lshlrev_b32 v87, 4, v79 :: v_dual_lshrrev_b32 v88, 5, v79
	v_and_b32_e32 v78, 0xf0f0f0f, v78
	v_or_b32_e32 v84, v85, v84
	v_and_b32_e32 v83, 0x10000000, v83
	s_delay_alu instid0(VALU_DEP_4) | instskip(SKIP_3) | instid1(VALU_DEP_4)
	v_and_b32_e32 v85, 16, v87
	v_lshlrev_b32_e32 v87, 11, v79
	v_and_b32_e32 v88, 0x1000, v88
	v_dual_lshlrev_b32 v86, 2, v79 :: v_dual_bitop2_b32 v80, v80, v86 bitop3:0x54
	v_or_b32_e32 v78, v85, v78
	s_delay_alu instid0(VALU_DEP_4) | instskip(NEXT) | instid1(VALU_DEP_4)
	v_and_b32_e32 v85, 0x1000, v87
	v_dual_lshlrev_b32 v87, 18, v79 :: v_dual_bitop2_b32 v84, v84, v88 bitop3:0x54
	s_delay_alu instid0(VALU_DEP_4) | instskip(SKIP_1) | instid1(VALU_DEP_4)
	v_and_b32_e32 v86, 0x100000, v86
	v_or_b32_e32 v82, v82, v83
	v_or_b32_e32 v78, v78, v85
	s_delay_alu instid0(VALU_DEP_4) | instskip(NEXT) | instid1(VALU_DEP_4)
	v_and_b32_e32 v83, 0x100000, v87
	v_dual_lshlrev_b32 v85, 9, v79 :: v_dual_bitop2_b32 v84, v84, v86 bitop3:0x54
	v_dual_lshrrev_b32 v86, 4, v76 :: v_dual_lshrrev_b32 v87, 12, v77
	s_delay_alu instid0(VALU_DEP_3) | instskip(NEXT) | instid1(VALU_DEP_3)
	v_dual_lshlrev_b32 v83, 4, v77 :: v_dual_bitop2_b32 v78, v78, v83 bitop3:0x54
	v_and_b32_e32 v85, 0x10000000, v85
	s_delay_alu instid0(VALU_DEP_3) | instskip(NEXT) | instid1(VALU_DEP_4)
	v_and_b32_e32 v86, 0xf0f0f0f, v86
	v_and_b32_e32 v87, 16, v87
	;; [unrolled: 1-line block ×3, first 2 shown]
	v_dual_lshrrev_b32 v88, 5, v77 :: v_dual_bitop2_b32 v83, 16, v83 bitop3:0x40
	v_or_b32_e32 v84, v84, v85
	s_delay_alu instid0(VALU_DEP_4) | instskip(NEXT) | instid1(VALU_DEP_3)
	v_dual_lshlrev_b32 v85, 11, v77 :: v_dual_bitop2_b32 v86, v87, v86 bitop3:0x54
	v_or_b32_e32 v76, v83, v76
	s_delay_alu instid0(VALU_DEP_4) | instskip(SKIP_1) | instid1(VALU_DEP_4)
	v_and_b32_e32 v83, 0x1000, v88
	v_lshlrev_b32_e32 v87, 2, v77
	v_and_b32_e32 v85, 0x1000, v85
	v_dual_lshlrev_b32 v88, 18, v77 :: v_dual_lshlrev_b32 v79, 25, v79
	s_delay_alu instid0(VALU_DEP_4) | instskip(NEXT) | instid1(VALU_DEP_4)
	v_or_b32_e32 v83, v86, v83
	v_and_b32_e32 v86, 0x100000, v87
	s_delay_alu instid0(VALU_DEP_4) | instskip(NEXT) | instid1(VALU_DEP_4)
	v_or_b32_e32 v76, v76, v85
	v_and_b32_e32 v85, 0x100000, v88
	v_dual_lshrrev_b32 v87, 12, v75 :: v_dual_lshlrev_b32 v88, 9, v77
	s_delay_alu instid0(VALU_DEP_4) | instskip(NEXT) | instid1(VALU_DEP_3)
	v_or_b32_e32 v83, v83, v86
	v_dual_lshrrev_b32 v86, 4, v74 :: v_dual_bitop2_b32 v76, v76, v85 bitop3:0x54
	v_lshlrev_b32_e32 v85, 4, v75
	s_delay_alu instid0(VALU_DEP_4) | instskip(SKIP_1) | instid1(VALU_DEP_4)
	v_and_b32_e32 v87, 16, v87
	v_and_b32_e32 v74, 0xf0f0f0f, v74
	;; [unrolled: 1-line block ×3, first 2 shown]
	v_lshlrev_b32_e32 v77, 25, v77
	v_and_b32_e32 v85, 16, v85
	v_and_b32_e32 v79, 0x10000000, v79
	;; [unrolled: 1-line block ×3, first 2 shown]
	v_or_b32_e32 v86, v87, v86
	v_and_b32_e32 v87, 0x1000, v90
	v_or_b32_e32 v74, v85, v74
	v_and_b32_e32 v85, 0x1000, v89
	v_dual_lshlrev_b32 v89, 2, v75 :: v_dual_lshlrev_b32 v90, 18, v75
	v_and_b32_e32 v77, 0x10000000, v77
	s_delay_alu instid0(VALU_DEP_4) | instskip(NEXT) | instid1(VALU_DEP_4)
	v_or_b32_e32 v74, v74, v87
	v_or_b32_e32 v85, v86, v85
	s_delay_alu instid0(VALU_DEP_4) | instskip(SKIP_3) | instid1(VALU_DEP_4)
	v_and_b32_e32 v86, 0x100000, v89
	v_and_b32_e32 v87, 0x100000, v90
	v_dual_lshlrev_b32 v89, 9, v75 :: v_dual_lshlrev_b32 v75, 25, v75
	v_or_b32_e32 v78, v78, v79
	v_or_b32_e32 v85, v85, v86
	s_delay_alu instid0(VALU_DEP_4) | instskip(NEXT) | instid1(VALU_DEP_4)
	v_or_b32_e32 v74, v74, v87
	v_and_b32_e32 v86, 0x10000000, v89
	v_and_b32_e32 v75, 0x10000000, v75
	v_or_b32_e32 v79, v83, v88
	v_or_b32_e32 v76, v76, v77
	s_delay_alu instid0(VALU_DEP_4) | instskip(NEXT) | instid1(VALU_DEP_4)
	v_or_b32_e32 v77, v85, v86
	v_or_b32_e32 v74, v74, v75
	ds_store_2addr_b32 v35, v71, v81 offset1:1
	ds_store_2addr_b32 v37, v82, v80 offset1:1
	;; [unrolled: 1-line block ×5, first 2 shown]
	ds_store_b32 v67, v73
	ds_store_b32 v68, v72
	;; [unrolled: 1-line block ×4, first 2 shown]
	s_cbranch_scc0 .LBB223_4
; %bb.6:                                ;   in Loop: Header=BB223_5 Depth=1
	v_add_nc_u32_e32 v52, s12, v25
	s_delay_alu instid0(VALU_DEP_1) | instskip(SKIP_1) | instid1(SALU_CYCLE_1)
	v_cmp_gt_i32_e64 s1, s5, v52
	s_and_b32 s17, s0, s1
	s_and_saveexec_b32 s1, s17
	s_cbranch_execz .LBB223_8
; %bb.7:                                ;   in Loop: Header=BB223_5 Depth=1
	v_add_nc_u32_e32 v52, v28, v52
	s_delay_alu instid0(VALU_DEP_1)
	v_mad_nc_i64_i32 v[52:53], v52, 36, v[30:31]
	global_load_b32 v52, v[52:53], off offset:4
	s_wait_loadcnt 0x0
	ds_store_b32 v51, v52
.LBB223_8:                              ;   in Loop: Header=BB223_5 Depth=1
	s_or_b32 exec_lo, exec_lo, s1
	v_add_nc_u32_e32 v52, s12, v3
	s_delay_alu instid0(VALU_DEP_1) | instskip(SKIP_1) | instid1(SALU_CYCLE_1)
	v_cmp_gt_i32_e64 s1, s5, v52
	s_and_b32 s17, s19, s1
	s_and_saveexec_b32 s1, s17
	s_cbranch_execz .LBB223_10
; %bb.9:                                ;   in Loop: Header=BB223_5 Depth=1
	v_add_nc_u32_e32 v53, v28, v52
	s_delay_alu instid0(VALU_DEP_1)
	v_mad_nc_i64_i32 v[72:73], v53, 36, s[2:3]
	global_load_b32 v53, v[72:73], off
	s_wait_loadcnt 0x0
	ds_store_b32 v54, v53
.LBB223_10:                             ;   in Loop: Header=BB223_5 Depth=1
	s_or_b32 exec_lo, exec_lo, s1
	v_dual_mov_b32 v53, v47 :: v_dual_mov_b32 v71, v56
	v_dual_mov_b32 v72, v49 :: v_dual_mov_b32 v73, v61
	;; [unrolled: 1-line block ×3, first 2 shown]
	v_mov_b32_e32 v76, v58
	s_mov_b32 s1, -4
	s_wait_dscnt 0x0
	s_barrier_signal -1
	s_barrier_wait -1
.LBB223_11:                             ;   Parent Loop BB223_5 Depth=1
                                        ; =>  This Inner Loop Header: Depth=2
	ds_load_2addr_b32 v[78:79], v53 offset0:3 offset1:4
	ds_load_2addr_b32 v[80:81], v53 offset0:5 offset1:6
	ds_load_2addr_b32 v[82:83], v71 offset1:1
	ds_load_2addr_b32 v[84:85], v53 offset0:1 offset1:2
	ds_load_2addr_b32 v[86:87], v53 offset1:7
	v_add_nc_u32_e32 v77, 0x2080, v71
	v_add_nc_u32_e32 v96, 0x2088, v71
	;; [unrolled: 1-line block ×4, first 2 shown]
	ds_load_b32 v118, v73
	ds_load_b32 v119, v74
	;; [unrolled: 1-line block ×4, first 2 shown]
	v_add_nc_u32_e32 v102, 0x4100, v71
	v_add_nc_u32_e32 v104, 0x4108, v71
	;; [unrolled: 1-line block ×8, first 2 shown]
	ds_load_b32 v122, v72
	ds_load_2addr_b32 v[88:89], v71 offset0:2 offset1:3
	ds_load_2addr_b32 v[90:91], v71 offset0:4 offset1:5
	;; [unrolled: 1-line block ×3, first 2 shown]
	ds_load_2addr_b32 v[94:95], v77 offset1:1
	ds_load_2addr_b32 v[96:97], v96 offset1:1
	;; [unrolled: 1-line block ×12, first 2 shown]
	s_wait_dscnt 0x18
	v_dual_add_nc_u32 v74, 4, v74 :: v_dual_lshlrev_b32 v77, 8, v79
	v_dual_lshlrev_b32 v127, 8, v78 :: v_dual_lshlrev_b32 v129, 24, v79
	v_lshlrev_b32_e32 v130, 16, v79
	s_wait_dscnt 0x14
	v_dual_lshlrev_b32 v128, 8, v87 :: v_dual_lshlrev_b32 v131, 24, v84
	v_lshlrev_b32_e32 v132, 16, v84
	v_dual_lshlrev_b32 v133, 24, v80 :: v_dual_lshlrev_b32 v134, 16, v80
	v_dual_lshlrev_b32 v141, 24, v87 :: v_dual_lshlrev_b32 v142, 16, v87
	;; [unrolled: 1-line block ×4, first 2 shown]
	s_wait_dscnt 0xf
	v_pk_mul_f16 v118, v122, v118
	v_pk_mul_f16 v119, v122, v119
	;; [unrolled: 1-line block ×3, first 2 shown]
	v_dot4_i32_iu8 v82, v86, v82, 0 neg_lo:[1,1,0]
	v_dual_lshlrev_b32 v135, 24, v85 :: v_dual_lshlrev_b32 v136, 16, v85
	v_dual_lshlrev_b32 v137, 24, v81 :: v_dual_lshlrev_b32 v138, 16, v81
	;; [unrolled: 1-line block ×3, first 2 shown]
	v_perm_b32 v144, v81, v85, 0xc0c0703
	v_perm_b32 v145, v87, v78, 0x7030c0c
	v_pk_mul_f16 v121, v122, v121
	s_wait_dscnt 0xb
	v_dot4_i32_iu8 v94, v86, v94, 0 neg_lo:[1,1,0]
	s_wait_dscnt 0x7
	v_dot4_i32_iu8 v102, v86, v102, 0 neg_lo:[1,1,0]
	v_perm_b32 v122, v130, v129, 0xc0c0703
	v_perm_b32 v146, v79, v77, 0x7030c0c
	;; [unrolled: 1-line block ×6, first 2 shown]
	s_wait_dscnt 0x3
	v_perm_b32 v134, v86, v111, 0xc0c0501
	v_perm_b32 v153, v86, v111, 0xc0c0703
	;; [unrolled: 1-line block ×9, first 2 shown]
	s_wait_dscnt 0x2
	v_perm_b32 v110, v113, v112, 0x5010c0c
	v_perm_b32 v143, v80, v84, 0x7030c0c
	;; [unrolled: 1-line block ×15, first 2 shown]
	s_wait_dscnt 0x1
	v_perm_b32 v113, v115, v114, 0xc0c0602
	s_wait_dscnt 0x0
	v_perm_b32 v124, v117, v116, 0x6020c0c
	v_perm_b32 v125, v126, v125, 0xc0c0703
	;; [unrolled: 1-line block ×7, first 2 shown]
	v_or_b32_e32 v139, v145, v144
	v_perm_b32 v141, v115, v114, 0xc0c0703
	v_perm_b32 v144, v117, v116, 0x7030c0c
	;; [unrolled: 1-line block ×6, first 2 shown]
	v_cvt_f32_f16_e32 v78, v120
	v_dual_lshrrev_b32 v120, 16, v120 :: v_dual_bitop2_b32 v122, v146, v122 bitop3:0x54
	v_or_b32_e32 v87, v87, v111
	v_or_b32_e32 v111, v132, v130
	;; [unrolled: 1-line block ×6, first 2 shown]
	v_dot4_i32_iu8 v82, v122, v83, v82 neg_lo:[1,1,0]
	v_dot4_i32_iu8 v83, v122, v95, v94 neg_lo:[1,1,0]
	;; [unrolled: 1-line block ×3, first 2 shown]
	v_or_b32_e32 v95, v117, v116
	v_dot4_i32_iu8 v102, v111, v110, 0 neg_lo:[1,1,0]
	v_dot4_i32_iu8 v77, v77, v86, 0 neg_lo:[1,1,0]
	v_dual_add_nc_u32 v73, 4, v73 :: v_dual_bitop2_b32 v80, v80, v148 bitop3:0x54
	v_dual_add_nc_u32 v72, 4, v72 :: v_dual_bitop2_b32 v85, v85, v149 bitop3:0x54
	s_delay_alu instid0(VALU_DEP_4) | instskip(SKIP_4) | instid1(VALU_DEP_4)
	v_dot4_i32_iu8 v86, v95, v114, v102 neg_lo:[1,1,0]
	v_or_b32_e32 v84, v84, v147
	v_or_b32_e32 v130, v156, v153
	;; [unrolled: 1-line block ×3, first 2 shown]
	v_dual_add_nc_u32 v71, 32, v71 :: v_dual_bitop2_b32 v81, v81, v150 bitop3:0x54
	v_dot4_i32_iu8 v82, v84, v88, v82 neg_lo:[1,1,0]
	v_dot4_i32_iu8 v83, v84, v96, v83 neg_lo:[1,1,0]
	;; [unrolled: 1-line block ×3, first 2 shown]
	v_or_b32_e32 v129, v131, v129
	v_or_b32_e32 v131, v133, v155
	v_dot4_i32_iu8 v82, v80, v89, v82 neg_lo:[1,1,0]
	v_dot4_i32_iu8 v83, v80, v97, v83 neg_lo:[1,1,0]
	v_dot4_i32_iu8 v80, v80, v105, v84 neg_lo:[1,1,0]
	v_or_b32_e32 v112, v124, v113
	v_or_b32_e32 v113, v126, v125
	;; [unrolled: 1-line block ×3, first 2 shown]
	v_dot4_i32_iu8 v88, v132, v130, 0 neg_lo:[1,1,0]
	v_dot4_i32_iu8 v82, v85, v90, v82 neg_lo:[1,1,0]
	;; [unrolled: 1-line block ×4, first 2 shown]
	v_cvt_f32_f16_e32 v79, v121
	v_dual_lshrrev_b32 v121, 16, v121 :: v_dual_bitop2_b32 v136, v152, v151 bitop3:0x54
	v_dual_add_nc_u32 v53, 32, v53 :: v_dual_bitop2_b32 v123, v128, v127 bitop3:0x54
	v_or_b32_e32 v124, v137, v135
	v_dot4_i32_iu8 v84, v129, v131, 0 neg_lo:[1,1,0]
	v_dot4_i32_iu8 v85, v139, v125, v88 neg_lo:[1,1,0]
	;; [unrolled: 1-line block ×7, first 2 shown]
	v_add_nc_u32_e32 v85, v86, v85
	v_dot4_i32_iu8 v82, v136, v92, v82 neg_lo:[1,1,0]
	v_dot4_i32_iu8 v83, v136, v100, v83 neg_lo:[1,1,0]
	v_dot4_i32_iu8 v80, v136, v108, v80 neg_lo:[1,1,0]
	v_cvt_f32_f16_e32 v81, v121
	v_add3_u32 v77, v84, v77, v85
	v_dot4_i32_iu8 v82, v87, v93, v82 neg_lo:[1,1,0]
	v_dot4_i32_iu8 v84, v87, v101, v83 neg_lo:[1,1,0]
	;; [unrolled: 1-line block ×3, first 2 shown]
	v_cvt_f32_f16_e32 v80, v120
	v_cvt_f32_i32_e32 v83, v77
	v_cvt_f32_i32_e32 v77, v82
	;; [unrolled: 1-line block ×4, first 2 shown]
	v_dual_add_nc_u32 v76, 4, v76 :: v_dual_add_nc_u32 v75, 4, v75
	s_delay_alu instid0(VALU_DEP_4) | instskip(NEXT) | instid1(VALU_DEP_4)
	v_fma_mix_f32 v77, v118, v77, v118 op_sel:[0,0,1] op_sel_hi:[1,0,1]
	v_fma_mix_f32 v84, v119, v84, v119 op_sel:[0,0,1] op_sel_hi:[1,0,1]
	s_delay_alu instid0(VALU_DEP_4) | instskip(SKIP_1) | instid1(VALU_DEP_2)
	v_pk_fma_f32 v[78:79], v[78:79], v[82:83], v[80:81]
	s_add_co_i32 s1, s1, 4
	v_dual_add_f32 v55, v55, v77 :: v_dual_add_f32 v45, v45, v84
	s_delay_alu instid0(VALU_DEP_2)
	v_pk_add_f32 v[16:17], v[16:17], v[78:79]
	s_cmp_lt_u32 s1, 12
	s_cbranch_scc1 .LBB223_11
; %bb.12:                               ;   in Loop: Header=BB223_5 Depth=1
	s_bitset1_b32 s16, 7
	s_delay_alu instid0(SALU_CYCLE_1)
	s_cmp_ge_i32 s16, s11
	s_barrier_signal -1
	s_barrier_wait -1
	s_cbranch_scc1 .LBB223_4
; %bb.13:                               ;   in Loop: Header=BB223_5 Depth=1
	v_add_nc_u32_e32 v53, s12, v57
	s_delay_alu instid0(VALU_DEP_1) | instskip(SKIP_1) | instid1(SALU_CYCLE_1)
	v_cmp_gt_i32_e64 s1, s5, v53
	s_and_b32 s16, s0, s1
	s_and_saveexec_b32 s1, s16
	s_cbranch_execz .LBB223_15
; %bb.14:                               ;   in Loop: Header=BB223_5 Depth=1
	v_add_nc_u32_e32 v53, v28, v53
	s_delay_alu instid0(VALU_DEP_1)
	v_mad_nc_i64_i32 v[72:73], v53, 36, v[30:31]
	global_load_b32 v53, v[72:73], off offset:4
	s_wait_loadcnt 0x0
	ds_store_b32 v51, v53
.LBB223_15:                             ;   in Loop: Header=BB223_5 Depth=1
	s_or_b32 exec_lo, exec_lo, s1
	s_and_saveexec_b32 s16, vcc_lo
	s_cbranch_execz .LBB223_18
; %bb.16:                               ;   in Loop: Header=BB223_5 Depth=1
	v_or_b32_e32 v53, 4, v52
	s_delay_alu instid0(VALU_DEP_1) | instskip(SKIP_1) | instid1(SALU_CYCLE_1)
	v_cmp_gt_i32_e64 s1, s5, v53
	s_and_b32 s1, s0, s1
	s_and_b32 exec_lo, exec_lo, s1
	s_cbranch_execz .LBB223_18
; %bb.17:                               ;   in Loop: Header=BB223_5 Depth=1
	v_ashrrev_i32_e32 v53, 31, v52
	s_delay_alu instid0(VALU_DEP_1) | instskip(NEXT) | instid1(VALU_DEP_1)
	v_add_nc_u64_e32 v[52:53], v[28:29], v[52:53]
	v_mad_nc_u64_u32 v[72:73], v52, 36, s[2:3]
	s_delay_alu instid0(VALU_DEP_1)
	v_mad_i32_i24 v73, v53, 36, v73
	global_load_b32 v52, v[72:73], off offset:144
	s_wait_loadcnt 0x0
	ds_store_b32 v54, v52
.LBB223_18:                             ;   in Loop: Header=BB223_5 Depth=1
	s_or_b32 exec_lo, exec_lo, s16
	v_dual_mov_b32 v52, v49 :: v_dual_mov_b32 v53, v47
	v_dual_mov_b32 v71, v66 :: v_dual_mov_b32 v72, v65
	;; [unrolled: 1-line block ×3, first 2 shown]
	v_mov_b32_e32 v75, v62
	s_mov_b32 s1, 12
	s_wait_dscnt 0x0
	s_barrier_signal -1
	s_barrier_wait -1
.LBB223_19:                             ;   Parent Loop BB223_5 Depth=1
                                        ; =>  This Inner Loop Header: Depth=2
	ds_load_2addr_b32 v[76:77], v53 offset1:7
	ds_load_2addr_b32 v[78:79], v53 offset0:3 offset1:4
	ds_load_2addr_b32 v[80:81], v53 offset0:5 offset1:6
	;; [unrolled: 1-line block ×3, first 2 shown]
	ds_load_b32 v116, v52
	ds_load_b32 v117, v72
	;; [unrolled: 1-line block ×5, first 2 shown]
	v_add_nc_u32_e32 v92, 0x2080, v71
	v_add_nc_u32_e32 v94, 0x2088, v71
	;; [unrolled: 1-line block ×12, first 2 shown]
	ds_load_2addr_b32 v[84:85], v71 offset1:1
	ds_load_2addr_b32 v[86:87], v71 offset0:2 offset1:3
	ds_load_2addr_b32 v[88:89], v71 offset0:4 offset1:5
	;; [unrolled: 1-line block ×3, first 2 shown]
	ds_load_2addr_b32 v[92:93], v92 offset1:1
	ds_load_2addr_b32 v[94:95], v94 offset1:1
	;; [unrolled: 1-line block ×12, first 2 shown]
	s_wait_dscnt 0x17
	v_dual_add_nc_u32 v73, 4, v73 :: v_dual_lshlrev_b32 v121, 8, v79
	v_dual_lshlrev_b32 v128, 24, v79 :: v_dual_lshlrev_b32 v129, 16, v79
	s_wait_dscnt 0x15
	v_dual_lshlrev_b32 v122, 8, v82 :: v_dual_lshlrev_b32 v123, 8, v80
	s_wait_dscnt 0x13
	v_pk_mul_f16 v117, v116, v117
	s_wait_dscnt 0x12
	v_pk_mul_f16 v118, v116, v118
	;; [unrolled: 2-line block ×3, first 2 shown]
	v_dual_lshlrev_b32 v130, 24, v82 :: v_dual_lshlrev_b32 v131, 16, v82
	s_wait_dscnt 0x10
	v_pk_mul_f16 v116, v116, v120
	v_perm_b32 v120, v129, v128, 0xc0c0703
	v_perm_b32 v145, v79, v121, 0x7030c0c
	v_dual_lshlrev_b32 v132, 24, v80 :: v_dual_lshlrev_b32 v133, 16, v80
	s_wait_dscnt 0xf
	v_dot4_i32_iu8 v84, v76, v84, 0 neg_lo:[1,1,0]
	v_perm_b32 v142, v80, v82, 0x7030c0c
	s_wait_dscnt 0xb
	v_dot4_i32_iu8 v92, v76, v92, 0 neg_lo:[1,1,0]
	s_wait_dscnt 0x7
	v_dot4_i32_iu8 v100, v76, v100, 0 neg_lo:[1,1,0]
	v_perm_b32 v146, v131, v130, 0xc0c0703
	v_perm_b32 v82, v82, v122, 0x7030c0c
	s_wait_dscnt 0x3
	v_perm_b32 v153, v76, v109, 0xc0c0501
	v_perm_b32 v155, v76, v109, 0xc0c0703
	;; [unrolled: 1-line block ×4, first 2 shown]
	v_cvt_f32_f16_e32 v76, v119
	v_dual_lshrrev_b32 v119, 16, v119 :: v_dual_bitop2_b32 v120, v145, v120 bitop3:0x54
	v_dual_lshlrev_b32 v124, 8, v83 :: v_dual_lshlrev_b32 v125, 8, v81
	v_dual_lshlrev_b32 v126, 8, v78 :: v_dual_lshlrev_b32 v127, 8, v77
	;; [unrolled: 1-line block ×6, first 2 shown]
	v_perm_b32 v147, v133, v132, 0xc0c0703
	v_perm_b32 v80, v80, v123, 0x7030c0c
	;; [unrolled: 1-line block ×4, first 2 shown]
	s_wait_dscnt 0x2
	v_perm_b32 v133, v111, v110, 0x5010c0c
	v_perm_b32 v154, v111, v110, 0x7030c0c
	;; [unrolled: 1-line block ×3, first 2 shown]
	v_dual_add_nc_u32 v72, 4, v72 :: v_dual_bitop2_b32 v82, v82, v146 bitop3:0x54
	v_dot4_i32_iu8 v84, v120, v85, v84 neg_lo:[1,1,0]
	v_dot4_i32_iu8 v85, v120, v93, v92 neg_lo:[1,1,0]
	;; [unrolled: 1-line block ×3, first 2 shown]
	v_perm_b32 v143, v81, v83, 0xc0c0703
	v_perm_b32 v144, v77, v78, 0x7030c0c
	;; [unrolled: 1-line block ×15, first 2 shown]
	s_wait_dscnt 0x1
	v_perm_b32 v111, v113, v112, 0xc0c0602
	s_wait_dscnt 0x0
	v_perm_b32 v122, v115, v114, 0x6020c0c
	v_perm_b32 v123, v125, v124, 0xc0c0703
	;; [unrolled: 1-line block ×13, first 2 shown]
	v_dual_add_nc_u32 v53, 32, v53 :: v_dual_bitop2_b32 v80, v80, v147 bitop3:0x54
	v_or_b32_e32 v129, v131, v129
	v_or_b32_e32 v131, v133, v153
	;; [unrolled: 1-line block ×4, first 2 shown]
	v_dot4_i32_iu8 v84, v82, v86, v84 neg_lo:[1,1,0]
	v_dot4_i32_iu8 v85, v82, v94, v85 neg_lo:[1,1,0]
	;; [unrolled: 1-line block ×3, first 2 shown]
	v_perm_b32 v149, v137, v136, 0xc0c0703
	v_or_b32_e32 v136, v144, v143
	v_dual_add_nc_u32 v71, 32, v71 :: v_dual_bitop2_b32 v83, v83, v148 bitop3:0x54
	v_or_b32_e32 v109, v110, v109
	v_or_b32_e32 v110, v122, v111
	;; [unrolled: 1-line block ×6, first 2 shown]
	v_dot4_i32_iu8 v100, v129, v131, 0 neg_lo:[1,1,0]
	v_dot4_i32_iu8 v79, v79, v133, 0 neg_lo:[1,1,0]
	v_dot4_i32_iu8 v84, v80, v87, v84 neg_lo:[1,1,0]
	v_dot4_i32_iu8 v85, v80, v95, v85 neg_lo:[1,1,0]
	v_dot4_i32_iu8 v80, v80, v103, v82 neg_lo:[1,1,0]
	v_cvt_f32_f16_e32 v77, v116
	v_lshrrev_b32_e32 v116, 16, v116
	v_or_b32_e32 v128, v130, v128
	v_or_b32_e32 v130, v132, v156
	;; [unrolled: 1-line block ×3, first 2 shown]
	v_dot4_i32_iu8 v84, v83, v88, v84 neg_lo:[1,1,0]
	v_dot4_i32_iu8 v85, v83, v96, v85 neg_lo:[1,1,0]
	;; [unrolled: 1-line block ×5, first 2 shown]
	v_or_b32_e32 v81, v81, v149
	v_dual_add_nc_u32 v52, 4, v52 :: v_dual_bitop2_b32 v78, v78, v150 bitop3:0x54
	v_or_b32_e32 v121, v126, v125
	v_or_b32_e32 v122, v134, v127
	v_dot4_i32_iu8 v86, v108, v109, 0 neg_lo:[1,1,0]
	v_dot4_i32_iu8 v82, v128, v130, 0 neg_lo:[1,1,0]
	;; [unrolled: 1-line block ×5, first 2 shown]
	v_or_b32_e32 v135, v152, v151
	v_dot4_i32_iu8 v86, v111, v110, v86 neg_lo:[1,1,0]
	v_dot4_i32_iu8 v81, v122, v121, v82 neg_lo:[1,1,0]
	v_add_nc_u32_e32 v82, v83, v79
	v_dot4_i32_iu8 v83, v78, v90, v84 neg_lo:[1,1,0]
	v_dot4_i32_iu8 v84, v78, v98, v85 neg_lo:[1,1,0]
	;; [unrolled: 1-line block ×3, first 2 shown]
	v_cvt_f32_f16_e32 v79, v116
	v_add3_u32 v80, v81, v86, v82
	v_dot4_i32_iu8 v82, v135, v91, v83 neg_lo:[1,1,0]
	v_dot4_i32_iu8 v83, v135, v99, v84 neg_lo:[1,1,0]
	;; [unrolled: 1-line block ×3, first 2 shown]
	v_cvt_f32_f16_e32 v78, v119
	v_cvt_f32_i32_e32 v81, v80
	v_cvt_f32_i32_e32 v82, v82
	;; [unrolled: 1-line block ×4, first 2 shown]
	v_dual_add_nc_u32 v75, 4, v75 :: v_dual_add_nc_u32 v74, 4, v74
	s_delay_alu instid0(VALU_DEP_4) | instskip(NEXT) | instid1(VALU_DEP_4)
	v_fma_mix_f32 v82, v117, v82, v117 op_sel:[0,0,1] op_sel_hi:[1,0,1]
	v_fma_mix_f32 v83, v118, v83, v118 op_sel:[0,0,1] op_sel_hi:[1,0,1]
	s_delay_alu instid0(VALU_DEP_4) | instskip(SKIP_1) | instid1(VALU_DEP_2)
	v_pk_fma_f32 v[76:77], v[76:77], v[80:81], v[78:79]
	s_add_co_i32 s1, s1, 4
	v_dual_add_f32 v55, v55, v82 :: v_dual_add_f32 v45, v45, v83
	s_delay_alu instid0(VALU_DEP_2)
	v_pk_add_f32 v[16:17], v[16:17], v[76:77]
	s_cmp_lt_u32 s1, 28
	s_cbranch_scc1 .LBB223_19
; %bb.20:                               ;   in Loop: Header=BB223_5 Depth=1
	s_barrier_signal -1
	s_barrier_wait -1
	s_branch .LBB223_4
.LBB223_21:
	s_mul_i32 s0, s7, s4
	s_wait_loadcnt 0x0
	v_cmp_gt_i32_e32 vcc_lo, s0, v1
	s_and_saveexec_b32 s0, vcc_lo
	s_cbranch_execz .LBB223_30
; %bb.22:
	v_mul_lo_u32 v0, v1, s6
	v_add_nc_u32_e32 v1, s18, v3
	s_mov_b32 s0, exec_lo
	s_delay_alu instid0(VALU_DEP_1)
	v_cmpx_gt_u32_e64 s6, v1
	s_cbranch_execz .LBB223_24
; %bb.23:
	v_bfe_u32 v2, v55, 16, 1
	v_cmp_o_f32_e32 vcc_lo, v55, v55
	v_add_nc_u32_e32 v3, v0, v1
	s_delay_alu instid0(VALU_DEP_3) | instskip(NEXT) | instid1(VALU_DEP_1)
	v_add3_u32 v2, v55, v2, 0x7fff
	v_lshrrev_b32_e32 v2, 16, v2
	s_delay_alu instid0(VALU_DEP_1)
	v_cndmask_b32_e32 v2, 0x7fc0, v2, vcc_lo
	global_store_b16 v3, v2, s[8:9] scale_offset
.LBB223_24:
	s_wait_xcnt 0x0
	s_or_b32 exec_lo, exec_lo, s0
	v_add_nc_u32_e32 v2, 32, v1
	s_mov_b32 s0, exec_lo
	s_delay_alu instid0(VALU_DEP_1)
	v_cmpx_gt_u32_e64 s6, v2
	s_cbranch_execz .LBB223_26
; %bb.25:
	v_bfe_u32 v3, v45, 16, 1
	v_cmp_o_f32_e32 vcc_lo, v45, v45
	v_add_nc_u32_e32 v2, v0, v2
	s_delay_alu instid0(VALU_DEP_3) | instskip(NEXT) | instid1(VALU_DEP_1)
	v_add3_u32 v3, v45, v3, 0x7fff
	v_lshrrev_b32_e32 v3, 16, v3
	s_delay_alu instid0(VALU_DEP_1)
	v_cndmask_b32_e32 v3, 0x7fc0, v3, vcc_lo
	global_store_b16 v2, v3, s[8:9] scale_offset
.LBB223_26:
	s_wait_xcnt 0x0
	s_or_b32 exec_lo, exec_lo, s0
	;; [unrolled: 18-line block ×3, first 2 shown]
	v_add_nc_u32_e32 v1, 0x60, v1
	s_delay_alu instid0(VALU_DEP_1)
	v_cmp_gt_u32_e32 vcc_lo, s6, v1
	s_and_b32 exec_lo, exec_lo, vcc_lo
	s_cbranch_execz .LBB223_30
; %bb.29:
	v_bfe_u32 v2, v17, 16, 1
	v_cmp_o_f32_e32 vcc_lo, v17, v17
	v_add_nc_u32_e32 v0, v0, v1
	s_delay_alu instid0(VALU_DEP_3) | instskip(NEXT) | instid1(VALU_DEP_1)
	v_add3_u32 v2, v17, v2, 0x7fff
	v_lshrrev_b32_e32 v2, 16, v2
	s_delay_alu instid0(VALU_DEP_1)
	v_cndmask_b32_e32 v2, 0x7fc0, v2, vcc_lo
	global_store_b16 v0, v2, s[8:9] scale_offset
.LBB223_30:
	s_sendmsg sendmsg(MSG_DEALLOC_VGPRS)
	s_endpgm
	.section	.rodata,"a",@progbits
	.p2align	6, 0x0
	.amdhsa_kernel _ZL8moe_q5_1IN3c108BFloat16ELb0EEvPKvS3_PT_PKiS7_S7_iiiiiii
		.amdhsa_group_segment_fixed_size 38656
		.amdhsa_private_segment_fixed_size 0
		.amdhsa_kernarg_size 76
		.amdhsa_user_sgpr_count 2
		.amdhsa_user_sgpr_dispatch_ptr 0
		.amdhsa_user_sgpr_queue_ptr 0
		.amdhsa_user_sgpr_kernarg_segment_ptr 1
		.amdhsa_user_sgpr_dispatch_id 0
		.amdhsa_user_sgpr_kernarg_preload_length 0
		.amdhsa_user_sgpr_kernarg_preload_offset 0
		.amdhsa_user_sgpr_private_segment_size 0
		.amdhsa_wavefront_size32 1
		.amdhsa_uses_dynamic_stack 0
		.amdhsa_enable_private_segment 0
		.amdhsa_system_sgpr_workgroup_id_x 1
		.amdhsa_system_sgpr_workgroup_id_y 1
		.amdhsa_system_sgpr_workgroup_id_z 0
		.amdhsa_system_sgpr_workgroup_info 0
		.amdhsa_system_vgpr_workitem_id 1
		.amdhsa_next_free_vgpr 159
		.amdhsa_next_free_sgpr 21
		.amdhsa_named_barrier_count 0
		.amdhsa_reserve_vcc 1
		.amdhsa_float_round_mode_32 0
		.amdhsa_float_round_mode_16_64 0
		.amdhsa_float_denorm_mode_32 3
		.amdhsa_float_denorm_mode_16_64 3
		.amdhsa_fp16_overflow 0
		.amdhsa_memory_ordered 1
		.amdhsa_forward_progress 1
		.amdhsa_inst_pref_size 71
		.amdhsa_round_robin_scheduling 0
		.amdhsa_exception_fp_ieee_invalid_op 0
		.amdhsa_exception_fp_denorm_src 0
		.amdhsa_exception_fp_ieee_div_zero 0
		.amdhsa_exception_fp_ieee_overflow 0
		.amdhsa_exception_fp_ieee_underflow 0
		.amdhsa_exception_fp_ieee_inexact 0
		.amdhsa_exception_int_div_zero 0
	.end_amdhsa_kernel
	.section	.text._ZL8moe_q5_1IN3c108BFloat16ELb0EEvPKvS3_PT_PKiS7_S7_iiiiiii,"axG",@progbits,_ZL8moe_q5_1IN3c108BFloat16ELb0EEvPKvS3_PT_PKiS7_S7_iiiiiii,comdat
.Lfunc_end223:
	.size	_ZL8moe_q5_1IN3c108BFloat16ELb0EEvPKvS3_PT_PKiS7_S7_iiiiiii, .Lfunc_end223-_ZL8moe_q5_1IN3c108BFloat16ELb0EEvPKvS3_PT_PKiS7_S7_iiiiiii
                                        ; -- End function
	.set _ZL8moe_q5_1IN3c108BFloat16ELb0EEvPKvS3_PT_PKiS7_S7_iiiiiii.num_vgpr, 159
	.set _ZL8moe_q5_1IN3c108BFloat16ELb0EEvPKvS3_PT_PKiS7_S7_iiiiiii.num_agpr, 0
	.set _ZL8moe_q5_1IN3c108BFloat16ELb0EEvPKvS3_PT_PKiS7_S7_iiiiiii.numbered_sgpr, 21
	.set _ZL8moe_q5_1IN3c108BFloat16ELb0EEvPKvS3_PT_PKiS7_S7_iiiiiii.num_named_barrier, 0
	.set _ZL8moe_q5_1IN3c108BFloat16ELb0EEvPKvS3_PT_PKiS7_S7_iiiiiii.private_seg_size, 0
	.set _ZL8moe_q5_1IN3c108BFloat16ELb0EEvPKvS3_PT_PKiS7_S7_iiiiiii.uses_vcc, 1
	.set _ZL8moe_q5_1IN3c108BFloat16ELb0EEvPKvS3_PT_PKiS7_S7_iiiiiii.uses_flat_scratch, 0
	.set _ZL8moe_q5_1IN3c108BFloat16ELb0EEvPKvS3_PT_PKiS7_S7_iiiiiii.has_dyn_sized_stack, 0
	.set _ZL8moe_q5_1IN3c108BFloat16ELb0EEvPKvS3_PT_PKiS7_S7_iiiiiii.has_recursion, 0
	.set _ZL8moe_q5_1IN3c108BFloat16ELb0EEvPKvS3_PT_PKiS7_S7_iiiiiii.has_indirect_call, 0
	.section	.AMDGPU.csdata,"",@progbits
; Kernel info:
; codeLenInByte = 8984
; TotalNumSgprs: 23
; NumVgprs: 159
; ScratchSize: 0
; MemoryBound: 0
; FloatMode: 240
; IeeeMode: 1
; LDSByteSize: 38656 bytes/workgroup (compile time only)
; SGPRBlocks: 0
; VGPRBlocks: 9
; NumSGPRsForWavesPerEU: 23
; NumVGPRsForWavesPerEU: 159
; NamedBarCnt: 0
; Occupancy: 6
; WaveLimiterHint : 1
; COMPUTE_PGM_RSRC2:SCRATCH_EN: 0
; COMPUTE_PGM_RSRC2:USER_SGPR: 2
; COMPUTE_PGM_RSRC2:TRAP_HANDLER: 0
; COMPUTE_PGM_RSRC2:TGID_X_EN: 1
; COMPUTE_PGM_RSRC2:TGID_Y_EN: 1
; COMPUTE_PGM_RSRC2:TGID_Z_EN: 0
; COMPUTE_PGM_RSRC2:TIDIG_COMP_CNT: 1
	.section	.text._ZL8moe_q5_1IN3c108BFloat16ELb1EEvPKvS3_PT_PKiS7_S7_iiiiiii,"axG",@progbits,_ZL8moe_q5_1IN3c108BFloat16ELb1EEvPKvS3_PT_PKiS7_S7_iiiiiii,comdat
	.globl	_ZL8moe_q5_1IN3c108BFloat16ELb1EEvPKvS3_PT_PKiS7_S7_iiiiiii ; -- Begin function _ZL8moe_q5_1IN3c108BFloat16ELb1EEvPKvS3_PT_PKiS7_S7_iiiiiii
	.p2align	8
	.type	_ZL8moe_q5_1IN3c108BFloat16ELb1EEvPKvS3_PT_PKiS7_S7_iiiiiii,@function
_ZL8moe_q5_1IN3c108BFloat16ELb1EEvPKvS3_PT_PKiS7_S7_iiiiiii: ; @_ZL8moe_q5_1IN3c108BFloat16ELb1EEvPKvS3_PT_PKiS7_S7_iiiiiii
; %bb.0:
	s_load_b128 s[4:7], s[0:1], 0x18
	s_bfe_u32 s2, ttmp6, 0x40010
	s_bfe_u32 s8, ttmp6, 0x40004
	s_add_co_i32 s2, s2, 1
	s_delay_alu instid0(SALU_CYCLE_1)
	s_mul_i32 s3, ttmp7, s2
	s_getreg_b32 s2, hwreg(HW_REG_IB_STS2, 6, 4)
	s_add_co_i32 s8, s8, s3
	s_cmp_eq_u32 s2, 0
	s_cselect_b32 s3, ttmp7, s8
	s_wait_kmcnt 0x0
	s_load_b32 s14, s[6:7], s3 offset:0x0 scale_offset
	s_wait_kmcnt 0x0
	s_cmp_gt_u32 s14, 0xff
	s_cbranch_scc1 .LBB224_30
; %bb.1:
	s_load_b64 s[6:7], s[0:1], 0x28
	s_lshl_b32 s3, s3, 3
	s_wait_kmcnt 0x0
	s_load_b32 s6, s[6:7], 0x0
	s_wait_kmcnt 0x0
	s_cmp_gt_u32 s3, s6
	s_cbranch_scc1 .LBB224_30
; %bb.2:
	v_bfe_u32 v9, v0, 10, 10
	s_and_b32 s11, ttmp6, 15
	v_and_b32_e32 v5, 0x3ff, v0
	s_mov_b32 s15, 0
	s_delay_alu instid0(VALU_DEP_2) | instskip(SKIP_1) | instid1(SALU_CYCLE_1)
	v_dual_mov_b32 v7, 0 :: v_dual_add_nc_u32 v1, s3, v9
	s_bfe_u32 s3, ttmp6, 0x4000c
	s_add_co_i32 s3, s3, 1
	s_delay_alu instid0(VALU_DEP_1)
	v_dual_mov_b32 v6, v7 :: v_dual_mov_b32 v64, v7
	global_load_b32 v1, v1, s[4:5] scale_offset
	s_wait_xcnt 0x0
	s_clause 0x2
	s_load_b128 s[4:7], s[0:1], 0x30
	s_load_b64 s[12:13], s[0:1], 0x10
	s_load_b96 s[8:10], s[0:1], 0x40
	s_mul_i32 s3, ttmp9, s3
	v_mov_b32_e32 v73, v7
	s_add_co_i32 s11, s11, s3
	s_cmp_eq_u32 s2, 0
	s_cselect_b32 s2, ttmp9, s11
	s_delay_alu instid0(SALU_CYCLE_1)
	s_lshl_b32 s11, s2, 7
	s_wait_kmcnt 0x0
	s_cmp_lt_i32 s5, 32
	s_cbranch_scc1 .LBB224_21
; %bb.3:
	s_load_b128 s[0:3], s[0:1], 0x0
	s_mul_i32 s18, s14, s4
	v_bfe_u32 v29, v0, 3, 7
	s_ashr_i32 s19, s18, 31
	s_not_b32 s4, s11
	s_ashr_i32 s16, s5, 31
	s_add_co_i32 s20, s6, s4
	v_lshl_add_u32 v7, v9, 2, v29
	s_ashr_i32 s17, s8, 31
	s_lshr_b32 s14, s16, 27
	s_lshr_b32 s16, s17, 27
	v_dual_mov_b32 v3, 0 :: v_dual_lshlrev_b32 v10, 2, v5
	v_min_i32_e32 v44, s20, v7
	s_add_co_i32 s6, s8, s16
	v_add_min_i32_e64 v46, v7, 32, s20
	s_delay_alu instid0(VALU_DEP_3)
	v_dual_lshlrev_b32 v6, 3, v5 :: v_dual_bitop2_b32 v2, 12, v10 bitop3:0x40
	v_add_min_i32_e64 v14, v9, 8, s20
	v_add_min_i32_e64 v16, v9, 16, s20
	s_wait_kmcnt 0x0
	s_add_nc_u64 s[18:19], s[0:1], s[18:19]
	s_abs_i32 s0, s10
	v_add_min_i32_e64 v18, v9, 24, s20
	s_cvt_f32_u32 s1, s0
	s_sub_co_i32 s8, 0, s0
	v_add_min_i32_e64 v20, v9, 32, s20
	v_add_min_i32_e64 v22, v9, 40, s20
	v_rcp_iflag_f32_e32 v4, s1
	v_add_min_i32_e64 v24, v9, 48, s20
	v_add_min_i32_e64 v26, v9, 56, s20
	;; [unrolled: 1-line block ×6, first 2 shown]
	v_readfirstlane_b32 s1, v4
	s_wait_loadcnt 0x0
	v_sub_nc_u32_e32 v4, 0, v1
	v_dual_ashrrev_i32 v8, 31, v44 :: v_dual_min_i32 v12, s20, v9
	v_ashrrev_i32_e32 v43, 31, v46
	s_mul_f32 s1, s1, 0x4f7ffffe
	s_delay_alu instid0(VALU_DEP_3)
	v_max_i32_e32 v11, v1, v4
	v_add_min_i32_e64 v36, 0x60, v9, s20
	v_lshrrev_b32_e32 v4, 30, v8
	s_cvt_u32_f32 s1, s1
	v_add_min_i32_e64 v38, 0x68, v9, s20
	v_add_min_i32_e64 v42, 0x70, v9, s20
	;; [unrolled: 1-line block ×3, first 2 shown]
	s_mul_i32 s8, s8, s1
	v_add_nc_u32_e32 v40, v44, v4
	s_mul_hi_u32 s8, s1, s8
	v_dual_lshrrev_b32 v50, 30, v43 :: v_dual_bitop2_b32 v4, 7, v0 bitop3:0x40
	s_add_co_i32 s1, s1, s8
	v_add_min_i32_e64 v52, v7, 64, s20
	v_mul_hi_u32 v8, v11, s1
	s_delay_alu instid0(VALU_DEP_3)
	v_lshlrev_b32_e32 v49, 2, v4
	v_add_min_i32_e64 v53, 0x60, v7, s20
	v_mad_u32 v13, 0x104, v12, v6
	v_mad_u32 v15, 0x104, v14, v6
	;; [unrolled: 1-line block ×8, first 2 shown]
	v_mul_lo_u32 v47, v8, s0
	v_and_b32_e32 v40, -4, v40
	v_mad_u32 v31, 0x104, v28, v6
	v_mad_u32 v33, 0x104, v30, v6
	;; [unrolled: 1-line block ×8, first 2 shown]
	v_dual_ashrrev_i32 v51, 31, v53 :: v_dual_sub_nc_u32 v11, v11, v47
	v_add3_u32 v6, v40, v49, 0x8200
	v_dual_add_nc_u32 v40, v46, v50 :: v_dual_lshlrev_b32 v50, 5, v44
	v_add_nc_u32_e32 v47, 1, v8
	s_delay_alu instid0(VALU_DEP_4)
	v_subrev_nc_u32_e32 v54, s0, v11
	v_cmp_le_u32_e32 vcc_lo, s0, v11
	v_ashrrev_i32_e32 v7, 31, v52
	v_and_b32_e32 v57, 0xfc, v0
	v_lshlrev_b32_e32 v59, 5, v53
	s_ashr_i32 s6, s6, 5
	v_dual_cndmask_b32 v8, v8, v47, vcc_lo :: v_dual_bitop2_b32 v40, -4, v40 bitop3:0x40
	v_lshrrev_b32_e32 v7, 30, v7
	v_dual_lshrrev_b32 v47, 30, v51 :: v_dual_bitop2_b32 v51, s10, v1 bitop3:0x14
	s_delay_alu instid0(VALU_DEP_3) | instskip(NEXT) | instid1(VALU_DEP_3)
	v_dual_cndmask_b32 v11, v11, v54 :: v_dual_add_nc_u32 v54, 1, v8
	v_add_nc_u32_e32 v7, v52, v7
	v_add3_u32 v40, v40, v49, 0x8200
	s_delay_alu instid0(VALU_DEP_4) | instskip(NEXT) | instid1(VALU_DEP_4)
	v_ashrrev_i32_e32 v51, 31, v51
	v_cmp_le_u32_e32 vcc_lo, s0, v11
	v_add_nc_u32_e32 v47, v53, v47
	v_dual_add_nc_u32 v55, 32, v5 :: v_dual_bitop2_b32 v7, -4, v7 bitop3:0x40
	v_dual_lshlrev_b32 v58, 5, v52 :: v_dual_cndmask_b32 v8, v8, v54, vcc_lo
	s_delay_alu instid0(VALU_DEP_3) | instskip(NEXT) | instid1(VALU_DEP_3)
	v_dual_lshlrev_b32 v54, 5, v46 :: v_dual_bitop2_b32 v11, -4, v47 bitop3:0x40
	v_add3_u32 v7, v7, v49, 0x8200
	v_add_nc_u32_e32 v47, 0x60, v5
	s_add_co_i32 s14, s5, s14
	s_delay_alu instid0(VALU_DEP_3) | instskip(SKIP_1) | instid1(VALU_DEP_3)
	v_add3_u32 v11, v11, v49, 0x8200
	v_dual_add_nc_u32 v49, 64, v5 :: v_dual_bitop2_b32 v8, v8, v51 bitop3:0x14
	v_and_b32_e32 v47, 0x1fc, v47
	s_ashr_i32 s4, s14, 5
	v_lshl_add_u32 v60, v9, 4, 0x9680
	s_delay_alu instid0(VALU_DEP_3)
	v_and_b32_e32 v49, 0x1fc, v49
	v_dual_sub_nc_u32 v56, v8, v51 :: v_dual_lshlrev_b32 v8, 5, v5
	v_and_b32_e32 v51, 0x1fc, v55
	v_mul_lo_u32 v12, v12, s4
	v_mul_lo_u32 v14, v14, s4
	;; [unrolled: 1-line block ×3, first 2 shown]
	v_dual_add_nc_u32 v64, v8, v47 :: v_dual_add_nc_u32 v68, v8, v49
	v_dual_add_nc_u32 v70, v8, v51 :: v_dual_add_nc_u32 v57, v8, v57
	v_dual_add_nc_u32 v47, v6, v50 :: v_dual_bitop2_b32 v50, 31, v0 bitop3:0x40
	v_add_nc_u32_e32 v49, v40, v54
	v_dual_add_nc_u32 v51, v7, v58 :: v_dual_lshrrev_b32 v63, 3, v55
	v_dual_add_nc_u32 v58, v11, v59 :: v_dual_bitop2_b32 v6, 28, v10 bitop3:0x40
	v_mul_lo_u32 v8, v56, s6
	v_lshl_add_u32 v59, v9, 7, 0x9280
	v_dual_mov_b32 v7, v3 :: v_dual_add_nc_u32 v62, v60, v10
	v_mul_lo_u32 v18, v18, s4
	v_mul_lo_u32 v20, v20, s4
	s_delay_alu instid0(VALU_DEP_4)
	v_lshl_or_b32 v61, v50, 2, v59
	v_mul_lo_u32 v22, v22, s4
	v_mul_lo_u32 v24, v24, s4
	;; [unrolled: 1-line block ×15, first 2 shown]
	s_mul_i32 s16, s4, s11
	v_cmp_gt_u32_e32 vcc_lo, 4, v5
	v_cmp_gt_i32_e64 s0, s7, v56
	v_add_nc_u64_e32 v[10:11], s[2:3], v[6:7]
	s_movk_i32 s1, 0x80
	s_ashr_i32 s17, s16, 31
	v_dual_ashrrev_i32 v9, 31, v8 :: v_dual_mov_b32 v73, v3
	v_add_nc_u32_e32 v65, 0x8e00, v64
	v_add_nc_u32_e32 v66, 0x8e10, v64
	;; [unrolled: 1-line block ×8, first 2 shown]
	v_mov_b32_e32 v6, v3
	v_bfe_u32 v0, v0, 2, 8
	v_mad_u32_u24 v74, 0x104, v5, s1
	v_mov_b32_e32 v64, v3
	s_mul_u64 s[16:17], s[16:17], 24
	s_and_b32 s8, vcc_lo, s0
	s_add_nc_u64 s[16:17], s[18:19], s[16:17]
	s_mov_b32 s14, s15
	s_branch .LBB224_5
.LBB224_4:                              ;   in Loop: Header=BB224_5 Depth=1
	s_add_co_i32 s14, s14, 8
	s_delay_alu instid0(SALU_CYCLE_1)
	s_cmp_ge_i32 s14, s4
	s_cbranch_scc1 .LBB224_21
.LBB224_5:                              ; =>This Loop Header: Depth=1
                                        ;     Child Loop BB224_11 Depth 2
                                        ;     Child Loop BB224_19 Depth 2
	s_mul_u64 s[18:19], s[14:15], 24
	s_delay_alu instid0(SALU_CYCLE_1) | instskip(NEXT) | instid1(SALU_CYCLE_1)
	s_add_nc_u64 s[18:19], s[16:17], s[18:19]
	v_mad_nc_u64_u32 v[52:53], v0, 24, s[18:19]
	s_delay_alu instid0(VALU_DEP_1) | instskip(SKIP_1) | instid1(VALU_DEP_2)
	v_mad_nc_i64_i32 v[54:55], v18, 24, v[52:53]
	v_mad_nc_i64_i32 v[56:57], v16, 24, v[52:53]
	v_add_nc_u64_e32 v[76:77], v[54:55], v[2:3]
	s_delay_alu instid0(VALU_DEP_2)
	v_add_nc_u64_e32 v[78:79], v[56:57], v[2:3]
	s_clause 0x1
	global_load_b32 v75, v[76:77], off offset:8
	global_load_b32 v80, v[78:79], off offset:8
	s_wait_xcnt 0x1
	v_mad_nc_i64_i32 v[76:77], v14, 24, v[52:53]
	s_wait_xcnt 0x0
	s_delay_alu instid0(VALU_DEP_1)
	v_add_nc_u64_e32 v[78:79], v[76:77], v[2:3]
	global_load_b32 v81, v[78:79], off offset:8
	s_wait_xcnt 0x0
	v_mad_nc_i64_i32 v[78:79], v12, 24, v[52:53]
	global_load_b32 v82, v[78:79], off offset:4
	s_wait_xcnt 0x0
	v_add_nc_u64_e32 v[78:79], v[78:79], v[2:3]
	s_clause 0x3
	global_load_b32 v83, v[78:79], off offset:8
	global_load_b32 v84, v[76:77], off offset:4
	;; [unrolled: 1-line block ×4, first 2 shown]
	s_wait_loadcnt 0x5
	s_wait_xcnt 0x2
	v_and_b32_e32 v76, 0xf0f0f0f, v81
	s_wait_loadcnt 0x4
	s_wait_xcnt 0x0
	v_ashrrev_i32_e32 v54, v2, v82
	s_wait_loadcnt 0x3
	v_and_b32_e32 v56, 0xf0f0f0f, v83
	s_delay_alu instid0(VALU_DEP_2) | instskip(NEXT) | instid1(VALU_DEP_1)
	v_lshlrev_b32_e32 v55, 4, v54
	v_dual_lshrrev_b32 v77, 12, v54 :: v_dual_bitop2_b32 v55, 16, v55 bitop3:0x40
	s_delay_alu instid0(VALU_DEP_1) | instskip(SKIP_1) | instid1(VALU_DEP_2)
	v_or_b32_e32 v55, v55, v56
	s_wait_loadcnt 0x2
	v_dual_ashrrev_i32 v56, v2, v84 :: v_dual_bitop2_b32 v77, 16, v77 bitop3:0x40
	s_delay_alu instid0(VALU_DEP_1) | instskip(NEXT) | instid1(VALU_DEP_1)
	v_dual_lshrrev_b32 v78, 12, v56 :: v_dual_lshlrev_b32 v57, 4, v56
	v_and_b32_e32 v78, 16, v78
	s_delay_alu instid0(VALU_DEP_2) | instskip(NEXT) | instid1(VALU_DEP_1)
	v_and_b32_e32 v57, 16, v57
	v_dual_lshrrev_b32 v76, 4, v83 :: v_dual_bitop2_b32 v57, v57, v76 bitop3:0x54
	s_delay_alu instid0(VALU_DEP_1) | instskip(NEXT) | instid1(VALU_DEP_1)
	v_and_b32_e32 v76, 0xf0f0f0f, v76
	v_dual_lshrrev_b32 v77, 4, v81 :: v_dual_bitop2_b32 v76, v77, v76 bitop3:0x54
	s_delay_alu instid0(VALU_DEP_1) | instskip(NEXT) | instid1(VALU_DEP_1)
	v_and_b32_e32 v77, 0xf0f0f0f, v77
	v_dual_lshlrev_b32 v78, 11, v54 :: v_dual_bitop2_b32 v77, v78, v77 bitop3:0x54
	s_delay_alu instid0(VALU_DEP_1) | instskip(NEXT) | instid1(VALU_DEP_1)
	v_and_b32_e32 v78, 0x1000, v78
	v_dual_lshlrev_b32 v78, 11, v56 :: v_dual_bitop2_b32 v55, v55, v78 bitop3:0x54
	s_delay_alu instid0(VALU_DEP_1) | instskip(NEXT) | instid1(VALU_DEP_1)
	v_and_b32_e32 v78, 0x1000, v78
	v_or_b32_e32 v57, v57, v78
	v_lshrrev_b32_e32 v78, 5, v54
	s_delay_alu instid0(VALU_DEP_1) | instskip(NEXT) | instid1(VALU_DEP_1)
	v_and_b32_e32 v78, 0x1000, v78
	v_dual_lshrrev_b32 v78, 5, v56 :: v_dual_bitop2_b32 v76, v76, v78 bitop3:0x54
	s_delay_alu instid0(VALU_DEP_1) | instskip(NEXT) | instid1(VALU_DEP_1)
	v_and_b32_e32 v78, 0x1000, v78
	v_or_b32_e32 v77, v77, v78
	v_lshlrev_b32_e32 v78, 18, v54
	s_delay_alu instid0(VALU_DEP_1) | instskip(NEXT) | instid1(VALU_DEP_1)
	v_and_b32_e32 v78, 0x100000, v78
	v_dual_lshlrev_b32 v78, 18, v56 :: v_dual_bitop2_b32 v55, v55, v78 bitop3:0x54
	s_delay_alu instid0(VALU_DEP_1) | instskip(NEXT) | instid1(VALU_DEP_1)
	v_and_b32_e32 v78, 0x100000, v78
	v_or_b32_e32 v57, v57, v78
	v_lshlrev_b32_e32 v78, 2, v54
	s_delay_alu instid0(VALU_DEP_1) | instskip(NEXT) | instid1(VALU_DEP_1)
	v_and_b32_e32 v78, 0x100000, v78
	v_dual_lshlrev_b32 v78, 2, v56 :: v_dual_bitop2_b32 v76, v76, v78 bitop3:0x54
	s_delay_alu instid0(VALU_DEP_1) | instskip(NEXT) | instid1(VALU_DEP_1)
	v_and_b32_e32 v78, 0x100000, v78
	v_or_b32_e32 v77, v77, v78
	v_dual_lshlrev_b32 v78, 25, v54 :: v_dual_lshlrev_b32 v54, 9, v54
	s_delay_alu instid0(VALU_DEP_1) | instskip(NEXT) | instid1(VALU_DEP_2)
	v_and_b32_e32 v78, 0x10000000, v78
	v_and_b32_e32 v54, 0x10000000, v54
	s_delay_alu instid0(VALU_DEP_2) | instskip(NEXT) | instid1(VALU_DEP_2)
	v_or_b32_e32 v55, v55, v78
	v_dual_lshlrev_b32 v78, 25, v56 :: v_dual_bitop2_b32 v54, v76, v54 bitop3:0x54
	s_wait_loadcnt 0x1
	v_dual_lshlrev_b32 v56, 9, v56 :: v_dual_ashrrev_i32 v76, v2, v85
	ds_store_2addr_b32 v13, v55, v54 offset1:1
	v_mad_nc_i64_i32 v[54:55], v26, 24, v[52:53]
	v_and_b32_e32 v78, 0x10000000, v78
	v_and_b32_e32 v56, 0x10000000, v56
	s_delay_alu instid0(VALU_DEP_2) | instskip(NEXT) | instid1(VALU_DEP_2)
	v_dual_lshrrev_b32 v79, 12, v76 :: v_dual_bitop2_b32 v57, v57, v78 bitop3:0x54
	v_or_b32_e32 v56, v77, v56
	v_and_b32_e32 v78, 0xf0f0f0f, v75
	s_wait_loadcnt 0x0
	s_delay_alu instid0(VALU_DEP_3)
	v_dual_ashrrev_i32 v77, v2, v86 :: v_dual_bitop2_b32 v79, 16, v79 bitop3:0x40
	v_lshrrev_b32_e32 v75, 4, v75
	ds_store_2addr_b32 v15, v57, v56 offset1:1
	v_add_nc_u64_e32 v[56:57], v[54:55], v[2:3]
	v_and_b32_e32 v75, 0xf0f0f0f, v75
	global_load_b32 v81, v[56:57], off offset:8
	s_wait_xcnt 0x0
	v_lshlrev_b32_e32 v56, 4, v76
	v_and_b32_e32 v57, 0xf0f0f0f, v80
	s_delay_alu instid0(VALU_DEP_2) | instskip(NEXT) | instid1(VALU_DEP_1)
	v_and_b32_e32 v56, 16, v56
	v_or_b32_e32 v56, v56, v57
	v_lshlrev_b32_e32 v57, 4, v77
	s_delay_alu instid0(VALU_DEP_1) | instskip(NEXT) | instid1(VALU_DEP_1)
	v_and_b32_e32 v57, 16, v57
	v_dual_lshrrev_b32 v78, 4, v80 :: v_dual_bitop2_b32 v57, v57, v78 bitop3:0x54
	s_delay_alu instid0(VALU_DEP_1) | instskip(NEXT) | instid1(VALU_DEP_1)
	v_and_b32_e32 v78, 0xf0f0f0f, v78
	v_dual_lshrrev_b32 v79, 12, v77 :: v_dual_bitop2_b32 v78, v79, v78 bitop3:0x54
	s_delay_alu instid0(VALU_DEP_1) | instskip(NEXT) | instid1(VALU_DEP_1)
	v_and_b32_e32 v79, 16, v79
	v_dual_lshlrev_b32 v79, 11, v76 :: v_dual_bitop2_b32 v75, v79, v75 bitop3:0x54
	s_delay_alu instid0(VALU_DEP_1) | instskip(NEXT) | instid1(VALU_DEP_1)
	v_and_b32_e32 v79, 0x1000, v79
	v_dual_lshlrev_b32 v79, 11, v77 :: v_dual_bitop2_b32 v56, v56, v79 bitop3:0x54
	s_delay_alu instid0(VALU_DEP_1) | instskip(NEXT) | instid1(VALU_DEP_1)
	v_and_b32_e32 v79, 0x1000, v79
	v_dual_lshrrev_b32 v79, 5, v76 :: v_dual_bitop2_b32 v57, v57, v79 bitop3:0x54
	s_delay_alu instid0(VALU_DEP_1) | instskip(NEXT) | instid1(VALU_DEP_1)
	v_and_b32_e32 v79, 0x1000, v79
	v_dual_lshrrev_b32 v79, 5, v77 :: v_dual_bitop2_b32 v78, v78, v79 bitop3:0x54
	s_delay_alu instid0(VALU_DEP_1) | instskip(NEXT) | instid1(VALU_DEP_1)
	v_and_b32_e32 v79, 0x1000, v79
	v_dual_lshlrev_b32 v79, 18, v76 :: v_dual_bitop2_b32 v75, v75, v79 bitop3:0x54
	s_delay_alu instid0(VALU_DEP_1) | instskip(NEXT) | instid1(VALU_DEP_1)
	v_and_b32_e32 v79, 0x100000, v79
	v_dual_lshlrev_b32 v79, 18, v77 :: v_dual_bitop2_b32 v56, v56, v79 bitop3:0x54
	;; [unrolled: 3-line block ×5, first 2 shown]
	v_lshlrev_b32_e32 v76, 9, v76
	s_delay_alu instid0(VALU_DEP_2) | instskip(NEXT) | instid1(VALU_DEP_2)
	v_and_b32_e32 v79, 0x10000000, v79
	v_and_b32_e32 v76, 0x10000000, v76
	s_delay_alu instid0(VALU_DEP_2) | instskip(NEXT) | instid1(VALU_DEP_2)
	v_or_b32_e32 v56, v56, v79
	v_dual_lshlrev_b32 v78, 25, v77 :: v_dual_bitop2_b32 v76, v78, v76 bitop3:0x54
	ds_store_2addr_b32 v17, v56, v76 offset1:1
	v_and_b32_e32 v78, 0x10000000, v78
	s_delay_alu instid0(VALU_DEP_1) | instskip(SKIP_1) | instid1(VALU_DEP_2)
	v_dual_lshlrev_b32 v76, 9, v77 :: v_dual_bitop2_b32 v78, v57, v78 bitop3:0x54
	v_mad_nc_i64_i32 v[56:57], v24, 24, v[52:53]
	v_and_b32_e32 v76, 0x10000000, v76
	s_delay_alu instid0(VALU_DEP_1) | instskip(NEXT) | instid1(VALU_DEP_3)
	v_or_b32_e32 v75, v75, v76
	v_add_nc_u64_e32 v[76:77], v[56:57], v[2:3]
	ds_store_2addr_b32 v19, v78, v75 offset1:1
	global_load_b32 v80, v[76:77], off offset:8
	s_wait_xcnt 0x0
	v_mad_nc_i64_i32 v[76:77], v22, 24, v[52:53]
	s_delay_alu instid0(VALU_DEP_1)
	v_add_nc_u64_e32 v[78:79], v[76:77], v[2:3]
	global_load_b32 v75, v[78:79], off offset:8
	s_wait_xcnt 0x0
	v_mad_nc_i64_i32 v[78:79], v20, 24, v[52:53]
	global_load_b32 v82, v[78:79], off offset:4
	s_wait_xcnt 0x0
	v_add_nc_u64_e32 v[78:79], v[78:79], v[2:3]
	s_clause 0x3
	global_load_b32 v83, v[78:79], off offset:8
	global_load_b32 v84, v[76:77], off offset:4
	;; [unrolled: 1-line block ×4, first 2 shown]
	s_wait_loadcnt 0x6
	s_wait_xcnt 0x3
	v_and_b32_e32 v78, 0xf0f0f0f, v80
	v_lshrrev_b32_e32 v80, 4, v80
	s_delay_alu instid0(VALU_DEP_1) | instskip(SKIP_4) | instid1(VALU_DEP_1)
	v_and_b32_e32 v80, 0xf0f0f0f, v80
	s_wait_loadcnt 0x5
	s_wait_xcnt 0x2
	v_and_b32_e32 v76, 0xf0f0f0f, v75
	v_lshrrev_b32_e32 v75, 4, v75
	v_and_b32_e32 v75, 0xf0f0f0f, v75
	s_wait_loadcnt 0x4
	s_wait_xcnt 0x0
	v_ashrrev_i32_e32 v54, v2, v82
	v_and_b32_e32 v82, 0xf0f0f0f, v81
	s_delay_alu instid0(VALU_DEP_2) | instskip(SKIP_2) | instid1(VALU_DEP_2)
	v_dual_lshrrev_b32 v81, 4, v81 :: v_dual_lshlrev_b32 v55, 4, v54
	s_wait_loadcnt 0x3
	v_and_b32_e32 v56, 0xf0f0f0f, v83
	v_and_b32_e32 v81, 0xf0f0f0f, v81
	s_delay_alu instid0(VALU_DEP_3) | instskip(NEXT) | instid1(VALU_DEP_1)
	v_and_b32_e32 v55, 16, v55
	v_or_b32_e32 v55, v55, v56
	s_wait_loadcnt 0x2
	v_ashrrev_i32_e32 v56, v2, v84
	s_delay_alu instid0(VALU_DEP_1) | instskip(NEXT) | instid1(VALU_DEP_1)
	v_lshlrev_b32_e32 v57, 4, v56
	v_and_b32_e32 v57, 16, v57
	s_wait_loadcnt 0x1
	s_delay_alu instid0(VALU_DEP_1) | instskip(NEXT) | instid1(VALU_DEP_1)
	v_dual_ashrrev_i32 v76, v2, v85 :: v_dual_bitop2_b32 v57, v57, v76 bitop3:0x54
	v_lshlrev_b32_e32 v77, 4, v76
	s_delay_alu instid0(VALU_DEP_1) | instskip(NEXT) | instid1(VALU_DEP_1)
	v_and_b32_e32 v77, 16, v77
	v_or_b32_e32 v77, v77, v78
	s_wait_loadcnt 0x0
	v_ashrrev_i32_e32 v78, v2, v86
	s_delay_alu instid0(VALU_DEP_1) | instskip(NEXT) | instid1(VALU_DEP_1)
	v_lshlrev_b32_e32 v79, 4, v78
	v_and_b32_e32 v79, 16, v79
	s_delay_alu instid0(VALU_DEP_1) | instskip(SKIP_1) | instid1(VALU_DEP_2)
	v_dual_lshrrev_b32 v82, 4, v83 :: v_dual_bitop2_b32 v79, v79, v82 bitop3:0x54
	v_lshrrev_b32_e32 v83, 12, v54
	v_and_b32_e32 v82, 0xf0f0f0f, v82
	s_delay_alu instid0(VALU_DEP_2) | instskip(NEXT) | instid1(VALU_DEP_1)
	v_and_b32_e32 v83, 16, v83
	v_dual_lshrrev_b32 v83, 12, v56 :: v_dual_bitop2_b32 v82, v83, v82 bitop3:0x54
	s_delay_alu instid0(VALU_DEP_1) | instskip(NEXT) | instid1(VALU_DEP_1)
	v_and_b32_e32 v83, 16, v83
	v_dual_lshrrev_b32 v83, 12, v76 :: v_dual_bitop2_b32 v75, v83, v75 bitop3:0x54
	s_delay_alu instid0(VALU_DEP_1) | instskip(NEXT) | instid1(VALU_DEP_1)
	;; [unrolled: 3-line block ×3, first 2 shown]
	v_and_b32_e32 v83, 16, v83
	v_dual_lshlrev_b32 v83, 11, v54 :: v_dual_bitop2_b32 v81, v83, v81 bitop3:0x54
	s_delay_alu instid0(VALU_DEP_1) | instskip(NEXT) | instid1(VALU_DEP_1)
	v_and_b32_e32 v83, 0x1000, v83
	v_dual_lshlrev_b32 v83, 11, v56 :: v_dual_bitop2_b32 v55, v55, v83 bitop3:0x54
	s_delay_alu instid0(VALU_DEP_1) | instskip(NEXT) | instid1(VALU_DEP_1)
	;; [unrolled: 3-line block ×4, first 2 shown]
	v_and_b32_e32 v83, 0x1000, v83
	v_dual_lshrrev_b32 v83, 5, v54 :: v_dual_bitop2_b32 v79, v79, v83 bitop3:0x54
	s_delay_alu instid0(VALU_DEP_1) | instskip(NEXT) | instid1(VALU_DEP_1)
	v_and_b32_e32 v83, 0x1000, v83
	v_dual_lshrrev_b32 v83, 5, v56 :: v_dual_bitop2_b32 v82, v82, v83 bitop3:0x54
	s_delay_alu instid0(VALU_DEP_1) | instskip(NEXT) | instid1(VALU_DEP_1)
	;; [unrolled: 3-line block ×4, first 2 shown]
	v_and_b32_e32 v83, 0x1000, v83
	v_dual_lshlrev_b32 v83, 18, v54 :: v_dual_bitop2_b32 v81, v81, v83 bitop3:0x54
	s_delay_alu instid0(VALU_DEP_1) | instskip(NEXT) | instid1(VALU_DEP_1)
	v_and_b32_e32 v83, 0x100000, v83
	v_dual_lshlrev_b32 v83, 18, v56 :: v_dual_bitop2_b32 v55, v55, v83 bitop3:0x54
	s_delay_alu instid0(VALU_DEP_1) | instskip(NEXT) | instid1(VALU_DEP_1)
	;; [unrolled: 3-line block ×8, first 2 shown]
	v_and_b32_e32 v83, 0x100000, v83
	v_dual_lshlrev_b32 v83, 25, v54 :: v_dual_bitop2_b32 v81, v81, v83 bitop3:0x54
	v_lshlrev_b32_e32 v54, 9, v54
	s_delay_alu instid0(VALU_DEP_2) | instskip(NEXT) | instid1(VALU_DEP_2)
	v_and_b32_e32 v83, 0x10000000, v83
	v_and_b32_e32 v54, 0x10000000, v54
	s_delay_alu instid0(VALU_DEP_2) | instskip(NEXT) | instid1(VALU_DEP_2)
	v_dual_lshlrev_b32 v83, 25, v56 :: v_dual_bitop2_b32 v55, v55, v83 bitop3:0x54
	v_dual_lshlrev_b32 v56, 9, v56 :: v_dual_bitop2_b32 v54, v82, v54 bitop3:0x54
	s_delay_alu instid0(VALU_DEP_2) | instskip(NEXT) | instid1(VALU_DEP_2)
	v_and_b32_e32 v83, 0x10000000, v83
	v_and_b32_e32 v56, 0x10000000, v56
	s_delay_alu instid0(VALU_DEP_2) | instskip(NEXT) | instid1(VALU_DEP_2)
	v_dual_lshlrev_b32 v83, 25, v76 :: v_dual_bitop2_b32 v57, v57, v83 bitop3:0x54
	v_or_b32_e32 v56, v75, v56
	v_dual_lshlrev_b32 v75, 9, v76 :: v_dual_lshlrev_b32 v76, 9, v78
	ds_store_2addr_b32 v21, v55, v54 offset1:1
	v_and_b32_e32 v83, 0x10000000, v83
	v_mad_nc_i64_i32 v[54:55], v32, 24, v[52:53]
	v_and_b32_e32 v75, 0x10000000, v75
	v_and_b32_e32 v76, 0x10000000, v76
	s_delay_alu instid0(VALU_DEP_4) | instskip(NEXT) | instid1(VALU_DEP_3)
	v_dual_lshlrev_b32 v83, 25, v78 :: v_dual_bitop2_b32 v77, v77, v83 bitop3:0x54
	v_or_b32_e32 v75, v80, v75
	s_delay_alu instid0(VALU_DEP_3)
	v_or_b32_e32 v78, v81, v76
	ds_store_2addr_b32 v23, v57, v56 offset1:1
	v_mad_nc_i64_i32 v[56:57], v34, 24, v[52:53]
	v_and_b32_e32 v83, 0x10000000, v83
	ds_store_2addr_b32 v25, v77, v75 offset1:1
	v_mad_nc_i64_i32 v[76:77], v30, 24, v[52:53]
	v_or_b32_e32 v79, v79, v83
	ds_store_2addr_b32 v27, v79, v78 offset1:1
	v_add_nc_u64_e32 v[78:79], v[54:55], v[2:3]
	s_clause 0x1
	global_load_b32 v75, v[78:79], off offset:8
	global_load_b32 v80, v[56:57], off offset:4
	s_wait_xcnt 0x1
	v_add_nc_u64_e32 v[78:79], v[76:77], v[2:3]
	global_load_b32 v81, v[78:79], off offset:8
	s_wait_xcnt 0x0
	v_mad_nc_i64_i32 v[78:79], v28, 24, v[52:53]
	global_load_b32 v82, v[78:79], off offset:4
	s_wait_xcnt 0x0
	v_add_nc_u64_e32 v[78:79], v[78:79], v[2:3]
	s_clause 0x2
	global_load_b32 v83, v[78:79], off offset:8
	global_load_b32 v84, v[76:77], off offset:4
	;; [unrolled: 1-line block ×3, first 2 shown]
	s_wait_xcnt 0x0
	v_add_nc_u64_e32 v[54:55], v[56:57], v[2:3]
	global_load_b32 v86, v[54:55], off offset:8
	s_wait_loadcnt 0x7
	v_and_b32_e32 v78, 0xf0f0f0f, v75
	v_lshrrev_b32_e32 v75, 4, v75
	s_delay_alu instid0(VALU_DEP_1)
	v_and_b32_e32 v75, 0xf0f0f0f, v75
	s_wait_loadcnt 0x5
	v_and_b32_e32 v76, 0xf0f0f0f, v81
	s_wait_loadcnt 0x4
	s_wait_xcnt 0x0
	v_ashrrev_i32_e32 v54, v2, v82
	s_delay_alu instid0(VALU_DEP_1) | instskip(SKIP_2) | instid1(VALU_DEP_2)
	v_lshlrev_b32_e32 v55, 4, v54
	s_wait_loadcnt 0x3
	v_and_b32_e32 v56, 0xf0f0f0f, v83
	v_dual_lshrrev_b32 v79, 12, v54 :: v_dual_bitop2_b32 v55, 16, v55 bitop3:0x40
	s_delay_alu instid0(VALU_DEP_1) | instskip(SKIP_2) | instid1(VALU_DEP_1)
	v_or_b32_e32 v55, v55, v56
	s_wait_loadcnt 0x2
	v_ashrrev_i32_e32 v56, v2, v84
	v_lshlrev_b32_e32 v57, 4, v56
	s_delay_alu instid0(VALU_DEP_1) | instskip(SKIP_1) | instid1(VALU_DEP_1)
	v_and_b32_e32 v57, 16, v57
	s_wait_loadcnt 0x1
	v_dual_ashrrev_i32 v76, v2, v85 :: v_dual_bitop2_b32 v57, v57, v76 bitop3:0x54
	s_delay_alu instid0(VALU_DEP_1) | instskip(NEXT) | instid1(VALU_DEP_1)
	v_dual_lshlrev_b32 v77, 4, v76 :: v_dual_bitop2_b32 v79, 16, v79 bitop3:0x40
	v_and_b32_e32 v77, 16, v77
	s_delay_alu instid0(VALU_DEP_1) | instskip(NEXT) | instid1(VALU_DEP_1)
	v_dual_lshrrev_b32 v78, 4, v83 :: v_dual_bitop2_b32 v77, v77, v78 bitop3:0x54
	v_and_b32_e32 v78, 0xf0f0f0f, v78
	s_delay_alu instid0(VALU_DEP_1) | instskip(SKIP_1) | instid1(VALU_DEP_2)
	v_dual_lshrrev_b32 v79, 4, v81 :: v_dual_bitop2_b32 v78, v79, v78 bitop3:0x54
	v_lshrrev_b32_e32 v81, 12, v56
	v_and_b32_e32 v79, 0xf0f0f0f, v79
	s_delay_alu instid0(VALU_DEP_2) | instskip(NEXT) | instid1(VALU_DEP_1)
	v_and_b32_e32 v81, 16, v81
	v_dual_lshrrev_b32 v81, 12, v76 :: v_dual_bitop2_b32 v79, v81, v79 bitop3:0x54
	s_delay_alu instid0(VALU_DEP_1) | instskip(NEXT) | instid1(VALU_DEP_1)
	v_and_b32_e32 v81, 16, v81
	v_dual_lshlrev_b32 v81, 11, v54 :: v_dual_bitop2_b32 v75, v81, v75 bitop3:0x54
	s_delay_alu instid0(VALU_DEP_1) | instskip(NEXT) | instid1(VALU_DEP_1)
	v_and_b32_e32 v81, 0x1000, v81
	v_dual_lshlrev_b32 v81, 11, v56 :: v_dual_bitop2_b32 v55, v55, v81 bitop3:0x54
	;; [unrolled: 3-line block ×3, first 2 shown]
	s_delay_alu instid0(VALU_DEP_1) | instskip(NEXT) | instid1(VALU_DEP_1)
	v_and_b32_e32 v81, 0x1000, v81
	v_dual_lshrrev_b32 v81, 5, v54 :: v_dual_bitop2_b32 v77, v77, v81 bitop3:0x54
	s_delay_alu instid0(VALU_DEP_1) | instskip(NEXT) | instid1(VALU_DEP_1)
	v_and_b32_e32 v81, 0x1000, v81
	v_dual_lshrrev_b32 v81, 5, v56 :: v_dual_bitop2_b32 v78, v78, v81 bitop3:0x54
	;; [unrolled: 3-line block ×3, first 2 shown]
	s_delay_alu instid0(VALU_DEP_1) | instskip(NEXT) | instid1(VALU_DEP_1)
	v_and_b32_e32 v81, 0x1000, v81
	v_dual_lshlrev_b32 v81, 18, v54 :: v_dual_bitop2_b32 v75, v75, v81 bitop3:0x54
	s_delay_alu instid0(VALU_DEP_1) | instskip(NEXT) | instid1(VALU_DEP_1)
	v_and_b32_e32 v81, 0x100000, v81
	v_dual_lshlrev_b32 v81, 18, v56 :: v_dual_bitop2_b32 v55, v55, v81 bitop3:0x54
	;; [unrolled: 3-line block ×7, first 2 shown]
	v_lshlrev_b32_e32 v54, 9, v54
	s_delay_alu instid0(VALU_DEP_2) | instskip(NEXT) | instid1(VALU_DEP_2)
	v_and_b32_e32 v81, 0x10000000, v81
	v_and_b32_e32 v54, 0x10000000, v54
	s_delay_alu instid0(VALU_DEP_2) | instskip(NEXT) | instid1(VALU_DEP_2)
	v_dual_lshlrev_b32 v81, 25, v56 :: v_dual_bitop2_b32 v55, v55, v81 bitop3:0x54
	v_dual_lshlrev_b32 v56, 9, v56 :: v_dual_bitop2_b32 v54, v78, v54 bitop3:0x54
	s_delay_alu instid0(VALU_DEP_2) | instskip(NEXT) | instid1(VALU_DEP_2)
	v_and_b32_e32 v81, 0x10000000, v81
	v_and_b32_e32 v56, 0x10000000, v56
	s_delay_alu instid0(VALU_DEP_2)
	v_dual_lshlrev_b32 v81, 25, v76 :: v_dual_bitop2_b32 v57, v57, v81 bitop3:0x54
	v_lshlrev_b32_e32 v76, 9, v76
	ds_store_2addr_b32 v31, v55, v54 offset1:1
	v_mad_nc_i64_i32 v[54:55], v42, 24, v[52:53]
	v_or_b32_e32 v56, v79, v56
	v_and_b32_e32 v81, 0x10000000, v81
	v_and_b32_e32 v76, 0x10000000, v76
	ds_store_2addr_b32 v33, v57, v56 offset1:1
	v_or_b32_e32 v77, v77, v81
	v_or_b32_e32 v75, v75, v76
	v_mad_nc_i64_i32 v[56:57], v40, 24, v[52:53]
	ds_store_2addr_b32 v35, v77, v75 offset1:1
	v_add_nc_u64_e32 v[76:77], v[54:55], v[2:3]
	global_load_b32 v75, v[76:77], off offset:8
	s_wait_xcnt 0x0
	v_add_nc_u64_e32 v[76:77], v[56:57], v[2:3]
	global_load_b32 v81, v[76:77], off offset:8
	s_wait_xcnt 0x0
	v_mad_nc_i64_i32 v[76:77], v38, 24, v[52:53]
	v_mad_nc_i64_i32 v[52:53], v36, 24, v[52:53]
	s_delay_alu instid0(VALU_DEP_2)
	v_add_nc_u64_e32 v[78:79], v[76:77], v[2:3]
	s_clause 0x1
	global_load_b32 v78, v[78:79], off offset:8
	global_load_b32 v79, v[52:53], off offset:4
	s_wait_xcnt 0x0
	v_add_nc_u64_e32 v[52:53], v[52:53], v[2:3]
	s_clause 0x3
	global_load_b32 v82, v[52:53], off offset:8
	global_load_b32 v83, v[76:77], off offset:4
	;; [unrolled: 1-line block ×4, first 2 shown]
	s_wait_loadcnt 0x8
	s_wait_xcnt 0x3
	v_dual_ashrrev_i32 v52, v2, v80 :: v_dual_lshrrev_b32 v53, 4, v86
	s_wait_xcnt 0x1
	s_delay_alu instid0(VALU_DEP_1) | instskip(NEXT) | instid1(VALU_DEP_2)
	v_dual_lshlrev_b32 v55, 4, v52 :: v_dual_lshrrev_b32 v54, 12, v52
	v_and_b32_e32 v53, 0xf0f0f0f, v53
	s_delay_alu instid0(VALU_DEP_2) | instskip(NEXT) | instid1(VALU_DEP_3)
	v_and_b32_e32 v55, 16, v55
	v_and_b32_e32 v54, 16, v54
	s_delay_alu instid0(VALU_DEP_1) | instskip(SKIP_1) | instid1(VALU_DEP_1)
	v_or_b32_e32 v53, v54, v53
	v_and_b32_e32 v54, 0xf0f0f0f, v86
	v_dual_lshrrev_b32 v55, 5, v52 :: v_dual_bitop2_b32 v54, v55, v54 bitop3:0x54
	s_delay_alu instid0(VALU_DEP_1) | instskip(NEXT) | instid1(VALU_DEP_1)
	v_and_b32_e32 v55, 0x1000, v55
	v_dual_lshlrev_b32 v55, 11, v52 :: v_dual_bitop2_b32 v53, v53, v55 bitop3:0x54
	s_delay_alu instid0(VALU_DEP_1) | instskip(NEXT) | instid1(VALU_DEP_1)
	v_and_b32_e32 v55, 0x1000, v55
	v_dual_lshlrev_b32 v55, 2, v52 :: v_dual_bitop2_b32 v54, v54, v55 bitop3:0x54
	;; [unrolled: 3-line block ×4, first 2 shown]
	v_lshlrev_b32_e32 v52, 25, v52
	s_delay_alu instid0(VALU_DEP_2) | instskip(NEXT) | instid1(VALU_DEP_2)
	v_and_b32_e32 v55, 0x10000000, v55
	v_and_b32_e32 v52, 0x10000000, v52
	s_wait_loadcnt 0x3
	s_wait_xcnt 0x0
	s_delay_alu instid0(VALU_DEP_2) | instskip(SKIP_1) | instid1(VALU_DEP_2)
	v_dual_lshrrev_b32 v56, 4, v82 :: v_dual_bitop2_b32 v53, v53, v55 bitop3:0x54
	v_ashrrev_i32_e32 v55, v2, v79
	v_and_b32_e32 v56, 0xf0f0f0f, v56
	s_delay_alu instid0(VALU_DEP_2) | instskip(SKIP_1) | instid1(VALU_DEP_2)
	v_dual_lshrrev_b32 v57, 12, v55 :: v_dual_lshlrev_b32 v76, 4, v55
	v_dual_lshlrev_b32 v54, 11, v55 :: v_dual_bitop2_b32 v52, v54, v52 bitop3:0x54
	v_and_b32_e32 v57, 16, v57
	s_delay_alu instid0(VALU_DEP_3) | instskip(NEXT) | instid1(VALU_DEP_3)
	v_and_b32_e32 v76, 16, v76
	v_and_b32_e32 v54, 0x1000, v54
	s_delay_alu instid0(VALU_DEP_3) | instskip(SKIP_1) | instid1(VALU_DEP_1)
	v_or_b32_e32 v56, v57, v56
	v_and_b32_e32 v57, 0xf0f0f0f, v82
	v_dual_lshrrev_b32 v76, 5, v55 :: v_dual_bitop2_b32 v57, v76, v57 bitop3:0x54
	s_delay_alu instid0(VALU_DEP_1) | instskip(NEXT) | instid1(VALU_DEP_2)
	v_or_b32_e32 v54, v57, v54
	v_and_b32_e32 v76, 0x1000, v76
	s_delay_alu instid0(VALU_DEP_1) | instskip(NEXT) | instid1(VALU_DEP_1)
	v_dual_lshlrev_b32 v57, 2, v55 :: v_dual_bitop2_b32 v56, v56, v76 bitop3:0x54
	v_and_b32_e32 v57, 0x100000, v57
	s_delay_alu instid0(VALU_DEP_1) | instskip(NEXT) | instid1(VALU_DEP_1)
	v_dual_lshlrev_b32 v57, 18, v55 :: v_dual_bitop2_b32 v56, v56, v57 bitop3:0x54
	v_and_b32_e32 v57, 0x100000, v57
	s_delay_alu instid0(VALU_DEP_1)
	v_dual_lshlrev_b32 v57, 9, v55 :: v_dual_bitop2_b32 v54, v54, v57 bitop3:0x54
	v_lshlrev_b32_e32 v55, 25, v55
	ds_store_2addr_b32 v37, v52, v53 offset1:1
	v_mad_nc_u64_u32 v[52:53], v4, 24, s[18:19]
	s_lshl_b32 s18, s14, 5
	v_and_b32_e32 v57, 0x10000000, v57
	v_and_b32_e32 v55, 0x10000000, v55
	s_cmp_lt_i32 s18, s5
	s_delay_alu instid0(VALU_DEP_2) | instskip(NEXT) | instid1(VALU_DEP_2)
	v_or_b32_e32 v56, v56, v57
	v_or_b32_e32 v54, v54, v55
	ds_store_2addr_b32 v39, v54, v56 offset1:1
	v_mad_nc_i64_i32 v[54:55], v44, 24, v[52:53]
	global_load_b32 v56, v[54:55], off
	s_wait_xcnt 0x0
	v_mad_nc_i64_i32 v[54:55], v46, 24, v[52:53]
	global_load_b32 v57, v[54:55], off
	s_wait_xcnt 0x0
	v_mad_nc_i64_i32 v[54:55], v48, 24, v[52:53]
	v_mad_nc_i64_i32 v[52:53], v50, 24, v[52:53]
	s_clause 0x1
	global_load_b32 v54, v[54:55], off
	global_load_b32 v52, v[52:53], off
	s_wait_loadcnt 0x6
	s_wait_xcnt 0x0
	v_dual_ashrrev_i32 v53, v2, v83 :: v_dual_lshrrev_b32 v55, 4, v78
	s_delay_alu instid0(VALU_DEP_1) | instskip(NEXT) | instid1(VALU_DEP_2)
	v_lshrrev_b32_e32 v76, 12, v53
	v_and_b32_e32 v55, 0xf0f0f0f, v55
	s_delay_alu instid0(VALU_DEP_2) | instskip(NEXT) | instid1(VALU_DEP_1)
	v_dual_lshlrev_b32 v77, 4, v53 :: v_dual_bitop2_b32 v76, 16, v76 bitop3:0x40
	v_and_b32_e32 v77, 16, v77
	s_delay_alu instid0(VALU_DEP_2) | instskip(SKIP_1) | instid1(VALU_DEP_1)
	v_or_b32_e32 v55, v76, v55
	v_and_b32_e32 v76, 0xf0f0f0f, v78
	v_dual_lshrrev_b32 v78, 4, v81 :: v_dual_bitop2_b32 v76, v77, v76 bitop3:0x54
	v_lshrrev_b32_e32 v77, 5, v53
	s_delay_alu instid0(VALU_DEP_2) | instskip(NEXT) | instid1(VALU_DEP_2)
	v_and_b32_e32 v78, 0xf0f0f0f, v78
	v_and_b32_e32 v77, 0x1000, v77
	s_delay_alu instid0(VALU_DEP_1) | instskip(SKIP_1) | instid1(VALU_DEP_1)
	v_or_b32_e32 v55, v55, v77
	v_lshlrev_b32_e32 v77, 11, v53
	v_and_b32_e32 v77, 0x1000, v77
	s_delay_alu instid0(VALU_DEP_1) | instskip(SKIP_1) | instid1(VALU_DEP_1)
	v_or_b32_e32 v76, v76, v77
	v_lshlrev_b32_e32 v77, 2, v53
	;; [unrolled: 4-line block ×3, first 2 shown]
	v_and_b32_e32 v77, 0x100000, v77
	s_delay_alu instid0(VALU_DEP_1) | instskip(SKIP_1) | instid1(VALU_DEP_1)
	v_or_b32_e32 v76, v76, v77
	v_dual_lshlrev_b32 v77, 9, v53 :: v_dual_lshlrev_b32 v53, 25, v53
	v_and_b32_e32 v77, 0x10000000, v77
	s_delay_alu instid0(VALU_DEP_2) | instskip(NEXT) | instid1(VALU_DEP_2)
	v_and_b32_e32 v53, 0x10000000, v53
	v_or_b32_e32 v55, v55, v77
	s_wait_loadcnt 0x4
	v_ashrrev_i32_e32 v77, v2, v85
	s_delay_alu instid0(VALU_DEP_1) | instskip(NEXT) | instid1(VALU_DEP_1)
	v_dual_lshrrev_b32 v79, 12, v77 :: v_dual_lshlrev_b32 v80, 4, v77
	v_and_b32_e32 v79, 16, v79
	s_delay_alu instid0(VALU_DEP_2) | instskip(NEXT) | instid1(VALU_DEP_2)
	v_and_b32_e32 v80, 16, v80
	v_or_b32_e32 v78, v79, v78
	v_and_b32_e32 v79, 0xf0f0f0f, v81
	v_lshrrev_b32_e32 v81, 4, v75
	v_and_b32_e32 v75, 0xf0f0f0f, v75
	s_delay_alu instid0(VALU_DEP_3) | instskip(NEXT) | instid1(VALU_DEP_3)
	v_dual_lshrrev_b32 v80, 5, v77 :: v_dual_bitop2_b32 v79, v80, v79 bitop3:0x54
	v_and_b32_e32 v81, 0xf0f0f0f, v81
	s_delay_alu instid0(VALU_DEP_2) | instskip(NEXT) | instid1(VALU_DEP_1)
	v_and_b32_e32 v80, 0x1000, v80
	v_dual_lshlrev_b32 v80, 11, v77 :: v_dual_bitop2_b32 v78, v78, v80 bitop3:0x54
	s_delay_alu instid0(VALU_DEP_1) | instskip(NEXT) | instid1(VALU_DEP_1)
	v_and_b32_e32 v80, 0x1000, v80
	v_dual_lshlrev_b32 v80, 2, v77 :: v_dual_bitop2_b32 v79, v79, v80 bitop3:0x54
	s_delay_alu instid0(VALU_DEP_1) | instskip(NEXT) | instid1(VALU_DEP_1)
	;; [unrolled: 3-line block ×3, first 2 shown]
	v_and_b32_e32 v80, 0x100000, v80
	v_or_b32_e32 v79, v79, v80
	v_dual_ashrrev_i32 v80, v2, v84 :: v_dual_bitop2_b32 v53, v76, v53 bitop3:0x54
	v_dual_lshlrev_b32 v76, 9, v77 :: v_dual_lshlrev_b32 v77, 25, v77
	s_delay_alu instid0(VALU_DEP_2) | instskip(NEXT) | instid1(VALU_DEP_2)
	v_lshrrev_b32_e32 v82, 12, v80
	v_and_b32_e32 v76, 0x10000000, v76
	s_delay_alu instid0(VALU_DEP_3) | instskip(NEXT) | instid1(VALU_DEP_3)
	v_and_b32_e32 v77, 0x10000000, v77
	v_and_b32_e32 v82, 16, v82
	s_delay_alu instid0(VALU_DEP_3) | instskip(NEXT) | instid1(VALU_DEP_2)
	v_or_b32_e32 v76, v78, v76
	v_dual_lshlrev_b32 v78, 9, v80 :: v_dual_bitop2_b32 v81, v82, v81 bitop3:0x54
	s_delay_alu instid0(VALU_DEP_4) | instskip(SKIP_1) | instid1(VALU_DEP_3)
	v_dual_lshlrev_b32 v82, 4, v80 :: v_dual_bitop2_b32 v77, v79, v77 bitop3:0x54
	v_lshlrev_b32_e32 v79, 25, v80
	v_and_b32_e32 v78, 0x10000000, v78
	s_delay_alu instid0(VALU_DEP_3) | instskip(NEXT) | instid1(VALU_DEP_3)
	v_and_b32_e32 v82, 16, v82
	v_and_b32_e32 v79, 0x10000000, v79
	s_delay_alu instid0(VALU_DEP_2) | instskip(NEXT) | instid1(VALU_DEP_1)
	v_dual_lshrrev_b32 v82, 5, v80 :: v_dual_bitop2_b32 v75, v82, v75 bitop3:0x54
	v_and_b32_e32 v82, 0x1000, v82
	s_delay_alu instid0(VALU_DEP_1) | instskip(NEXT) | instid1(VALU_DEP_1)
	v_dual_lshlrev_b32 v82, 11, v80 :: v_dual_bitop2_b32 v81, v81, v82 bitop3:0x54
	v_and_b32_e32 v82, 0x1000, v82
	s_delay_alu instid0(VALU_DEP_1) | instskip(NEXT) | instid1(VALU_DEP_1)
	v_dual_lshlrev_b32 v82, 2, v80 :: v_dual_bitop2_b32 v75, v75, v82 bitop3:0x54
	;; [unrolled: 3-line block ×3, first 2 shown]
	v_or_b32_e32 v78, v81, v78
	s_delay_alu instid0(VALU_DEP_2) | instskip(NEXT) | instid1(VALU_DEP_1)
	v_and_b32_e32 v82, 0x100000, v82
	v_or_b32_e32 v75, v75, v82
	s_delay_alu instid0(VALU_DEP_1)
	v_or_b32_e32 v75, v75, v79
	ds_store_2addr_b32 v41, v53, v55 offset1:1
	ds_store_2addr_b32 v43, v77, v76 offset1:1
	;; [unrolled: 1-line block ×3, first 2 shown]
	s_wait_loadcnt 0x3
	ds_store_b32 v47, v56
	s_wait_loadcnt 0x2
	ds_store_b32 v49, v57
	;; [unrolled: 2-line block ×4, first 2 shown]
	s_cbranch_scc0 .LBB224_4
; %bb.6:                                ;   in Loop: Header=BB224_5 Depth=1
	v_add_nc_u32_e32 v52, s14, v29
	s_delay_alu instid0(VALU_DEP_1) | instskip(SKIP_1) | instid1(SALU_CYCLE_1)
	v_cmp_gt_i32_e64 s1, s6, v52
	s_and_b32 s19, s0, s1
	s_and_saveexec_b32 s1, s19
	s_cbranch_execz .LBB224_8
; %bb.7:                                ;   in Loop: Header=BB224_5 Depth=1
	v_add_nc_u32_e32 v52, v8, v52
	s_delay_alu instid0(VALU_DEP_1)
	v_mad_nc_i64_i32 v[52:53], v52, 36, v[10:11]
	global_load_b32 v52, v[52:53], off offset:4
	s_wait_loadcnt 0x0
	ds_store_b32 v61, v52
.LBB224_8:                              ;   in Loop: Header=BB224_5 Depth=1
	s_or_b32 exec_lo, exec_lo, s1
	v_add_nc_u32_e32 v52, s14, v5
	s_delay_alu instid0(VALU_DEP_1) | instskip(SKIP_1) | instid1(SALU_CYCLE_1)
	v_cmp_gt_i32_e64 s1, s6, v52
	s_and_b32 s19, s8, s1
	s_and_saveexec_b32 s1, s19
	s_cbranch_execz .LBB224_10
; %bb.9:                                ;   in Loop: Header=BB224_5 Depth=1
	v_add_nc_u32_e32 v53, v8, v52
	s_delay_alu instid0(VALU_DEP_1)
	v_mad_nc_i64_i32 v[54:55], v53, 36, s[2:3]
	global_load_b32 v53, v[54:55], off
	s_wait_loadcnt 0x0
	ds_store_b32 v62, v53
.LBB224_10:                             ;   in Loop: Header=BB224_5 Depth=1
	s_or_b32 exec_lo, exec_lo, s1
	v_dual_mov_b32 v53, v59 :: v_dual_mov_b32 v55, v60
	v_mul_u32_u24_e32 v54, 0x104, v5
	v_dual_mov_b32 v56, v71 :: v_dual_mov_b32 v57, v69
	v_dual_mov_b32 v75, v67 :: v_dual_mov_b32 v76, v65
	s_mov_b32 s1, -4
	s_wait_dscnt 0x0
	s_barrier_signal -1
	s_barrier_wait -1
.LBB224_11:                             ;   Parent Loop BB224_5 Depth=1
                                        ; =>  This Inner Loop Header: Depth=2
	ds_load_2addr_b32 v[78:79], v53 offset0:3 offset1:4
	ds_load_2addr_b32 v[80:81], v53 offset0:5 offset1:6
	ds_load_2addr_b32 v[82:83], v54 offset1:1
	ds_load_2addr_b32 v[84:85], v53 offset0:1 offset1:2
	ds_load_2addr_b32 v[86:87], v53 offset1:7
	v_add_nc_u32_e32 v77, 0x2080, v54
	v_add_nc_u32_e32 v96, 0x2088, v54
	;; [unrolled: 1-line block ×4, first 2 shown]
	ds_load_b32 v118, v56
	ds_load_b32 v119, v57
	;; [unrolled: 1-line block ×4, first 2 shown]
	v_add_nc_u32_e32 v102, 0x4100, v54
	v_add_nc_u32_e32 v104, 0x4108, v54
	;; [unrolled: 1-line block ×8, first 2 shown]
	ds_load_b32 v122, v55
	ds_load_2addr_b32 v[88:89], v54 offset0:2 offset1:3
	ds_load_2addr_b32 v[90:91], v54 offset0:4 offset1:5
	ds_load_2addr_b32 v[92:93], v54 offset0:6 offset1:7
	ds_load_2addr_b32 v[94:95], v77 offset1:1
	ds_load_2addr_b32 v[96:97], v96 offset1:1
	;; [unrolled: 1-line block ×12, first 2 shown]
	s_wait_dscnt 0x18
	v_dual_add_nc_u32 v57, 4, v57 :: v_dual_lshlrev_b32 v77, 8, v79
	v_dual_lshlrev_b32 v127, 8, v78 :: v_dual_lshlrev_b32 v129, 24, v79
	v_lshlrev_b32_e32 v130, 16, v79
	s_wait_dscnt 0x14
	v_dual_lshlrev_b32 v128, 8, v87 :: v_dual_lshlrev_b32 v131, 24, v84
	v_lshlrev_b32_e32 v132, 16, v84
	v_dual_lshlrev_b32 v133, 24, v80 :: v_dual_lshlrev_b32 v134, 16, v80
	v_dual_lshlrev_b32 v141, 24, v87 :: v_dual_lshlrev_b32 v142, 16, v87
	;; [unrolled: 1-line block ×4, first 2 shown]
	s_wait_dscnt 0xf
	v_pk_mul_f16 v118, v122, v118
	v_pk_mul_f16 v119, v122, v119
	;; [unrolled: 1-line block ×3, first 2 shown]
	v_dot4_i32_iu8 v82, v86, v82, 0 neg_lo:[1,1,0]
	v_dual_lshlrev_b32 v135, 24, v85 :: v_dual_lshlrev_b32 v136, 16, v85
	v_dual_lshlrev_b32 v137, 24, v81 :: v_dual_lshlrev_b32 v138, 16, v81
	v_dual_lshlrev_b32 v139, 24, v78 :: v_dual_lshlrev_b32 v140, 16, v78
	v_perm_b32 v144, v81, v85, 0xc0c0703
	v_perm_b32 v145, v87, v78, 0x7030c0c
	v_pk_mul_f16 v121, v122, v121
	s_wait_dscnt 0xb
	v_dot4_i32_iu8 v94, v86, v94, 0 neg_lo:[1,1,0]
	s_wait_dscnt 0x7
	v_dot4_i32_iu8 v102, v86, v102, 0 neg_lo:[1,1,0]
	v_perm_b32 v122, v130, v129, 0xc0c0703
	v_perm_b32 v146, v79, v77, 0x7030c0c
	;; [unrolled: 1-line block ×6, first 2 shown]
	s_wait_dscnt 0x3
	v_perm_b32 v134, v86, v111, 0xc0c0501
	v_perm_b32 v153, v86, v111, 0xc0c0703
	;; [unrolled: 1-line block ×9, first 2 shown]
	s_wait_dscnt 0x2
	v_perm_b32 v110, v113, v112, 0x5010c0c
	v_perm_b32 v143, v80, v84, 0x7030c0c
	;; [unrolled: 1-line block ×15, first 2 shown]
	s_wait_dscnt 0x1
	v_perm_b32 v113, v115, v114, 0xc0c0602
	s_wait_dscnt 0x0
	v_perm_b32 v124, v117, v116, 0x6020c0c
	v_perm_b32 v125, v126, v125, 0xc0c0703
	;; [unrolled: 1-line block ×7, first 2 shown]
	v_or_b32_e32 v139, v145, v144
	v_perm_b32 v141, v115, v114, 0xc0c0703
	v_perm_b32 v144, v117, v116, 0x7030c0c
	;; [unrolled: 1-line block ×6, first 2 shown]
	v_cvt_f32_f16_e32 v78, v120
	v_dual_lshrrev_b32 v120, 16, v120 :: v_dual_bitop2_b32 v122, v146, v122 bitop3:0x54
	v_or_b32_e32 v87, v87, v111
	v_or_b32_e32 v111, v132, v130
	;; [unrolled: 1-line block ×6, first 2 shown]
	v_dot4_i32_iu8 v82, v122, v83, v82 neg_lo:[1,1,0]
	v_dot4_i32_iu8 v83, v122, v95, v94 neg_lo:[1,1,0]
	;; [unrolled: 1-line block ×3, first 2 shown]
	v_or_b32_e32 v95, v117, v116
	v_dot4_i32_iu8 v102, v111, v110, 0 neg_lo:[1,1,0]
	v_dot4_i32_iu8 v77, v77, v86, 0 neg_lo:[1,1,0]
	v_dual_add_nc_u32 v55, 4, v55 :: v_dual_bitop2_b32 v80, v80, v148 bitop3:0x54
	v_dual_add_nc_u32 v56, 4, v56 :: v_dual_bitop2_b32 v85, v85, v149 bitop3:0x54
	s_delay_alu instid0(VALU_DEP_4) | instskip(SKIP_4) | instid1(VALU_DEP_4)
	v_dot4_i32_iu8 v86, v95, v114, v102 neg_lo:[1,1,0]
	v_or_b32_e32 v84, v84, v147
	v_or_b32_e32 v130, v156, v153
	v_or_b32_e32 v132, v143, v154
	v_dual_add_nc_u32 v53, 32, v53 :: v_dual_bitop2_b32 v81, v81, v150 bitop3:0x54
	v_dot4_i32_iu8 v82, v84, v88, v82 neg_lo:[1,1,0]
	v_dot4_i32_iu8 v83, v84, v96, v83 neg_lo:[1,1,0]
	;; [unrolled: 1-line block ×3, first 2 shown]
	v_or_b32_e32 v129, v131, v129
	v_or_b32_e32 v131, v133, v155
	v_dot4_i32_iu8 v82, v80, v89, v82 neg_lo:[1,1,0]
	v_dot4_i32_iu8 v83, v80, v97, v83 neg_lo:[1,1,0]
	;; [unrolled: 1-line block ×3, first 2 shown]
	v_or_b32_e32 v112, v124, v113
	v_or_b32_e32 v113, v126, v125
	;; [unrolled: 1-line block ×3, first 2 shown]
	v_dot4_i32_iu8 v88, v132, v130, 0 neg_lo:[1,1,0]
	v_dot4_i32_iu8 v82, v85, v90, v82 neg_lo:[1,1,0]
	;; [unrolled: 1-line block ×4, first 2 shown]
	v_cvt_f32_f16_e32 v79, v121
	v_dual_lshrrev_b32 v121, 16, v121 :: v_dual_bitop2_b32 v136, v152, v151 bitop3:0x54
	v_dual_add_nc_u32 v54, 32, v54 :: v_dual_bitop2_b32 v123, v128, v127 bitop3:0x54
	v_or_b32_e32 v124, v137, v135
	v_dot4_i32_iu8 v84, v129, v131, 0 neg_lo:[1,1,0]
	v_dot4_i32_iu8 v85, v139, v125, v88 neg_lo:[1,1,0]
	;; [unrolled: 1-line block ×7, first 2 shown]
	v_add_nc_u32_e32 v85, v86, v85
	v_dot4_i32_iu8 v82, v136, v92, v82 neg_lo:[1,1,0]
	v_dot4_i32_iu8 v83, v136, v100, v83 neg_lo:[1,1,0]
	;; [unrolled: 1-line block ×3, first 2 shown]
	v_cvt_f32_f16_e32 v81, v121
	v_add3_u32 v77, v84, v77, v85
	v_dot4_i32_iu8 v82, v87, v93, v82 neg_lo:[1,1,0]
	v_dot4_i32_iu8 v84, v87, v101, v83 neg_lo:[1,1,0]
	v_dot4_i32_iu8 v85, v87, v109, v80 neg_lo:[1,1,0]
	v_cvt_f32_f16_e32 v80, v120
	v_cvt_f32_i32_e32 v83, v77
	v_cvt_f32_i32_e32 v77, v82
	;; [unrolled: 1-line block ×4, first 2 shown]
	v_dual_add_nc_u32 v76, 4, v76 :: v_dual_add_nc_u32 v75, 4, v75
	s_delay_alu instid0(VALU_DEP_4) | instskip(NEXT) | instid1(VALU_DEP_4)
	v_fma_mix_f32 v77, v118, v77, v118 op_sel:[0,0,1] op_sel_hi:[1,0,1]
	v_fma_mix_f32 v84, v119, v84, v119 op_sel:[0,0,1] op_sel_hi:[1,0,1]
	s_delay_alu instid0(VALU_DEP_4) | instskip(SKIP_1) | instid1(VALU_DEP_2)
	v_pk_fma_f32 v[78:79], v[78:79], v[82:83], v[80:81]
	s_add_co_i32 s1, s1, 4
	v_dual_add_f32 v73, v73, v77 :: v_dual_add_f32 v64, v64, v84
	s_delay_alu instid0(VALU_DEP_2)
	v_pk_add_f32 v[6:7], v[6:7], v[78:79]
	s_cmp_lt_u32 s1, 12
	s_cbranch_scc1 .LBB224_11
; %bb.12:                               ;   in Loop: Header=BB224_5 Depth=1
	s_bitset1_b32 s18, 7
	s_delay_alu instid0(SALU_CYCLE_1)
	s_cmp_ge_i32 s18, s5
	s_barrier_signal -1
	s_barrier_wait -1
	s_cbranch_scc1 .LBB224_4
; %bb.13:                               ;   in Loop: Header=BB224_5 Depth=1
	v_add_nc_u32_e32 v53, s14, v63
	s_delay_alu instid0(VALU_DEP_1) | instskip(SKIP_1) | instid1(SALU_CYCLE_1)
	v_cmp_gt_i32_e64 s1, s6, v53
	s_and_b32 s18, s0, s1
	s_and_saveexec_b32 s1, s18
	s_cbranch_execz .LBB224_15
; %bb.14:                               ;   in Loop: Header=BB224_5 Depth=1
	v_add_nc_u32_e32 v53, v8, v53
	s_delay_alu instid0(VALU_DEP_1)
	v_mad_nc_i64_i32 v[54:55], v53, 36, v[10:11]
	global_load_b32 v53, v[54:55], off offset:4
	s_wait_loadcnt 0x0
	ds_store_b32 v61, v53
.LBB224_15:                             ;   in Loop: Header=BB224_5 Depth=1
	s_or_b32 exec_lo, exec_lo, s1
	s_and_saveexec_b32 s18, vcc_lo
	s_cbranch_execz .LBB224_18
; %bb.16:                               ;   in Loop: Header=BB224_5 Depth=1
	v_or_b32_e32 v53, 4, v52
	s_delay_alu instid0(VALU_DEP_1) | instskip(SKIP_1) | instid1(SALU_CYCLE_1)
	v_cmp_gt_i32_e64 s1, s6, v53
	s_and_b32 s1, s0, s1
	s_and_b32 exec_lo, exec_lo, s1
	s_cbranch_execz .LBB224_18
; %bb.17:                               ;   in Loop: Header=BB224_5 Depth=1
	v_ashrrev_i32_e32 v53, 31, v52
	s_delay_alu instid0(VALU_DEP_1) | instskip(NEXT) | instid1(VALU_DEP_1)
	v_add_nc_u64_e32 v[52:53], v[8:9], v[52:53]
	v_mad_nc_u64_u32 v[54:55], v52, 36, s[2:3]
	s_delay_alu instid0(VALU_DEP_1)
	v_mad_i32_i24 v55, v53, 36, v55
	global_load_b32 v52, v[54:55], off offset:144
	s_wait_loadcnt 0x0
	ds_store_b32 v62, v52
.LBB224_18:                             ;   in Loop: Header=BB224_5 Depth=1
	s_or_b32 exec_lo, exec_lo, s18
	v_dual_mov_b32 v52, v60 :: v_dual_mov_b32 v53, v59
	v_dual_mov_b32 v54, v74 :: v_dual_mov_b32 v55, v72
	v_dual_mov_b32 v56, v70 :: v_dual_mov_b32 v57, v68
	v_mov_b32_e32 v75, v66
	s_mov_b32 s1, 12
	s_wait_dscnt 0x0
	s_barrier_signal -1
	s_barrier_wait -1
.LBB224_19:                             ;   Parent Loop BB224_5 Depth=1
                                        ; =>  This Inner Loop Header: Depth=2
	ds_load_2addr_b32 v[76:77], v53 offset1:7
	ds_load_2addr_b32 v[78:79], v53 offset0:3 offset1:4
	ds_load_2addr_b32 v[80:81], v53 offset0:5 offset1:6
	;; [unrolled: 1-line block ×3, first 2 shown]
	ds_load_b32 v116, v52
	ds_load_b32 v117, v55
	;; [unrolled: 1-line block ×5, first 2 shown]
	v_add_nc_u32_e32 v92, 0x2080, v54
	v_add_nc_u32_e32 v94, 0x2088, v54
	;; [unrolled: 1-line block ×12, first 2 shown]
	ds_load_2addr_b32 v[84:85], v54 offset1:1
	ds_load_2addr_b32 v[86:87], v54 offset0:2 offset1:3
	ds_load_2addr_b32 v[88:89], v54 offset0:4 offset1:5
	;; [unrolled: 1-line block ×3, first 2 shown]
	ds_load_2addr_b32 v[92:93], v92 offset1:1
	ds_load_2addr_b32 v[94:95], v94 offset1:1
	;; [unrolled: 1-line block ×12, first 2 shown]
	s_wait_dscnt 0x17
	v_dual_add_nc_u32 v56, 4, v56 :: v_dual_lshlrev_b32 v121, 8, v79
	v_dual_lshlrev_b32 v128, 24, v79 :: v_dual_lshlrev_b32 v129, 16, v79
	s_wait_dscnt 0x15
	v_dual_lshlrev_b32 v122, 8, v82 :: v_dual_lshlrev_b32 v123, 8, v80
	s_wait_dscnt 0x13
	v_pk_mul_f16 v117, v116, v117
	s_wait_dscnt 0x12
	v_pk_mul_f16 v118, v116, v118
	;; [unrolled: 2-line block ×3, first 2 shown]
	v_dual_lshlrev_b32 v130, 24, v82 :: v_dual_lshlrev_b32 v131, 16, v82
	s_wait_dscnt 0x10
	v_pk_mul_f16 v116, v116, v120
	v_perm_b32 v120, v129, v128, 0xc0c0703
	v_perm_b32 v145, v79, v121, 0x7030c0c
	v_dual_lshlrev_b32 v132, 24, v80 :: v_dual_lshlrev_b32 v133, 16, v80
	s_wait_dscnt 0xf
	v_dot4_i32_iu8 v84, v76, v84, 0 neg_lo:[1,1,0]
	v_perm_b32 v142, v80, v82, 0x7030c0c
	s_wait_dscnt 0xb
	v_dot4_i32_iu8 v92, v76, v92, 0 neg_lo:[1,1,0]
	s_wait_dscnt 0x7
	v_dot4_i32_iu8 v100, v76, v100, 0 neg_lo:[1,1,0]
	v_perm_b32 v146, v131, v130, 0xc0c0703
	v_perm_b32 v82, v82, v122, 0x7030c0c
	s_wait_dscnt 0x3
	v_perm_b32 v153, v76, v109, 0xc0c0501
	v_perm_b32 v155, v76, v109, 0xc0c0703
	;; [unrolled: 1-line block ×4, first 2 shown]
	v_cvt_f32_f16_e32 v76, v119
	v_dual_lshrrev_b32 v119, 16, v119 :: v_dual_bitop2_b32 v120, v145, v120 bitop3:0x54
	v_dual_lshlrev_b32 v124, 8, v83 :: v_dual_lshlrev_b32 v125, 8, v81
	v_dual_lshlrev_b32 v126, 8, v78 :: v_dual_lshlrev_b32 v127, 8, v77
	;; [unrolled: 1-line block ×6, first 2 shown]
	v_perm_b32 v147, v133, v132, 0xc0c0703
	v_perm_b32 v80, v80, v123, 0x7030c0c
	;; [unrolled: 1-line block ×4, first 2 shown]
	s_wait_dscnt 0x2
	v_perm_b32 v133, v111, v110, 0x5010c0c
	v_perm_b32 v154, v111, v110, 0x7030c0c
	;; [unrolled: 1-line block ×3, first 2 shown]
	v_dual_add_nc_u32 v55, 4, v55 :: v_dual_bitop2_b32 v82, v82, v146 bitop3:0x54
	v_dot4_i32_iu8 v84, v120, v85, v84 neg_lo:[1,1,0]
	v_dot4_i32_iu8 v85, v120, v93, v92 neg_lo:[1,1,0]
	;; [unrolled: 1-line block ×3, first 2 shown]
	v_perm_b32 v143, v81, v83, 0xc0c0703
	v_perm_b32 v144, v77, v78, 0x7030c0c
	;; [unrolled: 1-line block ×15, first 2 shown]
	s_wait_dscnt 0x1
	v_perm_b32 v111, v113, v112, 0xc0c0602
	s_wait_dscnt 0x0
	v_perm_b32 v122, v115, v114, 0x6020c0c
	v_perm_b32 v123, v125, v124, 0xc0c0703
	;; [unrolled: 1-line block ×13, first 2 shown]
	v_dual_add_nc_u32 v54, 32, v54 :: v_dual_bitop2_b32 v80, v80, v147 bitop3:0x54
	v_or_b32_e32 v129, v131, v129
	v_or_b32_e32 v131, v133, v153
	;; [unrolled: 1-line block ×4, first 2 shown]
	v_dot4_i32_iu8 v84, v82, v86, v84 neg_lo:[1,1,0]
	v_dot4_i32_iu8 v85, v82, v94, v85 neg_lo:[1,1,0]
	;; [unrolled: 1-line block ×3, first 2 shown]
	v_perm_b32 v149, v137, v136, 0xc0c0703
	v_or_b32_e32 v136, v144, v143
	v_dual_add_nc_u32 v53, 32, v53 :: v_dual_bitop2_b32 v83, v83, v148 bitop3:0x54
	v_or_b32_e32 v109, v110, v109
	v_or_b32_e32 v110, v122, v111
	;; [unrolled: 1-line block ×6, first 2 shown]
	v_dot4_i32_iu8 v100, v129, v131, 0 neg_lo:[1,1,0]
	v_dot4_i32_iu8 v79, v79, v133, 0 neg_lo:[1,1,0]
	;; [unrolled: 1-line block ×5, first 2 shown]
	v_cvt_f32_f16_e32 v77, v116
	v_lshrrev_b32_e32 v116, 16, v116
	v_or_b32_e32 v128, v130, v128
	v_or_b32_e32 v130, v132, v156
	;; [unrolled: 1-line block ×3, first 2 shown]
	v_dot4_i32_iu8 v84, v83, v88, v84 neg_lo:[1,1,0]
	v_dot4_i32_iu8 v85, v83, v96, v85 neg_lo:[1,1,0]
	;; [unrolled: 1-line block ×5, first 2 shown]
	v_or_b32_e32 v81, v81, v149
	v_dual_add_nc_u32 v52, 4, v52 :: v_dual_bitop2_b32 v78, v78, v150 bitop3:0x54
	v_or_b32_e32 v121, v126, v125
	v_or_b32_e32 v122, v134, v127
	v_dot4_i32_iu8 v86, v108, v109, 0 neg_lo:[1,1,0]
	v_dot4_i32_iu8 v82, v128, v130, 0 neg_lo:[1,1,0]
	;; [unrolled: 1-line block ×3, first 2 shown]
	v_or_b32_e32 v135, v152, v151
	v_dot4_i32_iu8 v85, v81, v97, v85 neg_lo:[1,1,0]
	v_dot4_i32_iu8 v86, v111, v110, v86 neg_lo:[1,1,0]
	;; [unrolled: 1-line block ×4, first 2 shown]
	v_add_nc_u32_e32 v82, v83, v79
	v_dot4_i32_iu8 v83, v78, v90, v84 neg_lo:[1,1,0]
	v_dot4_i32_iu8 v84, v78, v98, v85 neg_lo:[1,1,0]
	;; [unrolled: 1-line block ×3, first 2 shown]
	v_cvt_f32_f16_e32 v79, v116
	v_add3_u32 v80, v81, v86, v82
	v_dot4_i32_iu8 v82, v135, v91, v83 neg_lo:[1,1,0]
	v_dual_add_nc_u32 v75, 4, v75 :: v_dual_add_nc_u32 v57, 4, v57
	s_add_co_i32 s1, s1, 4
	s_delay_alu instid0(VALU_DEP_3) | instskip(NEXT) | instid1(VALU_DEP_3)
	v_cvt_f32_i32_e32 v81, v80
	v_cvt_f32_i32_e32 v82, v82
	s_cmp_lt_u32 s1, 28
	s_delay_alu instid0(VALU_DEP_1) | instskip(NEXT) | instid1(VALU_DEP_1)
	v_fma_mix_f32 v82, v117, v82, v117 op_sel:[0,0,1] op_sel_hi:[1,0,1]
	v_add_f32_e32 v73, v73, v82
	v_dot4_i32_iu8 v83, v135, v99, v84 neg_lo:[1,1,0]
	v_dot4_i32_iu8 v84, v135, v107, v78 neg_lo:[1,1,0]
	v_cvt_f32_f16_e32 v78, v119
	s_delay_alu instid0(VALU_DEP_3) | instskip(NEXT) | instid1(VALU_DEP_3)
	v_cvt_f32_i32_e32 v83, v83
	v_cvt_f32_i32_e32 v80, v84
	s_delay_alu instid0(VALU_DEP_2) | instskip(NEXT) | instid1(VALU_DEP_2)
	v_fma_mix_f32 v83, v118, v83, v118 op_sel:[0,0,1] op_sel_hi:[1,0,1]
	v_pk_fma_f32 v[76:77], v[76:77], v[80:81], v[78:79]
	s_delay_alu instid0(VALU_DEP_2) | instskip(NEXT) | instid1(VALU_DEP_2)
	v_add_f32_e32 v64, v64, v83
	v_pk_add_f32 v[6:7], v[6:7], v[76:77]
	s_cbranch_scc1 .LBB224_19
; %bb.20:                               ;   in Loop: Header=BB224_5 Depth=1
	s_barrier_signal -1
	s_barrier_wait -1
	s_branch .LBB224_4
.LBB224_21:
	s_mul_i32 s0, s10, s7
	s_wait_loadcnt 0x0
	v_cmp_gt_i32_e32 vcc_lo, s0, v1
	s_and_saveexec_b32 s0, vcc_lo
	s_cbranch_execz .LBB224_30
; %bb.22:
	v_mul_lo_u32 v0, v1, s9
	v_add_nc_u32_e32 v1, s11, v5
	s_mov_b32 s0, exec_lo
	s_delay_alu instid0(VALU_DEP_1)
	v_cmpx_gt_u32_e64 s9, v1
	s_cbranch_execz .LBB224_24
; %bb.23:
	v_bfe_u32 v2, v73, 16, 1
	v_cmp_o_f32_e32 vcc_lo, v73, v73
	v_add_nc_u32_e32 v3, v0, v1
	s_delay_alu instid0(VALU_DEP_3) | instskip(NEXT) | instid1(VALU_DEP_1)
	v_add3_u32 v2, v73, v2, 0x7fff
	v_lshrrev_b32_e32 v2, 16, v2
	s_delay_alu instid0(VALU_DEP_1)
	v_cndmask_b32_e32 v2, 0x7fc0, v2, vcc_lo
	global_store_b16 v3, v2, s[12:13] scale_offset
.LBB224_24:
	s_wait_xcnt 0x0
	s_or_b32 exec_lo, exec_lo, s0
	v_add_nc_u32_e32 v2, 32, v1
	s_mov_b32 s0, exec_lo
	s_delay_alu instid0(VALU_DEP_1)
	v_cmpx_gt_u32_e64 s9, v2
	s_cbranch_execz .LBB224_26
; %bb.25:
	v_bfe_u32 v3, v64, 16, 1
	v_cmp_o_f32_e32 vcc_lo, v64, v64
	v_add_nc_u32_e32 v2, v0, v2
	s_delay_alu instid0(VALU_DEP_3) | instskip(NEXT) | instid1(VALU_DEP_1)
	v_add3_u32 v3, v64, v3, 0x7fff
	v_lshrrev_b32_e32 v3, 16, v3
	s_delay_alu instid0(VALU_DEP_1)
	v_cndmask_b32_e32 v3, 0x7fc0, v3, vcc_lo
	global_store_b16 v2, v3, s[12:13] scale_offset
.LBB224_26:
	s_wait_xcnt 0x0
	s_or_b32 exec_lo, exec_lo, s0
	;; [unrolled: 18-line block ×3, first 2 shown]
	v_add_nc_u32_e32 v1, 0x60, v1
	s_delay_alu instid0(VALU_DEP_1)
	v_cmp_gt_u32_e32 vcc_lo, s9, v1
	s_and_b32 exec_lo, exec_lo, vcc_lo
	s_cbranch_execz .LBB224_30
; %bb.29:
	v_bfe_u32 v2, v7, 16, 1
	v_cmp_o_f32_e32 vcc_lo, v7, v7
	v_add_nc_u32_e32 v0, v0, v1
	s_delay_alu instid0(VALU_DEP_3) | instskip(NEXT) | instid1(VALU_DEP_1)
	v_add3_u32 v2, v7, v2, 0x7fff
	v_lshrrev_b32_e32 v2, 16, v2
	s_delay_alu instid0(VALU_DEP_1)
	v_cndmask_b32_e32 v2, 0x7fc0, v2, vcc_lo
	global_store_b16 v0, v2, s[12:13] scale_offset
.LBB224_30:
	s_sendmsg sendmsg(MSG_DEALLOC_VGPRS)
	s_endpgm
	.section	.rodata,"a",@progbits
	.p2align	6, 0x0
	.amdhsa_kernel _ZL8moe_q5_1IN3c108BFloat16ELb1EEvPKvS3_PT_PKiS7_S7_iiiiiii
		.amdhsa_group_segment_fixed_size 38656
		.amdhsa_private_segment_fixed_size 0
		.amdhsa_kernarg_size 76
		.amdhsa_user_sgpr_count 2
		.amdhsa_user_sgpr_dispatch_ptr 0
		.amdhsa_user_sgpr_queue_ptr 0
		.amdhsa_user_sgpr_kernarg_segment_ptr 1
		.amdhsa_user_sgpr_dispatch_id 0
		.amdhsa_user_sgpr_kernarg_preload_length 0
		.amdhsa_user_sgpr_kernarg_preload_offset 0
		.amdhsa_user_sgpr_private_segment_size 0
		.amdhsa_wavefront_size32 1
		.amdhsa_uses_dynamic_stack 0
		.amdhsa_enable_private_segment 0
		.amdhsa_system_sgpr_workgroup_id_x 1
		.amdhsa_system_sgpr_workgroup_id_y 1
		.amdhsa_system_sgpr_workgroup_id_z 0
		.amdhsa_system_sgpr_workgroup_info 0
		.amdhsa_system_vgpr_workitem_id 1
		.amdhsa_next_free_vgpr 157
		.amdhsa_next_free_sgpr 21
		.amdhsa_named_barrier_count 0
		.amdhsa_reserve_vcc 1
		.amdhsa_float_round_mode_32 0
		.amdhsa_float_round_mode_16_64 0
		.amdhsa_float_denorm_mode_32 3
		.amdhsa_float_denorm_mode_16_64 3
		.amdhsa_fp16_overflow 0
		.amdhsa_memory_ordered 1
		.amdhsa_forward_progress 1
		.amdhsa_inst_pref_size 78
		.amdhsa_round_robin_scheduling 0
		.amdhsa_exception_fp_ieee_invalid_op 0
		.amdhsa_exception_fp_denorm_src 0
		.amdhsa_exception_fp_ieee_div_zero 0
		.amdhsa_exception_fp_ieee_overflow 0
		.amdhsa_exception_fp_ieee_underflow 0
		.amdhsa_exception_fp_ieee_inexact 0
		.amdhsa_exception_int_div_zero 0
	.end_amdhsa_kernel
	.section	.text._ZL8moe_q5_1IN3c108BFloat16ELb1EEvPKvS3_PT_PKiS7_S7_iiiiiii,"axG",@progbits,_ZL8moe_q5_1IN3c108BFloat16ELb1EEvPKvS3_PT_PKiS7_S7_iiiiiii,comdat
.Lfunc_end224:
	.size	_ZL8moe_q5_1IN3c108BFloat16ELb1EEvPKvS3_PT_PKiS7_S7_iiiiiii, .Lfunc_end224-_ZL8moe_q5_1IN3c108BFloat16ELb1EEvPKvS3_PT_PKiS7_S7_iiiiiii
                                        ; -- End function
	.set _ZL8moe_q5_1IN3c108BFloat16ELb1EEvPKvS3_PT_PKiS7_S7_iiiiiii.num_vgpr, 157
	.set _ZL8moe_q5_1IN3c108BFloat16ELb1EEvPKvS3_PT_PKiS7_S7_iiiiiii.num_agpr, 0
	.set _ZL8moe_q5_1IN3c108BFloat16ELb1EEvPKvS3_PT_PKiS7_S7_iiiiiii.numbered_sgpr, 21
	.set _ZL8moe_q5_1IN3c108BFloat16ELb1EEvPKvS3_PT_PKiS7_S7_iiiiiii.num_named_barrier, 0
	.set _ZL8moe_q5_1IN3c108BFloat16ELb1EEvPKvS3_PT_PKiS7_S7_iiiiiii.private_seg_size, 0
	.set _ZL8moe_q5_1IN3c108BFloat16ELb1EEvPKvS3_PT_PKiS7_S7_iiiiiii.uses_vcc, 1
	.set _ZL8moe_q5_1IN3c108BFloat16ELb1EEvPKvS3_PT_PKiS7_S7_iiiiiii.uses_flat_scratch, 0
	.set _ZL8moe_q5_1IN3c108BFloat16ELb1EEvPKvS3_PT_PKiS7_S7_iiiiiii.has_dyn_sized_stack, 0
	.set _ZL8moe_q5_1IN3c108BFloat16ELb1EEvPKvS3_PT_PKiS7_S7_iiiiiii.has_recursion, 0
	.set _ZL8moe_q5_1IN3c108BFloat16ELb1EEvPKvS3_PT_PKiS7_S7_iiiiiii.has_indirect_call, 0
	.section	.AMDGPU.csdata,"",@progbits
; Kernel info:
; codeLenInByte = 9980
; TotalNumSgprs: 23
; NumVgprs: 157
; ScratchSize: 0
; MemoryBound: 0
; FloatMode: 240
; IeeeMode: 1
; LDSByteSize: 38656 bytes/workgroup (compile time only)
; SGPRBlocks: 0
; VGPRBlocks: 9
; NumSGPRsForWavesPerEU: 23
; NumVGPRsForWavesPerEU: 157
; NamedBarCnt: 0
; Occupancy: 6
; WaveLimiterHint : 1
; COMPUTE_PGM_RSRC2:SCRATCH_EN: 0
; COMPUTE_PGM_RSRC2:USER_SGPR: 2
; COMPUTE_PGM_RSRC2:TRAP_HANDLER: 0
; COMPUTE_PGM_RSRC2:TGID_X_EN: 1
; COMPUTE_PGM_RSRC2:TGID_Y_EN: 1
; COMPUTE_PGM_RSRC2:TGID_Z_EN: 0
; COMPUTE_PGM_RSRC2:TIDIG_COMP_CNT: 1
	.section	.text._ZL8moe_q8_0IN3c108BFloat16ELb0EEvPKvS3_PT_PKiS7_S7_iiiiiii,"axG",@progbits,_ZL8moe_q8_0IN3c108BFloat16ELb0EEvPKvS3_PT_PKiS7_S7_iiiiiii,comdat
	.globl	_ZL8moe_q8_0IN3c108BFloat16ELb0EEvPKvS3_PT_PKiS7_S7_iiiiiii ; -- Begin function _ZL8moe_q8_0IN3c108BFloat16ELb0EEvPKvS3_PT_PKiS7_S7_iiiiiii
	.p2align	8
	.type	_ZL8moe_q8_0IN3c108BFloat16ELb0EEvPKvS3_PT_PKiS7_S7_iiiiiii,@function
_ZL8moe_q8_0IN3c108BFloat16ELb0EEvPKvS3_PT_PKiS7_S7_iiiiiii: ; @_ZL8moe_q8_0IN3c108BFloat16ELb0EEvPKvS3_PT_PKiS7_S7_iiiiiii
; %bb.0:
	s_load_b128 s[4:7], s[0:1], 0x18
	s_bfe_u32 s2, ttmp6, 0x40010
	s_bfe_u32 s3, ttmp6, 0x40004
	s_add_co_i32 s2, s2, 1
	s_getreg_b32 s8, hwreg(HW_REG_IB_STS2, 6, 4)
	s_mul_i32 s2, ttmp7, s2
	s_delay_alu instid0(SALU_CYCLE_1)
	s_add_co_i32 s3, s3, s2
	s_cmp_eq_u32 s8, 0
	s_cselect_b32 s2, ttmp7, s3
	s_wait_kmcnt 0x0
	s_load_b32 s14, s[6:7], s2 offset:0x0 scale_offset
	s_wait_kmcnt 0x0
	s_cmp_gt_u32 s14, 0xff
	s_cbranch_scc1 .LBB225_22
; %bb.1:
	s_load_b64 s[6:7], s[0:1], 0x28
	s_lshl_b32 s2, s2, 3
	s_wait_kmcnt 0x0
	s_load_b32 s3, s[6:7], 0x0
	s_wait_kmcnt 0x0
	s_cmp_gt_u32 s2, s3
	s_cbranch_scc1 .LBB225_22
; %bb.2:
	v_bfe_u32 v12, v0, 10, 10
	s_bfe_u32 s9, ttmp6, 0x4000c
	s_and_b32 s10, ttmp6, 15
	s_add_co_i32 s9, s9, 1
	v_and_b32_e32 v5, 0x3ff, v0
	v_dual_add_nc_u32 v1, s2, v12 :: v_dual_mov_b32 v9, 0
	s_mul_i32 s9, ttmp9, s9
	s_mov_b32 s15, 0
	s_add_co_i32 s10, s10, s9
	global_load_b32 v3, v1, s[4:5] scale_offset
	s_clause 0x2
	s_load_b64 s[12:13], s[0:1], 0x30
	s_load_b64 s[2:3], s[0:1], 0x10
	s_load_b128 s[4:7], s[0:1], 0x3c
	s_cmp_eq_u32 s8, 0
	v_dual_mov_b32 v8, v9 :: v_dual_mov_b32 v15, v9
	s_cselect_b32 s8, ttmp9, s10
	v_mov_b32_e32 v19, v9
	s_lshl_b32 s18, s8, 7
	s_wait_kmcnt 0x0
	s_cmp_lt_i32 s13, 32
	s_cbranch_scc1 .LBB225_13
; %bb.3:
	s_abs_i32 s19, s7
	s_load_b128 s[8:11], s[0:1], 0x0
	s_cvt_f32_u32 s16, s19
	s_ashr_i32 s17, s13, 31
	s_wait_loadcnt 0x0
	v_dual_lshlrev_b32 v9, 3, v12 :: v_dual_sub_nc_u32 v6, 0, v3
	v_rcp_iflag_f32_e32 v4, s16
	s_mul_i32 s16, s14, s12
	s_sub_co_i32 s14, 0, s19
	v_dual_mov_b32 v1, 0 :: v_dual_lshlrev_b32 v8, 2, v5
	v_bfe_u32 v14, v0, 2, 8
	v_dual_lshlrev_b32 v37, 4, v12 :: v_dual_bitop2_b32 v15, s7, v3 bitop3:0x14
	s_wait_xcnt 0x0
	v_readfirstlane_b32 s0, v4
	v_dual_add_nc_u32 v23, 64, v5 :: v_dual_bitop2_b32 v4, 3, v0 bitop3:0x40
	v_lshl_add_u32 v7, v12, 7, 0x4a40
	v_mad_u32_u24 v13, 0x84, v12, v8
	s_mul_f32 s1, s0, 0x4f7ffffe
	v_bfe_u32 v2, v0, 3, 7
	v_dual_add_nc_u32 v25, 32, v5 :: v_dual_bitop2_b32 v16, 31, v0 bitop3:0x40
	s_delay_alu instid0(SALU_CYCLE_1)
	s_cvt_u32_f32 s12, s1
	s_lshr_b32 s1, s17, 27
	v_and_b32_e32 v0, 28, v8
	s_add_co_i32 s1, s13, s1
	s_mul_i32 s14, s14, s12
	s_ashr_i32 s1, s1, 5
	s_mul_hi_u32 s14, s12, s14
	v_add_nc_u16 v22, v14, v9
	s_add_co_i32 s12, s12, s14
	s_lshl_b32 s14, s1, 3
	v_max_i32_e32 v18, v3, v6
	v_mul_lo_u32 v6, s1, v12
	v_add_nc_u32_e32 v9, v14, v9
	v_lshl_add_u32 v17, v16, 2, v7
	v_lshrrev_b16 v26, 1, v22
	s_ashr_i32 s20, s5, 31
	v_cmp_gt_u32_e64 s0, 4, v5
	s_wait_kmcnt 0x0
	v_add_nc_u64_e32 v[40:41], s[10:11], v[0:1]
	s_ashr_i32 s17, s16, 31
	v_and_b32_e32 v30, 0x1ffc, v26
	v_mul_u32_u24_e32 v11, 0x84, v5
	s_add_nc_u64 s[8:9], s[8:9], s[16:17]
	v_add_nc_u32_e32 v10, s14, v6
	v_mul_hi_u32 v19, v18, s12
	v_lshlrev_b32_e32 v27, 2, v4
	s_lshr_b32 s12, s20, 27
	s_mul_i32 s20, s1, s18
	v_dual_add_nc_u32 v12, s14, v10 :: v_dual_ashrrev_i32 v15, 31, v15
	s_add_co_i32 s5, s5, s12
	s_ashr_i32 s21, s20, 31
	s_ashr_i32 s5, s5, 5
	s_delay_alu instid0(VALU_DEP_1) | instskip(SKIP_1) | instid1(VALU_DEP_4)
	v_add_nc_u32_e32 v14, s14, v12
	s_mul_u64 s[20:21], s[20:21], 34
	v_mul_lo_u32 v20, v19, s19
	s_add_nc_u64 s[8:9], s[8:9], s[20:21]
	v_dual_add_nc_u32 v29, 64, v9 :: v_dual_lshrrev_b32 v23, 1, v23
	v_lshrrev_b32_e32 v25, 1, v25
	s_delay_alu instid0(VALU_DEP_1) | instskip(NEXT) | instid1(VALU_DEP_4)
	v_and_b32_e32 v31, 0xfc, v25
	v_dual_sub_nc_u32 v20, v18, v20 :: v_dual_add_nc_u32 v18, 1, v19
	s_delay_alu instid0(VALU_DEP_1) | instskip(SKIP_4) | instid1(VALU_DEP_3)
	v_cmp_le_u32_e32 vcc_lo, s19, v20
	v_add_nc_u32_e32 v8, 0x4e40, v8
	v_subrev_nc_u32_e32 v24, s19, v20
	v_add_nc_u32_e32 v21, 0x60, v5
	v_cndmask_b32_e32 v19, v19, v18, vcc_lo
	v_dual_add_nc_u32 v16, s14, v14 :: v_dual_cndmask_b32 v24, v20, v24, vcc_lo
	v_mul_lo_u32 v20, s1, v9
	s_delay_alu instid0(VALU_DEP_2) | instskip(NEXT) | instid1(VALU_DEP_3)
	v_dual_add_nc_u32 v28, 1, v19 :: v_dual_add_nc_u32 v18, s14, v16
	v_cmp_le_u32_e32 vcc_lo, s19, v24
	s_delay_alu instid0(VALU_DEP_2) | instskip(SKIP_3) | instid1(VALU_DEP_4)
	v_dual_cndmask_b32 v19, v19, v28 :: v_dual_add_nc_u32 v22, s14, v18
	v_lshlrev_b32_e32 v9, 4, v9
	v_lshrrev_b32_e32 v28, 1, v29
	v_lshl_add_u32 v44, s1, 6, v20
	v_dual_add_nc_u32 v24, s14, v22 :: v_dual_bitop2_b32 v19, v19, v15 bitop3:0x14
	v_lshlrev_b32_e32 v35, 4, v29
	s_delay_alu instid0(VALU_DEP_4) | instskip(NEXT) | instid1(VALU_DEP_3)
	v_and_b32_e32 v29, 0x3ffc, v28
	v_dual_add_nc_u32 v26, s14, v24 :: v_dual_sub_nc_u32 v15, v19, v15
	v_add3_u32 v19, v30, v27, 0x4200
	s_delay_alu instid0(VALU_DEP_3) | instskip(NEXT) | instid1(VALU_DEP_3)
	v_add3_u32 v38, v29, v27, 0x4200
	v_dual_lshrrev_b32 v27, 1, v21 :: v_dual_add_nc_u32 v28, s14, v26
	s_delay_alu instid0(VALU_DEP_4) | instskip(SKIP_2) | instid1(VALU_DEP_4)
	v_cmp_gt_i32_e32 vcc_lo, s4, v15
	v_mul_lo_u32 v21, v15, s5
	v_and_b32_e32 v29, 0xfc, v23
	v_and_b32_e32 v27, 0xfc, v27
	v_dual_add_nc_u32 v30, s14, v28 :: v_dual_lshlrev_b32 v15, 4, v5
	v_add_nc_u32_e32 v35, v38, v35
	s_and_b32 s12, s0, vcc_lo
	s_delay_alu instid0(VALU_DEP_2)
	v_add_nc_u32_e32 v32, s14, v30
	v_lshlrev_b32_e32 v33, 2, v2
	v_add3_u32 v25, v15, v29, 0x4600
	v_add3_u32 v23, v15, v27, 0x4800
	;; [unrolled: 1-line block ×3, first 2 shown]
	v_add_nc_u32_e32 v34, s14, v32
	v_add3_u32 v29, v15, v33, 0x4200
	v_add_nc_u32_e32 v33, v19, v9
	v_add_nc_u32_e32 v31, 0x4e40, v37
	s_delay_alu instid0(VALU_DEP_4) | instskip(SKIP_2) | instid1(VALU_DEP_3)
	v_dual_add_nc_u32 v37, v8, v37 :: v_dual_add_nc_u32 v36, s14, v34
	v_dual_mov_b32 v19, v1 :: v_dual_mov_b32 v15, v1
	v_dual_mov_b32 v9, v1 :: v_dual_mov_b32 v8, v1
	v_add_nc_u32_e32 v38, s14, v36
	s_delay_alu instid0(VALU_DEP_1)
	v_add_nc_u32_e32 v42, s14, v38
	s_mov_b32 s14, s15
	s_branch .LBB225_5
.LBB225_4:                              ;   in Loop: Header=BB225_5 Depth=1
	s_add_co_i32 s14, s14, 4
	s_delay_alu instid0(SALU_CYCLE_1)
	s_cmp_ge_i32 s14, s1
	s_cbranch_scc1 .LBB225_13
.LBB225_5:                              ; =>This Loop Header: Depth=1
                                        ;     Child Loop BB225_11 Depth 2
	s_mul_u64 s[16:17], s[14:15], 34
	s_lshl_b32 s0, s14, 5
	s_add_nc_u64 s[16:17], s[8:9], s[16:17]
	s_cmp_ge_i32 s0, s13
	v_mad_nc_u64_u32 v[46:47], v2, 34, s[16:17]
	v_mad_nc_u64_u32 v[48:49], v4, 34, s[16:17]
	s_delay_alu instid0(VALU_DEP_2)
	v_mad_nc_u64_u32 v[50:51], v6, 34, v[46:47]
	v_mad_nc_u64_u32 v[52:53], v10, 34, v[46:47]
	;; [unrolled: 1-line block ×13, first 2 shown]
	v_add_nc_u64_e32 v[50:51], v[50:51], v[0:1]
	v_mad_nc_u64_u32 v[76:77], v36, 34, v[46:47]
	v_add_nc_u64_e32 v[52:53], v[52:53], v[0:1]
	v_mad_nc_u64_u32 v[78:79], v38, 34, v[46:47]
	;; [unrolled: 2-line block ×5, first 2 shown]
	v_add_nc_u64_e32 v[60:61], v[60:61], v[0:1]
	v_add_nc_u64_e32 v[62:63], v[62:63], v[0:1]
	;; [unrolled: 1-line block ×3, first 2 shown]
	s_clause 0x9
	global_load_b32 v39, v[50:51], off offset:2
	global_load_b32 v43, v[52:53], off offset:2
	;; [unrolled: 1-line block ×8, first 2 shown]
	global_load_u16 v87, v[80:81], off
	global_load_u16 v88, v[48:49], off
	s_wait_xcnt 0x0
	v_add_nc_u64_e32 v[48:49], v[66:67], v[0:1]
	v_add_nc_u64_e32 v[50:51], v[68:69], v[0:1]
	;; [unrolled: 1-line block ×8, first 2 shown]
	s_clause 0x7
	global_load_b32 v62, v[48:49], off offset:2
	global_load_b32 v63, v[50:51], off offset:2
	;; [unrolled: 1-line block ×8, first 2 shown]
	s_wait_xcnt 0x0
	v_add_nc_u32_e32 v46, 0x420, v13
	v_add_nc_u32_e32 v47, 0x840, v13
	;; [unrolled: 1-line block ×15, first 2 shown]
	s_wait_loadcnt 0x9
	v_cvt_f32_f16_e32 v61, v87
	s_wait_loadcnt 0x8
	v_cvt_f32_f16_e32 v70, v88
	ds_store_b32 v13, v39
	ds_store_b32 v46, v43
	;; [unrolled: 1-line block ×8, first 2 shown]
	s_wait_loadcnt 0x7
	ds_store_b32 v53, v62
	s_wait_loadcnt 0x6
	ds_store_b32 v54, v63
	;; [unrolled: 2-line block ×8, first 2 shown]
	ds_store_b32 v33, v61
	ds_store_b32 v35, v70
	s_cbranch_scc1 .LBB225_4
; %bb.6:                                ;   in Loop: Header=BB225_5 Depth=1
	v_add_nc_u32_e32 v39, s14, v2
	s_delay_alu instid0(VALU_DEP_1) | instskip(SKIP_1) | instid1(SALU_CYCLE_1)
	v_cmp_gt_i32_e64 s0, s5, v39
	s_and_b32 s16, vcc_lo, s0
	s_and_saveexec_b32 s0, s16
	s_cbranch_execz .LBB225_8
; %bb.7:                                ;   in Loop: Header=BB225_5 Depth=1
	v_add_nc_u32_e32 v39, v21, v39
	s_delay_alu instid0(VALU_DEP_1)
	v_mad_nc_i64_i32 v[46:47], v39, 36, v[40:41]
	global_load_b32 v39, v[46:47], off offset:4
	s_wait_loadcnt 0x0
	ds_store_b32 v17, v39
.LBB225_8:                              ;   in Loop: Header=BB225_5 Depth=1
	s_or_b32 exec_lo, exec_lo, s0
	v_or_b32_e32 v39, s14, v5
	s_delay_alu instid0(VALU_DEP_1) | instskip(SKIP_1) | instid1(SALU_CYCLE_1)
	v_cmp_gt_i32_e64 s0, s5, v39
	s_and_b32 s16, s12, s0
	s_and_saveexec_b32 s0, s16
	s_cbranch_execz .LBB225_10
; %bb.9:                                ;   in Loop: Header=BB225_5 Depth=1
	v_add_nc_u32_e32 v39, v21, v39
	s_delay_alu instid0(VALU_DEP_1)
	v_mad_nc_i64_i32 v[46:47], v39, 36, s[10:11]
	global_load_b32 v39, v[46:47], off
	s_wait_loadcnt 0x0
	v_cvt_f32_f16_e32 v39, v39
	ds_store_b32 v37, v39
.LBB225_10:                             ;   in Loop: Header=BB225_5 Depth=1
	s_or_b32 exec_lo, exec_lo, s0
	v_dual_mov_b32 v39, v7 :: v_dual_mov_b32 v43, v31
	v_dual_mov_b32 v45, v29 :: v_dual_mov_b32 v46, v27
	;; [unrolled: 1-line block ×3, first 2 shown]
	v_mov_b32_e32 v49, v11
	s_mov_b32 s0, -8
	s_wait_dscnt 0x0
	s_barrier_signal -1
	s_barrier_wait -1
.LBB225_11:                             ;   Parent Loop BB225_5 Depth=1
                                        ; =>  This Inner Loop Header: Depth=2
	ds_load_b32 v58, v43
	ds_load_b32 v94, v45
	ds_load_2addr_b32 v[60:61], v49 offset1:1
	ds_load_b32 v95, v46
	ds_load_b32 v62, v47
	;; [unrolled: 1-line block ×3, first 2 shown]
	ds_load_b128 v[50:53], v39
	ds_load_b128 v[54:57], v39 offset:16
	v_add_nc_u32_e32 v59, 0x1080, v49
	v_add_nc_u32_e32 v72, 0x1088, v49
	;; [unrolled: 1-line block ×12, first 2 shown]
	ds_load_2addr_b32 v[64:65], v49 offset0:2 offset1:3
	ds_load_2addr_b32 v[66:67], v49 offset0:4 offset1:5
	;; [unrolled: 1-line block ×3, first 2 shown]
	ds_load_2addr_b32 v[70:71], v59 offset1:1
	ds_load_2addr_b32 v[72:73], v72 offset1:1
	;; [unrolled: 1-line block ×12, first 2 shown]
	s_wait_dscnt 0x15
	v_dual_mul_f32 v59, v58, v94 :: v_dual_add_nc_u32 v49, 32, v49
	v_dual_add_nc_u32 v48, 4, v48 :: v_dual_add_nc_u32 v47, 4, v47
	v_add_nc_u32_e32 v46, 4, v46
	s_wait_dscnt 0x10
	v_dot4_i32_iu8 v60, v50, v60, 0 neg_lo:[1,1,0]
	v_perm_b32 v94, v50, v51, 0xc0c0501
	v_perm_b32 v96, v53, v52, 0x5010c0c
	;; [unrolled: 1-line block ×6, first 2 shown]
	s_wait_dscnt 0xb
	v_dot4_i32_iu8 v70, v50, v70, 0 neg_lo:[1,1,0]
	s_wait_dscnt 0x7
	v_dot4_i32_iu8 v50, v50, v78, 0 neg_lo:[1,1,0]
	v_add_nc_u32_e32 v45, 4, v45
	v_dot4_i32_iu8 v60, v51, v61, v60 neg_lo:[1,1,0]
	v_or_b32_e32 v61, v96, v94
	s_wait_dscnt 0x3
	v_perm_b32 v78, v86, v87, 0xc0c0501
	s_wait_dscnt 0x2
	v_perm_b32 v94, v89, v88, 0x5010c0c
	v_or_b32_e32 v96, v98, v97
	v_perm_b32 v97, v86, v87, 0xc0c0703
	v_perm_b32 v98, v89, v88, 0x7030c0c
	v_dot4_i32_iu8 v70, v51, v71, v70 neg_lo:[1,1,0]
	v_dot4_i32_iu8 v50, v51, v79, v50 neg_lo:[1,1,0]
	v_perm_b32 v100, v53, v52, 0x4000c0c
	v_perm_b32 v102, v53, v52, 0x6020c0c
	;; [unrolled: 1-line block ×10, first 2 shown]
	v_dot4_i32_iu8 v51, v52, v64, v60 neg_lo:[1,1,0]
	v_or_b32_e32 v60, v94, v78
	v_or_b32_e32 v64, v98, v97
	v_dot4_i32_iu8 v70, v52, v72, v70 neg_lo:[1,1,0]
	v_dot4_i32_iu8 v50, v52, v80, v50 neg_lo:[1,1,0]
	v_or_b32_e32 v99, v100, v99
	v_perm_b32 v100, v86, v87, 0xc0c0400
	v_dual_add_nc_u32 v43, 4, v43 :: v_dual_bitop2_b32 v101, v102, v101 bitop3:0x54
	v_perm_b32 v102, v89, v88, 0x4000c0c
	v_perm_b32 v86, v86, v87, 0xc0c0602
	;; [unrolled: 1-line block ×3, first 2 shown]
	v_or_b32_e32 v88, v104, v103
	s_wait_dscnt 0x1
	v_perm_b32 v89, v91, v90, 0xc0c0602
	s_wait_dscnt 0x0
	v_perm_b32 v103, v93, v92, 0x6020c0c
	v_dual_add_nc_u32 v39, 32, v39 :: v_dual_bitop2_b32 v104, v106, v105 bitop3:0x54
	v_perm_b32 v105, v91, v90, 0xc0c0400
	v_or_b32_e32 v107, v108, v107
	v_perm_b32 v108, v91, v90, 0xc0c0703
	v_or_b32_e32 v109, v110, v109
	v_perm_b32 v110, v93, v92, 0x7030c0c
	v_perm_b32 v90, v91, v90, 0xc0c0501
	;; [unrolled: 1-line block ×3, first 2 shown]
	v_dot4_i32_iu8 v51, v53, v65, v51 neg_lo:[1,1,0]
	v_dot4_i32_iu8 v52, v60, v61, 0 neg_lo:[1,1,0]
	;; [unrolled: 1-line block ×5, first 2 shown]
	v_perm_b32 v106, v93, v92, 0x4000c0c
	v_or_b32_e32 v71, v102, v100
	v_or_b32_e32 v78, v87, v86
	;; [unrolled: 1-line block ×5, first 2 shown]
	v_dot4_i32_iu8 v51, v54, v66, v51 neg_lo:[1,1,0]
	v_dot4_i32_iu8 v64, v54, v74, v64 neg_lo:[1,1,0]
	;; [unrolled: 1-line block ×3, first 2 shown]
	v_or_b32_e32 v86, v106, v105
	v_dot4_i32_iu8 v61, v78, v101, 0 neg_lo:[1,1,0]
	v_dot4_i32_iu8 v53, v71, v99, 0 neg_lo:[1,1,0]
	;; [unrolled: 1-line block ×9, first 2 shown]
	v_add_nc_u32_e32 v52, v52, v54
	v_dot4_i32_iu8 v51, v56, v68, v51 neg_lo:[1,1,0]
	v_dot4_i32_iu8 v54, v56, v76, v60 neg_lo:[1,1,0]
	;; [unrolled: 1-line block ×3, first 2 shown]
	v_mul_f32_e32 v55, v58, v95
	v_add3_u32 v52, v53, v61, v52
	v_dot4_i32_iu8 v56, v57, v69, v51 neg_lo:[1,1,0]
	v_dot4_i32_iu8 v54, v57, v77, v54 neg_lo:[1,1,0]
	;; [unrolled: 1-line block ×3, first 2 shown]
	v_pk_mul_f32 v[50:51], v[58:59], v[62:63] op_sel_hi:[0,1]
	v_cvt_f32_i32_e32 v53, v52
	v_cvt_f32_i32_e32 v56, v56
	;; [unrolled: 1-line block ×4, first 2 shown]
	s_add_co_i32 s0, s0, 8
	s_delay_alu instid0(VALU_DEP_3) | instskip(NEXT) | instid1(VALU_DEP_3)
	v_fmac_f32_e32 v19, v59, v56
	v_fmac_f32_e32 v15, v55, v54
	s_delay_alu instid0(VALU_DEP_3)
	v_pk_fma_f32 v[8:9], v[50:51], v[52:53], v[8:9]
	s_cmp_lt_u32 s0, 24
	s_cbranch_scc1 .LBB225_11
; %bb.12:                               ;   in Loop: Header=BB225_5 Depth=1
	s_barrier_signal -1
	s_barrier_wait -1
	s_branch .LBB225_4
.LBB225_13:
	s_mul_i32 s0, s7, s4
	s_wait_loadcnt 0x0
	v_cmp_gt_i32_e32 vcc_lo, s0, v3
	s_and_saveexec_b32 s0, vcc_lo
	s_cbranch_execz .LBB225_22
; %bb.14:
	v_mul_lo_u32 v0, v3, s6
	v_add_nc_u32_e32 v1, s18, v5
	s_mov_b32 s0, exec_lo
	s_delay_alu instid0(VALU_DEP_1)
	v_cmpx_gt_u32_e64 s6, v1
	s_cbranch_execz .LBB225_16
; %bb.15:
	v_bfe_u32 v2, v19, 16, 1
	v_cmp_o_f32_e32 vcc_lo, v19, v19
	v_add_nc_u32_e32 v3, v0, v1
	s_delay_alu instid0(VALU_DEP_3) | instskip(NEXT) | instid1(VALU_DEP_1)
	v_add3_u32 v2, v19, v2, 0x7fff
	v_lshrrev_b32_e32 v2, 16, v2
	s_delay_alu instid0(VALU_DEP_1)
	v_cndmask_b32_e32 v2, 0x7fc0, v2, vcc_lo
	global_store_b16 v3, v2, s[2:3] scale_offset
.LBB225_16:
	s_wait_xcnt 0x0
	s_or_b32 exec_lo, exec_lo, s0
	v_add_nc_u32_e32 v2, 32, v1
	s_mov_b32 s0, exec_lo
	s_delay_alu instid0(VALU_DEP_1)
	v_cmpx_gt_u32_e64 s6, v2
	s_cbranch_execz .LBB225_18
; %bb.17:
	v_bfe_u32 v3, v15, 16, 1
	v_cmp_o_f32_e32 vcc_lo, v15, v15
	v_add_nc_u32_e32 v2, v0, v2
	s_delay_alu instid0(VALU_DEP_3) | instskip(NEXT) | instid1(VALU_DEP_1)
	v_add3_u32 v3, v15, v3, 0x7fff
	v_lshrrev_b32_e32 v3, 16, v3
	s_delay_alu instid0(VALU_DEP_1)
	v_cndmask_b32_e32 v3, 0x7fc0, v3, vcc_lo
	global_store_b16 v2, v3, s[2:3] scale_offset
.LBB225_18:
	s_wait_xcnt 0x0
	s_or_b32 exec_lo, exec_lo, s0
	;; [unrolled: 18-line block ×3, first 2 shown]
	v_add_nc_u32_e32 v1, 0x60, v1
	s_delay_alu instid0(VALU_DEP_1)
	v_cmp_gt_u32_e32 vcc_lo, s6, v1
	s_and_b32 exec_lo, exec_lo, vcc_lo
	s_cbranch_execz .LBB225_22
; %bb.21:
	v_bfe_u32 v2, v9, 16, 1
	v_cmp_o_f32_e32 vcc_lo, v9, v9
	v_add_nc_u32_e32 v0, v0, v1
	s_delay_alu instid0(VALU_DEP_3) | instskip(NEXT) | instid1(VALU_DEP_1)
	v_add3_u32 v2, v9, v2, 0x7fff
	v_lshrrev_b32_e32 v2, 16, v2
	s_delay_alu instid0(VALU_DEP_1)
	v_cndmask_b32_e32 v2, 0x7fc0, v2, vcc_lo
	global_store_b16 v0, v2, s[2:3] scale_offset
.LBB225_22:
	s_sendmsg sendmsg(MSG_DEALLOC_VGPRS)
	s_endpgm
	.section	.rodata,"a",@progbits
	.p2align	6, 0x0
	.amdhsa_kernel _ZL8moe_q8_0IN3c108BFloat16ELb0EEvPKvS3_PT_PKiS7_S7_iiiiiii
		.amdhsa_group_segment_fixed_size 20160
		.amdhsa_private_segment_fixed_size 0
		.amdhsa_kernarg_size 76
		.amdhsa_user_sgpr_count 2
		.amdhsa_user_sgpr_dispatch_ptr 0
		.amdhsa_user_sgpr_queue_ptr 0
		.amdhsa_user_sgpr_kernarg_segment_ptr 1
		.amdhsa_user_sgpr_dispatch_id 0
		.amdhsa_user_sgpr_kernarg_preload_length 0
		.amdhsa_user_sgpr_kernarg_preload_offset 0
		.amdhsa_user_sgpr_private_segment_size 0
		.amdhsa_wavefront_size32 1
		.amdhsa_uses_dynamic_stack 0
		.amdhsa_enable_private_segment 0
		.amdhsa_system_sgpr_workgroup_id_x 1
		.amdhsa_system_sgpr_workgroup_id_y 1
		.amdhsa_system_sgpr_workgroup_id_z 0
		.amdhsa_system_sgpr_workgroup_info 0
		.amdhsa_system_vgpr_workitem_id 1
		.amdhsa_next_free_vgpr 111
		.amdhsa_next_free_sgpr 22
		.amdhsa_named_barrier_count 0
		.amdhsa_reserve_vcc 1
		.amdhsa_float_round_mode_32 0
		.amdhsa_float_round_mode_16_64 0
		.amdhsa_float_denorm_mode_32 3
		.amdhsa_float_denorm_mode_16_64 3
		.amdhsa_fp16_overflow 0
		.amdhsa_memory_ordered 1
		.amdhsa_forward_progress 1
		.amdhsa_inst_pref_size 28
		.amdhsa_round_robin_scheduling 0
		.amdhsa_exception_fp_ieee_invalid_op 0
		.amdhsa_exception_fp_denorm_src 0
		.amdhsa_exception_fp_ieee_div_zero 0
		.amdhsa_exception_fp_ieee_overflow 0
		.amdhsa_exception_fp_ieee_underflow 0
		.amdhsa_exception_fp_ieee_inexact 0
		.amdhsa_exception_int_div_zero 0
	.end_amdhsa_kernel
	.section	.text._ZL8moe_q8_0IN3c108BFloat16ELb0EEvPKvS3_PT_PKiS7_S7_iiiiiii,"axG",@progbits,_ZL8moe_q8_0IN3c108BFloat16ELb0EEvPKvS3_PT_PKiS7_S7_iiiiiii,comdat
.Lfunc_end225:
	.size	_ZL8moe_q8_0IN3c108BFloat16ELb0EEvPKvS3_PT_PKiS7_S7_iiiiiii, .Lfunc_end225-_ZL8moe_q8_0IN3c108BFloat16ELb0EEvPKvS3_PT_PKiS7_S7_iiiiiii
                                        ; -- End function
	.set _ZL8moe_q8_0IN3c108BFloat16ELb0EEvPKvS3_PT_PKiS7_S7_iiiiiii.num_vgpr, 111
	.set _ZL8moe_q8_0IN3c108BFloat16ELb0EEvPKvS3_PT_PKiS7_S7_iiiiiii.num_agpr, 0
	.set _ZL8moe_q8_0IN3c108BFloat16ELb0EEvPKvS3_PT_PKiS7_S7_iiiiiii.numbered_sgpr, 22
	.set _ZL8moe_q8_0IN3c108BFloat16ELb0EEvPKvS3_PT_PKiS7_S7_iiiiiii.num_named_barrier, 0
	.set _ZL8moe_q8_0IN3c108BFloat16ELb0EEvPKvS3_PT_PKiS7_S7_iiiiiii.private_seg_size, 0
	.set _ZL8moe_q8_0IN3c108BFloat16ELb0EEvPKvS3_PT_PKiS7_S7_iiiiiii.uses_vcc, 1
	.set _ZL8moe_q8_0IN3c108BFloat16ELb0EEvPKvS3_PT_PKiS7_S7_iiiiiii.uses_flat_scratch, 0
	.set _ZL8moe_q8_0IN3c108BFloat16ELb0EEvPKvS3_PT_PKiS7_S7_iiiiiii.has_dyn_sized_stack, 0
	.set _ZL8moe_q8_0IN3c108BFloat16ELb0EEvPKvS3_PT_PKiS7_S7_iiiiiii.has_recursion, 0
	.set _ZL8moe_q8_0IN3c108BFloat16ELb0EEvPKvS3_PT_PKiS7_S7_iiiiiii.has_indirect_call, 0
	.section	.AMDGPU.csdata,"",@progbits
; Kernel info:
; codeLenInByte = 3548
; TotalNumSgprs: 24
; NumVgprs: 111
; ScratchSize: 0
; MemoryBound: 0
; FloatMode: 240
; IeeeMode: 1
; LDSByteSize: 20160 bytes/workgroup (compile time only)
; SGPRBlocks: 0
; VGPRBlocks: 6
; NumSGPRsForWavesPerEU: 24
; NumVGPRsForWavesPerEU: 111
; NamedBarCnt: 0
; Occupancy: 9
; WaveLimiterHint : 1
; COMPUTE_PGM_RSRC2:SCRATCH_EN: 0
; COMPUTE_PGM_RSRC2:USER_SGPR: 2
; COMPUTE_PGM_RSRC2:TRAP_HANDLER: 0
; COMPUTE_PGM_RSRC2:TGID_X_EN: 1
; COMPUTE_PGM_RSRC2:TGID_Y_EN: 1
; COMPUTE_PGM_RSRC2:TGID_Z_EN: 0
; COMPUTE_PGM_RSRC2:TIDIG_COMP_CNT: 1
	.section	.text._ZL8moe_q8_0IN3c108BFloat16ELb1EEvPKvS3_PT_PKiS7_S7_iiiiiii,"axG",@progbits,_ZL8moe_q8_0IN3c108BFloat16ELb1EEvPKvS3_PT_PKiS7_S7_iiiiiii,comdat
	.globl	_ZL8moe_q8_0IN3c108BFloat16ELb1EEvPKvS3_PT_PKiS7_S7_iiiiiii ; -- Begin function _ZL8moe_q8_0IN3c108BFloat16ELb1EEvPKvS3_PT_PKiS7_S7_iiiiiii
	.p2align	8
	.type	_ZL8moe_q8_0IN3c108BFloat16ELb1EEvPKvS3_PT_PKiS7_S7_iiiiiii,@function
_ZL8moe_q8_0IN3c108BFloat16ELb1EEvPKvS3_PT_PKiS7_S7_iiiiiii: ; @_ZL8moe_q8_0IN3c108BFloat16ELb1EEvPKvS3_PT_PKiS7_S7_iiiiiii
; %bb.0:
	s_load_b128 s[4:7], s[0:1], 0x18
	s_bfe_u32 s2, ttmp6, 0x40010
	s_bfe_u32 s8, ttmp6, 0x40004
	s_add_co_i32 s2, s2, 1
	s_delay_alu instid0(SALU_CYCLE_1)
	s_mul_i32 s3, ttmp7, s2
	s_getreg_b32 s2, hwreg(HW_REG_IB_STS2, 6, 4)
	s_add_co_i32 s8, s8, s3
	s_cmp_eq_u32 s2, 0
	s_cselect_b32 s3, ttmp7, s8
	s_wait_kmcnt 0x0
	s_load_b32 s14, s[6:7], s3 offset:0x0 scale_offset
	s_wait_kmcnt 0x0
	s_cmp_gt_u32 s14, 0xff
	s_cbranch_scc1 .LBB226_22
; %bb.1:
	s_load_b64 s[6:7], s[0:1], 0x28
	s_lshl_b32 s3, s3, 3
	s_wait_kmcnt 0x0
	s_load_b32 s6, s[6:7], 0x0
	s_wait_kmcnt 0x0
	s_cmp_gt_u32 s3, s6
	s_cbranch_scc1 .LBB226_22
; %bb.2:
	v_bfe_u32 v20, v0, 10, 10
	s_and_b32 s11, ttmp6, 15
	v_and_b32_e32 v3, 0x3ff, v0
	s_mov_b32 s15, 0
	s_delay_alu instid0(VALU_DEP_2) | instskip(SKIP_1) | instid1(SALU_CYCLE_1)
	v_dual_mov_b32 v17, 0 :: v_dual_add_nc_u32 v1, s3, v20
	s_bfe_u32 s3, ttmp6, 0x4000c
	s_add_co_i32 s3, s3, 1
	s_delay_alu instid0(VALU_DEP_1)
	v_dual_mov_b32 v16, v17 :: v_dual_mov_b32 v41, v17
	global_load_b32 v1, v1, s[4:5] scale_offset
	s_wait_xcnt 0x0
	s_clause 0x2
	s_load_b128 s[4:7], s[0:1], 0x30
	s_load_b64 s[12:13], s[0:1], 0x10
	s_load_b96 s[8:10], s[0:1], 0x40
	s_mul_i32 s3, ttmp9, s3
	v_mov_b32_e32 v48, v17
	s_add_co_i32 s11, s11, s3
	s_cmp_eq_u32 s2, 0
	s_cselect_b32 s2, ttmp9, s11
	s_delay_alu instid0(SALU_CYCLE_1)
	s_lshl_b32 s11, s2, 7
	s_wait_kmcnt 0x0
	s_cmp_lt_i32 s5, 32
	s_cbranch_scc1 .LBB226_13
; %bb.3:
	s_load_b128 s[0:3], s[0:1], 0x0
	s_ashr_i32 s16, s5, 31
	s_ashr_i32 s17, s8, 31
	s_mul_i32 s18, s14, s4
	s_lshr_b32 s14, s16, 27
	s_lshr_b32 s16, s17, 27
	s_ashr_i32 s19, s18, 31
	s_add_co_i32 s8, s8, s16
	v_bfe_u32 v18, v0, 2, 8
	s_not_b32 s4, s11
	s_add_co_i32 s14, s5, s14
	s_add_co_i32 s6, s6, s4
	s_wait_loadcnt 0x0
	v_dual_sub_nc_u32 v27, 0, v1 :: v_dual_min_i32 v7, s6, v20
	v_lshl_add_u32 v18, v20, 3, v18
	s_ashr_i32 s4, s14, 5
	v_dual_mov_b32 v5, 0 :: v_dual_lshlrev_b32 v16, 2, v3
	v_bfe_u32 v2, v0, 3, 7
	s_delay_alu instid0(VALU_DEP_3)
	v_min_i32_e32 v40, s6, v18
	s_wait_kmcnt 0x0
	s_add_nc_u64 s[18:19], s[0:1], s[18:19]
	s_abs_i32 s0, s10
	s_ashr_i32 s1, s8, 5
	s_cvt_f32_u32 s8, s0
	s_sub_co_i32 s14, 0, s0
	v_dual_ashrrev_i32 v35, 31, v40 :: v_dual_max_i32 v30, v1, v27
	s_delay_alu instid0(SALU_CYCLE_1)
	v_rcp_iflag_f32_e32 v17, s8
	v_and_b32_e32 v4, 28, v16
	v_add_min_i32_e64 v42, v18, 64, s6
	v_add_min_i32_e64 v22, v20, 40, s6
	v_lshrrev_b32_e32 v35, 29, v35
	v_lshl_add_u32 v50, v20, 7, 0x4a40
	v_add_min_i32_e64 v9, v20, 8, s6
	v_readfirstlane_b32 s8, v17
	s_delay_alu instid0(VALU_DEP_4) | instskip(SKIP_3) | instid1(VALU_DEP_3)
	v_dual_ashrrev_i32 v46, 31, v42 :: v_dual_add_nc_u32 v18, v40, v35
	v_add_min_i32_e64 v17, v20, 56, s6
	v_add_min_i32_e64 v11, v20, 16, s6
	s_mul_f32 s8, s8, 0x4f7ffffe
	v_lshrrev_b32_e32 v46, 29, v46
	v_dual_ashrrev_i32 v47, 3, v18 :: v_dual_bitop2_b32 v18, 3, v0 bitop3:0x40
	s_delay_alu instid0(SALU_CYCLE_1)
	s_cvt_u32_f32 s8, s8
	v_add_min_i32_e64 v13, v20, 24, s6
	v_add_min_i32_e64 v15, v20, 32, s6
	;; [unrolled: 1-line block ×3, first 2 shown]
	s_mul_i32 s14, s14, s8
	v_mad_u32 v19, 0x84, v22, v16
	s_mul_hi_u32 s14, s8, s14
	v_add_min_i32_e64 v26, v20, 64, s6
	s_add_co_i32 s8, s8, s14
	v_mad_u32 v23, 0x84, v17, v16
	v_mul_hi_u32 v34, v30, s8
	v_add_min_i32_e64 v28, 0x48, v20, s6
	v_add_min_i32_e64 v32, 0x50, v20, s6
	;; [unrolled: 1-line block ×7, first 2 shown]
	v_mul_lo_u32 v6, v7, s4
	v_mad_u32 v7, 0x84, v7, v16
	v_mul_lo_u32 v8, v9, s4
	v_mul_lo_u32 v43, v34, s0
	v_mad_u32 v9, 0x84, v9, v16
	v_mul_lo_u32 v10, v11, s4
	v_mad_u32 v11, 0x84, v11, v16
	;; [unrolled: 2-line block ×4, first 2 shown]
	v_mad_u32 v21, 0x84, v24, v16
	v_mad_u32 v25, 0x84, v26, v16
	v_add_nc_u32_e32 v46, v42, v46
	v_sub_nc_u32_e32 v30, v30, v43
	v_dual_lshlrev_b32 v43, 2, v47 :: v_dual_add_nc_u32 v47, 1, v34
	v_mad_u32 v27, 0x84, v28, v16
	s_delay_alu instid0(VALU_DEP_4) | instskip(NEXT) | instid1(VALU_DEP_4)
	v_ashrrev_i32_e32 v46, 3, v46
	v_subrev_nc_u32_e32 v49, s0, v30
	v_cmp_le_u32_e32 vcc_lo, s0, v30
	v_lshlrev_b32_e32 v48, 2, v18
	v_mad_u32 v29, 0x84, v32, v16
	v_lshlrev_b32_e32 v54, 4, v40
	v_dual_cndmask_b32 v34, v34, v47, vcc_lo :: v_dual_bitop2_b32 v0, 31, v0 bitop3:0x40
	v_cndmask_b32_e32 v30, v30, v49, vcc_lo
	v_add3_u32 v53, v43, v48, 0x4200
	v_dual_lshlrev_b32 v46, 2, v46 :: v_dual_bitop2_b32 v43, s10, v1 bitop3:0x14
	s_delay_alu instid0(VALU_DEP_4) | instskip(NEXT) | instid1(VALU_DEP_4)
	v_add_nc_u32_e32 v47, 1, v34
	v_cmp_le_u32_e32 vcc_lo, s0, v30
	v_lshlrev_b32_e32 v49, 4, v3
	s_delay_alu instid0(VALU_DEP_4)
	v_dual_ashrrev_i32 v43, 31, v43 :: v_dual_lshlrev_b32 v55, 4, v42
	v_lshl_add_u32 v51, v0, 2, v50
	v_cndmask_b32_e32 v30, v34, v47, vcc_lo
	v_add3_u32 v34, v46, v48, 0x4200
	v_add_nc_u32_e32 v46, 0x60, v3
	v_dual_add_nc_u32 v47, 64, v3 :: v_dual_add_nc_u32 v48, 32, v3
	v_mul_lo_u32 v0, v22, s4
	v_mul_lo_u32 v22, v17, s4
	s_delay_alu instid0(VALU_DEP_4) | instskip(NEXT) | instid1(VALU_DEP_4)
	v_dual_mov_b32 v17, v5 :: v_dual_lshrrev_b32 v46, 1, v46
	v_dual_lshrrev_b32 v48, 1, v48 :: v_dual_bitop2_b32 v30, v30, v43 bitop3:0x14
	v_mad_u32 v31, 0x84, v36, v16
	v_mad_u32 v33, 0x84, v38, v16
	;; [unrolled: 1-line block ×5, first 2 shown]
	v_dual_sub_nc_u32 v30, v30, v43 :: v_dual_lshlrev_b32 v20, 4, v20
	v_add_nc_u32_e32 v16, 0x4e40, v16
	v_dual_lshrrev_b32 v47, 1, v47 :: v_dual_add_nc_u32 v53, v53, v54
	v_add_nc_u32_e32 v55, v34, v55
	s_delay_alu instid0(VALU_DEP_4)
	v_cmp_gt_i32_e32 vcc_lo, s7, v30
	v_mul_lo_u32 v52, v30, s1
	v_add_nc_u32_e32 v54, 0x4e40, v20
	v_mul_lo_u32 v30, v36, s4
	v_mul_lo_u32 v34, v41, s4
	;; [unrolled: 1-line block ×5, first 2 shown]
	v_dual_mov_b32 v41, v5 :: v_dual_add_nc_u32 v56, v16, v20
	v_mov_b32_e32 v16, v5
	v_mul_lo_u32 v20, v24, s4
	v_mul_lo_u32 v24, v26, s4
	;; [unrolled: 1-line block ×6, first 2 shown]
	v_and_b32_e32 v43, 0xfc, v46
	v_and_b32_e32 v46, 0xfc, v47
	;; [unrolled: 1-line block ×3, first 2 shown]
	v_lshlrev_b32_e32 v48, 2, v2
	s_mul_i32 s16, s4, s11
	v_cmp_gt_u32_e64 s0, 4, v3
	v_add_nc_u64_e32 v[44:45], s[2:3], v[4:5]
	s_ashr_i32 s17, s16, 31
	v_add3_u32 v43, v49, v43, 0x4800
	v_add3_u32 v46, v49, v46, 0x4600
	;; [unrolled: 1-line block ×4, first 2 shown]
	v_mul_u32_u24_e32 v57, 0x84, v3
	v_mov_b32_e32 v48, v5
	s_mul_u64 s[16:17], s[16:17], 34
	s_and_b32 s6, s0, vcc_lo
	s_add_nc_u64 s[16:17], s[18:19], s[16:17]
	s_mov_b32 s14, s15
	s_branch .LBB226_5
.LBB226_4:                              ;   in Loop: Header=BB226_5 Depth=1
	s_add_co_i32 s14, s14, 4
	s_delay_alu instid0(SALU_CYCLE_1)
	s_cmp_ge_i32 s14, s4
	s_cbranch_scc1 .LBB226_13
.LBB226_5:                              ; =>This Loop Header: Depth=1
                                        ;     Child Loop BB226_11 Depth 2
	s_mul_u64 s[18:19], s[14:15], 34
	s_lshl_b32 s0, s14, 5
	s_add_nc_u64 s[18:19], s[16:17], s[18:19]
	s_cmp_ge_i32 s0, s5
	v_mad_nc_u64_u32 v[58:59], v2, 34, s[18:19]
	v_mad_nc_u64_u32 v[60:61], v18, 34, s[18:19]
	s_delay_alu instid0(VALU_DEP_2)
	v_mad_nc_i64_i32 v[62:63], v6, 34, v[58:59]
	v_mad_nc_i64_i32 v[64:65], v8, 34, v[58:59]
	;; [unrolled: 1-line block ×17, first 2 shown]
	v_add_nc_u64_e32 v[62:63], v[62:63], v[4:5]
	v_mad_nc_i64_i32 v[58:59], v38, 34, v[58:59]
	v_add_nc_u64_e32 v[64:65], v[64:65], v[4:5]
	v_add_nc_u64_e32 v[66:67], v[66:67], v[4:5]
	;; [unrolled: 1-line block ×7, first 2 shown]
	s_clause 0x9
	global_load_u16 v94, v[92:93], off
	global_load_u16 v95, v[60:61], off
	global_load_b32 v96, v[62:63], off offset:2
	global_load_b32 v97, v[64:65], off offset:2
	;; [unrolled: 1-line block ×8, first 2 shown]
	s_wait_xcnt 0x8
	v_add_nc_u64_e32 v[60:61], v[78:79], v[4:5]
	s_wait_xcnt 0x7
	v_add_nc_u64_e32 v[62:63], v[80:81], v[4:5]
	;; [unrolled: 2-line block ×7, first 2 shown]
	v_add_nc_u64_e32 v[58:59], v[58:59], v[4:5]
	s_clause 0x7
	global_load_b32 v74, v[60:61], off offset:2
	global_load_b32 v75, v[62:63], off offset:2
	;; [unrolled: 1-line block ×8, first 2 shown]
	s_wait_loadcnt 0x11
	s_wait_xcnt 0x0
	v_cvt_f32_f16_e32 v58, v94
	s_wait_loadcnt 0x10
	v_cvt_f32_f16_e32 v59, v95
	s_wait_loadcnt 0xf
	ds_store_b32 v7, v96
	ds_store_b32 v53, v58
	s_wait_loadcnt 0xe
	ds_store_b32 v9, v97
	s_wait_loadcnt 0xd
	;; [unrolled: 2-line block ×15, first 2 shown]
	ds_store_b32 v39, v81
	ds_store_b32 v55, v59
	s_cbranch_scc1 .LBB226_4
; %bb.6:                                ;   in Loop: Header=BB226_5 Depth=1
	v_add_nc_u32_e32 v58, s14, v2
	s_delay_alu instid0(VALU_DEP_1) | instskip(SKIP_1) | instid1(SALU_CYCLE_1)
	v_cmp_gt_i32_e64 s0, s1, v58
	s_and_b32 s8, vcc_lo, s0
	s_and_saveexec_b32 s0, s8
	s_cbranch_execz .LBB226_8
; %bb.7:                                ;   in Loop: Header=BB226_5 Depth=1
	v_add_nc_u32_e32 v58, v52, v58
	s_delay_alu instid0(VALU_DEP_1)
	v_mad_nc_i64_i32 v[58:59], v58, 36, v[44:45]
	global_load_b32 v58, v[58:59], off offset:4
	s_wait_loadcnt 0x0
	ds_store_b32 v51, v58
.LBB226_8:                              ;   in Loop: Header=BB226_5 Depth=1
	s_or_b32 exec_lo, exec_lo, s0
	v_or_b32_e32 v58, s14, v3
	s_delay_alu instid0(VALU_DEP_1) | instskip(SKIP_1) | instid1(SALU_CYCLE_1)
	v_cmp_gt_i32_e64 s0, s1, v58
	s_and_b32 s8, s6, s0
	s_and_saveexec_b32 s0, s8
	s_cbranch_execz .LBB226_10
; %bb.9:                                ;   in Loop: Header=BB226_5 Depth=1
	v_add_nc_u32_e32 v58, v52, v58
	s_delay_alu instid0(VALU_DEP_1)
	v_mad_nc_i64_i32 v[58:59], v58, 36, s[2:3]
	global_load_b32 v58, v[58:59], off
	s_wait_loadcnt 0x0
	v_cvt_f32_f16_e32 v58, v58
	ds_store_b32 v56, v58
.LBB226_10:                             ;   in Loop: Header=BB226_5 Depth=1
	s_or_b32 exec_lo, exec_lo, s0
	v_dual_mov_b32 v58, v50 :: v_dual_mov_b32 v59, v54
	v_dual_mov_b32 v60, v49 :: v_dual_mov_b32 v61, v47
	v_dual_mov_b32 v62, v46 :: v_dual_mov_b32 v63, v43
	v_mov_b32_e32 v64, v57
	s_mov_b32 s0, -8
	s_wait_dscnt 0x0
	s_barrier_signal -1
	s_barrier_wait -1
.LBB226_11:                             ;   Parent Loop BB226_5 Depth=1
                                        ; =>  This Inner Loop Header: Depth=2
	ds_load_b32 v74, v59
	ds_load_b32 v110, v60
	ds_load_2addr_b32 v[76:77], v64 offset1:1
	ds_load_b32 v111, v61
	ds_load_b32 v78, v62
	;; [unrolled: 1-line block ×3, first 2 shown]
	ds_load_b128 v[66:69], v58
	ds_load_b128 v[70:73], v58 offset:16
	v_add_nc_u32_e32 v65, 0x1080, v64
	v_add_nc_u32_e32 v75, 0x1088, v64
	;; [unrolled: 1-line block ×12, first 2 shown]
	ds_load_2addr_b32 v[80:81], v64 offset0:2 offset1:3
	ds_load_2addr_b32 v[82:83], v64 offset0:4 offset1:5
	;; [unrolled: 1-line block ×3, first 2 shown]
	ds_load_2addr_b32 v[86:87], v65 offset1:1
	ds_load_2addr_b32 v[88:89], v75 offset1:1
	;; [unrolled: 1-line block ×12, first 2 shown]
	s_wait_dscnt 0x15
	v_dual_mul_f32 v65, v74, v110 :: v_dual_add_nc_u32 v64, 32, v64
	v_dual_add_nc_u32 v63, 4, v63 :: v_dual_add_nc_u32 v62, 4, v62
	v_add_nc_u32_e32 v61, 4, v61
	s_wait_dscnt 0x10
	v_dot4_i32_iu8 v75, v66, v76, 0 neg_lo:[1,1,0]
	v_perm_b32 v76, v66, v67, 0xc0c0501
	v_perm_b32 v110, v69, v68, 0x5010c0c
	;; [unrolled: 1-line block ×6, first 2 shown]
	s_wait_dscnt 0xb
	v_dot4_i32_iu8 v86, v66, v86, 0 neg_lo:[1,1,0]
	s_wait_dscnt 0x7
	v_dot4_i32_iu8 v66, v66, v94, 0 neg_lo:[1,1,0]
	v_dot4_i32_iu8 v75, v67, v77, v75 neg_lo:[1,1,0]
	v_or_b32_e32 v76, v110, v76
	s_wait_dscnt 0x3
	v_perm_b32 v77, v102, v103, 0xc0c0501
	s_wait_dscnt 0x2
	v_perm_b32 v94, v105, v104, 0x5010c0c
	v_dual_add_nc_u32 v59, 4, v59 :: v_dual_bitop2_b32 v110, v113, v112 bitop3:0x54
	v_perm_b32 v112, v102, v103, 0xc0c0703
	v_perm_b32 v113, v105, v104, 0x7030c0c
	v_dot4_i32_iu8 v86, v67, v87, v86 neg_lo:[1,1,0]
	v_dot4_i32_iu8 v66, v67, v95, v66 neg_lo:[1,1,0]
	;; [unrolled: 1-line block ×3, first 2 shown]
	v_perm_b32 v115, v69, v68, 0x4000c0c
	v_perm_b32 v117, v69, v68, 0x6020c0c
	;; [unrolled: 1-line block ×10, first 2 shown]
	v_or_b32_e32 v75, v94, v77
	v_or_b32_e32 v77, v113, v112
	v_dot4_i32_iu8 v86, v68, v88, v86 neg_lo:[1,1,0]
	v_dot4_i32_iu8 v66, v68, v96, v66 neg_lo:[1,1,0]
	;; [unrolled: 1-line block ×3, first 2 shown]
	v_dual_add_nc_u32 v60, 4, v60 :: v_dual_bitop2_b32 v114, v115, v114 bitop3:0x54
	v_perm_b32 v115, v102, v103, 0xc0c0400
	v_dual_add_nc_u32 v58, 32, v58 :: v_dual_bitop2_b32 v116, v117, v116 bitop3:0x54
	v_perm_b32 v117, v105, v104, 0x4000c0c
	v_perm_b32 v102, v102, v103, 0xc0c0602
	;; [unrolled: 1-line block ×3, first 2 shown]
	v_or_b32_e32 v104, v119, v118
	s_wait_dscnt 0x1
	v_perm_b32 v105, v107, v106, 0xc0c0602
	v_or_b32_e32 v119, v121, v120
	v_perm_b32 v120, v107, v106, 0xc0c0400
	v_or_b32_e32 v122, v123, v122
	;; [unrolled: 2-line block ×3, first 2 shown]
	s_wait_dscnt 0x0
	v_perm_b32 v125, v109, v108, 0x7030c0c
	v_perm_b32 v106, v107, v106, 0xc0c0501
	;; [unrolled: 1-line block ×3, first 2 shown]
	v_dot4_i32_iu8 v68, v75, v76, 0 neg_lo:[1,1,0]
	v_dot4_i32_iu8 v75, v77, v110, 0 neg_lo:[1,1,0]
	v_dot4_i32_iu8 v77, v69, v89, v86 neg_lo:[1,1,0]
	v_dot4_i32_iu8 v66, v69, v97, v66 neg_lo:[1,1,0]
	v_dot4_i32_iu8 v67, v70, v82, v67 neg_lo:[1,1,0]
	v_or_b32_e32 v87, v103, v102
	v_or_b32_e32 v102, v125, v123
	v_or_b32_e32 v103, v107, v106
	v_dot4_i32_iu8 v77, v70, v90, v77 neg_lo:[1,1,0]
	v_dot4_i32_iu8 v66, v70, v98, v66 neg_lo:[1,1,0]
	;; [unrolled: 1-line block ×8, first 2 shown]
	v_perm_b32 v118, v109, v108, 0x6020c0c
	v_perm_b32 v121, v109, v108, 0x4000c0c
	v_dual_add_nc_u32 v68, v68, v70 :: v_dual_bitop2_b32 v80, v117, v115 bitop3:0x54
	v_dot4_i32_iu8 v70, v72, v92, v75 neg_lo:[1,1,0]
	v_dot4_i32_iu8 v66, v72, v100, v66 neg_lo:[1,1,0]
	;; [unrolled: 1-line block ×3, first 2 shown]
	v_or_b32_e32 v94, v118, v105
	v_or_b32_e32 v95, v121, v120
	v_dot4_i32_iu8 v76, v87, v116, 0 neg_lo:[1,1,0]
	v_dot4_i32_iu8 v69, v80, v114, 0 neg_lo:[1,1,0]
	v_cvt_f32_i32_e32 v72, v72
	v_dot4_i32_iu8 v70, v73, v93, v70 neg_lo:[1,1,0]
	v_dot4_i32_iu8 v73, v73, v101, v66 neg_lo:[1,1,0]
	v_mul_f32_e32 v71, v74, v111
	v_dot4_i32_iu8 v69, v95, v119, v69 neg_lo:[1,1,0]
	v_fmac_f32_e32 v48, v65, v72
	v_dot4_i32_iu8 v76, v94, v104, v76 neg_lo:[1,1,0]
	v_pk_mul_f32 v[66:67], v[74:75], v[78:79] op_sel_hi:[0,1]
	v_cvt_f32_i32_e32 v70, v70
	s_add_co_i32 s0, s0, 8
	s_delay_alu instid0(VALU_DEP_3) | instskip(SKIP_1) | instid1(VALU_DEP_2)
	v_add3_u32 v68, v69, v76, v68
	s_cmp_lt_u32 s0, 24
	v_fmac_f32_e32 v41, v71, v70
	s_delay_alu instid0(VALU_DEP_2) | instskip(SKIP_1) | instid1(VALU_DEP_1)
	v_cvt_f32_i32_e32 v69, v68
	v_cvt_f32_i32_e32 v68, v73
	v_pk_fma_f32 v[16:17], v[66:67], v[68:69], v[16:17]
	s_cbranch_scc1 .LBB226_11
; %bb.12:                               ;   in Loop: Header=BB226_5 Depth=1
	s_barrier_signal -1
	s_barrier_wait -1
	s_branch .LBB226_4
.LBB226_13:
	s_mul_i32 s0, s10, s7
	s_wait_loadcnt 0x0
	v_cmp_gt_i32_e32 vcc_lo, s0, v1
	s_and_saveexec_b32 s0, vcc_lo
	s_cbranch_execz .LBB226_22
; %bb.14:
	v_mul_lo_u32 v0, v1, s9
	v_add_nc_u32_e32 v1, s11, v3
	s_mov_b32 s0, exec_lo
	s_delay_alu instid0(VALU_DEP_1)
	v_cmpx_gt_u32_e64 s9, v1
	s_cbranch_execz .LBB226_16
; %bb.15:
	v_bfe_u32 v2, v48, 16, 1
	v_cmp_o_f32_e32 vcc_lo, v48, v48
	v_add_nc_u32_e32 v3, v0, v1
	s_delay_alu instid0(VALU_DEP_3) | instskip(NEXT) | instid1(VALU_DEP_1)
	v_add3_u32 v2, v48, v2, 0x7fff
	v_lshrrev_b32_e32 v2, 16, v2
	s_delay_alu instid0(VALU_DEP_1)
	v_cndmask_b32_e32 v2, 0x7fc0, v2, vcc_lo
	global_store_b16 v3, v2, s[12:13] scale_offset
.LBB226_16:
	s_wait_xcnt 0x0
	s_or_b32 exec_lo, exec_lo, s0
	v_add_nc_u32_e32 v2, 32, v1
	s_mov_b32 s0, exec_lo
	s_delay_alu instid0(VALU_DEP_1)
	v_cmpx_gt_u32_e64 s9, v2
	s_cbranch_execz .LBB226_18
; %bb.17:
	v_bfe_u32 v3, v41, 16, 1
	v_cmp_o_f32_e32 vcc_lo, v41, v41
	v_add_nc_u32_e32 v2, v0, v2
	s_delay_alu instid0(VALU_DEP_3) | instskip(NEXT) | instid1(VALU_DEP_1)
	v_add3_u32 v3, v41, v3, 0x7fff
	v_lshrrev_b32_e32 v3, 16, v3
	s_delay_alu instid0(VALU_DEP_1)
	v_cndmask_b32_e32 v3, 0x7fc0, v3, vcc_lo
	global_store_b16 v2, v3, s[12:13] scale_offset
.LBB226_18:
	s_wait_xcnt 0x0
	s_or_b32 exec_lo, exec_lo, s0
	v_add_nc_u32_e32 v2, 64, v1
	s_mov_b32 s0, exec_lo
	s_delay_alu instid0(VALU_DEP_1)
	v_cmpx_gt_u32_e64 s9, v2
	s_cbranch_execz .LBB226_20
; %bb.19:
	v_bfe_u32 v3, v16, 16, 1
	v_cmp_o_f32_e32 vcc_lo, v16, v16
	v_add_nc_u32_e32 v2, v0, v2
	s_delay_alu instid0(VALU_DEP_3) | instskip(NEXT) | instid1(VALU_DEP_1)
	v_add3_u32 v3, v16, v3, 0x7fff
	v_lshrrev_b32_e32 v3, 16, v3
	s_delay_alu instid0(VALU_DEP_1)
	v_cndmask_b32_e32 v3, 0x7fc0, v3, vcc_lo
	global_store_b16 v2, v3, s[12:13] scale_offset
.LBB226_20:
	s_wait_xcnt 0x0
	s_or_b32 exec_lo, exec_lo, s0
	v_add_nc_u32_e32 v1, 0x60, v1
	s_delay_alu instid0(VALU_DEP_1)
	v_cmp_gt_u32_e32 vcc_lo, s9, v1
	s_and_b32 exec_lo, exec_lo, vcc_lo
	s_cbranch_execz .LBB226_22
; %bb.21:
	v_bfe_u32 v2, v17, 16, 1
	v_cmp_o_f32_e32 vcc_lo, v17, v17
	v_add_nc_u32_e32 v0, v0, v1
	s_delay_alu instid0(VALU_DEP_3) | instskip(NEXT) | instid1(VALU_DEP_1)
	v_add3_u32 v2, v17, v2, 0x7fff
	v_lshrrev_b32_e32 v2, 16, v2
	s_delay_alu instid0(VALU_DEP_1)
	v_cndmask_b32_e32 v2, 0x7fc0, v2, vcc_lo
	global_store_b16 v0, v2, s[12:13] scale_offset
.LBB226_22:
	s_sendmsg sendmsg(MSG_DEALLOC_VGPRS)
	s_endpgm
	.section	.rodata,"a",@progbits
	.p2align	6, 0x0
	.amdhsa_kernel _ZL8moe_q8_0IN3c108BFloat16ELb1EEvPKvS3_PT_PKiS7_S7_iiiiiii
		.amdhsa_group_segment_fixed_size 20160
		.amdhsa_private_segment_fixed_size 0
		.amdhsa_kernarg_size 76
		.amdhsa_user_sgpr_count 2
		.amdhsa_user_sgpr_dispatch_ptr 0
		.amdhsa_user_sgpr_queue_ptr 0
		.amdhsa_user_sgpr_kernarg_segment_ptr 1
		.amdhsa_user_sgpr_dispatch_id 0
		.amdhsa_user_sgpr_kernarg_preload_length 0
		.amdhsa_user_sgpr_kernarg_preload_offset 0
		.amdhsa_user_sgpr_private_segment_size 0
		.amdhsa_wavefront_size32 1
		.amdhsa_uses_dynamic_stack 0
		.amdhsa_enable_private_segment 0
		.amdhsa_system_sgpr_workgroup_id_x 1
		.amdhsa_system_sgpr_workgroup_id_y 1
		.amdhsa_system_sgpr_workgroup_id_z 0
		.amdhsa_system_sgpr_workgroup_info 0
		.amdhsa_system_vgpr_workitem_id 1
		.amdhsa_next_free_vgpr 126
		.amdhsa_next_free_sgpr 20
		.amdhsa_named_barrier_count 0
		.amdhsa_reserve_vcc 1
		.amdhsa_float_round_mode_32 0
		.amdhsa_float_round_mode_16_64 0
		.amdhsa_float_denorm_mode_32 3
		.amdhsa_float_denorm_mode_16_64 3
		.amdhsa_fp16_overflow 0
		.amdhsa_memory_ordered 1
		.amdhsa_forward_progress 1
		.amdhsa_inst_pref_size 31
		.amdhsa_round_robin_scheduling 0
		.amdhsa_exception_fp_ieee_invalid_op 0
		.amdhsa_exception_fp_denorm_src 0
		.amdhsa_exception_fp_ieee_div_zero 0
		.amdhsa_exception_fp_ieee_overflow 0
		.amdhsa_exception_fp_ieee_underflow 0
		.amdhsa_exception_fp_ieee_inexact 0
		.amdhsa_exception_int_div_zero 0
	.end_amdhsa_kernel
	.section	.text._ZL8moe_q8_0IN3c108BFloat16ELb1EEvPKvS3_PT_PKiS7_S7_iiiiiii,"axG",@progbits,_ZL8moe_q8_0IN3c108BFloat16ELb1EEvPKvS3_PT_PKiS7_S7_iiiiiii,comdat
.Lfunc_end226:
	.size	_ZL8moe_q8_0IN3c108BFloat16ELb1EEvPKvS3_PT_PKiS7_S7_iiiiiii, .Lfunc_end226-_ZL8moe_q8_0IN3c108BFloat16ELb1EEvPKvS3_PT_PKiS7_S7_iiiiiii
                                        ; -- End function
	.set _ZL8moe_q8_0IN3c108BFloat16ELb1EEvPKvS3_PT_PKiS7_S7_iiiiiii.num_vgpr, 126
	.set _ZL8moe_q8_0IN3c108BFloat16ELb1EEvPKvS3_PT_PKiS7_S7_iiiiiii.num_agpr, 0
	.set _ZL8moe_q8_0IN3c108BFloat16ELb1EEvPKvS3_PT_PKiS7_S7_iiiiiii.numbered_sgpr, 20
	.set _ZL8moe_q8_0IN3c108BFloat16ELb1EEvPKvS3_PT_PKiS7_S7_iiiiiii.num_named_barrier, 0
	.set _ZL8moe_q8_0IN3c108BFloat16ELb1EEvPKvS3_PT_PKiS7_S7_iiiiiii.private_seg_size, 0
	.set _ZL8moe_q8_0IN3c108BFloat16ELb1EEvPKvS3_PT_PKiS7_S7_iiiiiii.uses_vcc, 1
	.set _ZL8moe_q8_0IN3c108BFloat16ELb1EEvPKvS3_PT_PKiS7_S7_iiiiiii.uses_flat_scratch, 0
	.set _ZL8moe_q8_0IN3c108BFloat16ELb1EEvPKvS3_PT_PKiS7_S7_iiiiiii.has_dyn_sized_stack, 0
	.set _ZL8moe_q8_0IN3c108BFloat16ELb1EEvPKvS3_PT_PKiS7_S7_iiiiiii.has_recursion, 0
	.set _ZL8moe_q8_0IN3c108BFloat16ELb1EEvPKvS3_PT_PKiS7_S7_iiiiiii.has_indirect_call, 0
	.section	.AMDGPU.csdata,"",@progbits
; Kernel info:
; codeLenInByte = 3880
; TotalNumSgprs: 22
; NumVgprs: 126
; ScratchSize: 0
; MemoryBound: 0
; FloatMode: 240
; IeeeMode: 1
; LDSByteSize: 20160 bytes/workgroup (compile time only)
; SGPRBlocks: 0
; VGPRBlocks: 7
; NumSGPRsForWavesPerEU: 22
; NumVGPRsForWavesPerEU: 126
; NamedBarCnt: 0
; Occupancy: 8
; WaveLimiterHint : 1
; COMPUTE_PGM_RSRC2:SCRATCH_EN: 0
; COMPUTE_PGM_RSRC2:USER_SGPR: 2
; COMPUTE_PGM_RSRC2:TRAP_HANDLER: 0
; COMPUTE_PGM_RSRC2:TGID_X_EN: 1
; COMPUTE_PGM_RSRC2:TGID_Y_EN: 1
; COMPUTE_PGM_RSRC2:TGID_Z_EN: 0
; COMPUTE_PGM_RSRC2:TIDIG_COMP_CNT: 1
	.section	.text._ZL8moe_q2_KIN3c108BFloat16ELb0EEvPKvS3_PT_PKiS7_S7_iiiiiii,"axG",@progbits,_ZL8moe_q2_KIN3c108BFloat16ELb0EEvPKvS3_PT_PKiS7_S7_iiiiiii,comdat
	.globl	_ZL8moe_q2_KIN3c108BFloat16ELb0EEvPKvS3_PT_PKiS7_S7_iiiiiii ; -- Begin function _ZL8moe_q2_KIN3c108BFloat16ELb0EEvPKvS3_PT_PKiS7_S7_iiiiiii
	.p2align	8
	.type	_ZL8moe_q2_KIN3c108BFloat16ELb0EEvPKvS3_PT_PKiS7_S7_iiiiiii,@function
_ZL8moe_q2_KIN3c108BFloat16ELb0EEvPKvS3_PT_PKiS7_S7_iiiiiii: ; @_ZL8moe_q2_KIN3c108BFloat16ELb0EEvPKvS3_PT_PKiS7_S7_iiiiiii
; %bb.0:
	s_load_b128 s[4:7], s[0:1], 0x18
	s_bfe_u32 s2, ttmp6, 0x40010
	s_bfe_u32 s8, ttmp6, 0x40004
	s_add_co_i32 s2, s2, 1
	s_delay_alu instid0(SALU_CYCLE_1)
	s_mul_i32 s3, ttmp7, s2
	s_getreg_b32 s2, hwreg(HW_REG_IB_STS2, 6, 4)
	s_add_co_i32 s8, s8, s3
	s_cmp_eq_u32 s2, 0
	s_cselect_b32 s3, ttmp7, s8
	s_wait_kmcnt 0x0
	s_load_b32 s12, s[6:7], s3 offset:0x0 scale_offset
	s_wait_kmcnt 0x0
	s_cmp_gt_u32 s12, 0xff
	s_cbranch_scc1 .LBB227_47
; %bb.1:
	s_load_b64 s[6:7], s[0:1], 0x28
	s_lshl_b32 s3, s3, 3
	s_wait_kmcnt 0x0
	s_load_b32 s6, s[6:7], 0x0
	s_wait_kmcnt 0x0
	s_cmp_gt_u32 s3, s6
	s_cbranch_scc1 .LBB227_47
; %bb.2:
	v_bfe_u32 v1, v0, 10, 10
	s_and_b32 s13, ttmp6, 15
	v_and_b32_e32 v13, 0x3ff, v0
	s_delay_alu instid0(VALU_DEP_2) | instskip(SKIP_1) | instid1(SALU_CYCLE_1)
	v_add_nc_u32_e32 v2, s3, v1
	s_bfe_u32 s3, ttmp6, 0x4000c
	s_add_co_i32 s3, s3, 1
	s_delay_alu instid0(SALU_CYCLE_1)
	s_mul_i32 s3, ttmp9, s3
	global_load_b32 v9, v2, s[4:5] scale_offset
	s_clause 0x2
	s_load_b64 s[10:11], s[0:1], 0x30
	s_load_b64 s[8:9], s[0:1], 0x10
	s_load_b128 s[4:7], s[0:1], 0x3c
	s_add_co_i32 s13, s13, s3
	s_cmp_eq_u32 s2, 0
	s_cselect_b32 s2, ttmp9, s13
	s_mov_b32 s13, 0
	s_lshl_b32 s18, s2, 7
	s_wait_kmcnt 0x0
	s_cmp_lt_i32 s11, 0x100
	s_cbranch_scc1 .LBB227_37
; %bb.3:
	s_load_b128 s[0:3], s[0:1], 0x0
	s_mul_i32 s16, s12, s10
	s_wait_loadcnt 0x0
	v_dual_sub_nc_u32 v7, 0, v9 :: v_dual_bitop2_b32 v64, 7, v0 bitop3:0x40
	s_ashr_i32 s17, s16, 31
	v_dual_mov_b32 v11, 0 :: v_dual_lshlrev_b32 v4, 2, v13
	s_delay_alu instid0(VALU_DEP_2) | instskip(SKIP_2) | instid1(VALU_DEP_4)
	v_dual_lshlrev_b32 v22, 2, v64 :: v_dual_max_i32 v7, v9, v7
	v_lshlrev_b32_e32 v5, 4, v1
	v_bfe_u32 v2, v0, 1, 9
	v_and_b32_e32 v10, 60, v4
	v_and_b32_e32 v16, 1, v0
	v_bfe_u32 v45, v0, 3, 7
	s_ashr_i32 s14, s11, 31
	v_add_nc_u32_e32 v2, v2, v5
	s_ashr_i32 s15, s5, 31
	s_lshr_b32 s10, s14, 24
	v_lshl_add_u32 v56, v1, 2, v45
	s_lshr_b32 s12, s15, 27
	s_wait_kmcnt 0x0
	s_add_nc_u64 s[16:17], s[0:1], s[16:17]
	s_abs_i32 s0, s7
	v_and_b32_e32 v6, 0x7f, v2
	s_cvt_f32_u32 s1, s0
	s_sub_co_i32 s19, 0, s0
	s_add_co_i32 s10, s11, s10
	s_add_co_i32 s12, s5, s12
	v_rcp_iflag_f32_e32 v3, s1
	s_ashr_i32 s5, s10, 8
	s_ashr_i32 s10, s12, 5
	s_lshl_b32 s12, s5, 3
	v_mad_u32_u24 v15, 0x84, v1, v4
	v_mul_i32_i24_e32 v12, s5, v1
	v_lshrrev_b32_e32 v2, 2, v2
	v_readfirstlane_b32 s1, v3
	v_lshlrev_b32_e32 v3, 2, v16
	v_mad_i32_i24 v14, s5, v1, s12
	v_lshl_add_u32 v51, v1, 7, 0x56a0
	v_dual_mov_b32 v19, v11 :: v_dual_bitop2_b32 v2, 28, v2 bitop3:0x40
	s_mul_f32 s1, s1, 0x4f7ffffe
	v_lshl_or_b32 v3, v6, 3, v3
	v_and_b32_e32 v21, 0x1ffc, v56
	v_add_nc_u32_e32 v55, 0x5aa0, v5
	s_cvt_u32_f32 s1, s1
	v_bfe_u32 v8, v0, 4, 6
	v_add3_u32 v49, v3, v2, 0x5280
	v_dual_add_nc_u32 v2, 32, v56 :: v_dual_add_nc_u32 v3, 64, v56
	s_mul_i32 s19, s19, s1
	v_lshlrev_b32_e32 v40, 5, v56
	s_mul_hi_u32 s19, s1, s19
	s_delay_alu instid0(VALU_DEP_2)
	v_dual_lshlrev_b32 v44, 5, v2 :: v_dual_bitop2_b32 v18, 12, v4 bitop3:0x40
	s_add_co_i32 s1, s1, s19
	v_and_b32_e32 v28, 0x3ffc, v3
	v_mul_hi_u32 v20, v7, s1
	v_lshlrev_b32_e32 v48, 5, v3
	v_and_b32_e32 v26, 0x3ffc, v2
	v_add3_u32 v21, v21, v22, 0x4200
	v_add3_u32 v46, v28, v22, 0x4200
	s_lshl_b32 s19, s5, 5
	v_cmp_lt_u32_e64 s1, 3, v64
	v_xor_b32_e32 v1, s7, v9
	v_add3_u32 v42, v26, v22, 0x4200
	s_mul_i32 s14, s5, s18
	v_add_nc_u32_e32 v17, 0x420, v15
	v_mul_lo_u32 v24, v20, s0
	v_add_nc_u32_e32 v3, 1, v20
	s_ashr_i32 s15, s14, 31
	v_add_nc_u32_e32 v25, 0x840, v15
	v_add_nc_u32_e32 v27, 0xc60, v15
	;; [unrolled: 1-line block ×8, first 2 shown]
	v_sub_nc_u32_e32 v7, v7, v24
	v_add_nc_u32_e32 v47, 0x2940, v15
	v_add_nc_u32_e32 v92, 0x2d60, v15
	;; [unrolled: 1-line block ×4, first 2 shown]
	v_cmp_le_u32_e32 vcc_lo, s0, v7
	v_add_nc_u32_e32 v23, 0x60, v56
	v_add_nc_u32_e32 v95, 0x39c0, v15
	;; [unrolled: 1-line block ×3, first 2 shown]
	v_dual_cndmask_b32 v20, v20, v3 :: v_dual_lshlrev_b32 v101, 2, v8
	s_delay_alu instid0(VALU_DEP_4) | instskip(SKIP_3) | instid1(VALU_DEP_4)
	v_and_b32_e32 v30, 0x3ffc, v23
	v_lshlrev_b32_e32 v52, 5, v23
	v_subrev_nc_u32_e32 v23, s0, v7
	v_dual_mov_b32 v3, v11 :: v_dual_bitop2_b32 v2, 28, v4 bitop3:0x40
	v_add3_u32 v50, v30, v22, 0x4200
	s_delay_alu instid0(VALU_DEP_3) | instskip(SKIP_2) | instid1(VALU_DEP_3)
	v_dual_cndmask_b32 v7, v7, v23, vcc_lo :: v_dual_bitop2_b32 v22, 31, v0 bitop3:0x40
	v_dual_add_nc_u32 v23, 1, v20 :: v_dual_ashrrev_i32 v1, 31, v1
	v_add_nc_u32_e32 v57, v55, v4
	v_lshl_add_u32 v53, v22, 2, v51
	s_delay_alu instid0(VALU_DEP_4)
	v_cmp_le_u32_e32 vcc_lo, s0, v7
	v_dual_add_nc_u32 v4, 32, v13 :: v_dual_lshlrev_b32 v54, 1, v13
	v_add_nc_u32_e32 v22, 0x60, v13
	v_dual_cndmask_b32 v5, v20, v23 :: v_dual_add_nc_u32 v24, s12, v14
	v_dual_add_nc_u32 v20, 64, v13 :: v_dual_lshlrev_b32 v23, 5, v13
	v_and_b32_e32 v0, 0xfc, v0
	v_and_b32_e32 v31, 0x1fc, v4
	;; [unrolled: 1-line block ×3, first 2 shown]
	s_delay_alu instid0(VALU_DEP_4) | instskip(SKIP_1) | instid1(VALU_DEP_4)
	v_and_b32_e32 v34, 0x1fc, v20
	v_dual_lshlrev_b32 v58, 1, v4 :: v_dual_bitop2_b32 v5, v5, v1 bitop3:0x14
	v_dual_add_nc_u32 v59, v23, v0 :: v_dual_add_nc_u32 v61, v23, v31
	s_delay_alu instid0(VALU_DEP_3) | instskip(SKIP_1) | instid1(VALU_DEP_4)
	v_dual_add_nc_u32 v63, v23, v34 :: v_dual_add_nc_u32 v65, v23, v36
	v_dual_mov_b32 v23, v11 :: v_dual_add_nc_u32 v26, s12, v24
	v_dual_lshlrev_b32 v66, 1, v22 :: v_dual_sub_nc_u32 v1, v5, v1
	v_dual_lshrrev_b32 v5, 4, v4 :: v_dual_lshrrev_b32 v0, 4, v22
	s_delay_alu instid0(VALU_DEP_3) | instskip(SKIP_1) | instid1(VALU_DEP_4)
	v_add_nc_u32_e32 v28, s12, v26
	v_lshrrev_b32_e32 v79, 3, v22
	v_mul_lo_u32 v30, v1, s10
	v_add_nc_u32_e32 v81, v21, v40
	v_dual_add_nc_u32 v82, v42, v44 :: v_dual_lshlrev_b32 v85, 2, v54
	v_add_nc_u32_e32 v32, s12, v28
	v_dual_lshlrev_b32 v60, 1, v20 :: v_dual_lshrrev_b32 v62, 4, v20
	v_dual_mov_b32 v21, v11 :: v_dual_add_nc_u32 v84, v50, v52
	s_delay_alu instid0(VALU_DEP_3) | instskip(SKIP_3) | instid1(VALU_DEP_4)
	v_dual_lshlrev_b32 v87, 2, v58 :: v_dual_add_nc_u32 v34, s12, v32
	v_dual_lshrrev_b32 v67, 3, v4 :: v_dual_ashrrev_i32 v31, 31, v30
	v_lshlrev_b32_e32 v86, 2, v5
	v_mul_i32_i24_e32 v54, s5, v56
	v_add_nc_u32_e32 v36, s12, v34
	v_mad_i32_i24 v56, s5, v56, s19
	v_mul_u32_u24_e32 v7, 33, v13
	v_dual_lshlrev_b32 v88, 2, v62 :: v_dual_lshlrev_b32 v89, 2, v60
	s_delay_alu instid0(VALU_DEP_4) | instskip(NEXT) | instid1(VALU_DEP_4)
	v_add_nc_u32_e32 v40, s12, v36
	v_dual_add_nc_u32 v60, s19, v56 :: v_dual_lshlrev_b32 v91, 2, v66
	v_cmp_gt_u32_e32 vcc_lo, 4, v13
	v_cmp_gt_i32_e64 s0, s4, v1
	s_delay_alu instid0(VALU_DEP_4) | instskip(SKIP_3) | instid1(VALU_DEP_4)
	v_add_nc_u32_e32 v42, s12, v40
	v_add_nc_u32_e32 v83, v46, v48
	v_add_nc_u64_e32 v[38:39], s[2:3], v[2:3]
	v_dual_lshrrev_b32 v78, 3, v20 :: v_dual_lshlrev_b32 v80, 2, v7
	v_dual_add_nc_u32 v44, s12, v42 :: v_dual_mov_b32 v22, v11
	v_mov_b32_e32 v20, v11
	v_mul_i32_i24_e32 v50, s5, v6
	v_add_nc_u32_e32 v97, 0x4200, v59
	s_delay_alu instid0(VALU_DEP_4)
	v_add_nc_u32_e32 v46, s12, v44
	v_lshlrev_b32_e32 v90, 2, v0
	v_add_nc_u32_e32 v98, 0x4600, v61
	v_add_nc_u32_e32 v99, 0x4a00, v63
	;; [unrolled: 1-line block ×4, first 2 shown]
	v_cndmask_b32_e64 v64, 0, 1, s1
	v_add_nc_u32_e32 v66, s19, v60
	s_mul_u64 s[14:15], s[14:15], 0x54
	s_delay_alu instid0(VALU_DEP_3) | instskip(SKIP_2) | instid1(VALU_DEP_1)
	v_add_nc_u32_e32 v52, s12, v48
	s_add_nc_u64 s[14:15], s[16:17], s[14:15]
	s_and_b32 s16, vcc_lo, s0
	v_add_nc_u32_e32 v58, s12, v52
	s_delay_alu instid0(VALU_DEP_1)
	v_add_nc_u32_e32 v62, s12, v58
	s_mov_b32 s12, s13
	s_branch .LBB227_5
.LBB227_4:                              ;   in Loop: Header=BB227_5 Depth=1
	s_add_co_i32 s12, s12, 2
	s_delay_alu instid0(SALU_CYCLE_1)
	s_cmp_ge_i32 s12, s5
	s_cbranch_scc1 .LBB227_38
.LBB227_5:                              ; =>This Loop Header: Depth=1
                                        ;     Child Loop BB227_11 Depth 2
                                        ;     Child Loop BB227_19 Depth 2
	;; [unrolled: 1-line block ×4, first 2 shown]
	s_mul_u64 s[20:21], s[12:13], 0x54
	s_lshl_b32 s17, s12, 8
	s_add_nc_u64 s[20:21], s[14:15], s[20:21]
	s_cmp_lt_i32 s17, s11
	s_wait_xcnt 0x5
	v_mad_nc_u64_u32 v[0:1], 0x54, v8, s[20:21]
	s_wait_xcnt 0x0
	v_mad_nc_u64_u32 v[4:5], 0x54, v64, s[20:21]
	v_mad_nc_u64_u32 v[2:3], 0x54, v50, s[20:21]
	s_delay_alu instid0(VALU_DEP_3)
	v_mad_nc_u64_u32 v[6:7], 0x54, v12, v[0:1]
	v_mad_nc_u64_u32 v[68:69], 0x54, v14, v[0:1]
	;; [unrolled: 1-line block ×14, first 2 shown]
	v_add_nc_u64_e32 v[6:7], v[6:7], v[10:11]
	v_mad_nc_u64_u32 v[118:119], 0x54, v58, v[0:1]
	v_add_nc_u64_e32 v[68:69], v[68:69], v[10:11]
	v_mad_nc_u64_u32 v[0:1], 0x54, v62, v[0:1]
	v_add_nc_u64_e32 v[70:71], v[70:71], v[10:11]
	v_add_nc_u64_e32 v[72:73], v[72:73], v[10:11]
	;; [unrolled: 1-line block ×8, first 2 shown]
	s_clause 0x7
	global_load_b32 v120, v[6:7], off offset:16
	global_load_b32 v121, v[68:69], off offset:16
	;; [unrolled: 1-line block ×8, first 2 shown]
	s_wait_xcnt 0x7
	v_add_nc_u64_e32 v[6:7], v[108:109], v[10:11]
	s_wait_xcnt 0x6
	v_add_nc_u64_e32 v[68:69], v[110:111], v[10:11]
	;; [unrolled: 2-line block ×4, first 2 shown]
	v_mad_nc_u64_u32 v[2:3], 0x54, v16, v[2:3]
	s_wait_xcnt 0x3
	v_add_nc_u64_e32 v[74:75], v[116:117], v[10:11]
	s_wait_xcnt 0x1
	v_mad_nc_u64_u32 v[102:103], 0x54, v54, v[4:5]
	v_add_nc_u64_e32 v[76:77], v[118:119], v[10:11]
	s_wait_xcnt 0x0
	v_mad_nc_u64_u32 v[104:105], 0x54, v56, v[4:5]
	v_add_nc_u64_e32 v[0:1], v[0:1], v[10:11]
	v_mad_nc_u64_u32 v[108:109], 0x54, v60, v[4:5]
	v_mad_nc_u64_u32 v[4:5], 0x54, v66, v[4:5]
	s_clause 0xc
	global_load_b32 v110, v[106:107], off offset:16
	global_load_b32 v111, v[6:7], off offset:16
	global_load_b32 v112, v[68:69], off offset:16
	global_load_b32 v113, v[70:71], off offset:16
	global_load_b32 v114, v[72:73], off offset:16
	global_load_b32 v115, v[74:75], off offset:16
	global_load_b32 v116, v[76:77], off offset:16
	global_load_b32 v117, v[0:1], off offset:16
	global_load_b32 v118, v[2:3], off offset:80
	global_load_b32 v119, v[102:103], off
	global_load_b32 v128, v[104:105], off
	;; [unrolled: 1-line block ×4, first 2 shown]
	s_wait_loadcnt 0x14
	ds_store_b32 v15, v120
	s_wait_loadcnt 0x13
	ds_store_b32 v17, v121
	;; [unrolled: 2-line block ×21, first 2 shown]
	s_cbranch_scc0 .LBB227_4
; %bb.6:                                ;   in Loop: Header=BB227_5 Depth=1
	s_lshl_b32 s19, s12, 3
	s_wait_xcnt 0x5
	v_add_nc_u32_e32 v0, s19, v45
	s_delay_alu instid0(VALU_DEP_1)
	v_cmp_gt_i32_e64 s1, s10, v0
	s_and_b32 s20, s0, s1
	s_wait_xcnt 0x0
	s_and_saveexec_b32 s1, s20
	s_cbranch_execz .LBB227_8
; %bb.7:                                ;   in Loop: Header=BB227_5 Depth=1
	v_add_nc_u32_e32 v0, v30, v0
	s_delay_alu instid0(VALU_DEP_1)
	v_mad_nc_i64_i32 v[0:1], v0, 36, v[38:39]
	global_load_b32 v0, v[0:1], off offset:4
	s_wait_loadcnt 0x0
	ds_store_b32 v53, v0
.LBB227_8:                              ;   in Loop: Header=BB227_5 Depth=1
	s_or_b32 exec_lo, exec_lo, s1
	v_add_nc_u32_e32 v68, s19, v13
	s_delay_alu instid0(VALU_DEP_1) | instskip(SKIP_1) | instid1(SALU_CYCLE_1)
	v_cmp_gt_i32_e64 s1, s10, v68
	s_and_b32 s20, s16, s1
	s_and_saveexec_b32 s1, s20
	s_cbranch_execz .LBB227_10
; %bb.9:                                ;   in Loop: Header=BB227_5 Depth=1
	v_add_nc_u32_e32 v0, v30, v68
	s_delay_alu instid0(VALU_DEP_1)
	v_mad_nc_i64_i32 v[0:1], v0, 36, s[2:3]
	global_load_b32 v0, v[0:1], off
	s_wait_loadcnt 0x0
	v_cvt_f32_f16_e32 v0, v0
	ds_store_b32 v57, v0
.LBB227_10:                             ;   in Loop: Header=BB227_5 Depth=1
	s_or_b32 exec_lo, exec_lo, s1
	v_dual_mov_b32 v69, v55 :: v_dual_mov_b32 v71, v51
	s_mov_b32 s1, 0
	s_wait_dscnt 0x0
	s_barrier_signal -1
	s_barrier_wait -1
.LBB227_11:                             ;   Parent Loop BB227_5 Depth=1
                                        ; =>  This Inner Loop Header: Depth=2
	s_and_b32 s21, s1, 0x3ffffff8
	ds_load_b32 v70, v69
	ds_load_b128 v[4:7], v71
	ds_load_b128 v[0:3], v71 offset:16
	v_lshl_add_u32 v74, s21, 2, v80
	s_lshr_b32 s22, s1, 2
	s_and_b32 s20, s1, -16
	s_and_b32 s21, s22, 0x3ffffffc
	s_add_co_i32 s20, s1, s20
	ds_load_2addr_b32 v[72:73], v74 offset0:4 offset1:7
	s_addk_co_i32 s21, 0x5280
	v_dual_add_nc_u32 v75, s20, v97 :: v_dual_add_nc_u32 v76, s20, v98
	v_dual_add_nc_u32 v124, s20, v99 :: v_dual_add_nc_u32 v77, s20, v100
	v_add3_u32 v108, s21, v101, v85
	v_add3_u32 v109, s21, v86, v87
	;; [unrolled: 1-line block ×4, first 2 shown]
	v_add_nc_u32_e32 v112, 0x1080, v74
	v_add_nc_u32_e32 v113, 0x1088, v74
	;; [unrolled: 1-line block ×12, first 2 shown]
	ds_load_2addr_b32 v[102:103], v74 offset1:1
	ds_load_2addr_b32 v[104:105], v74 offset0:2 offset1:3
	ds_load_2addr_b32 v[106:107], v74 offset0:5 offset1:6
	ds_load_u16 v132, v75
	ds_load_b32 v133, v108
	ds_load_b32 v134, v109
	;; [unrolled: 1-line block ×4, first 2 shown]
	ds_load_u16 v77, v77
	ds_load_2addr_b32 v[108:109], v114 offset0:36 offset1:39
	ds_load_2addr_b32 v[110:111], v112 offset1:1
	ds_load_2addr_b32 v[112:113], v113 offset1:1
	;; [unrolled: 1-line block ×5, first 2 shown]
	ds_load_u16 v75, v76
	ds_load_2addr_b32 v[120:121], v120 offset1:1
	ds_load_2addr_b32 v[122:123], v122 offset1:1
	ds_load_u16 v76, v124
	ds_load_2addr_b32 v[124:125], v125 offset1:1
	ds_load_2addr_b32 v[126:127], v126 offset1:1
	;; [unrolled: 1-line block ×4, first 2 shown]
	s_wait_dscnt 0x15
	v_dual_ashrrev_i32 v103, s1, v103 :: v_dual_ashrrev_i32 v105, s1, v105
	v_lshrrev_b16 v136, 8, v0
	v_dual_ashrrev_i32 v137, 24, v4 :: v_dual_ashrrev_i32 v144, 24, v5
	v_dual_ashrrev_i32 v138, 24, v0 :: v_dual_ashrrev_i32 v145, 24, v1
	v_bfe_i32 v140, v0, 0, 8
	v_bfe_i32 v141, v0, 16, 8
	;; [unrolled: 1-line block ×4, first 2 shown]
	v_lshrrev_b16 v0, 8, v1
	v_bfe_i32 v146, v4, 8, 8
	v_bfe_i32 v4, v1, 0, 8
	v_bfe_i32 v147, v1, 16, 8
	v_bfe_i32 v1, v5, 0, 8
	v_and_b32_e32 v168, 3, v103
	v_bfe_u32 v169, v103, 8, 2
	v_bfe_u32 v170, v103, 16, 2
	v_lshrrev_b32_e32 v103, 24, v103
	v_bfe_i32 v139, v5, 8, 8
	v_bfe_i32 v5, v5, 16, 8
	v_dual_ashrrev_i32 v72, s1, v72 :: v_dual_ashrrev_i32 v73, s1, v73
	v_mul_i32_i24_e32 v168, v168, v1
	s_wait_dscnt 0x9
	v_dual_ashrrev_i32 v117, s1, v117 :: v_dual_bitop2_b32 v103, 3, v103 bitop3:0x40
	v_dual_ashrrev_i32 v149, 24, v2 :: v_dual_ashrrev_i32 v156, 24, v3
	v_bfe_i32 v160, v3, 16, 8
	v_bfe_i32 v161, v3, 0, 8
	;; [unrolled: 1-line block ×4, first 2 shown]
	v_dual_ashrrev_i32 v107, s1, v107 :: v_dual_bitop2_b32 v171, 3, v72 bitop3:0x40
	v_bfe_u32 v172, v72, 8, 2
	v_bfe_u32 v173, v72, 16, 2
	v_dual_lshrrev_b32 v72, 24, v72 :: v_dual_ashrrev_i32 v111, s1, v111
	v_mad_i32_i24 v168, v169, v139, v168
	v_mul_i32_i24_e32 v169, v170, v5
	v_mul_i32_i24_e32 v103, v103, v144
	s_delay_alu instid0(VALU_DEP_4) | instskip(SKIP_2) | instid1(VALU_DEP_4)
	v_and_b32_e32 v72, 3, v72
	v_lshrrev_b16 v148, 8, v6
	v_dual_ashrrev_i32 v150, 24, v6 :: v_dual_ashrrev_i32 v157, 24, v7
	v_add3_u32 v103, v168, v169, v103
	v_mul_i32_i24_e32 v169, v172, v3
	v_bfe_i32 v151, v6, 16, 8
	v_bfe_i32 v152, v6, 0, 8
	v_dual_add_nc_u32 v6, v146, v139 :: v_dual_ashrrev_i32 v102, s1, v102
	s_wait_dscnt 0x3
	v_ashrrev_i32_e32 v125, s1, v125
	v_mad_i32_i24 v169, v171, v140, v169
	v_mul_i32_i24_e32 v171, v173, v141
	v_mul_i32_i24_e32 v72, v72, v138
	v_dual_ashrrev_i32 v104, s1, v104 :: v_dual_ashrrev_i32 v106, s1, v106
	v_and_b32_e32 v168, 3, v102
	v_dual_ashrrev_i32 v108, s1, v108 :: v_dual_bitop2_b32 v170, 3, v111 bitop3:0x40
	s_delay_alu instid0(VALU_DEP_4) | instskip(SKIP_4) | instid1(VALU_DEP_4)
	v_add3_u32 v72, v169, v171, v72
	v_and_b32_e32 v169, 3, v117
	v_dual_add_nc_u32 v165, v1, v142 :: v_dual_bitop2_b32 v171, 3, v125 bitop3:0x40
	v_add_nc_u32_e32 v167, v4, v140
	v_mul_i32_i24_e32 v170, v170, v1
	v_mul_i32_i24_e32 v169, v169, v1
	s_delay_alu instid0(VALU_DEP_4)
	v_mul_i32_i24_e32 v1, v171, v1
	v_bfe_u32 v171, v111, 8, 2
	v_mul_i32_i24_e32 v168, v142, v168
	v_bfe_i32 v136, v0, 0, 8
	v_ashrrev_i32_e32 v110, s1, v110
	v_bfe_i32 v153, v2, 16, 8
	v_mad_i32_i24 v170, v171, v139, v170
	v_bfe_u32 v171, v117, 8, 2
	v_bfe_i32 v154, v2, 0, 8
	v_bfe_i32 v155, v2, 8, 8
	v_lshrrev_b16 v2, 8, v7
	v_add_nc_u32_e32 v0, v145, v138
	v_mad_i32_i24 v169, v171, v139, v169
	v_bfe_u32 v171, v125, 8, 2
	v_ashrrev_i32_e32 v116, s1, v116
	v_bfe_i32 v163, v2, 0, 8
	v_dual_add_nc_u32 v2, v144, v137 :: v_dual_add_nc_u32 v164, v5, v143
	v_add_nc_u32_e32 v166, v147, v141
	v_mad_i32_i24 v139, v171, v139, v1
	v_dual_lshrrev_b32 v171, 24, v111 :: v_dual_bitop2_b32 v1, 3, v104 bitop3:0x40
	v_bfe_u32 v111, v111, 16, 2
	v_bfe_i32 v148, v148, 0, 8
	v_ashrrev_i32_e32 v112, s1, v112
	s_delay_alu instid0(VALU_DEP_4) | instskip(SKIP_3) | instid1(VALU_DEP_4)
	v_mul_i32_i24_e32 v1, v1, v152
	v_and_b32_e32 v171, 3, v171
	v_mul_i32_i24_e32 v111, v111, v5
	v_dual_ashrrev_i32 v124, s1, v124 :: v_dual_ashrrev_i32 v118, s1, v118
	v_add3_u32 v103, v103, v1, v168
	v_and_b32_e32 v1, 3, v108
	v_bfe_u32 v168, v108, 8, 2
	v_bfe_i32 v158, v7, 16, 8
	v_bfe_i32 v159, v7, 0, 8
	v_lshrrev_b16 v7, 8, v132
	v_mul_i32_i24_e32 v1, v1, v140
	v_lshrrev_b32_e32 v172, 24, v104
	v_add3_u32 v164, v164, v151, v158
	v_add3_u32 v165, v165, v152, v159
	v_dual_ashrrev_i32 v122, s1, v122 :: v_dual_lshrrev_b32 v174, 24, v105
	v_mad_i32_i24 v1, v168, v3, v1
	v_lshrrev_b32_e32 v168, 24, v108
	v_bfe_u32 v108, v108, 16, 2
	v_dual_lshrrev_b32 v175, 24, v73 :: v_dual_ashrrev_i32 v119, s1, v119
	v_add3_u32 v167, v167, v154, v161
	s_delay_alu instid0(VALU_DEP_4) | instskip(NEXT) | instid1(VALU_DEP_4)
	v_and_b32_e32 v168, 3, v168
	v_mul_i32_i24_e32 v108, v108, v141
	s_wait_dscnt 0x1
	v_dual_ashrrev_i32 v121, s1, v121 :: v_dual_ashrrev_i32 v128, s1, v128
	v_ashrrev_i32_e32 v129, s1, v129
	v_mul_i32_i24_e32 v168, v168, v138
	v_ashrrev_i32_e32 v114, s1, v114
	v_lshrrev_b16 v176, 8, v76
	v_add3_u32 v166, v166, v153, v160
	s_add_co_i32 s20, s1, 2
	v_add3_u32 v108, v1, v108, v168
	v_ashrrev_i32_e32 v1, s1, v120
	v_mul_i32_i24_e32 v171, v171, v144
	v_and_b32_e32 v120, 3, v106
	s_cmp_lt_u32 s1, 6
	v_dual_ashrrev_i32 v127, s1, v127 :: v_dual_ashrrev_i32 v109, s1, v109
	s_delay_alu instid0(VALU_DEP_3) | instskip(SKIP_4) | instid1(VALU_DEP_4)
	v_add3_u32 v111, v170, v111, v171
	v_lshrrev_b32_e32 v170, 8, v106
	v_mul_i32_i24_e32 v120, v120, v4
	v_lshrrev_b16 v171, 8, v77
	v_dual_ashrrev_i32 v113, s1, v113 :: v_dual_ashrrev_i32 v115, s1, v115
	v_and_b32_e32 v168, 3, v170
	v_add3_u32 v170, v2, v150, v157
	v_bfe_u32 v2, v125, 16, 2
	v_lshrrev_b32_e32 v173, 16, v107
	v_ashrrev_i32_e32 v123, s1, v123
	v_mul_i32_i24_e32 v168, v168, v136
	v_add_nc_u32_e32 v71, 32, v71
	v_mul_i32_i24_e32 v2, v2, v5
	v_add_nc_u32_e32 v69, 4, v69
	s_delay_alu instid0(VALU_DEP_4) | instskip(SKIP_3) | instid1(VALU_DEP_3)
	v_add3_u32 v72, v72, v120, v168
	v_ashrrev_i32_e32 v120, s1, v126
	v_bfe_u32 v126, v117, 16, 2
	v_bfe_u32 v117, v117, 24, 2
	v_and_b32_e32 v168, 3, v120
	s_delay_alu instid0(VALU_DEP_3) | instskip(NEXT) | instid1(VALU_DEP_3)
	v_mul_i32_i24_e32 v126, v126, v5
	v_mul_i32_i24_e32 v117, v117, v144
	v_bfe_u32 v5, v125, 24, 2
	v_bfe_u32 v125, v120, 16, 2
	s_delay_alu instid0(VALU_DEP_3) | instskip(SKIP_1) | instid1(VALU_DEP_4)
	v_add3_u32 v117, v169, v126, v117
	v_and_b32_e32 v126, 3, v1
	v_mul_i32_i24_e32 v5, v5, v144
	v_add3_u32 v169, v6, v148, v163
	v_add3_u32 v6, v0, v149, v156
	v_bfe_u32 v0, v1, 16, 2
	v_mul_i32_i24_e32 v126, v126, v140
	v_add3_u32 v5, v139, v2, v5
	v_cvt_f32_f16_e64 v2, v135
	v_lshrrev_b32_e32 v135, 16, v135
	v_mul_i32_i24_e32 v140, v168, v140
	v_bfe_u32 v168, v1, 8, 2
	v_bfe_u32 v1, v1, 24, 2
	v_mul_i32_i24_e32 v125, v125, v141
	v_mul_i32_i24_e32 v0, v0, v141
	v_lshrrev_b32_e32 v144, 16, v73
	v_mad_i32_i24 v126, v168, v3, v126
	v_bfe_u32 v168, v120, 8, 2
	v_bfe_u32 v120, v120, 24, 2
	v_mul_i32_i24_e32 v1, v1, v138
	v_bfe_u32 v139, v105, 8, 2
	v_bfe_u32 v141, v77, 4, 4
	v_mad_i32_i24 v140, v168, v3, v140
	v_mul_i32_i24_e32 v120, v120, v138
	v_bfe_u32 v168, v132, 4, 4
	v_and_b32_e32 v132, 15, v132
	v_add3_u32 v126, v126, v0, v1
	v_add_nc_u32_e32 v3, v136, v3
	v_add3_u32 v120, v140, v125, v120
	v_and_b32_e32 v125, 3, v110
	v_and_b32_e32 v138, 3, v112
	;; [unrolled: 1-line block ×3, first 2 shown]
	v_add3_u32 v177, v3, v155, v162
	v_cvt_f32_f16_e64 v1, v134
	v_mul_i32_i24_e32 v125, v142, v125
	v_mul_i32_i24_e32 v138, v138, v152
	v_dual_lshrrev_b32 v134, 16, v134 :: v_dual_bitop2_b32 v144, 3, v144 bitop3:0x40
	v_cvt_f32_f16_e64 v3, v135
	v_bfe_u32 v135, v113, 8, 2
	s_delay_alu instid0(VALU_DEP_4)
	v_add3_u32 v111, v111, v138, v125
	v_bfe_u32 v125, v102, 8, 2
	v_bfe_u32 v138, v102, 16, 2
	v_cvt_f32_f16_e64 v0, v133
	v_lshrrev_b32_e32 v133, 16, v133
	v_mul_i32_i24_e32 v139, v139, v163
	v_mul_i32_i24_e32 v125, v146, v125
	;; [unrolled: 1-line block ×4, first 2 shown]
	v_and_b32_e32 v77, 15, v77
	v_and_b32_e32 v132, 0xffff, v132
	s_delay_alu instid0(VALU_DEP_4) | instskip(SKIP_1) | instid1(VALU_DEP_4)
	v_add3_u32 v103, v103, v125, v138
	v_dual_lshrrev_b32 v125, 8, v114 :: v_dual_bitop2_b32 v138, 3, v114 bitop3:0x40
	v_and_b32_e32 v77, 0xffff, v77
	s_delay_alu instid0(VALU_DEP_2) | instskip(NEXT) | instid1(VALU_DEP_3)
	v_and_b32_e32 v125, 3, v125
	v_mul_i32_i24_e32 v138, v138, v4
	s_delay_alu instid0(VALU_DEP_2) | instskip(NEXT) | instid1(VALU_DEP_1)
	v_mul_i32_i24_e32 v125, v125, v136
	v_add3_u32 v108, v108, v138, v125
	v_dual_lshrrev_b32 v125, 16, v106 :: v_dual_bitop2_b32 v138, 3, v105 bitop3:0x40
	s_delay_alu instid0(VALU_DEP_1) | instskip(NEXT) | instid1(VALU_DEP_1)
	v_dual_lshrrev_b32 v106, 24, v106 :: v_dual_bitop2_b32 v125, 3, v125 bitop3:0x40
	v_and_b32_e32 v106, 3, v106
	s_delay_alu instid0(VALU_DEP_2) | instskip(NEXT) | instid1(VALU_DEP_2)
	v_mul_i32_i24_e32 v125, v125, v147
	v_mul_i32_i24_e32 v106, v106, v145
	s_delay_alu instid0(VALU_DEP_1) | instskip(SKIP_2) | instid1(VALU_DEP_2)
	v_add3_u32 v72, v72, v125, v106
	v_and_b32_e32 v106, 3, v116
	v_and_b32_e32 v125, 3, v118
	v_mul_i32_i24_e32 v106, v142, v106
	s_delay_alu instid0(VALU_DEP_2) | instskip(NEXT) | instid1(VALU_DEP_1)
	v_mul_i32_i24_e32 v125, v125, v152
	v_add3_u32 v106, v117, v125, v106
	v_and_b32_e32 v117, 3, v121
	v_bfe_u32 v125, v121, 8, 2
	s_delay_alu instid0(VALU_DEP_2) | instskip(NEXT) | instid1(VALU_DEP_2)
	v_mul_i32_i24_e32 v117, v117, v4
	v_mul_i32_i24_e32 v125, v125, v136
	s_delay_alu instid0(VALU_DEP_1) | instskip(SKIP_2) | instid1(VALU_DEP_1)
	v_add3_u32 v117, v126, v117, v125
	s_wait_dscnt 0x0
	v_dual_ashrrev_i32 v125, s1, v130 :: v_dual_bitop2_b32 v126, 3, v124 bitop3:0x40
	v_and_b32_e32 v130, 3, v125
	s_delay_alu instid0(VALU_DEP_2)
	v_mul_i32_i24_e32 v126, v142, v126
	v_bfe_u32 v142, v73, 8, 2
	v_bfe_u32 v73, v76, 4, 4
	v_and_b32_e32 v76, 15, v76
	v_mul_i32_i24_e32 v130, v130, v152
	v_and_b32_e32 v152, 3, v127
	v_mul_i32_i24_e32 v142, v142, v162
	v_mul_lo_u32 v73, 0x1010101, v73
	v_and_b32_e32 v76, 0xffff, v76
	v_add3_u32 v126, v5, v130, v126
	v_mul_i32_i24_e32 v4, v152, v4
	v_bfe_u32 v152, v127, 8, 2
	v_bfe_u32 v5, v102, 24, 2
	v_dual_lshrrev_b32 v102, 8, v104 :: v_dual_lshrrev_b32 v130, 16, v105
	v_bfe_u32 v105, v121, 24, 2
	s_delay_alu instid0(VALU_DEP_4)
	v_mul_i32_i24_e32 v136, v152, v136
	v_lshrrev_b32_e32 v152, 16, v104
	v_mul_lo_u32 v104, 0x1010101, v168
	v_and_b32_e32 v102, 3, v102
	v_mul_i32_i24_e32 v5, v137, v5
	v_add3_u32 v120, v120, v4, v136
	v_mul_i32_i24_e32 v105, v105, v145
	v_and_b32_e32 v130, 3, v130
	v_mul_i32_i24_e32 v102, v102, v148
	v_bfe_i32 v4, v104, 0, 8
	v_bfe_i32 v136, v104, 8, 8
	s_delay_alu instid0(VALU_DEP_3) | instskip(SKIP_1) | instid1(VALU_DEP_4)
	v_add3_u32 v168, v103, v5, v102
	v_dual_lshrrev_b32 v5, 16, v114 :: v_dual_lshrrev_b32 v102, 24, v114
	v_mul_i32_i24_e32 v4, v165, v4
	v_bfe_u32 v103, v121, 16, 2
	v_and_b32_e32 v121, 3, v113
	s_delay_alu instid0(VALU_DEP_4)
	v_and_b32_e32 v5, 3, v5
	v_and_b32_e32 v102, 3, v102
	v_mad_i32_i24 v4, v169, v136, v4
	v_bfe_i32 v136, v104, 16, 8
	v_lshrrev_b32_e32 v104, 24, v104
	v_mul_i32_i24_e32 v103, v103, v147
	v_mul_i32_i24_e32 v5, v5, v147
	;; [unrolled: 1-line block ×5, first 2 shown]
	v_add3_u32 v117, v117, v103, v105
	v_bfe_u32 v103, v116, 8, 2
	v_bfe_u32 v105, v116, 16, 2
	v_add3_u32 v108, v108, v5, v102
	v_add3_u32 v104, v4, v136, v104
	v_bfe_u32 v4, v110, 8, 2
	v_bfe_u32 v136, v110, 16, 2
	v_mul_i32_i24_e32 v103, v103, v146
	v_mul_i32_i24_e32 v105, v105, v143
	v_bfe_u32 v102, v75, 4, 4
	v_mul_i32_i24_e32 v4, v146, v4
	v_mul_i32_i24_e32 v136, v143, v136
	v_bfe_u32 v110, v110, 24, 2
	v_add3_u32 v106, v106, v103, v105
	v_bfe_u32 v103, v127, 16, 2
	v_bfe_u32 v105, v127, 24, 2
	v_add3_u32 v111, v111, v4, v136
	v_dual_lshrrev_b32 v136, 8, v107 :: v_dual_bitop2_b32 v4, 3, v107 bitop3:0x40
	v_lshrrev_b32_e32 v107, 24, v107
	v_ashrrev_i32_e32 v131, s1, v131
	v_mul_lo_u32 v102, 0x1010101, v102
	s_delay_alu instid0(VALU_DEP_4)
	v_mul_i32_i24_e32 v4, v4, v154
	v_and_b32_e32 v5, 3, v136
	v_mul_i32_i24_e32 v103, v103, v147
	v_bfe_u32 v127, v124, 8, 2
	v_mul_i32_i24_e32 v105, v105, v145
	v_mul_i32_i24_e32 v110, v137, v110
	v_mul_i32_i24_e32 v5, v5, v155
	v_lshrrev_b32_e32 v147, 16, v115
	v_and_b32_e32 v107, 3, v107
	v_add3_u32 v120, v120, v103, v105
	v_bfe_u32 v103, v124, 16, 2
	v_add3_u32 v136, v72, v4, v5
	v_and_b32_e32 v72, 0xffff, v7
	v_mul_i32_i24_e32 v105, v127, v146
	v_and_b32_e32 v127, 3, v109
	v_mul_i32_i24_e32 v103, v103, v143
	s_delay_alu instid0(VALU_DEP_4) | instskip(SKIP_2) | instid1(VALU_DEP_4)
	v_dual_lshrrev_b32 v146, 16, v109 :: v_dual_lshrrev_b32 v72, 4, v72
	v_cvt_f32_f16_e64 v5, v134
	v_mul_lo_u32 v134, 0x1010101, v141
	v_add3_u32 v126, v126, v105, v103
	v_bfe_i32 v103, v102, 8, 8
	v_mul_lo_u32 v145, 0x1010101, v72
	v_bfe_i32 v72, v102, 0, 8
	v_dual_lshrrev_b32 v105, 8, v112 :: v_dual_lshrrev_b32 v141, 16, v113
	v_bfe_u32 v116, v116, 24, 2
	v_lshrrev_b32_e32 v113, 24, v113
	s_delay_alu instid0(VALU_DEP_4) | instskip(NEXT) | instid1(VALU_DEP_4)
	v_mul_i32_i24_e32 v72, v165, v72
	v_and_b32_e32 v105, 3, v105
	v_mul_i32_i24_e32 v107, v107, v149
	v_mul_i32_i24_e32 v116, v116, v137
	v_bfe_u32 v124, v124, 24, 2
	v_mad_i32_i24 v72, v169, v103, v72
	v_lshrrev_b32_e32 v103, 24, v102
	v_bfe_i32 v102, v102, 16, 8
	v_mul_i32_i24_e32 v105, v105, v148
	v_bfe_u32 v143, v109, 8, 2
	v_lshrrev_b32_e32 v109, 24, v109
	v_mul_i32_i24_e32 v103, v170, v103
	v_mul_i32_i24_e32 v102, v164, v102
	v_add3_u32 v105, v111, v110, v105
	v_dual_lshrrev_b32 v110, 16, v112 :: v_dual_lshrrev_b32 v111, 24, v112
	v_and_b32_e32 v112, 3, v115
	s_delay_alu instid0(VALU_DEP_4)
	v_add3_u32 v72, v72, v102, v103
	v_bfe_i32 v102, v73, 0, 8
	v_bfe_i32 v103, v73, 8, 8
	v_mul_i32_i24_e32 v124, v124, v137
	v_mul_i32_i24_e32 v112, v112, v154
	v_and_b32_e32 v137, 3, v128
	v_mul_i32_i24_e32 v102, v165, v102
	v_mul_i32_i24_e32 v121, v121, v159
	;; [unrolled: 1-line block ×3, first 2 shown]
	v_and_b32_e32 v147, 3, v147
	v_mul_i32_i24_e32 v137, v137, v154
	v_mad_i32_i24 v102, v169, v103, v102
	v_bfe_i32 v103, v73, 16, 8
	v_lshrrev_b32_e32 v73, 24, v73
	v_cvt_f32_f16_e64 v4, v133
	v_and_b32_e32 v133, 0xffff, v171
	v_lshrrev_b16 v114, 8, v75
	v_mul_i32_i24_e32 v103, v164, v103
	v_mul_i32_i24_e32 v73, v170, v73
	s_delay_alu instid0(VALU_DEP_4) | instskip(SKIP_2) | instid1(VALU_DEP_4)
	v_dual_lshrrev_b32 v133, 4, v133 :: v_dual_bitop2_b32 v111, 3, v111 bitop3:0x40
	v_and_b32_e32 v110, 3, v110
	v_mul_i32_i24_e32 v143, v143, v162
	v_add3_u32 v73, v102, v103, v73
	v_bfe_i32 v102, v145, 0, 8
	v_bfe_i32 v103, v145, 8, 8
	v_mul_lo_u32 v133, 0x1010101, v133
	v_mul_i32_i24_e32 v110, v110, v151
	v_and_b32_e32 v146, 3, v146
	v_mul_i32_i24_e32 v102, v167, v102
	v_mul_i32_i24_e32 v103, v177, v103
	v_and_b32_e32 v7, 15, v7
	v_and_b32_e32 v75, 15, v75
	;; [unrolled: 1-line block ×3, first 2 shown]
	s_mov_b32 s1, s20
	v_add3_u32 v102, v104, v102, v103
	v_mul_i32_i24_e32 v103, v138, v159
	v_mul_i32_i24_e32 v104, v140, v161
	v_and_b32_e32 v138, 3, v152
	v_and_b32_e32 v140, 3, v172
	v_dual_lshrrev_b32 v172, 8, v118 :: v_dual_bitop2_b32 v152, 3, v173 bitop3:0x40
	v_cvt_f32_f16_e64 v173, v74
	s_delay_alu instid0(VALU_DEP_4) | instskip(NEXT) | instid1(VALU_DEP_4)
	v_mul_i32_i24_e32 v138, v138, v151
	v_mul_i32_i24_e32 v140, v140, v150
	s_delay_alu instid0(VALU_DEP_4) | instskip(SKIP_2) | instid1(VALU_DEP_4)
	v_dual_lshrrev_b32 v74, 16, v74 :: v_dual_bitop2_b32 v172, 3, v172 bitop3:0x40
	v_mul_i32_i24_e32 v144, v144, v160
	v_and_b32_e32 v75, 0xffff, v75
	v_add3_u32 v138, v168, v138, v140
	v_dual_lshrrev_b32 v140, 8, v115 :: v_dual_lshrrev_b32 v115, 24, v115
	v_mul_i32_i24_e32 v152, v152, v153
	v_and_b32_e32 v168, 3, v175
	v_mul_i32_i24_e32 v172, v172, v148
	s_delay_alu instid0(VALU_DEP_4)
	v_and_b32_e32 v140, 3, v140
	v_and_b32_e32 v115, 3, v115
	v_add3_u32 v107, v136, v152, v107
	v_lshrrev_b32_e32 v152, 8, v122
	v_add3_u32 v106, v106, v116, v172
	v_dual_lshrrev_b32 v172, 16, v122 :: v_dual_bitop2_b32 v116, 3, v122 bitop3:0x40
	s_delay_alu instid0(VALU_DEP_3) | instskip(SKIP_1) | instid1(VALU_DEP_3)
	v_dual_lshrrev_b32 v122, 24, v122 :: v_dual_bitop2_b32 v152, 3, v152 bitop3:0x40
	v_mul_i32_i24_e32 v140, v140, v155
	v_mul_i32_i24_e32 v116, v116, v154
	s_delay_alu instid0(VALU_DEP_3) | instskip(NEXT) | instid1(VALU_DEP_4)
	v_dual_lshrrev_b32 v154, 8, v123 :: v_dual_bitop2_b32 v122, 3, v122 bitop3:0x40
	v_mul_i32_i24_e32 v152, v152, v155
	s_delay_alu instid0(VALU_DEP_4)
	v_add3_u32 v108, v108, v112, v140
	v_and_b32_e32 v140, 3, v174
	v_mul_i32_i24_e32 v115, v115, v149
	v_mul_i32_i24_e32 v122, v122, v149
	v_add3_u32 v116, v117, v116, v152
	v_dual_lshrrev_b32 v152, 8, v125 :: v_dual_lshrrev_b32 v117, 16, v118
	v_lshrrev_b32_e32 v118, 24, v118
	v_and_b32_e32 v112, 0xffff, v114
	v_and_b32_e32 v172, 3, v172
	s_delay_alu instid0(VALU_DEP_4)
	v_and_b32_e32 v152, 3, v152
	v_and_b32_e32 v154, 3, v154
	;; [unrolled: 1-line block ×5, first 2 shown]
	v_mul_i32_i24_e32 v148, v152, v148
	v_lshrrev_b32_e32 v152, 8, v128
	v_mul_i32_i24_e32 v118, v118, v150
	v_mul_i32_i24_e32 v154, v154, v162
	v_lshrrev_b32_e32 v112, 4, v112
	v_add3_u32 v124, v126, v124, v148
	v_and_b32_e32 v152, 3, v152
	v_and_b32_e32 v126, 3, v123
	v_dual_lshrrev_b32 v136, 4, v136 :: v_dual_bitop2_b32 v148, 3, v119 bitop3:0x40
	v_mul_lo_u32 v112, 0x1010101, v112
	s_delay_alu instid0(VALU_DEP_4)
	v_mul_i32_i24_e32 v152, v152, v155
	v_and_b32_e32 v155, 3, v131
	v_and_b32_e32 v141, 3, v141
	v_mul_i32_i24_e32 v130, v130, v158
	v_cvt_f32_f16_e32 v74, v74
	v_add3_u32 v120, v120, v137, v152
	v_dual_lshrrev_b32 v137, 8, v119 :: v_dual_bitop2_b32 v152, 3, v129 bitop3:0x40
	v_mul_i32_i24_e32 v148, v148, v159
	v_mul_i32_i24_e32 v155, v155, v159
	v_lshrrev_b32_e32 v159, 16, v125
	v_mul_i32_i24_e32 v126, v126, v161
	v_mul_i32_i24_e32 v152, v152, v161
	v_dual_lshrrev_b32 v161, 16, v128 :: v_dual_lshrrev_b32 v128, 24, v128
	s_delay_alu instid0(VALU_DEP_4) | instskip(SKIP_1) | instid1(VALU_DEP_3)
	v_dual_lshrrev_b32 v125, 24, v125 :: v_dual_bitop2_b32 v159, 3, v159 bitop3:0x40
	v_mul_i32_i24_e32 v147, v147, v153
	v_and_b32_e32 v161, 3, v161
	s_delay_alu instid0(VALU_DEP_4)
	v_and_b32_e32 v128, 3, v128
	v_and_b32_e32 v137, 3, v137
	;; [unrolled: 1-line block ×4, first 2 shown]
	v_mul_i32_i24_e32 v141, v141, v158
	v_mul_i32_i24_e32 v128, v128, v149
	v_lshrrev_b32_e32 v149, 8, v129
	v_mul_i32_i24_e32 v111, v111, v150
	v_mul_i32_i24_e32 v125, v125, v150
	v_lshrrev_b32_e32 v150, 8, v131
	v_mul_i32_i24_e32 v172, v172, v153
	v_and_b32_e32 v149, 3, v149
	v_mul_i32_i24_e32 v137, v137, v163
	v_mul_i32_i24_e32 v168, v168, v156
	v_and_b32_e32 v150, 3, v150
	v_mul_i32_i24_e32 v109, v109, v156
	v_mul_i32_i24_e32 v149, v149, v162
	v_lshrrev_b32_e32 v162, 16, v131
	v_mul_i32_i24_e32 v153, v161, v153
	v_dual_lshrrev_b32 v161, 16, v119 :: v_dual_lshrrev_b32 v119, 24, v119
	v_mul_i32_i24_e32 v117, v117, v151
	v_mul_i32_i24_e32 v151, v159, v151
	v_dual_lshrrev_b32 v159, 16, v123 :: v_dual_lshrrev_b32 v123, 24, v123
	v_mul_i32_i24_e32 v150, v150, v163
	v_dual_lshrrev_b32 v163, 16, v129 :: v_dual_lshrrev_b32 v129, 24, v129
	v_and_b32_e32 v161, 3, v161
	v_dual_lshrrev_b32 v131, 24, v131 :: v_dual_bitop2_b32 v162, 3, v162 bitop3:0x40
	v_and_b32_e32 v123, 3, v123
	s_delay_alu instid0(VALU_DEP_4) | instskip(NEXT) | instid1(VALU_DEP_4)
	v_and_b32_e32 v129, 3, v129
	v_mul_i32_i24_e32 v161, v161, v158
	s_delay_alu instid0(VALU_DEP_4)
	v_mul_i32_i24_e32 v158, v162, v158
	v_lshrrev_b16 v162, 8, v134
	v_and_b32_e32 v159, 3, v159
	v_and_b32_e32 v119, 3, v119
	;; [unrolled: 1-line block ×4, first 2 shown]
	v_mul_lo_u32 v136, 0x1010101, v136
	v_and_b32_e32 v113, 3, v113
	v_mul_i32_i24_e32 v123, v123, v156
	v_mul_i32_i24_e32 v129, v129, v156
	v_bfe_i32 v156, v162, 0, 8
	v_lshrrev_b32_e32 v162, 24, v133
	v_mul_i32_i24_e32 v140, v140, v157
	v_mul_i32_i24_e32 v113, v113, v157
	;; [unrolled: 1-line block ×5, first 2 shown]
	v_bfe_i32 v157, v134, 16, 8
	v_mul_i32_i24_e32 v162, v6, v162
	v_and_b32_e32 v175, 0xffff, v7
	v_lshrrev_b32_e32 v7, 24, v145
	v_mul_i32_i24_e32 v146, v146, v160
	v_mul_i32_i24_e32 v160, v163, v160
	v_bfe_i32 v163, v134, 0, 8
	v_lshrrev_b32_e32 v134, 24, v134
	v_mul_i32_i24_e32 v156, v169, v156
	v_bfe_i32 v169, v133, 8, 8
	v_mul_i32_i24_e32 v7, v6, v7
	v_add3_u32 v106, v106, v117, v118
	v_mad_i32_i24 v134, v170, v134, v162
	v_bfe_i32 v170, v133, 16, 8
	v_bfe_i32 v133, v133, 0, 8
	;; [unrolled: 1-line block ×3, first 2 shown]
	v_add3_u32 v106, v106, v148, v137
	v_add3_u32 v103, v138, v103, v139
	v_mul_i32_i24_e32 v170, v166, v170
	v_mul_i32_i24_e32 v133, v167, v133
	;; [unrolled: 1-line block ×3, first 2 shown]
	v_add3_u32 v104, v107, v104, v142
	v_add3_u32 v107, v116, v172, v122
	v_mad_i32_i24 v157, v164, v157, v170
	v_bfe_i32 v164, v112, 16, 8
	v_bfe_i32 v170, v136, 16, 8
	v_mad_i32_i24 v133, v165, v163, v133
	v_bfe_i32 v163, v112, 0, 8
	v_bfe_i32 v165, v136, 0, 8
	v_mul_i32_i24_e32 v164, v166, v164
	v_mul_i32_i24_e32 v166, v166, v170
	v_bfe_i32 v170, v112, 8, 8
	v_mul_i32_i24_e32 v163, v167, v163
	v_mul_i32_i24_e32 v165, v167, v165
	v_bfe_i32 v167, v136, 8, 8
	v_lshrrev_b32_e32 v112, 24, v112
	v_mul_i32_i24_e32 v170, v177, v170
	v_lshrrev_b32_e32 v136, 24, v136
	v_add3_u32 v7, v102, v162, v7
	v_mul_i32_i24_e32 v167, v177, v167
	v_mul_i32_i24_e32 v112, v6, v112
	v_add3_u32 v72, v72, v163, v170
	v_add3_u32 v102, v105, v110, v111
	;; [unrolled: 1-line block ×3, first 2 shown]
	v_mul_i32_i24_e32 v6, v6, v136
	v_add3_u32 v73, v73, v165, v167
	v_add3_u32 v72, v72, v164, v112
	;; [unrolled: 1-line block ×6, first 2 shown]
	v_cvt_f32_i32_e32 v6, v7
	v_cvt_f32_i32_e32 v7, v72
	v_add3_u32 v72, v110, v158, v131
	v_add3_u32 v108, v120, v153, v128
	v_cvt_f32_i32_e32 v110, v73
	v_add3_u32 v73, v102, v141, v113
	v_add3_u32 v102, v106, v161, v119
	v_mul_lo_u32 v72, v72, v77
	v_add3_u32 v103, v103, v130, v140
	v_add3_u32 v108, v108, v152, v149
	v_and_b32_e32 v174, 15, v176
	v_mul_lo_u32 v76, v102, v76
	v_and_b32_e32 v171, 0xffff, v171
	v_add3_u32 v107, v107, v126, v154
	v_mul_lo_u32 v77, v103, v132
	v_add3_u32 v103, v108, v160, v129
	v_mul_i32_i24_e32 v169, v177, v169
	v_mul_lo_u32 v75, v73, v75
	v_and_b32_e32 v114, 15, v114
	v_and_b32_e32 v174, 0xffff, v174
	v_add3_u32 v105, v105, v127, v143
	v_add3_u32 v102, v107, v159, v123
	v_mad_u32 v72, v103, v171, v72
	v_add3_u32 v111, v156, v169, v134
	v_and_b32_e32 v114, 0xffff, v114
	v_add3_u32 v104, v104, v144, v168
	v_add3_u32 v103, v105, v146, v109
	v_mad_u32 v76, v102, v174, v76
	v_add3_u32 v111, v133, v157, v111
	v_pk_mul_f32 v[4:5], v[4:5], v[6:7]
	v_mad_u32 v77, v104, v175, v77
	v_mad_u32 v75, v103, v114, v75
	v_mul_f32_e32 v6, v74, v110
	v_cvt_f32_i32_e32 v73, v111
	v_cvt_f32_i32_e32 v72, v72
	;; [unrolled: 1-line block ×3, first 2 shown]
	s_delay_alu instid0(VALU_DEP_2) | instskip(SKIP_2) | instid1(VALU_DEP_3)
	v_pk_mul_f32 v[2:3], v[2:3], v[72:73]
	v_cvt_f32_i32_e32 v72, v77
	v_cvt_f32_i32_e32 v73, v75
	v_dual_mul_f32 v74, v173, v7 :: v_dual_mov_b32 v75, v2
	s_delay_alu instid0(VALU_DEP_4) | instskip(NEXT) | instid1(VALU_DEP_3)
	v_mov_b32_e32 v7, v3
	v_pk_fma_f32 v[0:1], v[0:1], v[72:73], v[4:5] neg_lo:[0,0,1] neg_hi:[0,0,1]
	s_delay_alu instid0(VALU_DEP_2) | instskip(NEXT) | instid1(VALU_DEP_2)
	v_pk_add_f32 v[2:3], v[74:75], v[6:7] neg_lo:[0,1] neg_hi:[0,1]
	v_pk_fma_f32 v[22:23], v[70:71], v[0:1], v[22:23] op_sel_hi:[0,1,1]
	s_delay_alu instid0(VALU_DEP_2)
	v_pk_fma_f32 v[20:21], v[70:71], v[2:3], v[20:21] op_sel_hi:[0,1,1]
	s_cbranch_scc1 .LBB227_11
; %bb.12:                               ;   in Loop: Header=BB227_5 Depth=1
	s_or_b32 s1, s17, 0x80
	s_delay_alu instid0(SALU_CYCLE_1)
	s_cmp_ge_i32 s1, s11
	s_barrier_signal -1
	s_barrier_wait -1
	s_cbranch_scc1 .LBB227_4
; %bb.13:                               ;   in Loop: Header=BB227_5 Depth=1
	v_add_nc_u32_e32 v0, s19, v67
	s_delay_alu instid0(VALU_DEP_1) | instskip(SKIP_1) | instid1(SALU_CYCLE_1)
	v_cmp_gt_i32_e64 s1, s10, v0
	s_and_b32 s20, s0, s1
	s_and_saveexec_b32 s1, s20
	s_cbranch_execz .LBB227_15
; %bb.14:                               ;   in Loop: Header=BB227_5 Depth=1
	v_add_nc_u32_e32 v0, v30, v0
	s_delay_alu instid0(VALU_DEP_1)
	v_mad_nc_i64_i32 v[0:1], v0, 36, v[38:39]
	global_load_b32 v0, v[0:1], off offset:4
	s_wait_loadcnt 0x0
	ds_store_b32 v53, v0
.LBB227_15:                             ;   in Loop: Header=BB227_5 Depth=1
	s_or_b32 exec_lo, exec_lo, s1
	s_and_saveexec_b32 s20, vcc_lo
	s_cbranch_execz .LBB227_18
; %bb.16:                               ;   in Loop: Header=BB227_5 Depth=1
	v_or_b32_e32 v0, 4, v68
	s_delay_alu instid0(VALU_DEP_1) | instskip(SKIP_1) | instid1(SALU_CYCLE_1)
	v_cmp_gt_i32_e64 s1, s10, v0
	s_and_b32 s1, s0, s1
	s_and_b32 exec_lo, exec_lo, s1
	s_cbranch_execz .LBB227_18
; %bb.17:                               ;   in Loop: Header=BB227_5 Depth=1
	v_ashrrev_i32_e32 v69, 31, v68
	s_delay_alu instid0(VALU_DEP_1) | instskip(NEXT) | instid1(VALU_DEP_1)
	v_add_nc_u64_e32 v[0:1], v[30:31], v[68:69]
	v_mad_nc_u64_u32 v[2:3], v0, 36, s[2:3]
	s_delay_alu instid0(VALU_DEP_1)
	v_mad_i32_i24 v3, v1, 36, v3
	global_load_b32 v0, v[2:3], off offset:144
	s_wait_loadcnt 0x0
	v_cvt_f32_f16_e32 v0, v0
	ds_store_b32 v57, v0
.LBB227_18:                             ;   in Loop: Header=BB227_5 Depth=1
	s_or_b32 exec_lo, exec_lo, s20
	v_dual_mov_b32 v69, v51 :: v_dual_mov_b32 v71, v55
	s_mov_b32 s1, 8
	s_wait_dscnt 0x0
	s_barrier_signal -1
	s_barrier_wait -1
.LBB227_19:                             ;   Parent Loop BB227_5 Depth=1
                                        ; =>  This Inner Loop Header: Depth=2
	s_and_b32 s22, s1, 0x3ffffff8
	ds_load_b32 v70, v71
	ds_load_b128 v[4:7], v69
	ds_load_b128 v[0:3], v69 offset:16
	v_lshl_add_u32 v102, s22, 2, v80
	s_lshr_b32 s23, s1, 2
	s_and_b32 s21, s1, -16
	s_and_b32 s22, s23, 0x3ffffffc
	s_add_co_i32 s21, s1, s21
	ds_load_2addr_b32 v[72:73], v102 offset0:4 offset1:7
	s_addk_co_i32 s22, 0x5280
	v_dual_add_nc_u32 v103, s21, v59 :: v_dual_add_nc_u32 v104, s21, v61
	v_dual_add_nc_u32 v105, s21, v63 :: v_dual_add_nc_u32 v108, s21, v65
	v_add3_u32 v109, s22, v101, v85
	v_add3_u32 v110, s22, v86, v87
	;; [unrolled: 1-line block ×4, first 2 shown]
	v_add_nc_u32_e32 v113, 0x1080, v102
	v_add_nc_u32_e32 v114, 0x1088, v102
	;; [unrolled: 1-line block ×12, first 2 shown]
	ds_load_2addr_b32 v[76:77], v102 offset1:1
	ds_load_2addr_b32 v[74:75], v102 offset0:2 offset1:3
	ds_load_2addr_b32 v[106:107], v102 offset0:5 offset1:6
	ds_load_u16 v132, v103 offset:16896
	ds_load_u16 v133, v108 offset:19968
	;; [unrolled: 1-line block ×4, first 2 shown]
	ds_load_b32 v135, v109
	ds_load_b32 v136, v110
	;; [unrolled: 1-line block ×4, first 2 shown]
	ds_load_2addr_b32 v[108:109], v115 offset0:36 offset1:39
	ds_load_2addr_b32 v[110:111], v113 offset1:1
	ds_load_2addr_b32 v[112:113], v114 offset1:1
	;; [unrolled: 1-line block ×11, first 2 shown]
	s_wait_dscnt 0x18
	v_lshrrev_b16 v139, 8, v0
	v_dual_ashrrev_i32 v140, 24, v4 :: v_dual_ashrrev_i32 v147, 24, v5
	v_dual_ashrrev_i32 v141, 24, v0 :: v_dual_ashrrev_i32 v148, 24, v1
	v_bfe_i32 v142, v5, 8, 8
	v_bfe_i32 v143, v0, 0, 8
	;; [unrolled: 1-line block ×5, first 2 shown]
	v_lshrrev_b16 v0, 8, v1
	v_bfe_i32 v149, v4, 8, 8
	v_bfe_i32 v150, v1, 0, 8
	;; [unrolled: 1-line block ×5, first 2 shown]
	v_lshrrev_b16 v1, 8, v6
	v_dual_ashrrev_i32 v154, 24, v2 :: v_dual_ashrrev_i32 v102, 24, v3
	v_bfe_i32 v158, v2, 16, 8
	v_bfe_i32 v159, v2, 0, 8
	;; [unrolled: 1-line block ×3, first 2 shown]
	v_lshrrev_b16 v2, 8, v7
	s_add_co_i32 s20, s1, -8
	v_dual_ashrrev_i32 v155, 24, v6 :: v_dual_ashrrev_i32 v103, 24, v7
	v_bfe_i32 v156, v6, 16, 8
	v_bfe_i32 v157, v6, 0, 8
	;; [unrolled: 1-line block ×10, first 2 shown]
	v_dual_add_nc_u32 v0, v148, v141 :: v_dual_add_nc_u32 v1, v147, v140
	v_dual_add_nc_u32 v2, v153, v146 :: v_dual_add_nc_u32 v3, v152, v145
	;; [unrolled: 1-line block ×3, first 2 shown]
	s_wait_dscnt 0x16
	v_dual_add_nc_u32 v6, v149, v142 :: v_dual_ashrrev_i32 v76, s20, v76
	s_wait_dscnt 0x15
	v_dual_ashrrev_i32 v77, s20, v77 :: v_dual_ashrrev_i32 v75, s20, v75
	v_dual_ashrrev_i32 v72, s20, v72 :: v_dual_ashrrev_i32 v73, s20, v73
	v_bfe_i32 v139, v139, 0, 8
	s_wait_dscnt 0x11
	v_lshrrev_b16 v171, 8, v134
	v_bfe_u32 v172, v134, 4, 4
	v_and_b32_e32 v134, 15, v134
	s_wait_dscnt 0x10
	v_lshrrev_b16 v173, 8, v105
	v_bfe_u32 v174, v105, 4, 4
	v_and_b32_e32 v105, 15, v105
	v_add3_u32 v176, v6, v165, v166
	v_add3_u32 v177, v1, v155, v103
	;; [unrolled: 1-line block ×6, first 2 shown]
	s_wait_dscnt 0xd
	v_cvt_f32_f16_e64 v6, v137
	v_lshrrev_b32_e32 v3, 16, v137
	v_cvt_f32_f16_e64 v1, v136
	v_cvt_f32_f16_e64 v0, v135
	v_dual_lshrrev_b32 v4, 16, v136 :: v_dual_lshrrev_b32 v135, 16, v135
	s_wait_dscnt 0xc
	v_lshrrev_b32_e32 v136, 16, v138
	v_cvt_f32_f16_e64 v2, v138
	v_and_b32_e32 v137, 3, v77
	v_bfe_u32 v138, v77, 8, 2
	v_bfe_u32 v183, v77, 16, 2
	v_dual_lshrrev_b32 v77, 24, v77 :: v_dual_bitop2_b32 v187, 3, v72 bitop3:0x40
	v_bfe_u32 v188, v72, 8, 2
	v_bfe_u32 v189, v72, 16, 2
	v_dual_lshrrev_b32 v72, 24, v72 :: v_dual_ashrrev_i32 v74, s20, v74
	v_ashrrev_i32_e32 v107, s20, v107
	v_dual_lshrrev_b32 v186, 16, v75 :: v_dual_bitop2_b32 v184, 3, v75 bitop3:0x40
	v_bfe_u32 v185, v75, 8, 2
	s_wait_dscnt 0x9
	v_dual_ashrrev_i32 v113, s20, v113 :: v_dual_ashrrev_i32 v108, s20, v108
	s_wait_dscnt 0x5
	v_dual_ashrrev_i32 v117, s20, v117 :: v_dual_ashrrev_i32 v120, s20, v120
	s_wait_dscnt 0x2
	v_dual_ashrrev_i32 v125, s20, v125 :: v_dual_ashrrev_i32 v126, s20, v126
	v_dual_lshrrev_b32 v75, 24, v75 :: v_dual_ashrrev_i32 v122, s20, v122
	v_dual_ashrrev_i32 v118, s20, v118 :: v_dual_ashrrev_i32 v123, s20, v123
	v_mul_i32_i24_e32 v137, v137, v152
	v_mul_i32_i24_e32 v188, v188, v139
	v_and_b32_e32 v77, 3, v77
	v_dual_ashrrev_i32 v106, s20, v106 :: v_dual_bitop2_b32 v72, 3, v72 bitop3:0x40
	v_dual_ashrrev_i32 v110, s20, v110 :: v_dual_ashrrev_i32 v111, s20, v111
	v_lshrrev_b16 v167, 8, v132
	v_dual_ashrrev_i32 v109, s20, v109 :: v_dual_ashrrev_i32 v116, s20, v116
	v_dual_lshrrev_b32 v198, 16, v74 :: v_dual_bitop2_b32 v196, 3, v74 bitop3:0x40
	v_dual_ashrrev_i32 v114, s20, v114 :: v_dual_bitop2_b32 v202, 3, v107 bitop3:0x40
	v_and_b32_e32 v214, 3, v108
	v_and_b32_e32 v226, 3, v120
	;; [unrolled: 1-line block ×3, first 2 shown]
	v_mad_i32_i24 v137, v138, v142, v137
	v_mul_i32_i24_e32 v183, v183, v153
	v_mul_i32_i24_e32 v77, v77, v147
	v_mad_i32_i24 v187, v187, v143, v188
	v_mul_i32_i24_e32 v189, v189, v144
	v_mul_i32_i24_e32 v72, v72, v141
	v_bfe_u32 v168, v132, 4, 4
	v_and_b32_e32 v132, 15, v132
	v_bfe_u32 v170, v133, 4, 4
	v_add3_u32 v179, v5, v159, v162
	v_dual_ashrrev_i32 v121, s20, v121 :: v_dual_ashrrev_i32 v124, s20, v124
	v_dual_ashrrev_i32 v127, s20, v127 :: v_dual_ashrrev_i32 v112, s20, v112
	v_dual_lshrrev_b32 v197, 8, v74 :: v_dual_bitop2_b32 v193, 3, v76 bitop3:0x40
	v_dual_lshrrev_b32 v74, 24, v74 :: v_dual_ashrrev_i32 v115, s20, v115
	v_dual_lshrrev_b32 v200, 8, v106 :: v_dual_bitop2_b32 v199, 3, v106 bitop3:0x40
	v_and_b32_e32 v207, 0xffff, v171
	v_and_b32_e32 v171, 15, v171
	v_cvt_f32_f16_e32 v5, v4
	v_cvt_f32_f16_e64 v4, v135
	v_dual_lshrrev_b32 v219, 16, v109 :: v_dual_bitop2_b32 v135, 3, v111 bitop3:0x40
	v_bfe_u32 v215, v108, 8, 2
	v_bfe_u32 v216, v108, 16, 2
	v_dual_lshrrev_b32 v108, 24, v108 :: v_dual_bitop2_b32 v223, 3, v117 bitop3:0x40
	v_dual_ashrrev_i32 v119, s20, v119 :: v_dual_bitop2_b32 v235, 3, v125 bitop3:0x40
	s_wait_dscnt 0x1
	v_ashrrev_i32_e32 v128, s20, v128
	v_and_b32_e32 v205, 0xffff, v167
	v_dual_lshrrev_b32 v213, 16, v113 :: v_dual_bitop2_b32 v167, 15, v167 bitop3:0x40
	v_dual_lshrrev_b32 v138, 8, v112 :: v_dual_bitop2_b32 v211, 3, v113 bitop3:0x40
	v_bfe_u32 v212, v113, 8, 2
	v_and_b32_e32 v220, 3, v116
	v_bfe_u32 v227, v120, 8, 2
	v_bfe_u32 v239, v126, 8, 2
	v_add3_u32 v77, v137, v183, v77
	v_and_b32_e32 v183, 3, v198
	v_dual_lshrrev_b32 v188, 8, v114 :: v_dual_bitop2_b32 v198, 3, v114 bitop3:0x40
	v_add3_u32 v72, v187, v189, v72
	v_dual_lshrrev_b32 v187, 16, v114 :: v_dual_lshrrev_b32 v114, 24, v114
	v_lshrrev_b32_e32 v113, 24, v113
	v_mul_i32_i24_e32 v214, v214, v143
	v_mul_i32_i24_e32 v226, v226, v143
	;; [unrolled: 1-line block ×3, first 2 shown]
	v_lshrrev_b16 v169, 8, v133
	v_dual_lshrrev_b32 v192, 16, v73 :: v_dual_bitop2_b32 v190, 3, v73 bitop3:0x40
	v_bfe_u32 v191, v73, 8, 2
	v_bfe_u32 v194, v76, 8, 2
	;; [unrolled: 1-line block ×4, first 2 shown]
	v_dual_lshrrev_b32 v201, 16, v106 :: v_dual_lshrrev_b32 v106, 24, v106
	v_dual_lshrrev_b32 v203, 8, v107 :: v_dual_lshrrev_b32 v204, 16, v107
	;; [unrolled: 1-line block ×3, first 2 shown]
	s_wait_dscnt 0x0
	v_dual_ashrrev_i32 v130, s20, v130 :: v_dual_ashrrev_i32 v129, s20, v129
	v_ashrrev_i32_e32 v131, s20, v131
	v_mul_lo_u32 v170, 0x1010101, v170
	v_and_b32_e32 v208, 0xffff, v173
	v_and_b32_e32 v173, 15, v173
	v_cvt_f32_f16_e64 v209, v3
	v_cvt_f32_f16_e64 v3, v136
	v_bfe_u32 v136, v111, 8, 2
	v_bfe_u32 v210, v111, 16, 2
	v_dual_lshrrev_b32 v111, 24, v111 :: v_dual_bitop2_b32 v217, 3, v109 bitop3:0x40
	v_lshrrev_b32_e32 v137, 16, v112
	v_bfe_u32 v221, v116, 8, 2
	v_bfe_u32 v222, v116, 16, 2
	;; [unrolled: 1-line block ×8, first 2 shown]
	v_and_b32_e32 v232, 3, v124
	v_bfe_u32 v233, v124, 8, 2
	v_bfe_u32 v234, v124, 16, 2
	;; [unrolled: 1-line block ×8, first 2 shown]
	v_and_b32_e32 v244, 3, v110
	v_bfe_u32 v245, v110, 8, 2
	v_bfe_u32 v246, v110, 24, 2
	;; [unrolled: 1-line block ×3, first 2 shown]
	v_dual_lshrrev_b32 v238, 8, v118 :: v_dual_bitop2_b32 v247, 3, v112 bitop3:0x40
	v_lshrrev_b32_e32 v112, 24, v112
	v_and_b32_e32 v200, 3, v200
	v_mul_i32_i24_e32 v135, v135, v152
	v_mul_i32_i24_e32 v223, v223, v152
	;; [unrolled: 1-line block ×3, first 2 shown]
	v_and_b32_e32 v108, 3, v108
	v_dual_add_nc_u32 v175, v164, v139 :: v_dual_bitop2_b32 v133, 15, v133 bitop3:0x40
	v_mul_lo_u32 v168, 0x1010101, v168
	v_mul_lo_u32 v172, 0x1010101, v172
	v_mad_i32_i24 v214, v215, v139, v214
	v_mad_i32_i24 v226, v227, v139, v226
	v_mad_i32_i24 v139, v239, v139, v143
	v_dual_lshrrev_b32 v205, 4, v205 :: v_dual_bitop2_b32 v239, 3, v119 bitop3:0x40
	v_and_b32_e32 v206, 0xffff, v169
	v_and_b32_e32 v169, 15, v169
	v_mul_lo_u32 v174, 0x1010101, v174
	v_dual_lshrrev_b32 v235, 8, v115 :: v_dual_bitop2_b32 v229, 3, v121 bitop3:0x40
	v_bfe_u32 v230, v121, 8, 2
	v_and_b32_e32 v241, 3, v127
	v_bfe_u32 v242, v127, 8, 2
	v_dual_lshrrev_b32 v215, 16, v122 :: v_dual_bitop2_b32 v197, 3, v197 bitop3:0x40
	v_mul_i32_i24_e32 v193, v145, v193
	v_mul_i32_i24_e32 v76, v146, v76
	;; [unrolled: 1-line block ×4, first 2 shown]
	v_and_b32_e32 v189, 3, v201
	v_and_b32_e32 v106, 3, v106
	;; [unrolled: 1-line block ×3, first 2 shown]
	v_mad_i32_i24 v135, v136, v142, v135
	v_lshrrev_b32_e32 v136, 16, v115
	v_mul_i32_i24_e32 v199, v199, v150
	v_and_b32_e32 v73, 3, v73
	v_mad_i32_i24 v223, v224, v142, v223
	v_and_b32_e32 v224, 3, v118
	v_mad_i32_i24 v142, v236, v142, v152
	v_dual_lshrrev_b32 v236, 8, v122 :: v_dual_bitop2_b32 v152, 3, v122 bitop3:0x40
	v_lshrrev_b32_e32 v122, 24, v122
	v_mul_i32_i24_e32 v244, v145, v244
	v_mul_i32_i24_e32 v220, v145, v220
	;; [unrolled: 1-line block ×3, first 2 shown]
	v_lshrrev_b32_e32 v232, 8, v123
	v_mul_i32_i24_e32 v210, v210, v153
	v_mul_i32_i24_e32 v225, v225, v153
	;; [unrolled: 1-line block ×3, first 2 shown]
	v_and_b32_e32 v237, 3, v130
	v_mul_i32_i24_e32 v216, v216, v144
	v_mul_i32_i24_e32 v110, v146, v110
	;; [unrolled: 1-line block ×4, first 2 shown]
	v_dual_lshrrev_b32 v206, 4, v206 :: v_dual_bitop2_b32 v234, 3, v131 bitop3:0x40
	v_mul_i32_i24_e32 v246, v140, v246
	v_mul_i32_i24_e32 v116, v116, v140
	;; [unrolled: 1-line block ×3, first 2 shown]
	v_dual_lshrrev_b32 v140, 8, v128 :: v_dual_bitop2_b32 v111, 3, v111 bitop3:0x40
	v_lshrrev_b32_e32 v208, 4, v208
	v_mul_i32_i24_e32 v117, v117, v147
	v_mul_i32_i24_e32 v125, v125, v147
	;; [unrolled: 1-line block ×5, first 2 shown]
	v_dual_lshrrev_b32 v141, 8, v129 :: v_dual_bitop2_b32 v188, 3, v188 bitop3:0x40
	v_mul_i32_i24_e32 v200, v200, v164
	v_mul_lo_u32 v205, 0x1010101, v205
	v_bfe_u32 v218, v109, 8, 2
	v_bfe_u32 v231, v121, 16, 2
	;; [unrolled: 1-line block ×3, first 2 shown]
	v_mul_i32_i24_e32 v184, v184, v161
	v_and_b32_e32 v74, 3, v74
	v_mul_i32_i24_e32 v194, v149, v194
	v_dual_lshrrev_b32 v109, 24, v109 :: v_dual_bitop2_b32 v203, 3, v203 bitop3:0x40
	v_dual_lshrrev_b32 v227, 16, v118 :: v_dual_lshrrev_b32 v118, 24, v118
	v_and_b32_e32 v143, 3, v123
	v_mul_i32_i24_e32 v229, v229, v150
	v_mul_i32_i24_e32 v247, v247, v157
	;; [unrolled: 1-line block ×4, first 2 shown]
	v_lshrrev_b32_e32 v237, 16, v119
	v_mul_i32_i24_e32 v198, v198, v150
	v_mul_i32_i24_e32 v150, v241, v150
	v_dual_lshrrev_b32 v241, 16, v123 :: v_dual_lshrrev_b32 v123, 24, v123
	v_mul_i32_i24_e32 v211, v211, v161
	v_mul_i32_i24_e32 v239, v239, v161
	v_mul_i32_i24_e32 v161, v234, v161
	v_lshrrev_b32_e32 v234, 8, v130
	v_mul_i32_i24_e32 v230, v230, v164
	v_mul_i32_i24_e32 v242, v242, v164
	;; [unrolled: 1-line block ×3, first 2 shown]
	v_lshrrev_b32_e32 v188, 8, v131
	v_and_b32_e32 v187, 3, v187
	v_mul_i32_i24_e32 v189, v189, v151
	v_and_b32_e32 v114, 3, v114
	v_mul_i32_i24_e32 v106, v106, v148
	v_mul_i32_i24_e32 v248, v73, v102
	v_and_b32_e32 v73, 3, v236
	v_and_b32_e32 v232, 3, v232
	v_and_b32_e32 v140, 3, v140
	v_and_b32_e32 v141, 3, v141
	v_mul_lo_u32 v208, 0x1010101, v208
	v_and_b32_e32 v235, 3, v235
	v_add3_u32 v77, v77, v196, v193
	v_add3_u32 v108, v214, v216, v108
	;; [unrolled: 1-line block ×5, first 2 shown]
	v_bfe_u32 v121, v121, 24, 2
	v_bfe_u32 v127, v127, 24, 2
	v_mul_i32_i24_e32 v245, v149, v245
	v_mul_i32_i24_e32 v221, v221, v149
	;; [unrolled: 1-line block ×3, first 2 shown]
	v_and_b32_e32 v233, 3, v128
	v_add3_u32 v175, v175, v160, v163
	v_and_b32_e32 v75, 3, v75
	v_and_b32_e32 v192, 3, v192
	v_mul_i32_i24_e32 v191, v191, v163
	v_mul_i32_i24_e32 v111, v111, v147
	v_dual_lshrrev_b32 v147, 16, v130 :: v_dual_lshrrev_b32 v130, 24, v130
	v_mul_i32_i24_e32 v231, v231, v151
	v_mul_i32_i24_e32 v243, v243, v151
	v_dual_lshrrev_b32 v142, 24, v205 :: v_dual_bitop2_b32 v138, 3, v138 bitop3:0x40
	v_mul_i32_i24_e32 v197, v197, v165
	v_mul_i32_i24_e32 v203, v203, v160
	;; [unrolled: 1-line block ×3, first 2 shown]
	v_and_b32_e32 v236, 3, v238
	v_and_b32_e32 v234, 3, v234
	v_mul_i32_i24_e32 v235, v235, v160
	v_mul_i32_i24_e32 v73, v73, v160
	;; [unrolled: 1-line block ×3, first 2 shown]
	v_lshrrev_b32_e32 v160, 24, v168
	v_mul_i32_i24_e32 v151, v187, v151
	v_mul_i32_i24_e32 v232, v232, v163
	;; [unrolled: 1-line block ×3, first 2 shown]
	v_lshrrev_b32_e32 v163, 24, v172
	v_mul_i32_i24_e32 v114, v114, v148
	v_add3_u32 v76, v77, v194, v76
	v_add3_u32 v77, v108, v198, v164
	;; [unrolled: 1-line block ×5, first 2 shown]
	v_mul_i32_i24_e32 v228, v228, v144
	v_mul_i32_i24_e32 v144, v240, v144
	;; [unrolled: 1-line block ×4, first 2 shown]
	v_lshrrev_b32_e32 v187, 16, v129
	v_mul_i32_i24_e32 v152, v152, v159
	v_mul_i32_i24_e32 v121, v121, v148
	;; [unrolled: 1-line block ×3, first 2 shown]
	v_dual_lshrrev_b32 v148, 16, v131 :: v_dual_lshrrev_b32 v131, 24, v131
	v_mul_i32_i24_e32 v159, v233, v159
	v_dual_lshrrev_b32 v207, 4, v207 :: v_dual_bitop2_b32 v233, 3, v129 bitop3:0x40
	v_lshrrev_b32_e32 v240, 8, v119
	v_mul_i32_i24_e32 v183, v183, v156
	v_mul_i32_i24_e32 v74, v74, v155
	v_and_b32_e32 v227, 3, v227
	v_and_b32_e32 v147, 3, v147
	v_and_b32_e32 v130, 3, v130
	v_mul_lo_u32 v206, 0x1010101, v206
	v_and_b32_e32 v137, 3, v137
	v_mul_i32_i24_e32 v138, v138, v165
	v_mul_i32_i24_e32 v236, v236, v165
	;; [unrolled: 1-line block ×3, first 2 shown]
	v_add3_u32 v111, v135, v210, v111
	v_add3_u32 v76, v76, v195, v197
	;; [unrolled: 1-line block ×7, first 2 shown]
	v_mul_lo_u32 v207, 0x1010101, v207
	v_dual_lshrrev_b32 v119, 24, v119 :: v_dual_bitop2_b32 v204, 3, v204 bitop3:0x40
	v_and_b32_e32 v186, 3, v186
	v_mul_i32_i24_e32 v185, v185, v166
	v_and_b32_e32 v118, 3, v118
	v_and_b32_e32 v238, 3, v240
	;; [unrolled: 1-line block ×3, first 2 shown]
	v_bfe_i32 v234, v168, 16, 8
	v_mul_i32_i24_e32 v137, v137, v156
	v_mul_i32_i24_e32 v227, v227, v156
	;; [unrolled: 1-line block ×3, first 2 shown]
	v_bfe_i32 v156, v168, 8, 8
	v_bfe_i32 v168, v168, 0, 8
	v_mul_i32_i24_e32 v130, v130, v155
	v_add3_u32 v111, v111, v247, v244
	v_add3_u32 v74, v76, v183, v74
	;; [unrolled: 1-line block ×5, first 2 shown]
	v_mul_i32_i24_e32 v190, v190, v162
	v_and_b32_e32 v107, 3, v107
	v_mul_i32_i24_e32 v217, v217, v162
	v_lshrrev_b32_e32 v129, 24, v129
	v_mul_i32_i24_e32 v143, v143, v162
	v_mul_i32_i24_e32 v162, v233, v162
	v_dual_lshrrev_b32 v233, 16, v128 :: v_dual_lshrrev_b32 v128, 24, v128
	v_add3_u32 v108, v120, v229, v230
	v_add3_u32 v120, v126, v150, v242
	v_and_b32_e32 v112, 3, v112
	v_and_b32_e32 v213, 3, v213
	;; [unrolled: 1-line block ×3, first 2 shown]
	v_mul_i32_i24_e32 v212, v212, v166
	v_mul_i32_i24_e32 v186, v186, v104
	;; [unrolled: 1-line block ×3, first 2 shown]
	v_and_b32_e32 v237, 3, v237
	v_and_b32_e32 v119, 3, v119
	;; [unrolled: 1-line block ×4, first 2 shown]
	v_mul_i32_i24_e32 v118, v118, v155
	v_mul_i32_i24_e32 v238, v238, v166
	;; [unrolled: 1-line block ×4, first 2 shown]
	v_add3_u32 v110, v111, v245, v110
	v_add3_u32 v74, v74, v184, v185
	;; [unrolled: 1-line block ×3, first 2 shown]
	v_dual_lshrrev_b32 v115, 24, v115 :: v_dual_bitop2_b32 v136, 3, v136 bitop3:0x40
	v_add_nc_u32_e32 v71, 4, v71
	v_mul_i32_i24_e32 v204, v204, v158
	v_mul_i32_i24_e32 v107, v107, v154
	v_and_b32_e32 v215, 3, v215
	v_and_b32_e32 v233, 3, v233
	;; [unrolled: 1-line block ×3, first 2 shown]
	v_add3_u32 v72, v72, v202, v203
	v_add3_u32 v111, v120, v243, v127
	v_mul_i32_i24_e32 v213, v213, v104
	v_mul_i32_i24_e32 v237, v237, v104
	;; [unrolled: 1-line block ×6, first 2 shown]
	v_mad_i32_i24 v153, v176, v156, v168
	v_lshrrev_b32_e32 v156, 24, v206
	v_bfe_i32 v168, v206, 16, 8
	v_bfe_i32 v193, v206, 8, 8
	;; [unrolled: 1-line block ×3, first 2 shown]
	v_lshrrev_b32_e32 v206, 24, v207
	v_mul_i32_i24_e32 v112, v112, v155
	v_add3_u32 v110, v110, v246, v138
	v_add3_u32 v77, v77, v227, v118
	;; [unrolled: 1-line block ×4, first 2 shown]
	v_dual_add_nc_u32 v69, 32, v69 :: v_dual_bitop2_b32 v115, 3, v115 bitop3:0x40
	v_and_b32_e32 v122, 3, v122
	v_mul_i32_i24_e32 v136, v136, v158
	v_mul_i32_i24_e32 v215, v215, v158
	;; [unrolled: 1-line block ×4, first 2 shown]
	v_add3_u32 v108, v108, v231, v121
	v_add3_u32 v72, v72, v204, v107
	;; [unrolled: 1-line block ×3, first 2 shown]
	v_and_b32_e32 v219, 3, v219
	v_and_b32_e32 v109, 3, v109
	;; [unrolled: 1-line block ×7, first 2 shown]
	v_add3_u32 v110, v110, v137, v112
	v_add3_u32 v77, v77, v239, v238
	;; [unrolled: 1-line block ×3, first 2 shown]
	v_mul_i32_i24_e32 v115, v115, v154
	v_mul_i32_i24_e32 v122, v122, v154
	v_add3_u32 v73, v108, v152, v73
	v_add3_u32 v107, v107, v158, v128
	v_mul_i32_i24_e32 v192, v192, v7
	v_lshrrev_b16 v233, 8, v170
	v_bfe_i32 v188, v172, 16, 8
	v_bfe_i32 v148, v172, 8, 8
	;; [unrolled: 1-line block ×3, first 2 shown]
	v_mul_i32_i24_e32 v219, v219, v7
	v_mul_i32_i24_e32 v240, v240, v7
	;; [unrolled: 1-line block ×3, first 2 shown]
	v_lshrrev_b32_e32 v187, 24, v174
	v_bfe_i32 v131, v174, 16, 8
	v_mul_i32_i24_e32 v109, v109, v102
	v_mul_i32_i24_e32 v123, v123, v102
	;; [unrolled: 1-line block ×3, first 2 shown]
	v_bfe_i32 v129, v174, 8, 8
	v_bfe_i32 v174, v174, 0, 8
	v_mul_i32_i24_e32 v234, v182, v234
	v_mul_i32_i24_e32 v160, v177, v160
	v_bfe_i32 v135, v205, 0, 8
	v_bfe_i32 v139, v205, 8, 8
	v_and_b32_e32 v105, 0xffff, v105
	v_add3_u32 v110, v110, v211, v212
	v_add3_u32 v77, v77, v237, v119
	v_mul_lo_u32 v75, v75, v133
	v_add3_u32 v76, v76, v136, v115
	v_add3_u32 v112, v72, v190, v191
	;; [unrolled: 1-line block ×4, first 2 shown]
	v_bfe_i32 v155, v170, 0, 8
	v_bfe_i32 v154, v170, 16, 8
	v_lshrrev_b32_e32 v170, 24, v170
	v_bfe_i32 v233, v233, 0, 8
	v_mul_i32_i24_e32 v172, v181, v172
	v_mul_i32_i24_e32 v174, v181, v174
	v_bfe_i32 v144, v205, 16, 8
	v_mul_i32_i24_e32 v125, v178, v142
	v_mul_i32_i24_e32 v135, v179, v135
	;; [unrolled: 1-line block ×3, first 2 shown]
	v_add3_u32 v142, v153, v234, v160
	v_mul_i32_i24_e32 v153, v178, v156
	v_and_b32_e32 v132, 0xffff, v132
	v_and_b32_e32 v134, 0xffff, v134
	v_add3_u32 v104, v110, v213, v113
	v_mul_lo_u32 v77, v77, v105
	v_and_b32_e32 v169, 0xffff, v169
	v_add3_u32 v106, v112, v192, v248
	v_add3_u32 v112, v115, v143, v232
	;; [unrolled: 1-line block ×3, first 2 shown]
	v_mul_i32_i24_e32 v163, v177, v163
	v_mul_i32_i24_e32 v188, v182, v188
	;; [unrolled: 1-line block ×5, first 2 shown]
	v_bfe_i32 v200, v207, 0, 8
	v_bfe_i32 v205, v207, 8, 8
	v_mad_i32_i24 v148, v176, v148, v172
	v_lshrrev_b32_e32 v172, 24, v208
	v_bfe_i32 v210, v208, 16, 8
	v_bfe_i32 v214, v208, 8, 8
	;; [unrolled: 1-line block ×3, first 2 shown]
	v_mad_i32_i24 v129, v176, v129, v174
	v_mul_i32_i24_e32 v126, v180, v144
	v_mul_i32_i24_e32 v144, v179, v196
	;; [unrolled: 1-line block ×4, first 2 shown]
	v_add3_u32 v117, v142, v135, v139
	v_mad_i32_i24 v120, v177, v170, v153
	v_mul_lo_u32 v74, v74, v132
	v_mul_lo_u32 v103, v104, v134
	v_and_b32_e32 v173, 0xffff, v173
	v_add3_u32 v76, v76, v217, v218
	v_add3_u32 v102, v112, v240, v123
	v_mad_u32 v7, v7, v169, v75
	v_bfe_i32 v207, v207, 16, 8
	v_mul_i32_i24_e32 v160, v179, v200
	v_mul_i32_i24_e32 v164, v175, v205
	v_add3_u32 v148, v148, v188, v163
	v_mul_i32_i24_e32 v168, v178, v172
	v_mul_i32_i24_e32 v172, v179, v208
	;; [unrolled: 1-line block ×3, first 2 shown]
	v_add3_u32 v129, v129, v131, v187
	v_mad_i32_i24 v121, v182, v154, v150
	v_mad_i32_i24 v127, v181, v155, v144
	v_add3_u32 v108, v117, v126, v125
	v_add3_u32 v111, v199, v145, v120
	v_and_b32_e32 v167, 0xffff, v167
	v_and_b32_e32 v171, 0xffff, v171
	v_add3_u32 v76, v76, v219, v109
	v_mad_u32 v77, v102, v173, v77
	v_mul_i32_i24_e32 v156, v178, v206
	v_mul_i32_i24_e32 v157, v180, v207
	;; [unrolled: 1-line block ×3, first 2 shown]
	v_add3_u32 v131, v148, v160, v164
	v_add3_u32 v129, v129, v172, v174
	v_cvt_f32_i32_e32 v72, v108
	v_add3_u32 v108, v127, v121, v111
	v_mad_u32 v102, v106, v167, v74
	v_mad_u32 v76, v76, v171, v103
	v_add3_u32 v114, v131, v157, v156
	v_add3_u32 v116, v129, v163, v168
	v_cvt_f32_i32_e32 v75, v108
	v_cvt_f32_i32_e32 v74, v7
	;; [unrolled: 1-line block ×5, first 2 shown]
	s_add_co_i32 s20, s1, 2
	v_pk_mul_f32 v[2:3], v[2:3], v[74:75]
	v_cvt_f32_i32_e32 v74, v102
	v_pk_mul_f32 v[4:5], v[4:5], v[72:73]
	v_mul_f32_e32 v72, v209, v111
	v_cvt_f32_i32_e32 v75, v76
	v_mul_f32_e32 v6, v6, v7
	v_dual_mov_b32 v7, v2 :: v_dual_mov_b32 v73, v3
	s_cmp_lt_u32 s1, 14
	s_delay_alu instid0(VALU_DEP_3) | instskip(SKIP_1) | instid1(VALU_DEP_2)
	v_pk_fma_f32 v[0:1], v[0:1], v[74:75], v[4:5] neg_lo:[0,0,1] neg_hi:[0,0,1]
	s_mov_b32 s1, s20
	v_pk_add_f32 v[2:3], v[6:7], v[72:73] neg_lo:[0,1] neg_hi:[0,1]
	s_delay_alu instid0(VALU_DEP_2) | instskip(NEXT) | instid1(VALU_DEP_2)
	v_pk_fma_f32 v[22:23], v[70:71], v[0:1], v[22:23] op_sel_hi:[0,1,1]
	v_pk_fma_f32 v[20:21], v[70:71], v[2:3], v[20:21] op_sel_hi:[0,1,1]
	s_cbranch_scc1 .LBB227_19
; %bb.20:                               ;   in Loop: Header=BB227_5 Depth=1
	s_or_b32 s1, s17, 0x100
	s_delay_alu instid0(SALU_CYCLE_1)
	s_cmp_ge_i32 s1, s11
	s_barrier_signal -1
	s_barrier_wait -1
	s_cbranch_scc1 .LBB227_4
; %bb.21:                               ;   in Loop: Header=BB227_5 Depth=1
	v_add_nc_u32_e32 v0, s19, v78
	s_delay_alu instid0(VALU_DEP_1) | instskip(SKIP_1) | instid1(SALU_CYCLE_1)
	v_cmp_gt_i32_e64 s1, s10, v0
	s_and_b32 s20, s0, s1
	s_and_saveexec_b32 s1, s20
	s_cbranch_execz .LBB227_23
; %bb.22:                               ;   in Loop: Header=BB227_5 Depth=1
	v_add_nc_u32_e32 v0, v30, v0
	s_delay_alu instid0(VALU_DEP_1)
	v_mad_nc_i64_i32 v[0:1], v0, 36, v[38:39]
	global_load_b32 v0, v[0:1], off offset:4
	s_wait_loadcnt 0x0
	ds_store_b32 v53, v0
.LBB227_23:                             ;   in Loop: Header=BB227_5 Depth=1
	s_or_b32 exec_lo, exec_lo, s1
	s_and_saveexec_b32 s20, vcc_lo
	s_cbranch_execz .LBB227_26
; %bb.24:                               ;   in Loop: Header=BB227_5 Depth=1
	v_or_b32_e32 v0, 8, v68
	s_delay_alu instid0(VALU_DEP_1) | instskip(SKIP_1) | instid1(SALU_CYCLE_1)
	v_cmp_gt_i32_e64 s1, s10, v0
	s_and_b32 s1, s0, s1
	s_and_b32 exec_lo, exec_lo, s1
	s_cbranch_execz .LBB227_26
; %bb.25:                               ;   in Loop: Header=BB227_5 Depth=1
	v_ashrrev_i32_e32 v69, 31, v68
	s_delay_alu instid0(VALU_DEP_1) | instskip(NEXT) | instid1(VALU_DEP_1)
	v_add_nc_u64_e32 v[0:1], v[30:31], v[68:69]
	v_mad_nc_u64_u32 v[2:3], v0, 36, s[2:3]
	s_delay_alu instid0(VALU_DEP_1)
	v_mad_i32_i24 v3, v1, 36, v3
	global_load_b32 v0, v[2:3], off offset:288
	s_wait_loadcnt 0x0
	v_cvt_f32_f16_e32 v0, v0
	ds_store_b32 v57, v0
.LBB227_26:                             ;   in Loop: Header=BB227_5 Depth=1
	s_or_b32 exec_lo, exec_lo, s20
	v_dual_mov_b32 v1, v51 :: v_dual_mov_b32 v69, v55
	s_mov_b32 s1, 16
	s_wait_dscnt 0x0
	s_barrier_signal -1
	s_barrier_wait -1
.LBB227_27:                             ;   Parent Loop BB227_5 Depth=1
                                        ; =>  This Inner Loop Header: Depth=2
	s_and_b32 s22, s1, 0x3ffffff8
	s_add_co_i32 s20, s1, -16
	v_lshl_add_u32 v72, s22, 2, v80
	s_lshr_b32 s22, s1, 2
	s_and_b32 s21, s1, -16
	s_and_b32 s22, s22, 0x3ffffffc
	s_add_co_i32 s21, s1, s21
	ds_load_2addr_b32 v[2:3], v72 offset1:1
	s_addk_co_i32 s22, 0x5280
	ds_load_2addr_b32 v[6:7], v72 offset0:2 offset1:3
	ds_load_b32 v0, v69
	v_add_nc_u32_e32 v146, 0x2118, v72
	v_add_nc_u32_e32 v166, 0x3188, v72
	;; [unrolled: 1-line block ×4, first 2 shown]
	s_wait_dscnt 0x2
	v_dual_add_nc_u32 v69, 4, v69 :: v_dual_ashrrev_i32 v103, s20, v2
	v_ashrrev_i32_e32 v4, s20, v3
	ds_load_2addr_b32 v[2:3], v72 offset0:4 offset1:7
	v_dual_add_nc_u32 v109, s21, v59 :: v_dual_lshrrev_b32 v114, 24, v4
	v_and_b32_e32 v111, 3, v4
	v_bfe_u32 v112, v4, 8, 2
	v_bfe_u32 v113, v4, 16, 2
	s_wait_dscnt 0x0
	v_dual_ashrrev_i32 v2, s20, v2 :: v_dual_ashrrev_i32 v108, s20, v3
	v_add3_u32 v3, s22, v101, v85
	s_delay_alu instid0(VALU_DEP_2)
	v_dual_lshrrev_b32 v121, 24, v2 :: v_dual_bitop2_b32 v118, 3, v2 bitop3:0x40
	v_bfe_u32 v119, v2, 8, 2
	v_bfe_u32 v120, v2, 16, 2
	v_add_nc_u32_e32 v2, 0x1080, v72
	ds_load_b32 v110, v3
	v_dual_lshrrev_b32 v124, 16, v108 :: v_dual_bitop2_b32 v122, 3, v108 bitop3:0x40
	v_bfe_u32 v123, v108, 8, 2
	ds_load_2addr_b32 v[2:3], v2 offset1:1
	s_wait_dscnt 0x0
	v_dual_ashrrev_i32 v125, s20, v2 :: v_dual_bitop2_b32 v124, 3, v124 bitop3:0x40
	v_ashrrev_i32_e32 v4, s20, v3
	v_add_nc_u32_e32 v2, 0x1088, v72
	s_delay_alu instid0(VALU_DEP_2)
	v_dual_lshrrev_b32 v134, 24, v4 :: v_dual_bitop2_b32 v131, 3, v4 bitop3:0x40
	ds_load_2addr_b32 v[70:71], v2 offset1:1
	v_add_nc_u32_e32 v2, 0x1000, v72
	v_bfe_u32 v132, v4, 8, 2
	v_bfe_u32 v133, v4, 16, 2
	ds_load_2addr_b32 v[2:3], v2 offset0:36 offset1:39
	s_wait_dscnt 0x1
	v_ashrrev_i32_e32 v126, s20, v71
	v_add3_u32 v71, s22, v88, v89
	ds_load_b32 v71, v71
	s_wait_dscnt 0x1
	v_dual_ashrrev_i32 v7, s20, v7 :: v_dual_ashrrev_i32 v2, s20, v2
	v_ashrrev_i32_e32 v128, s20, v3
	v_add3_u32 v3, s22, v86, v87
	v_dual_lshrrev_b32 v137, 16, v126 :: v_dual_bitop2_b32 v135, 3, v126 bitop3:0x40
	s_delay_alu instid0(VALU_DEP_4)
	v_dual_lshrrev_b32 v141, 24, v2 :: v_dual_bitop2_b32 v138, 3, v2 bitop3:0x40
	v_bfe_u32 v139, v2, 8, 2
	v_bfe_u32 v140, v2, 16, 2
	v_add_nc_u32_e32 v2, 0x2100, v72
	ds_load_b32 v130, v3
	v_dual_lshrrev_b32 v117, 16, v7 :: v_dual_bitop2_b32 v115, 3, v7 bitop3:0x40
	v_bfe_u32 v116, v7, 8, 2
	ds_load_2addr_b32 v[2:3], v2 offset1:1
	v_lshrrev_b32_e32 v7, 24, v7
	v_bfe_u32 v136, v126, 8, 2
	v_dual_lshrrev_b32 v144, 16, v128 :: v_dual_bitop2_b32 v142, 3, v128 bitop3:0x40
	s_wait_dscnt 0x2
	v_cvt_f32_f16_e64 v164, v71
	v_add_nc_u32_e32 v127, 0x1094, v72
	v_bfe_u32 v143, v128, 8, 2
	s_wait_dscnt 0x0
	v_dual_ashrrev_i32 v4, s20, v2 :: v_dual_ashrrev_i32 v5, s20, v3
	v_add_nc_u32_e32 v2, 0x2110, v72
	s_delay_alu instid0(VALU_DEP_2) | instskip(NEXT) | instid1(VALU_DEP_3)
	v_dual_add_nc_u32 v147, s21, v63 :: v_dual_bitop2_b32 v148, 3, v4 bitop3:0x40
	v_and_b32_e32 v152, 3, v5
	ds_load_2addr_b32 v[2:3], v2 offset1:1
	v_bfe_u32 v149, v4, 8, 2
	v_bfe_u32 v150, v4, 16, 2
	v_bfe_u32 v151, v4, 24, 2
	v_bfe_u32 v153, v5, 8, 2
	v_bfe_u32 v154, v5, 16, 2
	v_bfe_u32 v155, v5, 24, 2
	s_wait_dscnt 0x0
	v_dual_ashrrev_i32 v2, s20, v2 :: v_dual_ashrrev_i32 v3, s20, v3
	s_delay_alu instid0(VALU_DEP_1)
	v_and_b32_e32 v156, 3, v2
	v_bfe_u32 v157, v2, 8, 2
	v_bfe_u32 v158, v2, 16, 2
	;; [unrolled: 1-line block ×3, first 2 shown]
	v_lshrrev_b32_e32 v2, 16, v71
	v_and_b32_e32 v160, 3, v3
	v_bfe_u32 v161, v3, 8, 2
	v_bfe_u32 v162, v3, 16, 2
	;; [unrolled: 1-line block ×3, first 2 shown]
	v_cvt_f32_f16_e64 v165, v2
	v_add_nc_u32_e32 v2, 0x3180, v72
	v_add3_u32 v71, s22, v90, v91
	v_add_nc_u32_e32 v145, 0x2108, v72
	ds_load_2addr_b32 v[2:3], v2 offset1:1
	ds_load_b32 v71, v71
	s_wait_dscnt 0x1
	v_ashrrev_i32_e32 v4, s20, v2
	v_add_nc_u32_e32 v2, 0x3190, v72
	v_dual_ashrrev_i32 v5, s20, v3 :: v_dual_add_nc_u32 v168, s21, v65
	s_delay_alu instid0(VALU_DEP_3)
	v_and_b32_e32 v169, 3, v4
	ds_load_2addr_b32 v[2:3], v2 offset1:1
	v_bfe_u32 v75, v4, 8, 2
	v_bfe_u32 v74, v4, 16, 2
	;; [unrolled: 1-line block ×3, first 2 shown]
	v_and_b32_e32 v170, 3, v5
	v_bfe_u32 v171, v5, 8, 2
	v_bfe_u32 v172, v5, 16, 2
	;; [unrolled: 1-line block ×3, first 2 shown]
	s_wait_dscnt 0x0
	v_dual_ashrrev_i32 v2, s20, v2 :: v_dual_ashrrev_i32 v3, s20, v3
	s_delay_alu instid0(VALU_DEP_1)
	v_and_b32_e32 v174, 3, v2
	v_bfe_u32 v175, v2, 8, 2
	v_bfe_u32 v176, v2, 16, 2
	;; [unrolled: 1-line block ×3, first 2 shown]
	v_and_b32_e32 v178, 3, v3
	v_bfe_u32 v179, v3, 8, 2
	v_bfe_u32 v77, v3, 16, 2
	;; [unrolled: 1-line block ×3, first 2 shown]
	ds_load_b128 v[2:5], v1
	ds_load_b128 v[104:107], v1 offset:16
	s_wait_dscnt 0x1
	v_ashrrev_i32_e32 v102, 24, v2
	v_bfe_i32 v185, v2, 0, 8
	v_bfe_i32 v186, v2, 16, 8
	v_bfe_i32 v190, v2, 8, 8
	v_lshrrev_b16 v2, 8, v4
	s_wait_dscnt 0x0
	v_lshrrev_b16 v180, 8, v104
	v_ashrrev_i32_e32 v181, 24, v104
	v_bfe_i32 v183, v104, 0, 8
	v_bfe_i32 v184, v104, 16, 8
	v_lshrrev_b16 v104, 8, v105
	v_dual_ashrrev_i32 v187, 24, v3 :: v_dual_ashrrev_i32 v189, 24, v105
	v_ashrrev_i32_e32 v195, 24, v106
	v_bfe_i32 v197, v2, 0, 8
	v_lshrrev_b16 v2, 8, v5
	v_bfe_i32 v180, v180, 0, 8
	v_bfe_i32 v182, v3, 8, 8
	;; [unrolled: 1-line block ×4, first 2 shown]
	v_dual_ashrrev_i32 v196, 24, v4 :: v_dual_ashrrev_i32 v203, 24, v107
	v_bfe_i32 v198, v4, 16, 8
	v_bfe_i32 v199, v4, 0, 8
	v_ashrrev_i32_e32 v204, 24, v5
	v_bfe_i32 v205, v2, 0, 8
	v_dual_add_nc_u32 v2, v189, v181 :: v_dual_add_nc_u32 v4, v187, v102
	v_bfe_i32 v193, v3, 0, 8
	v_bfe_i32 v202, v106, 8, 8
	;; [unrolled: 1-line block ×7, first 2 shown]
	v_dual_add_nc_u32 v3, v188, v180 :: v_dual_add_nc_u32 v5, v194, v186
	v_dual_add_nc_u32 v104, v193, v185 :: v_dual_add_nc_u32 v107, v190, v182
	v_add3_u32 v212, v4, v196, v204
	v_ashrrev_i32_e32 v4, s20, v6
	v_bfe_i32 v191, v105, 0, 8
	v_bfe_i32 v192, v105, 16, 8
	v_add3_u32 v213, v3, v202, v210
	v_add3_u32 v214, v2, v195, v203
	v_add3_u32 v218, v5, v198, v206
	v_mul_i32_i24_e32 v2, v111, v193
	v_mul_i32_i24_e32 v3, v131, v193
	v_dual_ashrrev_i32 v5, s20, v70 :: v_dual_bitop2_b32 v6, 3, v125 bitop3:0x40
	v_add3_u32 v211, v107, v197, v205
	v_mul_i32_i24_e32 v107, v135, v207
	v_and_b32_e32 v70, 3, v103
	v_dual_lshrrev_b32 v219, 8, v4 :: v_dual_bitop2_b32 v131, 3, v134 bitop3:0x40
	v_and_b32_e32 v135, 3, v4
	v_dual_lshrrev_b32 v220, 8, v5 :: v_dual_bitop2_b32 v114, 3, v114 bitop3:0x40
	v_bfe_i32 v200, v106, 16, 8
	v_bfe_i32 v201, v106, 0, 8
	v_dual_add_nc_u32 v105, v192, v184 :: v_dual_add_nc_u32 v106, v191, v183
	v_dual_lshrrev_b32 v221, 16, v4 :: v_dual_bitop2_b32 v134, 3, v5 bitop3:0x40
	v_mul_i32_i24_e32 v113, v113, v194
	v_mul_i32_i24_e32 v133, v133, v194
	;; [unrolled: 1-line block ×4, first 2 shown]
	v_mad_i32_i24 v3, v132, v182, v3
	v_mad_i32_i24 v2, v112, v182, v2
	v_add3_u32 v215, v106, v201, v209
	v_add3_u32 v216, v105, v200, v208
	;; [unrolled: 1-line block ×3, first 2 shown]
	v_mul_i32_i24_e32 v104, v115, v207
	v_mul_i32_i24_e32 v105, v119, v180
	v_mul_i32_i24_e32 v106, v122, v209
	v_bfe_u32 v111, v125, 8, 2
	v_bfe_u32 v115, v103, 8, 2
	;; [unrolled: 1-line block ×6, first 2 shown]
	v_dual_lshrrev_b32 v222, 16, v5 :: v_dual_bitop2_b32 v220, 3, v220 bitop3:0x40
	v_mul_i32_i24_e32 v70, v185, v70
	v_mul_i32_i24_e32 v6, v185, v6
	;; [unrolled: 1-line block ×4, first 2 shown]
	v_add3_u32 v2, v2, v113, v114
	v_add3_u32 v3, v3, v133, v131
	v_dual_lshrrev_b32 v4, 24, v4 :: v_dual_bitop2_b32 v219, 3, v219 bitop3:0x40
	v_dual_lshrrev_b32 v5, 24, v5 :: v_dual_bitop2_b32 v222, 3, v222 bitop3:0x40
	v_mul_i32_i24_e32 v115, v190, v115
	v_mul_i32_i24_e32 v111, v190, v111
	;; [unrolled: 1-line block ×4, first 2 shown]
	v_add3_u32 v3, v3, v134, v6
	v_add3_u32 v2, v2, v135, v70
	v_and_b32_e32 v221, 3, v221
	v_and_b32_e32 v5, 3, v5
	v_and_b32_e32 v4, 3, v4
	v_mul_i32_i24_e32 v122, v102, v122
	v_mul_i32_i24_e32 v119, v102, v119
	;; [unrolled: 1-line block ×4, first 2 shown]
	v_add3_u32 v2, v2, v115, v103
	v_add3_u32 v3, v3, v111, v125
	v_mul_i32_i24_e32 v221, v221, v198
	v_mul_i32_i24_e32 v222, v222, v198
	;; [unrolled: 1-line block ×4, first 2 shown]
	v_add3_u32 v3, v3, v119, v220
	v_add3_u32 v2, v2, v122, v219
	v_mul_i32_i24_e32 v6, v138, v183
	v_mul_i32_i24_e32 v120, v120, v184
	;; [unrolled: 1-line block ×3, first 2 shown]
	v_add3_u32 v103, v3, v222, v5
	v_add3_u32 v70, v2, v221, v4
	ds_load_2addr_b32 v[2:3], v72 offset0:5 offset1:6
	ds_load_2addr_b32 v[4:5], v127 offset1:1
	v_mad_i32_i24 v105, v118, v183, v105
	v_mad_i32_i24 v6, v139, v180, v6
	v_mul_i32_i24_e32 v111, v142, v209
	v_mul_i32_i24_e32 v75, v75, v190
	;; [unrolled: 1-line block ×6, first 2 shown]
	s_wait_dscnt 0x0
	v_dual_ashrrev_i32 v2, s20, v2 :: v_dual_ashrrev_i32 v4, s20, v4
	v_and_b32_e32 v112, 3, v121
	v_dual_ashrrev_i32 v3, s20, v3 :: v_dual_bitop2_b32 v72, 3, v141 bitop3:0x40
	s_delay_alu instid0(VALU_DEP_3) | instskip(SKIP_3) | instid1(VALU_DEP_4)
	v_dual_lshrrev_b32 v115, 8, v2 :: v_dual_lshrrev_b32 v119, 8, v4
	v_dual_lshrrev_b32 v122, 16, v4 :: v_dual_ashrrev_i32 v5, s20, v5
	v_and_b32_e32 v113, 3, v4
	v_dual_lshrrev_b32 v121, 16, v2 :: v_dual_bitop2_b32 v114, 3, v2 bitop3:0x40
	v_and_b32_e32 v119, 3, v119
	v_dual_lshrrev_b32 v2, 24, v2 :: v_dual_bitop2_b32 v115, 3, v115 bitop3:0x40
	v_dual_lshrrev_b32 v4, 24, v4 :: v_dual_bitop2_b32 v122, 3, v122 bitop3:0x40
	v_mul_i32_i24_e32 v112, v112, v181
	v_mul_i32_i24_e32 v72, v72, v181
	v_dual_lshrrev_b32 v131, 8, v3 :: v_dual_bitop2_b32 v121, 3, v121 bitop3:0x40
	s_delay_alu instid0(VALU_DEP_4) | instskip(SKIP_1) | instid1(VALU_DEP_4)
	v_dual_lshrrev_b32 v132, 8, v5 :: v_dual_bitop2_b32 v4, 3, v4 bitop3:0x40
	v_dual_lshrrev_b32 v133, 16, v3 :: v_dual_bitop2_b32 v2, 3, v2 bitop3:0x40
	v_add3_u32 v6, v6, v135, v72
	v_add3_u32 v72, v105, v120, v112
	v_mul_i32_i24_e32 v105, v114, v191
	v_mul_i32_i24_e32 v112, v113, v191
	;; [unrolled: 1-line block ×4, first 2 shown]
	v_dual_lshrrev_b32 v134, 16, v5 :: v_dual_bitop2_b32 v125, 3, v5 bitop3:0x40
	v_dual_lshrrev_b32 v3, 24, v3 :: v_dual_bitop2_b32 v127, 3, v3 bitop3:0x40
	;; [unrolled: 1-line block ×3, first 2 shown]
	v_and_b32_e32 v131, 3, v131
	v_mul_i32_i24_e32 v115, v121, v192
	v_mul_i32_i24_e32 v118, v122, v192
	v_mul_i32_i24_e32 v2, v2, v189
	v_mul_i32_i24_e32 v4, v4, v189
	v_add3_u32 v72, v72, v105, v113
	v_add3_u32 v6, v6, v112, v114
	v_and_b32_e32 v134, 3, v134
	v_and_b32_e32 v133, 3, v133
	;; [unrolled: 1-line block ×4, first 2 shown]
	v_mul_i32_i24_e32 v119, v127, v201
	v_mul_i32_i24_e32 v120, v125, v201
	v_mul_i32_i24_e32 v121, v131, v202
	v_mul_i32_i24_e32 v122, v132, v202
	v_add3_u32 v4, v6, v118, v4
	v_add3_u32 v2, v72, v115, v2
	v_mul_i32_i24_e32 v125, v133, v200
	v_mul_i32_i24_e32 v127, v134, v200
	;; [unrolled: 1-line block ×3, first 2 shown]
	v_add3_u32 v4, v4, v120, v122
	v_add3_u32 v2, v2, v119, v121
	v_lshrrev_b32_e32 v121, 24, v126
	v_mul_i32_i24_e32 v3, v3, v195
	ds_load_u16 v6, v129 offset:17904
	v_add3_u32 v4, v4, v127, v5
	v_and_b32_e32 v135, 3, v144
	v_and_b32_e32 v121, 3, v121
	v_add3_u32 v5, v2, v125, v3
	ds_load_u16 v2, v109 offset:16880
	s_wait_dscnt 0x1
	v_lshrrev_b16 v72, 8, v6
	v_bfe_u32 v114, v6, 4, 4
	v_and_b32_e32 v6, 15, v6
	s_wait_dscnt 0x0
	v_lshrrev_b16 v3, 8, v2
	v_bfe_u32 v105, v2, 4, 4
	v_and_b32_e32 v112, 0xffff, v72
	v_and_b32_e32 v2, 15, v2
	;; [unrolled: 1-line block ×4, first 2 shown]
	v_lshrrev_b32_e32 v6, 24, v108
	v_mul_lo_u32 v105, 0x1010101, v105
	v_and_b32_e32 v125, 0xffff, v2
	v_lshrrev_b32_e32 v2, 4, v112
	v_and_b32_e32 v113, 0xffff, v3
	v_mul_lo_u32 v114, 0x1010101, v114
	v_mul_i32_i24_e32 v120, v120, v206
	s_delay_alu instid0(VALU_DEP_4) | instskip(SKIP_4) | instid1(VALU_DEP_3)
	v_mul_lo_u32 v2, 0x1010101, v2
	v_and_b32_e32 v117, 3, v117
	v_lshrrev_b32_e32 v113, 4, v113
	v_bfe_i32 v109, v105, 16, 8
	v_lshrrev_b32_e32 v119, 24, v105
	v_mul_lo_u32 v113, 0x1010101, v113
	v_dual_lshrrev_b32 v118, 24, v114 :: v_dual_bitop2_b32 v122, 3, v7 bitop3:0x40
	v_bfe_i32 v115, v114, 16, 8
	v_bfe_i32 v112, v2, 0, 8
	;; [unrolled: 1-line block ×3, first 2 shown]
	v_lshrrev_b32_e32 v132, 24, v2
	v_bfe_i32 v134, v2, 16, 8
	v_dual_lshrrev_b32 v2, 24, v128 :: v_dual_bitop2_b32 v128, 3, v6 bitop3:0x40
	v_dual_lshrrev_b32 v6, 16, v130 :: v_dual_lshrrev_b32 v133, 24, v113
	v_mul_i32_i24_e32 v117, v117, v206
	s_delay_alu instid0(VALU_DEP_3) | instskip(SKIP_1) | instid1(VALU_DEP_4)
	v_and_b32_e32 v108, 3, v2
	v_and_b32_e32 v2, 15, v3
	v_cvt_f32_f16_e32 v7, v6
	v_mul_i32_i24_e32 v122, v122, v204
	v_mul_i32_i24_e32 v121, v121, v204
	;; [unrolled: 1-line block ×3, first 2 shown]
	v_and_b32_e32 v137, 0xffff, v2
	v_cvt_f32_f16_e32 v2, v110
	v_lshrrev_b32_e32 v110, 16, v110
	v_bfe_i32 v127, v113, 0, 8
	v_bfe_i32 v131, v113, 8, 8
	;; [unrolled: 1-line block ×3, first 2 shown]
	v_mul_i32_i24_e32 v109, v218, v109
	v_cvt_f32_f16_e32 v6, v110
	v_bfe_i32 v110, v105, 8, 8
	v_bfe_i32 v105, v105, 0, 8
	v_mul_i32_i24_e32 v115, v218, v115
	v_and_b32_e32 v3, 15, v72
	s_delay_alu instid0(VALU_DEP_3) | instskip(NEXT) | instid1(VALU_DEP_2)
	v_mul_i32_i24_e32 v105, v217, v105
	v_and_b32_e32 v72, 0xffff, v3
	v_cvt_f32_f16_e64 v3, v130
	v_mul_i32_i24_e32 v130, v151, v102
	s_delay_alu instid0(VALU_DEP_4) | instskip(SKIP_2) | instid1(VALU_DEP_2)
	v_mad_i32_i24 v105, v211, v110, v105
	v_mul_i32_i24_e32 v110, v116, v205
	v_mul_i32_i24_e32 v116, v136, v205
	v_add3_u32 v70, v70, v104, v110
	v_mul_i32_i24_e32 v104, v123, v210
	v_mul_i32_i24_e32 v110, v124, v208
	s_delay_alu instid0(VALU_DEP_4)
	v_add3_u32 v103, v103, v107, v116
	v_mul_i32_i24_e32 v107, v143, v210
	v_add3_u32 v70, v70, v117, v122
	v_mul_i32_i24_e32 v117, v128, v203
	;; [unrolled: 2-line block ×3, first 2 shown]
	v_add3_u32 v4, v4, v111, v107
	v_add3_u32 v103, v103, v120, v121
	v_mul_i32_i24_e32 v107, v216, v113
	v_add3_u32 v5, v5, v110, v117
	v_mul_i32_i24_e32 v117, v212, v118
	v_bfe_i32 v118, v114, 8, 8
	v_bfe_i32 v114, v114, 0, 8
	v_add3_u32 v4, v4, v116, v108
	v_mul_i32_i24_e32 v116, v212, v119
	v_mul_i32_i24_e32 v110, v215, v127
	;; [unrolled: 1-line block ×6, first 2 shown]
	v_add3_u32 v105, v105, v109, v116
	v_mul_lo_u32 v103, v103, v126
	v_mad_i32_i24 v114, v211, v118, v114
	v_mul_i32_i24_e32 v104, v214, v133
	v_mul_i32_i24_e32 v106, v214, v132
	;; [unrolled: 1-line block ×3, first 2 shown]
	v_add3_u32 v105, v105, v110, v112
	v_add3_u32 v109, v114, v115, v117
	v_mul_lo_u32 v70, v70, v125
	v_mul_i32_i24_e32 v126, v149, v190
	v_mul_i32_i24_e32 v128, v150, v186
	v_add3_u32 v104, v105, v107, v104
	v_add3_u32 v109, v109, v111, v113
	v_mad_u32 v4, v4, v72, v103
	v_mul_i32_i24_e32 v72, v152, v193
	v_mul_i32_i24_e32 v103, v154, v194
	v_cvt_f32_i32_e32 v104, v104
	v_add3_u32 v105, v109, v108, v106
	v_mul_i32_i24_e32 v108, v160, v191
	v_mad_i32_i24 v72, v153, v182, v72
	v_mad_u32 v70, v5, v137, v70
	v_mul_i32_i24_e32 v109, v161, v188
	v_cvt_f32_i32_e32 v105, v105
	v_mul_i32_i24_e32 v127, v162, v192
	v_cvt_f32_i32_e32 v5, v4
	v_mul_i32_i24_e32 v129, v163, v189
	s_delay_alu instid0(VALU_DEP_4) | instskip(SKIP_4) | instid1(VALU_DEP_4)
	v_pk_mul_f32 v[6:7], v[6:7], v[104:105]
	v_mul_i32_i24_e32 v104, v155, v187
	v_mul_i32_i24_e32 v105, v159, v181
	v_cvt_f32_i32_e32 v4, v70
	v_mul_i32_i24_e32 v70, v185, v148
	v_add3_u32 v72, v72, v103, v104
	v_mul_i32_i24_e32 v103, v156, v183
	v_mul_i32_i24_e32 v104, v158, v184
	v_pk_fma_f32 v[2:3], v[2:3], v[4:5], v[6:7] neg_lo:[0,0,1] neg_hi:[0,0,1]
	s_delay_alu instid0(VALU_DEP_3) | instskip(NEXT) | instid1(VALU_DEP_2)
	v_mad_i32_i24 v103, v157, v180, v103
	v_pk_fma_f32 v[22:23], v[0:1], v[2:3], v[22:23] op_sel_hi:[0,1,1]
	s_delay_alu instid0(VALU_DEP_2)
	v_add3_u32 v103, v103, v104, v105
	ds_load_2addr_b32 v[104:105], v145 offset1:1
	ds_load_2addr_b32 v[106:107], v146 offset1:1
	ds_load_u16 v110, v147 offset:18928
	s_wait_dscnt 0x1
	v_dual_ashrrev_i32 v104, s20, v104 :: v_dual_ashrrev_i32 v106, s20, v106
	s_wait_dscnt 0x0
	v_lshrrev_b16 v111, 8, v110
	v_dual_ashrrev_i32 v105, s20, v105 :: v_dual_ashrrev_i32 v107, s20, v107
	s_delay_alu instid0(VALU_DEP_3) | instskip(SKIP_1) | instid1(VALU_DEP_4)
	v_dual_lshrrev_b32 v117, 8, v104 :: v_dual_bitop2_b32 v114, 3, v104 bitop3:0x40
	v_dual_lshrrev_b32 v116, 8, v106 :: v_dual_lshrrev_b32 v118, 16, v106
	v_and_b32_e32 v112, 0xffff, v111
	s_delay_alu instid0(VALU_DEP_3) | instskip(NEXT) | instid1(VALU_DEP_4)
	v_mul_i32_i24_e32 v114, v114, v199
	v_dual_lshrrev_b32 v119, 16, v104 :: v_dual_bitop2_b32 v117, 3, v117 bitop3:0x40
	s_delay_alu instid0(VALU_DEP_4) | instskip(SKIP_1) | instid1(VALU_DEP_4)
	v_and_b32_e32 v116, 3, v116
	v_dual_lshrrev_b32 v104, 24, v104 :: v_dual_bitop2_b32 v118, 3, v118 bitop3:0x40
	v_add3_u32 v70, v72, v114, v70
	v_dual_lshrrev_b32 v112, 4, v112 :: v_dual_bitop2_b32 v115, 3, v106 bitop3:0x40
	v_dual_lshrrev_b32 v106, 24, v106 :: v_dual_bitop2_b32 v119, 3, v119 bitop3:0x40
	s_delay_alu instid0(VALU_DEP_4)
	v_dual_lshrrev_b32 v123, 8, v105 :: v_dual_bitop2_b32 v104, 3, v104 bitop3:0x40
	v_mul_i32_i24_e32 v117, v117, v197
	v_add3_u32 v72, v103, v108, v109
	v_add3_u32 v70, v70, v126, v128
	v_bfe_u32 v113, v110, 4, 4
	v_mul_lo_u32 v112, 0x1010101, v112
	v_dual_lshrrev_b32 v122, 8, v107 :: v_dual_bitop2_b32 v106, 3, v106 bitop3:0x40
	v_dual_lshrrev_b32 v125, 16, v105 :: v_dual_bitop2_b32 v121, 3, v105 bitop3:0x40
	;; [unrolled: 1-line block ×3, first 2 shown]
	v_mul_i32_i24_e32 v115, v115, v201
	v_mul_i32_i24_e32 v116, v116, v202
	;; [unrolled: 1-line block ×4, first 2 shown]
	v_add3_u32 v72, v72, v127, v129
	v_add3_u32 v70, v70, v130, v117
	v_mul_lo_u32 v113, 0x1010101, v113
	v_dual_lshrrev_b32 v124, 16, v107 :: v_dual_bitop2_b32 v120, 3, v107 bitop3:0x40
	v_dual_lshrrev_b32 v107, 24, v107 :: v_dual_bitop2_b32 v122, 3, v122 bitop3:0x40
	;; [unrolled: 1-line block ×3, first 2 shown]
	v_and_b32_e32 v105, 3, v105
	v_mul_i32_i24_e32 v118, v118, v200
	v_mul_i32_i24_e32 v106, v106, v195
	;; [unrolled: 1-line block ×4, first 2 shown]
	v_add3_u32 v72, v72, v115, v116
	v_add3_u32 v70, v70, v119, v104
	v_and_b32_e32 v124, 3, v124
	v_and_b32_e32 v107, 3, v107
	v_mul_i32_i24_e32 v120, v120, v209
	v_mul_i32_i24_e32 v122, v122, v210
	;; [unrolled: 1-line block ×4, first 2 shown]
	v_add3_u32 v72, v72, v118, v106
	v_add3_u32 v70, v70, v121, v123
	v_mul_i32_i24_e32 v124, v124, v208
	v_mul_i32_i24_e32 v107, v107, v203
	v_bfe_i32 v104, v112, 16, 8
	v_add3_u32 v72, v72, v120, v122
	v_add3_u32 v70, v70, v125, v105
	v_bfe_i32 v105, v112, 8, 8
	v_bfe_i32 v106, v112, 0, 8
	;; [unrolled: 1-line block ×3, first 2 shown]
	v_add3_u32 v72, v72, v124, v107
	v_lshrrev_b32_e32 v107, 24, v113
	v_bfe_i32 v108, v113, 16, 8
	v_bfe_i32 v109, v113, 8, 8
	v_mul_i32_i24_e32 v112, v217, v112
	v_mul_i32_i24_e32 v106, v215, v106
	;; [unrolled: 1-line block ×5, first 2 shown]
	v_mad_i32_i24 v109, v211, v109, v112
	v_mul_i32_i24_e32 v104, v216, v104
	v_mul_i32_i24_e32 v103, v214, v103
	s_delay_alu instid0(VALU_DEP_3) | instskip(NEXT) | instid1(VALU_DEP_1)
	v_add3_u32 v107, v109, v108, v107
	v_add3_u32 v105, v107, v106, v105
	v_mul_i32_i24_e32 v106, v173, v187
	s_delay_alu instid0(VALU_DEP_2) | instskip(SKIP_2) | instid1(VALU_DEP_2)
	v_add3_u32 v103, v105, v104, v103
	v_mul_i32_i24_e32 v104, v170, v193
	v_mul_i32_i24_e32 v105, v172, v194
	v_mad_i32_i24 v104, v171, v182, v104
	s_delay_alu instid0(VALU_DEP_1) | instskip(SKIP_3) | instid1(VALU_DEP_3)
	v_add3_u32 v108, v104, v105, v106
	v_mul_i32_i24_e32 v104, v174, v183
	v_mul_i32_i24_e32 v105, v176, v184
	;; [unrolled: 1-line block ×3, first 2 shown]
	v_mad_i32_i24 v104, v175, v180, v104
	s_delay_alu instid0(VALU_DEP_1)
	v_add3_u32 v109, v104, v105, v106
	ds_load_2addr_b32 v[104:105], v166 offset1:1
	ds_load_2addr_b32 v[106:107], v167 offset1:1
	ds_load_u16 v112, v168 offset:19952
	v_and_b32_e32 v110, 15, v110
	s_wait_dscnt 0x2
	v_dual_ashrrev_i32 v105, s20, v105 :: v_dual_bitop2_b32 v111, 15, v111 bitop3:0x40
	v_ashrrev_i32_e32 v104, s20, v104
	s_wait_dscnt 0x0
	v_lshrrev_b16 v113, 8, v112
	v_ashrrev_i32_e32 v107, s20, v107
	v_and_b32_e32 v110, 0xffff, v110
	v_ashrrev_i32_e32 v106, s20, v106
	v_bfe_u32 v115, v112, 4, 4
	v_and_b32_e32 v114, 0xffff, v113
	v_and_b32_e32 v116, 3, v104
	v_mul_lo_u32 v70, v70, v110
	v_dual_lshrrev_b32 v118, 8, v106 :: v_dual_bitop2_b32 v117, 3, v106 bitop3:0x40
	s_delay_alu instid0(VALU_DEP_4) | instskip(SKIP_2) | instid1(VALU_DEP_4)
	v_dual_lshrrev_b32 v114, 4, v114 :: v_dual_lshrrev_b32 v119, 8, v104
	v_mul_lo_u32 v115, 0x1010101, v115
	v_and_b32_e32 v111, 0xffff, v111
	v_and_b32_e32 v118, 3, v118
	s_delay_alu instid0(VALU_DEP_4)
	v_mul_lo_u32 v114, 0x1010101, v114
	v_dual_lshrrev_b32 v120, 16, v106 :: v_dual_bitop2_b32 v119, 3, v119 bitop3:0x40
	v_dual_lshrrev_b32 v121, 16, v104 :: v_dual_lshrrev_b32 v106, 24, v106
	v_mad_u32 v70, v72, v111, v70
	v_cvt_f32_i32_e32 v72, v103
	v_mul_i32_i24_e32 v103, v185, v169
	v_mul_i32_i24_e32 v110, v178, v191
	;; [unrolled: 1-line block ×3, first 2 shown]
	v_dual_lshrrev_b32 v104, 24, v104 :: v_dual_bitop2_b32 v121, 3, v121 bitop3:0x40
	v_dual_lshrrev_b32 v125, 8, v105 :: v_dual_bitop2_b32 v106, 3, v106 bitop3:0x40
	v_mul_i32_i24_e32 v116, v116, v199
	s_delay_alu instid0(VALU_DEP_3) | instskip(NEXT) | instid1(VALU_DEP_3)
	v_dual_lshrrev_b32 v126, 16, v107 :: v_dual_bitop2_b32 v104, 3, v104 bitop3:0x40
	v_dual_lshrrev_b32 v128, 24, v114 :: v_dual_bitop2_b32 v125, 3, v125 bitop3:0x40
	v_lshrrev_b16 v129, 8, v115
	s_delay_alu instid0(VALU_DEP_4)
	v_add3_u32 v103, v108, v116, v103
	v_add3_u32 v108, v109, v110, v111
	v_dual_lshrrev_b32 v124, 8, v107 :: v_dual_bitop2_b32 v120, 3, v120 bitop3:0x40
	v_and_b32_e32 v126, 3, v126
	v_bfe_i32 v130, v115, 0, 8
	v_bfe_i32 v131, v115, 16, 8
	v_lshrrev_b32_e32 v115, 24, v115
	v_bfe_i32 v132, v114, 16, 8
	v_bfe_i32 v133, v114, 8, 8
	;; [unrolled: 1-line block ×4, first 2 shown]
	v_mul_i32_i24_e32 v117, v117, v201
	v_mul_i32_i24_e32 v102, v119, v197
	;; [unrolled: 1-line block ×3, first 2 shown]
	v_add3_u32 v76, v108, v77, v76
	v_add3_u32 v74, v103, v75, v74
	v_mul_i32_i24_e32 v103, v214, v128
	v_dual_lshrrev_b32 v127, 16, v105 :: v_dual_bitop2_b32 v122, 3, v107 bitop3:0x40
	v_dual_lshrrev_b32 v107, 24, v107 :: v_dual_bitop2_b32 v123, 3, v105 bitop3:0x40
	;; [unrolled: 1-line block ×3, first 2 shown]
	v_mul_i32_i24_e32 v119, v121, v198
	v_mul_i32_i24_e32 v104, v104, v196
	v_add3_u32 v73, v74, v73, v102
	v_add3_u32 v74, v76, v117, v118
	v_mul_i32_i24_e32 v75, v211, v129
	v_mul_i32_i24_e32 v76, v215, v114
	;; [unrolled: 1-line block ×4, first 2 shown]
	v_mad_i32_i24 v103, v212, v115, v103
	v_and_b32_e32 v127, 3, v127
	v_and_b32_e32 v105, 3, v105
	v_mul_i32_i24_e32 v121, v123, v207
	v_mul_i32_i24_e32 v123, v125, v205
	v_add3_u32 v73, v73, v119, v104
	v_mad_i32_i24 v102, v218, v131, v102
	v_mad_i32_i24 v76, v217, v130, v76
	v_add3_u32 v75, v75, v77, v103
	v_mul_i32_i24_e32 v125, v127, v206
	v_mul_i32_i24_e32 v105, v105, v204
	v_add3_u32 v73, v73, v121, v123
	v_mul_i32_i24_e32 v120, v120, v200
	v_add3_u32 v77, v76, v102, v75
	v_and_b32_e32 v75, 15, v112
	v_mul_i32_i24_e32 v106, v106, v195
	v_add3_u32 v73, v73, v125, v105
	v_and_b32_e32 v107, 3, v107
	v_mul_i32_i24_e32 v122, v122, v209
	v_and_b32_e32 v75, 0xffff, v75
	v_mul_i32_i24_e32 v124, v124, v210
	v_add3_u32 v74, v74, v120, v106
	v_mul_i32_i24_e32 v126, v126, v208
	v_mul_i32_i24_e32 v107, v107, v203
	v_mul_lo_u32 v73, v73, v75
	v_and_b32_e32 v76, 15, v113
	v_add3_u32 v74, v74, v122, v124
	v_cvt_f32_i32_e32 v77, v77
	v_cvt_f32_i32_e32 v70, v70
	v_mul_f32_e32 v72, v165, v72
	v_and_b32_e32 v76, 0xffff, v76
	v_add3_u32 v74, v74, v126, v107
	s_add_co_i32 s20, s1, 2
	v_mul_f32_e32 v70, v164, v70
	s_cmp_lt_u32 s1, 22
	s_mov_b32 s1, s20
	v_mad_u32 v73, v74, v76, v73
	v_cvt_f32_f16_e32 v74, v71
	v_lshrrev_b32_e32 v71, 16, v71
	s_delay_alu instid0(VALU_DEP_1) | instskip(NEXT) | instid1(VALU_DEP_4)
	v_cvt_f32_f16_e32 v75, v71
	v_cvt_f32_i32_e32 v76, v73
	s_delay_alu instid0(VALU_DEP_1) | instskip(NEXT) | instid1(VALU_DEP_1)
	v_pk_mul_f32 v[74:75], v[74:75], v[76:77]
	v_dual_mov_b32 v71, v74 :: v_dual_mov_b32 v73, v75
	s_delay_alu instid0(VALU_DEP_1) | instskip(NEXT) | instid1(VALU_DEP_1)
	v_pk_add_f32 v[4:5], v[70:71], v[72:73] neg_lo:[0,1] neg_hi:[0,1]
	v_pk_fma_f32 v[20:21], v[0:1], v[4:5], v[20:21] op_sel_hi:[0,1,1]
	v_add_nc_u32_e32 v1, 32, v1
	s_cbranch_scc1 .LBB227_27
; %bb.28:                               ;   in Loop: Header=BB227_5 Depth=1
	s_or_b32 s1, s17, 0x180
	s_delay_alu instid0(SALU_CYCLE_1)
	s_cmp_ge_i32 s1, s11
	s_barrier_signal -1
	s_barrier_wait -1
	s_cbranch_scc1 .LBB227_4
; %bb.29:                               ;   in Loop: Header=BB227_5 Depth=1
	v_add_nc_u32_e32 v0, s19, v79
	s_delay_alu instid0(VALU_DEP_1) | instskip(SKIP_1) | instid1(SALU_CYCLE_1)
	v_cmp_gt_i32_e64 s1, s10, v0
	s_and_b32 s17, s0, s1
	s_and_saveexec_b32 s1, s17
	s_cbranch_execz .LBB227_31
; %bb.30:                               ;   in Loop: Header=BB227_5 Depth=1
	v_add_nc_u32_e32 v0, v30, v0
	s_delay_alu instid0(VALU_DEP_1)
	v_mad_nc_i64_i32 v[0:1], v0, 36, v[38:39]
	global_load_b32 v0, v[0:1], off offset:4
	s_wait_loadcnt 0x0
	ds_store_b32 v53, v0
.LBB227_31:                             ;   in Loop: Header=BB227_5 Depth=1
	s_or_b32 exec_lo, exec_lo, s1
	s_and_saveexec_b32 s17, vcc_lo
	s_cbranch_execz .LBB227_34
; %bb.32:                               ;   in Loop: Header=BB227_5 Depth=1
	v_or_b32_e32 v0, 12, v68
	s_delay_alu instid0(VALU_DEP_1) | instskip(SKIP_1) | instid1(SALU_CYCLE_1)
	v_cmp_gt_i32_e64 s1, s10, v0
	s_and_b32 s1, s0, s1
	s_and_b32 exec_lo, exec_lo, s1
	s_cbranch_execz .LBB227_34
; %bb.33:                               ;   in Loop: Header=BB227_5 Depth=1
	v_ashrrev_i32_e32 v69, 31, v68
	s_delay_alu instid0(VALU_DEP_1) | instskip(NEXT) | instid1(VALU_DEP_1)
	v_add_nc_u64_e32 v[0:1], v[30:31], v[68:69]
	v_mad_nc_u64_u32 v[2:3], v0, 36, s[2:3]
	s_delay_alu instid0(VALU_DEP_1)
	v_mad_i32_i24 v3, v1, 36, v3
	global_load_b32 v0, v[2:3], off offset:432
	s_wait_loadcnt 0x0
	v_cvt_f32_f16_e32 v0, v0
	ds_store_b32 v57, v0
.LBB227_34:                             ;   in Loop: Header=BB227_5 Depth=1
	s_or_b32 exec_lo, exec_lo, s17
	v_dual_mov_b32 v1, v51 :: v_dual_mov_b32 v74, v55
	s_mov_b32 s1, 24
	s_wait_dscnt 0x0
	s_barrier_signal -1
	s_barrier_wait -1
.LBB227_35:                             ;   Parent Loop BB227_5 Depth=1
                                        ; =>  This Inner Loop Header: Depth=2
	s_and_b32 s20, s1, 0x3ffffff8
	s_sub_co_i32 s17, s1, 24
	v_lshl_add_u32 v70, s20, 2, v80
	s_lshr_b32 s20, s1, 2
	s_and_b32 s19, s1, -16
	s_and_b32 s20, s20, 0x3ffffffc
	s_add_co_i32 s19, s1, s19
	ds_load_2addr_b32 v[2:3], v70 offset1:1
	s_addk_co_i32 s20, 0x5280
	ds_load_2addr_b32 v[6:7], v70 offset0:2 offset1:3
	ds_load_b32 v0, v74
	v_add_nc_u32_e32 v126, 0x1094, v70
	v_add_nc_u32_e32 v144, 0x2108, v70
	;; [unrolled: 1-line block ×3, first 2 shown]
	v_dual_add_nc_u32 v128, s19, v61 :: v_dual_add_nc_u32 v74, 4, v74
	s_wait_dscnt 0x2
	v_dual_ashrrev_i32 v106, s17, v2 :: v_dual_ashrrev_i32 v4, s17, v3
	ds_load_2addr_b32 v[2:3], v70 offset0:4 offset1:7
	v_dual_add_nc_u32 v108, s19, v59 :: v_dual_lshrrev_b32 v113, 24, v4
	v_and_b32_e32 v110, 3, v4
	v_bfe_u32 v111, v4, 8, 2
	v_bfe_u32 v112, v4, 16, 2
	s_wait_dscnt 0x0
	v_dual_ashrrev_i32 v2, s17, v2 :: v_dual_ashrrev_i32 v107, s17, v3
	v_add3_u32 v3, s20, v101, v85
	s_delay_alu instid0(VALU_DEP_2)
	v_dual_lshrrev_b32 v120, 24, v2 :: v_dual_bitop2_b32 v117, 3, v2 bitop3:0x40
	v_bfe_u32 v118, v2, 8, 2
	v_bfe_u32 v119, v2, 16, 2
	v_add_nc_u32_e32 v2, 0x1080, v70
	ds_load_b32 v109, v3
	v_dual_lshrrev_b32 v123, 16, v107 :: v_dual_bitop2_b32 v121, 3, v107 bitop3:0x40
	v_bfe_u32 v122, v107, 8, 2
	ds_load_2addr_b32 v[2:3], v2 offset1:1
	v_ashrrev_i32_e32 v7, s17, v7
	v_and_b32_e32 v123, 3, v123
	s_delay_alu instid0(VALU_DEP_2) | instskip(SKIP_1) | instid1(VALU_DEP_2)
	v_dual_lshrrev_b32 v116, 16, v7 :: v_dual_bitop2_b32 v114, 3, v7 bitop3:0x40
	v_bfe_u32 v115, v7, 8, 2
	v_dual_lshrrev_b32 v7, 24, v7 :: v_dual_bitop2_b32 v116, 3, v116 bitop3:0x40
	s_wait_dscnt 0x0
	v_dual_ashrrev_i32 v124, s17, v2 :: v_dual_ashrrev_i32 v4, s17, v3
	v_add_nc_u32_e32 v2, 0x1088, v70
	s_delay_alu instid0(VALU_DEP_2)
	v_dual_lshrrev_b32 v133, 24, v4 :: v_dual_bitop2_b32 v130, 3, v4 bitop3:0x40
	ds_load_2addr_b32 v[68:69], v2 offset1:1
	v_add_nc_u32_e32 v2, 0x1000, v70
	v_bfe_u32 v131, v4, 8, 2
	v_bfe_u32 v132, v4, 16, 2
	ds_load_2addr_b32 v[2:3], v2 offset0:36 offset1:39
	s_wait_dscnt 0x1
	v_ashrrev_i32_e32 v125, s17, v69
	v_add3_u32 v69, s20, v88, v89
	s_wait_dscnt 0x0
	v_dual_ashrrev_i32 v2, s17, v2 :: v_dual_ashrrev_i32 v127, s17, v3
	v_add3_u32 v3, s20, v86, v87
	ds_load_b32 v69, v69
	v_dual_lshrrev_b32 v136, 16, v125 :: v_dual_bitop2_b32 v134, 3, v125 bitop3:0x40
	v_dual_lshrrev_b32 v140, 24, v2 :: v_dual_bitop2_b32 v137, 3, v2 bitop3:0x40
	v_bfe_u32 v138, v2, 8, 2
	v_bfe_u32 v139, v2, 16, 2
	v_add_nc_u32_e32 v2, 0x2100, v70
	ds_load_b32 v129, v3
	v_bfe_u32 v135, v125, 8, 2
	v_dual_lshrrev_b32 v143, 16, v127 :: v_dual_bitop2_b32 v141, 3, v127 bitop3:0x40
	ds_load_2addr_b32 v[2:3], v2 offset1:1
	v_bfe_u32 v142, v127, 8, 2
	s_wait_dscnt 0x2
	v_cvt_f32_f16_e64 v163, v69
	v_add_nc_u32_e32 v145, 0x2118, v70
	s_wait_dscnt 0x0
	v_dual_ashrrev_i32 v4, s17, v2 :: v_dual_ashrrev_i32 v5, s17, v3
	v_add_nc_u32_e32 v2, 0x2110, v70
	s_delay_alu instid0(VALU_DEP_2)
	v_dual_add_nc_u32 v146, s19, v63 :: v_dual_bitop2_b32 v147, 3, v4 bitop3:0x40
	v_bfe_u32 v148, v4, 8, 2
	ds_load_2addr_b32 v[2:3], v2 offset1:1
	v_bfe_u32 v149, v4, 16, 2
	v_bfe_u32 v150, v4, 24, 2
	;; [unrolled: 1-line block ×5, first 2 shown]
	s_wait_dscnt 0x0
	v_dual_ashrrev_i32 v2, s17, v2 :: v_dual_ashrrev_i32 v3, s17, v3
	s_delay_alu instid0(VALU_DEP_1)
	v_and_b32_e32 v155, 3, v2
	v_bfe_u32 v156, v2, 8, 2
	v_bfe_u32 v157, v2, 16, 2
	;; [unrolled: 1-line block ×3, first 2 shown]
	v_dual_lshrrev_b32 v2, 16, v69 :: v_dual_bitop2_b32 v159, 3, v3 bitop3:0x40
	v_bfe_u32 v160, v3, 8, 2
	v_bfe_u32 v161, v3, 16, 2
	;; [unrolled: 1-line block ×3, first 2 shown]
	s_delay_alu instid0(VALU_DEP_4)
	v_cvt_f32_f16_e64 v164, v2
	v_add_nc_u32_e32 v2, 0x3180, v70
	v_add3_u32 v69, s20, v90, v91
	v_add_nc_u32_e32 v165, 0x3188, v70
	ds_load_2addr_b32 v[2:3], v2 offset1:1
	ds_load_b32 v69, v69
	s_wait_dscnt 0x1
	v_dual_ashrrev_i32 v4, s17, v2 :: v_dual_bitop2_b32 v151, 3, v5 bitop3:0x40
	v_add_nc_u32_e32 v2, 0x3190, v70
	v_dual_ashrrev_i32 v5, s17, v3 :: v_dual_add_nc_u32 v167, s19, v65
	s_delay_alu instid0(VALU_DEP_3)
	v_and_b32_e32 v168, 3, v4
	ds_load_2addr_b32 v[2:3], v2 offset1:1
	v_bfe_u32 v73, v4, 8, 2
	v_bfe_u32 v72, v4, 16, 2
	;; [unrolled: 1-line block ×3, first 2 shown]
	v_and_b32_e32 v169, 3, v5
	v_bfe_u32 v170, v5, 8, 2
	v_bfe_u32 v171, v5, 16, 2
	;; [unrolled: 1-line block ×3, first 2 shown]
	s_wait_dscnt 0x0
	v_dual_ashrrev_i32 v2, s17, v2 :: v_dual_ashrrev_i32 v3, s17, v3
	s_delay_alu instid0(VALU_DEP_1)
	v_and_b32_e32 v173, 3, v2
	v_bfe_u32 v174, v2, 8, 2
	v_bfe_u32 v175, v2, 16, 2
	;; [unrolled: 1-line block ×3, first 2 shown]
	v_and_b32_e32 v177, 3, v3
	v_bfe_u32 v178, v3, 8, 2
	v_bfe_u32 v76, v3, 16, 2
	;; [unrolled: 1-line block ×3, first 2 shown]
	ds_load_b128 v[2:5], v1
	ds_load_b128 v[102:105], v1 offset:16
	s_wait_dscnt 0x1
	v_ashrrev_i32_e32 v77, 24, v2
	s_wait_dscnt 0x0
	v_lshrrev_b16 v179, 8, v102
	v_ashrrev_i32_e32 v180, 24, v102
	v_bfe_i32 v182, v102, 0, 8
	v_bfe_i32 v183, v102, 16, 8
	;; [unrolled: 1-line block ×4, first 2 shown]
	v_lshrrev_b16 v102, 8, v103
	v_bfe_i32 v189, v2, 8, 8
	v_lshrrev_b16 v2, 8, v4
	v_bfe_i32 v179, v179, 0, 8
	v_ashrrev_i32_e32 v186, 24, v3
	v_bfe_i32 v187, v102, 0, 8
	v_dual_ashrrev_i32 v188, 24, v103 :: v_dual_ashrrev_i32 v194, 24, v104
	v_bfe_i32 v193, v3, 16, 8
	v_bfe_i32 v196, v2, 0, 8
	v_lshrrev_b16 v2, 8, v5
	v_bfe_i32 v181, v3, 8, 8
	v_bfe_i32 v192, v3, 0, 8
	v_dual_ashrrev_i32 v195, 24, v4 :: v_dual_ashrrev_i32 v202, 24, v105
	v_bfe_i32 v197, v4, 16, 8
	v_bfe_i32 v198, v4, 0, 8
	;; [unrolled: 1-line block ×3, first 2 shown]
	v_ashrrev_i32_e32 v203, 24, v5
	v_bfe_i32 v204, v2, 0, 8
	v_bfe_i32 v205, v5, 16, 8
	;; [unrolled: 1-line block ×4, first 2 shown]
	v_dual_add_nc_u32 v2, v188, v180 :: v_dual_add_nc_u32 v3, v187, v179
	v_add_nc_u32_e32 v4, v186, v77
	v_dual_add_nc_u32 v5, v193, v185 :: v_dual_add_nc_u32 v102, v192, v184
	v_bfe_i32 v190, v103, 0, 8
	v_bfe_i32 v191, v103, 16, 8
	;; [unrolled: 1-line block ×4, first 2 shown]
	v_add_nc_u32_e32 v105, v189, v181
	v_add3_u32 v211, v4, v195, v203
	v_add3_u32 v212, v3, v201, v209
	;; [unrolled: 1-line block ×4, first 2 shown]
	v_mul_i32_i24_e32 v2, v110, v192
	v_mul_i32_i24_e32 v3, v130, v192
	v_dual_ashrrev_i32 v4, s17, v6 :: v_dual_ashrrev_i32 v5, s17, v68
	v_and_b32_e32 v68, 3, v106
	v_and_b32_e32 v130, 3, v133
	s_delay_alu instid0(VALU_DEP_3)
	v_dual_lshrrev_b32 v220, 16, v4 :: v_dual_bitop2_b32 v113, 3, v113 bitop3:0x40
	v_bfe_i32 v199, v104, 16, 8
	v_bfe_i32 v200, v104, 0, 8
	v_dual_add_nc_u32 v103, v191, v183 :: v_dual_add_nc_u32 v104, v190, v182
	v_add3_u32 v210, v105, v196, v204
	v_mul_i32_i24_e32 v105, v134, v206
	v_dual_lshrrev_b32 v219, 8, v5 :: v_dual_bitop2_b32 v6, 3, v124 bitop3:0x40
	v_dual_lshrrev_b32 v221, 16, v5 :: v_dual_bitop2_b32 v133, 3, v5 bitop3:0x40
	;; [unrolled: 1-line block ×3, first 2 shown]
	v_mul_i32_i24_e32 v112, v112, v193
	v_mul_i32_i24_e32 v132, v132, v193
	;; [unrolled: 1-line block ×4, first 2 shown]
	v_mad_i32_i24 v3, v131, v181, v3
	v_mad_i32_i24 v2, v111, v181, v2
	v_add3_u32 v214, v104, v200, v208
	v_add3_u32 v215, v103, v199, v207
	;; [unrolled: 1-line block ×3, first 2 shown]
	v_mul_i32_i24_e32 v102, v114, v206
	v_mul_i32_i24_e32 v103, v118, v179
	;; [unrolled: 1-line block ×3, first 2 shown]
	v_bfe_u32 v110, v124, 8, 2
	v_bfe_u32 v114, v106, 8, 2
	v_bfe_u32 v118, v124, 24, 2
	v_bfe_u32 v121, v106, 24, 2
	v_bfe_u32 v124, v124, 16, 2
	v_bfe_u32 v106, v106, 16, 2
	v_lshrrev_b32_e32 v4, 24, v4
	v_mul_i32_i24_e32 v68, v184, v68
	v_mul_i32_i24_e32 v6, v184, v6
	;; [unrolled: 1-line block ×4, first 2 shown]
	v_add3_u32 v2, v2, v112, v113
	v_add3_u32 v3, v3, v132, v130
	v_dual_lshrrev_b32 v5, 24, v5 :: v_dual_bitop2_b32 v219, 3, v219 bitop3:0x40
	v_and_b32_e32 v218, 3, v218
	v_mul_i32_i24_e32 v114, v189, v114
	v_mul_i32_i24_e32 v110, v189, v110
	;; [unrolled: 1-line block ×4, first 2 shown]
	v_add3_u32 v3, v3, v133, v6
	v_add3_u32 v2, v2, v134, v68
	v_and_b32_e32 v221, 3, v221
	v_and_b32_e32 v220, 3, v220
	;; [unrolled: 1-line block ×4, first 2 shown]
	v_mul_i32_i24_e32 v121, v77, v121
	v_mul_i32_i24_e32 v118, v77, v118
	;; [unrolled: 1-line block ×4, first 2 shown]
	v_add3_u32 v2, v2, v114, v106
	v_add3_u32 v3, v3, v110, v124
	v_mul_i32_i24_e32 v220, v220, v197
	v_mul_i32_i24_e32 v221, v221, v197
	;; [unrolled: 1-line block ×4, first 2 shown]
	v_add3_u32 v3, v3, v118, v219
	v_add3_u32 v2, v2, v121, v218
	v_mul_i32_i24_e32 v6, v137, v182
	v_mul_i32_i24_e32 v119, v119, v183
	;; [unrolled: 1-line block ×3, first 2 shown]
	v_add3_u32 v106, v3, v221, v5
	v_add3_u32 v68, v2, v220, v4
	ds_load_2addr_b32 v[2:3], v70 offset0:5 offset1:6
	ds_load_2addr_b32 v[4:5], v126 offset1:1
	v_mad_i32_i24 v103, v117, v182, v103
	v_mad_i32_i24 v6, v138, v179, v6
	v_mul_i32_i24_e32 v110, v141, v208
	v_mul_i32_i24_e32 v73, v73, v189
	;; [unrolled: 1-line block ×6, first 2 shown]
	s_wait_dscnt 0x0
	v_dual_ashrrev_i32 v2, s17, v2 :: v_dual_ashrrev_i32 v4, s17, v4
	v_and_b32_e32 v70, 3, v140
	v_dual_ashrrev_i32 v3, s17, v3 :: v_dual_bitop2_b32 v111, 3, v120 bitop3:0x40
	s_delay_alu instid0(VALU_DEP_3) | instskip(SKIP_2) | instid1(VALU_DEP_3)
	v_dual_lshrrev_b32 v114, 8, v2 :: v_dual_bitop2_b32 v112, 3, v4 bitop3:0x40
	v_dual_lshrrev_b32 v118, 8, v4 :: v_dual_ashrrev_i32 v5, s17, v5
	v_dual_lshrrev_b32 v121, 16, v4 :: v_dual_bitop2_b32 v113, 3, v2 bitop3:0x40
	v_dual_lshrrev_b32 v130, 8, v3 :: v_dual_bitop2_b32 v114, 3, v114 bitop3:0x40
	s_delay_alu instid0(VALU_DEP_3) | instskip(SKIP_4) | instid1(VALU_DEP_4)
	v_dual_lshrrev_b32 v4, 24, v4 :: v_dual_bitop2_b32 v118, 3, v118 bitop3:0x40
	v_dual_lshrrev_b32 v120, 16, v2 :: v_dual_lshrrev_b32 v2, 24, v2
	v_mul_i32_i24_e32 v111, v111, v180
	v_mul_i32_i24_e32 v70, v70, v180
	v_dual_lshrrev_b32 v132, 16, v3 :: v_dual_bitop2_b32 v121, 3, v121 bitop3:0x40
	v_dual_lshrrev_b32 v131, 8, v5 :: v_dual_bitop2_b32 v120, 3, v120 bitop3:0x40
	;; [unrolled: 1-line block ×3, first 2 shown]
	v_and_b32_e32 v2, 3, v2
	v_add3_u32 v6, v6, v134, v70
	v_add3_u32 v70, v103, v119, v111
	v_mul_i32_i24_e32 v103, v113, v190
	v_mul_i32_i24_e32 v111, v112, v190
	;; [unrolled: 1-line block ×4, first 2 shown]
	v_dual_lshrrev_b32 v5, 24, v5 :: v_dual_bitop2_b32 v124, 3, v5 bitop3:0x40
	v_and_b32_e32 v126, 3, v3
	v_and_b32_e32 v131, 3, v131
	v_dual_lshrrev_b32 v3, 24, v3 :: v_dual_bitop2_b32 v130, 3, v130 bitop3:0x40
	v_mul_i32_i24_e32 v114, v120, v191
	v_mul_i32_i24_e32 v117, v121, v191
	;; [unrolled: 1-line block ×4, first 2 shown]
	v_add3_u32 v70, v70, v103, v112
	v_add3_u32 v6, v6, v111, v113
	v_and_b32_e32 v133, 3, v133
	v_and_b32_e32 v132, 3, v132
	;; [unrolled: 1-line block ×4, first 2 shown]
	v_mul_i32_i24_e32 v118, v126, v200
	v_mul_i32_i24_e32 v119, v124, v200
	;; [unrolled: 1-line block ×4, first 2 shown]
	v_add3_u32 v4, v6, v117, v4
	v_add3_u32 v2, v70, v114, v2
	v_mul_i32_i24_e32 v126, v133, v199
	v_mul_i32_i24_e32 v3, v3, v194
	;; [unrolled: 1-line block ×3, first 2 shown]
	v_add3_u32 v4, v4, v119, v121
	v_add3_u32 v2, v2, v118, v120
	v_lshrrev_b32_e32 v120, 24, v125
	v_mul_i32_i24_e32 v124, v132, v199
	ds_load_u16 v6, v128 offset:17904
	v_add3_u32 v4, v4, v126, v5
	v_and_b32_e32 v119, 3, v136
	v_and_b32_e32 v120, 3, v120
	v_add3_u32 v5, v2, v124, v3
	ds_load_u16 v2, v108 offset:16880
	v_and_b32_e32 v134, 3, v143
	s_wait_dscnt 0x1
	v_lshrrev_b16 v70, 8, v6
	v_bfe_u32 v113, v6, 4, 4
	v_and_b32_e32 v6, 15, v6
	s_wait_dscnt 0x0
	v_lshrrev_b16 v3, 8, v2
	v_bfe_u32 v103, v2, 4, 4
	v_and_b32_e32 v111, 0xffff, v70
	v_and_b32_e32 v2, 15, v2
	;; [unrolled: 1-line block ×4, first 2 shown]
	v_mul_lo_u32 v103, 0x1010101, v103
	v_lshrrev_b32_e32 v6, 24, v107
	v_and_b32_e32 v124, 0xffff, v2
	s_delay_alu instid0(VALU_DEP_4) | instskip(SKIP_2) | instid1(VALU_DEP_3)
	v_dual_lshrrev_b32 v2, 4, v111 :: v_dual_lshrrev_b32 v112, 4, v112
	v_mul_lo_u32 v113, 0x1010101, v113
	v_mul_i32_i24_e32 v116, v116, v205
	v_mul_lo_u32 v2, 0x1010101, v2
	s_delay_alu instid0(VALU_DEP_4) | instskip(SKIP_4) | instid1(VALU_DEP_3)
	v_mul_lo_u32 v112, 0x1010101, v112
	v_and_b32_e32 v121, 3, v7
	v_bfe_i32 v108, v103, 16, 8
	v_dual_lshrrev_b32 v118, 24, v103 :: v_dual_lshrrev_b32 v117, 24, v113
	v_bfe_i32 v114, v113, 16, 8
	v_mul_i32_i24_e32 v108, v217, v108
	v_bfe_i32 v111, v2, 0, 8
	v_bfe_i32 v128, v2, 8, 8
	v_lshrrev_b32_e32 v131, 24, v2
	v_bfe_i32 v133, v2, 16, 8
	v_dual_lshrrev_b32 v2, 24, v127 :: v_dual_bitop2_b32 v127, 3, v6 bitop3:0x40
	v_lshrrev_b32_e32 v6, 16, v129
	v_mul_i32_i24_e32 v119, v119, v205
	v_mul_i32_i24_e32 v120, v120, v203
	s_delay_alu instid0(VALU_DEP_4)
	v_and_b32_e32 v107, 3, v2
	v_and_b32_e32 v2, 15, v3
	v_cvt_f32_f16_e32 v7, v6
	v_lshrrev_b32_e32 v132, 24, v112
	v_mul_i32_i24_e32 v121, v121, v203
	v_mul_i32_i24_e32 v107, v107, v202
	v_and_b32_e32 v136, 0xffff, v2
	v_cvt_f32_f16_e32 v2, v109
	v_lshrrev_b32_e32 v109, 16, v109
	v_bfe_i32 v126, v112, 0, 8
	v_bfe_i32 v130, v112, 8, 8
	;; [unrolled: 1-line block ×3, first 2 shown]
	v_mul_i32_i24_e32 v114, v217, v114
	v_cvt_f32_f16_e32 v6, v109
	v_bfe_i32 v109, v103, 8, 8
	v_bfe_i32 v103, v103, 0, 8
	v_and_b32_e32 v3, 15, v70
	s_delay_alu instid0(VALU_DEP_2) | instskip(NEXT) | instid1(VALU_DEP_2)
	v_mul_i32_i24_e32 v103, v216, v103
	v_and_b32_e32 v70, 0xffff, v3
	v_cvt_f32_f16_e64 v3, v129
	v_mul_i32_i24_e32 v129, v150, v77
	s_delay_alu instid0(VALU_DEP_4) | instskip(SKIP_2) | instid1(VALU_DEP_2)
	v_mad_i32_i24 v103, v210, v109, v103
	v_mul_i32_i24_e32 v109, v115, v204
	v_mul_i32_i24_e32 v115, v135, v204
	v_add3_u32 v68, v68, v102, v109
	s_delay_alu instid0(VALU_DEP_2)
	v_add3_u32 v105, v106, v105, v115
	v_mul_i32_i24_e32 v109, v123, v207
	v_mul_i32_i24_e32 v106, v142, v209
	;; [unrolled: 1-line block ×3, first 2 shown]
	v_add3_u32 v68, v68, v116, v121
	v_add3_u32 v102, v105, v119, v120
	v_mul_i32_i24_e32 v105, v122, v209
	v_mul_i32_i24_e32 v116, v127, v202
	v_add3_u32 v4, v4, v110, v106
	v_mul_i32_i24_e32 v106, v215, v112
	v_mul_i32_i24_e32 v110, v214, v111
	v_add3_u32 v5, v5, v104, v105
	v_mul_i32_i24_e32 v111, v212, v130
	v_add3_u32 v4, v4, v115, v107
	v_mul_i32_i24_e32 v115, v211, v118
	v_mul_i32_i24_e32 v112, v212, v128
	v_add3_u32 v5, v5, v109, v116
	v_mul_i32_i24_e32 v116, v211, v117
	v_bfe_i32 v117, v113, 8, 8
	v_bfe_i32 v113, v113, 0, 8
	v_mul_i32_i24_e32 v109, v214, v126
	v_add3_u32 v103, v103, v108, v115
	v_mul_lo_u32 v102, v102, v125
	v_mul_i32_i24_e32 v104, v213, v132
	v_mul_i32_i24_e32 v113, v216, v113
	;; [unrolled: 1-line block ×4, first 2 shown]
	v_add3_u32 v103, v103, v109, v111
	v_mul_lo_u32 v68, v68, v124
	v_mad_i32_i24 v113, v210, v117, v113
	v_mul_i32_i24_e32 v125, v148, v189
	v_mul_i32_i24_e32 v126, v161, v191
	v_add3_u32 v104, v103, v106, v104
	v_mad_u32 v4, v4, v70, v102
	v_add3_u32 v108, v113, v114, v116
	v_mul_i32_i24_e32 v70, v151, v192
	v_mul_i32_i24_e32 v127, v149, v185
	v_cvt_f32_i32_e32 v102, v104
	v_mul_i32_i24_e32 v104, v158, v180
	v_add3_u32 v108, v108, v110, v112
	v_mad_i32_i24 v70, v152, v181, v70
	v_mad_u32 v68, v5, v136, v68
	v_mul_i32_i24_e32 v128, v162, v188
	s_delay_alu instid0(VALU_DEP_4) | instskip(SKIP_3) | instid1(VALU_DEP_4)
	v_add3_u32 v103, v108, v107, v105
	v_cvt_f32_i32_e32 v5, v4
	v_mul_i32_i24_e32 v107, v159, v190
	v_mul_i32_i24_e32 v108, v160, v187
	v_cvt_f32_i32_e32 v103, v103
	v_cvt_f32_i32_e32 v4, v68
	v_mul_i32_i24_e32 v68, v184, v147
	s_delay_alu instid0(VALU_DEP_3) | instskip(SKIP_2) | instid1(VALU_DEP_3)
	v_pk_mul_f32 v[6:7], v[6:7], v[102:103]
	v_mul_i32_i24_e32 v102, v153, v193
	v_mul_i32_i24_e32 v103, v154, v186
	v_pk_fma_f32 v[2:3], v[2:3], v[4:5], v[6:7] neg_lo:[0,0,1] neg_hi:[0,0,1]
	s_delay_alu instid0(VALU_DEP_2) | instskip(SKIP_2) | instid1(VALU_DEP_4)
	v_add3_u32 v70, v70, v102, v103
	v_mul_i32_i24_e32 v102, v155, v182
	v_mul_i32_i24_e32 v103, v157, v183
	v_pk_fma_f32 v[22:23], v[0:1], v[2:3], v[22:23] op_sel_hi:[0,1,1]
	s_delay_alu instid0(VALU_DEP_3) | instskip(NEXT) | instid1(VALU_DEP_1)
	v_mad_i32_i24 v102, v156, v179, v102
	v_add3_u32 v106, v102, v103, v104
	ds_load_2addr_b32 v[102:103], v144 offset1:1
	ds_load_2addr_b32 v[104:105], v145 offset1:1
	ds_load_u16 v109, v146 offset:18928
	s_wait_dscnt 0x1
	v_dual_ashrrev_i32 v102, s17, v102 :: v_dual_ashrrev_i32 v104, s17, v104
	s_wait_dscnt 0x0
	v_lshrrev_b16 v110, 8, v109
	v_bfe_u32 v112, v109, 4, 4
	s_delay_alu instid0(VALU_DEP_3) | instskip(SKIP_1) | instid1(VALU_DEP_4)
	v_dual_ashrrev_i32 v105, s17, v105 :: v_dual_bitop2_b32 v113, 3, v102 bitop3:0x40
	v_lshrrev_b32_e32 v116, 8, v102
	v_and_b32_e32 v111, 0xffff, v110
	v_dual_lshrrev_b32 v115, 8, v104 :: v_dual_ashrrev_i32 v103, s17, v103
	s_delay_alu instid0(VALU_DEP_4) | instskip(SKIP_1) | instid1(VALU_DEP_4)
	v_mul_i32_i24_e32 v113, v113, v198
	v_dual_lshrrev_b32 v118, 16, v102 :: v_dual_bitop2_b32 v114, 3, v104 bitop3:0x40
	v_lshrrev_b32_e32 v111, 4, v111
	s_delay_alu instid0(VALU_DEP_4)
	v_and_b32_e32 v115, 3, v115
	v_dual_lshrrev_b32 v102, 24, v102 :: v_dual_bitop2_b32 v116, 3, v116 bitop3:0x40
	v_dual_lshrrev_b32 v117, 16, v104 :: v_dual_lshrrev_b32 v104, 24, v104
	v_add3_u32 v68, v70, v113, v68
	v_add3_u32 v70, v106, v107, v108
	v_mul_lo_u32 v112, 0x1010101, v112
	v_mul_lo_u32 v111, 0x1010101, v111
	v_dual_lshrrev_b32 v122, 8, v103 :: v_dual_bitop2_b32 v117, 3, v117 bitop3:0x40
	v_dual_lshrrev_b32 v121, 8, v105 :: v_dual_bitop2_b32 v118, 3, v118 bitop3:0x40
	;; [unrolled: 1-line block ×4, first 2 shown]
	v_mul_i32_i24_e32 v114, v114, v200
	v_mul_i32_i24_e32 v116, v116, v196
	;; [unrolled: 1-line block ×3, first 2 shown]
	v_add3_u32 v70, v70, v126, v128
	v_add3_u32 v68, v68, v125, v127
	v_dual_lshrrev_b32 v105, 24, v105 :: v_dual_bitop2_b32 v119, 3, v105 bitop3:0x40
	v_dual_lshrrev_b32 v103, 24, v103 :: v_dual_bitop2_b32 v120, 3, v103 bitop3:0x40
	v_and_b32_e32 v121, 3, v121
	v_dual_lshrrev_b32 v106, 24, v112 :: v_dual_bitop2_b32 v122, 3, v122 bitop3:0x40
	v_mul_i32_i24_e32 v118, v118, v197
	v_mul_i32_i24_e32 v117, v117, v199
	;; [unrolled: 1-line block ×4, first 2 shown]
	v_add3_u32 v68, v68, v129, v116
	v_add3_u32 v70, v70, v114, v115
	v_and_b32_e32 v123, 3, v123
	v_and_b32_e32 v124, 3, v124
	;; [unrolled: 1-line block ×4, first 2 shown]
	v_mul_i32_i24_e32 v120, v120, v206
	v_mul_i32_i24_e32 v119, v119, v208
	;; [unrolled: 1-line block ×3, first 2 shown]
	v_add3_u32 v70, v70, v117, v104
	v_add3_u32 v68, v68, v118, v102
	v_lshrrev_b32_e32 v102, 24, v111
	v_mul_i32_i24_e32 v121, v121, v209
	v_mul_i32_i24_e32 v124, v124, v205
	;; [unrolled: 1-line block ×5, first 2 shown]
	v_add3_u32 v68, v68, v120, v122
	v_add3_u32 v70, v70, v119, v121
	v_bfe_i32 v104, v111, 8, 8
	v_bfe_i32 v107, v112, 16, 8
	;; [unrolled: 1-line block ×3, first 2 shown]
	v_add3_u32 v68, v68, v124, v103
	v_add3_u32 v70, v70, v123, v105
	v_bfe_i32 v103, v111, 16, 8
	v_bfe_i32 v105, v111, 0, 8
	;; [unrolled: 1-line block ×3, first 2 shown]
	v_and_b32_e32 v109, 15, v109
	v_mul_i32_i24_e32 v107, v217, v107
	v_mul_i32_i24_e32 v106, v211, v106
	;; [unrolled: 1-line block ×4, first 2 shown]
	v_and_b32_e32 v109, 0xffff, v109
	v_mul_i32_i24_e32 v104, v212, v104
	v_and_b32_e32 v110, 15, v110
	v_mul_i32_i24_e32 v103, v215, v103
	v_mad_i32_i24 v108, v210, v108, v111
	v_mul_lo_u32 v68, v68, v109
	v_mul_i32_i24_e32 v102, v213, v102
	v_and_b32_e32 v110, 0xffff, v110
	v_mul_i32_i24_e32 v109, v177, v190
	v_add3_u32 v106, v108, v107, v106
	s_delay_alu instid0(VALU_DEP_1) | instskip(SKIP_3) | instid1(VALU_DEP_4)
	v_add3_u32 v104, v106, v105, v104
	v_mul_i32_i24_e32 v106, v184, v168
	v_mad_u32 v68, v70, v110, v68
	v_mul_i32_i24_e32 v110, v178, v187
	v_add3_u32 v102, v104, v103, v102
	v_mul_i32_i24_e32 v103, v171, v193
	v_mul_i32_i24_e32 v104, v172, v186
	s_delay_alu instid0(VALU_DEP_3) | instskip(SKIP_2) | instid1(VALU_DEP_3)
	v_cvt_f32_i32_e32 v70, v102
	v_mul_i32_i24_e32 v102, v169, v192
	v_cvt_f32_i32_e32 v68, v68
	v_mul_f32_e32 v70, v164, v70
	s_delay_alu instid0(VALU_DEP_3) | instskip(NEXT) | instid1(VALU_DEP_3)
	v_mad_i32_i24 v102, v170, v181, v102
	v_mul_f32_e32 v68, v163, v68
	s_delay_alu instid0(VALU_DEP_2) | instskip(SKIP_3) | instid1(VALU_DEP_3)
	v_add3_u32 v107, v102, v103, v104
	v_mul_i32_i24_e32 v102, v173, v182
	v_mul_i32_i24_e32 v103, v175, v183
	;; [unrolled: 1-line block ×3, first 2 shown]
	v_mad_i32_i24 v102, v174, v179, v102
	s_delay_alu instid0(VALU_DEP_1)
	v_add3_u32 v108, v102, v103, v104
	ds_load_2addr_b32 v[102:103], v165 offset1:1
	ds_load_2addr_b32 v[104:105], v166 offset1:1
	ds_load_u16 v111, v167 offset:19952
	s_wait_dscnt 0x1
	v_dual_ashrrev_i32 v102, s17, v102 :: v_dual_ashrrev_i32 v104, s17, v104
	s_wait_dscnt 0x0
	v_lshrrev_b16 v112, 8, v111
	v_bfe_u32 v114, v111, 4, 4
	s_delay_alu instid0(VALU_DEP_3) | instskip(SKIP_1) | instid1(VALU_DEP_4)
	v_dual_ashrrev_i32 v105, s17, v105 :: v_dual_bitop2_b32 v115, 3, v102 bitop3:0x40
	v_lshrrev_b32_e32 v118, 8, v102
	v_and_b32_e32 v113, 0xffff, v112
	v_dual_lshrrev_b32 v119, 16, v104 :: v_dual_bitop2_b32 v116, 3, v104 bitop3:0x40
	v_lshrrev_b32_e32 v117, 8, v104
	v_mul_i32_i24_e32 v115, v115, v198
	s_delay_alu instid0(VALU_DEP_4) | instskip(SKIP_3) | instid1(VALU_DEP_4)
	v_lshrrev_b32_e32 v113, 4, v113
	v_mul_lo_u32 v114, 0x1010101, v114
	v_dual_lshrrev_b32 v104, 24, v104 :: v_dual_bitop2_b32 v118, 3, v118 bitop3:0x40
	v_dual_lshrrev_b32 v120, 16, v102 :: v_dual_bitop2_b32 v117, 3, v117 bitop3:0x40
	v_mul_lo_u32 v113, 0x1010101, v113
	v_dual_lshrrev_b32 v102, 24, v102 :: v_dual_bitop2_b32 v119, 3, v119 bitop3:0x40
	v_add3_u32 v106, v107, v115, v106
	s_delay_alu instid0(VALU_DEP_4) | instskip(SKIP_1) | instid1(VALU_DEP_4)
	v_dual_lshrrev_b32 v123, 8, v105 :: v_dual_bitop2_b32 v120, 3, v120 bitop3:0x40
	v_mul_i32_i24_e32 v77, v118, v196
	v_dual_lshrrev_b32 v125, 16, v105 :: v_dual_bitop2_b32 v102, 3, v102 bitop3:0x40
	s_delay_alu instid0(VALU_DEP_4)
	v_add3_u32 v72, v106, v73, v72
	v_ashrrev_i32_e32 v103, s17, v103
	v_dual_lshrrev_b32 v127, 24, v113 :: v_dual_bitop2_b32 v123, 3, v123 bitop3:0x40
	v_lshrrev_b16 v128, 8, v114
	v_mul_i32_i24_e32 v118, v120, v197
	v_mul_i32_i24_e32 v102, v102, v195
	v_add3_u32 v107, v108, v109, v110
	v_add3_u32 v71, v72, v71, v77
	v_dual_lshrrev_b32 v124, 8, v103 :: v_dual_bitop2_b32 v104, 3, v104 bitop3:0x40
	v_and_b32_e32 v125, 3, v125
	v_bfe_i32 v129, v114, 0, 8
	v_bfe_i32 v130, v114, 16, 8
	v_lshrrev_b32_e32 v114, 24, v114
	v_bfe_i32 v131, v113, 16, 8
	v_bfe_i32 v132, v113, 8, 8
	v_bfe_i32 v113, v113, 0, 8
	v_bfe_i32 v128, v128, 0, 8
	v_mul_i32_i24_e32 v116, v116, v200
	v_mul_i32_i24_e32 v117, v117, v201
	v_add3_u32 v75, v107, v76, v75
	v_add3_u32 v71, v71, v118, v102
	v_mul_i32_i24_e32 v102, v213, v127
	v_dual_lshrrev_b32 v126, 16, v103 :: v_dual_bitop2_b32 v121, 3, v105 bitop3:0x40
	v_dual_lshrrev_b32 v105, 24, v105 :: v_dual_bitop2_b32 v122, 3, v103 bitop3:0x40
	v_dual_lshrrev_b32 v103, 24, v103 :: v_dual_bitop2_b32 v124, 3, v124 bitop3:0x40
	v_add3_u32 v72, v75, v116, v117
	v_mul_i32_i24_e32 v73, v210, v128
	v_mul_i32_i24_e32 v75, v214, v113
	;; [unrolled: 1-line block ×4, first 2 shown]
	v_mad_i32_i24 v102, v211, v114, v102
	v_and_b32_e32 v126, 3, v126
	v_and_b32_e32 v103, 3, v103
	v_mul_i32_i24_e32 v120, v122, v206
	v_mul_i32_i24_e32 v122, v124, v204
	v_mad_i32_i24 v77, v217, v130, v77
	v_mad_i32_i24 v75, v216, v129, v75
	v_add3_u32 v73, v73, v76, v102
	v_mul_i32_i24_e32 v124, v126, v205
	v_mul_i32_i24_e32 v103, v103, v203
	v_add3_u32 v71, v71, v120, v122
	v_mul_i32_i24_e32 v119, v119, v199
	v_add3_u32 v75, v75, v77, v73
	v_and_b32_e32 v73, 15, v111
	v_mul_i32_i24_e32 v104, v104, v194
	v_add3_u32 v71, v71, v124, v103
	v_and_b32_e32 v105, 3, v105
	v_mul_i32_i24_e32 v121, v121, v208
	v_and_b32_e32 v73, 0xffff, v73
	v_mul_i32_i24_e32 v123, v123, v209
	v_add3_u32 v72, v72, v119, v104
	v_mul_i32_i24_e32 v125, v125, v207
	v_mul_i32_i24_e32 v105, v105, v202
	v_mul_lo_u32 v71, v71, v73
	v_and_b32_e32 v76, 15, v112
	v_add3_u32 v72, v72, v121, v123
	v_cvt_f32_i32_e32 v77, v75
	s_add_co_i32 s17, s1, 2
	s_cmp_lt_u32 s1, 30
	v_and_b32_e32 v76, 0xffff, v76
	v_add3_u32 v72, v72, v125, v105
	s_mov_b32 s1, s17
	s_delay_alu instid0(VALU_DEP_1) | instskip(SKIP_2) | instid1(VALU_DEP_1)
	v_mad_u32 v71, v72, v76, v71
	v_cvt_f32_f16_e32 v72, v69
	v_lshrrev_b32_e32 v69, 16, v69
	v_cvt_f32_f16_e32 v73, v69
	s_delay_alu instid0(VALU_DEP_4) | instskip(NEXT) | instid1(VALU_DEP_1)
	v_cvt_f32_i32_e32 v76, v71
	v_pk_mul_f32 v[72:73], v[72:73], v[76:77]
	s_delay_alu instid0(VALU_DEP_1) | instskip(NEXT) | instid1(VALU_DEP_1)
	v_dual_mov_b32 v69, v72 :: v_dual_mov_b32 v71, v73
	v_pk_add_f32 v[4:5], v[68:69], v[70:71] neg_lo:[0,1] neg_hi:[0,1]
	s_delay_alu instid0(VALU_DEP_1)
	v_pk_fma_f32 v[20:21], v[0:1], v[4:5], v[20:21] op_sel_hi:[0,1,1]
	v_add_nc_u32_e32 v1, 32, v1
	s_cbranch_scc1 .LBB227_35
; %bb.36:                               ;   in Loop: Header=BB227_5 Depth=1
	s_barrier_signal -1
	s_barrier_wait -1
	s_branch .LBB227_4
.LBB227_37:
	v_mov_b32_e32 v22, 0
	s_delay_alu instid0(VALU_DEP_1)
	v_dual_mov_b32 v23, v22 :: v_dual_mov_b32 v20, v22
	v_mov_b32_e32 v21, v22
.LBB227_38:
	s_mul_i32 s0, s7, s4
	s_wait_loadcnt 0x0
	v_cmp_gt_i32_e32 vcc_lo, s0, v9
	s_wait_xcnt 0x0
	s_and_saveexec_b32 s0, vcc_lo
	s_cbranch_execz .LBB227_47
; %bb.39:
	v_mul_lo_u32 v0, v9, s6
	v_add_nc_u32_e32 v1, s18, v13
	s_mov_b32 s0, exec_lo
	s_delay_alu instid0(VALU_DEP_1)
	v_cmpx_gt_u32_e64 s6, v1
	s_cbranch_execz .LBB227_41
; %bb.40:
	v_bfe_u32 v2, v22, 16, 1
	v_cmp_o_f32_e32 vcc_lo, v22, v22
	v_add_nc_u32_e32 v3, v0, v1
	s_delay_alu instid0(VALU_DEP_3) | instskip(NEXT) | instid1(VALU_DEP_1)
	v_add3_u32 v2, v22, v2, 0x7fff
	v_lshrrev_b32_e32 v2, 16, v2
	s_delay_alu instid0(VALU_DEP_1)
	v_cndmask_b32_e32 v2, 0x7fc0, v2, vcc_lo
	global_store_b16 v3, v2, s[8:9] scale_offset
.LBB227_41:
	s_wait_xcnt 0x0
	s_or_b32 exec_lo, exec_lo, s0
	v_add_nc_u32_e32 v2, 32, v1
	s_mov_b32 s0, exec_lo
	s_delay_alu instid0(VALU_DEP_1)
	v_cmpx_gt_u32_e64 s6, v2
	s_cbranch_execz .LBB227_43
; %bb.42:
	v_bfe_u32 v3, v23, 16, 1
	v_cmp_o_f32_e32 vcc_lo, v23, v23
	v_add_nc_u32_e32 v2, v0, v2
	s_delay_alu instid0(VALU_DEP_3) | instskip(NEXT) | instid1(VALU_DEP_1)
	v_add3_u32 v3, v23, v3, 0x7fff
	v_lshrrev_b32_e32 v3, 16, v3
	s_delay_alu instid0(VALU_DEP_1)
	v_cndmask_b32_e32 v3, 0x7fc0, v3, vcc_lo
	global_store_b16 v2, v3, s[8:9] scale_offset
.LBB227_43:
	s_wait_xcnt 0x0
	s_or_b32 exec_lo, exec_lo, s0
	;; [unrolled: 18-line block ×3, first 2 shown]
	v_add_nc_u32_e32 v1, 0x60, v1
	s_delay_alu instid0(VALU_DEP_1)
	v_cmp_gt_u32_e32 vcc_lo, s6, v1
	s_and_b32 exec_lo, exec_lo, vcc_lo
	s_cbranch_execz .LBB227_47
; %bb.46:
	v_bfe_u32 v2, v21, 16, 1
	v_cmp_o_f32_e32 vcc_lo, v21, v21
	v_add_nc_u32_e32 v0, v0, v1
	s_delay_alu instid0(VALU_DEP_3) | instskip(NEXT) | instid1(VALU_DEP_1)
	v_add3_u32 v2, v21, v2, 0x7fff
	v_lshrrev_b32_e32 v2, 16, v2
	s_delay_alu instid0(VALU_DEP_1)
	v_cndmask_b32_e32 v2, 0x7fc0, v2, vcc_lo
	global_store_b16 v0, v2, s[8:9] scale_offset
.LBB227_47:
	s_sendmsg sendmsg(MSG_DEALLOC_VGPRS)
	s_endpgm
	.section	.rodata,"a",@progbits
	.p2align	6, 0x0
	.amdhsa_kernel _ZL8moe_q2_KIN3c108BFloat16ELb0EEvPKvS3_PT_PKiS7_S7_iiiiiii
		.amdhsa_group_segment_fixed_size 23328
		.amdhsa_private_segment_fixed_size 0
		.amdhsa_kernarg_size 76
		.amdhsa_user_sgpr_count 2
		.amdhsa_user_sgpr_dispatch_ptr 0
		.amdhsa_user_sgpr_queue_ptr 0
		.amdhsa_user_sgpr_kernarg_segment_ptr 1
		.amdhsa_user_sgpr_dispatch_id 0
		.amdhsa_user_sgpr_kernarg_preload_length 0
		.amdhsa_user_sgpr_kernarg_preload_offset 0
		.amdhsa_user_sgpr_private_segment_size 0
		.amdhsa_wavefront_size32 1
		.amdhsa_uses_dynamic_stack 0
		.amdhsa_enable_private_segment 0
		.amdhsa_system_sgpr_workgroup_id_x 1
		.amdhsa_system_sgpr_workgroup_id_y 1
		.amdhsa_system_sgpr_workgroup_id_z 0
		.amdhsa_system_sgpr_workgroup_info 0
		.amdhsa_system_vgpr_workitem_id 1
		.amdhsa_next_free_vgpr 249
		.amdhsa_next_free_sgpr 24
		.amdhsa_named_barrier_count 0
		.amdhsa_reserve_vcc 1
		.amdhsa_float_round_mode_32 0
		.amdhsa_float_round_mode_16_64 0
		.amdhsa_float_denorm_mode_32 3
		.amdhsa_float_denorm_mode_16_64 3
		.amdhsa_fp16_overflow 0
		.amdhsa_memory_ordered 1
		.amdhsa_forward_progress 1
		.amdhsa_inst_pref_size 161
		.amdhsa_round_robin_scheduling 0
		.amdhsa_exception_fp_ieee_invalid_op 0
		.amdhsa_exception_fp_denorm_src 0
		.amdhsa_exception_fp_ieee_div_zero 0
		.amdhsa_exception_fp_ieee_overflow 0
		.amdhsa_exception_fp_ieee_underflow 0
		.amdhsa_exception_fp_ieee_inexact 0
		.amdhsa_exception_int_div_zero 0
	.end_amdhsa_kernel
	.section	.text._ZL8moe_q2_KIN3c108BFloat16ELb0EEvPKvS3_PT_PKiS7_S7_iiiiiii,"axG",@progbits,_ZL8moe_q2_KIN3c108BFloat16ELb0EEvPKvS3_PT_PKiS7_S7_iiiiiii,comdat
.Lfunc_end227:
	.size	_ZL8moe_q2_KIN3c108BFloat16ELb0EEvPKvS3_PT_PKiS7_S7_iiiiiii, .Lfunc_end227-_ZL8moe_q2_KIN3c108BFloat16ELb0EEvPKvS3_PT_PKiS7_S7_iiiiiii
                                        ; -- End function
	.set _ZL8moe_q2_KIN3c108BFloat16ELb0EEvPKvS3_PT_PKiS7_S7_iiiiiii.num_vgpr, 249
	.set _ZL8moe_q2_KIN3c108BFloat16ELb0EEvPKvS3_PT_PKiS7_S7_iiiiiii.num_agpr, 0
	.set _ZL8moe_q2_KIN3c108BFloat16ELb0EEvPKvS3_PT_PKiS7_S7_iiiiiii.numbered_sgpr, 24
	.set _ZL8moe_q2_KIN3c108BFloat16ELb0EEvPKvS3_PT_PKiS7_S7_iiiiiii.num_named_barrier, 0
	.set _ZL8moe_q2_KIN3c108BFloat16ELb0EEvPKvS3_PT_PKiS7_S7_iiiiiii.private_seg_size, 0
	.set _ZL8moe_q2_KIN3c108BFloat16ELb0EEvPKvS3_PT_PKiS7_S7_iiiiiii.uses_vcc, 1
	.set _ZL8moe_q2_KIN3c108BFloat16ELb0EEvPKvS3_PT_PKiS7_S7_iiiiiii.uses_flat_scratch, 0
	.set _ZL8moe_q2_KIN3c108BFloat16ELb0EEvPKvS3_PT_PKiS7_S7_iiiiiii.has_dyn_sized_stack, 0
	.set _ZL8moe_q2_KIN3c108BFloat16ELb0EEvPKvS3_PT_PKiS7_S7_iiiiiii.has_recursion, 0
	.set _ZL8moe_q2_KIN3c108BFloat16ELb0EEvPKvS3_PT_PKiS7_S7_iiiiiii.has_indirect_call, 0
	.section	.AMDGPU.csdata,"",@progbits
; Kernel info:
; codeLenInByte = 20540
; TotalNumSgprs: 26
; NumVgprs: 249
; ScratchSize: 0
; MemoryBound: 0
; FloatMode: 240
; IeeeMode: 1
; LDSByteSize: 23328 bytes/workgroup (compile time only)
; SGPRBlocks: 0
; VGPRBlocks: 15
; NumSGPRsForWavesPerEU: 26
; NumVGPRsForWavesPerEU: 249
; NamedBarCnt: 0
; Occupancy: 4
; WaveLimiterHint : 1
; COMPUTE_PGM_RSRC2:SCRATCH_EN: 0
; COMPUTE_PGM_RSRC2:USER_SGPR: 2
; COMPUTE_PGM_RSRC2:TRAP_HANDLER: 0
; COMPUTE_PGM_RSRC2:TGID_X_EN: 1
; COMPUTE_PGM_RSRC2:TGID_Y_EN: 1
; COMPUTE_PGM_RSRC2:TGID_Z_EN: 0
; COMPUTE_PGM_RSRC2:TIDIG_COMP_CNT: 1
	.section	.text._ZL8moe_q2_KIN3c108BFloat16ELb1EEvPKvS3_PT_PKiS7_S7_iiiiiii,"axG",@progbits,_ZL8moe_q2_KIN3c108BFloat16ELb1EEvPKvS3_PT_PKiS7_S7_iiiiiii,comdat
	.globl	_ZL8moe_q2_KIN3c108BFloat16ELb1EEvPKvS3_PT_PKiS7_S7_iiiiiii ; -- Begin function _ZL8moe_q2_KIN3c108BFloat16ELb1EEvPKvS3_PT_PKiS7_S7_iiiiiii
	.p2align	8
	.type	_ZL8moe_q2_KIN3c108BFloat16ELb1EEvPKvS3_PT_PKiS7_S7_iiiiiii,@function
_ZL8moe_q2_KIN3c108BFloat16ELb1EEvPKvS3_PT_PKiS7_S7_iiiiiii: ; @_ZL8moe_q2_KIN3c108BFloat16ELb1EEvPKvS3_PT_PKiS7_S7_iiiiiii
; %bb.0:
	s_load_b128 s[4:7], s[0:1], 0x18
	s_bfe_u32 s2, ttmp6, 0x40010
	s_bfe_u32 s8, ttmp6, 0x40004
	s_add_co_i32 s2, s2, 1
	s_delay_alu instid0(SALU_CYCLE_1)
	s_mul_i32 s3, ttmp7, s2
	s_getreg_b32 s2, hwreg(HW_REG_IB_STS2, 6, 4)
	s_add_co_i32 s8, s8, s3
	s_cmp_eq_u32 s2, 0
	s_cselect_b32 s3, ttmp7, s8
	s_wait_kmcnt 0x0
	s_load_b32 s14, s[6:7], s3 offset:0x0 scale_offset
	s_wait_kmcnt 0x0
	s_cmp_gt_u32 s14, 0xff
	s_cbranch_scc1 .LBB228_47
; %bb.1:
	s_load_b64 s[6:7], s[0:1], 0x28
	s_lshl_b32 s3, s3, 3
	s_wait_kmcnt 0x0
	s_load_b32 s6, s[6:7], 0x0
	s_wait_kmcnt 0x0
	s_cmp_gt_u32 s3, s6
	s_cbranch_scc1 .LBB228_47
; %bb.2:
	v_bfe_u32 v1, v0, 10, 10
	s_and_b32 s11, ttmp6, 15
	v_and_b32_e32 v23, 0x3ff, v0
	s_mov_b32 s15, 0
	s_delay_alu instid0(VALU_DEP_2) | instskip(SKIP_1) | instid1(SALU_CYCLE_1)
	v_add_nc_u32_e32 v2, s3, v1
	s_bfe_u32 s3, ttmp6, 0x4000c
	s_add_co_i32 s3, s3, 1
	s_delay_alu instid0(SALU_CYCLE_1)
	s_mul_i32 s3, ttmp9, s3
	global_load_b32 v11, v2, s[4:5] scale_offset
	s_wait_xcnt 0x0
	s_clause 0x2
	s_load_b128 s[4:7], s[0:1], 0x30
	s_load_b64 s[12:13], s[0:1], 0x10
	s_load_b96 s[8:10], s[0:1], 0x40
	s_add_co_i32 s11, s11, s3
	s_cmp_eq_u32 s2, 0
	s_cselect_b32 s2, ttmp9, s11
	s_delay_alu instid0(SALU_CYCLE_1)
	s_lshl_b32 s11, s2, 7
	s_wait_kmcnt 0x0
	s_cmp_lt_i32 s5, 0x100
	s_cbranch_scc1 .LBB228_37
; %bb.3:
	s_load_b128 s[0:3], s[0:1], 0x0
	s_mul_i32 s18, s14, s4
	s_not_b32 s4, s11
	v_dual_mov_b32 v9, 0 :: v_dual_lshlrev_b32 v4, 2, v23
	s_add_co_i32 s14, s6, s4
	s_delay_alu instid0(SALU_CYCLE_1) | instskip(SKIP_1) | instid1(VALU_DEP_3)
	v_dual_lshlrev_b32 v14, 4, v1 :: v_dual_min_i32 v5, s14, v1
	v_bfe_u32 v2, v0, 1, 9
	v_and_b32_e32 v8, 60, v4
	s_ashr_i32 s19, s18, 31
	s_ashr_i32 s17, s8, 31
	v_bfe_u32 v45, v0, 3, 7
	v_add_nc_u32_e32 v2, v2, v14
	s_lshr_b32 s17, s17, 27
	v_and_b32_e32 v10, 1, v0
	s_add_co_i32 s6, s8, s17
	v_lshl_add_u32 v15, v1, 2, v45
	v_and_b32_e32 v2, 0x7f, v2
	v_and_b32_e32 v26, 0xfc, v0
	s_wait_kmcnt 0x0
	s_add_nc_u64 s[18:19], s[0:1], s[18:19]
	s_abs_i32 s0, s10
	v_dual_lshlrev_b32 v13, 2, v10 :: v_dual_min_i32 v58, s14, v15
	s_cvt_f32_u32 s1, s0
	v_min_i32_e32 v56, s14, v2
	s_sub_co_i32 s8, 0, s0
	v_add_min_i32_e64 v60, v15, 32, s14
	v_rcp_iflag_f32_e32 v2, s1
	s_delay_alu instid0(VALU_DEP_2) | instskip(SKIP_1) | instid1(VALU_DEP_3)
	v_dual_ashrrev_i32 v12, 31, v58 :: v_dual_ashrrev_i32 v3, 31, v56
	v_add_min_i32_e64 v62, v15, 64, s14
	v_ashrrev_i32_e32 v17, 31, v60
	v_and_b32_e32 v66, 7, v0
	s_delay_alu instid0(VALU_DEP_4) | instskip(NEXT) | instid1(TRANS32_DEP_1)
	v_lshrrev_b32_e32 v12, 30, v12
	v_readfirstlane_b32 s1, v2
	s_delay_alu instid0(VALU_DEP_4)
	v_dual_lshrrev_b32 v2, 28, v3 :: v_dual_lshrrev_b32 v17, 30, v17
	v_lshlrev_b32_e32 v18, 3, v56
	v_add_min_i32_e64 v64, 0x60, v15, s14
	s_mul_f32 s1, s1, 0x4f7ffffe
	s_wait_loadcnt 0x0
	v_dual_add_nc_u32 v2, v56, v2 :: v_dual_sub_nc_u32 v3, 0, v11
	v_add_nc_u32_e32 v17, v60, v17
	s_cvt_u32_f32 s1, s1
	v_lshlrev_b32_e32 v21, 2, v66
	s_delay_alu instid0(VALU_DEP_3) | instskip(NEXT) | instid1(SALU_CYCLE_1)
	v_dual_ashrrev_i32 v2, 4, v2 :: v_dual_max_i32 v3, v11, v3
	s_mul_i32 s8, s8, s1
	v_lshl_add_u32 v61, v1, 7, 0x56a0
	s_mul_hi_u32 s8, s1, s8
	s_delay_alu instid0(VALU_DEP_2)
	v_lshlrev_b32_e32 v2, 2, v2
	s_add_co_i32 s1, s1, s8
	v_ashrrev_i32_e32 v15, 31, v62
	v_mul_hi_u32 v16, v3, s1
	v_and_b32_e32 v17, -4, v17
	v_add3_u32 v2, v2, v13, 0x5280
	v_dual_mov_b32 v13, v9 :: v_dual_add_nc_u32 v20, v58, v12
	v_lshrrev_b32_e32 v15, 30, v15
	v_add_nc_u32_e32 v78, 0x5aa0, v14
	s_ashr_i32 s16, s5, 31
	s_ashr_i32 s6, s6, 5
	v_and_b32_e32 v20, -4, v20
	s_lshr_b32 s16, s16, 24
	v_mul_lo_u32 v19, v16, s0
	v_and_b32_e32 v12, 12, v4
	v_add_min_i32_e64 v6, v1, 8, s14
	v_add_min_i32_e64 v7, v1, 16, s14
	;; [unrolled: 1-line block ×9, first 2 shown]
	v_dual_sub_nc_u32 v3, v3, v19 :: v_dual_add_nc_u32 v19, 1, v16
	v_add3_u32 v17, v17, v21, 0x4200
	v_add_min_i32_e64 v44, 0x50, v1, s14
	v_add_min_i32_e64 v46, 0x58, v1, s14
	s_delay_alu instid0(VALU_DEP_4) | instskip(SKIP_4) | instid1(VALU_DEP_3)
	v_subrev_nc_u32_e32 v24, s0, v3
	v_cmp_le_u32_e32 vcc_lo, s0, v3
	v_dual_ashrrev_i32 v22, 31, v64 :: v_dual_add_nc_u32 v15, v62, v15
	v_add_min_i32_e64 v48, 0x60, v1, s14
	v_add_min_i32_e64 v50, 0x68, v1, s14
	v_dual_cndmask_b32 v16, v16, v19 :: v_dual_lshrrev_b32 v19, 30, v22
	v_dual_cndmask_b32 v3, v3, v24, vcc_lo :: v_dual_bitop2_b32 v22, s10, v11 bitop3:0x14
	s_delay_alu instid0(VALU_DEP_2) | instskip(NEXT) | instid1(VALU_DEP_2)
	v_dual_add_nc_u32 v24, 1, v16 :: v_dual_bitop2_b32 v15, -4, v15 bitop3:0x40
	v_dual_add_nc_u32 v19, v64, v19 :: v_dual_ashrrev_i32 v22, 31, v22
	s_delay_alu instid0(VALU_DEP_3) | instskip(NEXT) | instid1(VALU_DEP_3)
	v_cmp_le_u32_e32 vcc_lo, s0, v3
	v_add3_u32 v15, v15, v21, 0x4200
	v_add_min_i32_e64 v52, 0x70, v1, s14
	v_add_min_i32_e64 v54, 0x78, v1, s14
	s_add_co_i32 s4, s5, s16
	v_dual_cndmask_b32 v3, v16, v24, vcc_lo :: v_dual_bitop2_b32 v16, -4, v19 bitop3:0x40
	v_add3_u32 v19, v20, v21, 0x4200
	v_add_nc_u32_e32 v20, 32, v23
	v_add_nc_u32_e32 v24, 0x60, v23
	s_delay_alu instid0(VALU_DEP_4)
	v_xor_b32_e32 v3, v3, v22
	v_add3_u32 v16, v16, v21, 0x4200
	v_add_nc_u32_e32 v21, 64, v23
	v_and_b32_e32 v28, 0x1fc, v20
	v_and_b32_e32 v53, 0x1fc, v24
	v_dual_sub_nc_u32 v22, v3, v22 :: v_dual_lshlrev_b32 v3, 5, v23
	v_lshlrev_b32_e32 v57, 5, v58
	v_and_b32_e32 v51, 0x1fc, v21
	v_add_nc_u32_e32 v55, v2, v18
	v_lshlrev_b32_e32 v2, 5, v62
	v_dual_add_nc_u32 v47, v3, v26 :: v_dual_add_nc_u32 v49, v3, v28
	s_delay_alu instid0(VALU_DEP_4) | instskip(SKIP_1) | instid1(VALU_DEP_4)
	v_dual_add_nc_u32 v51, v3, v51 :: v_dual_add_nc_u32 v53, v3, v53
	v_dual_lshlrev_b32 v3, 5, v60 :: v_dual_add_nc_u32 v57, v19, v57
	v_dual_lshlrev_b32 v18, 5, v64 :: v_dual_add_nc_u32 v63, v15, v2
	s_delay_alu instid0(VALU_DEP_2) | instskip(NEXT) | instid1(VALU_DEP_2)
	v_dual_lshlrev_b32 v1, 1, v20 :: v_dual_add_nc_u32 v59, v17, v3
	v_dual_add_nc_u32 v65, v16, v18 :: v_dual_bitop2_b32 v17, 31, v0 bitop3:0x40
	v_and_b32_e32 v2, 28, v4
	v_dual_lshrrev_b32 v86, 3, v20 :: v_dual_lshrrev_b32 v28, 4, v21
	s_delay_alu instid0(VALU_DEP_3)
	v_lshl_add_u32 v67, v17, 2, v61
	v_mul_lo_u32 v18, v22, s6
	v_dual_mov_b32 v17, v9 :: v_dual_lshlrev_b32 v26, 1, v21
	v_dual_add_nc_u32 v85, v78, v4 :: v_dual_mov_b32 v3, v9
	v_lshrrev_b32_e32 v87, 3, v21
	v_cmp_gt_i32_e64 s0, s7, v22
	v_mul_u32_u24_e32 v14, 33, v23
	v_lshlrev_b32_e32 v22, 1, v24
	s_ashr_i32 s4, s4, 8
	v_mad_u32 v25, 0x84, v5, v4
	v_mad_u32 v27, 0x84, v6, v4
	v_mad_u32 v29, 0x84, v7, v4
	v_mad_u32 v31, 0x84, v30, v4
	v_mad_u32 v33, 0x84, v32, v4
	v_mad_u32 v35, 0x84, v34, v4
	v_mad_u32 v37, 0x84, v36, v4
	v_mad_u32 v39, 0x84, v38, v4
	v_mad_u32 v41, 0x84, v40, v4
	v_mad_u32 v43, 0x84, v42, v4
	v_mad_u32 v79, 0x84, v44, v4
	v_mad_u32 v80, 0x84, v46, v4
	v_mad_u32 v81, 0x84, v48, v4
	v_mad_u32 v82, 0x84, v50, v4
	v_mad_u32 v83, 0x84, v52, v4
	v_mad_u32 v84, 0x84, v54, v4
	v_lshrrev_b32_e32 v4, 4, v20
	v_dual_lshrrev_b32 v68, 4, v24 :: v_dual_lshrrev_b32 v88, 3, v24
	v_dual_lshlrev_b32 v92, 2, v1 :: v_dual_lshlrev_b32 v93, 2, v28
	s_delay_alu instid0(VALU_DEP_2)
	v_dual_lshlrev_b32 v94, 2, v26 :: v_dual_lshlrev_b32 v95, 2, v68
	v_mul_lo_u32 v24, v5, s4
	v_mul_lo_u32 v26, v6, s4
	;; [unrolled: 1-line block ×21, first 2 shown]
	v_add_nc_u64_e32 v[20:21], s[2:3], v[2:3]
	v_dual_lshlrev_b32 v89, 2, v14 :: v_dual_lshlrev_b32 v2, 1, v23
	v_lshlrev_b32_e32 v96, 2, v22
	v_bfe_u32 v22, v0, 4, 6
	v_cmp_lt_u32_e64 s1, 3, v66
	s_mul_i32 s16, s4, s11
	v_cmp_gt_u32_e32 vcc_lo, 4, v23
	s_ashr_i32 s17, s16, 31
	v_dual_mov_b32 v16, v9 :: v_dual_ashrrev_i32 v19, 31, v18
	v_dual_mov_b32 v14, v9 :: v_dual_mov_b32 v15, v9
	v_dual_lshlrev_b32 v90, 2, v2 :: v_dual_lshlrev_b32 v91, 2, v4
	v_add_nc_u32_e32 v97, 0x4200, v47
	v_add_nc_u32_e32 v98, 0x4600, v49
	;; [unrolled: 1-line block ×4, first 2 shown]
	v_lshlrev_b32_e32 v101, 2, v22
	v_cndmask_b32_e64 v66, 0, 1, s1
	s_mul_u64 s[16:17], s[16:17], 0x54
	s_and_b32 s8, vcc_lo, s0
	s_add_nc_u64 s[16:17], s[18:19], s[16:17]
	s_mov_b32 s14, s15
	s_branch .LBB228_5
.LBB228_4:                              ;   in Loop: Header=BB228_5 Depth=1
	s_add_co_i32 s14, s14, 2
	s_delay_alu instid0(SALU_CYCLE_1)
	s_cmp_ge_i32 s14, s4
	s_cbranch_scc1 .LBB228_38
.LBB228_5:                              ; =>This Loop Header: Depth=1
                                        ;     Child Loop BB228_11 Depth 2
                                        ;     Child Loop BB228_19 Depth 2
	;; [unrolled: 1-line block ×4, first 2 shown]
	s_mul_u64 s[18:19], s[14:15], 0x54
	s_delay_alu instid0(SALU_CYCLE_1)
	s_add_nc_u64 s[18:19], s[16:17], s[18:19]
	s_wait_xcnt 0x5
	v_mad_nc_u64_u32 v[0:1], 0x54, v22, s[18:19]
	s_wait_xcnt 0x0
	v_mad_nc_u64_u32 v[4:5], 0x54, v66, s[18:19]
	v_mad_nc_i64_i32 v[2:3], 0x54, v56, s[18:19]
	s_lshl_b32 s18, s14, 8
	s_delay_alu instid0(SALU_CYCLE_1) | instskip(NEXT) | instid1(VALU_DEP_3)
	s_cmp_lt_i32 s18, s5
	v_mad_nc_i64_i32 v[6:7], 0x54, v24, v[0:1]
	v_mad_nc_i64_i32 v[68:69], 0x54, v26, v[0:1]
	;; [unrolled: 1-line block ×14, first 2 shown]
	v_add_nc_u64_e32 v[6:7], v[6:7], v[8:9]
	v_mad_nc_i64_i32 v[118:119], 0x54, v52, v[0:1]
	v_add_nc_u64_e32 v[68:69], v[68:69], v[8:9]
	v_mad_nc_i64_i32 v[0:1], 0x54, v54, v[0:1]
	v_add_nc_u64_e32 v[70:71], v[70:71], v[8:9]
	v_add_nc_u64_e32 v[72:73], v[72:73], v[8:9]
	;; [unrolled: 1-line block ×8, first 2 shown]
	s_clause 0x7
	global_load_b32 v120, v[6:7], off offset:16
	global_load_b32 v121, v[68:69], off offset:16
	;; [unrolled: 1-line block ×8, first 2 shown]
	s_wait_xcnt 0x7
	v_add_nc_u64_e32 v[6:7], v[108:109], v[8:9]
	s_wait_xcnt 0x6
	v_add_nc_u64_e32 v[68:69], v[110:111], v[8:9]
	;; [unrolled: 2-line block ×4, first 2 shown]
	v_mad_nc_u64_u32 v[2:3], 0x54, v10, v[2:3]
	s_wait_xcnt 0x3
	v_add_nc_u64_e32 v[74:75], v[116:117], v[8:9]
	s_wait_xcnt 0x1
	v_mad_nc_i64_i32 v[102:103], 0x54, v58, v[4:5]
	v_add_nc_u64_e32 v[76:77], v[118:119], v[8:9]
	s_wait_xcnt 0x0
	v_mad_nc_i64_i32 v[104:105], 0x54, v60, v[4:5]
	v_add_nc_u64_e32 v[0:1], v[0:1], v[8:9]
	v_mad_nc_i64_i32 v[108:109], 0x54, v62, v[4:5]
	v_mad_nc_i64_i32 v[4:5], 0x54, v64, v[4:5]
	s_clause 0xc
	global_load_b32 v110, v[106:107], off offset:16
	global_load_b32 v111, v[6:7], off offset:16
	;; [unrolled: 1-line block ×9, first 2 shown]
	global_load_b32 v119, v[102:103], off
	global_load_b32 v128, v[104:105], off
	;; [unrolled: 1-line block ×4, first 2 shown]
	s_wait_loadcnt 0x14
	ds_store_b32 v25, v120
	s_wait_loadcnt 0x13
	ds_store_b32 v27, v121
	;; [unrolled: 2-line block ×21, first 2 shown]
	s_cbranch_scc0 .LBB228_4
; %bb.6:                                ;   in Loop: Header=BB228_5 Depth=1
	s_lshl_b32 s19, s14, 3
	s_wait_xcnt 0x5
	v_add_nc_u32_e32 v0, s19, v45
	s_delay_alu instid0(VALU_DEP_1)
	v_cmp_gt_i32_e64 s1, s6, v0
	s_and_b32 s20, s0, s1
	s_wait_xcnt 0x0
	s_and_saveexec_b32 s1, s20
	s_cbranch_execz .LBB228_8
; %bb.7:                                ;   in Loop: Header=BB228_5 Depth=1
	v_add_nc_u32_e32 v0, v18, v0
	s_delay_alu instid0(VALU_DEP_1)
	v_mad_nc_i64_i32 v[0:1], v0, 36, v[20:21]
	global_load_b32 v0, v[0:1], off offset:4
	s_wait_loadcnt 0x0
	ds_store_b32 v67, v0
.LBB228_8:                              ;   in Loop: Header=BB228_5 Depth=1
	s_or_b32 exec_lo, exec_lo, s1
	v_add_nc_u32_e32 v68, s19, v23
	s_delay_alu instid0(VALU_DEP_1) | instskip(SKIP_1) | instid1(SALU_CYCLE_1)
	v_cmp_gt_i32_e64 s1, s6, v68
	s_and_b32 s20, s8, s1
	s_and_saveexec_b32 s1, s20
	s_cbranch_execz .LBB228_10
; %bb.9:                                ;   in Loop: Header=BB228_5 Depth=1
	v_add_nc_u32_e32 v0, v18, v68
	s_delay_alu instid0(VALU_DEP_1)
	v_mad_nc_i64_i32 v[0:1], v0, 36, s[2:3]
	global_load_b32 v0, v[0:1], off
	s_wait_loadcnt 0x0
	v_cvt_f32_f16_e32 v0, v0
	ds_store_b32 v85, v0
.LBB228_10:                             ;   in Loop: Header=BB228_5 Depth=1
	s_or_b32 exec_lo, exec_lo, s1
	v_dual_mov_b32 v69, v78 :: v_dual_mov_b32 v71, v61
	s_mov_b32 s1, 0
	s_wait_dscnt 0x0
	s_barrier_signal -1
	s_barrier_wait -1
.LBB228_11:                             ;   Parent Loop BB228_5 Depth=1
                                        ; =>  This Inner Loop Header: Depth=2
	s_and_b32 s21, s1, 0x3ffffff8
	ds_load_b32 v70, v69
	ds_load_b128 v[4:7], v71
	ds_load_b128 v[0:3], v71 offset:16
	v_lshl_add_u32 v74, s21, 2, v89
	s_lshr_b32 s22, s1, 2
	s_and_b32 s20, s1, -16
	s_and_b32 s21, s22, 0x3ffffffc
	s_add_co_i32 s20, s1, s20
	ds_load_2addr_b32 v[72:73], v74 offset0:4 offset1:7
	s_addk_co_i32 s21, 0x5280
	v_dual_add_nc_u32 v75, s20, v97 :: v_dual_add_nc_u32 v76, s20, v98
	v_dual_add_nc_u32 v124, s20, v99 :: v_dual_add_nc_u32 v77, s20, v100
	v_add3_u32 v108, s21, v101, v90
	v_add3_u32 v109, s21, v91, v92
	;; [unrolled: 1-line block ×4, first 2 shown]
	v_add_nc_u32_e32 v112, 0x1080, v74
	v_add_nc_u32_e32 v113, 0x1088, v74
	;; [unrolled: 1-line block ×12, first 2 shown]
	ds_load_2addr_b32 v[102:103], v74 offset1:1
	ds_load_2addr_b32 v[104:105], v74 offset0:2 offset1:3
	ds_load_2addr_b32 v[106:107], v74 offset0:5 offset1:6
	ds_load_u16 v132, v75
	ds_load_b32 v133, v108
	ds_load_b32 v134, v109
	;; [unrolled: 1-line block ×4, first 2 shown]
	ds_load_u16 v77, v77
	ds_load_2addr_b32 v[108:109], v114 offset0:36 offset1:39
	ds_load_2addr_b32 v[110:111], v112 offset1:1
	ds_load_2addr_b32 v[112:113], v113 offset1:1
	;; [unrolled: 1-line block ×5, first 2 shown]
	ds_load_u16 v75, v76
	ds_load_2addr_b32 v[120:121], v120 offset1:1
	ds_load_2addr_b32 v[122:123], v122 offset1:1
	ds_load_u16 v76, v124
	ds_load_2addr_b32 v[124:125], v125 offset1:1
	ds_load_2addr_b32 v[126:127], v126 offset1:1
	;; [unrolled: 1-line block ×4, first 2 shown]
	s_wait_dscnt 0x15
	v_dual_ashrrev_i32 v103, s1, v103 :: v_dual_ashrrev_i32 v105, s1, v105
	v_lshrrev_b16 v136, 8, v0
	v_dual_ashrrev_i32 v137, 24, v4 :: v_dual_ashrrev_i32 v144, 24, v5
	v_dual_ashrrev_i32 v138, 24, v0 :: v_dual_ashrrev_i32 v145, 24, v1
	v_bfe_i32 v140, v0, 0, 8
	v_bfe_i32 v141, v0, 16, 8
	;; [unrolled: 1-line block ×4, first 2 shown]
	v_lshrrev_b16 v0, 8, v1
	v_bfe_i32 v146, v4, 8, 8
	v_bfe_i32 v4, v1, 0, 8
	;; [unrolled: 1-line block ×4, first 2 shown]
	v_and_b32_e32 v168, 3, v103
	v_bfe_u32 v169, v103, 8, 2
	v_bfe_u32 v170, v103, 16, 2
	v_lshrrev_b32_e32 v103, 24, v103
	v_bfe_i32 v139, v5, 8, 8
	v_bfe_i32 v5, v5, 16, 8
	v_dual_ashrrev_i32 v72, s1, v72 :: v_dual_ashrrev_i32 v73, s1, v73
	v_mul_i32_i24_e32 v168, v168, v1
	s_wait_dscnt 0x9
	v_dual_ashrrev_i32 v117, s1, v117 :: v_dual_bitop2_b32 v103, 3, v103 bitop3:0x40
	v_dual_ashrrev_i32 v149, 24, v2 :: v_dual_ashrrev_i32 v156, 24, v3
	v_bfe_i32 v160, v3, 16, 8
	v_bfe_i32 v161, v3, 0, 8
	;; [unrolled: 1-line block ×4, first 2 shown]
	v_dual_ashrrev_i32 v107, s1, v107 :: v_dual_bitop2_b32 v171, 3, v72 bitop3:0x40
	v_bfe_u32 v172, v72, 8, 2
	v_bfe_u32 v173, v72, 16, 2
	v_dual_lshrrev_b32 v72, 24, v72 :: v_dual_ashrrev_i32 v111, s1, v111
	v_mad_i32_i24 v168, v169, v139, v168
	v_mul_i32_i24_e32 v169, v170, v5
	v_mul_i32_i24_e32 v103, v103, v144
	s_delay_alu instid0(VALU_DEP_4) | instskip(SKIP_2) | instid1(VALU_DEP_4)
	v_and_b32_e32 v72, 3, v72
	v_lshrrev_b16 v148, 8, v6
	v_dual_ashrrev_i32 v150, 24, v6 :: v_dual_ashrrev_i32 v157, 24, v7
	v_add3_u32 v103, v168, v169, v103
	v_mul_i32_i24_e32 v169, v172, v3
	v_bfe_i32 v151, v6, 16, 8
	v_bfe_i32 v152, v6, 0, 8
	v_dual_add_nc_u32 v6, v146, v139 :: v_dual_ashrrev_i32 v102, s1, v102
	s_wait_dscnt 0x3
	v_ashrrev_i32_e32 v125, s1, v125
	v_mad_i32_i24 v169, v171, v140, v169
	v_mul_i32_i24_e32 v171, v173, v141
	v_mul_i32_i24_e32 v72, v72, v138
	v_dual_ashrrev_i32 v104, s1, v104 :: v_dual_ashrrev_i32 v106, s1, v106
	v_and_b32_e32 v168, 3, v102
	v_dual_ashrrev_i32 v108, s1, v108 :: v_dual_bitop2_b32 v170, 3, v111 bitop3:0x40
	s_delay_alu instid0(VALU_DEP_4) | instskip(SKIP_4) | instid1(VALU_DEP_4)
	v_add3_u32 v72, v169, v171, v72
	v_and_b32_e32 v169, 3, v117
	v_dual_add_nc_u32 v165, v1, v142 :: v_dual_bitop2_b32 v171, 3, v125 bitop3:0x40
	v_add_nc_u32_e32 v167, v4, v140
	v_mul_i32_i24_e32 v170, v170, v1
	v_mul_i32_i24_e32 v169, v169, v1
	s_delay_alu instid0(VALU_DEP_4)
	v_mul_i32_i24_e32 v1, v171, v1
	v_bfe_u32 v171, v111, 8, 2
	v_mul_i32_i24_e32 v168, v142, v168
	v_bfe_i32 v136, v0, 0, 8
	v_ashrrev_i32_e32 v110, s1, v110
	v_bfe_i32 v153, v2, 16, 8
	v_mad_i32_i24 v170, v171, v139, v170
	v_bfe_u32 v171, v117, 8, 2
	v_bfe_i32 v154, v2, 0, 8
	v_bfe_i32 v155, v2, 8, 8
	v_lshrrev_b16 v2, 8, v7
	v_add_nc_u32_e32 v0, v145, v138
	v_mad_i32_i24 v169, v171, v139, v169
	v_bfe_u32 v171, v125, 8, 2
	v_ashrrev_i32_e32 v116, s1, v116
	v_bfe_i32 v163, v2, 0, 8
	v_dual_add_nc_u32 v2, v144, v137 :: v_dual_add_nc_u32 v164, v5, v143
	v_add_nc_u32_e32 v166, v147, v141
	v_mad_i32_i24 v139, v171, v139, v1
	v_dual_lshrrev_b32 v171, 24, v111 :: v_dual_bitop2_b32 v1, 3, v104 bitop3:0x40
	v_bfe_u32 v111, v111, 16, 2
	v_bfe_i32 v148, v148, 0, 8
	v_ashrrev_i32_e32 v112, s1, v112
	s_delay_alu instid0(VALU_DEP_4) | instskip(SKIP_3) | instid1(VALU_DEP_4)
	v_mul_i32_i24_e32 v1, v1, v152
	v_and_b32_e32 v171, 3, v171
	v_mul_i32_i24_e32 v111, v111, v5
	v_dual_ashrrev_i32 v124, s1, v124 :: v_dual_ashrrev_i32 v118, s1, v118
	v_add3_u32 v103, v103, v1, v168
	v_and_b32_e32 v1, 3, v108
	v_bfe_u32 v168, v108, 8, 2
	v_bfe_i32 v158, v7, 16, 8
	v_bfe_i32 v159, v7, 0, 8
	v_lshrrev_b16 v7, 8, v132
	v_mul_i32_i24_e32 v1, v1, v140
	v_lshrrev_b32_e32 v172, 24, v104
	v_add3_u32 v164, v164, v151, v158
	v_add3_u32 v165, v165, v152, v159
	v_dual_ashrrev_i32 v122, s1, v122 :: v_dual_lshrrev_b32 v174, 24, v105
	v_mad_i32_i24 v1, v168, v3, v1
	v_lshrrev_b32_e32 v168, 24, v108
	v_bfe_u32 v108, v108, 16, 2
	v_dual_lshrrev_b32 v175, 24, v73 :: v_dual_ashrrev_i32 v119, s1, v119
	v_add3_u32 v167, v167, v154, v161
	s_delay_alu instid0(VALU_DEP_4) | instskip(NEXT) | instid1(VALU_DEP_4)
	v_and_b32_e32 v168, 3, v168
	v_mul_i32_i24_e32 v108, v108, v141
	s_wait_dscnt 0x1
	v_dual_ashrrev_i32 v121, s1, v121 :: v_dual_ashrrev_i32 v128, s1, v128
	v_ashrrev_i32_e32 v129, s1, v129
	v_mul_i32_i24_e32 v168, v168, v138
	v_ashrrev_i32_e32 v114, s1, v114
	v_lshrrev_b16 v176, 8, v76
	v_add3_u32 v166, v166, v153, v160
	s_add_co_i32 s20, s1, 2
	v_add3_u32 v108, v1, v108, v168
	v_ashrrev_i32_e32 v1, s1, v120
	v_mul_i32_i24_e32 v171, v171, v144
	v_and_b32_e32 v120, 3, v106
	s_cmp_lt_u32 s1, 6
	v_dual_ashrrev_i32 v127, s1, v127 :: v_dual_ashrrev_i32 v109, s1, v109
	s_delay_alu instid0(VALU_DEP_3) | instskip(SKIP_4) | instid1(VALU_DEP_4)
	v_add3_u32 v111, v170, v111, v171
	v_lshrrev_b32_e32 v170, 8, v106
	v_mul_i32_i24_e32 v120, v120, v4
	v_lshrrev_b16 v171, 8, v77
	v_dual_ashrrev_i32 v113, s1, v113 :: v_dual_ashrrev_i32 v115, s1, v115
	v_and_b32_e32 v168, 3, v170
	v_add3_u32 v170, v2, v150, v157
	v_bfe_u32 v2, v125, 16, 2
	v_lshrrev_b32_e32 v173, 16, v107
	v_ashrrev_i32_e32 v123, s1, v123
	v_mul_i32_i24_e32 v168, v168, v136
	v_add_nc_u32_e32 v71, 32, v71
	v_mul_i32_i24_e32 v2, v2, v5
	v_add_nc_u32_e32 v69, 4, v69
	s_delay_alu instid0(VALU_DEP_4) | instskip(SKIP_3) | instid1(VALU_DEP_3)
	v_add3_u32 v72, v72, v120, v168
	v_ashrrev_i32_e32 v120, s1, v126
	v_bfe_u32 v126, v117, 16, 2
	v_bfe_u32 v117, v117, 24, 2
	v_and_b32_e32 v168, 3, v120
	s_delay_alu instid0(VALU_DEP_3) | instskip(NEXT) | instid1(VALU_DEP_3)
	v_mul_i32_i24_e32 v126, v126, v5
	v_mul_i32_i24_e32 v117, v117, v144
	v_bfe_u32 v5, v125, 24, 2
	v_bfe_u32 v125, v120, 16, 2
	s_delay_alu instid0(VALU_DEP_3) | instskip(SKIP_1) | instid1(VALU_DEP_4)
	v_add3_u32 v117, v169, v126, v117
	v_and_b32_e32 v126, 3, v1
	v_mul_i32_i24_e32 v5, v5, v144
	v_add3_u32 v169, v6, v148, v163
	v_add3_u32 v6, v0, v149, v156
	v_bfe_u32 v0, v1, 16, 2
	v_mul_i32_i24_e32 v126, v126, v140
	v_add3_u32 v5, v139, v2, v5
	v_cvt_f32_f16_e64 v2, v135
	v_lshrrev_b32_e32 v135, 16, v135
	v_mul_i32_i24_e32 v140, v168, v140
	v_bfe_u32 v168, v1, 8, 2
	v_bfe_u32 v1, v1, 24, 2
	v_mul_i32_i24_e32 v125, v125, v141
	v_mul_i32_i24_e32 v0, v0, v141
	v_lshrrev_b32_e32 v144, 16, v73
	v_mad_i32_i24 v126, v168, v3, v126
	v_bfe_u32 v168, v120, 8, 2
	v_bfe_u32 v120, v120, 24, 2
	v_mul_i32_i24_e32 v1, v1, v138
	v_bfe_u32 v139, v105, 8, 2
	v_bfe_u32 v141, v77, 4, 4
	v_mad_i32_i24 v140, v168, v3, v140
	v_mul_i32_i24_e32 v120, v120, v138
	v_bfe_u32 v168, v132, 4, 4
	v_and_b32_e32 v132, 15, v132
	v_add3_u32 v126, v126, v0, v1
	v_add_nc_u32_e32 v3, v136, v3
	v_add3_u32 v120, v140, v125, v120
	v_and_b32_e32 v125, 3, v110
	v_and_b32_e32 v138, 3, v112
	;; [unrolled: 1-line block ×3, first 2 shown]
	v_add3_u32 v177, v3, v155, v162
	v_cvt_f32_f16_e64 v1, v134
	v_mul_i32_i24_e32 v125, v142, v125
	v_mul_i32_i24_e32 v138, v138, v152
	v_dual_lshrrev_b32 v134, 16, v134 :: v_dual_bitop2_b32 v144, 3, v144 bitop3:0x40
	v_cvt_f32_f16_e64 v3, v135
	v_bfe_u32 v135, v113, 8, 2
	s_delay_alu instid0(VALU_DEP_4)
	v_add3_u32 v111, v111, v138, v125
	v_bfe_u32 v125, v102, 8, 2
	v_bfe_u32 v138, v102, 16, 2
	v_cvt_f32_f16_e64 v0, v133
	v_lshrrev_b32_e32 v133, 16, v133
	v_mul_i32_i24_e32 v139, v139, v163
	v_mul_i32_i24_e32 v125, v146, v125
	;; [unrolled: 1-line block ×4, first 2 shown]
	v_and_b32_e32 v77, 15, v77
	v_and_b32_e32 v132, 0xffff, v132
	s_delay_alu instid0(VALU_DEP_4) | instskip(SKIP_1) | instid1(VALU_DEP_4)
	v_add3_u32 v103, v103, v125, v138
	v_dual_lshrrev_b32 v125, 8, v114 :: v_dual_bitop2_b32 v138, 3, v114 bitop3:0x40
	v_and_b32_e32 v77, 0xffff, v77
	s_delay_alu instid0(VALU_DEP_2) | instskip(NEXT) | instid1(VALU_DEP_3)
	v_and_b32_e32 v125, 3, v125
	v_mul_i32_i24_e32 v138, v138, v4
	s_delay_alu instid0(VALU_DEP_2) | instskip(NEXT) | instid1(VALU_DEP_1)
	v_mul_i32_i24_e32 v125, v125, v136
	v_add3_u32 v108, v108, v138, v125
	v_dual_lshrrev_b32 v125, 16, v106 :: v_dual_bitop2_b32 v138, 3, v105 bitop3:0x40
	s_delay_alu instid0(VALU_DEP_1) | instskip(NEXT) | instid1(VALU_DEP_1)
	v_dual_lshrrev_b32 v106, 24, v106 :: v_dual_bitop2_b32 v125, 3, v125 bitop3:0x40
	v_and_b32_e32 v106, 3, v106
	s_delay_alu instid0(VALU_DEP_2) | instskip(NEXT) | instid1(VALU_DEP_2)
	v_mul_i32_i24_e32 v125, v125, v147
	v_mul_i32_i24_e32 v106, v106, v145
	s_delay_alu instid0(VALU_DEP_1) | instskip(SKIP_2) | instid1(VALU_DEP_2)
	v_add3_u32 v72, v72, v125, v106
	v_and_b32_e32 v106, 3, v116
	v_and_b32_e32 v125, 3, v118
	v_mul_i32_i24_e32 v106, v142, v106
	s_delay_alu instid0(VALU_DEP_2) | instskip(NEXT) | instid1(VALU_DEP_1)
	v_mul_i32_i24_e32 v125, v125, v152
	v_add3_u32 v106, v117, v125, v106
	v_and_b32_e32 v117, 3, v121
	v_bfe_u32 v125, v121, 8, 2
	s_delay_alu instid0(VALU_DEP_2) | instskip(NEXT) | instid1(VALU_DEP_2)
	v_mul_i32_i24_e32 v117, v117, v4
	v_mul_i32_i24_e32 v125, v125, v136
	s_delay_alu instid0(VALU_DEP_1) | instskip(SKIP_2) | instid1(VALU_DEP_1)
	v_add3_u32 v117, v126, v117, v125
	s_wait_dscnt 0x0
	v_dual_ashrrev_i32 v125, s1, v130 :: v_dual_bitop2_b32 v126, 3, v124 bitop3:0x40
	v_and_b32_e32 v130, 3, v125
	s_delay_alu instid0(VALU_DEP_2)
	v_mul_i32_i24_e32 v126, v142, v126
	v_bfe_u32 v142, v73, 8, 2
	v_bfe_u32 v73, v76, 4, 4
	v_and_b32_e32 v76, 15, v76
	v_mul_i32_i24_e32 v130, v130, v152
	v_and_b32_e32 v152, 3, v127
	v_mul_i32_i24_e32 v142, v142, v162
	v_mul_lo_u32 v73, 0x1010101, v73
	v_and_b32_e32 v76, 0xffff, v76
	v_add3_u32 v126, v5, v130, v126
	v_mul_i32_i24_e32 v4, v152, v4
	v_bfe_u32 v152, v127, 8, 2
	v_bfe_u32 v5, v102, 24, 2
	v_dual_lshrrev_b32 v102, 8, v104 :: v_dual_lshrrev_b32 v130, 16, v105
	v_bfe_u32 v105, v121, 24, 2
	s_delay_alu instid0(VALU_DEP_4)
	v_mul_i32_i24_e32 v136, v152, v136
	v_lshrrev_b32_e32 v152, 16, v104
	v_mul_lo_u32 v104, 0x1010101, v168
	v_and_b32_e32 v102, 3, v102
	v_mul_i32_i24_e32 v5, v137, v5
	v_add3_u32 v120, v120, v4, v136
	v_mul_i32_i24_e32 v105, v105, v145
	v_and_b32_e32 v130, 3, v130
	v_mul_i32_i24_e32 v102, v102, v148
	v_bfe_i32 v4, v104, 0, 8
	v_bfe_i32 v136, v104, 8, 8
	s_delay_alu instid0(VALU_DEP_3) | instskip(SKIP_1) | instid1(VALU_DEP_4)
	v_add3_u32 v168, v103, v5, v102
	v_dual_lshrrev_b32 v5, 16, v114 :: v_dual_lshrrev_b32 v102, 24, v114
	v_mul_i32_i24_e32 v4, v165, v4
	v_bfe_u32 v103, v121, 16, 2
	v_and_b32_e32 v121, 3, v113
	s_delay_alu instid0(VALU_DEP_4)
	v_and_b32_e32 v5, 3, v5
	v_and_b32_e32 v102, 3, v102
	v_mad_i32_i24 v4, v169, v136, v4
	v_bfe_i32 v136, v104, 16, 8
	v_lshrrev_b32_e32 v104, 24, v104
	v_mul_i32_i24_e32 v103, v103, v147
	v_mul_i32_i24_e32 v5, v5, v147
	;; [unrolled: 1-line block ×5, first 2 shown]
	v_add3_u32 v117, v117, v103, v105
	v_bfe_u32 v103, v116, 8, 2
	v_bfe_u32 v105, v116, 16, 2
	v_add3_u32 v108, v108, v5, v102
	v_add3_u32 v104, v4, v136, v104
	v_bfe_u32 v4, v110, 8, 2
	v_bfe_u32 v136, v110, 16, 2
	v_mul_i32_i24_e32 v103, v103, v146
	v_mul_i32_i24_e32 v105, v105, v143
	v_bfe_u32 v102, v75, 4, 4
	v_mul_i32_i24_e32 v4, v146, v4
	v_mul_i32_i24_e32 v136, v143, v136
	v_bfe_u32 v110, v110, 24, 2
	v_add3_u32 v106, v106, v103, v105
	v_bfe_u32 v103, v127, 16, 2
	v_bfe_u32 v105, v127, 24, 2
	v_add3_u32 v111, v111, v4, v136
	v_dual_lshrrev_b32 v136, 8, v107 :: v_dual_bitop2_b32 v4, 3, v107 bitop3:0x40
	v_lshrrev_b32_e32 v107, 24, v107
	v_ashrrev_i32_e32 v131, s1, v131
	v_mul_lo_u32 v102, 0x1010101, v102
	s_delay_alu instid0(VALU_DEP_4)
	v_mul_i32_i24_e32 v4, v4, v154
	v_and_b32_e32 v5, 3, v136
	v_mul_i32_i24_e32 v103, v103, v147
	v_bfe_u32 v127, v124, 8, 2
	v_mul_i32_i24_e32 v105, v105, v145
	v_mul_i32_i24_e32 v110, v137, v110
	v_mul_i32_i24_e32 v5, v5, v155
	v_lshrrev_b32_e32 v147, 16, v115
	v_and_b32_e32 v107, 3, v107
	v_add3_u32 v120, v120, v103, v105
	v_bfe_u32 v103, v124, 16, 2
	v_add3_u32 v136, v72, v4, v5
	v_and_b32_e32 v72, 0xffff, v7
	v_mul_i32_i24_e32 v105, v127, v146
	v_and_b32_e32 v127, 3, v109
	v_mul_i32_i24_e32 v103, v103, v143
	s_delay_alu instid0(VALU_DEP_4) | instskip(SKIP_2) | instid1(VALU_DEP_4)
	v_dual_lshrrev_b32 v146, 16, v109 :: v_dual_lshrrev_b32 v72, 4, v72
	v_cvt_f32_f16_e64 v5, v134
	v_mul_lo_u32 v134, 0x1010101, v141
	v_add3_u32 v126, v126, v105, v103
	v_bfe_i32 v103, v102, 8, 8
	v_mul_lo_u32 v145, 0x1010101, v72
	v_bfe_i32 v72, v102, 0, 8
	v_dual_lshrrev_b32 v105, 8, v112 :: v_dual_lshrrev_b32 v141, 16, v113
	v_bfe_u32 v116, v116, 24, 2
	v_lshrrev_b32_e32 v113, 24, v113
	s_delay_alu instid0(VALU_DEP_4) | instskip(NEXT) | instid1(VALU_DEP_4)
	v_mul_i32_i24_e32 v72, v165, v72
	v_and_b32_e32 v105, 3, v105
	v_mul_i32_i24_e32 v107, v107, v149
	v_mul_i32_i24_e32 v116, v116, v137
	v_bfe_u32 v124, v124, 24, 2
	v_mad_i32_i24 v72, v169, v103, v72
	v_lshrrev_b32_e32 v103, 24, v102
	v_bfe_i32 v102, v102, 16, 8
	v_mul_i32_i24_e32 v105, v105, v148
	v_bfe_u32 v143, v109, 8, 2
	v_lshrrev_b32_e32 v109, 24, v109
	v_mul_i32_i24_e32 v103, v170, v103
	v_mul_i32_i24_e32 v102, v164, v102
	v_add3_u32 v105, v111, v110, v105
	v_dual_lshrrev_b32 v110, 16, v112 :: v_dual_lshrrev_b32 v111, 24, v112
	v_and_b32_e32 v112, 3, v115
	s_delay_alu instid0(VALU_DEP_4)
	v_add3_u32 v72, v72, v102, v103
	v_bfe_i32 v102, v73, 0, 8
	v_bfe_i32 v103, v73, 8, 8
	v_mul_i32_i24_e32 v124, v124, v137
	v_mul_i32_i24_e32 v112, v112, v154
	v_and_b32_e32 v137, 3, v128
	v_mul_i32_i24_e32 v102, v165, v102
	v_mul_i32_i24_e32 v121, v121, v159
	;; [unrolled: 1-line block ×3, first 2 shown]
	v_and_b32_e32 v147, 3, v147
	v_mul_i32_i24_e32 v137, v137, v154
	v_mad_i32_i24 v102, v169, v103, v102
	v_bfe_i32 v103, v73, 16, 8
	v_lshrrev_b32_e32 v73, 24, v73
	v_cvt_f32_f16_e64 v4, v133
	v_and_b32_e32 v133, 0xffff, v171
	v_lshrrev_b16 v114, 8, v75
	v_mul_i32_i24_e32 v103, v164, v103
	v_mul_i32_i24_e32 v73, v170, v73
	s_delay_alu instid0(VALU_DEP_4) | instskip(SKIP_2) | instid1(VALU_DEP_4)
	v_dual_lshrrev_b32 v133, 4, v133 :: v_dual_bitop2_b32 v111, 3, v111 bitop3:0x40
	v_and_b32_e32 v110, 3, v110
	v_mul_i32_i24_e32 v143, v143, v162
	v_add3_u32 v73, v102, v103, v73
	v_bfe_i32 v102, v145, 0, 8
	v_bfe_i32 v103, v145, 8, 8
	v_mul_lo_u32 v133, 0x1010101, v133
	v_mul_i32_i24_e32 v110, v110, v151
	v_and_b32_e32 v146, 3, v146
	v_mul_i32_i24_e32 v102, v167, v102
	v_mul_i32_i24_e32 v103, v177, v103
	v_and_b32_e32 v7, 15, v7
	v_and_b32_e32 v75, 15, v75
	;; [unrolled: 1-line block ×3, first 2 shown]
	s_mov_b32 s1, s20
	v_add3_u32 v102, v104, v102, v103
	v_mul_i32_i24_e32 v103, v138, v159
	v_mul_i32_i24_e32 v104, v140, v161
	v_and_b32_e32 v138, 3, v152
	v_and_b32_e32 v140, 3, v172
	v_dual_lshrrev_b32 v172, 8, v118 :: v_dual_bitop2_b32 v152, 3, v173 bitop3:0x40
	v_cvt_f32_f16_e64 v173, v74
	s_delay_alu instid0(VALU_DEP_4) | instskip(NEXT) | instid1(VALU_DEP_4)
	v_mul_i32_i24_e32 v138, v138, v151
	v_mul_i32_i24_e32 v140, v140, v150
	s_delay_alu instid0(VALU_DEP_4) | instskip(SKIP_2) | instid1(VALU_DEP_4)
	v_dual_lshrrev_b32 v74, 16, v74 :: v_dual_bitop2_b32 v172, 3, v172 bitop3:0x40
	v_mul_i32_i24_e32 v144, v144, v160
	v_and_b32_e32 v75, 0xffff, v75
	v_add3_u32 v138, v168, v138, v140
	v_dual_lshrrev_b32 v140, 8, v115 :: v_dual_lshrrev_b32 v115, 24, v115
	v_mul_i32_i24_e32 v152, v152, v153
	v_and_b32_e32 v168, 3, v175
	v_mul_i32_i24_e32 v172, v172, v148
	s_delay_alu instid0(VALU_DEP_4)
	v_and_b32_e32 v140, 3, v140
	v_and_b32_e32 v115, 3, v115
	v_add3_u32 v107, v136, v152, v107
	v_lshrrev_b32_e32 v152, 8, v122
	v_add3_u32 v106, v106, v116, v172
	v_dual_lshrrev_b32 v172, 16, v122 :: v_dual_bitop2_b32 v116, 3, v122 bitop3:0x40
	s_delay_alu instid0(VALU_DEP_3) | instskip(SKIP_1) | instid1(VALU_DEP_3)
	v_dual_lshrrev_b32 v122, 24, v122 :: v_dual_bitop2_b32 v152, 3, v152 bitop3:0x40
	v_mul_i32_i24_e32 v140, v140, v155
	v_mul_i32_i24_e32 v116, v116, v154
	s_delay_alu instid0(VALU_DEP_3) | instskip(NEXT) | instid1(VALU_DEP_4)
	v_dual_lshrrev_b32 v154, 8, v123 :: v_dual_bitop2_b32 v122, 3, v122 bitop3:0x40
	v_mul_i32_i24_e32 v152, v152, v155
	s_delay_alu instid0(VALU_DEP_4)
	v_add3_u32 v108, v108, v112, v140
	v_and_b32_e32 v140, 3, v174
	v_mul_i32_i24_e32 v115, v115, v149
	v_mul_i32_i24_e32 v122, v122, v149
	v_add3_u32 v116, v117, v116, v152
	v_dual_lshrrev_b32 v152, 8, v125 :: v_dual_lshrrev_b32 v117, 16, v118
	v_lshrrev_b32_e32 v118, 24, v118
	v_and_b32_e32 v112, 0xffff, v114
	v_and_b32_e32 v172, 3, v172
	s_delay_alu instid0(VALU_DEP_4)
	v_and_b32_e32 v152, 3, v152
	v_and_b32_e32 v154, 3, v154
	;; [unrolled: 1-line block ×5, first 2 shown]
	v_mul_i32_i24_e32 v148, v152, v148
	v_lshrrev_b32_e32 v152, 8, v128
	v_mul_i32_i24_e32 v118, v118, v150
	v_mul_i32_i24_e32 v154, v154, v162
	v_lshrrev_b32_e32 v112, 4, v112
	v_add3_u32 v124, v126, v124, v148
	v_and_b32_e32 v152, 3, v152
	v_and_b32_e32 v126, 3, v123
	v_dual_lshrrev_b32 v136, 4, v136 :: v_dual_bitop2_b32 v148, 3, v119 bitop3:0x40
	v_mul_lo_u32 v112, 0x1010101, v112
	s_delay_alu instid0(VALU_DEP_4)
	v_mul_i32_i24_e32 v152, v152, v155
	v_and_b32_e32 v155, 3, v131
	v_and_b32_e32 v141, 3, v141
	v_mul_i32_i24_e32 v130, v130, v158
	v_cvt_f32_f16_e32 v74, v74
	v_add3_u32 v120, v120, v137, v152
	v_dual_lshrrev_b32 v137, 8, v119 :: v_dual_bitop2_b32 v152, 3, v129 bitop3:0x40
	v_mul_i32_i24_e32 v148, v148, v159
	v_mul_i32_i24_e32 v155, v155, v159
	v_lshrrev_b32_e32 v159, 16, v125
	v_mul_i32_i24_e32 v126, v126, v161
	v_mul_i32_i24_e32 v152, v152, v161
	v_dual_lshrrev_b32 v161, 16, v128 :: v_dual_lshrrev_b32 v128, 24, v128
	s_delay_alu instid0(VALU_DEP_4) | instskip(SKIP_1) | instid1(VALU_DEP_3)
	v_dual_lshrrev_b32 v125, 24, v125 :: v_dual_bitop2_b32 v159, 3, v159 bitop3:0x40
	v_mul_i32_i24_e32 v147, v147, v153
	v_and_b32_e32 v161, 3, v161
	s_delay_alu instid0(VALU_DEP_4)
	v_and_b32_e32 v128, 3, v128
	v_and_b32_e32 v137, 3, v137
	;; [unrolled: 1-line block ×4, first 2 shown]
	v_mul_i32_i24_e32 v141, v141, v158
	v_mul_i32_i24_e32 v128, v128, v149
	v_lshrrev_b32_e32 v149, 8, v129
	v_mul_i32_i24_e32 v111, v111, v150
	v_mul_i32_i24_e32 v125, v125, v150
	v_lshrrev_b32_e32 v150, 8, v131
	v_mul_i32_i24_e32 v172, v172, v153
	v_and_b32_e32 v149, 3, v149
	v_mul_i32_i24_e32 v137, v137, v163
	v_mul_i32_i24_e32 v168, v168, v156
	v_and_b32_e32 v150, 3, v150
	v_mul_i32_i24_e32 v109, v109, v156
	v_mul_i32_i24_e32 v149, v149, v162
	v_lshrrev_b32_e32 v162, 16, v131
	v_mul_i32_i24_e32 v153, v161, v153
	v_dual_lshrrev_b32 v161, 16, v119 :: v_dual_lshrrev_b32 v119, 24, v119
	v_mul_i32_i24_e32 v117, v117, v151
	v_mul_i32_i24_e32 v151, v159, v151
	v_dual_lshrrev_b32 v159, 16, v123 :: v_dual_lshrrev_b32 v123, 24, v123
	v_mul_i32_i24_e32 v150, v150, v163
	v_dual_lshrrev_b32 v163, 16, v129 :: v_dual_lshrrev_b32 v129, 24, v129
	v_and_b32_e32 v161, 3, v161
	v_dual_lshrrev_b32 v131, 24, v131 :: v_dual_bitop2_b32 v162, 3, v162 bitop3:0x40
	v_and_b32_e32 v123, 3, v123
	s_delay_alu instid0(VALU_DEP_4) | instskip(NEXT) | instid1(VALU_DEP_4)
	v_and_b32_e32 v129, 3, v129
	v_mul_i32_i24_e32 v161, v161, v158
	s_delay_alu instid0(VALU_DEP_4)
	v_mul_i32_i24_e32 v158, v162, v158
	v_lshrrev_b16 v162, 8, v134
	v_and_b32_e32 v159, 3, v159
	v_and_b32_e32 v119, 3, v119
	;; [unrolled: 1-line block ×4, first 2 shown]
	v_mul_lo_u32 v136, 0x1010101, v136
	v_and_b32_e32 v113, 3, v113
	v_mul_i32_i24_e32 v123, v123, v156
	v_mul_i32_i24_e32 v129, v129, v156
	v_bfe_i32 v156, v162, 0, 8
	v_lshrrev_b32_e32 v162, 24, v133
	v_mul_i32_i24_e32 v140, v140, v157
	v_mul_i32_i24_e32 v113, v113, v157
	;; [unrolled: 1-line block ×5, first 2 shown]
	v_bfe_i32 v157, v134, 16, 8
	v_mul_i32_i24_e32 v162, v6, v162
	v_and_b32_e32 v175, 0xffff, v7
	v_lshrrev_b32_e32 v7, 24, v145
	v_mul_i32_i24_e32 v146, v146, v160
	v_mul_i32_i24_e32 v160, v163, v160
	v_bfe_i32 v163, v134, 0, 8
	v_lshrrev_b32_e32 v134, 24, v134
	v_mul_i32_i24_e32 v156, v169, v156
	v_bfe_i32 v169, v133, 8, 8
	v_mul_i32_i24_e32 v7, v6, v7
	v_add3_u32 v106, v106, v117, v118
	v_mad_i32_i24 v134, v170, v134, v162
	v_bfe_i32 v170, v133, 16, 8
	v_bfe_i32 v133, v133, 0, 8
	v_bfe_i32 v162, v145, 16, 8
	v_add3_u32 v106, v106, v148, v137
	v_add3_u32 v103, v138, v103, v139
	v_mul_i32_i24_e32 v170, v166, v170
	v_mul_i32_i24_e32 v133, v167, v133
	;; [unrolled: 1-line block ×3, first 2 shown]
	v_add3_u32 v104, v107, v104, v142
	v_add3_u32 v107, v116, v172, v122
	v_mad_i32_i24 v157, v164, v157, v170
	v_bfe_i32 v164, v112, 16, 8
	v_bfe_i32 v170, v136, 16, 8
	v_mad_i32_i24 v133, v165, v163, v133
	v_bfe_i32 v163, v112, 0, 8
	v_bfe_i32 v165, v136, 0, 8
	v_mul_i32_i24_e32 v164, v166, v164
	v_mul_i32_i24_e32 v166, v166, v170
	v_bfe_i32 v170, v112, 8, 8
	v_mul_i32_i24_e32 v163, v167, v163
	v_mul_i32_i24_e32 v165, v167, v165
	v_bfe_i32 v167, v136, 8, 8
	v_lshrrev_b32_e32 v112, 24, v112
	v_mul_i32_i24_e32 v170, v177, v170
	v_lshrrev_b32_e32 v136, 24, v136
	v_add3_u32 v7, v102, v162, v7
	v_mul_i32_i24_e32 v167, v177, v167
	v_mul_i32_i24_e32 v112, v6, v112
	v_add3_u32 v72, v72, v163, v170
	v_add3_u32 v102, v105, v110, v111
	;; [unrolled: 1-line block ×3, first 2 shown]
	v_mul_i32_i24_e32 v6, v6, v136
	v_add3_u32 v73, v73, v165, v167
	v_add3_u32 v72, v72, v164, v112
	;; [unrolled: 1-line block ×6, first 2 shown]
	v_cvt_f32_i32_e32 v6, v7
	v_cvt_f32_i32_e32 v7, v72
	v_add3_u32 v72, v110, v158, v131
	v_add3_u32 v108, v120, v153, v128
	v_cvt_f32_i32_e32 v110, v73
	v_add3_u32 v73, v102, v141, v113
	v_add3_u32 v102, v106, v161, v119
	v_mul_lo_u32 v72, v72, v77
	v_add3_u32 v103, v103, v130, v140
	v_add3_u32 v108, v108, v152, v149
	v_and_b32_e32 v174, 15, v176
	v_mul_lo_u32 v76, v102, v76
	v_and_b32_e32 v171, 0xffff, v171
	v_add3_u32 v107, v107, v126, v154
	v_mul_lo_u32 v77, v103, v132
	v_add3_u32 v103, v108, v160, v129
	v_mul_i32_i24_e32 v169, v177, v169
	v_mul_lo_u32 v75, v73, v75
	v_and_b32_e32 v114, 15, v114
	v_and_b32_e32 v174, 0xffff, v174
	v_add3_u32 v105, v105, v127, v143
	v_add3_u32 v102, v107, v159, v123
	v_mad_u32 v72, v103, v171, v72
	v_add3_u32 v111, v156, v169, v134
	v_and_b32_e32 v114, 0xffff, v114
	v_add3_u32 v104, v104, v144, v168
	v_add3_u32 v103, v105, v146, v109
	v_mad_u32 v76, v102, v174, v76
	v_add3_u32 v111, v133, v157, v111
	v_pk_mul_f32 v[4:5], v[4:5], v[6:7]
	v_mad_u32 v77, v104, v175, v77
	v_mad_u32 v75, v103, v114, v75
	v_mul_f32_e32 v6, v74, v110
	v_cvt_f32_i32_e32 v73, v111
	v_cvt_f32_i32_e32 v72, v72
	;; [unrolled: 1-line block ×3, first 2 shown]
	s_delay_alu instid0(VALU_DEP_2) | instskip(SKIP_2) | instid1(VALU_DEP_3)
	v_pk_mul_f32 v[2:3], v[2:3], v[72:73]
	v_cvt_f32_i32_e32 v72, v77
	v_cvt_f32_i32_e32 v73, v75
	v_dual_mul_f32 v74, v173, v7 :: v_dual_mov_b32 v75, v2
	s_delay_alu instid0(VALU_DEP_4) | instskip(NEXT) | instid1(VALU_DEP_3)
	v_mov_b32_e32 v7, v3
	v_pk_fma_f32 v[0:1], v[0:1], v[72:73], v[4:5] neg_lo:[0,0,1] neg_hi:[0,0,1]
	s_delay_alu instid0(VALU_DEP_2) | instskip(NEXT) | instid1(VALU_DEP_2)
	v_pk_add_f32 v[2:3], v[74:75], v[6:7] neg_lo:[0,1] neg_hi:[0,1]
	v_pk_fma_f32 v[16:17], v[70:71], v[0:1], v[16:17] op_sel_hi:[0,1,1]
	s_delay_alu instid0(VALU_DEP_2)
	v_pk_fma_f32 v[14:15], v[70:71], v[2:3], v[14:15] op_sel_hi:[0,1,1]
	s_cbranch_scc1 .LBB228_11
; %bb.12:                               ;   in Loop: Header=BB228_5 Depth=1
	s_or_b32 s1, s18, 0x80
	s_delay_alu instid0(SALU_CYCLE_1)
	s_cmp_ge_i32 s1, s5
	s_barrier_signal -1
	s_barrier_wait -1
	s_cbranch_scc1 .LBB228_4
; %bb.13:                               ;   in Loop: Header=BB228_5 Depth=1
	v_add_nc_u32_e32 v0, s19, v86
	s_delay_alu instid0(VALU_DEP_1) | instskip(SKIP_1) | instid1(SALU_CYCLE_1)
	v_cmp_gt_i32_e64 s1, s6, v0
	s_and_b32 s20, s0, s1
	s_and_saveexec_b32 s1, s20
	s_cbranch_execz .LBB228_15
; %bb.14:                               ;   in Loop: Header=BB228_5 Depth=1
	v_add_nc_u32_e32 v0, v18, v0
	s_delay_alu instid0(VALU_DEP_1)
	v_mad_nc_i64_i32 v[0:1], v0, 36, v[20:21]
	global_load_b32 v0, v[0:1], off offset:4
	s_wait_loadcnt 0x0
	ds_store_b32 v67, v0
.LBB228_15:                             ;   in Loop: Header=BB228_5 Depth=1
	s_or_b32 exec_lo, exec_lo, s1
	s_and_saveexec_b32 s20, vcc_lo
	s_cbranch_execz .LBB228_18
; %bb.16:                               ;   in Loop: Header=BB228_5 Depth=1
	v_or_b32_e32 v0, 4, v68
	s_delay_alu instid0(VALU_DEP_1) | instskip(SKIP_1) | instid1(SALU_CYCLE_1)
	v_cmp_gt_i32_e64 s1, s6, v0
	s_and_b32 s1, s0, s1
	s_and_b32 exec_lo, exec_lo, s1
	s_cbranch_execz .LBB228_18
; %bb.17:                               ;   in Loop: Header=BB228_5 Depth=1
	v_ashrrev_i32_e32 v69, 31, v68
	s_delay_alu instid0(VALU_DEP_1) | instskip(NEXT) | instid1(VALU_DEP_1)
	v_add_nc_u64_e32 v[0:1], v[18:19], v[68:69]
	v_mad_nc_u64_u32 v[2:3], v0, 36, s[2:3]
	s_delay_alu instid0(VALU_DEP_1)
	v_mad_i32_i24 v3, v1, 36, v3
	global_load_b32 v0, v[2:3], off offset:144
	s_wait_loadcnt 0x0
	v_cvt_f32_f16_e32 v0, v0
	ds_store_b32 v85, v0
.LBB228_18:                             ;   in Loop: Header=BB228_5 Depth=1
	s_or_b32 exec_lo, exec_lo, s20
	v_dual_mov_b32 v69, v61 :: v_dual_mov_b32 v71, v78
	s_mov_b32 s1, 8
	s_wait_dscnt 0x0
	s_barrier_signal -1
	s_barrier_wait -1
.LBB228_19:                             ;   Parent Loop BB228_5 Depth=1
                                        ; =>  This Inner Loop Header: Depth=2
	s_and_b32 s22, s1, 0x3ffffff8
	ds_load_b32 v70, v71
	ds_load_b128 v[4:7], v69
	ds_load_b128 v[0:3], v69 offset:16
	v_lshl_add_u32 v102, s22, 2, v89
	s_lshr_b32 s23, s1, 2
	s_and_b32 s21, s1, -16
	s_and_b32 s22, s23, 0x3ffffffc
	s_add_co_i32 s21, s1, s21
	ds_load_2addr_b32 v[72:73], v102 offset0:4 offset1:7
	s_addk_co_i32 s22, 0x5280
	v_dual_add_nc_u32 v103, s21, v47 :: v_dual_add_nc_u32 v104, s21, v49
	v_dual_add_nc_u32 v105, s21, v51 :: v_dual_add_nc_u32 v108, s21, v53
	v_add3_u32 v109, s22, v101, v90
	v_add3_u32 v110, s22, v91, v92
	;; [unrolled: 1-line block ×4, first 2 shown]
	v_add_nc_u32_e32 v113, 0x1080, v102
	v_add_nc_u32_e32 v114, 0x1088, v102
	;; [unrolled: 1-line block ×12, first 2 shown]
	ds_load_2addr_b32 v[76:77], v102 offset1:1
	ds_load_2addr_b32 v[74:75], v102 offset0:2 offset1:3
	ds_load_2addr_b32 v[106:107], v102 offset0:5 offset1:6
	ds_load_u16 v132, v103 offset:16896
	ds_load_u16 v133, v108 offset:19968
	ds_load_u16 v134, v104 offset:17920
	ds_load_u16 v105, v105 offset:18944
	ds_load_b32 v135, v109
	ds_load_b32 v136, v110
	ds_load_b32 v137, v111
	ds_load_b32 v138, v112
	ds_load_2addr_b32 v[108:109], v115 offset0:36 offset1:39
	ds_load_2addr_b32 v[110:111], v113 offset1:1
	ds_load_2addr_b32 v[112:113], v114 offset1:1
	;; [unrolled: 1-line block ×11, first 2 shown]
	s_wait_dscnt 0x18
	v_lshrrev_b16 v139, 8, v0
	v_dual_ashrrev_i32 v140, 24, v4 :: v_dual_ashrrev_i32 v147, 24, v5
	v_dual_ashrrev_i32 v141, 24, v0 :: v_dual_ashrrev_i32 v148, 24, v1
	v_bfe_i32 v142, v5, 8, 8
	v_bfe_i32 v143, v0, 0, 8
	;; [unrolled: 1-line block ×5, first 2 shown]
	v_lshrrev_b16 v0, 8, v1
	v_bfe_i32 v149, v4, 8, 8
	v_bfe_i32 v150, v1, 0, 8
	;; [unrolled: 1-line block ×5, first 2 shown]
	v_lshrrev_b16 v1, 8, v6
	v_dual_ashrrev_i32 v154, 24, v2 :: v_dual_ashrrev_i32 v102, 24, v3
	v_bfe_i32 v158, v2, 16, 8
	v_bfe_i32 v159, v2, 0, 8
	;; [unrolled: 1-line block ×3, first 2 shown]
	v_lshrrev_b16 v2, 8, v7
	s_add_co_i32 s20, s1, -8
	v_dual_ashrrev_i32 v155, 24, v6 :: v_dual_ashrrev_i32 v103, 24, v7
	v_bfe_i32 v156, v6, 16, 8
	v_bfe_i32 v157, v6, 0, 8
	;; [unrolled: 1-line block ×10, first 2 shown]
	v_dual_add_nc_u32 v0, v148, v141 :: v_dual_add_nc_u32 v1, v147, v140
	v_dual_add_nc_u32 v2, v153, v146 :: v_dual_add_nc_u32 v3, v152, v145
	;; [unrolled: 1-line block ×3, first 2 shown]
	s_wait_dscnt 0x16
	v_dual_add_nc_u32 v6, v149, v142 :: v_dual_ashrrev_i32 v76, s20, v76
	s_wait_dscnt 0x15
	v_dual_ashrrev_i32 v77, s20, v77 :: v_dual_ashrrev_i32 v75, s20, v75
	v_dual_ashrrev_i32 v72, s20, v72 :: v_dual_ashrrev_i32 v73, s20, v73
	v_bfe_i32 v139, v139, 0, 8
	s_wait_dscnt 0x11
	v_lshrrev_b16 v171, 8, v134
	v_bfe_u32 v172, v134, 4, 4
	v_and_b32_e32 v134, 15, v134
	s_wait_dscnt 0x10
	v_lshrrev_b16 v173, 8, v105
	v_bfe_u32 v174, v105, 4, 4
	v_and_b32_e32 v105, 15, v105
	v_add3_u32 v176, v6, v165, v166
	v_add3_u32 v177, v1, v155, v103
	;; [unrolled: 1-line block ×6, first 2 shown]
	s_wait_dscnt 0xd
	v_cvt_f32_f16_e64 v6, v137
	v_lshrrev_b32_e32 v3, 16, v137
	v_cvt_f32_f16_e64 v1, v136
	v_cvt_f32_f16_e64 v0, v135
	v_dual_lshrrev_b32 v4, 16, v136 :: v_dual_lshrrev_b32 v135, 16, v135
	s_wait_dscnt 0xc
	v_lshrrev_b32_e32 v136, 16, v138
	v_cvt_f32_f16_e64 v2, v138
	v_and_b32_e32 v137, 3, v77
	v_bfe_u32 v138, v77, 8, 2
	v_bfe_u32 v183, v77, 16, 2
	v_dual_lshrrev_b32 v77, 24, v77 :: v_dual_bitop2_b32 v187, 3, v72 bitop3:0x40
	v_bfe_u32 v188, v72, 8, 2
	v_bfe_u32 v189, v72, 16, 2
	v_dual_lshrrev_b32 v72, 24, v72 :: v_dual_ashrrev_i32 v74, s20, v74
	v_ashrrev_i32_e32 v107, s20, v107
	v_dual_lshrrev_b32 v186, 16, v75 :: v_dual_bitop2_b32 v184, 3, v75 bitop3:0x40
	v_bfe_u32 v185, v75, 8, 2
	s_wait_dscnt 0x9
	v_dual_ashrrev_i32 v113, s20, v113 :: v_dual_ashrrev_i32 v108, s20, v108
	s_wait_dscnt 0x5
	v_dual_ashrrev_i32 v117, s20, v117 :: v_dual_ashrrev_i32 v120, s20, v120
	;; [unrolled: 2-line block ×3, first 2 shown]
	v_dual_lshrrev_b32 v75, 24, v75 :: v_dual_ashrrev_i32 v122, s20, v122
	v_dual_ashrrev_i32 v118, s20, v118 :: v_dual_ashrrev_i32 v123, s20, v123
	v_mul_i32_i24_e32 v137, v137, v152
	v_mul_i32_i24_e32 v188, v188, v139
	v_and_b32_e32 v77, 3, v77
	v_dual_ashrrev_i32 v106, s20, v106 :: v_dual_bitop2_b32 v72, 3, v72 bitop3:0x40
	v_dual_ashrrev_i32 v110, s20, v110 :: v_dual_ashrrev_i32 v111, s20, v111
	v_lshrrev_b16 v167, 8, v132
	v_dual_ashrrev_i32 v109, s20, v109 :: v_dual_ashrrev_i32 v116, s20, v116
	v_dual_lshrrev_b32 v198, 16, v74 :: v_dual_bitop2_b32 v196, 3, v74 bitop3:0x40
	v_dual_ashrrev_i32 v114, s20, v114 :: v_dual_bitop2_b32 v202, 3, v107 bitop3:0x40
	v_and_b32_e32 v214, 3, v108
	v_and_b32_e32 v226, 3, v120
	;; [unrolled: 1-line block ×3, first 2 shown]
	v_mad_i32_i24 v137, v138, v142, v137
	v_mul_i32_i24_e32 v183, v183, v153
	v_mul_i32_i24_e32 v77, v77, v147
	v_mad_i32_i24 v187, v187, v143, v188
	v_mul_i32_i24_e32 v189, v189, v144
	v_mul_i32_i24_e32 v72, v72, v141
	v_bfe_u32 v168, v132, 4, 4
	v_and_b32_e32 v132, 15, v132
	v_bfe_u32 v170, v133, 4, 4
	v_add3_u32 v179, v5, v159, v162
	v_dual_ashrrev_i32 v121, s20, v121 :: v_dual_ashrrev_i32 v124, s20, v124
	v_dual_ashrrev_i32 v127, s20, v127 :: v_dual_ashrrev_i32 v112, s20, v112
	v_dual_lshrrev_b32 v197, 8, v74 :: v_dual_bitop2_b32 v193, 3, v76 bitop3:0x40
	v_dual_lshrrev_b32 v74, 24, v74 :: v_dual_ashrrev_i32 v115, s20, v115
	v_dual_lshrrev_b32 v200, 8, v106 :: v_dual_bitop2_b32 v199, 3, v106 bitop3:0x40
	v_and_b32_e32 v207, 0xffff, v171
	v_and_b32_e32 v171, 15, v171
	v_cvt_f32_f16_e32 v5, v4
	v_cvt_f32_f16_e64 v4, v135
	v_dual_lshrrev_b32 v219, 16, v109 :: v_dual_bitop2_b32 v135, 3, v111 bitop3:0x40
	v_bfe_u32 v215, v108, 8, 2
	v_bfe_u32 v216, v108, 16, 2
	v_dual_lshrrev_b32 v108, 24, v108 :: v_dual_bitop2_b32 v223, 3, v117 bitop3:0x40
	v_dual_ashrrev_i32 v119, s20, v119 :: v_dual_bitop2_b32 v235, 3, v125 bitop3:0x40
	s_wait_dscnt 0x1
	v_ashrrev_i32_e32 v128, s20, v128
	v_and_b32_e32 v205, 0xffff, v167
	v_dual_lshrrev_b32 v213, 16, v113 :: v_dual_bitop2_b32 v167, 15, v167 bitop3:0x40
	v_dual_lshrrev_b32 v138, 8, v112 :: v_dual_bitop2_b32 v211, 3, v113 bitop3:0x40
	v_bfe_u32 v212, v113, 8, 2
	v_and_b32_e32 v220, 3, v116
	v_bfe_u32 v227, v120, 8, 2
	v_bfe_u32 v239, v126, 8, 2
	v_add3_u32 v77, v137, v183, v77
	v_and_b32_e32 v183, 3, v198
	v_dual_lshrrev_b32 v188, 8, v114 :: v_dual_bitop2_b32 v198, 3, v114 bitop3:0x40
	v_add3_u32 v72, v187, v189, v72
	v_dual_lshrrev_b32 v187, 16, v114 :: v_dual_lshrrev_b32 v114, 24, v114
	v_lshrrev_b32_e32 v113, 24, v113
	v_mul_i32_i24_e32 v214, v214, v143
	v_mul_i32_i24_e32 v226, v226, v143
	;; [unrolled: 1-line block ×3, first 2 shown]
	v_lshrrev_b16 v169, 8, v133
	v_dual_lshrrev_b32 v192, 16, v73 :: v_dual_bitop2_b32 v190, 3, v73 bitop3:0x40
	v_bfe_u32 v191, v73, 8, 2
	v_bfe_u32 v194, v76, 8, 2
	;; [unrolled: 1-line block ×4, first 2 shown]
	v_dual_lshrrev_b32 v201, 16, v106 :: v_dual_lshrrev_b32 v106, 24, v106
	v_dual_lshrrev_b32 v203, 8, v107 :: v_dual_lshrrev_b32 v204, 16, v107
	;; [unrolled: 1-line block ×3, first 2 shown]
	s_wait_dscnt 0x0
	v_dual_ashrrev_i32 v130, s20, v130 :: v_dual_ashrrev_i32 v129, s20, v129
	v_ashrrev_i32_e32 v131, s20, v131
	v_mul_lo_u32 v170, 0x1010101, v170
	v_and_b32_e32 v208, 0xffff, v173
	v_and_b32_e32 v173, 15, v173
	v_cvt_f32_f16_e64 v209, v3
	v_cvt_f32_f16_e64 v3, v136
	v_bfe_u32 v136, v111, 8, 2
	v_bfe_u32 v210, v111, 16, 2
	v_dual_lshrrev_b32 v111, 24, v111 :: v_dual_bitop2_b32 v217, 3, v109 bitop3:0x40
	v_lshrrev_b32_e32 v137, 16, v112
	v_bfe_u32 v221, v116, 8, 2
	v_bfe_u32 v222, v116, 16, 2
	;; [unrolled: 1-line block ×8, first 2 shown]
	v_and_b32_e32 v232, 3, v124
	v_bfe_u32 v233, v124, 8, 2
	v_bfe_u32 v234, v124, 16, 2
	;; [unrolled: 1-line block ×8, first 2 shown]
	v_and_b32_e32 v244, 3, v110
	v_bfe_u32 v245, v110, 8, 2
	v_bfe_u32 v246, v110, 24, 2
	;; [unrolled: 1-line block ×3, first 2 shown]
	v_dual_lshrrev_b32 v238, 8, v118 :: v_dual_bitop2_b32 v247, 3, v112 bitop3:0x40
	v_lshrrev_b32_e32 v112, 24, v112
	v_and_b32_e32 v200, 3, v200
	v_mul_i32_i24_e32 v135, v135, v152
	v_mul_i32_i24_e32 v223, v223, v152
	;; [unrolled: 1-line block ×3, first 2 shown]
	v_and_b32_e32 v108, 3, v108
	v_dual_add_nc_u32 v175, v164, v139 :: v_dual_bitop2_b32 v133, 15, v133 bitop3:0x40
	v_mul_lo_u32 v168, 0x1010101, v168
	v_mul_lo_u32 v172, 0x1010101, v172
	v_mad_i32_i24 v214, v215, v139, v214
	v_mad_i32_i24 v226, v227, v139, v226
	;; [unrolled: 1-line block ×3, first 2 shown]
	v_dual_lshrrev_b32 v205, 4, v205 :: v_dual_bitop2_b32 v239, 3, v119 bitop3:0x40
	v_and_b32_e32 v206, 0xffff, v169
	v_and_b32_e32 v169, 15, v169
	v_mul_lo_u32 v174, 0x1010101, v174
	v_dual_lshrrev_b32 v235, 8, v115 :: v_dual_bitop2_b32 v229, 3, v121 bitop3:0x40
	v_bfe_u32 v230, v121, 8, 2
	v_and_b32_e32 v241, 3, v127
	v_bfe_u32 v242, v127, 8, 2
	v_dual_lshrrev_b32 v215, 16, v122 :: v_dual_bitop2_b32 v197, 3, v197 bitop3:0x40
	v_mul_i32_i24_e32 v193, v145, v193
	v_mul_i32_i24_e32 v76, v146, v76
	;; [unrolled: 1-line block ×4, first 2 shown]
	v_and_b32_e32 v189, 3, v201
	v_and_b32_e32 v106, 3, v106
	v_and_b32_e32 v201, 3, v115
	v_mad_i32_i24 v135, v136, v142, v135
	v_lshrrev_b32_e32 v136, 16, v115
	v_mul_i32_i24_e32 v199, v199, v150
	v_and_b32_e32 v73, 3, v73
	v_mad_i32_i24 v223, v224, v142, v223
	v_and_b32_e32 v224, 3, v118
	v_mad_i32_i24 v142, v236, v142, v152
	v_dual_lshrrev_b32 v236, 8, v122 :: v_dual_bitop2_b32 v152, 3, v122 bitop3:0x40
	v_lshrrev_b32_e32 v122, 24, v122
	v_mul_i32_i24_e32 v244, v145, v244
	v_mul_i32_i24_e32 v220, v145, v220
	;; [unrolled: 1-line block ×3, first 2 shown]
	v_lshrrev_b32_e32 v232, 8, v123
	v_mul_i32_i24_e32 v210, v210, v153
	v_mul_i32_i24_e32 v225, v225, v153
	v_mul_i32_i24_e32 v153, v237, v153
	v_and_b32_e32 v237, 3, v130
	v_mul_i32_i24_e32 v216, v216, v144
	v_mul_i32_i24_e32 v110, v146, v110
	;; [unrolled: 1-line block ×4, first 2 shown]
	v_dual_lshrrev_b32 v206, 4, v206 :: v_dual_bitop2_b32 v234, 3, v131 bitop3:0x40
	v_mul_i32_i24_e32 v246, v140, v246
	v_mul_i32_i24_e32 v116, v116, v140
	;; [unrolled: 1-line block ×3, first 2 shown]
	v_dual_lshrrev_b32 v140, 8, v128 :: v_dual_bitop2_b32 v111, 3, v111 bitop3:0x40
	v_lshrrev_b32_e32 v208, 4, v208
	v_mul_i32_i24_e32 v117, v117, v147
	v_mul_i32_i24_e32 v125, v125, v147
	;; [unrolled: 1-line block ×5, first 2 shown]
	v_dual_lshrrev_b32 v141, 8, v129 :: v_dual_bitop2_b32 v188, 3, v188 bitop3:0x40
	v_mul_i32_i24_e32 v200, v200, v164
	v_mul_lo_u32 v205, 0x1010101, v205
	v_bfe_u32 v218, v109, 8, 2
	v_bfe_u32 v231, v121, 16, 2
	;; [unrolled: 1-line block ×3, first 2 shown]
	v_mul_i32_i24_e32 v184, v184, v161
	v_and_b32_e32 v74, 3, v74
	v_mul_i32_i24_e32 v194, v149, v194
	v_dual_lshrrev_b32 v109, 24, v109 :: v_dual_bitop2_b32 v203, 3, v203 bitop3:0x40
	v_dual_lshrrev_b32 v227, 16, v118 :: v_dual_lshrrev_b32 v118, 24, v118
	v_and_b32_e32 v143, 3, v123
	v_mul_i32_i24_e32 v229, v229, v150
	v_mul_i32_i24_e32 v247, v247, v157
	;; [unrolled: 1-line block ×4, first 2 shown]
	v_lshrrev_b32_e32 v237, 16, v119
	v_mul_i32_i24_e32 v198, v198, v150
	v_mul_i32_i24_e32 v150, v241, v150
	v_dual_lshrrev_b32 v241, 16, v123 :: v_dual_lshrrev_b32 v123, 24, v123
	v_mul_i32_i24_e32 v211, v211, v161
	v_mul_i32_i24_e32 v239, v239, v161
	;; [unrolled: 1-line block ×3, first 2 shown]
	v_lshrrev_b32_e32 v234, 8, v130
	v_mul_i32_i24_e32 v230, v230, v164
	v_mul_i32_i24_e32 v242, v242, v164
	;; [unrolled: 1-line block ×3, first 2 shown]
	v_lshrrev_b32_e32 v188, 8, v131
	v_and_b32_e32 v187, 3, v187
	v_mul_i32_i24_e32 v189, v189, v151
	v_and_b32_e32 v114, 3, v114
	v_mul_i32_i24_e32 v106, v106, v148
	v_mul_i32_i24_e32 v248, v73, v102
	v_and_b32_e32 v73, 3, v236
	v_and_b32_e32 v232, 3, v232
	v_and_b32_e32 v140, 3, v140
	v_and_b32_e32 v141, 3, v141
	v_mul_lo_u32 v208, 0x1010101, v208
	v_and_b32_e32 v235, 3, v235
	v_add3_u32 v77, v77, v196, v193
	v_add3_u32 v108, v214, v216, v108
	v_add3_u32 v72, v72, v199, v200
	v_add3_u32 v117, v223, v225, v117
	v_add3_u32 v125, v142, v153, v125
	v_bfe_u32 v121, v121, 24, 2
	v_bfe_u32 v127, v127, 24, 2
	v_mul_i32_i24_e32 v245, v149, v245
	v_mul_i32_i24_e32 v221, v221, v149
	;; [unrolled: 1-line block ×3, first 2 shown]
	v_and_b32_e32 v233, 3, v128
	v_add3_u32 v175, v175, v160, v163
	v_and_b32_e32 v75, 3, v75
	v_and_b32_e32 v192, 3, v192
	v_mul_i32_i24_e32 v191, v191, v163
	v_mul_i32_i24_e32 v111, v111, v147
	v_dual_lshrrev_b32 v147, 16, v130 :: v_dual_lshrrev_b32 v130, 24, v130
	v_mul_i32_i24_e32 v231, v231, v151
	v_mul_i32_i24_e32 v243, v243, v151
	v_dual_lshrrev_b32 v142, 24, v205 :: v_dual_bitop2_b32 v138, 3, v138 bitop3:0x40
	v_mul_i32_i24_e32 v197, v197, v165
	v_mul_i32_i24_e32 v203, v203, v160
	;; [unrolled: 1-line block ×3, first 2 shown]
	v_and_b32_e32 v236, 3, v238
	v_and_b32_e32 v234, 3, v234
	v_mul_i32_i24_e32 v235, v235, v160
	v_mul_i32_i24_e32 v73, v73, v160
	;; [unrolled: 1-line block ×3, first 2 shown]
	v_lshrrev_b32_e32 v160, 24, v168
	v_mul_i32_i24_e32 v151, v187, v151
	v_mul_i32_i24_e32 v232, v232, v163
	;; [unrolled: 1-line block ×3, first 2 shown]
	v_lshrrev_b32_e32 v163, 24, v172
	v_mul_i32_i24_e32 v114, v114, v148
	v_add3_u32 v76, v77, v194, v76
	v_add3_u32 v77, v108, v198, v164
	;; [unrolled: 1-line block ×5, first 2 shown]
	v_mul_i32_i24_e32 v228, v228, v144
	v_mul_i32_i24_e32 v144, v240, v144
	;; [unrolled: 1-line block ×4, first 2 shown]
	v_lshrrev_b32_e32 v187, 16, v129
	v_mul_i32_i24_e32 v152, v152, v159
	v_mul_i32_i24_e32 v121, v121, v148
	;; [unrolled: 1-line block ×3, first 2 shown]
	v_dual_lshrrev_b32 v148, 16, v131 :: v_dual_lshrrev_b32 v131, 24, v131
	v_mul_i32_i24_e32 v159, v233, v159
	v_dual_lshrrev_b32 v207, 4, v207 :: v_dual_bitop2_b32 v233, 3, v129 bitop3:0x40
	v_lshrrev_b32_e32 v240, 8, v119
	v_mul_i32_i24_e32 v183, v183, v156
	v_mul_i32_i24_e32 v74, v74, v155
	v_and_b32_e32 v227, 3, v227
	v_and_b32_e32 v147, 3, v147
	;; [unrolled: 1-line block ×3, first 2 shown]
	v_mul_lo_u32 v206, 0x1010101, v206
	v_and_b32_e32 v137, 3, v137
	v_mul_i32_i24_e32 v138, v138, v165
	v_mul_i32_i24_e32 v236, v236, v165
	;; [unrolled: 1-line block ×3, first 2 shown]
	v_add3_u32 v111, v135, v210, v111
	v_add3_u32 v76, v76, v195, v197
	;; [unrolled: 1-line block ×7, first 2 shown]
	v_mul_lo_u32 v207, 0x1010101, v207
	v_dual_lshrrev_b32 v119, 24, v119 :: v_dual_bitop2_b32 v204, 3, v204 bitop3:0x40
	v_and_b32_e32 v186, 3, v186
	v_mul_i32_i24_e32 v185, v185, v166
	v_and_b32_e32 v118, 3, v118
	v_and_b32_e32 v238, 3, v240
	;; [unrolled: 1-line block ×3, first 2 shown]
	v_bfe_i32 v234, v168, 16, 8
	v_mul_i32_i24_e32 v137, v137, v156
	v_mul_i32_i24_e32 v227, v227, v156
	v_mul_i32_i24_e32 v147, v147, v156
	v_bfe_i32 v156, v168, 8, 8
	v_bfe_i32 v168, v168, 0, 8
	v_mul_i32_i24_e32 v130, v130, v155
	v_add3_u32 v111, v111, v247, v244
	v_add3_u32 v74, v76, v183, v74
	;; [unrolled: 1-line block ×5, first 2 shown]
	v_mul_i32_i24_e32 v190, v190, v162
	v_and_b32_e32 v107, 3, v107
	v_mul_i32_i24_e32 v217, v217, v162
	v_lshrrev_b32_e32 v129, 24, v129
	v_mul_i32_i24_e32 v143, v143, v162
	v_mul_i32_i24_e32 v162, v233, v162
	v_dual_lshrrev_b32 v233, 16, v128 :: v_dual_lshrrev_b32 v128, 24, v128
	v_add3_u32 v108, v120, v229, v230
	v_add3_u32 v120, v126, v150, v242
	v_and_b32_e32 v112, 3, v112
	v_and_b32_e32 v213, 3, v213
	;; [unrolled: 1-line block ×3, first 2 shown]
	v_mul_i32_i24_e32 v212, v212, v166
	v_mul_i32_i24_e32 v186, v186, v104
	;; [unrolled: 1-line block ×3, first 2 shown]
	v_and_b32_e32 v237, 3, v237
	v_and_b32_e32 v119, 3, v119
	;; [unrolled: 1-line block ×4, first 2 shown]
	v_mul_i32_i24_e32 v118, v118, v155
	v_mul_i32_i24_e32 v238, v238, v166
	;; [unrolled: 1-line block ×4, first 2 shown]
	v_add3_u32 v110, v111, v245, v110
	v_add3_u32 v74, v74, v184, v185
	;; [unrolled: 1-line block ×3, first 2 shown]
	v_dual_lshrrev_b32 v115, 24, v115 :: v_dual_bitop2_b32 v136, 3, v136 bitop3:0x40
	v_add_nc_u32_e32 v71, 4, v71
	v_mul_i32_i24_e32 v204, v204, v158
	v_mul_i32_i24_e32 v107, v107, v154
	v_and_b32_e32 v215, 3, v215
	v_and_b32_e32 v233, 3, v233
	;; [unrolled: 1-line block ×3, first 2 shown]
	v_add3_u32 v72, v72, v202, v203
	v_add3_u32 v111, v120, v243, v127
	v_mul_i32_i24_e32 v213, v213, v104
	v_mul_i32_i24_e32 v237, v237, v104
	;; [unrolled: 1-line block ×6, first 2 shown]
	v_mad_i32_i24 v153, v176, v156, v168
	v_lshrrev_b32_e32 v156, 24, v206
	v_bfe_i32 v168, v206, 16, 8
	v_bfe_i32 v193, v206, 8, 8
	;; [unrolled: 1-line block ×3, first 2 shown]
	v_lshrrev_b32_e32 v206, 24, v207
	v_mul_i32_i24_e32 v112, v112, v155
	v_add3_u32 v110, v110, v246, v138
	v_add3_u32 v77, v77, v227, v118
	v_add3_u32 v74, v74, v186, v75
	v_add3_u32 v75, v106, v161, v166
	v_dual_add_nc_u32 v69, 32, v69 :: v_dual_bitop2_b32 v115, 3, v115 bitop3:0x40
	v_and_b32_e32 v122, 3, v122
	v_mul_i32_i24_e32 v136, v136, v158
	v_mul_i32_i24_e32 v215, v215, v158
	v_mul_i32_i24_e32 v158, v233, v158
	v_mul_i32_i24_e32 v128, v128, v154
	v_add3_u32 v108, v108, v231, v121
	v_add3_u32 v72, v72, v204, v107
	;; [unrolled: 1-line block ×3, first 2 shown]
	v_and_b32_e32 v219, 3, v219
	v_and_b32_e32 v109, 3, v109
	;; [unrolled: 1-line block ×7, first 2 shown]
	v_add3_u32 v110, v110, v137, v112
	v_add3_u32 v77, v77, v239, v238
	;; [unrolled: 1-line block ×3, first 2 shown]
	v_mul_i32_i24_e32 v115, v115, v154
	v_mul_i32_i24_e32 v122, v122, v154
	v_add3_u32 v73, v108, v152, v73
	v_add3_u32 v107, v107, v158, v128
	v_mul_i32_i24_e32 v192, v192, v7
	v_lshrrev_b16 v233, 8, v170
	v_bfe_i32 v188, v172, 16, 8
	v_bfe_i32 v148, v172, 8, 8
	;; [unrolled: 1-line block ×3, first 2 shown]
	v_mul_i32_i24_e32 v219, v219, v7
	v_mul_i32_i24_e32 v240, v240, v7
	;; [unrolled: 1-line block ×3, first 2 shown]
	v_lshrrev_b32_e32 v187, 24, v174
	v_bfe_i32 v131, v174, 16, 8
	v_mul_i32_i24_e32 v109, v109, v102
	v_mul_i32_i24_e32 v123, v123, v102
	;; [unrolled: 1-line block ×3, first 2 shown]
	v_bfe_i32 v129, v174, 8, 8
	v_bfe_i32 v174, v174, 0, 8
	v_mul_i32_i24_e32 v234, v182, v234
	v_mul_i32_i24_e32 v160, v177, v160
	v_bfe_i32 v135, v205, 0, 8
	v_bfe_i32 v139, v205, 8, 8
	v_and_b32_e32 v105, 0xffff, v105
	v_add3_u32 v110, v110, v211, v212
	v_add3_u32 v77, v77, v237, v119
	v_mul_lo_u32 v75, v75, v133
	v_add3_u32 v76, v76, v136, v115
	v_add3_u32 v112, v72, v190, v191
	;; [unrolled: 1-line block ×4, first 2 shown]
	v_bfe_i32 v155, v170, 0, 8
	v_bfe_i32 v154, v170, 16, 8
	v_lshrrev_b32_e32 v170, 24, v170
	v_bfe_i32 v233, v233, 0, 8
	v_mul_i32_i24_e32 v172, v181, v172
	v_mul_i32_i24_e32 v174, v181, v174
	v_bfe_i32 v144, v205, 16, 8
	v_mul_i32_i24_e32 v125, v178, v142
	v_mul_i32_i24_e32 v135, v179, v135
	;; [unrolled: 1-line block ×3, first 2 shown]
	v_add3_u32 v142, v153, v234, v160
	v_mul_i32_i24_e32 v153, v178, v156
	v_and_b32_e32 v132, 0xffff, v132
	v_and_b32_e32 v134, 0xffff, v134
	v_add3_u32 v104, v110, v213, v113
	v_mul_lo_u32 v77, v77, v105
	v_and_b32_e32 v169, 0xffff, v169
	v_add3_u32 v106, v112, v192, v248
	v_add3_u32 v112, v115, v143, v232
	v_add3_u32 v7, v103, v7, v102
	v_mul_i32_i24_e32 v163, v177, v163
	v_mul_i32_i24_e32 v188, v182, v188
	;; [unrolled: 1-line block ×5, first 2 shown]
	v_bfe_i32 v200, v207, 0, 8
	v_bfe_i32 v205, v207, 8, 8
	v_mad_i32_i24 v148, v176, v148, v172
	v_lshrrev_b32_e32 v172, 24, v208
	v_bfe_i32 v210, v208, 16, 8
	v_bfe_i32 v214, v208, 8, 8
	;; [unrolled: 1-line block ×3, first 2 shown]
	v_mad_i32_i24 v129, v176, v129, v174
	v_mul_i32_i24_e32 v126, v180, v144
	v_mul_i32_i24_e32 v144, v179, v196
	;; [unrolled: 1-line block ×4, first 2 shown]
	v_add3_u32 v117, v142, v135, v139
	v_mad_i32_i24 v120, v177, v170, v153
	v_mul_lo_u32 v74, v74, v132
	v_mul_lo_u32 v103, v104, v134
	v_and_b32_e32 v173, 0xffff, v173
	v_add3_u32 v76, v76, v217, v218
	v_add3_u32 v102, v112, v240, v123
	v_mad_u32 v7, v7, v169, v75
	v_bfe_i32 v207, v207, 16, 8
	v_mul_i32_i24_e32 v160, v179, v200
	v_mul_i32_i24_e32 v164, v175, v205
	v_add3_u32 v148, v148, v188, v163
	v_mul_i32_i24_e32 v168, v178, v172
	v_mul_i32_i24_e32 v172, v179, v208
	;; [unrolled: 1-line block ×3, first 2 shown]
	v_add3_u32 v129, v129, v131, v187
	v_mad_i32_i24 v121, v182, v154, v150
	v_mad_i32_i24 v127, v181, v155, v144
	v_add3_u32 v108, v117, v126, v125
	v_add3_u32 v111, v199, v145, v120
	v_and_b32_e32 v167, 0xffff, v167
	v_and_b32_e32 v171, 0xffff, v171
	v_add3_u32 v76, v76, v219, v109
	v_mad_u32 v77, v102, v173, v77
	v_mul_i32_i24_e32 v156, v178, v206
	v_mul_i32_i24_e32 v157, v180, v207
	;; [unrolled: 1-line block ×3, first 2 shown]
	v_add3_u32 v131, v148, v160, v164
	v_add3_u32 v129, v129, v172, v174
	v_cvt_f32_i32_e32 v72, v108
	v_add3_u32 v108, v127, v121, v111
	v_mad_u32 v102, v106, v167, v74
	v_mad_u32 v76, v76, v171, v103
	v_add3_u32 v114, v131, v157, v156
	v_add3_u32 v116, v129, v163, v168
	v_cvt_f32_i32_e32 v75, v108
	v_cvt_f32_i32_e32 v74, v7
	;; [unrolled: 1-line block ×5, first 2 shown]
	s_add_co_i32 s20, s1, 2
	v_pk_mul_f32 v[2:3], v[2:3], v[74:75]
	v_cvt_f32_i32_e32 v74, v102
	v_pk_mul_f32 v[4:5], v[4:5], v[72:73]
	v_mul_f32_e32 v72, v209, v111
	v_cvt_f32_i32_e32 v75, v76
	v_mul_f32_e32 v6, v6, v7
	v_dual_mov_b32 v7, v2 :: v_dual_mov_b32 v73, v3
	s_cmp_lt_u32 s1, 14
	s_delay_alu instid0(VALU_DEP_3) | instskip(SKIP_1) | instid1(VALU_DEP_2)
	v_pk_fma_f32 v[0:1], v[0:1], v[74:75], v[4:5] neg_lo:[0,0,1] neg_hi:[0,0,1]
	s_mov_b32 s1, s20
	v_pk_add_f32 v[2:3], v[6:7], v[72:73] neg_lo:[0,1] neg_hi:[0,1]
	s_delay_alu instid0(VALU_DEP_2) | instskip(NEXT) | instid1(VALU_DEP_2)
	v_pk_fma_f32 v[16:17], v[70:71], v[0:1], v[16:17] op_sel_hi:[0,1,1]
	v_pk_fma_f32 v[14:15], v[70:71], v[2:3], v[14:15] op_sel_hi:[0,1,1]
	s_cbranch_scc1 .LBB228_19
; %bb.20:                               ;   in Loop: Header=BB228_5 Depth=1
	s_or_b32 s1, s18, 0x100
	s_delay_alu instid0(SALU_CYCLE_1)
	s_cmp_ge_i32 s1, s5
	s_barrier_signal -1
	s_barrier_wait -1
	s_cbranch_scc1 .LBB228_4
; %bb.21:                               ;   in Loop: Header=BB228_5 Depth=1
	v_add_nc_u32_e32 v0, s19, v87
	s_delay_alu instid0(VALU_DEP_1) | instskip(SKIP_1) | instid1(SALU_CYCLE_1)
	v_cmp_gt_i32_e64 s1, s6, v0
	s_and_b32 s20, s0, s1
	s_and_saveexec_b32 s1, s20
	s_cbranch_execz .LBB228_23
; %bb.22:                               ;   in Loop: Header=BB228_5 Depth=1
	v_add_nc_u32_e32 v0, v18, v0
	s_delay_alu instid0(VALU_DEP_1)
	v_mad_nc_i64_i32 v[0:1], v0, 36, v[20:21]
	global_load_b32 v0, v[0:1], off offset:4
	s_wait_loadcnt 0x0
	ds_store_b32 v67, v0
.LBB228_23:                             ;   in Loop: Header=BB228_5 Depth=1
	s_or_b32 exec_lo, exec_lo, s1
	s_and_saveexec_b32 s20, vcc_lo
	s_cbranch_execz .LBB228_26
; %bb.24:                               ;   in Loop: Header=BB228_5 Depth=1
	v_or_b32_e32 v0, 8, v68
	s_delay_alu instid0(VALU_DEP_1) | instskip(SKIP_1) | instid1(SALU_CYCLE_1)
	v_cmp_gt_i32_e64 s1, s6, v0
	s_and_b32 s1, s0, s1
	s_and_b32 exec_lo, exec_lo, s1
	s_cbranch_execz .LBB228_26
; %bb.25:                               ;   in Loop: Header=BB228_5 Depth=1
	v_ashrrev_i32_e32 v69, 31, v68
	s_delay_alu instid0(VALU_DEP_1) | instskip(NEXT) | instid1(VALU_DEP_1)
	v_add_nc_u64_e32 v[0:1], v[18:19], v[68:69]
	v_mad_nc_u64_u32 v[2:3], v0, 36, s[2:3]
	s_delay_alu instid0(VALU_DEP_1)
	v_mad_i32_i24 v3, v1, 36, v3
	global_load_b32 v0, v[2:3], off offset:288
	s_wait_loadcnt 0x0
	v_cvt_f32_f16_e32 v0, v0
	ds_store_b32 v85, v0
.LBB228_26:                             ;   in Loop: Header=BB228_5 Depth=1
	s_or_b32 exec_lo, exec_lo, s20
	v_dual_mov_b32 v1, v61 :: v_dual_mov_b32 v69, v78
	s_mov_b32 s1, 16
	s_wait_dscnt 0x0
	s_barrier_signal -1
	s_barrier_wait -1
.LBB228_27:                             ;   Parent Loop BB228_5 Depth=1
                                        ; =>  This Inner Loop Header: Depth=2
	s_and_b32 s22, s1, 0x3ffffff8
	s_add_co_i32 s20, s1, -16
	v_lshl_add_u32 v72, s22, 2, v89
	s_lshr_b32 s22, s1, 2
	s_and_b32 s21, s1, -16
	s_and_b32 s22, s22, 0x3ffffffc
	s_add_co_i32 s21, s1, s21
	ds_load_2addr_b32 v[2:3], v72 offset1:1
	s_addk_co_i32 s22, 0x5280
	ds_load_2addr_b32 v[6:7], v72 offset0:2 offset1:3
	ds_load_b32 v0, v69
	v_add_nc_u32_e32 v146, 0x2118, v72
	v_add_nc_u32_e32 v166, 0x3188, v72
	;; [unrolled: 1-line block ×4, first 2 shown]
	s_wait_dscnt 0x2
	v_dual_add_nc_u32 v69, 4, v69 :: v_dual_ashrrev_i32 v103, s20, v2
	v_ashrrev_i32_e32 v4, s20, v3
	ds_load_2addr_b32 v[2:3], v72 offset0:4 offset1:7
	v_dual_add_nc_u32 v109, s21, v47 :: v_dual_lshrrev_b32 v114, 24, v4
	v_and_b32_e32 v111, 3, v4
	v_bfe_u32 v112, v4, 8, 2
	v_bfe_u32 v113, v4, 16, 2
	s_wait_dscnt 0x0
	v_dual_ashrrev_i32 v2, s20, v2 :: v_dual_ashrrev_i32 v108, s20, v3
	v_add3_u32 v3, s22, v101, v90
	s_delay_alu instid0(VALU_DEP_2)
	v_dual_lshrrev_b32 v121, 24, v2 :: v_dual_bitop2_b32 v118, 3, v2 bitop3:0x40
	v_bfe_u32 v119, v2, 8, 2
	v_bfe_u32 v120, v2, 16, 2
	v_add_nc_u32_e32 v2, 0x1080, v72
	ds_load_b32 v110, v3
	v_dual_lshrrev_b32 v124, 16, v108 :: v_dual_bitop2_b32 v122, 3, v108 bitop3:0x40
	v_bfe_u32 v123, v108, 8, 2
	ds_load_2addr_b32 v[2:3], v2 offset1:1
	s_wait_dscnt 0x0
	v_dual_ashrrev_i32 v125, s20, v2 :: v_dual_bitop2_b32 v124, 3, v124 bitop3:0x40
	v_ashrrev_i32_e32 v4, s20, v3
	v_add_nc_u32_e32 v2, 0x1088, v72
	s_delay_alu instid0(VALU_DEP_2)
	v_dual_lshrrev_b32 v134, 24, v4 :: v_dual_bitop2_b32 v131, 3, v4 bitop3:0x40
	ds_load_2addr_b32 v[70:71], v2 offset1:1
	v_add_nc_u32_e32 v2, 0x1000, v72
	v_bfe_u32 v132, v4, 8, 2
	v_bfe_u32 v133, v4, 16, 2
	ds_load_2addr_b32 v[2:3], v2 offset0:36 offset1:39
	s_wait_dscnt 0x1
	v_ashrrev_i32_e32 v126, s20, v71
	v_add3_u32 v71, s22, v93, v94
	ds_load_b32 v71, v71
	s_wait_dscnt 0x1
	v_dual_ashrrev_i32 v7, s20, v7 :: v_dual_ashrrev_i32 v2, s20, v2
	v_ashrrev_i32_e32 v128, s20, v3
	v_add3_u32 v3, s22, v91, v92
	v_dual_lshrrev_b32 v137, 16, v126 :: v_dual_bitop2_b32 v135, 3, v126 bitop3:0x40
	s_delay_alu instid0(VALU_DEP_4)
	v_dual_lshrrev_b32 v141, 24, v2 :: v_dual_bitop2_b32 v138, 3, v2 bitop3:0x40
	v_bfe_u32 v139, v2, 8, 2
	v_bfe_u32 v140, v2, 16, 2
	v_add_nc_u32_e32 v2, 0x2100, v72
	ds_load_b32 v130, v3
	v_dual_lshrrev_b32 v117, 16, v7 :: v_dual_bitop2_b32 v115, 3, v7 bitop3:0x40
	v_bfe_u32 v116, v7, 8, 2
	ds_load_2addr_b32 v[2:3], v2 offset1:1
	v_lshrrev_b32_e32 v7, 24, v7
	v_bfe_u32 v136, v126, 8, 2
	v_dual_lshrrev_b32 v144, 16, v128 :: v_dual_bitop2_b32 v142, 3, v128 bitop3:0x40
	s_wait_dscnt 0x2
	v_cvt_f32_f16_e64 v164, v71
	v_add_nc_u32_e32 v127, 0x1094, v72
	v_bfe_u32 v143, v128, 8, 2
	s_wait_dscnt 0x0
	v_dual_ashrrev_i32 v4, s20, v2 :: v_dual_ashrrev_i32 v5, s20, v3
	v_add_nc_u32_e32 v2, 0x2110, v72
	s_delay_alu instid0(VALU_DEP_2) | instskip(NEXT) | instid1(VALU_DEP_3)
	v_dual_add_nc_u32 v147, s21, v51 :: v_dual_bitop2_b32 v148, 3, v4 bitop3:0x40
	v_and_b32_e32 v152, 3, v5
	ds_load_2addr_b32 v[2:3], v2 offset1:1
	v_bfe_u32 v149, v4, 8, 2
	v_bfe_u32 v150, v4, 16, 2
	;; [unrolled: 1-line block ×6, first 2 shown]
	s_wait_dscnt 0x0
	v_dual_ashrrev_i32 v2, s20, v2 :: v_dual_ashrrev_i32 v3, s20, v3
	s_delay_alu instid0(VALU_DEP_1)
	v_and_b32_e32 v156, 3, v2
	v_bfe_u32 v157, v2, 8, 2
	v_bfe_u32 v158, v2, 16, 2
	;; [unrolled: 1-line block ×3, first 2 shown]
	v_lshrrev_b32_e32 v2, 16, v71
	v_and_b32_e32 v160, 3, v3
	v_bfe_u32 v161, v3, 8, 2
	v_bfe_u32 v162, v3, 16, 2
	;; [unrolled: 1-line block ×3, first 2 shown]
	v_cvt_f32_f16_e64 v165, v2
	v_add_nc_u32_e32 v2, 0x3180, v72
	v_add3_u32 v71, s22, v95, v96
	v_add_nc_u32_e32 v145, 0x2108, v72
	ds_load_2addr_b32 v[2:3], v2 offset1:1
	ds_load_b32 v71, v71
	s_wait_dscnt 0x1
	v_ashrrev_i32_e32 v4, s20, v2
	v_add_nc_u32_e32 v2, 0x3190, v72
	v_dual_ashrrev_i32 v5, s20, v3 :: v_dual_add_nc_u32 v168, s21, v53
	s_delay_alu instid0(VALU_DEP_3)
	v_and_b32_e32 v169, 3, v4
	ds_load_2addr_b32 v[2:3], v2 offset1:1
	v_bfe_u32 v75, v4, 8, 2
	v_bfe_u32 v74, v4, 16, 2
	;; [unrolled: 1-line block ×3, first 2 shown]
	v_and_b32_e32 v170, 3, v5
	v_bfe_u32 v171, v5, 8, 2
	v_bfe_u32 v172, v5, 16, 2
	;; [unrolled: 1-line block ×3, first 2 shown]
	s_wait_dscnt 0x0
	v_dual_ashrrev_i32 v2, s20, v2 :: v_dual_ashrrev_i32 v3, s20, v3
	s_delay_alu instid0(VALU_DEP_1)
	v_and_b32_e32 v174, 3, v2
	v_bfe_u32 v175, v2, 8, 2
	v_bfe_u32 v176, v2, 16, 2
	;; [unrolled: 1-line block ×3, first 2 shown]
	v_and_b32_e32 v178, 3, v3
	v_bfe_u32 v179, v3, 8, 2
	v_bfe_u32 v77, v3, 16, 2
	;; [unrolled: 1-line block ×3, first 2 shown]
	ds_load_b128 v[2:5], v1
	ds_load_b128 v[104:107], v1 offset:16
	s_wait_dscnt 0x1
	v_ashrrev_i32_e32 v102, 24, v2
	v_bfe_i32 v185, v2, 0, 8
	v_bfe_i32 v186, v2, 16, 8
	;; [unrolled: 1-line block ×3, first 2 shown]
	v_lshrrev_b16 v2, 8, v4
	s_wait_dscnt 0x0
	v_lshrrev_b16 v180, 8, v104
	v_ashrrev_i32_e32 v181, 24, v104
	v_bfe_i32 v183, v104, 0, 8
	v_bfe_i32 v184, v104, 16, 8
	v_lshrrev_b16 v104, 8, v105
	v_dual_ashrrev_i32 v187, 24, v3 :: v_dual_ashrrev_i32 v189, 24, v105
	v_ashrrev_i32_e32 v195, 24, v106
	v_bfe_i32 v197, v2, 0, 8
	v_lshrrev_b16 v2, 8, v5
	v_bfe_i32 v180, v180, 0, 8
	v_bfe_i32 v182, v3, 8, 8
	;; [unrolled: 1-line block ×4, first 2 shown]
	v_dual_ashrrev_i32 v196, 24, v4 :: v_dual_ashrrev_i32 v203, 24, v107
	v_bfe_i32 v198, v4, 16, 8
	v_bfe_i32 v199, v4, 0, 8
	v_ashrrev_i32_e32 v204, 24, v5
	v_bfe_i32 v205, v2, 0, 8
	v_dual_add_nc_u32 v2, v189, v181 :: v_dual_add_nc_u32 v4, v187, v102
	v_bfe_i32 v193, v3, 0, 8
	v_bfe_i32 v202, v106, 8, 8
	;; [unrolled: 1-line block ×7, first 2 shown]
	v_dual_add_nc_u32 v3, v188, v180 :: v_dual_add_nc_u32 v5, v194, v186
	v_dual_add_nc_u32 v104, v193, v185 :: v_dual_add_nc_u32 v107, v190, v182
	v_add3_u32 v212, v4, v196, v204
	v_ashrrev_i32_e32 v4, s20, v6
	v_bfe_i32 v191, v105, 0, 8
	v_bfe_i32 v192, v105, 16, 8
	v_add3_u32 v213, v3, v202, v210
	v_add3_u32 v214, v2, v195, v203
	;; [unrolled: 1-line block ×3, first 2 shown]
	v_mul_i32_i24_e32 v2, v111, v193
	v_mul_i32_i24_e32 v3, v131, v193
	v_dual_ashrrev_i32 v5, s20, v70 :: v_dual_bitop2_b32 v6, 3, v125 bitop3:0x40
	v_add3_u32 v211, v107, v197, v205
	v_mul_i32_i24_e32 v107, v135, v207
	v_and_b32_e32 v70, 3, v103
	v_dual_lshrrev_b32 v219, 8, v4 :: v_dual_bitop2_b32 v131, 3, v134 bitop3:0x40
	v_and_b32_e32 v135, 3, v4
	v_dual_lshrrev_b32 v220, 8, v5 :: v_dual_bitop2_b32 v114, 3, v114 bitop3:0x40
	v_bfe_i32 v200, v106, 16, 8
	v_bfe_i32 v201, v106, 0, 8
	v_dual_add_nc_u32 v105, v192, v184 :: v_dual_add_nc_u32 v106, v191, v183
	v_dual_lshrrev_b32 v221, 16, v4 :: v_dual_bitop2_b32 v134, 3, v5 bitop3:0x40
	v_mul_i32_i24_e32 v113, v113, v194
	v_mul_i32_i24_e32 v133, v133, v194
	;; [unrolled: 1-line block ×4, first 2 shown]
	v_mad_i32_i24 v3, v132, v182, v3
	v_mad_i32_i24 v2, v112, v182, v2
	v_add3_u32 v215, v106, v201, v209
	v_add3_u32 v216, v105, v200, v208
	;; [unrolled: 1-line block ×3, first 2 shown]
	v_mul_i32_i24_e32 v104, v115, v207
	v_mul_i32_i24_e32 v105, v119, v180
	v_mul_i32_i24_e32 v106, v122, v209
	v_bfe_u32 v111, v125, 8, 2
	v_bfe_u32 v115, v103, 8, 2
	;; [unrolled: 1-line block ×6, first 2 shown]
	v_dual_lshrrev_b32 v222, 16, v5 :: v_dual_bitop2_b32 v220, 3, v220 bitop3:0x40
	v_mul_i32_i24_e32 v70, v185, v70
	v_mul_i32_i24_e32 v6, v185, v6
	;; [unrolled: 1-line block ×4, first 2 shown]
	v_add3_u32 v2, v2, v113, v114
	v_add3_u32 v3, v3, v133, v131
	v_dual_lshrrev_b32 v4, 24, v4 :: v_dual_bitop2_b32 v219, 3, v219 bitop3:0x40
	v_dual_lshrrev_b32 v5, 24, v5 :: v_dual_bitop2_b32 v222, 3, v222 bitop3:0x40
	v_mul_i32_i24_e32 v115, v190, v115
	v_mul_i32_i24_e32 v111, v190, v111
	;; [unrolled: 1-line block ×4, first 2 shown]
	v_add3_u32 v3, v3, v134, v6
	v_add3_u32 v2, v2, v135, v70
	v_and_b32_e32 v221, 3, v221
	v_and_b32_e32 v5, 3, v5
	;; [unrolled: 1-line block ×3, first 2 shown]
	v_mul_i32_i24_e32 v122, v102, v122
	v_mul_i32_i24_e32 v119, v102, v119
	;; [unrolled: 1-line block ×4, first 2 shown]
	v_add3_u32 v2, v2, v115, v103
	v_add3_u32 v3, v3, v111, v125
	v_mul_i32_i24_e32 v221, v221, v198
	v_mul_i32_i24_e32 v222, v222, v198
	;; [unrolled: 1-line block ×4, first 2 shown]
	v_add3_u32 v3, v3, v119, v220
	v_add3_u32 v2, v2, v122, v219
	v_mul_i32_i24_e32 v6, v138, v183
	v_mul_i32_i24_e32 v120, v120, v184
	;; [unrolled: 1-line block ×3, first 2 shown]
	v_add3_u32 v103, v3, v222, v5
	v_add3_u32 v70, v2, v221, v4
	ds_load_2addr_b32 v[2:3], v72 offset0:5 offset1:6
	ds_load_2addr_b32 v[4:5], v127 offset1:1
	v_mad_i32_i24 v105, v118, v183, v105
	v_mad_i32_i24 v6, v139, v180, v6
	v_mul_i32_i24_e32 v111, v142, v209
	v_mul_i32_i24_e32 v75, v75, v190
	;; [unrolled: 1-line block ×6, first 2 shown]
	s_wait_dscnt 0x0
	v_dual_ashrrev_i32 v2, s20, v2 :: v_dual_ashrrev_i32 v4, s20, v4
	v_and_b32_e32 v112, 3, v121
	v_dual_ashrrev_i32 v3, s20, v3 :: v_dual_bitop2_b32 v72, 3, v141 bitop3:0x40
	s_delay_alu instid0(VALU_DEP_3) | instskip(SKIP_3) | instid1(VALU_DEP_4)
	v_dual_lshrrev_b32 v115, 8, v2 :: v_dual_lshrrev_b32 v119, 8, v4
	v_dual_lshrrev_b32 v122, 16, v4 :: v_dual_ashrrev_i32 v5, s20, v5
	v_and_b32_e32 v113, 3, v4
	v_dual_lshrrev_b32 v121, 16, v2 :: v_dual_bitop2_b32 v114, 3, v2 bitop3:0x40
	v_and_b32_e32 v119, 3, v119
	v_dual_lshrrev_b32 v2, 24, v2 :: v_dual_bitop2_b32 v115, 3, v115 bitop3:0x40
	v_dual_lshrrev_b32 v4, 24, v4 :: v_dual_bitop2_b32 v122, 3, v122 bitop3:0x40
	v_mul_i32_i24_e32 v112, v112, v181
	v_mul_i32_i24_e32 v72, v72, v181
	v_dual_lshrrev_b32 v131, 8, v3 :: v_dual_bitop2_b32 v121, 3, v121 bitop3:0x40
	s_delay_alu instid0(VALU_DEP_4) | instskip(SKIP_1) | instid1(VALU_DEP_4)
	v_dual_lshrrev_b32 v132, 8, v5 :: v_dual_bitop2_b32 v4, 3, v4 bitop3:0x40
	v_dual_lshrrev_b32 v133, 16, v3 :: v_dual_bitop2_b32 v2, 3, v2 bitop3:0x40
	v_add3_u32 v6, v6, v135, v72
	v_add3_u32 v72, v105, v120, v112
	v_mul_i32_i24_e32 v105, v114, v191
	v_mul_i32_i24_e32 v112, v113, v191
	;; [unrolled: 1-line block ×4, first 2 shown]
	v_dual_lshrrev_b32 v134, 16, v5 :: v_dual_bitop2_b32 v125, 3, v5 bitop3:0x40
	v_dual_lshrrev_b32 v3, 24, v3 :: v_dual_bitop2_b32 v127, 3, v3 bitop3:0x40
	v_dual_lshrrev_b32 v5, 24, v5 :: v_dual_bitop2_b32 v132, 3, v132 bitop3:0x40
	v_and_b32_e32 v131, 3, v131
	v_mul_i32_i24_e32 v115, v121, v192
	v_mul_i32_i24_e32 v118, v122, v192
	;; [unrolled: 1-line block ×4, first 2 shown]
	v_add3_u32 v72, v72, v105, v113
	v_add3_u32 v6, v6, v112, v114
	v_and_b32_e32 v134, 3, v134
	v_and_b32_e32 v133, 3, v133
	;; [unrolled: 1-line block ×4, first 2 shown]
	v_mul_i32_i24_e32 v119, v127, v201
	v_mul_i32_i24_e32 v120, v125, v201
	;; [unrolled: 1-line block ×4, first 2 shown]
	v_add3_u32 v4, v6, v118, v4
	v_add3_u32 v2, v72, v115, v2
	v_mul_i32_i24_e32 v125, v133, v200
	v_mul_i32_i24_e32 v127, v134, v200
	;; [unrolled: 1-line block ×3, first 2 shown]
	v_add3_u32 v4, v4, v120, v122
	v_add3_u32 v2, v2, v119, v121
	v_lshrrev_b32_e32 v121, 24, v126
	v_mul_i32_i24_e32 v3, v3, v195
	ds_load_u16 v6, v129 offset:17904
	v_add3_u32 v4, v4, v127, v5
	v_and_b32_e32 v135, 3, v144
	v_and_b32_e32 v121, 3, v121
	v_add3_u32 v5, v2, v125, v3
	ds_load_u16 v2, v109 offset:16880
	s_wait_dscnt 0x1
	v_lshrrev_b16 v72, 8, v6
	v_bfe_u32 v114, v6, 4, 4
	v_and_b32_e32 v6, 15, v6
	s_wait_dscnt 0x0
	v_lshrrev_b16 v3, 8, v2
	v_bfe_u32 v105, v2, 4, 4
	v_and_b32_e32 v112, 0xffff, v72
	v_and_b32_e32 v2, 15, v2
	;; [unrolled: 1-line block ×4, first 2 shown]
	v_lshrrev_b32_e32 v6, 24, v108
	v_mul_lo_u32 v105, 0x1010101, v105
	v_and_b32_e32 v125, 0xffff, v2
	v_lshrrev_b32_e32 v2, 4, v112
	v_and_b32_e32 v113, 0xffff, v3
	v_mul_lo_u32 v114, 0x1010101, v114
	v_mul_i32_i24_e32 v120, v120, v206
	s_delay_alu instid0(VALU_DEP_4) | instskip(SKIP_4) | instid1(VALU_DEP_3)
	v_mul_lo_u32 v2, 0x1010101, v2
	v_and_b32_e32 v117, 3, v117
	v_lshrrev_b32_e32 v113, 4, v113
	v_bfe_i32 v109, v105, 16, 8
	v_lshrrev_b32_e32 v119, 24, v105
	v_mul_lo_u32 v113, 0x1010101, v113
	v_dual_lshrrev_b32 v118, 24, v114 :: v_dual_bitop2_b32 v122, 3, v7 bitop3:0x40
	v_bfe_i32 v115, v114, 16, 8
	v_bfe_i32 v112, v2, 0, 8
	;; [unrolled: 1-line block ×3, first 2 shown]
	v_lshrrev_b32_e32 v132, 24, v2
	v_bfe_i32 v134, v2, 16, 8
	v_dual_lshrrev_b32 v2, 24, v128 :: v_dual_bitop2_b32 v128, 3, v6 bitop3:0x40
	v_dual_lshrrev_b32 v6, 16, v130 :: v_dual_lshrrev_b32 v133, 24, v113
	v_mul_i32_i24_e32 v117, v117, v206
	s_delay_alu instid0(VALU_DEP_3) | instskip(SKIP_1) | instid1(VALU_DEP_4)
	v_and_b32_e32 v108, 3, v2
	v_and_b32_e32 v2, 15, v3
	v_cvt_f32_f16_e32 v7, v6
	v_mul_i32_i24_e32 v122, v122, v204
	v_mul_i32_i24_e32 v121, v121, v204
	v_mul_i32_i24_e32 v108, v108, v203
	v_and_b32_e32 v137, 0xffff, v2
	v_cvt_f32_f16_e32 v2, v110
	v_lshrrev_b32_e32 v110, 16, v110
	v_bfe_i32 v127, v113, 0, 8
	v_bfe_i32 v131, v113, 8, 8
	;; [unrolled: 1-line block ×3, first 2 shown]
	v_mul_i32_i24_e32 v109, v218, v109
	v_cvt_f32_f16_e32 v6, v110
	v_bfe_i32 v110, v105, 8, 8
	v_bfe_i32 v105, v105, 0, 8
	v_mul_i32_i24_e32 v115, v218, v115
	v_and_b32_e32 v3, 15, v72
	s_delay_alu instid0(VALU_DEP_3) | instskip(NEXT) | instid1(VALU_DEP_2)
	v_mul_i32_i24_e32 v105, v217, v105
	v_and_b32_e32 v72, 0xffff, v3
	v_cvt_f32_f16_e64 v3, v130
	v_mul_i32_i24_e32 v130, v151, v102
	s_delay_alu instid0(VALU_DEP_4) | instskip(SKIP_2) | instid1(VALU_DEP_2)
	v_mad_i32_i24 v105, v211, v110, v105
	v_mul_i32_i24_e32 v110, v116, v205
	v_mul_i32_i24_e32 v116, v136, v205
	v_add3_u32 v70, v70, v104, v110
	v_mul_i32_i24_e32 v104, v123, v210
	v_mul_i32_i24_e32 v110, v124, v208
	s_delay_alu instid0(VALU_DEP_4)
	v_add3_u32 v103, v103, v107, v116
	v_mul_i32_i24_e32 v107, v143, v210
	v_add3_u32 v70, v70, v117, v122
	v_mul_i32_i24_e32 v117, v128, v203
	;; [unrolled: 2-line block ×3, first 2 shown]
	v_add3_u32 v4, v4, v111, v107
	v_add3_u32 v103, v103, v120, v121
	v_mul_i32_i24_e32 v107, v216, v113
	v_add3_u32 v5, v5, v110, v117
	v_mul_i32_i24_e32 v117, v212, v118
	v_bfe_i32 v118, v114, 8, 8
	v_bfe_i32 v114, v114, 0, 8
	v_add3_u32 v4, v4, v116, v108
	v_mul_i32_i24_e32 v116, v212, v119
	v_mul_i32_i24_e32 v110, v215, v127
	;; [unrolled: 1-line block ×6, first 2 shown]
	v_add3_u32 v105, v105, v109, v116
	v_mul_lo_u32 v103, v103, v126
	v_mad_i32_i24 v114, v211, v118, v114
	v_mul_i32_i24_e32 v104, v214, v133
	v_mul_i32_i24_e32 v106, v214, v132
	;; [unrolled: 1-line block ×3, first 2 shown]
	v_add3_u32 v105, v105, v110, v112
	v_add3_u32 v109, v114, v115, v117
	v_mul_lo_u32 v70, v70, v125
	v_mul_i32_i24_e32 v126, v149, v190
	v_mul_i32_i24_e32 v128, v150, v186
	v_add3_u32 v104, v105, v107, v104
	v_add3_u32 v109, v109, v111, v113
	v_mad_u32 v4, v4, v72, v103
	v_mul_i32_i24_e32 v72, v152, v193
	v_mul_i32_i24_e32 v103, v154, v194
	v_cvt_f32_i32_e32 v104, v104
	v_add3_u32 v105, v109, v108, v106
	v_mul_i32_i24_e32 v108, v160, v191
	v_mad_i32_i24 v72, v153, v182, v72
	v_mad_u32 v70, v5, v137, v70
	v_mul_i32_i24_e32 v109, v161, v188
	v_cvt_f32_i32_e32 v105, v105
	v_mul_i32_i24_e32 v127, v162, v192
	v_cvt_f32_i32_e32 v5, v4
	v_mul_i32_i24_e32 v129, v163, v189
	s_delay_alu instid0(VALU_DEP_4) | instskip(SKIP_4) | instid1(VALU_DEP_4)
	v_pk_mul_f32 v[6:7], v[6:7], v[104:105]
	v_mul_i32_i24_e32 v104, v155, v187
	v_mul_i32_i24_e32 v105, v159, v181
	v_cvt_f32_i32_e32 v4, v70
	v_mul_i32_i24_e32 v70, v185, v148
	v_add3_u32 v72, v72, v103, v104
	v_mul_i32_i24_e32 v103, v156, v183
	v_mul_i32_i24_e32 v104, v158, v184
	v_pk_fma_f32 v[2:3], v[2:3], v[4:5], v[6:7] neg_lo:[0,0,1] neg_hi:[0,0,1]
	s_delay_alu instid0(VALU_DEP_3) | instskip(NEXT) | instid1(VALU_DEP_2)
	v_mad_i32_i24 v103, v157, v180, v103
	v_pk_fma_f32 v[16:17], v[0:1], v[2:3], v[16:17] op_sel_hi:[0,1,1]
	s_delay_alu instid0(VALU_DEP_2)
	v_add3_u32 v103, v103, v104, v105
	ds_load_2addr_b32 v[104:105], v145 offset1:1
	ds_load_2addr_b32 v[106:107], v146 offset1:1
	ds_load_u16 v110, v147 offset:18928
	s_wait_dscnt 0x1
	v_dual_ashrrev_i32 v104, s20, v104 :: v_dual_ashrrev_i32 v106, s20, v106
	s_wait_dscnt 0x0
	v_lshrrev_b16 v111, 8, v110
	v_dual_ashrrev_i32 v105, s20, v105 :: v_dual_ashrrev_i32 v107, s20, v107
	s_delay_alu instid0(VALU_DEP_3) | instskip(SKIP_1) | instid1(VALU_DEP_4)
	v_dual_lshrrev_b32 v117, 8, v104 :: v_dual_bitop2_b32 v114, 3, v104 bitop3:0x40
	v_dual_lshrrev_b32 v116, 8, v106 :: v_dual_lshrrev_b32 v118, 16, v106
	v_and_b32_e32 v112, 0xffff, v111
	s_delay_alu instid0(VALU_DEP_3) | instskip(NEXT) | instid1(VALU_DEP_4)
	v_mul_i32_i24_e32 v114, v114, v199
	v_dual_lshrrev_b32 v119, 16, v104 :: v_dual_bitop2_b32 v117, 3, v117 bitop3:0x40
	s_delay_alu instid0(VALU_DEP_4) | instskip(SKIP_1) | instid1(VALU_DEP_4)
	v_and_b32_e32 v116, 3, v116
	v_dual_lshrrev_b32 v104, 24, v104 :: v_dual_bitop2_b32 v118, 3, v118 bitop3:0x40
	v_add3_u32 v70, v72, v114, v70
	v_dual_lshrrev_b32 v112, 4, v112 :: v_dual_bitop2_b32 v115, 3, v106 bitop3:0x40
	v_dual_lshrrev_b32 v106, 24, v106 :: v_dual_bitop2_b32 v119, 3, v119 bitop3:0x40
	s_delay_alu instid0(VALU_DEP_4)
	v_dual_lshrrev_b32 v123, 8, v105 :: v_dual_bitop2_b32 v104, 3, v104 bitop3:0x40
	v_mul_i32_i24_e32 v117, v117, v197
	v_add3_u32 v72, v103, v108, v109
	v_add3_u32 v70, v70, v126, v128
	v_bfe_u32 v113, v110, 4, 4
	v_mul_lo_u32 v112, 0x1010101, v112
	v_dual_lshrrev_b32 v122, 8, v107 :: v_dual_bitop2_b32 v106, 3, v106 bitop3:0x40
	v_dual_lshrrev_b32 v125, 16, v105 :: v_dual_bitop2_b32 v121, 3, v105 bitop3:0x40
	;; [unrolled: 1-line block ×3, first 2 shown]
	v_mul_i32_i24_e32 v115, v115, v201
	v_mul_i32_i24_e32 v116, v116, v202
	;; [unrolled: 1-line block ×4, first 2 shown]
	v_add3_u32 v72, v72, v127, v129
	v_add3_u32 v70, v70, v130, v117
	v_mul_lo_u32 v113, 0x1010101, v113
	v_dual_lshrrev_b32 v124, 16, v107 :: v_dual_bitop2_b32 v120, 3, v107 bitop3:0x40
	v_dual_lshrrev_b32 v107, 24, v107 :: v_dual_bitop2_b32 v122, 3, v122 bitop3:0x40
	;; [unrolled: 1-line block ×3, first 2 shown]
	v_and_b32_e32 v105, 3, v105
	v_mul_i32_i24_e32 v118, v118, v200
	v_mul_i32_i24_e32 v106, v106, v195
	;; [unrolled: 1-line block ×4, first 2 shown]
	v_add3_u32 v72, v72, v115, v116
	v_add3_u32 v70, v70, v119, v104
	v_and_b32_e32 v124, 3, v124
	v_and_b32_e32 v107, 3, v107
	v_mul_i32_i24_e32 v120, v120, v209
	v_mul_i32_i24_e32 v122, v122, v210
	;; [unrolled: 1-line block ×4, first 2 shown]
	v_add3_u32 v72, v72, v118, v106
	v_add3_u32 v70, v70, v121, v123
	v_mul_i32_i24_e32 v124, v124, v208
	v_mul_i32_i24_e32 v107, v107, v203
	v_bfe_i32 v104, v112, 16, 8
	v_add3_u32 v72, v72, v120, v122
	v_add3_u32 v70, v70, v125, v105
	v_bfe_i32 v105, v112, 8, 8
	v_bfe_i32 v106, v112, 0, 8
	;; [unrolled: 1-line block ×3, first 2 shown]
	v_add3_u32 v72, v72, v124, v107
	v_lshrrev_b32_e32 v107, 24, v113
	v_bfe_i32 v108, v113, 16, 8
	v_bfe_i32 v109, v113, 8, 8
	v_mul_i32_i24_e32 v112, v217, v112
	v_mul_i32_i24_e32 v106, v215, v106
	v_mul_i32_i24_e32 v107, v212, v107
	v_mul_i32_i24_e32 v108, v218, v108
	v_mul_i32_i24_e32 v105, v213, v105
	v_mad_i32_i24 v109, v211, v109, v112
	v_mul_i32_i24_e32 v104, v216, v104
	v_mul_i32_i24_e32 v103, v214, v103
	s_delay_alu instid0(VALU_DEP_3) | instskip(NEXT) | instid1(VALU_DEP_1)
	v_add3_u32 v107, v109, v108, v107
	v_add3_u32 v105, v107, v106, v105
	v_mul_i32_i24_e32 v106, v173, v187
	s_delay_alu instid0(VALU_DEP_2) | instskip(SKIP_2) | instid1(VALU_DEP_2)
	v_add3_u32 v103, v105, v104, v103
	v_mul_i32_i24_e32 v104, v170, v193
	v_mul_i32_i24_e32 v105, v172, v194
	v_mad_i32_i24 v104, v171, v182, v104
	s_delay_alu instid0(VALU_DEP_1) | instskip(SKIP_3) | instid1(VALU_DEP_3)
	v_add3_u32 v108, v104, v105, v106
	v_mul_i32_i24_e32 v104, v174, v183
	v_mul_i32_i24_e32 v105, v176, v184
	;; [unrolled: 1-line block ×3, first 2 shown]
	v_mad_i32_i24 v104, v175, v180, v104
	s_delay_alu instid0(VALU_DEP_1)
	v_add3_u32 v109, v104, v105, v106
	ds_load_2addr_b32 v[104:105], v166 offset1:1
	ds_load_2addr_b32 v[106:107], v167 offset1:1
	ds_load_u16 v112, v168 offset:19952
	v_and_b32_e32 v110, 15, v110
	s_wait_dscnt 0x2
	v_dual_ashrrev_i32 v105, s20, v105 :: v_dual_bitop2_b32 v111, 15, v111 bitop3:0x40
	v_ashrrev_i32_e32 v104, s20, v104
	s_wait_dscnt 0x0
	v_lshrrev_b16 v113, 8, v112
	v_ashrrev_i32_e32 v107, s20, v107
	v_and_b32_e32 v110, 0xffff, v110
	v_ashrrev_i32_e32 v106, s20, v106
	v_bfe_u32 v115, v112, 4, 4
	v_and_b32_e32 v114, 0xffff, v113
	v_and_b32_e32 v116, 3, v104
	v_mul_lo_u32 v70, v70, v110
	v_dual_lshrrev_b32 v118, 8, v106 :: v_dual_bitop2_b32 v117, 3, v106 bitop3:0x40
	s_delay_alu instid0(VALU_DEP_4) | instskip(SKIP_2) | instid1(VALU_DEP_4)
	v_dual_lshrrev_b32 v114, 4, v114 :: v_dual_lshrrev_b32 v119, 8, v104
	v_mul_lo_u32 v115, 0x1010101, v115
	v_and_b32_e32 v111, 0xffff, v111
	v_and_b32_e32 v118, 3, v118
	s_delay_alu instid0(VALU_DEP_4)
	v_mul_lo_u32 v114, 0x1010101, v114
	v_dual_lshrrev_b32 v120, 16, v106 :: v_dual_bitop2_b32 v119, 3, v119 bitop3:0x40
	v_dual_lshrrev_b32 v121, 16, v104 :: v_dual_lshrrev_b32 v106, 24, v106
	v_mad_u32 v70, v72, v111, v70
	v_cvt_f32_i32_e32 v72, v103
	v_mul_i32_i24_e32 v103, v185, v169
	v_mul_i32_i24_e32 v110, v178, v191
	;; [unrolled: 1-line block ×3, first 2 shown]
	v_dual_lshrrev_b32 v104, 24, v104 :: v_dual_bitop2_b32 v121, 3, v121 bitop3:0x40
	v_dual_lshrrev_b32 v125, 8, v105 :: v_dual_bitop2_b32 v106, 3, v106 bitop3:0x40
	v_mul_i32_i24_e32 v116, v116, v199
	s_delay_alu instid0(VALU_DEP_3) | instskip(NEXT) | instid1(VALU_DEP_3)
	v_dual_lshrrev_b32 v126, 16, v107 :: v_dual_bitop2_b32 v104, 3, v104 bitop3:0x40
	v_dual_lshrrev_b32 v128, 24, v114 :: v_dual_bitop2_b32 v125, 3, v125 bitop3:0x40
	v_lshrrev_b16 v129, 8, v115
	s_delay_alu instid0(VALU_DEP_4)
	v_add3_u32 v103, v108, v116, v103
	v_add3_u32 v108, v109, v110, v111
	v_dual_lshrrev_b32 v124, 8, v107 :: v_dual_bitop2_b32 v120, 3, v120 bitop3:0x40
	v_and_b32_e32 v126, 3, v126
	v_bfe_i32 v130, v115, 0, 8
	v_bfe_i32 v131, v115, 16, 8
	v_lshrrev_b32_e32 v115, 24, v115
	v_bfe_i32 v132, v114, 16, 8
	v_bfe_i32 v133, v114, 8, 8
	;; [unrolled: 1-line block ×4, first 2 shown]
	v_mul_i32_i24_e32 v117, v117, v201
	v_mul_i32_i24_e32 v102, v119, v197
	;; [unrolled: 1-line block ×3, first 2 shown]
	v_add3_u32 v76, v108, v77, v76
	v_add3_u32 v74, v103, v75, v74
	v_mul_i32_i24_e32 v103, v214, v128
	v_dual_lshrrev_b32 v127, 16, v105 :: v_dual_bitop2_b32 v122, 3, v107 bitop3:0x40
	v_dual_lshrrev_b32 v107, 24, v107 :: v_dual_bitop2_b32 v123, 3, v105 bitop3:0x40
	;; [unrolled: 1-line block ×3, first 2 shown]
	v_mul_i32_i24_e32 v119, v121, v198
	v_mul_i32_i24_e32 v104, v104, v196
	v_add3_u32 v73, v74, v73, v102
	v_add3_u32 v74, v76, v117, v118
	v_mul_i32_i24_e32 v75, v211, v129
	v_mul_i32_i24_e32 v76, v215, v114
	;; [unrolled: 1-line block ×4, first 2 shown]
	v_mad_i32_i24 v103, v212, v115, v103
	v_and_b32_e32 v127, 3, v127
	v_and_b32_e32 v105, 3, v105
	v_mul_i32_i24_e32 v121, v123, v207
	v_mul_i32_i24_e32 v123, v125, v205
	v_add3_u32 v73, v73, v119, v104
	v_mad_i32_i24 v102, v218, v131, v102
	v_mad_i32_i24 v76, v217, v130, v76
	v_add3_u32 v75, v75, v77, v103
	v_mul_i32_i24_e32 v125, v127, v206
	v_mul_i32_i24_e32 v105, v105, v204
	v_add3_u32 v73, v73, v121, v123
	v_mul_i32_i24_e32 v120, v120, v200
	v_add3_u32 v77, v76, v102, v75
	v_and_b32_e32 v75, 15, v112
	v_mul_i32_i24_e32 v106, v106, v195
	v_add3_u32 v73, v73, v125, v105
	v_and_b32_e32 v107, 3, v107
	v_mul_i32_i24_e32 v122, v122, v209
	v_and_b32_e32 v75, 0xffff, v75
	v_mul_i32_i24_e32 v124, v124, v210
	v_add3_u32 v74, v74, v120, v106
	v_mul_i32_i24_e32 v126, v126, v208
	v_mul_i32_i24_e32 v107, v107, v203
	v_mul_lo_u32 v73, v73, v75
	v_and_b32_e32 v76, 15, v113
	v_add3_u32 v74, v74, v122, v124
	v_cvt_f32_i32_e32 v77, v77
	v_cvt_f32_i32_e32 v70, v70
	v_mul_f32_e32 v72, v165, v72
	v_and_b32_e32 v76, 0xffff, v76
	v_add3_u32 v74, v74, v126, v107
	s_add_co_i32 s20, s1, 2
	v_mul_f32_e32 v70, v164, v70
	s_cmp_lt_u32 s1, 22
	s_mov_b32 s1, s20
	v_mad_u32 v73, v74, v76, v73
	v_cvt_f32_f16_e32 v74, v71
	v_lshrrev_b32_e32 v71, 16, v71
	s_delay_alu instid0(VALU_DEP_1) | instskip(NEXT) | instid1(VALU_DEP_4)
	v_cvt_f32_f16_e32 v75, v71
	v_cvt_f32_i32_e32 v76, v73
	s_delay_alu instid0(VALU_DEP_1) | instskip(NEXT) | instid1(VALU_DEP_1)
	v_pk_mul_f32 v[74:75], v[74:75], v[76:77]
	v_dual_mov_b32 v71, v74 :: v_dual_mov_b32 v73, v75
	s_delay_alu instid0(VALU_DEP_1) | instskip(NEXT) | instid1(VALU_DEP_1)
	v_pk_add_f32 v[4:5], v[70:71], v[72:73] neg_lo:[0,1] neg_hi:[0,1]
	v_pk_fma_f32 v[14:15], v[0:1], v[4:5], v[14:15] op_sel_hi:[0,1,1]
	v_add_nc_u32_e32 v1, 32, v1
	s_cbranch_scc1 .LBB228_27
; %bb.28:                               ;   in Loop: Header=BB228_5 Depth=1
	s_or_b32 s1, s18, 0x180
	s_delay_alu instid0(SALU_CYCLE_1)
	s_cmp_ge_i32 s1, s5
	s_barrier_signal -1
	s_barrier_wait -1
	s_cbranch_scc1 .LBB228_4
; %bb.29:                               ;   in Loop: Header=BB228_5 Depth=1
	v_add_nc_u32_e32 v0, s19, v88
	s_delay_alu instid0(VALU_DEP_1) | instskip(SKIP_1) | instid1(SALU_CYCLE_1)
	v_cmp_gt_i32_e64 s1, s6, v0
	s_and_b32 s18, s0, s1
	s_and_saveexec_b32 s1, s18
	s_cbranch_execz .LBB228_31
; %bb.30:                               ;   in Loop: Header=BB228_5 Depth=1
	v_add_nc_u32_e32 v0, v18, v0
	s_delay_alu instid0(VALU_DEP_1)
	v_mad_nc_i64_i32 v[0:1], v0, 36, v[20:21]
	global_load_b32 v0, v[0:1], off offset:4
	s_wait_loadcnt 0x0
	ds_store_b32 v67, v0
.LBB228_31:                             ;   in Loop: Header=BB228_5 Depth=1
	s_or_b32 exec_lo, exec_lo, s1
	s_and_saveexec_b32 s18, vcc_lo
	s_cbranch_execz .LBB228_34
; %bb.32:                               ;   in Loop: Header=BB228_5 Depth=1
	v_or_b32_e32 v0, 12, v68
	s_delay_alu instid0(VALU_DEP_1) | instskip(SKIP_1) | instid1(SALU_CYCLE_1)
	v_cmp_gt_i32_e64 s1, s6, v0
	s_and_b32 s1, s0, s1
	s_and_b32 exec_lo, exec_lo, s1
	s_cbranch_execz .LBB228_34
; %bb.33:                               ;   in Loop: Header=BB228_5 Depth=1
	v_ashrrev_i32_e32 v69, 31, v68
	s_delay_alu instid0(VALU_DEP_1) | instskip(NEXT) | instid1(VALU_DEP_1)
	v_add_nc_u64_e32 v[0:1], v[18:19], v[68:69]
	v_mad_nc_u64_u32 v[2:3], v0, 36, s[2:3]
	s_delay_alu instid0(VALU_DEP_1)
	v_mad_i32_i24 v3, v1, 36, v3
	global_load_b32 v0, v[2:3], off offset:432
	s_wait_loadcnt 0x0
	v_cvt_f32_f16_e32 v0, v0
	ds_store_b32 v85, v0
.LBB228_34:                             ;   in Loop: Header=BB228_5 Depth=1
	s_or_b32 exec_lo, exec_lo, s18
	v_dual_mov_b32 v1, v61 :: v_dual_mov_b32 v74, v78
	s_mov_b32 s1, 24
	s_wait_dscnt 0x0
	s_barrier_signal -1
	s_barrier_wait -1
.LBB228_35:                             ;   Parent Loop BB228_5 Depth=1
                                        ; =>  This Inner Loop Header: Depth=2
	s_and_b32 s20, s1, 0x3ffffff8
	s_sub_co_i32 s18, s1, 24
	v_lshl_add_u32 v70, s20, 2, v89
	s_lshr_b32 s20, s1, 2
	s_and_b32 s19, s1, -16
	s_and_b32 s20, s20, 0x3ffffffc
	s_add_co_i32 s19, s1, s19
	ds_load_2addr_b32 v[2:3], v70 offset1:1
	s_addk_co_i32 s20, 0x5280
	ds_load_2addr_b32 v[6:7], v70 offset0:2 offset1:3
	ds_load_b32 v0, v74
	v_add_nc_u32_e32 v126, 0x1094, v70
	v_add_nc_u32_e32 v144, 0x2108, v70
	;; [unrolled: 1-line block ×3, first 2 shown]
	v_dual_add_nc_u32 v128, s19, v49 :: v_dual_add_nc_u32 v74, 4, v74
	s_wait_dscnt 0x2
	v_dual_ashrrev_i32 v106, s18, v2 :: v_dual_ashrrev_i32 v4, s18, v3
	ds_load_2addr_b32 v[2:3], v70 offset0:4 offset1:7
	v_dual_add_nc_u32 v108, s19, v47 :: v_dual_lshrrev_b32 v113, 24, v4
	v_and_b32_e32 v110, 3, v4
	v_bfe_u32 v111, v4, 8, 2
	v_bfe_u32 v112, v4, 16, 2
	s_wait_dscnt 0x0
	v_dual_ashrrev_i32 v2, s18, v2 :: v_dual_ashrrev_i32 v107, s18, v3
	v_add3_u32 v3, s20, v101, v90
	s_delay_alu instid0(VALU_DEP_2)
	v_dual_lshrrev_b32 v120, 24, v2 :: v_dual_bitop2_b32 v117, 3, v2 bitop3:0x40
	v_bfe_u32 v118, v2, 8, 2
	v_bfe_u32 v119, v2, 16, 2
	v_add_nc_u32_e32 v2, 0x1080, v70
	ds_load_b32 v109, v3
	v_dual_lshrrev_b32 v123, 16, v107 :: v_dual_bitop2_b32 v121, 3, v107 bitop3:0x40
	v_bfe_u32 v122, v107, 8, 2
	ds_load_2addr_b32 v[2:3], v2 offset1:1
	v_ashrrev_i32_e32 v7, s18, v7
	v_and_b32_e32 v123, 3, v123
	s_delay_alu instid0(VALU_DEP_2) | instskip(SKIP_1) | instid1(VALU_DEP_2)
	v_dual_lshrrev_b32 v116, 16, v7 :: v_dual_bitop2_b32 v114, 3, v7 bitop3:0x40
	v_bfe_u32 v115, v7, 8, 2
	v_dual_lshrrev_b32 v7, 24, v7 :: v_dual_bitop2_b32 v116, 3, v116 bitop3:0x40
	s_wait_dscnt 0x0
	v_dual_ashrrev_i32 v124, s18, v2 :: v_dual_ashrrev_i32 v4, s18, v3
	v_add_nc_u32_e32 v2, 0x1088, v70
	s_delay_alu instid0(VALU_DEP_2)
	v_dual_lshrrev_b32 v133, 24, v4 :: v_dual_bitop2_b32 v130, 3, v4 bitop3:0x40
	ds_load_2addr_b32 v[68:69], v2 offset1:1
	v_add_nc_u32_e32 v2, 0x1000, v70
	v_bfe_u32 v131, v4, 8, 2
	v_bfe_u32 v132, v4, 16, 2
	ds_load_2addr_b32 v[2:3], v2 offset0:36 offset1:39
	s_wait_dscnt 0x1
	v_ashrrev_i32_e32 v125, s18, v69
	v_add3_u32 v69, s20, v93, v94
	s_wait_dscnt 0x0
	v_dual_ashrrev_i32 v2, s18, v2 :: v_dual_ashrrev_i32 v127, s18, v3
	v_add3_u32 v3, s20, v91, v92
	ds_load_b32 v69, v69
	v_dual_lshrrev_b32 v136, 16, v125 :: v_dual_bitop2_b32 v134, 3, v125 bitop3:0x40
	v_dual_lshrrev_b32 v140, 24, v2 :: v_dual_bitop2_b32 v137, 3, v2 bitop3:0x40
	v_bfe_u32 v138, v2, 8, 2
	v_bfe_u32 v139, v2, 16, 2
	v_add_nc_u32_e32 v2, 0x2100, v70
	ds_load_b32 v129, v3
	v_bfe_u32 v135, v125, 8, 2
	v_dual_lshrrev_b32 v143, 16, v127 :: v_dual_bitop2_b32 v141, 3, v127 bitop3:0x40
	ds_load_2addr_b32 v[2:3], v2 offset1:1
	v_bfe_u32 v142, v127, 8, 2
	s_wait_dscnt 0x2
	v_cvt_f32_f16_e64 v163, v69
	v_add_nc_u32_e32 v145, 0x2118, v70
	s_wait_dscnt 0x0
	v_dual_ashrrev_i32 v4, s18, v2 :: v_dual_ashrrev_i32 v5, s18, v3
	v_add_nc_u32_e32 v2, 0x2110, v70
	s_delay_alu instid0(VALU_DEP_2)
	v_dual_add_nc_u32 v146, s19, v51 :: v_dual_bitop2_b32 v147, 3, v4 bitop3:0x40
	v_bfe_u32 v148, v4, 8, 2
	ds_load_2addr_b32 v[2:3], v2 offset1:1
	v_bfe_u32 v149, v4, 16, 2
	v_bfe_u32 v150, v4, 24, 2
	;; [unrolled: 1-line block ×5, first 2 shown]
	s_wait_dscnt 0x0
	v_dual_ashrrev_i32 v2, s18, v2 :: v_dual_ashrrev_i32 v3, s18, v3
	s_delay_alu instid0(VALU_DEP_1)
	v_and_b32_e32 v155, 3, v2
	v_bfe_u32 v156, v2, 8, 2
	v_bfe_u32 v157, v2, 16, 2
	v_bfe_u32 v158, v2, 24, 2
	v_dual_lshrrev_b32 v2, 16, v69 :: v_dual_bitop2_b32 v159, 3, v3 bitop3:0x40
	v_bfe_u32 v160, v3, 8, 2
	v_bfe_u32 v161, v3, 16, 2
	;; [unrolled: 1-line block ×3, first 2 shown]
	s_delay_alu instid0(VALU_DEP_4)
	v_cvt_f32_f16_e64 v164, v2
	v_add_nc_u32_e32 v2, 0x3180, v70
	v_add3_u32 v69, s20, v95, v96
	v_add_nc_u32_e32 v165, 0x3188, v70
	ds_load_2addr_b32 v[2:3], v2 offset1:1
	ds_load_b32 v69, v69
	s_wait_dscnt 0x1
	v_dual_ashrrev_i32 v4, s18, v2 :: v_dual_bitop2_b32 v151, 3, v5 bitop3:0x40
	v_add_nc_u32_e32 v2, 0x3190, v70
	v_dual_ashrrev_i32 v5, s18, v3 :: v_dual_add_nc_u32 v167, s19, v53
	s_delay_alu instid0(VALU_DEP_3)
	v_and_b32_e32 v168, 3, v4
	ds_load_2addr_b32 v[2:3], v2 offset1:1
	v_bfe_u32 v73, v4, 8, 2
	v_bfe_u32 v72, v4, 16, 2
	;; [unrolled: 1-line block ×3, first 2 shown]
	v_and_b32_e32 v169, 3, v5
	v_bfe_u32 v170, v5, 8, 2
	v_bfe_u32 v171, v5, 16, 2
	;; [unrolled: 1-line block ×3, first 2 shown]
	s_wait_dscnt 0x0
	v_dual_ashrrev_i32 v2, s18, v2 :: v_dual_ashrrev_i32 v3, s18, v3
	s_delay_alu instid0(VALU_DEP_1)
	v_and_b32_e32 v173, 3, v2
	v_bfe_u32 v174, v2, 8, 2
	v_bfe_u32 v175, v2, 16, 2
	;; [unrolled: 1-line block ×3, first 2 shown]
	v_and_b32_e32 v177, 3, v3
	v_bfe_u32 v178, v3, 8, 2
	v_bfe_u32 v76, v3, 16, 2
	v_bfe_u32 v75, v3, 24, 2
	ds_load_b128 v[2:5], v1
	ds_load_b128 v[102:105], v1 offset:16
	s_wait_dscnt 0x1
	v_ashrrev_i32_e32 v77, 24, v2
	s_wait_dscnt 0x0
	v_lshrrev_b16 v179, 8, v102
	v_ashrrev_i32_e32 v180, 24, v102
	v_bfe_i32 v182, v102, 0, 8
	v_bfe_i32 v183, v102, 16, 8
	;; [unrolled: 1-line block ×4, first 2 shown]
	v_lshrrev_b16 v102, 8, v103
	v_bfe_i32 v189, v2, 8, 8
	v_lshrrev_b16 v2, 8, v4
	v_bfe_i32 v179, v179, 0, 8
	v_ashrrev_i32_e32 v186, 24, v3
	v_bfe_i32 v187, v102, 0, 8
	v_dual_ashrrev_i32 v188, 24, v103 :: v_dual_ashrrev_i32 v194, 24, v104
	v_bfe_i32 v193, v3, 16, 8
	v_bfe_i32 v196, v2, 0, 8
	v_lshrrev_b16 v2, 8, v5
	v_bfe_i32 v181, v3, 8, 8
	v_bfe_i32 v192, v3, 0, 8
	v_dual_ashrrev_i32 v195, 24, v4 :: v_dual_ashrrev_i32 v202, 24, v105
	v_bfe_i32 v197, v4, 16, 8
	v_bfe_i32 v198, v4, 0, 8
	;; [unrolled: 1-line block ×3, first 2 shown]
	v_ashrrev_i32_e32 v203, 24, v5
	v_bfe_i32 v204, v2, 0, 8
	v_bfe_i32 v205, v5, 16, 8
	;; [unrolled: 1-line block ×4, first 2 shown]
	v_dual_add_nc_u32 v2, v188, v180 :: v_dual_add_nc_u32 v3, v187, v179
	v_add_nc_u32_e32 v4, v186, v77
	v_dual_add_nc_u32 v5, v193, v185 :: v_dual_add_nc_u32 v102, v192, v184
	v_bfe_i32 v190, v103, 0, 8
	v_bfe_i32 v191, v103, 16, 8
	;; [unrolled: 1-line block ×4, first 2 shown]
	v_add_nc_u32_e32 v105, v189, v181
	v_add3_u32 v211, v4, v195, v203
	v_add3_u32 v212, v3, v201, v209
	;; [unrolled: 1-line block ×4, first 2 shown]
	v_mul_i32_i24_e32 v2, v110, v192
	v_mul_i32_i24_e32 v3, v130, v192
	v_dual_ashrrev_i32 v4, s18, v6 :: v_dual_ashrrev_i32 v5, s18, v68
	v_and_b32_e32 v68, 3, v106
	v_and_b32_e32 v130, 3, v133
	s_delay_alu instid0(VALU_DEP_3)
	v_dual_lshrrev_b32 v220, 16, v4 :: v_dual_bitop2_b32 v113, 3, v113 bitop3:0x40
	v_bfe_i32 v199, v104, 16, 8
	v_bfe_i32 v200, v104, 0, 8
	v_dual_add_nc_u32 v103, v191, v183 :: v_dual_add_nc_u32 v104, v190, v182
	v_add3_u32 v210, v105, v196, v204
	v_mul_i32_i24_e32 v105, v134, v206
	v_dual_lshrrev_b32 v219, 8, v5 :: v_dual_bitop2_b32 v6, 3, v124 bitop3:0x40
	v_dual_lshrrev_b32 v221, 16, v5 :: v_dual_bitop2_b32 v133, 3, v5 bitop3:0x40
	;; [unrolled: 1-line block ×3, first 2 shown]
	v_mul_i32_i24_e32 v112, v112, v193
	v_mul_i32_i24_e32 v132, v132, v193
	;; [unrolled: 1-line block ×4, first 2 shown]
	v_mad_i32_i24 v3, v131, v181, v3
	v_mad_i32_i24 v2, v111, v181, v2
	v_add3_u32 v214, v104, v200, v208
	v_add3_u32 v215, v103, v199, v207
	;; [unrolled: 1-line block ×3, first 2 shown]
	v_mul_i32_i24_e32 v102, v114, v206
	v_mul_i32_i24_e32 v103, v118, v179
	;; [unrolled: 1-line block ×3, first 2 shown]
	v_bfe_u32 v110, v124, 8, 2
	v_bfe_u32 v114, v106, 8, 2
	;; [unrolled: 1-line block ×6, first 2 shown]
	v_lshrrev_b32_e32 v4, 24, v4
	v_mul_i32_i24_e32 v68, v184, v68
	v_mul_i32_i24_e32 v6, v184, v6
	;; [unrolled: 1-line block ×4, first 2 shown]
	v_add3_u32 v2, v2, v112, v113
	v_add3_u32 v3, v3, v132, v130
	v_dual_lshrrev_b32 v5, 24, v5 :: v_dual_bitop2_b32 v219, 3, v219 bitop3:0x40
	v_and_b32_e32 v218, 3, v218
	v_mul_i32_i24_e32 v114, v189, v114
	v_mul_i32_i24_e32 v110, v189, v110
	;; [unrolled: 1-line block ×4, first 2 shown]
	v_add3_u32 v3, v3, v133, v6
	v_add3_u32 v2, v2, v134, v68
	v_and_b32_e32 v221, 3, v221
	v_and_b32_e32 v220, 3, v220
	;; [unrolled: 1-line block ×4, first 2 shown]
	v_mul_i32_i24_e32 v121, v77, v121
	v_mul_i32_i24_e32 v118, v77, v118
	;; [unrolled: 1-line block ×4, first 2 shown]
	v_add3_u32 v2, v2, v114, v106
	v_add3_u32 v3, v3, v110, v124
	v_mul_i32_i24_e32 v220, v220, v197
	v_mul_i32_i24_e32 v221, v221, v197
	;; [unrolled: 1-line block ×4, first 2 shown]
	v_add3_u32 v3, v3, v118, v219
	v_add3_u32 v2, v2, v121, v218
	v_mul_i32_i24_e32 v6, v137, v182
	v_mul_i32_i24_e32 v119, v119, v183
	;; [unrolled: 1-line block ×3, first 2 shown]
	v_add3_u32 v106, v3, v221, v5
	v_add3_u32 v68, v2, v220, v4
	ds_load_2addr_b32 v[2:3], v70 offset0:5 offset1:6
	ds_load_2addr_b32 v[4:5], v126 offset1:1
	v_mad_i32_i24 v103, v117, v182, v103
	v_mad_i32_i24 v6, v138, v179, v6
	v_mul_i32_i24_e32 v110, v141, v208
	v_mul_i32_i24_e32 v73, v73, v189
	;; [unrolled: 1-line block ×6, first 2 shown]
	s_wait_dscnt 0x0
	v_dual_ashrrev_i32 v2, s18, v2 :: v_dual_ashrrev_i32 v4, s18, v4
	v_and_b32_e32 v70, 3, v140
	v_dual_ashrrev_i32 v3, s18, v3 :: v_dual_bitop2_b32 v111, 3, v120 bitop3:0x40
	s_delay_alu instid0(VALU_DEP_3) | instskip(SKIP_2) | instid1(VALU_DEP_3)
	v_dual_lshrrev_b32 v114, 8, v2 :: v_dual_bitop2_b32 v112, 3, v4 bitop3:0x40
	v_dual_lshrrev_b32 v118, 8, v4 :: v_dual_ashrrev_i32 v5, s18, v5
	v_dual_lshrrev_b32 v121, 16, v4 :: v_dual_bitop2_b32 v113, 3, v2 bitop3:0x40
	v_dual_lshrrev_b32 v130, 8, v3 :: v_dual_bitop2_b32 v114, 3, v114 bitop3:0x40
	s_delay_alu instid0(VALU_DEP_3) | instskip(SKIP_4) | instid1(VALU_DEP_4)
	v_dual_lshrrev_b32 v4, 24, v4 :: v_dual_bitop2_b32 v118, 3, v118 bitop3:0x40
	v_dual_lshrrev_b32 v120, 16, v2 :: v_dual_lshrrev_b32 v2, 24, v2
	v_mul_i32_i24_e32 v111, v111, v180
	v_mul_i32_i24_e32 v70, v70, v180
	v_dual_lshrrev_b32 v132, 16, v3 :: v_dual_bitop2_b32 v121, 3, v121 bitop3:0x40
	v_dual_lshrrev_b32 v131, 8, v5 :: v_dual_bitop2_b32 v120, 3, v120 bitop3:0x40
	;; [unrolled: 1-line block ×3, first 2 shown]
	v_and_b32_e32 v2, 3, v2
	v_add3_u32 v6, v6, v134, v70
	v_add3_u32 v70, v103, v119, v111
	v_mul_i32_i24_e32 v103, v113, v190
	v_mul_i32_i24_e32 v111, v112, v190
	;; [unrolled: 1-line block ×4, first 2 shown]
	v_dual_lshrrev_b32 v5, 24, v5 :: v_dual_bitop2_b32 v124, 3, v5 bitop3:0x40
	v_and_b32_e32 v126, 3, v3
	v_and_b32_e32 v131, 3, v131
	v_dual_lshrrev_b32 v3, 24, v3 :: v_dual_bitop2_b32 v130, 3, v130 bitop3:0x40
	v_mul_i32_i24_e32 v114, v120, v191
	v_mul_i32_i24_e32 v117, v121, v191
	;; [unrolled: 1-line block ×4, first 2 shown]
	v_add3_u32 v70, v70, v103, v112
	v_add3_u32 v6, v6, v111, v113
	v_and_b32_e32 v133, 3, v133
	v_and_b32_e32 v132, 3, v132
	v_and_b32_e32 v5, 3, v5
	v_and_b32_e32 v3, 3, v3
	v_mul_i32_i24_e32 v118, v126, v200
	v_mul_i32_i24_e32 v119, v124, v200
	;; [unrolled: 1-line block ×4, first 2 shown]
	v_add3_u32 v4, v6, v117, v4
	v_add3_u32 v2, v70, v114, v2
	v_mul_i32_i24_e32 v126, v133, v199
	v_mul_i32_i24_e32 v3, v3, v194
	v_mul_i32_i24_e32 v5, v5, v194
	v_add3_u32 v4, v4, v119, v121
	v_add3_u32 v2, v2, v118, v120
	v_lshrrev_b32_e32 v120, 24, v125
	v_mul_i32_i24_e32 v124, v132, v199
	ds_load_u16 v6, v128 offset:17904
	v_add3_u32 v4, v4, v126, v5
	v_and_b32_e32 v119, 3, v136
	v_and_b32_e32 v120, 3, v120
	v_add3_u32 v5, v2, v124, v3
	ds_load_u16 v2, v108 offset:16880
	v_and_b32_e32 v134, 3, v143
	s_wait_dscnt 0x1
	v_lshrrev_b16 v70, 8, v6
	v_bfe_u32 v113, v6, 4, 4
	v_and_b32_e32 v6, 15, v6
	s_wait_dscnt 0x0
	v_lshrrev_b16 v3, 8, v2
	v_bfe_u32 v103, v2, 4, 4
	v_and_b32_e32 v111, 0xffff, v70
	v_and_b32_e32 v2, 15, v2
	;; [unrolled: 1-line block ×4, first 2 shown]
	v_mul_lo_u32 v103, 0x1010101, v103
	v_lshrrev_b32_e32 v6, 24, v107
	v_and_b32_e32 v124, 0xffff, v2
	s_delay_alu instid0(VALU_DEP_4) | instskip(SKIP_2) | instid1(VALU_DEP_3)
	v_dual_lshrrev_b32 v2, 4, v111 :: v_dual_lshrrev_b32 v112, 4, v112
	v_mul_lo_u32 v113, 0x1010101, v113
	v_mul_i32_i24_e32 v116, v116, v205
	v_mul_lo_u32 v2, 0x1010101, v2
	s_delay_alu instid0(VALU_DEP_4) | instskip(SKIP_4) | instid1(VALU_DEP_3)
	v_mul_lo_u32 v112, 0x1010101, v112
	v_and_b32_e32 v121, 3, v7
	v_bfe_i32 v108, v103, 16, 8
	v_dual_lshrrev_b32 v118, 24, v103 :: v_dual_lshrrev_b32 v117, 24, v113
	v_bfe_i32 v114, v113, 16, 8
	v_mul_i32_i24_e32 v108, v217, v108
	v_bfe_i32 v111, v2, 0, 8
	v_bfe_i32 v128, v2, 8, 8
	v_lshrrev_b32_e32 v131, 24, v2
	v_bfe_i32 v133, v2, 16, 8
	v_dual_lshrrev_b32 v2, 24, v127 :: v_dual_bitop2_b32 v127, 3, v6 bitop3:0x40
	v_lshrrev_b32_e32 v6, 16, v129
	v_mul_i32_i24_e32 v119, v119, v205
	v_mul_i32_i24_e32 v120, v120, v203
	s_delay_alu instid0(VALU_DEP_4)
	v_and_b32_e32 v107, 3, v2
	v_and_b32_e32 v2, 15, v3
	v_cvt_f32_f16_e32 v7, v6
	v_lshrrev_b32_e32 v132, 24, v112
	v_mul_i32_i24_e32 v121, v121, v203
	v_mul_i32_i24_e32 v107, v107, v202
	v_and_b32_e32 v136, 0xffff, v2
	v_cvt_f32_f16_e32 v2, v109
	v_lshrrev_b32_e32 v109, 16, v109
	v_bfe_i32 v126, v112, 0, 8
	v_bfe_i32 v130, v112, 8, 8
	;; [unrolled: 1-line block ×3, first 2 shown]
	v_mul_i32_i24_e32 v114, v217, v114
	v_cvt_f32_f16_e32 v6, v109
	v_bfe_i32 v109, v103, 8, 8
	v_bfe_i32 v103, v103, 0, 8
	v_and_b32_e32 v3, 15, v70
	s_delay_alu instid0(VALU_DEP_2) | instskip(NEXT) | instid1(VALU_DEP_2)
	v_mul_i32_i24_e32 v103, v216, v103
	v_and_b32_e32 v70, 0xffff, v3
	v_cvt_f32_f16_e64 v3, v129
	v_mul_i32_i24_e32 v129, v150, v77
	s_delay_alu instid0(VALU_DEP_4) | instskip(SKIP_2) | instid1(VALU_DEP_2)
	v_mad_i32_i24 v103, v210, v109, v103
	v_mul_i32_i24_e32 v109, v115, v204
	v_mul_i32_i24_e32 v115, v135, v204
	v_add3_u32 v68, v68, v102, v109
	s_delay_alu instid0(VALU_DEP_2)
	v_add3_u32 v105, v106, v105, v115
	v_mul_i32_i24_e32 v109, v123, v207
	v_mul_i32_i24_e32 v106, v142, v209
	;; [unrolled: 1-line block ×3, first 2 shown]
	v_add3_u32 v68, v68, v116, v121
	v_add3_u32 v102, v105, v119, v120
	v_mul_i32_i24_e32 v105, v122, v209
	v_mul_i32_i24_e32 v116, v127, v202
	v_add3_u32 v4, v4, v110, v106
	v_mul_i32_i24_e32 v106, v215, v112
	v_mul_i32_i24_e32 v110, v214, v111
	v_add3_u32 v5, v5, v104, v105
	v_mul_i32_i24_e32 v111, v212, v130
	v_add3_u32 v4, v4, v115, v107
	v_mul_i32_i24_e32 v115, v211, v118
	v_mul_i32_i24_e32 v112, v212, v128
	v_add3_u32 v5, v5, v109, v116
	v_mul_i32_i24_e32 v116, v211, v117
	v_bfe_i32 v117, v113, 8, 8
	v_bfe_i32 v113, v113, 0, 8
	v_mul_i32_i24_e32 v109, v214, v126
	v_add3_u32 v103, v103, v108, v115
	v_mul_lo_u32 v102, v102, v125
	v_mul_i32_i24_e32 v104, v213, v132
	v_mul_i32_i24_e32 v113, v216, v113
	;; [unrolled: 1-line block ×4, first 2 shown]
	v_add3_u32 v103, v103, v109, v111
	v_mul_lo_u32 v68, v68, v124
	v_mad_i32_i24 v113, v210, v117, v113
	v_mul_i32_i24_e32 v125, v148, v189
	v_mul_i32_i24_e32 v126, v161, v191
	v_add3_u32 v104, v103, v106, v104
	v_mad_u32 v4, v4, v70, v102
	v_add3_u32 v108, v113, v114, v116
	v_mul_i32_i24_e32 v70, v151, v192
	v_mul_i32_i24_e32 v127, v149, v185
	v_cvt_f32_i32_e32 v102, v104
	v_mul_i32_i24_e32 v104, v158, v180
	v_add3_u32 v108, v108, v110, v112
	v_mad_i32_i24 v70, v152, v181, v70
	v_mad_u32 v68, v5, v136, v68
	v_mul_i32_i24_e32 v128, v162, v188
	s_delay_alu instid0(VALU_DEP_4) | instskip(SKIP_3) | instid1(VALU_DEP_4)
	v_add3_u32 v103, v108, v107, v105
	v_cvt_f32_i32_e32 v5, v4
	v_mul_i32_i24_e32 v107, v159, v190
	v_mul_i32_i24_e32 v108, v160, v187
	v_cvt_f32_i32_e32 v103, v103
	v_cvt_f32_i32_e32 v4, v68
	v_mul_i32_i24_e32 v68, v184, v147
	s_delay_alu instid0(VALU_DEP_3) | instskip(SKIP_2) | instid1(VALU_DEP_3)
	v_pk_mul_f32 v[6:7], v[6:7], v[102:103]
	v_mul_i32_i24_e32 v102, v153, v193
	v_mul_i32_i24_e32 v103, v154, v186
	v_pk_fma_f32 v[2:3], v[2:3], v[4:5], v[6:7] neg_lo:[0,0,1] neg_hi:[0,0,1]
	s_delay_alu instid0(VALU_DEP_2) | instskip(SKIP_2) | instid1(VALU_DEP_4)
	v_add3_u32 v70, v70, v102, v103
	v_mul_i32_i24_e32 v102, v155, v182
	v_mul_i32_i24_e32 v103, v157, v183
	v_pk_fma_f32 v[16:17], v[0:1], v[2:3], v[16:17] op_sel_hi:[0,1,1]
	s_delay_alu instid0(VALU_DEP_3) | instskip(NEXT) | instid1(VALU_DEP_1)
	v_mad_i32_i24 v102, v156, v179, v102
	v_add3_u32 v106, v102, v103, v104
	ds_load_2addr_b32 v[102:103], v144 offset1:1
	ds_load_2addr_b32 v[104:105], v145 offset1:1
	ds_load_u16 v109, v146 offset:18928
	s_wait_dscnt 0x1
	v_dual_ashrrev_i32 v102, s18, v102 :: v_dual_ashrrev_i32 v104, s18, v104
	s_wait_dscnt 0x0
	v_lshrrev_b16 v110, 8, v109
	v_bfe_u32 v112, v109, 4, 4
	s_delay_alu instid0(VALU_DEP_3) | instskip(SKIP_1) | instid1(VALU_DEP_4)
	v_dual_ashrrev_i32 v105, s18, v105 :: v_dual_bitop2_b32 v113, 3, v102 bitop3:0x40
	v_lshrrev_b32_e32 v116, 8, v102
	v_and_b32_e32 v111, 0xffff, v110
	v_dual_lshrrev_b32 v115, 8, v104 :: v_dual_ashrrev_i32 v103, s18, v103
	s_delay_alu instid0(VALU_DEP_4) | instskip(SKIP_1) | instid1(VALU_DEP_4)
	v_mul_i32_i24_e32 v113, v113, v198
	v_dual_lshrrev_b32 v118, 16, v102 :: v_dual_bitop2_b32 v114, 3, v104 bitop3:0x40
	v_lshrrev_b32_e32 v111, 4, v111
	s_delay_alu instid0(VALU_DEP_4)
	v_and_b32_e32 v115, 3, v115
	v_dual_lshrrev_b32 v102, 24, v102 :: v_dual_bitop2_b32 v116, 3, v116 bitop3:0x40
	v_dual_lshrrev_b32 v117, 16, v104 :: v_dual_lshrrev_b32 v104, 24, v104
	v_add3_u32 v68, v70, v113, v68
	v_add3_u32 v70, v106, v107, v108
	v_mul_lo_u32 v112, 0x1010101, v112
	v_mul_lo_u32 v111, 0x1010101, v111
	v_dual_lshrrev_b32 v122, 8, v103 :: v_dual_bitop2_b32 v117, 3, v117 bitop3:0x40
	v_dual_lshrrev_b32 v121, 8, v105 :: v_dual_bitop2_b32 v118, 3, v118 bitop3:0x40
	;; [unrolled: 1-line block ×4, first 2 shown]
	v_mul_i32_i24_e32 v114, v114, v200
	v_mul_i32_i24_e32 v116, v116, v196
	;; [unrolled: 1-line block ×3, first 2 shown]
	v_add3_u32 v70, v70, v126, v128
	v_add3_u32 v68, v68, v125, v127
	v_dual_lshrrev_b32 v105, 24, v105 :: v_dual_bitop2_b32 v119, 3, v105 bitop3:0x40
	v_dual_lshrrev_b32 v103, 24, v103 :: v_dual_bitop2_b32 v120, 3, v103 bitop3:0x40
	v_and_b32_e32 v121, 3, v121
	v_dual_lshrrev_b32 v106, 24, v112 :: v_dual_bitop2_b32 v122, 3, v122 bitop3:0x40
	v_mul_i32_i24_e32 v118, v118, v197
	v_mul_i32_i24_e32 v117, v117, v199
	;; [unrolled: 1-line block ×4, first 2 shown]
	v_add3_u32 v68, v68, v129, v116
	v_add3_u32 v70, v70, v114, v115
	v_and_b32_e32 v123, 3, v123
	v_and_b32_e32 v124, 3, v124
	;; [unrolled: 1-line block ×4, first 2 shown]
	v_mul_i32_i24_e32 v120, v120, v206
	v_mul_i32_i24_e32 v119, v119, v208
	;; [unrolled: 1-line block ×3, first 2 shown]
	v_add3_u32 v70, v70, v117, v104
	v_add3_u32 v68, v68, v118, v102
	v_lshrrev_b32_e32 v102, 24, v111
	v_mul_i32_i24_e32 v121, v121, v209
	v_mul_i32_i24_e32 v124, v124, v205
	v_mul_i32_i24_e32 v123, v123, v207
	v_mul_i32_i24_e32 v103, v103, v203
	v_mul_i32_i24_e32 v105, v105, v202
	v_add3_u32 v68, v68, v120, v122
	v_add3_u32 v70, v70, v119, v121
	v_bfe_i32 v104, v111, 8, 8
	v_bfe_i32 v107, v112, 16, 8
	;; [unrolled: 1-line block ×3, first 2 shown]
	v_add3_u32 v68, v68, v124, v103
	v_add3_u32 v70, v70, v123, v105
	v_bfe_i32 v103, v111, 16, 8
	v_bfe_i32 v105, v111, 0, 8
	;; [unrolled: 1-line block ×3, first 2 shown]
	v_and_b32_e32 v109, 15, v109
	v_mul_i32_i24_e32 v107, v217, v107
	v_mul_i32_i24_e32 v106, v211, v106
	;; [unrolled: 1-line block ×4, first 2 shown]
	v_and_b32_e32 v109, 0xffff, v109
	v_mul_i32_i24_e32 v104, v212, v104
	v_and_b32_e32 v110, 15, v110
	v_mul_i32_i24_e32 v103, v215, v103
	v_mad_i32_i24 v108, v210, v108, v111
	v_mul_lo_u32 v68, v68, v109
	v_mul_i32_i24_e32 v102, v213, v102
	v_and_b32_e32 v110, 0xffff, v110
	v_mul_i32_i24_e32 v109, v177, v190
	v_add3_u32 v106, v108, v107, v106
	s_delay_alu instid0(VALU_DEP_1) | instskip(SKIP_3) | instid1(VALU_DEP_4)
	v_add3_u32 v104, v106, v105, v104
	v_mul_i32_i24_e32 v106, v184, v168
	v_mad_u32 v68, v70, v110, v68
	v_mul_i32_i24_e32 v110, v178, v187
	v_add3_u32 v102, v104, v103, v102
	v_mul_i32_i24_e32 v103, v171, v193
	v_mul_i32_i24_e32 v104, v172, v186
	s_delay_alu instid0(VALU_DEP_3) | instskip(SKIP_2) | instid1(VALU_DEP_3)
	v_cvt_f32_i32_e32 v70, v102
	v_mul_i32_i24_e32 v102, v169, v192
	v_cvt_f32_i32_e32 v68, v68
	v_mul_f32_e32 v70, v164, v70
	s_delay_alu instid0(VALU_DEP_3) | instskip(NEXT) | instid1(VALU_DEP_3)
	v_mad_i32_i24 v102, v170, v181, v102
	v_mul_f32_e32 v68, v163, v68
	s_delay_alu instid0(VALU_DEP_2) | instskip(SKIP_3) | instid1(VALU_DEP_3)
	v_add3_u32 v107, v102, v103, v104
	v_mul_i32_i24_e32 v102, v173, v182
	v_mul_i32_i24_e32 v103, v175, v183
	;; [unrolled: 1-line block ×3, first 2 shown]
	v_mad_i32_i24 v102, v174, v179, v102
	s_delay_alu instid0(VALU_DEP_1)
	v_add3_u32 v108, v102, v103, v104
	ds_load_2addr_b32 v[102:103], v165 offset1:1
	ds_load_2addr_b32 v[104:105], v166 offset1:1
	ds_load_u16 v111, v167 offset:19952
	s_wait_dscnt 0x1
	v_dual_ashrrev_i32 v102, s18, v102 :: v_dual_ashrrev_i32 v104, s18, v104
	s_wait_dscnt 0x0
	v_lshrrev_b16 v112, 8, v111
	v_bfe_u32 v114, v111, 4, 4
	s_delay_alu instid0(VALU_DEP_3) | instskip(SKIP_1) | instid1(VALU_DEP_4)
	v_dual_ashrrev_i32 v105, s18, v105 :: v_dual_bitop2_b32 v115, 3, v102 bitop3:0x40
	v_lshrrev_b32_e32 v118, 8, v102
	v_and_b32_e32 v113, 0xffff, v112
	v_dual_lshrrev_b32 v119, 16, v104 :: v_dual_bitop2_b32 v116, 3, v104 bitop3:0x40
	v_lshrrev_b32_e32 v117, 8, v104
	v_mul_i32_i24_e32 v115, v115, v198
	s_delay_alu instid0(VALU_DEP_4) | instskip(SKIP_3) | instid1(VALU_DEP_4)
	v_lshrrev_b32_e32 v113, 4, v113
	v_mul_lo_u32 v114, 0x1010101, v114
	v_dual_lshrrev_b32 v104, 24, v104 :: v_dual_bitop2_b32 v118, 3, v118 bitop3:0x40
	v_dual_lshrrev_b32 v120, 16, v102 :: v_dual_bitop2_b32 v117, 3, v117 bitop3:0x40
	v_mul_lo_u32 v113, 0x1010101, v113
	v_dual_lshrrev_b32 v102, 24, v102 :: v_dual_bitop2_b32 v119, 3, v119 bitop3:0x40
	v_add3_u32 v106, v107, v115, v106
	s_delay_alu instid0(VALU_DEP_4) | instskip(SKIP_1) | instid1(VALU_DEP_4)
	v_dual_lshrrev_b32 v123, 8, v105 :: v_dual_bitop2_b32 v120, 3, v120 bitop3:0x40
	v_mul_i32_i24_e32 v77, v118, v196
	v_dual_lshrrev_b32 v125, 16, v105 :: v_dual_bitop2_b32 v102, 3, v102 bitop3:0x40
	s_delay_alu instid0(VALU_DEP_4)
	v_add3_u32 v72, v106, v73, v72
	v_ashrrev_i32_e32 v103, s18, v103
	v_dual_lshrrev_b32 v127, 24, v113 :: v_dual_bitop2_b32 v123, 3, v123 bitop3:0x40
	v_lshrrev_b16 v128, 8, v114
	v_mul_i32_i24_e32 v118, v120, v197
	v_mul_i32_i24_e32 v102, v102, v195
	v_add3_u32 v107, v108, v109, v110
	v_add3_u32 v71, v72, v71, v77
	v_dual_lshrrev_b32 v124, 8, v103 :: v_dual_bitop2_b32 v104, 3, v104 bitop3:0x40
	v_and_b32_e32 v125, 3, v125
	v_bfe_i32 v129, v114, 0, 8
	v_bfe_i32 v130, v114, 16, 8
	v_lshrrev_b32_e32 v114, 24, v114
	v_bfe_i32 v131, v113, 16, 8
	v_bfe_i32 v132, v113, 8, 8
	;; [unrolled: 1-line block ×4, first 2 shown]
	v_mul_i32_i24_e32 v116, v116, v200
	v_mul_i32_i24_e32 v117, v117, v201
	v_add3_u32 v75, v107, v76, v75
	v_add3_u32 v71, v71, v118, v102
	v_mul_i32_i24_e32 v102, v213, v127
	v_dual_lshrrev_b32 v126, 16, v103 :: v_dual_bitop2_b32 v121, 3, v105 bitop3:0x40
	v_dual_lshrrev_b32 v105, 24, v105 :: v_dual_bitop2_b32 v122, 3, v103 bitop3:0x40
	;; [unrolled: 1-line block ×3, first 2 shown]
	v_add3_u32 v72, v75, v116, v117
	v_mul_i32_i24_e32 v73, v210, v128
	v_mul_i32_i24_e32 v75, v214, v113
	;; [unrolled: 1-line block ×4, first 2 shown]
	v_mad_i32_i24 v102, v211, v114, v102
	v_and_b32_e32 v126, 3, v126
	v_and_b32_e32 v103, 3, v103
	v_mul_i32_i24_e32 v120, v122, v206
	v_mul_i32_i24_e32 v122, v124, v204
	v_mad_i32_i24 v77, v217, v130, v77
	v_mad_i32_i24 v75, v216, v129, v75
	v_add3_u32 v73, v73, v76, v102
	v_mul_i32_i24_e32 v124, v126, v205
	v_mul_i32_i24_e32 v103, v103, v203
	v_add3_u32 v71, v71, v120, v122
	v_mul_i32_i24_e32 v119, v119, v199
	v_add3_u32 v75, v75, v77, v73
	v_and_b32_e32 v73, 15, v111
	v_mul_i32_i24_e32 v104, v104, v194
	v_add3_u32 v71, v71, v124, v103
	v_and_b32_e32 v105, 3, v105
	v_mul_i32_i24_e32 v121, v121, v208
	v_and_b32_e32 v73, 0xffff, v73
	v_mul_i32_i24_e32 v123, v123, v209
	v_add3_u32 v72, v72, v119, v104
	v_mul_i32_i24_e32 v125, v125, v207
	v_mul_i32_i24_e32 v105, v105, v202
	v_mul_lo_u32 v71, v71, v73
	v_and_b32_e32 v76, 15, v112
	v_add3_u32 v72, v72, v121, v123
	v_cvt_f32_i32_e32 v77, v75
	s_add_co_i32 s18, s1, 2
	s_cmp_lt_u32 s1, 30
	v_and_b32_e32 v76, 0xffff, v76
	v_add3_u32 v72, v72, v125, v105
	s_mov_b32 s1, s18
	s_delay_alu instid0(VALU_DEP_1) | instskip(SKIP_2) | instid1(VALU_DEP_1)
	v_mad_u32 v71, v72, v76, v71
	v_cvt_f32_f16_e32 v72, v69
	v_lshrrev_b32_e32 v69, 16, v69
	v_cvt_f32_f16_e32 v73, v69
	s_delay_alu instid0(VALU_DEP_4) | instskip(NEXT) | instid1(VALU_DEP_1)
	v_cvt_f32_i32_e32 v76, v71
	v_pk_mul_f32 v[72:73], v[72:73], v[76:77]
	s_delay_alu instid0(VALU_DEP_1) | instskip(NEXT) | instid1(VALU_DEP_1)
	v_dual_mov_b32 v69, v72 :: v_dual_mov_b32 v71, v73
	v_pk_add_f32 v[4:5], v[68:69], v[70:71] neg_lo:[0,1] neg_hi:[0,1]
	s_delay_alu instid0(VALU_DEP_1)
	v_pk_fma_f32 v[14:15], v[0:1], v[4:5], v[14:15] op_sel_hi:[0,1,1]
	v_add_nc_u32_e32 v1, 32, v1
	s_cbranch_scc1 .LBB228_35
; %bb.36:                               ;   in Loop: Header=BB228_5 Depth=1
	s_barrier_signal -1
	s_barrier_wait -1
	s_branch .LBB228_4
.LBB228_37:
	v_mov_b32_e32 v16, 0
	s_delay_alu instid0(VALU_DEP_1)
	v_dual_mov_b32 v17, v16 :: v_dual_mov_b32 v14, v16
	v_mov_b32_e32 v15, v16
.LBB228_38:
	s_mul_i32 s0, s10, s7
	s_wait_loadcnt 0x0
	v_cmp_gt_i32_e32 vcc_lo, s0, v11
	s_wait_xcnt 0x0
	s_and_saveexec_b32 s0, vcc_lo
	s_cbranch_execz .LBB228_47
; %bb.39:
	v_mul_lo_u32 v0, v11, s9
	v_add_nc_u32_e32 v1, s11, v23
	s_mov_b32 s0, exec_lo
	s_delay_alu instid0(VALU_DEP_1)
	v_cmpx_gt_u32_e64 s9, v1
	s_cbranch_execz .LBB228_41
; %bb.40:
	v_bfe_u32 v2, v16, 16, 1
	v_cmp_o_f32_e32 vcc_lo, v16, v16
	v_add_nc_u32_e32 v3, v0, v1
	s_delay_alu instid0(VALU_DEP_3) | instskip(NEXT) | instid1(VALU_DEP_1)
	v_add3_u32 v2, v16, v2, 0x7fff
	v_lshrrev_b32_e32 v2, 16, v2
	s_delay_alu instid0(VALU_DEP_1)
	v_cndmask_b32_e32 v2, 0x7fc0, v2, vcc_lo
	global_store_b16 v3, v2, s[12:13] scale_offset
.LBB228_41:
	s_wait_xcnt 0x0
	s_or_b32 exec_lo, exec_lo, s0
	v_add_nc_u32_e32 v2, 32, v1
	s_mov_b32 s0, exec_lo
	s_delay_alu instid0(VALU_DEP_1)
	v_cmpx_gt_u32_e64 s9, v2
	s_cbranch_execz .LBB228_43
; %bb.42:
	v_bfe_u32 v3, v17, 16, 1
	v_cmp_o_f32_e32 vcc_lo, v17, v17
	v_add_nc_u32_e32 v2, v0, v2
	s_delay_alu instid0(VALU_DEP_3) | instskip(NEXT) | instid1(VALU_DEP_1)
	v_add3_u32 v3, v17, v3, 0x7fff
	v_lshrrev_b32_e32 v3, 16, v3
	s_delay_alu instid0(VALU_DEP_1)
	v_cndmask_b32_e32 v3, 0x7fc0, v3, vcc_lo
	global_store_b16 v2, v3, s[12:13] scale_offset
.LBB228_43:
	s_wait_xcnt 0x0
	s_or_b32 exec_lo, exec_lo, s0
	;; [unrolled: 18-line block ×3, first 2 shown]
	v_add_nc_u32_e32 v1, 0x60, v1
	s_delay_alu instid0(VALU_DEP_1)
	v_cmp_gt_u32_e32 vcc_lo, s9, v1
	s_and_b32 exec_lo, exec_lo, vcc_lo
	s_cbranch_execz .LBB228_47
; %bb.46:
	v_bfe_u32 v2, v15, 16, 1
	v_cmp_o_f32_e32 vcc_lo, v15, v15
	v_add_nc_u32_e32 v0, v0, v1
	s_delay_alu instid0(VALU_DEP_3) | instskip(NEXT) | instid1(VALU_DEP_1)
	v_add3_u32 v2, v15, v2, 0x7fff
	v_lshrrev_b32_e32 v2, 16, v2
	s_delay_alu instid0(VALU_DEP_1)
	v_cndmask_b32_e32 v2, 0x7fc0, v2, vcc_lo
	global_store_b16 v0, v2, s[12:13] scale_offset
.LBB228_47:
	s_sendmsg sendmsg(MSG_DEALLOC_VGPRS)
	s_endpgm
	.section	.rodata,"a",@progbits
	.p2align	6, 0x0
	.amdhsa_kernel _ZL8moe_q2_KIN3c108BFloat16ELb1EEvPKvS3_PT_PKiS7_S7_iiiiiii
		.amdhsa_group_segment_fixed_size 23328
		.amdhsa_private_segment_fixed_size 0
		.amdhsa_kernarg_size 76
		.amdhsa_user_sgpr_count 2
		.amdhsa_user_sgpr_dispatch_ptr 0
		.amdhsa_user_sgpr_queue_ptr 0
		.amdhsa_user_sgpr_kernarg_segment_ptr 1
		.amdhsa_user_sgpr_dispatch_id 0
		.amdhsa_user_sgpr_kernarg_preload_length 0
		.amdhsa_user_sgpr_kernarg_preload_offset 0
		.amdhsa_user_sgpr_private_segment_size 0
		.amdhsa_wavefront_size32 1
		.amdhsa_uses_dynamic_stack 0
		.amdhsa_enable_private_segment 0
		.amdhsa_system_sgpr_workgroup_id_x 1
		.amdhsa_system_sgpr_workgroup_id_y 1
		.amdhsa_system_sgpr_workgroup_id_z 0
		.amdhsa_system_sgpr_workgroup_info 0
		.amdhsa_system_vgpr_workitem_id 1
		.amdhsa_next_free_vgpr 249
		.amdhsa_next_free_sgpr 24
		.amdhsa_named_barrier_count 0
		.amdhsa_reserve_vcc 1
		.amdhsa_float_round_mode_32 0
		.amdhsa_float_round_mode_16_64 0
		.amdhsa_float_denorm_mode_32 3
		.amdhsa_float_denorm_mode_16_64 3
		.amdhsa_fp16_overflow 0
		.amdhsa_memory_ordered 1
		.amdhsa_forward_progress 1
		.amdhsa_inst_pref_size 164
		.amdhsa_round_robin_scheduling 0
		.amdhsa_exception_fp_ieee_invalid_op 0
		.amdhsa_exception_fp_denorm_src 0
		.amdhsa_exception_fp_ieee_div_zero 0
		.amdhsa_exception_fp_ieee_overflow 0
		.amdhsa_exception_fp_ieee_underflow 0
		.amdhsa_exception_fp_ieee_inexact 0
		.amdhsa_exception_int_div_zero 0
	.end_amdhsa_kernel
	.section	.text._ZL8moe_q2_KIN3c108BFloat16ELb1EEvPKvS3_PT_PKiS7_S7_iiiiiii,"axG",@progbits,_ZL8moe_q2_KIN3c108BFloat16ELb1EEvPKvS3_PT_PKiS7_S7_iiiiiii,comdat
.Lfunc_end228:
	.size	_ZL8moe_q2_KIN3c108BFloat16ELb1EEvPKvS3_PT_PKiS7_S7_iiiiiii, .Lfunc_end228-_ZL8moe_q2_KIN3c108BFloat16ELb1EEvPKvS3_PT_PKiS7_S7_iiiiiii
                                        ; -- End function
	.set _ZL8moe_q2_KIN3c108BFloat16ELb1EEvPKvS3_PT_PKiS7_S7_iiiiiii.num_vgpr, 249
	.set _ZL8moe_q2_KIN3c108BFloat16ELb1EEvPKvS3_PT_PKiS7_S7_iiiiiii.num_agpr, 0
	.set _ZL8moe_q2_KIN3c108BFloat16ELb1EEvPKvS3_PT_PKiS7_S7_iiiiiii.numbered_sgpr, 24
	.set _ZL8moe_q2_KIN3c108BFloat16ELb1EEvPKvS3_PT_PKiS7_S7_iiiiiii.num_named_barrier, 0
	.set _ZL8moe_q2_KIN3c108BFloat16ELb1EEvPKvS3_PT_PKiS7_S7_iiiiiii.private_seg_size, 0
	.set _ZL8moe_q2_KIN3c108BFloat16ELb1EEvPKvS3_PT_PKiS7_S7_iiiiiii.uses_vcc, 1
	.set _ZL8moe_q2_KIN3c108BFloat16ELb1EEvPKvS3_PT_PKiS7_S7_iiiiiii.uses_flat_scratch, 0
	.set _ZL8moe_q2_KIN3c108BFloat16ELb1EEvPKvS3_PT_PKiS7_S7_iiiiiii.has_dyn_sized_stack, 0
	.set _ZL8moe_q2_KIN3c108BFloat16ELb1EEvPKvS3_PT_PKiS7_S7_iiiiiii.has_recursion, 0
	.set _ZL8moe_q2_KIN3c108BFloat16ELb1EEvPKvS3_PT_PKiS7_S7_iiiiiii.has_indirect_call, 0
	.section	.AMDGPU.csdata,"",@progbits
; Kernel info:
; codeLenInByte = 20916
; TotalNumSgprs: 26
; NumVgprs: 249
; ScratchSize: 0
; MemoryBound: 0
; FloatMode: 240
; IeeeMode: 1
; LDSByteSize: 23328 bytes/workgroup (compile time only)
; SGPRBlocks: 0
; VGPRBlocks: 15
; NumSGPRsForWavesPerEU: 26
; NumVGPRsForWavesPerEU: 249
; NamedBarCnt: 0
; Occupancy: 4
; WaveLimiterHint : 1
; COMPUTE_PGM_RSRC2:SCRATCH_EN: 0
; COMPUTE_PGM_RSRC2:USER_SGPR: 2
; COMPUTE_PGM_RSRC2:TRAP_HANDLER: 0
; COMPUTE_PGM_RSRC2:TGID_X_EN: 1
; COMPUTE_PGM_RSRC2:TGID_Y_EN: 1
; COMPUTE_PGM_RSRC2:TGID_Z_EN: 0
; COMPUTE_PGM_RSRC2:TIDIG_COMP_CNT: 1
	.section	.text._ZL8moe_q3_KIN3c108BFloat16ELb0EEvPKvS3_PT_PKiS7_S7_iiiiiii,"axG",@progbits,_ZL8moe_q3_KIN3c108BFloat16ELb0EEvPKvS3_PT_PKiS7_S7_iiiiiii,comdat
	.globl	_ZL8moe_q3_KIN3c108BFloat16ELb0EEvPKvS3_PT_PKiS7_S7_iiiiiii ; -- Begin function _ZL8moe_q3_KIN3c108BFloat16ELb0EEvPKvS3_PT_PKiS7_S7_iiiiiii
	.p2align	8
	.type	_ZL8moe_q3_KIN3c108BFloat16ELb0EEvPKvS3_PT_PKiS7_S7_iiiiiii,@function
_ZL8moe_q3_KIN3c108BFloat16ELb0EEvPKvS3_PT_PKiS7_S7_iiiiiii: ; @_ZL8moe_q3_KIN3c108BFloat16ELb0EEvPKvS3_PT_PKiS7_S7_iiiiiii
; %bb.0:
	s_load_b128 s[4:7], s[0:1], 0x18
	s_bfe_u32 s2, ttmp6, 0x40010
	s_bfe_u32 s8, ttmp6, 0x40004
	s_add_co_i32 s2, s2, 1
	s_delay_alu instid0(SALU_CYCLE_1)
	s_mul_i32 s3, ttmp7, s2
	s_getreg_b32 s2, hwreg(HW_REG_IB_STS2, 6, 4)
	s_add_co_i32 s8, s8, s3
	s_cmp_eq_u32 s2, 0
	s_cselect_b32 s3, ttmp7, s8
	s_wait_kmcnt 0x0
	s_load_b32 s12, s[6:7], s3 offset:0x0 scale_offset
	s_wait_kmcnt 0x0
	s_cmp_gt_u32 s12, 0xff
	s_cbranch_scc1 .LBB229_47
; %bb.1:
	s_load_b64 s[6:7], s[0:1], 0x28
	s_lshl_b32 s3, s3, 3
	s_wait_kmcnt 0x0
	s_load_b32 s6, s[6:7], 0x0
	s_wait_kmcnt 0x0
	s_cmp_gt_u32 s3, s6
	s_cbranch_scc1 .LBB229_47
; %bb.2:
	v_bfe_u32 v1, v0, 10, 10
	s_and_b32 s13, ttmp6, 15
	v_and_b32_e32 v11, 0x3ff, v0
	s_delay_alu instid0(VALU_DEP_2) | instskip(SKIP_1) | instid1(SALU_CYCLE_1)
	v_add_nc_u32_e32 v2, s3, v1
	s_bfe_u32 s3, ttmp6, 0x4000c
	s_add_co_i32 s3, s3, 1
	s_delay_alu instid0(SALU_CYCLE_1)
	s_mul_i32 s3, ttmp9, s3
	global_load_b32 v9, v2, s[4:5] scale_offset
	s_clause 0x2
	s_load_b64 s[10:11], s[0:1], 0x30
	s_load_b64 s[8:9], s[0:1], 0x10
	s_load_b128 s[4:7], s[0:1], 0x3c
	s_add_co_i32 s13, s13, s3
	s_cmp_eq_u32 s2, 0
	s_cselect_b32 s2, ttmp9, s13
	s_mov_b32 s13, 0
	s_lshl_b32 s18, s2, 7
	s_wait_kmcnt 0x0
	s_cmp_lt_i32 s11, 0x100
	s_cbranch_scc1 .LBB229_37
; %bb.3:
	v_bfe_u32 v8, v0, 4, 6
	v_dual_lshlrev_b32 v5, 4, v1 :: v_dual_bitop2_b32 v4, 15, v0 bitop3:0x40
	v_dual_lshlrev_b32 v2, 1, v1 :: v_dual_bitop2_b32 v10, 1, v0 bitop3:0x40
	v_bfe_u32 v6, v0, 1, 9
	s_load_b128 s[0:3], s[0:1], 0x0
	v_dual_mov_b32 v13, 0 :: v_dual_lshlrev_b32 v7, 2, v11
	s_delay_alu instid0(VALU_DEP_2)
	v_dual_lshlrev_b32 v15, 2, v10 :: v_dual_add_nc_u32 v3, v6, v5
	v_add_nc_u16 v14, v8, v2
	v_lshlrev_b32_e32 v12, 2, v4
	s_mul_i32 s16, s12, s10
	v_dual_add_nc_u32 v64, 64, v11 :: v_dual_add_nc_u32 v66, 32, v11
	v_and_b32_e32 v58, 0x7f, v3
	v_lshrrev_b32_e32 v3, 2, v3
	v_lshrrev_b16 v14, 1, v14
	v_add_nc_u32_e32 v60, v8, v2
	s_ashr_i32 s17, s16, 31
	v_lshl_or_b32 v2, v58, 3, v15
	v_and_b32_e32 v3, 28, v3
	v_and_b32_e32 v15, 0xffff, v14
	v_dual_add_nc_u32 v16, 16, v60 :: v_dual_add_nc_u32 v17, 32, v60
	v_and_b32_e32 v84, 7, v0
	s_delay_alu instid0(VALU_DEP_4) | instskip(NEXT) | instid1(VALU_DEP_4)
	v_add3_u32 v29, v2, v3, 0x7380
	v_dual_lshlrev_b32 v2, 2, v15 :: v_dual_add_nc_u32 v18, 48, v60
	s_delay_alu instid0(VALU_DEP_4)
	v_lshlrev_b32_e32 v3, 1, v16
	s_wait_kmcnt 0x0
	s_add_nc_u64 s[16:17], s[0:1], s[16:17]
	s_abs_i32 s0, s7
	v_add3_u32 v19, v2, v12, 0x4200
	v_lshlrev_b32_e32 v21, 1, v18
	v_and_b32_e32 v2, 0x3ffc, v3
	v_dual_lshlrev_b32 v3, 1, v17 :: v_dual_lshlrev_b32 v20, 6, v60
	v_dual_lshlrev_b32 v23, 6, v16 :: v_dual_lshlrev_b32 v26, 6, v17
	s_delay_alu instid0(VALU_DEP_3) | instskip(NEXT) | instid1(VALU_DEP_3)
	v_add3_u32 v22, v2, v12, 0x4200
	v_and_b32_e32 v2, 0x3ffc, v3
	v_and_b32_e32 v3, 0x3ffc, v21
	v_add_nc_u32_e32 v16, 64, v60
	v_add_nc_u32_e32 v21, 0x50, v60
	s_cvt_f32_u32 s19, s0
	v_add3_u32 v24, v2, v12, 0x4200
	v_add3_u32 v27, v3, v12, 0x4200
	s_delay_alu instid0(VALU_DEP_3) | instskip(SKIP_3) | instid1(VALU_DEP_3)
	v_dual_lshlrev_b32 v2, 1, v16 :: v_dual_lshlrev_b32 v3, 1, v21
	v_rcp_iflag_f32_e32 v28, s19
	v_add_nc_u32_e32 v17, 0x60, v60
	v_lshlrev_b32_e32 v18, 6, v18
	v_and_b32_e32 v2, 0x3ffc, v2
	v_and_b32_e32 v3, 0x3ffc, v3
	s_sub_co_i32 s20, 0, s0
	v_lshlrev_b32_e32 v30, 1, v17
	v_readfirstlane_b32 s19, v28
	v_and_b32_e32 v28, 3, v0
	v_add3_u32 v36, v3, v12, 0x4200
	v_add3_u32 v32, v2, v12, 0x4200
	v_and_b32_e32 v3, 0x3ffc, v30
	s_mul_f32 s19, s19, 0x4f7ffffe
	v_cmp_gt_u32_e32 vcc_lo, 2, v28
	v_add_nc_u32_e32 v2, 0x70, v60
	v_lshlrev_b32_e32 v34, 6, v16
	v_add3_u32 v30, v3, v12, 0x4200
	v_add_nc_u16 v3, v28, -2
	s_wait_loadcnt 0x0
	v_sub_nc_u32_e32 v31, 0, v9
	s_cvt_u32_f32 s19, s19
	v_dual_lshlrev_b32 v16, 1, v2 :: v_dual_lshlrev_b32 v14, 2, v84
	v_mov_b32_e32 v15, v13
	s_delay_alu instid0(SALU_CYCLE_1)
	s_mul_i32 s20, s20, s19
	v_dual_cndmask_b32 v3, v3, v28, vcc_lo :: v_dual_max_i32 v35, v9, v31
	s_mul_hi_u32 s20, s19, s20
	v_bfe_u32 v31, v0, 3, 7
	s_add_co_i32 s19, s19, s20
	v_and_b32_e32 v16, 0x3ffc, v16
	v_mul_hi_u32 v37, v35, s19
	v_and_b32_e32 v3, 0xff, v3
	v_lshl_add_u32 v68, v1, 2, v31
	v_lshlrev_b32_e32 v42, 6, v2
	v_add3_u32 v40, v16, v12, 0x4200
	v_dual_lshlrev_b32 v49, 5, v11 :: v_dual_add_nc_u32 v51, v19, v20
	s_delay_alu instid0(VALU_DEP_4) | instskip(SKIP_2) | instid1(VALU_DEP_3)
	v_and_b32_e32 v2, 0x1ffc, v68
	v_dual_lshlrev_b32 v16, 2, v3 :: v_dual_add_nc_u32 v3, 32, v68
	v_dual_mov_b32 v20, v13 :: v_dual_add_nc_u32 v41, 0x60, v68
	v_add3_u32 v44, v2, v14, 0x6300
	v_add_nc_u32_e32 v2, 64, v68
	s_delay_alu instid0(VALU_DEP_4)
	v_dual_lshlrev_b32 v33, 1, v28 :: v_dual_lshlrev_b32 v50, 5, v3
	v_mul_lo_u32 v28, v37, s0
	v_and_b32_e32 v39, 0x3ffc, v3
	v_lshlrev_b32_e32 v46, 5, v68
	v_and_b32_e32 v43, 0x3ffc, v2
	v_and_b32_e32 v3, 0x3ffc, v41
	v_lshlrev_b32_e32 v54, 5, v2
	v_add3_u32 v48, v39, v14, 0x6300
	v_lshlrev_b32_e32 v62, 5, v41
	v_xor_b32_e32 v39, s7, v9
	v_add3_u32 v56, v3, v14, 0x6300
	s_ashr_i32 s14, s11, 31
	v_dual_sub_nc_u32 v28, v35, v28 :: v_dual_add_nc_u32 v35, 1, v37
	v_add3_u32 v52, v43, v14, 0x6300
	v_and_b32_e32 v45, 0x1fc, v64
	s_lshr_b32 s10, s14, 24
	s_delay_alu instid0(VALU_DEP_3)
	v_subrev_nc_u32_e32 v2, s0, v28
	v_cmp_le_u32_e32 vcc_lo, s0, v28
	s_add_co_i32 s10, s11, s10
	v_add_nc_u32_e32 v45, v49, v45
	s_ashr_i32 s10, s10, 8
	s_ashr_i32 s15, s5, 31
	v_dual_cndmask_b32 v3, v37, v35 :: v_dual_cndmask_b32 v28, v28, v2
	v_and_b32_e32 v37, 31, v0
	s_lshl_b32 s1, s10, 3
	s_lshr_b32 s12, s15, 27
	s_delay_alu instid0(VALU_DEP_2)
	v_add_nc_u32_e32 v41, 1, v3
	v_cmp_le_u32_e32 vcc_lo, s0, v28
	v_dual_lshlrev_b32 v21, 6, v21 :: v_dual_add_nc_u32 v55, v24, v26
	v_lshlrev_b32_e32 v76, 4, v64
	v_mad_i32_i24 v24, s10, v1, s1
	v_dual_cndmask_b32 v28, v3, v41 :: v_dual_mov_b32 v3, v13
	v_ashrrev_i32_e32 v43, 31, v39
	v_add_nc_u32_e32 v39, 0x7ba0, v5
	s_add_co_i32 s5, s5, s12
	v_mad_u32_u24 v25, 0x84, v1, v7
	s_ashr_i32 s5, s5, 5
	v_xor_b32_e32 v5, v28, v43
	v_add_nc_u32_e32 v28, 0x60, v11
	v_dual_lshlrev_b32 v38, 6, v17 :: v_dual_add_nc_u32 v53, v22, v23
	s_delay_alu instid0(VALU_DEP_3)
	v_dual_lshrrev_b32 v70, 1, v66 :: v_dual_sub_nc_u32 v5, v5, v43
	v_dual_add_nc_u32 v57, v27, v18 :: v_dual_add_nc_u32 v61, v36, v21
	v_dual_add_nc_u32 v65, v40, v42 :: v_dual_lshrrev_b32 v40, 4, v64
	v_mov_b32_e32 v21, v13
	v_and_b32_e32 v43, 0x1fc, v28
	v_dual_add_nc_u32 v67, v44, v46 :: v_dual_lshlrev_b32 v42, 4, v28
	v_dual_add_nc_u32 v69, v48, v50 :: v_dual_lshrrev_b32 v44, 1, v28
	v_dual_add_nc_u32 v71, v52, v54 :: v_dual_lshlrev_b32 v46, 1, v28
	v_dual_add_nc_u32 v73, v56, v62 :: v_dual_lshrrev_b32 v48, 4, v28
	v_dual_mov_b32 v18, v13 :: v_dual_bitop2_b32 v2, 28, v7 bitop3:0x40
	v_dual_add_nc_u32 v41, v39, v7 :: v_dual_lshlrev_b32 v7, 4, v66
	v_mul_lo_u32 v22, v5, s5
	v_lshrrev_b32_e32 v79, 3, v28
	v_dual_add_nc_u32 v28, s1, v24 :: v_dual_add_nc_u32 v63, v30, v38
	v_lshlrev_b32_e32 v38, 1, v64
	v_add_nc_u64_e32 v[26:27], s[2:3], v[2:3]
	s_delay_alu instid0(VALU_DEP_3) | instskip(SKIP_2) | instid1(VALU_DEP_3)
	v_dual_lshlrev_b32 v2, 1, v11 :: v_dual_add_nc_u32 v30, s1, v28
	v_dual_mov_b32 v19, v13 :: v_dual_add_nc_u32 v59, v32, v34
	v_dual_lshrrev_b32 v36, 1, v64 :: v_dual_lshlrev_b32 v98, 2, v7
	v_add_nc_u32_e32 v32, s1, v30
	v_dual_lshlrev_b32 v97, 2, v70 :: v_dual_lshlrev_b32 v102, 2, v76
	v_dual_lshlrev_b32 v104, 2, v38 :: v_dual_lshlrev_b32 v103, 2, v40
	s_delay_alu instid0(VALU_DEP_3) | instskip(SKIP_3) | instid1(VALU_DEP_3)
	v_dual_lshlrev_b32 v106, 2, v42 :: v_dual_add_nc_u32 v34, s1, v32
	v_lshlrev_b32_e32 v101, 2, v36
	v_dual_lshlrev_b32 v105, 2, v44 :: v_dual_lshlrev_b32 v108, 2, v46
	s_lshl_b32 s12, s10, 4
	v_add_nc_u32_e32 v36, s1, v34
	v_mad_i32_i24 v46, s10, v60, s12
	v_and_b32_e32 v47, 0x1fc, v66
	v_dual_lshlrev_b32 v72, 1, v66 :: v_dual_lshrrev_b32 v74, 4, v66
	s_delay_alu instid0(VALU_DEP_4) | instskip(NEXT) | instid1(VALU_DEP_4)
	v_add_nc_u32_e32 v38, s1, v36
	v_dual_lshlrev_b32 v107, 2, v48 :: v_dual_add_nc_u32 v50, s12, v46
	v_dual_lshrrev_b32 v75, 3, v66 :: v_dual_lshrrev_b32 v77, 3, v64
	s_delay_alu instid0(VALU_DEP_3) | instskip(SKIP_1) | instid1(VALU_DEP_3)
	v_add_nc_u32_e32 v42, s1, v38
	s_lshl_b32 s19, s10, 5
	v_add_nc_u32_e32 v54, s12, v50
	v_and_b32_e32 v0, 0xfc, v0
	v_dual_lshlrev_b32 v99, 2, v74 :: v_dual_lshlrev_b32 v100, 2, v72
	v_add_nc_u32_e32 v44, s1, v42
	s_delay_alu instid0(VALU_DEP_4) | instskip(SKIP_2) | instid1(VALU_DEP_4)
	v_add_nc_u32_e32 v62, s12, v54
	v_mul_i32_i24_e32 v64, s10, v68
	v_mad_i32_i24 v68, s10, v68, s19
	v_dual_add_nc_u32 v43, v49, v43 :: v_dual_add_nc_u32 v48, s1, v44
	s_delay_alu instid0(VALU_DEP_4) | instskip(SKIP_2) | instid1(VALU_DEP_4)
	v_dual_add_nc_u32 v70, s12, v62 :: v_dual_add_nc_u32 v47, v49, v47
	v_add_nc_u32_e32 v49, v49, v0
	v_mul_u32_u24_e32 v0, 33, v11
	v_add_nc_u32_e32 v52, s1, v48
	s_delay_alu instid0(VALU_DEP_4) | instskip(SKIP_2) | instid1(VALU_DEP_4)
	v_dual_lshlrev_b32 v127, 2, v8 :: v_dual_add_nc_u32 v74, s12, v70
	v_add_nc_u32_e32 v76, s19, v68
	v_lshl_add_u32 v35, v1, 7, 0x77a0
	v_add_nc_u32_e32 v56, s1, v52
	v_dual_lshlrev_b32 v81, 2, v0 :: v_dual_lshlrev_b32 v0, 4, v11
	s_mul_i32 s14, s10, s18
	v_cmp_gt_u32_e32 vcc_lo, 4, v11
	s_delay_alu instid0(VALU_DEP_3)
	v_add_nc_u32_e32 v66, s1, v56
	v_cmp_gt_i32_e64 s0, s4, v5
	s_ashr_i32 s15, s14, 31
	v_mov_b32_e32 v17, v13
	v_lshl_add_u32 v37, v37, 2, v35
	v_add_nc_u32_e32 v72, s1, v66
	v_ashrrev_i32_e32 v23, 31, v22
	v_dual_lshlrev_b32 v83, 2, v6 :: v_dual_lshlrev_b32 v85, 2, v0
	v_dual_lshlrev_b32 v96, 2, v2 :: v_dual_bitop2_b32 v87, 4, v2 bitop3:0x40
	s_delay_alu instid0(VALU_DEP_4)
	v_dual_add_nc_u32 v78, s1, v72 :: v_dual_add_nc_u32 v82, s12, v74
	v_cmp_lt_u32_e64 s1, 7, v4
	v_mul_i32_i24_e32 v40, s10, v1
	v_add_nc_u32_e32 v109, 0x420, v25
	v_add_nc_u32_e32 v110, 0x840, v25
	;; [unrolled: 1-line block ×3, first 2 shown]
	v_cndmask_b32_e64 v80, 0, 1, s1
	v_cmp_lt_u32_e64 s1, 3, v84
	v_add_nc_u32_e32 v112, 0x1080, v25
	v_add_nc_u32_e32 v113, 0x14a0, v25
	v_add_nc_u32_e32 v114, 0x18c0, v25
	v_add_nc_u32_e32 v115, 0x1ce0, v25
	v_add_nc_u32_e32 v116, 0x2100, v25
	v_add_nc_u32_e32 v117, 0x2520, v25
	v_add_nc_u32_e32 v118, 0x2940, v25
	v_add_nc_u32_e32 v119, 0x2d60, v25
	v_add_nc_u32_e32 v120, 0x3180, v25
	v_add_nc_u32_e32 v121, 0x35a0, v25
	v_add_nc_u32_e32 v122, 0x39c0, v25
	v_add_nc_u32_e32 v123, 0x3de0, v25
	v_mul_i32_i24_e32 v58, s10, v58
	v_mul_i32_i24_e32 v60, s10, v60
	v_add_nc_u32_e32 v124, 0x6f00, v43
	v_add_nc_u32_e32 v125, 0x6700, v47
	;; [unrolled: 1-line block ×3, first 2 shown]
	v_cndmask_b32_e64 v84, 0, 1, s1
	v_add_nc_u32_e32 v86, s19, v76
	s_mul_u64 s[14:15], s[14:15], 0x6e
	s_and_b32 s19, vcc_lo, s0
	s_add_nc_u64 s[14:15], s[16:17], s[14:15]
	s_mov_b32 s12, s13
	s_branch .LBB229_5
.LBB229_4:                              ;   in Loop: Header=BB229_5 Depth=1
	s_add_co_i32 s12, s12, 2
	s_delay_alu instid0(SALU_CYCLE_1)
	s_cmp_ge_i32 s12, s10
	s_cbranch_scc1 .LBB229_38
.LBB229_5:                              ; =>This Loop Header: Depth=1
                                        ;     Child Loop BB229_11 Depth 2
                                        ;     Child Loop BB229_19 Depth 2
                                        ;     Child Loop BB229_27 Depth 2
                                        ;     Child Loop BB229_35 Depth 2
	s_mul_u64 s[16:17], s[12:13], 0x6e
	s_delay_alu instid0(SALU_CYCLE_1) | instskip(NEXT) | instid1(SALU_CYCLE_1)
	s_add_nc_u64 s[16:17], s[14:15], s[16:17]
	v_mad_nc_u64_u32 v[0:1], 0x6e, v8, s[16:17]
	v_mad_nc_u64_u32 v[2:3], 0x6e, v58, s[16:17]
	;; [unrolled: 1-line block ×4, first 2 shown]
	s_lshl_b32 s16, s12, 8
	s_delay_alu instid0(SALU_CYCLE_1) | instskip(NEXT) | instid1(VALU_DEP_4)
	s_cmp_lt_i32 s16, s11
	v_mad_nc_u64_u32 v[88:89], 0x6e, v40, v[0:1]
	v_mad_nc_u64_u32 v[90:91], 0x6e, v24, v[0:1]
	;; [unrolled: 1-line block ×11, first 2 shown]
	v_add_nc_u64_e32 v[88:89], v[88:89], v[12:13]
	v_add_nc_u64_e32 v[90:91], v[90:91], v[12:13]
	v_add_nc_u64_e32 v[92:93], v[92:93], v[12:13]
	v_mad_nc_u64_u32 v[140:141], 0x6e, v48, v[0:1]
	v_add_nc_u64_e32 v[94:95], v[94:95], v[12:13]
	v_mad_nc_u64_u32 v[142:143], 0x6e, v52, v[0:1]
	v_add_nc_u64_e32 v[128:129], v[128:129], v[12:13]
	v_add_nc_u64_e32 v[130:131], v[130:131], v[12:13]
	;; [unrolled: 1-line block ×5, first 2 shown]
	s_clause 0x7
	global_load_b32 v152, v[88:89], off offset:32
	global_load_b32 v153, v[90:91], off offset:32
	;; [unrolled: 1-line block ×8, first 2 shown]
	s_wait_xcnt 0x6
	v_mad_nc_u64_u32 v[90:91], 0x6e, v56, v[0:1]
	s_wait_xcnt 0x5
	v_mad_nc_u64_u32 v[92:93], 0x6e, v66, v[0:1]
	;; [unrolled: 2-line block ×3, first 2 shown]
	v_mad_nc_u64_u32 v[0:1], 0x6e, v78, v[0:1]
	s_wait_xcnt 0x0
	v_mad_nc_u64_u32 v[134:135], 0x6e, v76, v[6:7]
	v_mad_nc_u64_u32 v[148:149], 0x6e, v64, v[6:7]
	v_add_nc_u64_e32 v[88:89], v[136:137], v[12:13]
	v_mad_nc_u64_u32 v[136:137], 0x6e, v86, v[6:7]
	global_load_u16 v160, v[2:3], off offset:108
	s_wait_xcnt 0x0
	v_mad_nc_u64_u32 v[2:3], 0x6e, v60, v[4:5]
	v_add_nc_u64_e32 v[128:129], v[138:139], v[12:13]
	v_mad_nc_u64_u32 v[138:139], 0x6e, v46, v[4:5]
	v_mad_nc_u64_u32 v[6:7], 0x6e, v68, v[6:7]
	v_add_nc_u64_e32 v[130:131], v[140:141], v[12:13]
	v_mad_nc_u64_u32 v[140:141], 0x6e, v50, v[4:5]
	v_add_nc_u64_e32 v[132:133], v[142:143], v[12:13]
	v_mad_nc_u64_u32 v[142:143], 0x6e, v54, v[4:5]
	v_mad_nc_u64_u32 v[144:145], 0x6e, v62, v[4:5]
	;; [unrolled: 1-line block ×3, first 2 shown]
	v_add_nc_u64_e32 v[90:91], v[90:91], v[12:13]
	v_mad_nc_u64_u32 v[150:151], 0x6e, v74, v[4:5]
	v_add_nc_u64_e32 v[92:93], v[92:93], v[12:13]
	v_add_nc_u64_e32 v[94:95], v[94:95], v[12:13]
	;; [unrolled: 1-line block ×3, first 2 shown]
	s_clause 0x9
	global_load_b32 v161, v[134:135], off offset:104
	global_load_b32 v162, v[136:137], off offset:104
	global_load_b32 v163, v[88:89], off offset:32
	global_load_b32 v164, v[128:129], off offset:32
	global_load_b32 v165, v[130:131], off offset:32
	global_load_b32 v166, v[132:133], off offset:32
	global_load_b32 v167, v[90:91], off offset:32
	global_load_b32 v168, v[92:93], off offset:32
	global_load_b32 v169, v[94:95], off offset:32
	global_load_b32 v170, v[0:1], off offset:32
	s_wait_xcnt 0x0
	v_add_nc_u64_e32 v[0:1], v[148:149], v[16:17]
	v_add_nc_u64_e32 v[90:91], v[134:135], v[16:17]
	s_clause 0x6
	global_load_b32 v92, v[2:3], off
	global_load_b32 v93, v[138:139], off
	;; [unrolled: 1-line block ×7, first 2 shown]
	s_wait_xcnt 0x6
	v_mad_nc_u64_u32 v[2:3], 0x6e, v82, v[4:5]
	v_add_nc_u64_e32 v[88:89], v[6:7], v[16:17]
	v_add_nc_u64_e32 v[4:5], v[136:137], v[16:17]
	s_clause 0x6
	global_load_b32 v131, v[0:1], off offset:96
	global_load_b32 v132, v[6:7], off offset:104
	;; [unrolled: 1-line block ×6, first 2 shown]
	global_load_b32 v137, v[2:3], off
	s_wait_loadcnt 0x20
	ds_store_b32 v25, v152
	s_wait_loadcnt 0x1f
	ds_store_b32 v109, v153
	;; [unrolled: 2-line block ×16, first 2 shown]
	s_wait_xcnt 0x0
	v_cvt_f32_f16_e64 v2, v160
	s_wait_loadcnt 0xd
	v_not_b32_e32 v3, v92
	s_wait_loadcnt 0x6
	v_ashrrev_i32_e32 v90, v87, v131
	v_not_b32_e32 v4, v93
	s_wait_loadcnt 0x3
	v_dual_ashrrev_i32 v93, v33, v132 :: v_dual_ashrrev_i32 v92, v87, v134
	s_wait_loadcnt 0x2
	v_dual_ashrrev_i32 v91, v33, v135 :: v_dual_ashrrev_i32 v0, v33, v161
	v_ashrrev_i32_e32 v1, v33, v162
	v_not_b32_e32 v5, v94
	v_ashrrev_i32_e32 v94, v87, v133
	v_not_b32_e32 v6, v95
	s_wait_loadcnt 0x1
	v_ashrrev_i32_e32 v95, v87, v136
	v_not_b32_e32 v7, v128
	ds_store_b32 v29, v2
	ds_store_b32 v51, v3
	;; [unrolled: 1-line block ×6, first 2 shown]
	v_and_b32_e32 v2, 0xf0f0f0f, v90
	v_dual_lshlrev_b32 v3, 4, v91 :: v_dual_lshlrev_b32 v5, 4, v93
	v_and_b32_e32 v4, 0xf0f0f0f, v92
	v_dual_lshlrev_b32 v0, 4, v0 :: v_dual_lshlrev_b32 v1, 4, v1
	v_and_b32_e32 v6, 0xf0f0f0f, v94
	v_and_b32_e32 v7, 0xf0f0f0f, v95
	v_and_or_b32 v2, 0x30303030, v3, v2
	v_and_or_b32 v3, 0x30303030, v5, v4
	v_not_b32_e32 v88, v129
	v_and_or_b32 v0, 0x30303030, v0, v6
	v_and_or_b32 v1, 0x30303030, v1, v7
	v_lshlrev_b16 v4, 8, v2
	v_dual_lshrrev_b32 v5, 16, v2 :: v_dual_lshrrev_b32 v7, 16, v3
	v_lshlrev_b16 v6, 8, v3
	ds_store_b32 v61, v88
	v_lshlrev_b16 v88, 8, v0
	v_dual_lshrrev_b32 v90, 16, v0 :: v_dual_lshrrev_b32 v92, 16, v1
	v_add_nc_u16 v4, 0xe000, v4
	v_lshlrev_b16 v93, 8, v5
	v_add_nc_u16 v6, 0xe000, v6
	v_lshlrev_b16 v94, 8, v7
	v_add_nc_u16 v88, 0xe000, v88
	v_lshlrev_b16 v95, 8, v90
	v_lshlrev_b16 v91, 8, v1
	v_lshlrev_b16 v129, 8, v92
	v_lshrrev_b16 v4, 8, v4
	v_add_nc_u16 v93, 0xe000, v93
	v_lshrrev_b16 v6, 8, v6
	v_add_nc_u16 v94, 0xe000, v94
	;; [unrolled: 2-line block ×3, first 2 shown]
	v_add_nc_u16 v91, 0xe000, v91
	v_add_nc_u16 v129, 0xe000, v129
	v_bitop3_b16 v2, v2, v4, 0x3f00 bitop3:0xec
	v_lshrrev_b16 v4, 8, v93
	v_bitop3_b16 v3, v3, v6, 0x3f00 bitop3:0xec
	v_lshrrev_b16 v6, 8, v94
	;; [unrolled: 2-line block ×3, first 2 shown]
	v_lshrrev_b16 v91, 8, v91
	v_lshrrev_b16 v93, 8, v129
	v_bitop3_b16 v4, v5, v4, 0x3f00 bitop3:0xec
	v_bitop3_b16 v5, v7, v6, 0x3f00 bitop3:0xec
	;; [unrolled: 1-line block ×5, first 2 shown]
	v_add_nc_u16 v2, 0xe000, v2
	v_add_nc_u16 v4, 0xe000, v4
	;; [unrolled: 1-line block ×8, first 2 shown]
	v_and_b32_e32 v2, 0xffff, v2
	v_dual_lshlrev_b32 v4, 16, v4 :: v_dual_lshlrev_b32 v5, 16, v5
	v_and_b32_e32 v3, 0xffff, v3
	v_and_b32_e32 v0, 0xffff, v0
	v_dual_lshlrev_b32 v6, 16, v6 :: v_dual_lshlrev_b32 v7, 16, v7
	v_and_b32_e32 v1, 0xffff, v1
	v_not_b32_e32 v89, v130
	s_wait_loadcnt 0x0
	v_not_b32_e32 v128, v137
	v_or_b32_e32 v2, v2, v4
	v_or_b32_e32 v3, v3, v5
	;; [unrolled: 1-line block ×4, first 2 shown]
	ds_store_b32 v63, v89
	ds_store_b32 v65, v128
	;; [unrolled: 1-line block ×6, first 2 shown]
	s_cbranch_scc0 .LBB229_4
; %bb.6:                                ;   in Loop: Header=BB229_5 Depth=1
	s_lshl_b32 s17, s12, 3
	s_delay_alu instid0(SALU_CYCLE_1) | instskip(NEXT) | instid1(VALU_DEP_1)
	v_add_nc_u32_e32 v0, s17, v31
	v_cmp_gt_i32_e64 s1, s5, v0
	s_and_b32 s20, s0, s1
	s_delay_alu instid0(SALU_CYCLE_1)
	s_and_saveexec_b32 s1, s20
	s_cbranch_execz .LBB229_8
; %bb.7:                                ;   in Loop: Header=BB229_5 Depth=1
	v_add_nc_u32_e32 v0, v22, v0
	s_delay_alu instid0(VALU_DEP_1)
	v_mad_nc_i64_i32 v[0:1], v0, 36, v[26:27]
	global_load_b32 v0, v[0:1], off offset:4
	s_wait_loadcnt 0x0
	ds_store_b32 v37, v0
.LBB229_8:                              ;   in Loop: Header=BB229_5 Depth=1
	s_or_b32 exec_lo, exec_lo, s1
	v_add_nc_u32_e32 v88, s17, v11
	s_delay_alu instid0(VALU_DEP_1) | instskip(SKIP_1) | instid1(SALU_CYCLE_1)
	v_cmp_gt_i32_e64 s1, s5, v88
	s_and_b32 s20, s19, s1
	s_and_saveexec_b32 s1, s20
	s_cbranch_execz .LBB229_10
; %bb.9:                                ;   in Loop: Header=BB229_5 Depth=1
	v_add_nc_u32_e32 v0, v22, v88
	s_delay_alu instid0(VALU_DEP_1)
	v_mad_nc_i64_i32 v[0:1], v0, 36, s[2:3]
	global_load_b32 v0, v[0:1], off
	s_wait_loadcnt 0x0
	v_cvt_f32_f16_e32 v0, v0
	ds_store_b32 v41, v0
.LBB229_10:                             ;   in Loop: Header=BB229_5 Depth=1
	s_or_b32 exec_lo, exec_lo, s1
	v_dual_mov_b32 v89, v39 :: v_dual_mov_b32 v91, v35
	s_mov_b32 s22, -2
	s_mov_b32 s1, 0
	s_mov_b32 s20, 0
	s_wait_dscnt 0x0
	s_barrier_signal -1
	s_barrier_wait -1
.LBB229_11:                             ;   Parent Loop BB229_5 Depth=1
                                        ; =>  This Inner Loop Header: Depth=2
	s_add_co_i32 s21, s22, 2
	s_and_b32 s23, s20, -16
	s_and_b32 s25, s21, 0x3ffffff8
	s_lshr_b32 s24, s21, 4
	s_add_co_i32 s22, s22, s23
	v_lshl_add_u32 v92, s25, 2, v81
	s_lshl_b32 s23, s24, 5
	v_dual_add_nc_u32 v93, s22, v125 :: v_dual_add_nc_u32 v94, s22, v124
	s_lshl_b32 s24, s24, 2
	v_dual_add_nc_u32 v95, s22, v45 :: v_dual_add_nc_u32 v128, s22, v126
	s_addk_co_i32 s23, 0x4200
	s_addk_co_i32 s24, 0x7380
	v_add3_u32 v129, s23, v83, v85
	v_add_nc_u32_e32 v194, 0x2118, v92
	v_add_nc_u32_e32 v196, 0x3180, v92
	;; [unrolled: 1-line block ×5, first 2 shown]
	ds_load_b128 v[4:7], v91
	ds_load_b128 v[0:3], v91 offset:16
	ds_load_b32 v90, v89
	v_add3_u32 v130, s24, v127, v96
	v_add3_u32 v131, s23, v97, v98
	;; [unrolled: 1-line block ×7, first 2 shown]
	ds_load_2addr_b32 v[144:145], v92 offset1:1
	ds_load_2addr_b32 v[146:147], v92 offset0:2 offset1:3
	ds_load_2addr_b32 v[148:149], v92 offset0:4 offset1:5
	;; [unrolled: 1-line block ×3, first 2 shown]
	v_add_nc_u32_e32 v137, 0x1080, v92
	v_add_nc_u32_e32 v138, 0x1088, v92
	;; [unrolled: 1-line block ×7, first 2 shown]
	ds_load_u16 v208, v93 offset:2
	ds_load_u16 v209, v94 offset:2
	;; [unrolled: 1-line block ×4, first 2 shown]
	ds_load_2addr_b32 v[152:153], v129 offset1:1
	ds_load_2addr_b32 v[154:155], v129 offset0:2 offset1:3
	ds_load_2addr_b32 v[156:157], v129 offset0:4 offset1:5
	;; [unrolled: 1-line block ×5, first 2 shown]
	ds_load_b32 v95, v132
	ds_load_b32 v92, v134
	ds_load_2addr_b32 v[164:165], v135 offset0:2 offset1:3
	ds_load_2addr_b32 v[166:167], v135 offset0:4 offset1:5
	ds_load_b32 v93, v136
	ds_load_b32 v94, v130
	ds_load_2addr_b32 v[168:169], v131 offset1:1
	ds_load_2addr_b32 v[170:171], v131 offset0:6 offset1:7
	ds_load_2addr_b32 v[172:173], v133 offset1:1
	ds_load_2addr_b32 v[174:175], v133 offset0:2 offset1:3
	ds_load_2addr_b32 v[176:177], v133 offset0:4 offset1:5
	;; [unrolled: 1-line block ×3, first 2 shown]
	ds_load_2addr_b32 v[180:181], v135 offset1:1
	ds_load_2addr_b32 v[182:183], v135 offset0:6 offset1:7
	ds_load_2addr_b32 v[184:185], v137 offset1:1
	ds_load_2addr_b32 v[186:187], v138 offset1:1
	;; [unrolled: 1-line block ×12, first 2 shown]
	s_wait_dscnt 0x16
	v_dual_ashrrev_i32 v166, s1, v166 :: v_dual_ashrrev_i32 v167, s1, v167
	v_dual_ashrrev_i32 v152, s1, v152 :: v_dual_ashrrev_i32 v153, s1, v153
	;; [unrolled: 1-line block ×3, first 2 shown]
	s_delay_alu instid0(VALU_DEP_3) | instskip(SKIP_3) | instid1(VALU_DEP_3)
	v_dual_lshlrev_b32 v166, 2, v166 :: v_dual_lshlrev_b32 v167, 2, v167
	s_wait_dscnt 0xd
	v_dual_ashrrev_i32 v180, s1, v180 :: v_dual_ashrrev_i32 v181, s1, v181
	v_dual_lshlrev_b32 v152, 2, v152 :: v_dual_lshlrev_b32 v153, 2, v153
	v_and_b32_e32 v167, 0x4040404, v167
	v_and_b32_e32 v166, 0x4040404, v166
	s_wait_dscnt 0x5
	v_dual_ashrrev_i32 v196, s21, v196 :: v_dual_ashrrev_i32 v197, s21, v197
	v_dual_lshlrev_b32 v180, 2, v180 :: v_dual_lshlrev_b32 v181, 2, v181
	s_wait_dscnt 0x1
	v_dual_ashrrev_i32 v204, s21, v204 :: v_dual_ashrrev_i32 v205, s21, v205
	s_set_vgpr_msb 64                       ;  msbs: dst=1 src0=0 src1=0 src2=0
	v_bfe_u32 v19 /*v275*/, v197, 24, 2
	s_set_vgpr_msb 0                        ;  msbs: dst=0 src0=0 src1=0 src2=0
	v_and_b32_e32 v197, 0x3030303, v197
	s_set_vgpr_msb 64                       ;  msbs: dst=1 src0=0 src1=0 src2=0
	v_lshrrev_b32_e32 v69 /*v325*/, 24, v167
	v_and_b32_e32 v15 /*v271*/, 0x3030303, v204
	v_bfe_u32 v16 /*v272*/, v205, 24, 2
	s_set_vgpr_msb 0                        ;  msbs: dst=0 src0=0 src1=0 src2=0
	v_and_b32_e32 v205, 0x3030303, v205
	v_bfe_u32 v204, v204, 24, 2
	s_set_vgpr_msb 64                       ;  msbs: dst=1 src0=0 src1=0 src2=0
	v_lshrrev_b32_e32 v33 /*v289*/, 16, v197
	s_set_vgpr_msb 0                        ;  msbs: dst=0 src0=0 src1=0 src2=0
	v_and_b32_e32 v152, 0x4040404, v152
	s_set_vgpr_msb 0x45                     ;  msbs: dst=1 src0=1 src1=1 src2=0
	v_sub_nc_u16 v16 /*v272*/, v16 /*v272*/, v69 /*v325*/
	s_set_vgpr_msb 64                       ;  msbs: dst=1 src0=0 src1=0 src2=0
	v_dual_lshrrev_b32 v31 /*v287*/, 16, v205 :: v_dual_lshrrev_b32 v69 /*v325*/, 24, v166
	s_set_vgpr_msb 0                        ;  msbs: dst=0 src0=0 src1=0 src2=0
	v_dual_ashrrev_i32 v156, s1, v156 :: v_dual_ashrrev_i32 v157, s1, v157
	v_dual_lshlrev_b32 v158, 2, v158 :: v_dual_lshlrev_b32 v159, 2, v159
	s_set_vgpr_msb 4                        ;  msbs: dst=0 src0=0 src1=1 src2=0
	v_sub_nc_u16 v204, v204, v69 /*v325*/
	s_set_vgpr_msb 64                       ;  msbs: dst=1 src0=0 src1=0 src2=0
	v_lshrrev_b32_e32 v69 /*v325*/, 16, v167
	v_and_b32_e32 v14 /*v270*/, 0x3030303, v196
	s_set_vgpr_msb 0                        ;  msbs: dst=0 src0=0 src1=0 src2=0
	v_and_b32_e32 v181, 0x4040404, v181
	s_set_vgpr_msb 0x44                     ;  msbs: dst=1 src0=0 src1=1 src2=0
	v_lshrrev_b32_e32 v30 /*v286*/, 16, v15 /*v271*/
	s_set_vgpr_msb 0                        ;  msbs: dst=0 src0=0 src1=0 src2=0
	v_dual_lshlrev_b32 v156, 2, v156 :: v_dual_lshlrev_b32 v157, 2, v157
	s_set_vgpr_msb 0x45                     ;  msbs: dst=1 src0=1 src1=1 src2=0
	v_sub_nc_u16 v31 /*v287*/, v31 /*v287*/, v69 /*v325*/
	s_set_vgpr_msb 64                       ;  msbs: dst=1 src0=0 src1=0 src2=0
	v_lshrrev_b32_e32 v69 /*v325*/, 16, v166
	s_set_vgpr_msb 0                        ;  msbs: dst=0 src0=0 src1=0 src2=0
	v_and_b32_e32 v180, 0x4040404, v180
	v_and_b32_e32 v158, 0x4040404, v158
	s_set_vgpr_msb 0x44                     ;  msbs: dst=1 src0=0 src1=1 src2=0
	v_lshrrev_b32_e32 v32 /*v288*/, 16, v14 /*v270*/
	s_set_vgpr_msb 0                        ;  msbs: dst=0 src0=0 src1=0 src2=0
	v_bfe_u32 v196, v196, 24, 2
	s_set_vgpr_msb 0x45                     ;  msbs: dst=1 src0=1 src1=1 src2=0
	v_sub_nc_u16 v30 /*v286*/, v30 /*v286*/, v69 /*v325*/
	s_set_vgpr_msb 64                       ;  msbs: dst=1 src0=0 src1=0 src2=0
	v_lshrrev_b32_e32 v69 /*v325*/, 24, v181
	s_set_vgpr_msb 0                        ;  msbs: dst=0 src0=0 src1=0 src2=0
	v_and_b32_e32 v157, 0x4040404, v157
	v_dual_ashrrev_i32 v144, s21, v144 :: v_dual_ashrrev_i32 v145, s21, v145
	v_and_b32_e32 v159, 0x4040404, v159
	s_set_vgpr_msb 0x45                     ;  msbs: dst=1 src0=1 src1=1 src2=0
	v_sub_nc_u16 v19 /*v275*/, v19 /*v275*/, v69 /*v325*/
	s_set_vgpr_msb 64                       ;  msbs: dst=1 src0=0 src1=0 src2=0
	v_lshrrev_b32_e32 v69 /*v325*/, 24, v180
	s_set_vgpr_msb 0                        ;  msbs: dst=0 src0=0 src1=0 src2=0
	v_and_b32_e32 v238, 0x3030303, v144
	s_set_vgpr_msb 0x44                     ;  msbs: dst=1 src0=0 src1=1 src2=0
	v_lshrrev_b16 v34 /*v290*/, 8, v14 /*v270*/
	s_set_vgpr_msb 0x41                     ;  msbs: dst=1 src0=1 src1=0 src2=0
	v_sub_nc_u16 v14 /*v270*/, v14 /*v270*/, v180
	s_set_vgpr_msb 0                        ;  msbs: dst=0 src0=0 src1=0 src2=0
	v_dual_ashrrev_i32 v148, s21, v148 :: v_dual_ashrrev_i32 v149, s21, v149
	s_set_vgpr_msb 4                        ;  msbs: dst=0 src0=0 src1=1 src2=0
	v_sub_nc_u16 v196, v196, v69 /*v325*/
	s_set_vgpr_msb 64                       ;  msbs: dst=1 src0=0 src1=0 src2=0
	v_lshrrev_b32_e32 v69 /*v325*/, 16, v181
	s_set_vgpr_msb 0                        ;  msbs: dst=0 src0=0 src1=0 src2=0
	v_and_b32_e32 v239, 0x3030303, v145
	v_lshrrev_b32_e32 v247, 16, v238
	v_dual_ashrrev_i32 v154, s1, v154 :: v_dual_ashrrev_i32 v155, s1, v155
	s_set_vgpr_msb 0x45                     ;  msbs: dst=1 src0=1 src1=1 src2=0
	v_sub_nc_u16 v33 /*v289*/, v33 /*v289*/, v69 /*v325*/
	s_set_vgpr_msb 64                       ;  msbs: dst=1 src0=0 src1=0 src2=0
	v_lshrrev_b32_e32 v69 /*v325*/, 16, v180
	s_set_vgpr_msb 1                        ;  msbs: dst=0 src0=1 src1=0 src2=0
	v_lshrrev_b16 v180, 8, v180
	v_and_b32_e32 v242, 0x3030303, v148
	v_lshrrev_b16 v246, 8, v238
	v_lshrrev_b32_e32 v249, 16, v239
	v_and_b32_e32 v153, 0x4040404, v153
	v_sub_nc_u16 v180, v34 /*v290*/, v180
	s_set_vgpr_msb 64                       ;  msbs: dst=1 src0=0 src1=0 src2=0
	v_lshrrev_b32_e32 v34 /*v290*/, 16, v152
	s_set_vgpr_msb 0                        ;  msbs: dst=0 src0=0 src1=0 src2=0
	v_sub_nc_u16 v238, v238, v152
	v_dual_ashrrev_i32 v146, s21, v146 :: v_dual_ashrrev_i32 v147, s21, v147
	v_dual_lshlrev_b32 v154, 2, v154 :: v_dual_lshlrev_b32 v155, 2, v155
	s_set_vgpr_msb 4                        ;  msbs: dst=0 src0=0 src1=1 src2=0
	v_sub_nc_u16 v247, v247, v34 /*v290*/
	s_set_vgpr_msb 64                       ;  msbs: dst=1 src0=0 src1=0 src2=0
	v_lshrrev_b32_e32 v34 /*v290*/, 24, v152
	s_set_vgpr_msb 0                        ;  msbs: dst=0 src0=0 src1=0 src2=0
	v_lshrrev_b16 v152, 8, v152
	v_lshrrev_b32_e32 v255, 16, v242
	v_and_b32_e32 v240, 0x3030303, v146
	v_lshrrev_b16 v248, 8, v239
	v_and_b32_e32 v154, 0x4040404, v154
	v_sub_nc_u16 v152, v246, v152
	v_lshrrev_b32_e32 v246, 16, v153
	v_sub_nc_u16 v239, v239, v153
	v_lshrrev_b16 v251, 8, v240
	v_and_b32_e32 v241, 0x3030303, v147
	v_lshrrev_b32_e32 v250, 16, v240
	v_sub_nc_u16 v246, v249, v246
	v_lshrrev_b32_e32 v249, 24, v153
	v_lshrrev_b16 v153, 8, v153
	v_and_b32_e32 v155, 0x4040404, v155
	v_sub_nc_u16 v240, v240, v154
	v_lshrrev_b32_e32 v253, 16, v241
	v_lshrrev_b16 v252, 8, v241
	v_sub_nc_u16 v153, v248, v153
	v_lshrrev_b16 v248, 8, v154
	v_and_b32_e32 v156, 0x4040404, v156
	v_sub_nc_u16 v241, v241, v155
	v_dual_ashrrev_i32 v150, s21, v150 :: v_dual_ashrrev_i32 v151, s21, v151
	s_delay_alu instid0(VALU_DEP_4)
	v_sub_nc_u16 v248, v251, v248
	v_dual_lshrrev_b32 v251, 24, v154 :: v_dual_lshrrev_b32 v154, 16, v154
	v_and_b32_e32 v243, 0x3030303, v149
	v_lshrrev_b16 v254, 8, v242
	v_sub_nc_u16 v242, v242, v156
	v_and_b32_e32 v244, 0x3030303, v150
	v_sub_nc_u16 v154, v250, v154
	v_lshrrev_b32_e32 v250, 16, v155
	s_set_vgpr_msb 64                       ;  msbs: dst=1 src0=0 src1=0 src2=0
	v_lshrrev_b32_e32 v1 /*v257*/, 16, v243
	s_set_vgpr_msb 0                        ;  msbs: dst=0 src0=0 src1=0 src2=0
	v_dual_ashrrev_i32 v160, s1, v160 :: v_dual_ashrrev_i32 v161, s1, v161
	s_set_vgpr_msb 64                       ;  msbs: dst=1 src0=0 src1=0 src2=0
	v_lshrrev_b16 v0 /*v256*/, 8, v243
	s_set_vgpr_msb 0                        ;  msbs: dst=0 src0=0 src1=0 src2=0
	v_sub_nc_u16 v250, v253, v250
	v_lshrrev_b32_e32 v253, 24, v155
	v_lshrrev_b16 v155, 8, v155
	s_set_vgpr_msb 64                       ;  msbs: dst=1 src0=0 src1=0 src2=0
	v_lshrrev_b32_e32 v2 /*v258*/, 16, v244
	s_set_vgpr_msb 0                        ;  msbs: dst=0 src0=0 src1=0 src2=0
	v_sub_nc_u16 v243, v243, v157
	v_dual_lshlrev_b32 v160, 2, v160 :: v_dual_lshlrev_b32 v161, 2, v161
	v_sub_nc_u16 v155, v252, v155
	v_lshrrev_b32_e32 v252, 16, v156
	s_set_vgpr_msb 64                       ;  msbs: dst=1 src0=0 src1=0 src2=0
	v_lshrrev_b16 v3 /*v259*/, 8, v244
	s_set_vgpr_msb 0                        ;  msbs: dst=0 src0=0 src1=0 src2=0
	v_and_b32_e32 v245, 0x3030303, v151
	v_dual_ashrrev_i32 v198, s21, v198 :: v_dual_ashrrev_i32 v199, s21, v199
	v_sub_nc_u16 v252, v255, v252
	v_lshrrev_b32_e32 v255, 24, v156
	v_lshrrev_b16 v156, 8, v156
	v_and_b32_e32 v160, 0x4040404, v160
	v_sub_nc_u16 v244, v244, v158
	v_dual_ashrrev_i32 v186, s21, v186 :: v_dual_ashrrev_i32 v187, s21, v187
	s_delay_alu instid0(VALU_DEP_4)
	v_sub_nc_u16 v156, v254, v156
	v_lshrrev_b32_e32 v254, 16, v157
	s_set_vgpr_msb 64                       ;  msbs: dst=1 src0=0 src1=0 src2=0
	v_bfe_u32 v24 /*v280*/, v199, 24, 2
	s_set_vgpr_msb 0                        ;  msbs: dst=0 src0=0 src1=0 src2=0
	v_and_b32_e32 v199, 0x3030303, v199
	s_set_vgpr_msb 64                       ;  msbs: dst=1 src0=0 src1=0 src2=0
	v_lshrrev_b32_e32 v5 /*v261*/, 16, v245
	s_set_vgpr_msb 1                        ;  msbs: dst=0 src0=1 src1=0 src2=0
	v_dual_ashrrev_i32 v162, s1, v162 :: v_dual_ashrrev_i32 v163, s1, v163
	v_sub_nc_u16 v254, v1 /*v257*/, v254
	s_set_vgpr_msb 64                       ;  msbs: dst=1 src0=0 src1=0 src2=0
	v_lshrrev_b32_e32 v1 /*v257*/, 24, v157
	s_set_vgpr_msb 0                        ;  msbs: dst=0 src0=0 src1=0 src2=0
	v_lshrrev_b16 v157, 8, v157
	v_bfe_u32 v151, v151, 24, 2
	v_dual_ashrrev_i32 v184, s21, v184 :: v_dual_ashrrev_i32 v185, s21, v185
	s_set_vgpr_msb 64                       ;  msbs: dst=1 src0=0 src1=0 src2=0
	v_lshrrev_b16 v4 /*v260*/, 8, v245
	s_set_vgpr_msb 1                        ;  msbs: dst=0 src0=1 src1=0 src2=0
	v_sub_nc_u16 v157, v0 /*v256*/, v157
	s_set_vgpr_msb 64                       ;  msbs: dst=1 src0=0 src1=0 src2=0
	v_lshrrev_b16 v0 /*v256*/, 8, v158
	v_and_b32_e32 v8 /*v264*/, 0x3030303, v186
	v_lshrrev_b32_e32 v49 /*v305*/, 16, v199
	s_set_vgpr_msb 0                        ;  msbs: dst=0 src0=0 src1=0 src2=0
	v_sub_nc_u16 v245, v245, v159
	v_dual_ashrrev_i32 v164, s1, v164 :: v_dual_ashrrev_i32 v165, s1, v165
	s_set_vgpr_msb 0x45                     ;  msbs: dst=1 src0=1 src1=1 src2=0
	v_sub_nc_u16 v0 /*v256*/, v3 /*v259*/, v0 /*v256*/
	s_set_vgpr_msb 64                       ;  msbs: dst=1 src0=0 src1=0 src2=0
	v_lshrrev_b32_e32 v3 /*v259*/, 24, v158
	s_set_vgpr_msb 1                        ;  msbs: dst=0 src0=1 src1=0 src2=0
	v_dual_lshrrev_b32 v158, 16, v158 :: v_dual_ashrrev_i32 v168, s1, v168
	v_dual_ashrrev_i32 v169, s1, v169 :: v_dual_ashrrev_i32 v200, s21, v200
	v_ashrrev_i32_e32 v201, s21, v201
	s_delay_alu instid0(VALU_DEP_3)
	v_sub_nc_u16 v158, v2 /*v258*/, v158
	s_set_vgpr_msb 64                       ;  msbs: dst=1 src0=0 src1=0 src2=0
	v_lshrrev_b32_e32 v2 /*v258*/, 16, v159
	s_set_vgpr_msb 0                        ;  msbs: dst=0 src0=0 src1=0 src2=0
	v_dual_lshlrev_b32 v162, 2, v162 :: v_dual_lshlrev_b32 v163, 2, v163
	s_set_vgpr_msb 64                       ;  msbs: dst=1 src0=0 src1=0 src2=0
	v_and_b32_e32 v6 /*v262*/, 0x3030303, v184
	s_set_vgpr_msb 0                        ;  msbs: dst=0 src0=0 src1=0 src2=0
	v_bfe_u32 v186, v186, 24, 2
	s_set_vgpr_msb 0x45                     ;  msbs: dst=1 src0=1 src1=1 src2=0
	v_sub_nc_u16 v2 /*v258*/, v5 /*v261*/, v2 /*v258*/
	s_set_vgpr_msb 64                       ;  msbs: dst=1 src0=0 src1=0 src2=0
	v_lshrrev_b32_e32 v5 /*v261*/, 24, v159
	s_set_vgpr_msb 0                        ;  msbs: dst=0 src0=0 src1=0 src2=0
	v_lshrrev_b16 v159, 8, v159
	s_set_vgpr_msb 64                       ;  msbs: dst=1 src0=0 src1=0 src2=0
	v_and_b32_e32 v9 /*v265*/, 0x3030303, v187
	s_set_vgpr_msb 0                        ;  msbs: dst=0 src0=0 src1=0 src2=0
	v_and_b32_e32 v161, 0x4040404, v161
	s_set_vgpr_msb 0x44                     ;  msbs: dst=1 src0=0 src1=1 src2=0
	v_lshrrev_b16 v41 /*v297*/, 8, v8 /*v264*/
	s_set_vgpr_msb 4                        ;  msbs: dst=0 src0=0 src1=1 src2=0
	v_sub_nc_u16 v151, v151, v5 /*v261*/
	s_set_vgpr_msb 64                       ;  msbs: dst=1 src0=0 src1=0 src2=0
	v_lshrrev_b32_e32 v5 /*v261*/, 24, v160
	s_set_vgpr_msb 1                        ;  msbs: dst=0 src0=1 src1=0 src2=0
	v_sub_nc_u16 v159, v4 /*v260*/, v159
	s_set_vgpr_msb 64                       ;  msbs: dst=1 src0=0 src1=0 src2=0
	v_lshrrev_b16 v4 /*v260*/, 8, v160
	s_set_vgpr_msb 0                        ;  msbs: dst=0 src0=0 src1=0 src2=0
	v_dual_ashrrev_i32 v170, s1, v170 :: v_dual_ashrrev_i32 v171, s1, v171
	v_dual_ashrrev_i32 v172, s1, v172 :: v_dual_ashrrev_i32 v173, s1, v173
	v_bfe_u32 v144, v144, 24, 2
	v_dual_lshlrev_b32 v164, 2, v164 :: v_dual_lshlrev_b32 v165, 2, v165
	v_dual_lshlrev_b32 v168, 2, v168 :: v_dual_lshlrev_b32 v169, 2, v169
	v_bfe_u32 v187, v187, 24, 2
	s_set_vgpr_msb 64                       ;  msbs: dst=1 src0=0 src1=0 src2=0
	v_and_b32_e32 v10 /*v266*/, 0x3030303, v200
	v_and_b32_e32 v11 /*v267*/, 0x3030303, v201
	s_set_vgpr_msb 0                        ;  msbs: dst=0 src0=0 src1=0 src2=0
	v_and_b32_e32 v162, 0x4040404, v162
	v_and_b32_e32 v163, 0x4040404, v163
	s_set_vgpr_msb 0x44                     ;  msbs: dst=1 src0=0 src1=1 src2=0
	v_dual_lshrrev_b32 v38 /*v294*/, 16, v6 /*v262*/ :: v_dual_lshrrev_b32 v40 /*v296*/, 16, v8 /*v264*/
	v_lshrrev_b16 v42 /*v298*/, 8, v9 /*v265*/
	v_dual_lshrrev_b32 v43 /*v299*/, 16, v9 /*v265*/ :: v_dual_lshrrev_b32 v45 /*v301*/, 16, v10 /*v266*/
	s_set_vgpr_msb 0x41                     ;  msbs: dst=1 src0=1 src1=0 src2=0
	v_sub_nc_u16 v8 /*v264*/, v8 /*v264*/, v160
	s_set_vgpr_msb 0                        ;  msbs: dst=0 src0=0 src1=0 src2=0
	v_lshrrev_b32_e32 v160, 16, v160
	s_set_vgpr_msb 0x45                     ;  msbs: dst=1 src0=1 src1=1 src2=0
	v_sub_nc_u16 v4 /*v260*/, v41 /*v297*/, v4 /*v260*/
	s_set_vgpr_msb 64                       ;  msbs: dst=1 src0=0 src1=0 src2=0
	v_lshrrev_b32_e32 v41 /*v297*/, 24, v161
	s_set_vgpr_msb 4                        ;  msbs: dst=0 src0=0 src1=1 src2=0
	v_sub_nc_u16 v186, v186, v5 /*v261*/
	s_set_vgpr_msb 0x41                     ;  msbs: dst=1 src0=1 src1=0 src2=0
	v_lshrrev_b32_e32 v5 /*v261*/, 16, v161
	v_sub_nc_u16 v9 /*v265*/, v9 /*v265*/, v161
	s_set_vgpr_msb 0                        ;  msbs: dst=0 src0=0 src1=0 src2=0
	v_lshrrev_b16 v161, 8, v161
	v_dual_ashrrev_i32 v174, s1, v174 :: v_dual_ashrrev_i32 v175, s1, v175
	v_dual_ashrrev_i32 v176, s1, v176 :: v_dual_ashrrev_i32 v177, s1, v177
	;; [unrolled: 1-line block ×6, first 2 shown]
	v_dual_lshlrev_b32 v170, 2, v170 :: v_dual_lshlrev_b32 v171, 2, v171
	v_dual_lshlrev_b32 v172, 2, v172 :: v_dual_lshlrev_b32 v173, 2, v173
	v_bfe_u32 v200, v200, 24, 2
	v_bfe_u32 v201, v201, 24, 2
	s_set_vgpr_msb 64                       ;  msbs: dst=1 src0=0 src1=0 src2=0
	v_and_b32_e32 v20 /*v276*/, 0x3030303, v198
	s_set_vgpr_msb 0                        ;  msbs: dst=0 src0=0 src1=0 src2=0
	v_and_b32_e32 v164, 0x4040404, v164
	v_and_b32_e32 v165, 0x4040404, v165
	;; [unrolled: 1-line block ×3, first 2 shown]
	s_set_vgpr_msb 0x44                     ;  msbs: dst=1 src0=0 src1=1 src2=0
	v_lshrrev_b16 v44 /*v300*/, 8, v10 /*v266*/
	v_dual_lshrrev_b32 v47 /*v303*/, 16, v11 /*v267*/ :: v_dual_lshrrev_b32 v48 /*v304*/, 16, v20 /*v276*/
	s_set_vgpr_msb 4                        ;  msbs: dst=0 src0=0 src1=1 src2=0
	v_sub_nc_u16 v144, v144, v34 /*v290*/
	s_set_vgpr_msb 1                        ;  msbs: dst=0 src0=1 src1=0 src2=0
	v_sub_nc_u16 v160, v40 /*v296*/, v160
	s_set_vgpr_msb 64                       ;  msbs: dst=1 src0=0 src1=0 src2=0
	v_lshrrev_b32_e32 v40 /*v296*/, 16, v162
	s_set_vgpr_msb 0x45                     ;  msbs: dst=1 src0=1 src1=1 src2=0
	v_sub_nc_u16 v5 /*v261*/, v43 /*v299*/, v5 /*v261*/
	s_set_vgpr_msb 0x41                     ;  msbs: dst=1 src0=1 src1=0 src2=0
	v_lshrrev_b32_e32 v43 /*v299*/, 24, v162
	v_sub_nc_u16 v10 /*v266*/, v10 /*v266*/, v162
	s_set_vgpr_msb 0                        ;  msbs: dst=0 src0=0 src1=0 src2=0
	v_lshrrev_b16 v162, 8, v162
	s_set_vgpr_msb 4                        ;  msbs: dst=0 src0=0 src1=1 src2=0
	v_sub_nc_u16 v187, v187, v41 /*v297*/
	s_set_vgpr_msb 64                       ;  msbs: dst=1 src0=0 src1=0 src2=0
	v_lshrrev_b32_e32 v41 /*v297*/, 16, v163
	s_set_vgpr_msb 1                        ;  msbs: dst=0 src0=1 src1=0 src2=0
	v_sub_nc_u16 v161, v42 /*v298*/, v161
	s_set_vgpr_msb 64                       ;  msbs: dst=1 src0=0 src1=0 src2=0
	v_lshrrev_b32_e32 v42 /*v298*/, 24, v163
	s_set_vgpr_msb 0                        ;  msbs: dst=0 src0=0 src1=0 src2=0
	v_dual_ashrrev_i32 v190, s21, v190 :: v_dual_ashrrev_i32 v191, s21, v191
	v_dual_ashrrev_i32 v192, s21, v192 :: v_dual_ashrrev_i32 v193, s21, v193
	;; [unrolled: 1-line block ×3, first 2 shown]
	s_wait_dscnt 0x0
	v_dual_ashrrev_i32 v206, s21, v206 :: v_dual_ashrrev_i32 v207, s21, v207
	v_dual_lshlrev_b32 v182, 2, v182 :: v_dual_lshlrev_b32 v183, 2, v183
	v_dual_lshlrev_b32 v174, 2, v174 :: v_dual_lshlrev_b32 v175, 2, v175
	;; [unrolled: 1-line block ×4, first 2 shown]
	v_bfe_u32 v184, v184, 24, 2
	s_set_vgpr_msb 64                       ;  msbs: dst=1 src0=0 src1=0 src2=0
	v_and_b32_e32 v7 /*v263*/, 0x3030303, v185
	v_and_b32_e32 v12 /*v268*/, 0x3030303, v202
	;; [unrolled: 1-line block ×5, first 2 shown]
	s_set_vgpr_msb 0                        ;  msbs: dst=0 src0=0 src1=0 src2=0
	v_bfe_u32 v198, v198, 24, 2
	v_and_b32_e32 v169, 0x4040404, v169
	v_and_b32_e32 v170, 0x4040404, v170
	;; [unrolled: 1-line block ×5, first 2 shown]
	s_set_vgpr_msb 0x44                     ;  msbs: dst=1 src0=0 src1=1 src2=0
	v_lshrrev_b16 v36 /*v292*/, 8, v20 /*v276*/
	v_lshrrev_b16 v46 /*v302*/, 8, v11 /*v267*/
	s_set_vgpr_msb 64                       ;  msbs: dst=1 src0=0 src1=0 src2=0
	v_lshrrev_b16 v50 /*v306*/, 8, v199
	s_set_vgpr_msb 0x44                     ;  msbs: dst=1 src0=0 src1=1 src2=0
	v_lshrrev_b16 v53 /*v309*/, 8, v15 /*v271*/
	s_set_vgpr_msb 64                       ;  msbs: dst=1 src0=0 src1=0 src2=0
	v_lshrrev_b16 v55 /*v311*/, 8, v205
	s_set_vgpr_msb 0x45                     ;  msbs: dst=1 src0=1 src1=1 src2=0
	v_sub_nc_u16 v32 /*v288*/, v32 /*v288*/, v69 /*v325*/
	s_set_vgpr_msb 64                       ;  msbs: dst=1 src0=0 src1=0 src2=0
	v_lshrrev_b16 v69 /*v325*/, 8, v164
	s_set_vgpr_msb 0                        ;  msbs: dst=0 src0=0 src1=0 src2=0
	v_sub_nc_u16 v205, v205, v167
	s_set_vgpr_msb 0x41                     ;  msbs: dst=1 src0=1 src1=0 src2=0
	v_sub_nc_u16 v15 /*v271*/, v15 /*v271*/, v166
	v_sub_nc_u16 v11 /*v267*/, v11 /*v267*/, v163
	s_set_vgpr_msb 0                        ;  msbs: dst=0 src0=0 src1=0 src2=0
	v_lshrrev_b16 v163, 8, v163
	s_set_vgpr_msb 0x45                     ;  msbs: dst=1 src0=1 src1=1 src2=0
	v_sub_nc_u16 v40 /*v296*/, v45 /*v301*/, v40 /*v296*/
	s_set_vgpr_msb 0x41                     ;  msbs: dst=1 src0=1 src1=0 src2=0
	v_lshrrev_b32_e32 v45 /*v301*/, 16, v164
	v_sub_nc_u16 v20 /*v276*/, v20 /*v276*/, v164
	s_set_vgpr_msb 0                        ;  msbs: dst=0 src0=0 src1=0 src2=0
	v_lshrrev_b32_e32 v164, 24, v164
	s_set_vgpr_msb 4                        ;  msbs: dst=0 src0=0 src1=1 src2=0
	v_sub_nc_u16 v200, v200, v43 /*v299*/
	s_set_vgpr_msb 64                       ;  msbs: dst=1 src0=0 src1=0 src2=0
	v_lshrrev_b16 v43 /*v299*/, 8, v165
	s_set_vgpr_msb 1                        ;  msbs: dst=0 src0=1 src1=0 src2=0
	v_sub_nc_u16 v162, v44 /*v300*/, v162
	s_set_vgpr_msb 64                       ;  msbs: dst=1 src0=0 src1=0 src2=0
	v_lshrrev_b32_e32 v44 /*v300*/, 16, v165
	s_set_vgpr_msb 0                        ;  msbs: dst=0 src0=0 src1=0 src2=0
	v_sub_nc_u16 v199, v199, v165
	v_lshrrev_b32_e32 v165, 24, v165
	v_lshrrev_b16 v166, 8, v166
	v_lshrrev_b16 v167, 8, v167
	s_set_vgpr_msb 0x45                     ;  msbs: dst=1 src0=1 src1=1 src2=0
	v_sub_nc_u16 v41 /*v297*/, v47 /*v303*/, v41 /*v297*/
	s_set_vgpr_msb 64                       ;  msbs: dst=1 src0=0 src1=0 src2=0
	v_lshrrev_b32_e32 v47 /*v303*/, 16, v168
	s_set_vgpr_msb 4                        ;  msbs: dst=0 src0=0 src1=1 src2=0
	v_sub_nc_u16 v201, v201, v42 /*v298*/
	s_set_vgpr_msb 64                       ;  msbs: dst=1 src0=0 src1=0 src2=0
	v_lshrrev_b32_e32 v42 /*v298*/, 24, v168
	s_set_vgpr_msb 0                        ;  msbs: dst=0 src0=0 src1=0 src2=0
	v_lshlrev_b16 v144, 8, v144
	v_lshlrev_b16 v153, 8, v153
	v_bfe_u32 v145, v145, 24, 2
	v_bfe_u32 v146, v146, 24, 2
	v_bfe_u32 v147, v147, 24, 2
	v_bfe_u32 v148, v148, 24, 2
	v_bfe_u32 v149, v149, 24, 2
	v_bfe_u32 v150, v150, 24, 2
	v_bfe_u32 v202, v202, 24, 2
	s_set_vgpr_msb 64                       ;  msbs: dst=1 src0=0 src1=0 src2=0
	v_and_b32_e32 v17 /*v273*/, 0x3030303, v206
	v_and_b32_e32 v18 /*v274*/, 0x3030303, v207
	s_set_vgpr_msb 0                        ;  msbs: dst=0 src0=0 src1=0 src2=0
	v_bfe_u32 v188, v188, 24, 2
	v_bfe_u32 v189, v189, 24, 2
	s_set_vgpr_msb 64                       ;  msbs: dst=1 src0=0 src1=0 src2=0
	v_and_b32_e32 v23 /*v279*/, 0x3030303, v190
	v_and_b32_e32 v25 /*v281*/, 0x3030303, v191
	;; [unrolled: 1-line block ×4, first 2 shown]
	s_set_vgpr_msb 0                        ;  msbs: dst=0 src0=0 src1=0 src2=0
	v_and_b32_e32 v182, 0x4040404, v182
	v_and_b32_e32 v183, 0x4040404, v183
	;; [unrolled: 1-line block ×6, first 2 shown]
	s_set_vgpr_msb 0x44                     ;  msbs: dst=1 src0=0 src1=1 src2=0
	v_lshrrev_b16 v37 /*v293*/, 8, v6 /*v262*/
	v_lshrrev_b16 v39 /*v295*/, 8, v7 /*v263*/
	v_dual_lshrrev_b32 v51 /*v307*/, 16, v7 /*v263*/ :: v_dual_lshrrev_b32 v52 /*v308*/, 16, v12 /*v268*/
	v_lshrrev_b16 v54 /*v310*/, 8, v12 /*v268*/
	v_dual_lshrrev_b32 v57 /*v313*/, 16, v13 /*v269*/ :: v_dual_lshrrev_b32 v60 /*v316*/, 16, v22 /*v278*/
	;; [unrolled: 2-line block ×3, first 2 shown]
	v_lshrrev_b16 v61 /*v317*/, 8, v22 /*v278*/
	s_set_vgpr_msb 0x41                     ;  msbs: dst=1 src0=1 src1=0 src2=0
	v_sub_nc_u16 v6 /*v262*/, v6 /*v262*/, v168
	s_set_vgpr_msb 1                        ;  msbs: dst=0 src0=1 src1=0 src2=0
	v_lshrrev_b16 v168, 8, v168
	v_sub_nc_u16 v163, v46 /*v302*/, v163
	s_set_vgpr_msb 64                       ;  msbs: dst=1 src0=0 src1=0 src2=0
	v_lshrrev_b32_e32 v46 /*v302*/, 16, v169
	s_set_vgpr_msb 0x45                     ;  msbs: dst=1 src0=1 src1=1 src2=0
	v_sub_nc_u16 v45 /*v301*/, v48 /*v304*/, v45 /*v301*/
	s_set_vgpr_msb 0x41                     ;  msbs: dst=1 src0=1 src1=0 src2=0
	v_lshrrev_b32_e32 v48 /*v304*/, 24, v169
	v_sub_nc_u16 v7 /*v263*/, v7 /*v263*/, v169
	s_set_vgpr_msb 0                        ;  msbs: dst=0 src0=0 src1=0 src2=0
	v_lshrrev_b16 v169, 8, v169
	v_sub_nc_u16 v164, v198, v164
	v_lshrrev_b32_e32 v198, 24, v170
	s_set_vgpr_msb 0x45                     ;  msbs: dst=1 src0=1 src1=1 src2=0
	v_sub_nc_u16 v43 /*v299*/, v50 /*v306*/, v43 /*v299*/
	s_set_vgpr_msb 64                       ;  msbs: dst=1 src0=0 src1=0 src2=0
	v_lshrrev_b16 v50 /*v306*/, 8, v170
	s_set_vgpr_msb 1                        ;  msbs: dst=0 src0=1 src1=0 src2=0
	v_sub_nc_u16 v165, v24 /*v280*/, v165
	s_set_vgpr_msb 64                       ;  msbs: dst=1 src0=0 src1=0 src2=0
	v_lshrrev_b32_e32 v24 /*v280*/, 24, v171
	s_set_vgpr_msb 1                        ;  msbs: dst=0 src0=1 src1=0 src2=0
	v_sub_nc_u16 v166, v53 /*v309*/, v166
	s_set_vgpr_msb 64                       ;  msbs: dst=1 src0=0 src1=0 src2=0
	v_lshrrev_b32_e32 v53 /*v309*/, 16, v172
	s_set_vgpr_msb 1                        ;  msbs: dst=0 src0=1 src1=0 src2=0
	v_sub_nc_u16 v167, v55 /*v311*/, v167
	s_set_vgpr_msb 0x41                     ;  msbs: dst=1 src0=1 src1=0 src2=0
	v_lshrrev_b32_e32 v55 /*v311*/, 24, v172
	v_sub_nc_u16 v21 /*v277*/, v21 /*v277*/, v172
	s_set_vgpr_msb 0                        ;  msbs: dst=0 src0=0 src1=0 src2=0
	v_lshrrev_b16 v172, 8, v172
	s_set_vgpr_msb 0x45                     ;  msbs: dst=1 src0=1 src1=1 src2=0
	v_sub_nc_u16 v38 /*v294*/, v38 /*v294*/, v47 /*v303*/
	s_set_vgpr_msb 64                       ;  msbs: dst=1 src0=0 src1=0 src2=0
	v_lshrrev_b32_e32 v47 /*v303*/, 16, v173
	s_set_vgpr_msb 4                        ;  msbs: dst=0 src0=0 src1=1 src2=0
	v_sub_nc_u16 v184, v184, v42 /*v298*/
	s_set_vgpr_msb 0x41                     ;  msbs: dst=1 src0=1 src1=0 src2=0
	v_lshrrev_b32_e32 v42 /*v298*/, 24, v173
	v_sub_nc_u16 v22 /*v278*/, v22 /*v278*/, v173
	s_set_vgpr_msb 0                        ;  msbs: dst=0 src0=0 src1=0 src2=0
	v_lshrrev_b16 v173, 8, v173
	v_bitop3_b16 v144, v247, v144, 0xff bitop3:0xec
	v_bitop3_b16 v153, v239, v153, 0xff bitop3:0xec
	v_bfe_u32 v185, v185, 24, 2
	v_bfe_u32 v192, v192, 24, 2
	v_bfe_u32 v206, v206, 24, 2
	v_bfe_u32 v207, v207, 24, 2
	v_and_b32_e32 v177, 0x4040404, v177
	s_set_vgpr_msb 0x44                     ;  msbs: dst=1 src0=0 src1=1 src2=0
	v_dual_lshrrev_b32 v64 /*v320*/, 16, v25 /*v281*/ :: v_dual_lshrrev_b32 v66 /*v322*/, 16, v26 /*v282*/
	v_lshrrev_b16 v67 /*v323*/, 8, v26 /*v282*/
	s_set_vgpr_msb 0                        ;  msbs: dst=0 src0=0 src1=0 src2=0
	v_sub_nc_u16 v145, v145, v249
	s_set_vgpr_msb 4                        ;  msbs: dst=0 src0=0 src1=1 src2=0
	v_lshrrev_b32_e32 v249, 16, v29 /*v285*/
	s_set_vgpr_msb 0                        ;  msbs: dst=0 src0=0 src1=0 src2=0
	v_sub_nc_u16 v146, v146, v251
	s_set_vgpr_msb 4                        ;  msbs: dst=0 src0=0 src1=1 src2=0
	v_lshrrev_b16 v251, 8, v29 /*v285*/
	s_set_vgpr_msb 0                        ;  msbs: dst=0 src0=0 src1=0 src2=0
	v_sub_nc_u16 v147, v147, v253
	s_set_vgpr_msb 4                        ;  msbs: dst=0 src0=0 src1=1 src2=0
	v_lshrrev_b16 v253, 8, v17 /*v273*/
	s_set_vgpr_msb 0                        ;  msbs: dst=0 src0=0 src1=0 src2=0
	v_sub_nc_u16 v148, v148, v255
	s_set_vgpr_msb 4                        ;  msbs: dst=0 src0=0 src1=1 src2=0
	v_lshrrev_b32_e32 v255, 16, v17 /*v273*/
	v_sub_nc_u16 v149, v149, v1 /*v257*/
	s_set_vgpr_msb 0x44                     ;  msbs: dst=1 src0=0 src1=1 src2=0
	v_lshrrev_b16 v1 /*v257*/, 8, v18 /*v274*/
	s_set_vgpr_msb 4                        ;  msbs: dst=0 src0=0 src1=1 src2=0
	v_sub_nc_u16 v150, v150, v3 /*v259*/
	s_set_vgpr_msb 0x44                     ;  msbs: dst=1 src0=0 src1=1 src2=0
	v_lshrrev_b32_e32 v3 /*v259*/, 16, v18 /*v274*/
	s_set_vgpr_msb 0x41                     ;  msbs: dst=1 src0=1 src1=0 src2=0
	v_sub_nc_u16 v17 /*v273*/, v17 /*v273*/, v182
	v_sub_nc_u16 v18 /*v274*/, v18 /*v274*/, v183
	;; [unrolled: 1-line block ×3, first 2 shown]
	s_set_vgpr_msb 0                        ;  msbs: dst=0 src0=0 src1=0 src2=0
	v_lshrrev_b32_e32 v170, 16, v170
	s_set_vgpr_msb 0x45                     ;  msbs: dst=1 src0=1 src1=1 src2=0
	v_sub_nc_u16 v44 /*v300*/, v49 /*v305*/, v44 /*v300*/
	s_set_vgpr_msb 64                       ;  msbs: dst=1 src0=0 src1=0 src2=0
	v_lshrrev_b32_e32 v49 /*v305*/, 16, v171
	s_set_vgpr_msb 1                        ;  msbs: dst=0 src0=1 src1=0 src2=0
	v_sub_nc_u16 v168, v37 /*v293*/, v168
	s_set_vgpr_msb 64                       ;  msbs: dst=1 src0=0 src1=0 src2=0
	v_lshrrev_b32_e32 v37 /*v293*/, 16, v174
	s_set_vgpr_msb 1                        ;  msbs: dst=0 src0=1 src1=0 src2=0
	v_sub_nc_u16 v169, v39 /*v295*/, v169
	s_set_vgpr_msb 64                       ;  msbs: dst=1 src0=0 src1=0 src2=0
	v_lshrrev_b32_e32 v39 /*v295*/, 24, v175
	s_set_vgpr_msb 0                        ;  msbs: dst=0 src0=0 src1=0 src2=0
	v_sub_nc_u16 v198, v202, v198
	v_lshrrev_b32_e32 v202, 16, v176
	s_set_vgpr_msb 0x45                     ;  msbs: dst=1 src0=1 src1=1 src2=0
	v_sub_nc_u16 v50 /*v306*/, v54 /*v310*/, v50 /*v306*/
	s_set_vgpr_msb 0x41                     ;  msbs: dst=1 src0=1 src1=0 src2=0
	v_lshrrev_b32_e32 v54 /*v310*/, 24, v176
	v_sub_nc_u16 v26 /*v282*/, v26 /*v282*/, v176
	s_set_vgpr_msb 0                        ;  msbs: dst=0 src0=0 src1=0 src2=0
	v_lshrrev_b16 v176, 8, v176
	s_set_vgpr_msb 0x45                     ;  msbs: dst=1 src0=1 src1=1 src2=0
	v_sub_nc_u16 v53 /*v309*/, v59 /*v315*/, v53 /*v309*/
	s_set_vgpr_msb 64                       ;  msbs: dst=1 src0=0 src1=0 src2=0
	v_lshrrev_b32_e32 v59 /*v315*/, 16, v179
	s_set_vgpr_msb 4                        ;  msbs: dst=0 src0=0 src1=1 src2=0
	v_sub_nc_u16 v188, v188, v55 /*v311*/
	s_set_vgpr_msb 0x41                     ;  msbs: dst=1 src0=1 src1=0 src2=0
	v_lshrrev_b32_e32 v55 /*v311*/, 24, v179
	v_sub_nc_u16 v29 /*v285*/, v29 /*v285*/, v179
	s_set_vgpr_msb 1                        ;  msbs: dst=0 src0=1 src1=0 src2=0
	v_lshrrev_b16 v179, 8, v179
	v_sub_nc_u16 v172, v58 /*v314*/, v172
	s_set_vgpr_msb 64                       ;  msbs: dst=1 src0=0 src1=0 src2=0
	v_lshrrev_b16 v58 /*v314*/, 8, v182
	s_set_vgpr_msb 0x45                     ;  msbs: dst=1 src0=1 src1=1 src2=0
	v_sub_nc_u16 v47 /*v303*/, v60 /*v316*/, v47 /*v303*/
	s_set_vgpr_msb 64                       ;  msbs: dst=1 src0=0 src1=0 src2=0
	v_lshrrev_b32_e32 v60 /*v316*/, 16, v182
	s_set_vgpr_msb 0                        ;  msbs: dst=0 src0=0 src1=0 src2=0
	v_lshrrev_b32_e32 v182, 24, v182
	s_set_vgpr_msb 4                        ;  msbs: dst=0 src0=0 src1=1 src2=0
	v_sub_nc_u16 v189, v189, v42 /*v298*/
	s_set_vgpr_msb 64                       ;  msbs: dst=1 src0=0 src1=0 src2=0
	v_lshrrev_b16 v42 /*v298*/, 8, v183
	s_set_vgpr_msb 1                        ;  msbs: dst=0 src0=1 src1=0 src2=0
	v_sub_nc_u16 v173, v61 /*v317*/, v173
	s_set_vgpr_msb 64                       ;  msbs: dst=1 src0=0 src1=0 src2=0
	v_lshrrev_b32_e32 v61 /*v317*/, 16, v183
	s_set_vgpr_msb 0                        ;  msbs: dst=0 src0=0 src1=0 src2=0
	v_perm_b32 v144, v144, v247, 0xc0c0500
	v_perm_b32 v153, v153, v239, 0x5000c0c
	v_lshrrev_b32_e32 v183, 24, v183
	v_lshrrev_b16 v141, 8, v4
	v_dual_ashrrev_i32 v217, 24, v0 :: v_dual_ashrrev_i32 v219, 24, v1
	v_lshrrev_b16 v224, 8, v1
	v_bfe_i32 v134, v4, 0, 8
	v_lshrrev_b16 v229, 8, v0
	v_lshrrev_b16 v231, 8, v2
	s_set_vgpr_msb 64                       ;  msbs: dst=1 src0=0 src1=0 src2=0
	v_and_b32_e32 v27 /*v283*/, 0x3030303, v193
	s_set_vgpr_msb 0                        ;  msbs: dst=0 src0=0 src1=0 src2=0
	v_bfe_u32 v193, v193, 24, 2
	s_set_vgpr_msb 64                       ;  msbs: dst=1 src0=0 src1=0 src2=0
	v_lshrrev_b16 v35 /*v291*/, 8, v197
	s_set_vgpr_msb 0                        ;  msbs: dst=0 src0=0 src1=0 src2=0
	v_sub_nc_u16 v197, v197, v181
	v_lshrrev_b16 v181, 8, v181
	s_set_vgpr_msb 4                        ;  msbs: dst=0 src0=0 src1=1 src2=0
	v_sub_nc_u16 v185, v185, v48 /*v304*/
	s_set_vgpr_msb 1                        ;  msbs: dst=0 src0=1 src1=0 src2=0
	v_sub_nc_u16 v170, v52 /*v308*/, v170
	s_set_vgpr_msb 64                       ;  msbs: dst=1 src0=0 src1=0 src2=0
	v_lshrrev_b32_e32 v52 /*v308*/, 16, v177
	s_set_vgpr_msb 0x45                     ;  msbs: dst=1 src0=1 src1=1 src2=0
	v_sub_nc_u16 v49 /*v305*/, v57 /*v313*/, v49 /*v305*/
	s_set_vgpr_msb 64                       ;  msbs: dst=1 src0=0 src1=0 src2=0
	v_lshrrev_b32_e32 v57 /*v313*/, 24, v177
	s_set_vgpr_msb 4                        ;  msbs: dst=0 src0=0 src1=1 src2=0
	v_sub_nc_u16 v192, v192, v54 /*v310*/
	s_set_vgpr_msb 1                        ;  msbs: dst=0 src0=1 src1=0 src2=0
	v_sub_nc_u16 v176, v67 /*v323*/, v176
	s_set_vgpr_msb 0                        ;  msbs: dst=0 src0=0 src1=0 src2=0
	v_sub_nc_u16 v179, v251, v179
	s_set_vgpr_msb 4                        ;  msbs: dst=0 src0=0 src1=1 src2=0
	v_sub_nc_u16 v251, v253, v58 /*v314*/
	s_set_vgpr_msb 0                        ;  msbs: dst=0 src0=0 src1=0 src2=0
	v_sub_nc_u16 v182, v206, v182
	s_set_vgpr_msb 5                        ;  msbs: dst=0 src0=1 src1=1 src2=0
	v_sub_nc_u16 v206, v1 /*v257*/, v42 /*v298*/
	s_set_vgpr_msb 0x41                     ;  msbs: dst=1 src0=1 src1=0 src2=0
	v_bfe_i32 v1 /*v257*/, v10 /*v266*/, 0, 8
	v_bfe_i32 v10 /*v266*/, v21 /*v277*/, 0, 8
	;; [unrolled: 1-line block ×4, first 2 shown]
	s_set_vgpr_msb 0                        ;  msbs: dst=0 src0=0 src1=0 src2=0
	v_lshlrev_b16 v152, 8, v152
	v_lshlrev_b16 v155, 8, v155
	;; [unrolled: 1-line block ×8, first 2 shown]
	v_or_b32_e32 v144, v153, v144
	v_sub_nc_u16 v183, v207, v183
	v_lshrrev_b16 v143, 8, v5
	v_lshrrev_b16 v212, 8, v6
	v_dual_ashrrev_i32 v213, 24, v4 :: v_dual_ashrrev_i32 v215, 24, v5
	v_bfe_i32 v131, v0, 0, 8
	v_lshrrev_b16 v225, 8, v3
	v_dual_ashrrev_i32 v227, 24, v3 :: v_dual_ashrrev_i32 v232, 24, v2
	v_bfe_i32 v234, v141, 0, 8
	v_bfe_i32 v224, v224, 0, 8
	;; [unrolled: 1-line block ×4, first 2 shown]
	v_bfe_u32 v190, v190, 24, 2
	v_bfe_u32 v191, v191, 24, 2
	s_set_vgpr_msb 64                       ;  msbs: dst=1 src0=0 src1=0 src2=0
	v_and_b32_e32 v28 /*v284*/, 0x3030303, v194
	s_set_vgpr_msb 0                        ;  msbs: dst=0 src0=0 src1=0 src2=0
	v_and_b32_e32 v178, 0x4040404, v178
	s_set_vgpr_msb 0x45                     ;  msbs: dst=1 src0=1 src1=1 src2=0
	v_lshrrev_b32_e32 v68 /*v324*/, 16, v27 /*v283*/
	v_sub_nc_u16 v36 /*v292*/, v36 /*v292*/, v69 /*v325*/
	v_lshrrev_b16 v69 /*v325*/, 8, v27 /*v283*/
	s_set_vgpr_msb 1                        ;  msbs: dst=0 src0=1 src1=0 src2=0
	v_sub_nc_u16 v181, v35 /*v291*/, v181
	s_set_vgpr_msb 0x45                     ;  msbs: dst=1 src0=1 src1=1 src2=0
	v_sub_nc_u16 v46 /*v302*/, v51 /*v307*/, v46 /*v302*/
	s_set_vgpr_msb 0x41                     ;  msbs: dst=1 src0=1 src1=0 src2=0
	v_dual_lshrrev_b32 v51 /*v307*/, 24, v174 :: v_dual_lshrrev_b32 v48 /*v304*/, 16, v175
	v_sub_nc_u16 v27 /*v283*/, v27 /*v283*/, v177
	s_set_vgpr_msb 1                        ;  msbs: dst=0 src0=1 src1=0 src2=0
	v_lshrrev_b16 v177, 8, v177
	v_sub_nc_u16 v202, v66 /*v322*/, v202
	s_set_vgpr_msb 4                        ;  msbs: dst=0 src0=0 src1=1 src2=0
	v_sub_nc_u16 v193, v193, v57 /*v313*/
	s_set_vgpr_msb 1                        ;  msbs: dst=0 src0=1 src1=0 src2=0
	v_bfe_i32 v207, v14 /*v270*/, 0, 8
	s_set_vgpr_msb 0x41                     ;  msbs: dst=1 src0=1 src1=0 src2=0
	v_bfe_i32 v14 /*v270*/, v26 /*v282*/, 0, 8
	s_set_vgpr_msb 0                        ;  msbs: dst=0 src0=0 src1=0 src2=0
	v_bfe_i32 v204, v204, 0, 16
	s_set_vgpr_msb 0x41                     ;  msbs: dst=1 src0=1 src1=0 src2=0
	v_bfe_i32 v19 /*v275*/, v19 /*v275*/, 0, 16
	s_set_vgpr_msb 0                        ;  msbs: dst=0 src0=0 src1=0 src2=0
	v_bfe_i32 v167, v167, 0, 16
	v_bfe_i32 v183, v183, 0, 16
	v_lshlrev_b16 v162, 8, v162
	v_lshlrev_b16 v200, 8, v200
	s_set_vgpr_msb 0x44                     ;  msbs: dst=1 src0=0 src1=1 src2=0
	v_mul_i32_i24_e32 v10 /*v266*/, v134, v10 /*v266*/
	s_set_vgpr_msb 0                        ;  msbs: dst=0 src0=0 src1=0 src2=0
	v_lshlrev_b16 v189, 8, v189
	s_set_vgpr_msb 0x44                     ;  msbs: dst=1 src0=0 src1=1 src2=0
	v_mul_i32_i24_e32 v6 /*v262*/, v134, v6 /*v262*/
	s_set_vgpr_msb 0                        ;  msbs: dst=0 src0=0 src1=0 src2=0
	v_lshlrev_b16 v185, 8, v185
	v_lshlrev_b16 v176, 8, v176
	;; [unrolled: 1-line block ×3, first 2 shown]
	v_bfe_i32 v251, v251, 0, 16
	v_lshlrev_b16 v161, 8, v161
	v_bfe_i32 v166, v166, 0, 16
	v_bfe_i32 v182, v182, 0, 16
	s_set_vgpr_msb 1                        ;  msbs: dst=0 src0=1 src1=0 src2=0
	v_mul_i32_i24_e32 v219, v16 /*v272*/, v219
	s_set_vgpr_msb 0                        ;  msbs: dst=0 src0=0 src1=0 src2=0
	v_bitop3_b16 v152, v238, v152, 0xff bitop3:0xec
	v_bitop3_b16 v155, v241, v155, 0xff bitop3:0xec
	;; [unrolled: 1-line block ×3, first 2 shown]
	s_set_vgpr_msb 1                        ;  msbs: dst=0 src0=1 src1=0 src2=0
	v_bitop3_b16 v187, v5 /*v261*/, v187, 0xff bitop3:0xec
	s_set_vgpr_msb 0                        ;  msbs: dst=0 src0=0 src1=0 src2=0
	v_bfe_i32 v172, v172, 8, 8
	s_set_vgpr_msb 1                        ;  msbs: dst=0 src0=1 src1=0 src2=0
	v_bitop3_b16 v188, v53 /*v309*/, v188, 0xff bitop3:0xec
	s_set_vgpr_msb 0                        ;  msbs: dst=0 src0=0 src1=0 src2=0
	v_bfe_i32 v168, v168, 8, 8
	s_set_vgpr_msb 1                        ;  msbs: dst=0 src0=1 src1=0 src2=0
	v_bitop3_b16 v184, v38 /*v294*/, v184, 0xff bitop3:0xec
	v_lshrrev_b16 v221, 8, v7
	v_dual_ashrrev_i32 v223, 24, v7 :: v_dual_ashrrev_i32 v230, 24, v6
	s_set_vgpr_msb 0                        ;  msbs: dst=0 src0=0 src1=0 src2=0
	v_perm_b32 v138, v4, v4, 0xc0c0302
	v_bfe_i32 v143, v143, 0, 8
	v_bfe_i32 v212, v212, 0, 8
	v_bfe_i32 v225, v225, 0, 8
	s_set_vgpr_msb 0x44                     ;  msbs: dst=1 src0=0 src1=1 src2=0
	v_lshrrev_b16 v63 /*v319*/, 8, v23 /*v279*/
	v_lshrrev_b16 v65 /*v321*/, 8, v25 /*v281*/
	v_lshrrev_b32_e32 v35 /*v291*/, 16, v28 /*v284*/
	v_lshrrev_b16 v34 /*v290*/, 8, v28 /*v284*/
	s_set_vgpr_msb 0x41                     ;  msbs: dst=1 src0=1 src1=0 src2=0
	v_sub_nc_u16 v23 /*v279*/, v23 /*v279*/, v174
	s_set_vgpr_msb 0                        ;  msbs: dst=0 src0=0 src1=0 src2=0
	v_lshrrev_b16 v174, 8, v174
	s_set_vgpr_msb 0x41                     ;  msbs: dst=1 src0=1 src1=0 src2=0
	v_sub_nc_u16 v25 /*v281*/, v25 /*v281*/, v175
	v_sub_nc_u16 v28 /*v284*/, v28 /*v284*/, v178
	s_set_vgpr_msb 4                        ;  msbs: dst=0 src0=0 src1=1 src2=0
	v_sub_nc_u16 v190, v190, v51 /*v307*/
	v_sub_nc_u16 v191, v191, v39 /*v295*/
	s_set_vgpr_msb 0x45                     ;  msbs: dst=1 src0=1 src1=1 src2=0
	v_sub_nc_u16 v39 /*v295*/, v68 /*v324*/, v52 /*v308*/
	s_set_vgpr_msb 1                        ;  msbs: dst=0 src0=1 src1=0 src2=0
	v_sub_nc_u16 v177, v69 /*v325*/, v177
	s_set_vgpr_msb 0x41                     ;  msbs: dst=1 src0=1 src1=0 src2=0
	v_bfe_i32 v21 /*v277*/, v27 /*v283*/, 0, 8
	v_bfe_i32 v27 /*v283*/, v31 /*v287*/, 0, 8
	s_set_vgpr_msb 0                        ;  msbs: dst=0 src0=0 src1=0 src2=0
	v_bfe_i32 v196, v196, 0, 16
	v_bfe_i32 v181, v181, 0, 16
	s_set_vgpr_msb 0x41                     ;  msbs: dst=1 src0=1 src1=0 src2=0
	v_bfe_i32 v31 /*v287*/, v36 /*v292*/, 0, 16
	s_set_vgpr_msb 0                        ;  msbs: dst=0 src0=0 src1=0 src2=0
	v_bfe_i32 v180, v180, 0, 16
	v_bfe_i32 v165, v165, 0, 16
	;; [unrolled: 1-line block ×5, first 2 shown]
	s_set_vgpr_msb 0x44                     ;  msbs: dst=1 src0=0 src1=1 src2=0
	v_mul_i32_i24_e32 v1 /*v257*/, v131, v1 /*v257*/
	s_set_vgpr_msb 0                        ;  msbs: dst=0 src0=0 src1=0 src2=0
	v_lshlrev_b16 v148, 8, v148
	v_lshlrev_b16 v157, 8, v157
	;; [unrolled: 1-line block ×3, first 2 shown]
	v_bfe_i32 v164, v164, 0, 16
	s_set_vgpr_msb 0x44                     ;  msbs: dst=1 src0=0 src1=1 src2=0
	v_mul_i32_i24_e32 v14 /*v270*/, v131, v14 /*v270*/
	s_set_vgpr_msb 1                        ;  msbs: dst=0 src0=1 src1=0 src2=0
	v_lshlrev_b16 v193, 8, v193
	v_lshlrev_b16 v169, 8, v169
	;; [unrolled: 1-line block ×3, first 2 shown]
	v_mul_i32_i24_e32 v215, v19 /*v275*/, v215
	s_set_vgpr_msb 0                        ;  msbs: dst=0 src0=0 src1=0 src2=0
	v_mul_i32_i24_e32 v167, v167, v224
	v_mul_i32_i24_e32 v183, v183, v227
	v_bfe_i32 v162, v162, 8, 8
	s_set_vgpr_msb 1                        ;  msbs: dst=0 src0=1 src1=0 src2=0
	v_bitop3_b16 v200, v40 /*v296*/, v200, 0xff bitop3:0xec
	v_bitop3_b16 v189, v47 /*v303*/, v189, 0xff bitop3:0xec
	v_bitop3_b16 v185, v46 /*v302*/, v185, 0xff bitop3:0xec
	s_set_vgpr_msb 0                        ;  msbs: dst=0 src0=0 src1=0 src2=0
	v_bfe_i32 v176, v176, 8, 8
	v_bitop3_b16 v192, v202, v192, 0xff bitop3:0xec
	v_mul_i32_i24_e32 v227, v251, v231
	v_mul_i32_i24_e32 v166, v166, v229
	v_perm_b32 v161, v161, v161, 0xc0c0c01
	v_mul_i32_i24_e32 v182, v182, v232
	v_mad_i32_i24 v204, v204, v217, v219
	v_perm_b32 v155, v155, v241, 0xc0c0500
	v_perm_b32 v147, v147, v250, 0x5000c0c
	s_set_vgpr_msb 4                        ;  msbs: dst=0 src0=0 src1=1 src2=0
	v_perm_b32 v187, v187, v5 /*v261*/, 0xc05000c
	s_set_vgpr_msb 16                       ;  msbs: dst=0 src0=0 src1=0 src2=1
	v_mad_i32_i24 v172, v234, v172, v10 /*v266*/
	s_set_vgpr_msb 4                        ;  msbs: dst=0 src0=0 src1=1 src2=0
	v_perm_b32 v188, v188, v53 /*v309*/, 0xc0c0500
	s_set_vgpr_msb 16                       ;  msbs: dst=0 src0=0 src1=0 src2=1
	v_mad_i32_i24 v168, v234, v168, v6 /*v262*/
	s_set_vgpr_msb 4                        ;  msbs: dst=0 src0=0 src1=1 src2=0
	v_perm_b32 v184, v184, v38 /*v294*/, 0xc0c0500
	s_set_vgpr_msb 0                        ;  msbs: dst=0 src0=0 src1=0 src2=0
	v_and_b32_e32 v152, 0xffff, v152
	v_bfe_u32 v203, v203, 24, 2
	s_set_vgpr_msb 0x44                     ;  msbs: dst=1 src0=0 src1=1 src2=0
	v_lshrrev_b16 v56 /*v312*/, 8, v13 /*v269*/
	s_set_vgpr_msb 0x41                     ;  msbs: dst=1 src0=1 src1=0 src2=0
	v_sub_nc_u16 v13 /*v269*/, v13 /*v269*/, v171
	s_set_vgpr_msb 0                        ;  msbs: dst=0 src0=0 src1=0 src2=0
	v_lshrrev_b16 v171, 8, v171
	v_lshlrev_b16 v156, 8, v156
	v_bfe_i32 v135, v5, 0, 8
	v_perm_b32 v142, v0, v0, 0xc0c0302
	v_bfe_i32 v221, v221, 0, 8
	s_set_vgpr_msb 0x45                     ;  msbs: dst=1 src0=1 src1=1 src2=0
	v_sub_nc_u16 v37 /*v293*/, v62 /*v318*/, v37 /*v293*/
	s_set_vgpr_msb 1                        ;  msbs: dst=0 src0=1 src1=0 src2=0
	v_sub_nc_u16 v174, v63 /*v319*/, v174
	s_set_vgpr_msb 4                        ;  msbs: dst=0 src0=0 src1=1 src2=0
	v_sub_nc_u16 v253, v255, v60 /*v316*/
	s_set_vgpr_msb 5                        ;  msbs: dst=0 src0=1 src1=1 src2=0
	v_sub_nc_u16 v255, v3 /*v259*/, v61 /*v317*/
	s_set_vgpr_msb 0                        ;  msbs: dst=0 src0=0 src1=0 src2=0
	v_bfe_i32 v197, v197, 0, 8
	s_set_vgpr_msb 0x41                     ;  msbs: dst=1 src0=1 src1=0 src2=0
	v_bfe_i32 v3 /*v259*/, v20 /*v276*/, 0, 8
	v_bfe_i32 v20 /*v276*/, v22 /*v278*/, 0, 8
	;; [unrolled: 1-line block ×8, first 2 shown]
	s_set_vgpr_msb 0                        ;  msbs: dst=0 src0=0 src1=0 src2=0
	v_bfe_i32 v154, v154, 0, 8
	v_bfe_i32 v160, v160, 0, 8
	s_set_vgpr_msb 0x41                     ;  msbs: dst=1 src0=1 src1=0 src2=0
	v_bfe_i32 v32 /*v288*/, v43 /*v299*/, 0, 16
	s_set_vgpr_msb 0                        ;  msbs: dst=0 src0=0 src1=0 src2=0
	v_lshlrev_b16 v145, 8, v145
	v_lshlrev_b16 v248, 8, v248
	v_lshlrev_b16 v190, 8, v190
	v_lshlrev_b16 v163, 8, v163
	v_lshlrev_b16 v177, 8, v177
	v_mul_i32_i24_e32 v143, v181, v143
	s_set_vgpr_msb 1                        ;  msbs: dst=0 src0=1 src1=0 src2=0
	v_mul_i32_i24_e32 v181, v31 /*v287*/, v212
	s_set_vgpr_msb 0                        ;  msbs: dst=0 src0=0 src1=0 src2=0
	v_mul_i32_i24_e32 v180, v180, v234
	v_mul_i32_i24_e32 v165, v165, v223
	v_perm_b32 v158, v170, v158, 0x5040100
	v_mul_i32_i24_e32 v170, v206, v225
	v_bitop3_b16 v148, v252, v148, 0xff bitop3:0xec
	v_bitop3_b16 v157, v243, v157, 0xff bitop3:0xec
	s_set_vgpr_msb 1                        ;  msbs: dst=0 src0=1 src1=0 src2=0
	v_bitop3_b16 v201, v41 /*v297*/, v201, 0xff bitop3:0xec
	s_set_vgpr_msb 0                        ;  msbs: dst=0 src0=0 src1=0 src2=0
	v_mul_i32_i24_e32 v164, v164, v230
	s_set_vgpr_msb 1                        ;  msbs: dst=0 src0=1 src1=0 src2=0
	v_bitop3_b16 v193, v39 /*v295*/, v193, 0xff bitop3:0xec
	s_set_vgpr_msb 0                        ;  msbs: dst=0 src0=0 src1=0 src2=0
	v_perm_b32 v173, v173, v173, 0xc0c0c01
	v_perm_b32 v169, v169, v169, 0xc0c0c01
	v_mad_i32_i24 v196, v196, v213, v215
	s_set_vgpr_msb 16                       ;  msbs: dst=0 src0=0 src1=0 src2=1
	v_mad_i32_i24 v162, v229, v162, v1 /*v257*/
	s_set_vgpr_msb 4                        ;  msbs: dst=0 src0=0 src1=1 src2=0
	v_perm_b32 v200, v200, v40 /*v296*/, 0xc0c0500
	v_perm_b32 v189, v189, v47 /*v303*/, 0xc05000c
	;; [unrolled: 1-line block ×3, first 2 shown]
	s_set_vgpr_msb 16                       ;  msbs: dst=0 src0=0 src1=0 src2=1
	v_mad_i32_i24 v176, v229, v176, v14 /*v270*/
	v_perm_b32 v192, v192, v202, 0xc0c0500
	s_set_vgpr_msb 0                        ;  msbs: dst=0 src0=0 src1=0 src2=0
	v_add3_u32 v166, v166, v167, v227
	v_bfe_i32 v167, v152, 8, 8
	v_or_b32_e32 v147, v147, v155
	v_or_b32_e32 v155, v187, v161
	v_add3_u32 v161, v204, v182, v183
	v_dot4_i32_iu8 v172, v138, v188, v172 neg_lo:[1,1,0]
	v_dot4_i32_iu8 v138, v138, v184, v168 neg_lo:[1,1,0]
	v_bfe_u32 v194, v194, 24, 2
	s_set_vgpr_msb 4                        ;  msbs: dst=0 src0=0 src1=1 src2=0
	v_sub_nc_u16 v203, v203, v24 /*v280*/
	s_set_vgpr_msb 64                       ;  msbs: dst=1 src0=0 src1=0 src2=0
	v_lshrrev_b32_e32 v24 /*v280*/, 16, v178
	s_set_vgpr_msb 1                        ;  msbs: dst=0 src0=1 src1=0 src2=0
	v_sub_nc_u16 v171, v56 /*v312*/, v171
	s_set_vgpr_msb 64                       ;  msbs: dst=1 src0=0 src1=0 src2=0
	v_lshrrev_b32_e32 v56 /*v312*/, 24, v178
	s_set_vgpr_msb 0                        ;  msbs: dst=0 src0=0 src1=0 src2=0
	v_bitop3_b16 v156, v242, v156, 0xff bitop3:0xec
	v_bfe_i32 v132, v1, 0, 8
	v_bfe_i32 v222, v7, 16, 8
	;; [unrolled: 1-line block ×3, first 2 shown]
	v_perm_b32 v136, v5, v5, 0xc030201
	v_bfe_i32 v233, v2, 16, 8
	v_lshrrev_b16 v175, 8, v175
	v_bfe_i32 v205, v205, 0, 8
	s_set_vgpr_msb 0x41                     ;  msbs: dst=1 src0=1 src1=0 src2=0
	v_bfe_i32 v11 /*v267*/, v11 /*v267*/, 0, 8
	v_bfe_i32 v26 /*v282*/, v29 /*v285*/, 0, 8
	;; [unrolled: 1-line block ×4, first 2 shown]
	s_set_vgpr_msb 0                        ;  msbs: dst=0 src0=0 src1=0 src2=0
	v_mul_i32_i24_e32 v197, v197, v135
	s_set_vgpr_msb 0x44                     ;  msbs: dst=1 src0=0 src1=1 src2=0
	v_lshlrev_b16 v4 /*v260*/, 8, v4 /*v260*/
	s_set_vgpr_msb 0                        ;  msbs: dst=0 src0=0 src1=0 src2=0
	v_lshlrev_b16 v174, 8, v174
	v_perm_b32 v154, v160, v154, 0x5040100
	s_set_vgpr_msb 1                        ;  msbs: dst=0 src0=1 src1=0 src2=0
	v_mul_i32_i24_e32 v160, v32 /*v288*/, v221
	s_set_vgpr_msb 0                        ;  msbs: dst=0 src0=0 src1=0 src2=0
	v_bitop3_b16 v145, v246, v145, 0xff bitop3:0xec
	v_bitop3_b16 v223, v240, v248, 0xff bitop3:0xec
	s_set_vgpr_msb 1                        ;  msbs: dst=0 src0=1 src1=0 src2=0
	v_bitop3_b16 v190, v37 /*v293*/, v190, 0xff bitop3:0xec
	s_set_vgpr_msb 0                        ;  msbs: dst=0 src0=0 src1=0 src2=0
	v_perm_b32 v163, v163, v163, 0xc0c0c01
	v_perm_b32 v177, v177, v177, 0xc0c0c01
	v_add3_u32 v143, v180, v143, v181
	v_perm_b32 v148, v148, v252, 0xc0c0500
	v_perm_b32 v157, v157, v243, 0x5000c0c
	s_set_vgpr_msb 4                        ;  msbs: dst=0 src0=0 src1=1 src2=0
	v_perm_b32 v201, v201, v41 /*v297*/, 0xc05000c
	v_perm_b32 v193, v193, v39 /*v295*/, 0xc05000c
	v_bfe_i32 v152, v152, 0, 8
	s_set_vgpr_msb 0                        ;  msbs: dst=0 src0=0 src1=0 src2=0
	v_dot4_i32_iu8 v162, v142, v200, v162 neg_lo:[1,1,0]
	v_or_b32_e32 v173, v189, v173
	v_or_b32_e32 v168, v185, v169
	v_add3_u32 v164, v196, v164, v165
	v_dot4_i32_iu8 v142, v142, v192, v176 neg_lo:[1,1,0]
	v_mul_i32_i24_e32 v167, v234, v167
	v_add3_u32 v161, v166, v170, v161
	s_set_vgpr_msb 4                        ;  msbs: dst=0 src0=0 src1=1 src2=0
	v_mad_i32_i24 v166, v135, v20 /*v276*/, v172
	v_mad_i32_i24 v135, v135, v7 /*v263*/, v138
	s_set_vgpr_msb 0                        ;  msbs: dst=0 src0=0 src1=0 src2=0
	v_lshrrev_b16 v178, 8, v178
	s_set_vgpr_msb 4                        ;  msbs: dst=0 src0=0 src1=1 src2=0
	v_sub_nc_u16 v194, v194, v56 /*v312*/
	s_set_vgpr_msb 0                        ;  msbs: dst=0 src0=0 src1=0 src2=0
	v_and_b32_e32 v156, 0xffff, v156
	v_bfe_i32 v216, v5, 16, 8
	v_bfe_i32 v133, v6, 0, 8
	v_perm_b32 v137, v5, v4, 0x5040302
	v_perm_b32 v139, v1, v1, 0xc030201
	s_set_vgpr_msb 0x45                     ;  msbs: dst=1 src0=1 src1=1 src2=0
	v_sub_nc_u16 v48 /*v304*/, v64 /*v320*/, v48 /*v304*/
	s_set_vgpr_msb 1                        ;  msbs: dst=0 src0=1 src1=0 src2=0
	v_sub_nc_u16 v175, v65 /*v321*/, v175
	s_set_vgpr_msb 0x41                     ;  msbs: dst=1 src0=1 src1=0 src2=0
	v_bfe_i32 v8 /*v264*/, v8 /*v264*/, 0, 8
	s_set_vgpr_msb 0                        ;  msbs: dst=0 src0=0 src1=0 src2=0
	v_mul_i32_i24_e32 v205, v205, v132
	v_lshlrev_b16 v146, 8, v146
	v_lshlrev_b16 v186, 8, v186
	;; [unrolled: 1-line block ×3, first 2 shown]
	s_set_vgpr_msb 1                        ;  msbs: dst=0 src0=1 src1=0 src2=0
	v_mul_i32_i24_e32 v221, v33 /*v289*/, v222
	s_set_vgpr_msb 0                        ;  msbs: dst=0 src0=0 src1=0 src2=0
	v_mad_i32_i24 v197, v207, v134, v197
	s_set_vgpr_msb 1                        ;  msbs: dst=0 src0=1 src1=0 src2=0
	v_bfe_i32 v222, v4 /*v260*/, 8, 8
	s_set_vgpr_msb 0                        ;  msbs: dst=0 src0=0 src1=0 src2=0
	v_perm_b32 v174, v174, v174, 0xc0c0c01
	v_pk_mul_lo_u16 v154, v154, v228 op_sel_hi:[1,0]
	v_perm_b32 v145, v145, v246, 0xc0c0500
	v_perm_b32 v181, v223, v240, 0x5000c0c
	s_set_vgpr_msb 4                        ;  msbs: dst=0 src0=0 src1=1 src2=0
	v_perm_b32 v190, v190, v37 /*v293*/, 0xc05000c
	s_set_vgpr_msb 0                        ;  msbs: dst=0 src0=0 src1=0 src2=0
	v_pk_mul_lo_u16 v158, v158, v233 op_sel_hi:[1,0]
	v_or_b32_e32 v148, v157, v148
	v_dual_add_nc_u32 v89, 4, v89 :: v_dual_bitop2_b32 v157, v201, v163 bitop3:0x54
	v_or_b32_e32 v165, v193, v177
	s_set_vgpr_msb 4                        ;  msbs: dst=0 src0=0 src1=1 src2=0
	v_mad_i32_i24 v162, v132, v11 /*v267*/, v162
	s_set_vgpr_msb 0                        ;  msbs: dst=0 src0=0 src1=0 src2=0
	v_add3_u32 v138, v143, v160, v164
	s_set_vgpr_msb 4                        ;  msbs: dst=0 src0=0 src1=1 src2=0
	v_mad_i32_i24 v132, v132, v21 /*v277*/, v142
	s_set_vgpr_msb 0                        ;  msbs: dst=0 src0=0 src1=0 src2=0
	v_mad_i32_i24 v134, v134, v152, v167
	v_dot4_i32_iu8 v143, v136, v173, v166 neg_lo:[1,1,0]
	v_dot4_i32_iu8 v135, v136, v168, v135 neg_lo:[1,1,0]
	v_bfe_i32 v130, v7, 0, 8
	v_bfe_u32 v195, v195, 24, 2
	s_set_vgpr_msb 0x45                     ;  msbs: dst=1 src0=1 src1=1 src2=0
	v_sub_nc_u16 v24 /*v280*/, v35 /*v291*/, v24 /*v280*/
	s_set_vgpr_msb 1                        ;  msbs: dst=0 src0=1 src1=0 src2=0
	v_sub_nc_u16 v178, v34 /*v290*/, v178
	s_set_vgpr_msb 0                        ;  msbs: dst=0 src0=0 src1=0 src2=0
	v_bfe_i32 v199, v199, 0, 8
	v_lshlrev_b16 v149, 8, v149
	s_set_vgpr_msb 0x44                     ;  msbs: dst=1 src0=0 src1=1 src2=0
	v_lshlrev_b16 v0 /*v256*/, 8, v0 /*v256*/
	s_set_vgpr_msb 0                        ;  msbs: dst=0 src0=0 src1=0 src2=0
	v_lshlrev_b16 v194, 8, v194
	v_bfe_i32 v153, v156, 8, 8
	v_bfe_i32 v214, v4, 16, 8
	;; [unrolled: 1-line block ×3, first 2 shown]
	v_perm_b32 v5, v6, v5, 0x5040302
	v_perm_b32 v6, v6, v6, 0xc030201
	s_set_vgpr_msb 0x41                     ;  msbs: dst=1 src0=1 src1=0 src2=0
	v_bfe_i32 v17 /*v273*/, v17 /*v273*/, 0, 8
	v_bfe_i32 v9 /*v265*/, v9 /*v265*/, 0, 8
	v_bfe_i32 v12 /*v268*/, v12 /*v268*/, 0, 8
	v_bfe_i32 v34 /*v290*/, v45 /*v301*/, 0, 8
	v_mul_i32_i24_e32 v3 /*v259*/, v3 /*v259*/, v133
	s_set_vgpr_msb 1                        ;  msbs: dst=0 src0=1 src1=0 src2=0
	v_lshlrev_b16 v175, 8, v175
	v_mul_i32_i24_e32 v216, v29 /*v285*/, v216
	s_set_vgpr_msb 0                        ;  msbs: dst=0 src0=0 src1=0 src2=0
	v_bfe_i32 v146, v146, 8, 8
	v_bfe_i32 v186, v186, 8, 8
	s_set_vgpr_msb 1                        ;  msbs: dst=0 src0=1 src1=0 src2=0
	v_bitop3_b16 v191, v48 /*v304*/, v191, 0xff bitop3:0xec
	s_set_vgpr_msb 0                        ;  msbs: dst=0 src0=0 src1=0 src2=0
	v_mul_i32_i24_e32 v180, v212, v222
	v_or_b32_e32 v145, v181, v145
	v_bfe_i32 v163, v154, 0, 16
	v_ashrrev_i32_e32 v154, 16, v154
	v_or_b32_e32 v169, v190, v174
	v_dot4_i32_iu8 v142, v139, v157, v162 neg_lo:[1,1,0]
	v_dot4_i32_iu8 v132, v139, v165, v132 neg_lo:[1,1,0]
	;; [unrolled: 1-line block ×3, first 2 shown]
	s_set_vgpr_msb 4                        ;  msbs: dst=0 src0=0 src1=1 src2=0
	v_mad_i32_i24 v137, v133, v22 /*v278*/, v143
	v_mad_i32_i24 v133, v133, v8 /*v264*/, v135
	v_bfe_i32 v226, v3, 16, 8
	s_set_vgpr_msb 0x41                     ;  msbs: dst=1 src0=1 src1=0 src2=0
	v_bfe_i32 v15 /*v271*/, v15 /*v271*/, 0, 8
	s_set_vgpr_msb 4                        ;  msbs: dst=0 src0=0 src1=1 src2=0
	v_sub_nc_u16 v195, v195, v55 /*v311*/
	v_bfe_i32 v255, v255, 0, 8
	s_set_vgpr_msb 0                        ;  msbs: dst=0 src0=0 src1=0 src2=0
	v_mul_i32_i24_e32 v199, v199, v130
	s_set_vgpr_msb 0x44                     ;  msbs: dst=1 src0=0 src1=1 src2=0
	v_lshlrev_b16 v35 /*v291*/, 8, v50 /*v306*/
	s_set_vgpr_msb 0                        ;  msbs: dst=0 src0=0 src1=0 src2=0
	v_lshlrev_b16 v178, 8, v178
	v_bitop3_b16 v149, v254, v149, 0xff bitop3:0xec
	s_set_vgpr_msb 4                        ;  msbs: dst=0 src0=0 src1=1 src2=0
	v_bitop3_b16 v224, v244, v0 /*v256*/, 0xff bitop3:0xec
	s_set_vgpr_msb 1                        ;  msbs: dst=0 src0=1 src1=0 src2=0
	v_bitop3_b16 v194, v24 /*v280*/, v194, 0xff bitop3:0xec
	s_set_vgpr_msb 0                        ;  msbs: dst=0 src0=0 src1=0 src2=0
	v_bfe_i32 v156, v156, 0, 8
	v_mul_i32_i24_e32 v153, v229, v153
	s_set_vgpr_msb 0x41                     ;  msbs: dst=1 src0=1 src1=0 src2=0
	v_mul_i32_i24_e32 v17 /*v273*/, v17 /*v273*/, v129
	s_set_vgpr_msb 0x44                     ;  msbs: dst=1 src0=0 src1=1 src2=0
	v_mul_i32_i24_e32 v9 /*v265*/, v130, v9 /*v265*/
	s_set_vgpr_msb 1                        ;  msbs: dst=0 src0=1 src1=0 src2=0
	v_mul_i32_i24_e32 v207, v34 /*v290*/, v228
	s_set_vgpr_msb 0                        ;  msbs: dst=0 src0=0 src1=0 src2=0
	v_perm_b32 v175, v175, v175, 0xc0c0c01
	s_set_vgpr_msb 1                        ;  msbs: dst=0 src0=1 src1=0 src2=0
	v_mad_i32_i24 v213, v30 /*v286*/, v214, v216
	s_set_vgpr_msb 0                        ;  msbs: dst=0 src0=0 src1=0 src2=0
	v_mul_i32_i24_e32 v146, v230, v146
	v_mul_i32_i24_e32 v186, v230, v186
	s_set_vgpr_msb 4                        ;  msbs: dst=0 src0=0 src1=1 src2=0
	v_perm_b32 v191, v191, v48 /*v304*/, 0xc05000c
	v_mad_i32_i24 v135, v129, v12 /*v268*/, v142
	v_mad_i32_i24 v129, v129, v25 /*v281*/, v132
	s_set_vgpr_msb 0                        ;  msbs: dst=0 src0=0 src1=0 src2=0
	v_dot4_i32_iu8 v5, v5, v145, v134 neg_lo:[1,1,0]
	v_dot4_i32_iu8 v6, v6, v169, v137 neg_lo:[1,1,0]
	v_add3_u32 v132, v133, v180, v154
	v_bfe_i32 v220, v1, 16, 8
	v_perm_b32 v140, v1, v0, 0x5040302
	s_set_vgpr_msb 4                        ;  msbs: dst=0 src0=0 src1=1 src2=0
	v_sub_nc_u16 v249, v249, v59 /*v315*/
	s_set_vgpr_msb 1                        ;  msbs: dst=0 src0=1 src1=0 src2=0
	v_lshlrev_b16 v159, 8, v159
	v_lshlrev_b16 v151, 8, v151
	;; [unrolled: 1-line block ×6, first 2 shown]
	v_mad_i32_i24 v205, v15 /*v271*/, v131, v205
	s_set_vgpr_msb 0                        ;  msbs: dst=0 src0=0 src1=0 src2=0
	v_mul_i32_i24_e32 v206, v255, v226
	s_set_vgpr_msb 1                        ;  msbs: dst=0 src0=1 src1=0 src2=0
	v_bfe_i32 v226, v35 /*v291*/, 8, 8
	s_set_vgpr_msb 0                        ;  msbs: dst=0 src0=0 src1=0 src2=0
	v_perm_b32 v178, v178, v178, 0xc0c0c01
	s_set_vgpr_msb 4                        ;  msbs: dst=0 src0=0 src1=1 src2=0
	v_add3_u32 v197, v197, v3 /*v259*/, v199
	s_set_vgpr_msb 0                        ;  msbs: dst=0 src0=0 src1=0 src2=0
	v_perm_b32 v149, v149, v254, 0xc0c0500
	v_perm_b32 v199, v224, v244, 0x5000c0c
	s_set_vgpr_msb 4                        ;  msbs: dst=0 src0=0 src1=1 src2=0
	v_perm_b32 v194, v194, v24 /*v280*/, 0xc05000c
	s_set_vgpr_msb 0                        ;  msbs: dst=0 src0=0 src1=0 src2=0
	v_mad_i32_i24 v131, v131, v156, v153
	v_perm_b32 v4, v7, v7, 0xc030201
	v_or_b32_e32 v174, v191, v175
	v_add3_u32 v175, v213, v207, v221
	v_add3_u32 v5, v5, v163, v146
	s_set_vgpr_msb 4                        ;  msbs: dst=0 src0=0 src1=1 src2=0
	v_mad_i32_i24 v6, v130, v23 /*v279*/, v6
	s_set_vgpr_msb 16                       ;  msbs: dst=0 src0=0 src1=0 src2=1
	v_add3_u32 v130, v132, v186, v9 /*v265*/
	v_bfe_i32 v218, v0, 16, 8
	v_bfe_i32 v128, v3, 0, 8
	v_perm_b32 v1, v2, v1, 0x5040302
	v_perm_b32 v2, v2, v2, 0xc030201
	s_set_vgpr_msb 0x41                     ;  msbs: dst=1 src0=1 src1=0 src2=0
	v_bfe_i32 v18 /*v274*/, v18 /*v274*/, 0, 8
	v_bfe_i32 v13 /*v269*/, v13 /*v269*/, 0, 8
	s_set_vgpr_msb 0                        ;  msbs: dst=0 src0=0 src1=0 src2=0
	v_bfe_i32 v253, v253, 0, 8
	v_lshlrev_b16 v171, 8, v171
	v_lshlrev_b16 v179, 8, v179
	s_set_vgpr_msb 1                        ;  msbs: dst=0 src0=1 src1=0 src2=0
	v_mul_i32_i24_e32 v220, v27 /*v283*/, v220
	s_set_vgpr_msb 0                        ;  msbs: dst=0 src0=0 src1=0 src2=0
	v_bitop3_b16 v159, v245, v159, 0xff bitop3:0xec
	s_set_vgpr_msb 1                        ;  msbs: dst=0 src0=1 src1=0 src2=0
	v_bitop3_b16 v151, v2 /*v258*/, v151, 0xff bitop3:0xec
	s_set_vgpr_msb 0                        ;  msbs: dst=0 src0=0 src1=0 src2=0
	v_bfe_i32 v150, v150, 8, 8
	s_set_vgpr_msb 1                        ;  msbs: dst=0 src0=1 src1=0 src2=0
	v_bitop3_b16 v203, v49 /*v305*/, v203, 0xff bitop3:0xec
	s_set_vgpr_msb 0                        ;  msbs: dst=0 src0=0 src1=0 src2=0
	v_bitop3_b16 v195, v249, v195, 0xff bitop3:0xec
	v_bfe_i32 v198, v198, 8, 8
	v_mul_i32_i24_e32 v202, v231, v226
	v_or_b32_e32 v149, v199, v149
	v_or_b32_e32 v176, v194, v178
	v_bfe_i32 v177, v158, 0, 16
	v_ashrrev_i32_e32 v158, 16, v158
	v_dot4_i32_iu8 v131, v140, v148, v131 neg_lo:[1,1,0]
	v_lshrrev_b16 v235, 8, v210
	v_bfe_i32 v141, v210, 0, 8
	v_lshrrev_b16 v210, 8, v211
	v_lshrrev_b16 v236, 8, v208
	v_bfe_i32 v208, v208, 0, 8
	v_bfe_i32 v211, v211, 0, 8
	v_lshrrev_b16 v237, 8, v209
	v_bfe_i32 v209, v209, 0, 8
	v_add3_u32 v136, v197, v175, v138
	v_dot4_i32_iu8 v5, v7, v147, v5 neg_lo:[1,1,0]
	v_dot4_i32_iu8 v6, v4, v174, v6 neg_lo:[1,1,0]
	;; [unrolled: 1-line block ×3, first 2 shown]
	s_set_vgpr_msb 0x41                     ;  msbs: dst=1 src0=1 src1=0 src2=0
	v_mul_i32_i24_e32 v18 /*v274*/, v18 /*v274*/, v128
	s_set_vgpr_msb 0x44                     ;  msbs: dst=1 src0=0 src1=1 src2=0
	v_mul_i32_i24_e32 v13 /*v269*/, v128, v13 /*v269*/
	s_set_vgpr_msb 0                        ;  msbs: dst=0 src0=0 src1=0 src2=0
	v_mul_i32_i24_e32 v225, v253, v233
	v_perm_b32 v171, v171, v171, 0xc0c0c01
	v_perm_b32 v179, v179, v179, 0xc0c0c01
	s_set_vgpr_msb 1                        ;  msbs: dst=0 src0=1 src1=0 src2=0
	v_mad_i32_i24 v217, v28 /*v284*/, v218, v220
	s_set_vgpr_msb 0                        ;  msbs: dst=0 src0=0 src1=0 src2=0
	v_perm_b32 v159, v159, v245, 0xc0c0500
	s_set_vgpr_msb 4                        ;  msbs: dst=0 src0=0 src1=1 src2=0
	v_perm_b32 v151, v151, v2 /*v258*/, 0x5000c0c
	s_set_vgpr_msb 0                        ;  msbs: dst=0 src0=0 src1=0 src2=0
	v_mul_i32_i24_e32 v150, v232, v150
	v_mul_i32_i24_e32 v198, v232, v198
	s_set_vgpr_msb 4                        ;  msbs: dst=0 src0=0 src1=1 src2=0
	v_perm_b32 v203, v203, v49 /*v305*/, 0xc05000c
	s_set_vgpr_msb 0                        ;  msbs: dst=0 src0=0 src1=0 src2=0
	v_perm_b32 v195, v195, v249, 0xc05000c
	v_dot4_i32_iu8 v1, v1, v149, v131 neg_lo:[1,1,0]
	v_add3_u32 v131, v135, v202, v158
	v_dot4_i32_iu8 v2, v2, v176, v129 neg_lo:[1,1,0]
	v_mul_lo_u32 v133, v136, v209
	v_mul_lo_u32 v5, v5, v211
	;; [unrolled: 1-line block ×4, first 2 shown]
	v_perm_b32 v0, v3, v3, 0xc030201
	s_set_vgpr_msb 20                       ;  msbs: dst=0 src0=0 src1=1 src2=1
	v_add3_u32 v205, v205, v17 /*v273*/, v18 /*v274*/
	s_set_vgpr_msb 0                        ;  msbs: dst=0 src0=0 src1=0 src2=0
	v_or_b32_e32 v151, v151, v159
	v_add3_u32 v159, v217, v225, v206
	v_or_b32_e32 v171, v203, v171
	v_or_b32_e32 v178, v195, v179
	v_add3_u32 v1, v1, v177, v150
	s_set_vgpr_msb 4                        ;  msbs: dst=0 src0=0 src1=1 src2=0
	v_mad_i32_i24 v2, v128, v26 /*v282*/, v2
	s_set_vgpr_msb 16                       ;  msbs: dst=0 src0=0 src1=0 src2=1
	v_add3_u32 v7, v131, v198, v13 /*v269*/
	v_bfe_i32 v235, v235, 0, 8
	v_bfe_i32 v236, v236, 0, 8
	;; [unrolled: 1-line block ×4, first 2 shown]
	s_set_vgpr_msb 0                        ;  msbs: dst=0 src0=0 src1=0 src2=0
	v_add3_u32 v129, v205, v159, v161
	v_dot4_i32_iu8 v1, v3, v151, v1 neg_lo:[1,1,0]
	v_dot4_i32_iu8 v2, v0, v178, v2 neg_lo:[1,1,0]
	;; [unrolled: 1-line block ×3, first 2 shown]
	s_add_co_i32 s20, s20, 2
	v_mad_u32 v7, v129, v128, v133
	v_mad_u32 v128, v1, v210, v5
	;; [unrolled: 1-line block ×4, first 2 shown]
	v_pk_mul_f32 v[0:1], v[90:91], v[94:95] op_sel_hi:[0,1]
	v_pk_mul_f32 v[2:3], v[90:91], v[92:93] op_sel_hi:[0,1]
	v_add_nc_u32_e32 v91, 32, v91
	s_add_co_i32 s1, s1, 1
	s_cmp_lt_u32 s21, 6
	s_mov_b32 s22, s21
	v_cvt_f32_i32_e32 v5, v7
	v_cvt_f32_i32_e32 v6, v128
	;; [unrolled: 1-line block ×4, first 2 shown]
	s_delay_alu instid0(VALU_DEP_2) | instskip(NEXT) | instid1(VALU_DEP_2)
	v_pk_fma_f32 v[18:19], v[2:3], v[4:5], v[18:19]
	v_pk_fma_f32 v[20:21], v[0:1], v[6:7], v[20:21]
	s_cbranch_scc1 .LBB229_11
; %bb.12:                               ;   in Loop: Header=BB229_5 Depth=1
	s_or_b32 s1, s16, 0x80
	s_delay_alu instid0(SALU_CYCLE_1)
	s_cmp_ge_i32 s1, s11
	s_barrier_signal -1
	s_barrier_wait -1
	s_cbranch_scc1 .LBB229_4
; %bb.13:                               ;   in Loop: Header=BB229_5 Depth=1
	v_add_nc_u32_e32 v0, s17, v75
	s_delay_alu instid0(VALU_DEP_1) | instskip(SKIP_1) | instid1(SALU_CYCLE_1)
	v_cmp_gt_i32_e64 s1, s5, v0
	s_and_b32 s20, s0, s1
	s_and_saveexec_b32 s1, s20
	s_cbranch_execz .LBB229_15
; %bb.14:                               ;   in Loop: Header=BB229_5 Depth=1
	v_add_nc_u32_e32 v0, v22, v0
	s_delay_alu instid0(VALU_DEP_1)
	v_mad_nc_i64_i32 v[0:1], v0, 36, v[26:27]
	global_load_b32 v0, v[0:1], off offset:4
	s_wait_loadcnt 0x0
	ds_store_b32 v37, v0
.LBB229_15:                             ;   in Loop: Header=BB229_5 Depth=1
	s_or_b32 exec_lo, exec_lo, s1
	s_and_saveexec_b32 s20, vcc_lo
	s_cbranch_execz .LBB229_18
; %bb.16:                               ;   in Loop: Header=BB229_5 Depth=1
	v_or_b32_e32 v0, 4, v88
	s_delay_alu instid0(VALU_DEP_1) | instskip(SKIP_1) | instid1(SALU_CYCLE_1)
	v_cmp_gt_i32_e64 s1, s5, v0
	s_and_b32 s1, s0, s1
	s_and_b32 exec_lo, exec_lo, s1
	s_cbranch_execz .LBB229_18
; %bb.17:                               ;   in Loop: Header=BB229_5 Depth=1
	v_ashrrev_i32_e32 v89, 31, v88
	s_delay_alu instid0(VALU_DEP_1) | instskip(NEXT) | instid1(VALU_DEP_1)
	v_add_nc_u64_e32 v[0:1], v[22:23], v[88:89]
	v_mad_nc_u64_u32 v[2:3], v0, 36, s[2:3]
	s_delay_alu instid0(VALU_DEP_1)
	v_mad_i32_i24 v3, v1, 36, v3
	global_load_b32 v0, v[2:3], off offset:144
	s_wait_loadcnt 0x0
	v_cvt_f32_f16_e32 v0, v0
	ds_store_b32 v41, v0
.LBB229_18:                             ;   in Loop: Header=BB229_5 Depth=1
	s_or_b32 exec_lo, exec_lo, s20
	v_dual_mov_b32 v89, v35 :: v_dual_mov_b32 v91, v39
	s_mov_b32 s1, 8
	s_mov_b32 s24, 6
	;; [unrolled: 1-line block ×3, first 2 shown]
	s_wait_dscnt 0x0
	s_barrier_signal -1
	s_barrier_wait -1
.LBB229_19:                             ;   Parent Loop BB229_5 Depth=1
                                        ; =>  This Inner Loop Header: Depth=2
	s_add_co_i32 s21, s24, 2
	s_add_co_i32 s22, s24, -6
	s_lshr_b32 s26, s21, 4
	s_and_b32 s23, s21, 0x3ffffff8
	s_and_b32 s25, s1, -16
	v_lshl_add_u32 v4, s23, 2, v81
	s_lshl_b32 s23, s26, 5
	s_add_co_i32 s24, s24, s25
	s_addk_co_i32 s23, 0x4200
	s_lshl_b32 s25, s26, 2
	v_add3_u32 v92, s23, v83, v85
	ds_load_2addr_b32 v[0:1], v4 offset1:1
	s_addk_co_i32 s25, 0x7380
	ds_load_b32 v90, v91
	s_add_co_i32 s1, s1, 2
	ds_load_2addr_b32 v[2:3], v92 offset1:1
	s_wait_dscnt 0x2
	v_dual_add_nc_u32 v139, s24, v49 :: v_dual_ashrrev_i32 v0, s22, v0
	s_wait_dscnt 0x0
	v_ashrrev_i32_e32 v2, s20, v2
	s_delay_alu instid0(VALU_DEP_2) | instskip(NEXT) | instid1(VALU_DEP_2)
	v_and_b32_e32 v5, 0x3030303, v0
	v_dual_ashrrev_i32 v3, s20, v3 :: v_dual_lshlrev_b32 v2, 2, v2
	s_delay_alu instid0(VALU_DEP_2) | instskip(SKIP_2) | instid1(VALU_DEP_4)
	v_lshrrev_b32_e32 v7, 16, v5
	v_bfe_u32 v0, v0, 24, 2
	v_lshrrev_b16 v6, 8, v5
	v_lshlrev_b32_e32 v3, 2, v3
	v_and_b32_e32 v2, 0x4040404, v2
	s_delay_alu instid0(VALU_DEP_2) | instskip(NEXT) | instid1(VALU_DEP_2)
	v_and_b32_e32 v3, 0x4040404, v3
	v_dual_lshrrev_b32 v94, 24, v2 :: v_dual_lshrrev_b32 v95, 16, v2
	v_lshrrev_b16 v93, 8, v2
	s_delay_alu instid0(VALU_DEP_2) | instskip(NEXT) | instid1(VALU_DEP_3)
	v_sub_nc_u16 v0, v0, v94
	v_sub_nc_u16 v163, v7, v95
	v_lshrrev_b32_e32 v7, 24, v3
	s_delay_alu instid0(VALU_DEP_3) | instskip(NEXT) | instid1(VALU_DEP_1)
	v_lshlrev_b16 v0, 8, v0
	v_bitop3_b16 v164, v163, v0, 0xff bitop3:0xec
	v_sub_nc_u16 v0, v5, v2
	v_sub_nc_u16 v2, v6, v93
	v_lshrrev_b32_e32 v93, 16, v3
	v_lshrrev_b16 v6, 8, v3
	v_perm_b32 v163, v164, v163, 0xc0c0500
	s_delay_alu instid0(VALU_DEP_4) | instskip(NEXT) | instid1(VALU_DEP_1)
	v_lshlrev_b16 v2, 8, v2
	v_bitop3_b16 v0, v0, v2, 0xff bitop3:0xec
	s_delay_alu instid0(VALU_DEP_1) | instskip(SKIP_1) | instid1(VALU_DEP_1)
	v_and_b32_e32 v167, 0xffff, v0
	v_ashrrev_i32_e32 v0, s22, v1
	v_and_b32_e32 v1, 0x3030303, v0
	v_bfe_u32 v0, v0, 24, 2
	s_delay_alu instid0(VALU_DEP_2) | instskip(NEXT) | instid1(VALU_DEP_2)
	v_lshrrev_b32_e32 v5, 16, v1
	v_sub_nc_u16 v0, v0, v7
	v_lshrrev_b16 v2, 8, v1
	v_sub_nc_u16 v168, v1, v3
	s_delay_alu instid0(VALU_DEP_4) | instskip(NEXT) | instid1(VALU_DEP_4)
	v_sub_nc_u16 v165, v5, v93
	v_lshlrev_b16 v0, 8, v0
	s_delay_alu instid0(VALU_DEP_1) | instskip(SKIP_4) | instid1(VALU_DEP_1)
	v_bitop3_b16 v166, v165, v0, 0xff bitop3:0xec
	v_sub_nc_u16 v0, v2, v6
	ds_load_2addr_b32 v[2:3], v92 offset0:2 offset1:3
	v_perm_b32 v165, v166, v165, 0xc0c0500
	v_lshlrev_b16 v0, 8, v0
	v_bitop3_b16 v169, v168, v0, 0xff bitop3:0xec
	ds_load_2addr_b32 v[0:1], v4 offset0:2 offset1:3
	v_perm_b32 v164, v169, v168, 0x5000c0c
	s_wait_dscnt 0x1
	s_delay_alu instid0(VALU_DEP_1) | instskip(NEXT) | instid1(VALU_DEP_1)
	v_dual_ashrrev_i32 v2, s20, v2 :: v_dual_bitop2_b32 v163, v164, v163 bitop3:0x54
	v_dual_ashrrev_i32 v3, s20, v3 :: v_dual_lshlrev_b32 v2, 2, v2
	s_wait_dscnt 0x0
	s_delay_alu instid0(VALU_DEP_1) | instskip(NEXT) | instid1(VALU_DEP_2)
	v_dual_lshlrev_b32 v3, 2, v3 :: v_dual_ashrrev_i32 v0, s22, v0
	v_and_b32_e32 v2, 0x4040404, v2
	s_delay_alu instid0(VALU_DEP_2) | instskip(NEXT) | instid1(VALU_DEP_3)
	v_and_b32_e32 v3, 0x4040404, v3
	v_and_b32_e32 v5, 0x3030303, v0
	v_bfe_u32 v0, v0, 24, 2
	s_delay_alu instid0(VALU_DEP_4) | instskip(SKIP_1) | instid1(VALU_DEP_4)
	v_dual_lshrrev_b32 v93, 16, v2 :: v_dual_lshrrev_b32 v94, 24, v2
	v_lshrrev_b16 v95, 8, v2
	v_lshrrev_b16 v7, 8, v5
	v_lshrrev_b32_e32 v6, 16, v5
	v_sub_nc_u16 v171, v5, v2
	v_sub_nc_u16 v0, v0, v94
	s_delay_alu instid0(VALU_DEP_4) | instskip(SKIP_2) | instid1(VALU_DEP_4)
	v_sub_nc_u16 v2, v7, v95
	v_lshrrev_b32_e32 v7, 24, v3
	v_sub_nc_u16 v174, v6, v93
	v_lshlrev_b16 v129, 8, v0
	v_ashrrev_i32_e32 v0, s22, v1
	v_lshlrev_b16 v2, 8, v2
	v_lshrrev_b32_e32 v93, 16, v3
	v_lshrrev_b16 v6, 8, v3
	v_bfe_i32 v174, v174, 0, 8
	v_and_b32_e32 v1, 0x3030303, v0
	v_bfe_u32 v0, v0, 24, 2
	v_bitop3_b16 v172, v171, v2, 0xff bitop3:0xec
	v_bfe_i32 v129, v129, 8, 8
	s_delay_alu instid0(VALU_DEP_4) | instskip(NEXT) | instid1(VALU_DEP_4)
	v_lshrrev_b32_e32 v5, 16, v1
	v_sub_nc_u16 v0, v0, v7
	v_lshrrev_b16 v2, 8, v1
	v_sub_nc_u16 v132, v1, v3
	v_perm_b32 v166, v172, v171, 0x5000c0c
	v_sub_nc_u16 v130, v5, v93
	v_lshlrev_b16 v0, 8, v0
	s_delay_alu instid0(VALU_DEP_1) | instskip(SKIP_4) | instid1(VALU_DEP_1)
	v_bitop3_b16 v131, v130, v0, 0xff bitop3:0xec
	v_sub_nc_u16 v0, v2, v6
	ds_load_2addr_b32 v[2:3], v92 offset0:4 offset1:5
	v_perm_b32 v130, v131, v130, 0x5000c0c
	v_lshlrev_b16 v0, 8, v0
	v_bitop3_b16 v133, v132, v0, 0xff bitop3:0xec
	ds_load_2addr_b32 v[0:1], v4 offset0:4 offset1:5
	v_perm_b32 v132, v133, v132, 0xc0c0500
	s_wait_dscnt 0x1
	s_delay_alu instid0(VALU_DEP_1) | instskip(NEXT) | instid1(VALU_DEP_1)
	v_dual_ashrrev_i32 v2, s20, v2 :: v_dual_bitop2_b32 v130, v130, v132 bitop3:0x54
	v_dual_ashrrev_i32 v3, s20, v3 :: v_dual_lshlrev_b32 v2, 2, v2
	s_wait_dscnt 0x0
	s_delay_alu instid0(VALU_DEP_1) | instskip(NEXT) | instid1(VALU_DEP_2)
	v_dual_lshlrev_b32 v3, 2, v3 :: v_dual_ashrrev_i32 v0, s22, v0
	v_and_b32_e32 v2, 0x4040404, v2
	s_delay_alu instid0(VALU_DEP_2) | instskip(NEXT) | instid1(VALU_DEP_3)
	v_and_b32_e32 v3, 0x4040404, v3
	v_and_b32_e32 v5, 0x3030303, v0
	v_bfe_u32 v0, v0, 24, 2
	s_delay_alu instid0(VALU_DEP_4) | instskip(SKIP_1) | instid1(VALU_DEP_4)
	v_dual_lshrrev_b32 v94, 24, v2 :: v_dual_lshrrev_b32 v95, 16, v2
	v_lshrrev_b16 v93, 8, v2
	v_lshrrev_b32_e32 v7, 16, v5
	v_lshrrev_b16 v6, 8, v5
	s_delay_alu instid0(VALU_DEP_4) | instskip(NEXT) | instid1(VALU_DEP_3)
	v_sub_nc_u16 v0, v0, v94
	v_sub_nc_u16 v151, v7, v95
	v_lshrrev_b32_e32 v7, 24, v3
	s_delay_alu instid0(VALU_DEP_3) | instskip(NEXT) | instid1(VALU_DEP_1)
	v_lshlrev_b16 v0, 8, v0
	v_bitop3_b16 v152, v151, v0, 0xff bitop3:0xec
	v_sub_nc_u16 v0, v5, v2
	v_sub_nc_u16 v2, v6, v93
	v_lshrrev_b32_e32 v93, 16, v3
	v_lshrrev_b16 v6, 8, v3
	v_perm_b32 v151, v152, v151, 0xc0c0500
	s_delay_alu instid0(VALU_DEP_4) | instskip(NEXT) | instid1(VALU_DEP_1)
	v_lshlrev_b16 v2, 8, v2
	v_bitop3_b16 v0, v0, v2, 0xff bitop3:0xec
	s_delay_alu instid0(VALU_DEP_1) | instskip(SKIP_1) | instid1(VALU_DEP_1)
	v_and_b32_e32 v158, 0xffff, v0
	v_ashrrev_i32_e32 v0, s22, v1
	v_and_b32_e32 v1, 0x3030303, v0
	v_bfe_u32 v0, v0, 24, 2
	s_delay_alu instid0(VALU_DEP_2) | instskip(NEXT) | instid1(VALU_DEP_2)
	v_lshrrev_b32_e32 v5, 16, v1
	v_sub_nc_u16 v0, v0, v7
	v_lshrrev_b16 v2, 8, v1
	v_sub_nc_u16 v159, v1, v3
	s_delay_alu instid0(VALU_DEP_4) | instskip(NEXT) | instid1(VALU_DEP_4)
	v_sub_nc_u16 v153, v5, v93
	v_lshlrev_b16 v0, 8, v0
	s_delay_alu instid0(VALU_DEP_1) | instskip(SKIP_3) | instid1(VALU_DEP_1)
	v_bitop3_b16 v154, v153, v0, 0xff bitop3:0xec
	v_sub_nc_u16 v0, v2, v6
	ds_load_2addr_b32 v[2:3], v92 offset0:6 offset1:7
	v_lshlrev_b16 v0, 8, v0
	v_bitop3_b16 v160, v159, v0, 0xff bitop3:0xec
	ds_load_2addr_b32 v[0:1], v4 offset0:6 offset1:7
	v_perm_b32 v152, v160, v159, 0x5000c0c
	s_wait_dscnt 0x1
	v_dual_ashrrev_i32 v2, s20, v2 :: v_dual_ashrrev_i32 v3, s20, v3
	s_delay_alu instid0(VALU_DEP_1) | instskip(SKIP_2) | instid1(VALU_DEP_2)
	v_dual_lshlrev_b32 v2, 2, v2 :: v_dual_lshlrev_b32 v3, 2, v3
	s_wait_dscnt 0x0
	v_ashrrev_i32_e32 v0, s22, v0
	v_and_b32_e32 v2, 0x4040404, v2
	s_delay_alu instid0(VALU_DEP_3) | instskip(NEXT) | instid1(VALU_DEP_3)
	v_and_b32_e32 v3, 0x4040404, v3
	v_and_b32_e32 v5, 0x3030303, v0
	v_bfe_u32 v0, v0, 24, 2
	s_delay_alu instid0(VALU_DEP_4) | instskip(SKIP_1) | instid1(VALU_DEP_4)
	v_dual_lshrrev_b32 v92, 16, v2 :: v_dual_lshrrev_b32 v93, 24, v2
	v_lshrrev_b16 v94, 8, v2
	v_lshrrev_b16 v7, 8, v5
	v_lshrrev_b32_e32 v6, 16, v5
	v_sub_nc_u16 v161, v5, v2
	v_sub_nc_u16 v0, v0, v93
	v_add3_u32 v93, s23, v97, v98
	v_sub_nc_u16 v2, v7, v94
	v_lshrrev_b32_e32 v7, 24, v3
	v_sub_nc_u16 v170, v6, v92
	v_lshlrev_b16 v134, 8, v0
	v_ashrrev_i32_e32 v0, s22, v1
	v_lshlrev_b16 v2, 8, v2
	v_lshrrev_b32_e32 v92, 16, v3
	v_lshrrev_b16 v6, 8, v3
	v_bfe_i32 v170, v170, 0, 8
	v_and_b32_e32 v1, 0x3030303, v0
	v_bfe_u32 v0, v0, 24, 2
	v_bitop3_b16 v162, v161, v2, 0xff bitop3:0xec
	v_bfe_i32 v131, v134, 8, 8
	s_delay_alu instid0(VALU_DEP_4) | instskip(NEXT) | instid1(VALU_DEP_4)
	v_lshrrev_b32_e32 v5, 16, v1
	v_sub_nc_u16 v0, v0, v7
	v_lshrrev_b16 v2, 8, v1
	v_sub_nc_u16 v137, v1, v3
	s_delay_alu instid0(VALU_DEP_4) | instskip(NEXT) | instid1(VALU_DEP_4)
	v_sub_nc_u16 v135, v5, v92
	v_lshlrev_b16 v0, 8, v0
	s_delay_alu instid0(VALU_DEP_1) | instskip(SKIP_3) | instid1(VALU_DEP_1)
	v_bitop3_b16 v136, v135, v0, 0xff bitop3:0xec
	v_sub_nc_u16 v0, v2, v6
	ds_load_2addr_b32 v[2:3], v93 offset1:1
	v_lshlrev_b16 v0, 8, v0
	v_bitop3_b16 v138, v137, v0, 0xff bitop3:0xec
	v_add3_u32 v0, s25, v127, v96
	ds_load_b32 v92, v0
	v_add_nc_u32_e32 v0, 0x1080, v4
	s_wait_dscnt 0x1
	v_ashrrev_i32_e32 v2, s20, v2
	ds_load_2addr_b32 v[0:1], v0 offset1:1
	v_dual_ashrrev_i32 v3, s20, v3 :: v_dual_lshlrev_b32 v2, 2, v2
	s_delay_alu instid0(VALU_DEP_1) | instskip(NEXT) | instid1(VALU_DEP_2)
	v_lshlrev_b32_e32 v3, 2, v3
	v_and_b32_e32 v2, 0x4040404, v2
	s_delay_alu instid0(VALU_DEP_2) | instskip(NEXT) | instid1(VALU_DEP_2)
	v_and_b32_e32 v3, 0x4040404, v3
	v_dual_lshrrev_b32 v95, 24, v2 :: v_dual_lshrrev_b32 v128, 16, v2
	v_lshrrev_b16 v94, 8, v2
	s_wait_dscnt 0x0
	v_ashrrev_i32_e32 v0, s22, v0
	s_delay_alu instid0(VALU_DEP_1) | instskip(SKIP_1) | instid1(VALU_DEP_2)
	v_and_b32_e32 v5, 0x3030303, v0
	v_bfe_u32 v0, v0, 24, 2
	v_lshrrev_b32_e32 v7, 16, v5
	s_delay_alu instid0(VALU_DEP_2) | instskip(SKIP_2) | instid1(VALU_DEP_4)
	v_sub_nc_u16 v0, v0, v95
	v_lshrrev_b16 v6, 8, v5
	v_sub_nc_u16 v195, v5, v2
	v_sub_nc_u16 v187, v7, v128
	s_delay_alu instid0(VALU_DEP_4) | instskip(SKIP_1) | instid1(VALU_DEP_4)
	v_lshlrev_b16 v0, 8, v0
	v_lshrrev_b32_e32 v7, 24, v3
	v_bfe_i32 v195, v195, 0, 8
	s_delay_alu instid0(VALU_DEP_3) | instskip(SKIP_3) | instid1(VALU_DEP_4)
	v_bitop3_b16 v188, v187, v0, 0xff bitop3:0xec
	v_sub_nc_u16 v0, v6, v94
	v_lshrrev_b32_e32 v94, 16, v3
	v_lshrrev_b16 v6, 8, v3
	v_perm_b32 v187, v188, v187, 0xc0c0500
	s_delay_alu instid0(VALU_DEP_4) | instskip(SKIP_1) | instid1(VALU_DEP_2)
	v_lshlrev_b16 v192, 8, v0
	v_ashrrev_i32_e32 v0, s22, v1
	v_bfe_i32 v192, v192, 8, 8
	s_delay_alu instid0(VALU_DEP_2) | instskip(SKIP_1) | instid1(VALU_DEP_2)
	v_and_b32_e32 v1, 0x3030303, v0
	v_bfe_u32 v0, v0, 24, 2
	v_lshrrev_b32_e32 v5, 16, v1
	s_delay_alu instid0(VALU_DEP_2) | instskip(SKIP_2) | instid1(VALU_DEP_4)
	v_sub_nc_u16 v0, v0, v7
	v_lshrrev_b16 v2, 8, v1
	v_sub_nc_u16 v197, v1, v3
	v_sub_nc_u16 v191, v5, v94
	s_delay_alu instid0(VALU_DEP_4) | instskip(NEXT) | instid1(VALU_DEP_3)
	v_lshlrev_b16 v0, 8, v0
	v_bfe_i32 v197, v197, 0, 8
	s_delay_alu instid0(VALU_DEP_2) | instskip(SKIP_4) | instid1(VALU_DEP_2)
	v_bitop3_b16 v193, v191, v0, 0xff bitop3:0xec
	v_sub_nc_u16 v0, v2, v6
	ds_load_2addr_b32 v[2:3], v93 offset0:2 offset1:3
	v_lshlrev_b16 v194, 8, v0
	v_add_nc_u32_e32 v0, 0x1088, v4
	v_perm_b32 v164, v194, v194, 0xc0c0c01
	ds_load_2addr_b32 v[0:1], v0 offset1:1
	s_wait_dscnt 0x1
	v_dual_ashrrev_i32 v2, s20, v2 :: v_dual_ashrrev_i32 v3, s20, v3
	s_delay_alu instid0(VALU_DEP_1) | instskip(SKIP_2) | instid1(VALU_DEP_2)
	v_dual_lshlrev_b32 v2, 2, v2 :: v_dual_lshlrev_b32 v3, 2, v3
	s_wait_dscnt 0x0
	v_ashrrev_i32_e32 v0, s22, v0
	v_and_b32_e32 v2, 0x4040404, v2
	s_delay_alu instid0(VALU_DEP_3) | instskip(NEXT) | instid1(VALU_DEP_3)
	v_and_b32_e32 v3, 0x4040404, v3
	v_and_b32_e32 v5, 0x3030303, v0
	v_bfe_u32 v0, v0, 24, 2
	s_delay_alu instid0(VALU_DEP_4) | instskip(SKIP_1) | instid1(VALU_DEP_4)
	v_dual_lshrrev_b32 v94, 16, v2 :: v_dual_lshrrev_b32 v128, 24, v2
	v_lshrrev_b16 v95, 8, v2
	v_lshrrev_b32_e32 v6, 16, v5
	v_lshrrev_b16 v7, 8, v5
	v_sub_nc_u16 v199, v5, v2
	v_sub_nc_u16 v0, v0, v128
	s_delay_alu instid0(VALU_DEP_4) | instskip(SKIP_2) | instid1(VALU_DEP_4)
	v_sub_nc_u16 v200, v6, v94
	v_lshrrev_b32_e32 v94, 16, v3
	v_lshrrev_b16 v6, 8, v3
	v_lshlrev_b16 v140, 8, v0
	v_sub_nc_u16 v0, v7, v95
	v_lshrrev_b32_e32 v7, 24, v3
	v_bfe_i32 v200, v200, 0, 8
	v_bfe_i32 v199, v199, 0, 8
	;; [unrolled: 1-line block ×3, first 2 shown]
	v_lshlrev_b16 v198, 8, v0
	v_ashrrev_i32_e32 v0, s22, v1
	v_perm_b32 v174, v200, v174, 0x5040100
	s_delay_alu instid0(VALU_DEP_3) | instskip(NEXT) | instid1(VALU_DEP_3)
	v_bfe_i32 v198, v198, 8, 8
	v_and_b32_e32 v1, 0x3030303, v0
	v_bfe_u32 v0, v0, 24, 2
	s_delay_alu instid0(VALU_DEP_2) | instskip(NEXT) | instid1(VALU_DEP_2)
	v_lshrrev_b32_e32 v5, 16, v1
	v_sub_nc_u16 v0, v0, v7
	v_lshrrev_b16 v2, 8, v1
	v_sub_nc_u16 v144, v1, v3
	s_delay_alu instid0(VALU_DEP_4) | instskip(NEXT) | instid1(VALU_DEP_4)
	v_sub_nc_u16 v141, v5, v94
	v_lshlrev_b16 v0, 8, v0
	s_delay_alu instid0(VALU_DEP_3) | instskip(NEXT) | instid1(VALU_DEP_2)
	v_bfe_i32 v144, v144, 0, 8
	v_bitop3_b16 v142, v141, v0, 0xff bitop3:0xec
	v_sub_nc_u16 v0, v2, v6
	ds_load_2addr_b32 v[2:3], v93 offset0:4 offset1:5
	v_lshlrev_b16 v143, 8, v0
	v_add_nc_u32_e32 v0, 0x1090, v4
	ds_load_2addr_b32 v[0:1], v0 offset1:1
	s_wait_dscnt 0x1
	v_dual_ashrrev_i32 v2, s20, v2 :: v_dual_ashrrev_i32 v3, s20, v3
	s_delay_alu instid0(VALU_DEP_1) | instskip(SKIP_2) | instid1(VALU_DEP_2)
	v_dual_lshlrev_b32 v2, 2, v2 :: v_dual_lshlrev_b32 v3, 2, v3
	s_wait_dscnt 0x0
	v_ashrrev_i32_e32 v0, s22, v0
	v_and_b32_e32 v2, 0x4040404, v2
	s_delay_alu instid0(VALU_DEP_3) | instskip(NEXT) | instid1(VALU_DEP_3)
	v_and_b32_e32 v3, 0x4040404, v3
	v_and_b32_e32 v5, 0x3030303, v0
	v_bfe_u32 v0, v0, 24, 2
	s_delay_alu instid0(VALU_DEP_4) | instskip(SKIP_1) | instid1(VALU_DEP_4)
	v_dual_lshrrev_b32 v95, 24, v2 :: v_dual_lshrrev_b32 v128, 16, v2
	v_lshrrev_b16 v94, 8, v2
	v_lshrrev_b32_e32 v7, 16, v5
	v_lshrrev_b16 v6, 8, v5
	s_delay_alu instid0(VALU_DEP_4) | instskip(SKIP_1) | instid1(VALU_DEP_4)
	v_sub_nc_u16 v0, v0, v95
	v_sub_nc_u16 v185, v5, v2
	;; [unrolled: 1-line block ×3, first 2 shown]
	v_lshrrev_b32_e32 v7, 24, v3
	s_delay_alu instid0(VALU_DEP_4) | instskip(NEXT) | instid1(VALU_DEP_4)
	v_lshlrev_b16 v0, 8, v0
	v_bfe_i32 v185, v185, 0, 8
	s_delay_alu instid0(VALU_DEP_2) | instskip(SKIP_3) | instid1(VALU_DEP_4)
	v_bitop3_b16 v180, v179, v0, 0xff bitop3:0xec
	v_sub_nc_u16 v0, v6, v94
	v_lshrrev_b32_e32 v94, 16, v3
	v_lshrrev_b16 v6, 8, v3
	v_perm_b32 v179, v180, v179, 0xc0c0500
	s_delay_alu instid0(VALU_DEP_4) | instskip(SKIP_1) | instid1(VALU_DEP_2)
	v_lshlrev_b16 v182, 8, v0
	v_ashrrev_i32_e32 v0, s22, v1
	v_bfe_i32 v182, v182, 8, 8
	s_delay_alu instid0(VALU_DEP_2) | instskip(SKIP_1) | instid1(VALU_DEP_2)
	v_and_b32_e32 v1, 0x3030303, v0
	v_bfe_u32 v0, v0, 24, 2
	v_lshrrev_b32_e32 v5, 16, v1
	s_delay_alu instid0(VALU_DEP_2) | instskip(SKIP_2) | instid1(VALU_DEP_4)
	v_sub_nc_u16 v0, v0, v7
	v_lshrrev_b16 v2, 8, v1
	v_sub_nc_u16 v186, v1, v3
	v_sub_nc_u16 v181, v5, v94
	s_delay_alu instid0(VALU_DEP_4) | instskip(NEXT) | instid1(VALU_DEP_3)
	v_lshlrev_b16 v0, 8, v0
	v_bfe_i32 v186, v186, 0, 8
	s_delay_alu instid0(VALU_DEP_2)
	v_bitop3_b16 v183, v181, v0, 0xff bitop3:0xec
	v_sub_nc_u16 v0, v2, v6
	ds_load_2addr_b32 v[2:3], v93 offset0:6 offset1:7
	v_lshlrev_b16 v184, 8, v0
	v_add_nc_u32_e32 v0, 0x1098, v4
	ds_load_2addr_b32 v[0:1], v0 offset1:1
	s_wait_dscnt 0x1
	v_dual_ashrrev_i32 v2, s20, v2 :: v_dual_ashrrev_i32 v3, s20, v3
	s_delay_alu instid0(VALU_DEP_1) | instskip(SKIP_2) | instid1(VALU_DEP_2)
	v_dual_lshlrev_b32 v2, 2, v2 :: v_dual_lshlrev_b32 v3, 2, v3
	s_wait_dscnt 0x0
	v_ashrrev_i32_e32 v0, s22, v0
	v_and_b32_e32 v2, 0x4040404, v2
	s_delay_alu instid0(VALU_DEP_3) | instskip(NEXT) | instid1(VALU_DEP_3)
	v_and_b32_e32 v3, 0x4040404, v3
	v_and_b32_e32 v5, 0x3030303, v0
	v_bfe_u32 v0, v0, 24, 2
	s_delay_alu instid0(VALU_DEP_4) | instskip(SKIP_1) | instid1(VALU_DEP_4)
	v_dual_lshrrev_b32 v93, 16, v2 :: v_dual_lshrrev_b32 v95, 24, v2
	v_lshrrev_b16 v94, 8, v2
	v_lshrrev_b32_e32 v6, 16, v5
	v_lshrrev_b16 v7, 8, v5
	v_sub_nc_u16 v190, v5, v2
	v_sub_nc_u16 v0, v0, v95
	s_delay_alu instid0(VALU_DEP_4) | instskip(SKIP_2) | instid1(VALU_DEP_4)
	v_sub_nc_u16 v196, v6, v93
	v_lshrrev_b32_e32 v93, 16, v3
	v_lshrrev_b16 v6, 8, v3
	v_lshlrev_b16 v145, 8, v0
	v_sub_nc_u16 v0, v7, v94
	v_lshrrev_b32_e32 v7, 24, v3
	v_add3_u32 v94, s23, v101, v102
	v_bfe_i32 v196, v196, 0, 8
	v_bfe_i32 v190, v190, 0, 8
	v_lshlrev_b16 v189, 8, v0
	v_ashrrev_i32_e32 v0, s22, v1
	s_delay_alu instid0(VALU_DEP_4) | instskip(NEXT) | instid1(VALU_DEP_3)
	v_perm_b32 v170, v196, v170, 0x5040100
	v_bfe_i32 v189, v189, 8, 8
	s_delay_alu instid0(VALU_DEP_3) | instskip(SKIP_1) | instid1(VALU_DEP_2)
	v_and_b32_e32 v1, 0x3030303, v0
	v_bfe_u32 v0, v0, 24, 2
	v_lshrrev_b32_e32 v5, 16, v1
	s_delay_alu instid0(VALU_DEP_2) | instskip(SKIP_2) | instid1(VALU_DEP_4)
	v_sub_nc_u16 v0, v0, v7
	v_lshrrev_b16 v2, 8, v1
	v_sub_nc_u16 v149, v1, v3
	v_sub_nc_u16 v146, v5, v93
	s_delay_alu instid0(VALU_DEP_4) | instskip(NEXT) | instid1(VALU_DEP_3)
	v_lshlrev_b16 v0, 8, v0
	v_bfe_i32 v149, v149, 0, 8
	s_delay_alu instid0(VALU_DEP_2)
	v_bitop3_b16 v147, v146, v0, 0xff bitop3:0xec
	v_sub_nc_u16 v0, v2, v6
	ds_load_2addr_b32 v[2:3], v94 offset1:1
	v_lshlrev_b16 v148, 8, v0
	v_add3_u32 v0, s25, v99, v100
	ds_load_b32 v93, v0
	v_add_nc_u32_e32 v0, 0x2100, v4
	ds_load_2addr_b32 v[0:1], v0 offset1:1
	s_wait_dscnt 0x2
	v_dual_ashrrev_i32 v2, s20, v2 :: v_dual_ashrrev_i32 v3, s20, v3
	s_delay_alu instid0(VALU_DEP_1) | instskip(NEXT) | instid1(VALU_DEP_1)
	v_dual_lshlrev_b32 v2, 2, v2 :: v_dual_lshlrev_b32 v3, 2, v3
	v_and_b32_e32 v2, 0x4040404, v2
	s_delay_alu instid0(VALU_DEP_2) | instskip(NEXT) | instid1(VALU_DEP_2)
	v_and_b32_e32 v3, 0x4040404, v3
	v_dual_lshrrev_b32 v128, 24, v2 :: v_dual_lshrrev_b32 v155, 16, v2
	s_wait_dscnt 0x0
	v_ashrrev_i32_e32 v0, s22, v0
	v_lshrrev_b16 v95, 8, v2
	s_delay_alu instid0(VALU_DEP_2) | instskip(SKIP_1) | instid1(VALU_DEP_2)
	v_and_b32_e32 v5, 0x3030303, v0
	v_bfe_u32 v0, v0, 24, 2
	v_dual_add_nc_u32 v150, s24, v47 :: v_dual_lshrrev_b32 v7, 16, v5
	s_delay_alu instid0(VALU_DEP_2)
	v_sub_nc_u16 v0, v0, v128
	v_lshrrev_b16 v6, 8, v5
	v_lshrrev_b32_e32 v128, 24, v3
	v_sub_nc_u16 v5, v5, v2
	v_sub_nc_u16 v201, v7, v155
	v_lshlrev_b16 v0, 8, v0
	v_lshrrev_b32_e32 v155, 16, v3
	s_delay_alu instid0(VALU_DEP_4) | instskip(NEXT) | instid1(VALU_DEP_3)
	v_bfe_i32 v224, v5, 0, 8
	v_bitop3_b16 v202, v201, v0, 0xff bitop3:0xec
	v_sub_nc_u16 v0, v6, v95
	v_lshrrev_b16 v95, 8, v3
	s_delay_alu instid0(VALU_DEP_3) | instskip(NEXT) | instid1(VALU_DEP_3)
	v_perm_b32 v201, v202, v201, 0xc0c0500
	v_lshlrev_b16 v6, 8, v0
	v_ashrrev_i32_e32 v0, s22, v1
	s_delay_alu instid0(VALU_DEP_2) | instskip(NEXT) | instid1(VALU_DEP_2)
	v_bfe_i32 v225, v6, 8, 8
	v_and_b32_e32 v1, 0x3030303, v0
	v_bfe_u32 v0, v0, 24, 2
	s_delay_alu instid0(VALU_DEP_2) | instskip(NEXT) | instid1(VALU_DEP_2)
	v_lshrrev_b32_e32 v7, 16, v1
	v_sub_nc_u16 v0, v0, v128
	v_lshrrev_b16 v2, 8, v1
	s_delay_alu instid0(VALU_DEP_3) | instskip(NEXT) | instid1(VALU_DEP_3)
	v_sub_nc_u16 v203, v7, v155
	v_lshlrev_b16 v0, 8, v0
	v_sub_nc_u16 v7, v1, v3
	s_delay_alu instid0(VALU_DEP_2)
	v_bitop3_b16 v204, v203, v0, 0xff bitop3:0xec
	v_sub_nc_u16 v0, v2, v95
	ds_load_2addr_b32 v[2:3], v94 offset0:2 offset1:3
	v_bfe_i32 v226, v7, 0, 8
	v_perm_b32 v203, v204, v203, 0xc05000c
	v_lshlrev_b16 v205, 8, v0
	v_add_nc_u32_e32 v0, 0x2108, v4
	s_delay_alu instid0(VALU_DEP_2) | instskip(SKIP_3) | instid1(VALU_DEP_1)
	v_perm_b32 v204, v205, v205, 0xc0c0c01
	ds_load_2addr_b32 v[0:1], v0 offset1:1
	s_wait_dscnt 0x1
	v_dual_ashrrev_i32 v2, s20, v2 :: v_dual_bitop2_b32 v203, v203, v204 bitop3:0x54
	v_dual_ashrrev_i32 v3, s20, v3 :: v_dual_lshlrev_b32 v2, 2, v2
	s_wait_dscnt 0x0
	s_delay_alu instid0(VALU_DEP_1) | instskip(NEXT) | instid1(VALU_DEP_2)
	v_dual_lshlrev_b32 v3, 2, v3 :: v_dual_ashrrev_i32 v0, s22, v0
	v_and_b32_e32 v2, 0x4040404, v2
	s_delay_alu instid0(VALU_DEP_2) | instskip(NEXT) | instid1(VALU_DEP_3)
	v_and_b32_e32 v3, 0x4040404, v3
	v_and_b32_e32 v95, 0x3030303, v0
	v_bfe_u32 v0, v0, 24, 2
	s_delay_alu instid0(VALU_DEP_4) | instskip(SKIP_1) | instid1(VALU_DEP_4)
	v_dual_lshrrev_b32 v157, 24, v2 :: v_dual_lshrrev_b32 v173, 16, v2
	v_lshrrev_b16 v156, 8, v2
	v_lshrrev_b32_e32 v155, 16, v95
	v_lshrrev_b16 v128, 8, v95
	s_delay_alu instid0(VALU_DEP_4) | instskip(SKIP_1) | instid1(VALU_DEP_4)
	v_sub_nc_u16 v0, v0, v157
	v_sub_nc_u16 v209, v95, v2
	;; [unrolled: 1-line block ×3, first 2 shown]
	v_lshrrev_b32_e32 v155, 24, v3
	s_delay_alu instid0(VALU_DEP_4) | instskip(NEXT) | instid1(VALU_DEP_4)
	v_lshlrev_b16 v0, 8, v0
	v_bfe_i32 v200, v209, 0, 8
	v_bfe_i32 v209, v167, 8, 8
	;; [unrolled: 1-line block ×3, first 2 shown]
	s_delay_alu instid0(VALU_DEP_4) | instskip(SKIP_3) | instid1(VALU_DEP_3)
	v_bitop3_b16 v207, v206, v0, 0xff bitop3:0xec
	v_sub_nc_u16 v0, v128, v156
	v_lshrrev_b32_e32 v156, 16, v3
	v_lshrrev_b16 v128, 8, v3
	v_lshlrev_b16 v208, 8, v0
	v_ashrrev_i32_e32 v0, s22, v1
	s_delay_alu instid0(VALU_DEP_1) | instskip(NEXT) | instid1(VALU_DEP_1)
	v_and_b32_e32 v1, 0x3030303, v0
	v_lshrrev_b32_e32 v95, 16, v1
	v_bfe_u32 v0, v0, 24, 2
	v_lshrrev_b16 v2, 8, v1
	v_sub_nc_u16 v213, v1, v3
	s_delay_alu instid0(VALU_DEP_4) | instskip(NEXT) | instid1(VALU_DEP_4)
	v_sub_nc_u16 v210, v95, v156
	v_sub_nc_u16 v0, v0, v155
	s_delay_alu instid0(VALU_DEP_1) | instskip(NEXT) | instid1(VALU_DEP_1)
	v_lshlrev_b16 v0, 8, v0
	v_bitop3_b16 v211, v210, v0, 0xff bitop3:0xec
	v_sub_nc_u16 v0, v2, v128
	ds_load_2addr_b32 v[2:3], v94 offset0:4 offset1:5
	v_lshlrev_b16 v212, 8, v0
	v_add_nc_u32_e32 v0, 0x2110, v4
	s_delay_alu instid0(VALU_DEP_2) | instskip(SKIP_3) | instid1(VALU_DEP_1)
	v_perm_b32 v188, v212, v212, 0xc0c0c01
	ds_load_2addr_b32 v[0:1], v0 offset1:1
	s_wait_dscnt 0x1
	v_dual_ashrrev_i32 v2, s20, v2 :: v_dual_ashrrev_i32 v3, s20, v3
	v_dual_lshlrev_b32 v2, 2, v2 :: v_dual_lshlrev_b32 v3, 2, v3
	s_wait_dscnt 0x0
	v_ashrrev_i32_e32 v0, s22, v0
	s_delay_alu instid0(VALU_DEP_2) | instskip(NEXT) | instid1(VALU_DEP_3)
	v_and_b32_e32 v2, 0x4040404, v2
	v_and_b32_e32 v3, 0x4040404, v3
	s_delay_alu instid0(VALU_DEP_3) | instskip(SKIP_1) | instid1(VALU_DEP_4)
	v_and_b32_e32 v95, 0x3030303, v0
	v_bfe_u32 v0, v0, 24, 2
	v_dual_lshrrev_b32 v157, 24, v2 :: v_dual_lshrrev_b32 v173, 16, v2
	v_lshrrev_b16 v156, 8, v2
	s_delay_alu instid0(VALU_DEP_4) | instskip(SKIP_1) | instid1(VALU_DEP_4)
	v_lshrrev_b32_e32 v155, 16, v95
	v_lshrrev_b16 v128, 8, v95
	v_sub_nc_u16 v0, v0, v157
	v_lshrrev_b32_e32 v157, 24, v3
	v_sub_nc_u16 v95, v95, v2
	v_sub_nc_u16 v214, v155, v173
	v_lshrrev_b32_e32 v173, 16, v3
	v_lshlrev_b16 v0, 8, v0
	s_delay_alu instid0(VALU_DEP_4) | instskip(SKIP_1) | instid1(VALU_DEP_3)
	v_bfe_i32 v228, v95, 0, 8
	v_add3_u32 v95, s23, v105, v106
	v_bitop3_b16 v215, v214, v0, 0xff bitop3:0xec
	v_sub_nc_u16 v0, v128, v156
	v_lshrrev_b16 v156, 8, v3
	s_delay_alu instid0(VALU_DEP_2) | instskip(SKIP_1) | instid1(VALU_DEP_2)
	v_lshlrev_b16 v128, 8, v0
	v_ashrrev_i32_e32 v0, s22, v1
	v_bfe_i32 v229, v128, 8, 8
	s_delay_alu instid0(VALU_DEP_2) | instskip(NEXT) | instid1(VALU_DEP_1)
	v_and_b32_e32 v1, 0x3030303, v0
	v_lshrrev_b32_e32 v155, 16, v1
	v_bfe_u32 v0, v0, 24, 2
	v_lshrrev_b16 v2, 8, v1
	s_delay_alu instid0(VALU_DEP_3) | instskip(NEXT) | instid1(VALU_DEP_3)
	v_sub_nc_u16 v216, v155, v173
	v_sub_nc_u16 v0, v0, v157
	;; [unrolled: 1-line block ×3, first 2 shown]
	s_delay_alu instid0(VALU_DEP_2) | instskip(NEXT) | instid1(VALU_DEP_2)
	v_lshlrev_b16 v0, 8, v0
	v_bfe_i32 v230, v173, 0, 8
	s_delay_alu instid0(VALU_DEP_2)
	v_bitop3_b16 v217, v216, v0, 0xff bitop3:0xec
	v_sub_nc_u16 v0, v2, v156
	ds_load_2addr_b32 v[2:3], v94 offset0:6 offset1:7
	v_lshlrev_b16 v218, 8, v0
	v_add_nc_u32_e32 v0, 0x2118, v4
	ds_load_2addr_b32 v[0:1], v0 offset1:1
	s_wait_dscnt 0x1
	v_dual_ashrrev_i32 v2, s20, v2 :: v_dual_ashrrev_i32 v3, s20, v3
	s_delay_alu instid0(VALU_DEP_1) | instskip(SKIP_2) | instid1(VALU_DEP_2)
	v_dual_lshlrev_b32 v2, 2, v2 :: v_dual_lshlrev_b32 v3, 2, v3
	s_wait_dscnt 0x0
	v_ashrrev_i32_e32 v0, s22, v0
	v_and_b32_e32 v2, 0x4040404, v2
	s_delay_alu instid0(VALU_DEP_3) | instskip(NEXT) | instid1(VALU_DEP_3)
	v_and_b32_e32 v3, 0x4040404, v3
	v_and_b32_e32 v155, 0x3030303, v0
	v_bfe_u32 v0, v0, 24, 2
	s_delay_alu instid0(VALU_DEP_4) | instskip(SKIP_1) | instid1(VALU_DEP_4)
	v_dual_lshrrev_b32 v175, 24, v2 :: v_dual_lshrrev_b32 v176, 16, v2
	v_lshrrev_b16 v94, 8, v2
	v_lshrrev_b32_e32 v157, 16, v155
	v_lshrrev_b16 v156, 8, v155
	s_delay_alu instid0(VALU_DEP_4)
	v_sub_nc_u16 v0, v0, v175
	v_sub_nc_u16 v222, v155, v2
	v_lshrrev_b32_e32 v155, 16, v3
	v_sub_nc_u16 v219, v157, v176
	v_lshrrev_b16 v157, 8, v3
	v_lshlrev_b16 v0, 8, v0
	v_bfe_i32 v196, v222, 0, 8
	s_delay_alu instid0(VALU_DEP_2) | instskip(SKIP_2) | instid1(VALU_DEP_2)
	v_bitop3_b16 v220, v219, v0, 0xff bitop3:0xec
	v_sub_nc_u16 v0, v156, v94
	v_lshrrev_b32_e32 v156, 24, v3
	v_lshlrev_b16 v221, 8, v0
	v_ashrrev_i32_e32 v0, s22, v1
	s_delay_alu instid0(VALU_DEP_1) | instskip(NEXT) | instid1(VALU_DEP_1)
	v_and_b32_e32 v1, 0x3030303, v0
	v_lshrrev_b32_e32 v94, 16, v1
	v_bfe_u32 v0, v0, 24, 2
	v_lshrrev_b16 v2, 8, v1
	v_sub_nc_u16 v223, v1, v3
	v_add3_u32 v1, s25, v103, v104
	v_sub_nc_u16 v155, v94, v155
	v_sub_nc_u16 v0, v0, v156
	ds_load_b32 v94, v1
	v_lshlrev_b16 v0, 8, v0
	s_delay_alu instid0(VALU_DEP_1)
	v_bitop3_b16 v156, v155, v0, 0xff bitop3:0xec
	v_sub_nc_u16 v0, v2, v157
	ds_load_2addr_b32 v[2:3], v95 offset1:1
	v_lshlrev_b16 v157, 8, v0
	v_add_nc_u32_e32 v0, s24, v45
	ds_load_u16 v0, v0 offset:27394
	s_wait_dscnt 0x1
	v_dual_ashrrev_i32 v2, s20, v2 :: v_dual_ashrrev_i32 v3, s20, v3
	s_delay_alu instid0(VALU_DEP_1)
	v_lshlrev_b32_e32 v3, 2, v3
	s_wait_dscnt 0x0
	v_lshrrev_b16 v1, 8, v0
	v_bfe_i32 v227, v0, 0, 8
	v_add_nc_u32_e32 v0, 0x3180, v4
	v_and_b32_e32 v3, 0x4040404, v3
	s_delay_alu instid0(VALU_DEP_4) | instskip(SKIP_2) | instid1(VALU_DEP_1)
	v_bfe_i32 v128, v1, 0, 8
	ds_load_2addr_b32 v[0:1], v0 offset1:1
	v_lshlrev_b32_e32 v2, 2, v2
	v_and_b32_e32 v2, 0x4040404, v2
	s_delay_alu instid0(VALU_DEP_1) | instskip(SKIP_3) | instid1(VALU_DEP_1)
	v_dual_lshrrev_b32 v173, 16, v2 :: v_dual_lshrrev_b32 v175, 24, v2
	v_lshrrev_b16 v176, 8, v2
	s_wait_dscnt 0x0
	v_ashrrev_i32_e32 v0, s22, v0
	v_and_b32_e32 v5, 0x3030303, v0
	v_bfe_u32 v0, v0, 24, 2
	s_delay_alu instid0(VALU_DEP_2) | instskip(NEXT) | instid1(VALU_DEP_2)
	v_lshrrev_b32_e32 v6, 16, v5
	v_sub_nc_u16 v232, v0, v175
	v_ashrrev_i32_e32 v0, s22, v1
	v_sub_nc_u16 v234, v5, v2
	v_lshrrev_b16 v7, 8, v5
	v_sub_nc_u16 v233, v6, v173
	v_lshrrev_b32_e32 v6, 24, v3
	v_bfe_u32 v1, v0, 24, 2
	v_and_b32_e32 v0, 0x3030303, v0
	v_sub_nc_u16 v231, v7, v176
	v_lshrrev_b32_e32 v7, 16, v3
	v_lshrrev_b16 v173, 8, v3
	v_sub_nc_u16 v238, v1, v6
	v_lshrrev_b32_e32 v2, 16, v0
	v_lshrrev_b16 v5, 8, v0
	v_sub_nc_u16 v235, v0, v3
	v_add_nc_u32_e32 v0, 0x3188, v4
	v_bfe_i32 v232, v232, 0, 16
	v_sub_nc_u16 v237, v2, v7
	ds_load_2addr_b32 v[2:3], v95 offset0:2 offset1:3
	v_sub_nc_u16 v236, v5, v173
	ds_load_2addr_b32 v[0:1], v0 offset1:1
	v_bfe_i32 v231, v231, 0, 16
	v_bfe_i32 v205, v237, 0, 8
	;; [unrolled: 1-line block ×3, first 2 shown]
	s_wait_dscnt 0x1
	v_dual_ashrrev_i32 v2, s20, v2 :: v_dual_ashrrev_i32 v3, s20, v3
	s_wait_dscnt 0x0
	s_delay_alu instid0(VALU_DEP_1) | instskip(NEXT) | instid1(VALU_DEP_2)
	v_dual_ashrrev_i32 v0, s22, v0 :: v_dual_lshlrev_b32 v2, 2, v2
	v_lshlrev_b32_e32 v3, 2, v3
	s_delay_alu instid0(VALU_DEP_2) | instskip(SKIP_1) | instid1(VALU_DEP_4)
	v_bfe_u32 v5, v0, 24, 2
	v_and_b32_e32 v0, 0x3030303, v0
	v_and_b32_e32 v2, 0x4040404, v2
	s_delay_alu instid0(VALU_DEP_4) | instskip(NEXT) | instid1(VALU_DEP_3)
	v_and_b32_e32 v3, 0x4040404, v3
	v_lshrrev_b32_e32 v6, 16, v0
	v_lshrrev_b16 v7, 8, v0
	s_delay_alu instid0(VALU_DEP_4) | instskip(SKIP_3) | instid1(VALU_DEP_3)
	v_sub_nc_u16 v239, v0, v2
	v_dual_ashrrev_i32 v0, s22, v1 :: v_dual_lshrrev_b32 v173, 24, v2
	v_lshrrev_b32_e32 v175, 16, v2
	v_lshrrev_b16 v176, 8, v2
	v_bfe_u32 v1, v0, 24, 2
	v_and_b32_e32 v0, 0x3030303, v0
	s_delay_alu instid0(VALU_DEP_4)
	v_sub_nc_u16 v241, v6, v175
	v_sub_nc_u16 v242, v5, v173
	v_lshrrev_b32_e32 v6, 24, v3
	v_sub_nc_u16 v240, v7, v176
	v_lshrrev_b32_e32 v2, 16, v0
	v_lshrrev_b16 v5, 8, v0
	v_sub_nc_u16 v243, v0, v3
	v_add_nc_u32_e32 v0, 0x3190, v4
	v_lshrrev_b32_e32 v7, 16, v3
	v_sub_nc_u16 v246, v1, v6
	v_lshrrev_b16 v173, 8, v3
	ds_load_2addr_b32 v[0:1], v0 offset1:1
	v_sub_nc_u16 v245, v2, v7
	ds_load_2addr_b32 v[2:3], v95 offset0:4 offset1:5
	v_sub_nc_u16 v244, v5, v173
	s_wait_dscnt 0x0
	v_dual_ashrrev_i32 v0, s22, v0 :: v_dual_ashrrev_i32 v2, s20, v2
	v_ashrrev_i32_e32 v3, s20, v3
	s_delay_alu instid0(VALU_DEP_2) | instskip(SKIP_1) | instid1(VALU_DEP_3)
	v_and_b32_e32 v5, 0x3030303, v0
	v_bfe_u32 v0, v0, 24, 2
	v_dual_lshlrev_b32 v2, 2, v2 :: v_dual_lshlrev_b32 v3, 2, v3
	s_delay_alu instid0(VALU_DEP_3) | instskip(SKIP_1) | instid1(VALU_DEP_3)
	v_lshrrev_b32_e32 v6, 16, v5
	v_lshrrev_b16 v7, 8, v5
	v_and_b32_e32 v2, 0x4040404, v2
	s_delay_alu instid0(VALU_DEP_4) | instskip(NEXT) | instid1(VALU_DEP_2)
	v_and_b32_e32 v3, 0x4040404, v3
	v_dual_lshrrev_b32 v173, 16, v2 :: v_dual_lshrrev_b32 v175, 24, v2
	v_lshrrev_b16 v176, 8, v2
	v_sub_nc_u16 v250, v5, v2
	s_delay_alu instid0(VALU_DEP_3) | instskip(NEXT) | instid1(VALU_DEP_4)
	v_sub_nc_u16 v249, v6, v173
	v_sub_nc_u16 v248, v0, v175
	v_dual_ashrrev_i32 v0, s22, v1 :: v_dual_lshrrev_b32 v6, 24, v3
	v_sub_nc_u16 v247, v7, v176
	v_lshrrev_b32_e32 v7, 16, v3
	v_lshrrev_b16 v173, 8, v3
	s_delay_alu instid0(VALU_DEP_4) | instskip(SKIP_2) | instid1(VALU_DEP_3)
	v_bfe_u32 v1, v0, 24, 2
	v_and_b32_e32 v0, 0x3030303, v0
	v_bfe_i32 v194, v249, 0, 8
	v_sub_nc_u16 v254, v1, v6
	s_delay_alu instid0(VALU_DEP_3) | instskip(SKIP_3) | instid1(VALU_DEP_4)
	v_lshrrev_b32_e32 v2, 16, v0
	v_lshrrev_b16 v5, 8, v0
	v_sub_nc_u16 v251, v0, v3
	v_add_nc_u32_e32 v0, 0x3198, v4
	v_sub_nc_u16 v253, v2, v7
	ds_load_2addr_b32 v[2:3], v95 offset0:6 offset1:7
	v_sub_nc_u16 v252, v5, v173
	ds_load_2addr_b32 v[0:1], v0 offset1:1
	s_wait_dscnt 0x1
	v_dual_ashrrev_i32 v2, s20, v2 :: v_dual_ashrrev_i32 v3, s20, v3
	s_wait_dscnt 0x0
	v_ashrrev_i32_e32 v0, s22, v0
	s_add_co_i32 s20, s20, 1
	s_cmp_lt_u32 s21, 14
	v_dual_lshlrev_b32 v2, 2, v2 :: v_dual_lshlrev_b32 v3, 2, v3
	s_delay_alu instid0(VALU_DEP_2) | instskip(SKIP_1) | instid1(VALU_DEP_3)
	v_bfe_u32 v4, v0, 24, 2
	v_and_b32_e32 v0, 0x3030303, v0
	v_and_b32_e32 v2, 0x4040404, v2
	s_delay_alu instid0(VALU_DEP_4) | instskip(NEXT) | instid1(VALU_DEP_3)
	v_and_b32_e32 v3, 0x4040404, v3
	v_lshrrev_b32_e32 v5, 16, v0
	v_lshrrev_b16 v6, 8, v0
	s_delay_alu instid0(VALU_DEP_4) | instskip(SKIP_3) | instid1(VALU_DEP_3)
	v_sub_nc_u16 v255, v0, v2
	v_dual_ashrrev_i32 v0, s22, v1 :: v_dual_lshrrev_b32 v7, 24, v2
	v_lshrrev_b32_e32 v95, 16, v2
	v_lshrrev_b16 v173, 8, v2
	v_bfe_u32 v1, v0, 24, 2
	v_and_b32_e32 v0, 0x3030303, v0
	s_set_vgpr_msb 64                       ;  msbs: dst=1 src0=0 src1=0 src2=0
	v_sub_nc_u16 v1 /*v257*/, v5, v95
	v_sub_nc_u16 v0 /*v256*/, v6, v173
	;; [unrolled: 1-line block ×3, first 2 shown]
	s_set_vgpr_msb 0                        ;  msbs: dst=0 src0=0 src1=0 src2=0
	v_dual_lshrrev_b32 v5, 24, v3 :: v_dual_lshrrev_b32 v6, 16, v3
	v_lshrrev_b32_e32 v2, 16, v0
	v_lshrrev_b16 v4, 8, v0
	v_lshrrev_b16 v7, 8, v3
	v_sub_nc_u16 v175, v0, v3
	v_add3_u32 v0, s25, v107, v108
	v_sub_nc_u16 v177, v2, v6
	v_sub_nc_u16 v178, v1, v5
	;; [unrolled: 1-line block ×3, first 2 shown]
	ds_load_b32 v95, v0
	ds_load_b128 v[4:7], v89
	ds_load_b128 v[0:3], v89 offset:16
	v_dual_add_nc_u32 v173, s24, v43 :: v_dual_bitop2_b32 v165, v166, v165 bitop3:0x54
	v_perm_b32 v166, v208, v208, 0xc0c0c01
	v_add_nc_u32_e32 v89, 32, v89
	ds_load_u16 v139, v139 offset:25346
	ds_load_u16 v150, v150 offset:26370
	s_mov_b32 s24, s21
	s_wait_dscnt 0x3
	s_set_vgpr_msb 64                       ;  msbs: dst=1 src0=0 src1=0 src2=0
	v_lshrrev_b16 v3 /*v259*/, 8, v4
	v_bfe_i32 v9 /*v265*/, v4, 0, 8
	s_set_vgpr_msb 0                        ;  msbs: dst=0 src0=0 src1=0 src2=0
	v_perm_b32 v202, v4, v4, 0xc0c0302
	s_set_vgpr_msb 64                       ;  msbs: dst=1 src0=0 src1=0 src2=0
	v_bfe_i32 v10 /*v266*/, v5, 0, 8
	s_set_vgpr_msb 0                        ;  msbs: dst=0 src0=0 src1=0 src2=0
	v_perm_b32 v204, v5, v5, 0xc030201
	s_set_vgpr_msb 0x41                     ;  msbs: dst=1 src0=1 src1=0 src2=0
	v_bfe_i32 v3 /*v259*/, v3 /*v259*/, 0, 8
	s_set_vgpr_msb 1                        ;  msbs: dst=0 src0=1 src1=0 src2=0
	v_mul_i32_i24_e32 v224, v9 /*v265*/, v224
	s_set_vgpr_msb 64                       ;  msbs: dst=1 src0=0 src1=0 src2=0
	v_lshrrev_b16 v4 /*v260*/, 8, v5
	v_ashrrev_i32_e32 v7 /*v263*/, 24, v4
	v_bfe_i32 v8 /*v264*/, v4, 16, 8
	s_set_vgpr_msb 1                        ;  msbs: dst=0 src0=1 src1=0 src2=0
	v_mul_i32_i24_e32 v209, v3 /*v259*/, v209
	v_mad_i32_i24 v224, v3 /*v259*/, v225, v224
	s_set_vgpr_msb 0                        ;  msbs: dst=0 src0=0 src1=0 src2=0
	v_bfe_i32 v225, v233, 0, 8
	v_ashrrev_i32_e32 v233, 24, v5
	s_set_vgpr_msb 1                        ;  msbs: dst=0 src0=1 src1=0 src2=0
	v_mul_i32_i24_e32 v195, v9 /*v265*/, v195
	v_mad_i32_i24 v167, v9 /*v265*/, v167, v209
	s_set_vgpr_msb 0                        ;  msbs: dst=0 src0=0 src1=0 src2=0
	v_dot4_i32_iu8 v201, v202, v201, v224 neg_lo:[1,1,0]
	v_perm_b32 v4, v5, v4, 0x5040302
	v_bfe_i32 v224, v234, 0, 8
	s_set_vgpr_msb 1                        ;  msbs: dst=0 src0=1 src1=0 src2=0
	v_bfe_i32 v234, v4 /*v260*/, 0, 8
	s_set_vgpr_msb 64                       ;  msbs: dst=1 src0=0 src1=0 src2=0
	v_bfe_i32 v4 /*v260*/, v5, 16, 8
	s_set_vgpr_msb 1                        ;  msbs: dst=0 src0=1 src1=0 src2=0
	v_mad_i32_i24 v201, v10 /*v266*/, v226, v201
	v_mad_i32_i24 v192, v3 /*v259*/, v192, v195
	s_set_vgpr_msb 0                        ;  msbs: dst=0 src0=0 src1=0 src2=0
	v_perm_b32 v5, v6, v5, 0x5040302
	s_set_vgpr_msb 64                       ;  msbs: dst=1 src0=0 src1=0 src2=0
	v_lshrrev_b16 v5 /*v261*/, 8, v6
	s_set_vgpr_msb 0                        ;  msbs: dst=0 src0=0 src1=0 src2=0
	v_bfe_i32 v226, v236, 0, 16
	v_dot4_i32_iu8 v201, v204, v203, v201 neg_lo:[1,1,0]
	v_bfe_i32 v203, v238, 0, 16
	v_bfe_i32 v236, v6, 0, 8
	v_dot4_i32_iu8 v187, v202, v187, v192 neg_lo:[1,1,0]
	v_mul_i32_i24_e32 v226, v226, v234
	s_set_vgpr_msb 1                        ;  msbs: dst=0 src0=1 src1=0 src2=0
	v_bfe_i32 v234, v5 /*v261*/, 0, 8
	s_set_vgpr_msb 0                        ;  msbs: dst=0 src0=0 src1=0 src2=0
	v_mul_i32_i24_e32 v203, v203, v233
	v_ashrrev_i32_e32 v233, 24, v6
	v_bfe_i32 v237, v6, 16, 8
	s_set_vgpr_msb 1                        ;  msbs: dst=0 src0=1 src1=0 src2=0
	v_mad_i32_i24 v187, v10 /*v266*/, v197, v187
	s_set_vgpr_msb 0                        ;  msbs: dst=0 src0=0 src1=0 src2=0
	v_perm_b32 v6, v6, v6, 0xc030201
	v_bfe_i32 v172, v7, 0, 8
	s_set_vgpr_msb 64                       ;  msbs: dst=1 src0=0 src1=0 src2=0
	v_lshrrev_b16 v6 /*v262*/, 8, v7
	s_set_vgpr_msb 4                        ;  msbs: dst=0 src0=0 src1=1 src2=0
	v_mul_i32_i24_e32 v231, v231, v3 /*v259*/
	v_mul_i32_i24_e32 v235, v235, v10 /*v266*/
	;; [unrolled: 1-line block ×3, first 2 shown]
	v_bfe_i32 v171, v7, 16, 8
	s_set_vgpr_msb 1                        ;  msbs: dst=0 src0=1 src1=0 src2=0
	v_bfe_i32 v169, v6 /*v262*/, 0, 8
	s_set_vgpr_msb 0                        ;  msbs: dst=0 src0=0 src1=0 src2=0
	v_bfe_i32 v192, v244, 0, 16
	v_bfe_i32 v197, v247, 0, 16
	v_pk_mul_lo_u16 v174, v174, v237 op_sel_hi:[1,0]
	v_perm_b32 v202, v218, v218, 0xc0c0c01
	v_or_b32_e32 v151, v152, v151
	v_mul_i32_i24_e32 v169, v192, v169
	s_set_vgpr_msb 4                        ;  msbs: dst=0 src0=0 src1=1 src2=0
	v_mad_i32_i24 v192, v224, v9 /*v265*/, v235
	s_set_vgpr_msb 0                        ;  msbs: dst=0 src0=0 src1=0 src2=0
	v_perm_b32 v152, v184, v184, 0xc0c0c01
	s_wait_dscnt 0x2
	v_bfe_i32 v160, v3, 16, 8
	v_bfe_i32 v195, v248, 0, 16
	v_mul_i32_i24_e32 v144, v172, v144
	v_dot4_i32_iu8 v4, v4, v163, v167 neg_lo:[1,1,0]
	v_perm_b32 v163, v193, v191, 0xc05000c
	v_bfe_i32 v167, v239, 0, 8
	v_bfe_i32 v191, v245, 0, 8
	;; [unrolled: 1-line block ×3, first 2 shown]
	v_mul_i32_i24_e32 v129, v233, v129
	v_mul_i32_i24_e32 v140, v233, v140
	v_dot4_i32_iu8 v165, v5, v165, v4 neg_lo:[1,1,0]
	v_perm_b32 v5, v207, v206, 0xc05000c
	v_dual_ashrrev_i32 v168, 24, v7 :: v_dual_bitop2_b32 v163, v163, v164 bitop3:0x54
	v_mad_i32_i24 v4, v236, v200, v201
	v_mul_i32_i24_e32 v164, v234, v198
	v_mul_i32_i24_e32 v167, v167, v236
	;; [unrolled: 1-line block ×4, first 2 shown]
	s_set_vgpr_msb 4                        ;  msbs: dst=0 src0=0 src1=1 src2=0
	v_mad_i32_i24 v191, v225, v8 /*v264*/, v205
	v_bfe_i32 v206, v158, 8, 8
	v_bfe_i32 v158, v158, 0, 8
	;; [unrolled: 1-line block ×3, first 2 shown]
	s_set_vgpr_msb 0                        ;  msbs: dst=0 src0=0 src1=0 src2=0
	v_perm_b32 v201, v217, v216, 0xc05000c
	v_bfe_i32 v205, v251, 0, 8
	v_dual_ashrrev_i32 v198, 24, v1 :: v_dual_bitop2_b32 v5, v5, v166 bitop3:0x54
	v_dot4_i32_iu8 v163, v204, v163, v187 neg_lo:[1,1,0]
	v_bfe_i32 v187, v213, 0, 8
	v_bfe_i32 v166, v240, 0, 16
	v_add3_u32 v167, v192, v167, v193
	v_perm_b32 v192, v215, v214, 0xc0c0500
	v_perm_b32 v193, v0, v0, 0xc0c0302
	v_bfe_i32 v204, v252, 0, 16
	v_or_b32_e32 v201, v201, v202
	v_perm_b32 v202, v1, v1, 0xc030201
	v_mul_i32_i24_e32 v205, v205, v200
	v_dot4_i32_iu8 v4, v6, v5, v4 neg_lo:[1,1,0]
	v_bfe_i32 v5, v242, 0, 16
	v_bfe_i32 v6, v241, 0, 8
	v_mul_i32_i24_e32 v166, v166, v234
	v_mad_i32_i24 v163, v236, v199, v163
	v_bfe_i32 v199, v1, 16, 8
	v_mad_i32_i24 v4, v172, v187, v4
	v_perm_b32 v187, v211, v210, 0xc05000c
	v_mul_i32_i24_e32 v5, v5, v233
	v_mul_i32_i24_e32 v6, v6, v237
	v_add3_u32 v166, v231, v226, v166
	s_delay_alu instid0(VALU_DEP_4) | instskip(SKIP_1) | instid1(VALU_DEP_4)
	v_or_b32_e32 v187, v187, v188
	v_perm_b32 v188, v7, v7, 0xc030201
	v_add3_u32 v6, v191, v6, v171
	v_bfe_i32 v171, v0, 16, 8
	s_delay_alu instid0(VALU_DEP_3) | instskip(SKIP_1) | instid1(VALU_DEP_2)
	v_dot4_i32_iu8 v4, v188, v187, v4 neg_lo:[1,1,0]
	v_bfe_i32 v187, v246, 0, 16
	v_mul_lo_u32 v4, v4, v227
	s_delay_alu instid0(VALU_DEP_2) | instskip(SKIP_4) | instid1(VALU_DEP_2)
	v_mul_i32_i24_e32 v168, v187, v168
	s_set_vgpr_msb 4                        ;  msbs: dst=0 src0=0 src1=1 src2=0
	v_mad_i32_i24 v187, v232, v7 /*v263*/, v203
	v_bfe_i32 v203, v253, 0, 8
	s_set_vgpr_msb 0                        ;  msbs: dst=0 src0=0 src1=0 src2=0
	v_add3_u32 v5, v187, v5, v168
	v_bfe_i32 v187, v0, 0, 8
	s_delay_alu instid0(VALU_DEP_3)
	v_mul_i32_i24_e32 v199, v203, v199
	v_bfe_i32 v203, v2, 0, 8
	v_lshrrev_b16 v168, 8, v3
	v_add3_u32 v5, v166, v169, v5
	v_mul_i32_i24_e32 v191, v187, v228
	v_lshrrev_b16 v166, 8, v1
	v_mul_i32_i24_e32 v185, v187, v185
	v_ashrrev_i32_e32 v169, 24, v0
	v_bfe_i32 v159, v168, 0, 8
	v_mad_i32_i24 v134, v194, v171, v199
	v_add3_u32 v5, v167, v6, v5
	v_lshrrev_b16 v6, 8, v0
	v_bfe_i32 v166, v166, 0, 8
	v_perm_b32 v0, v1, v0, 0x5040302
	v_lshrrev_b16 v167, 8, v2
	v_perm_b32 v1, v2, v1, 0x5040302
	v_bfe_i32 v6, v6, 0, 8
	v_mul_i32_i24_e32 v166, v204, v166
	v_bfe_i32 v204, v2, 16, 8
	v_bfe_i32 v167, v167, 0, 8
	s_delay_alu instid0(VALU_DEP_4)
	v_mad_i32_i24 v191, v6, v229, v191
	v_mul_i32_i24_e32 v206, v6, v206
	v_mul_i32_i24_e32 v197, v197, v6
	v_mad_i32_i24 v6, v6, v182, v185
	v_pk_mul_lo_u16 v170, v170, v204 op_sel_hi:[1,0]
	v_dot4_i32_iu8 v191, v193, v192, v191 neg_lo:[1,1,0]
	v_mad_i32_i24 v158, v187, v158, v206
	v_bfe_i32 v192, v250, 0, 8
	v_dot4_i32_iu8 v6, v193, v179, v6 neg_lo:[1,1,0]
	v_bfe_i32 v179, v174, 0, 16
	v_ashrrev_i32_e32 v174, 16, v174
	v_bfe_i32 v132, v170, 0, 16
	v_mad_i32_i24 v191, v200, v230, v191
	v_dot4_i32_iu8 v0, v0, v151, v158 neg_lo:[1,1,0]
	v_perm_b32 v151, v183, v181, 0xc05000c
	v_mad_i32_i24 v6, v200, v186, v6
	v_ashrrev_i32_e32 v158, 24, v3
	v_add3_u32 v129, v165, v179, v129
	v_add3_u32 v163, v163, v164, v174
	v_dot4_i32_iu8 v191, v202, v201, v191 neg_lo:[1,1,0]
	v_bfe_i32 v201, v254, 0, 16
	v_dual_ashrrev_i32 v133, 16, v170 :: v_dual_bitop2_b32 v151, v151, v152 bitop3:0x54
	v_perm_b32 v152, v154, v153, 0xc0c0500
	v_perm_b32 v153, v162, v161, 0x5000c0c
	v_dot4_i32_iu8 v7, v7, v130, v129 neg_lo:[1,1,0]
	v_perm_b32 v129, v142, v141, 0xc05000c
	v_perm_b32 v130, v143, v143, 0xc0c0c01
	v_bfe_i32 v161, v3, 0, 8
	v_bfe_i32 v162, v223, 0, 8
	;; [unrolled: 1-line block ×3, first 2 shown]
	v_add3_u32 v140, v163, v140, v144
	v_mul_i32_i24_e32 v198, v201, v198
	v_ashrrev_i32_e32 v201, 24, v2
	v_dot4_i32_iu8 v6, v202, v151, v6 neg_lo:[1,1,0]
	v_or_b32_e32 v152, v153, v152
	v_mul_i32_i24_e32 v151, v167, v189
	v_or_b32_e32 v129, v129, v130
	v_bfe_i32 v130, v145, 8, 8
	v_perm_b32 v153, v221, v221, 0xc0c0c01
	v_perm_b32 v2, v2, v2, 0xc030201
	v_mul_i32_i24_e32 v154, v154, v203
	v_mad_i32_i24 v6, v203, v190, v6
	v_dot4_i32_iu8 v0, v1, v152, v0 neg_lo:[1,1,0]
	v_mul_i32_i24_e32 v131, v201, v131
	v_mul_i32_i24_e32 v130, v201, v130
	v_perm_b32 v152, v220, v219, 0xc05000c
	v_mad_i32_i24 v1, v203, v196, v191
	v_dot4_i32_iu8 v129, v188, v129, v140 neg_lo:[1,1,0]
	v_add3_u32 v6, v6, v151, v133
	v_add3_u32 v0, v0, v132, v131
	v_mul_i32_i24_e32 v131, v161, v149
	v_or_b32_e32 v152, v152, v153
	s_set_vgpr_msb 1                        ;  msbs: dst=0 src0=1 src1=0 src2=0
	v_bfe_i32 v153, v0 /*v256*/, 0, 16
	s_set_vgpr_msb 0                        ;  msbs: dst=0 src0=0 src1=0 src2=0
	v_bfe_i32 v132, v175, 0, 8
	v_mad_i32_i24 v133, v195, v169, v198
	v_add3_u32 v6, v6, v130, v131
	v_perm_b32 v130, v138, v137, 0xc0c0500
	v_perm_b32 v131, v136, v135, 0x5000c0c
	v_dot4_i32_iu8 v1, v2, v152, v1 neg_lo:[1,1,0]
	s_set_vgpr_msb 1                        ;  msbs: dst=0 src0=1 src1=0 src2=0
	v_bfe_i32 v2, v2 /*v258*/, 0, 16
	v_bfe_i32 v152, v1 /*v257*/, 0, 8
	s_set_vgpr_msb 0                        ;  msbs: dst=0 src0=0 src1=0 src2=0
	v_mul_i32_i24_e32 v153, v153, v167
	v_mul_i32_i24_e32 v132, v132, v161
	v_mad_i32_i24 v135, v192, v187, v205
	v_or_b32_e32 v130, v131, v130
	v_perm_b32 v131, v148, v148, 0xc0c0c01
	v_mul_i32_i24_e32 v2, v2, v201
	v_mul_i32_i24_e32 v152, v152, v204
	v_add3_u32 v136, v197, v166, v153
	v_add3_u32 v132, v135, v154, v132
	v_dot4_i32_iu8 v130, v3, v130, v0 neg_lo:[1,1,0]
	v_perm_b32 v0, v147, v146, 0xc05000c
	v_perm_b32 v3, v3, v3, 0xc030201
	s_delay_alu instid0(VALU_DEP_2) | instskip(SKIP_1) | instid1(VALU_DEP_2)
	v_or_b32_e32 v0, v0, v131
	v_perm_b32 v131, v157, v157, 0xc0c0c01
	v_dot4_i32_iu8 v6, v3, v0, v6 neg_lo:[1,1,0]
	v_mad_i32_i24 v0, v161, v162, v1
	v_perm_b32 v1, v156, v155, 0xc05000c
	s_delay_alu instid0(VALU_DEP_1) | instskip(NEXT) | instid1(VALU_DEP_1)
	v_or_b32_e32 v1, v1, v131
	v_dot4_i32_iu8 v131, v3, v1, v0 neg_lo:[1,1,0]
	v_bfe_i32 v0, v178, 0, 16
	v_bfe_i32 v1, v177, 0, 8
	;; [unrolled: 1-line block ×3, first 2 shown]
	s_delay_alu instid0(VALU_DEP_3) | instskip(NEXT) | instid1(VALU_DEP_3)
	v_mul_i32_i24_e32 v0, v0, v158
	v_mul_i32_i24_e32 v1, v1, v160
	s_delay_alu instid0(VALU_DEP_3) | instskip(NEXT) | instid1(VALU_DEP_3)
	v_mul_i32_i24_e32 v3, v3, v159
	v_add3_u32 v0, v133, v2, v0
	s_delay_alu instid0(VALU_DEP_3) | instskip(NEXT) | instid1(VALU_DEP_2)
	v_add3_u32 v1, v134, v152, v1
	v_add3_u32 v0, v136, v3, v0
	v_pk_mul_f32 v[2:3], v[90:91], v[94:95] op_sel_hi:[0,1]
	s_delay_alu instid0(VALU_DEP_2)
	v_add3_u32 v132, v132, v1, v0
	ds_load_u16 v0, v173 offset:28418
	s_wait_dscnt 0x2
	v_lshrrev_b16 v167, 8, v139
	s_wait_dscnt 0x1
	v_lshrrev_b16 v168, 8, v150
	v_bfe_i32 v150, v150, 0, 8
	v_bfe_i32 v139, v139, 0, 8
	;; [unrolled: 1-line block ×3, first 2 shown]
	s_delay_alu instid0(VALU_DEP_4) | instskip(NEXT) | instid1(VALU_DEP_4)
	v_bfe_i32 v168, v168, 0, 8
	v_mul_lo_u32 v129, v129, v150
	s_delay_alu instid0(VALU_DEP_4) | instskip(NEXT) | instid1(VALU_DEP_2)
	v_mul_lo_u32 v7, v7, v139
	v_mad_u32 v6, v6, v168, v129
	s_delay_alu instid0(VALU_DEP_2) | instskip(SKIP_3) | instid1(VALU_DEP_2)
	v_mad_u32 v7, v130, v167, v7
	s_wait_dscnt 0x0
	v_lshrrev_b16 v1, 8, v0
	v_bfe_i32 v0, v0, 0, 8
	v_bfe_i32 v133, v1, 0, 8
	s_delay_alu instid0(VALU_DEP_2)
	v_mul_lo_u32 v5, v5, v0
	v_pk_mul_f32 v[0:1], v[90:91], v[92:93] op_sel_hi:[0,1]
	v_mad_u32 v90, v131, v128, v4
	v_add_nc_u32_e32 v91, 4, v91
	v_cvt_f32_i32_e32 v4, v7
	v_mad_u32 v92, v132, v133, v5
	v_cvt_f32_i32_e32 v5, v6
	v_cvt_f32_i32_e32 v6, v90
	s_delay_alu instid0(VALU_DEP_2) | instskip(NEXT) | instid1(VALU_DEP_4)
	v_pk_fma_f32 v[20:21], v[0:1], v[4:5], v[20:21]
	v_cvt_f32_i32_e32 v7, v92
	s_delay_alu instid0(VALU_DEP_1)
	v_pk_fma_f32 v[18:19], v[2:3], v[6:7], v[18:19]
	s_cbranch_scc1 .LBB229_19
; %bb.20:                               ;   in Loop: Header=BB229_5 Depth=1
	s_or_b32 s1, s16, 0x100
	s_delay_alu instid0(SALU_CYCLE_1)
	s_cmp_ge_i32 s1, s11
	s_barrier_signal -1
	s_barrier_wait -1
	s_cbranch_scc1 .LBB229_4
; %bb.21:                               ;   in Loop: Header=BB229_5 Depth=1
	v_add_nc_u32_e32 v0, s17, v77
	s_delay_alu instid0(VALU_DEP_1) | instskip(SKIP_1) | instid1(SALU_CYCLE_1)
	v_cmp_gt_i32_e64 s1, s5, v0
	s_and_b32 s20, s0, s1
	s_and_saveexec_b32 s1, s20
	s_cbranch_execz .LBB229_23
; %bb.22:                               ;   in Loop: Header=BB229_5 Depth=1
	v_add_nc_u32_e32 v0, v22, v0
	s_delay_alu instid0(VALU_DEP_1)
	v_mad_nc_i64_i32 v[0:1], v0, 36, v[26:27]
	global_load_b32 v0, v[0:1], off offset:4
	s_wait_loadcnt 0x0
	ds_store_b32 v37, v0
.LBB229_23:                             ;   in Loop: Header=BB229_5 Depth=1
	s_or_b32 exec_lo, exec_lo, s1
	s_and_saveexec_b32 s20, vcc_lo
	s_cbranch_execz .LBB229_26
; %bb.24:                               ;   in Loop: Header=BB229_5 Depth=1
	v_or_b32_e32 v0, 8, v88
	s_delay_alu instid0(VALU_DEP_1) | instskip(SKIP_1) | instid1(SALU_CYCLE_1)
	v_cmp_gt_i32_e64 s1, s5, v0
	s_and_b32 s1, s0, s1
	s_and_b32 exec_lo, exec_lo, s1
	s_cbranch_execz .LBB229_26
; %bb.25:                               ;   in Loop: Header=BB229_5 Depth=1
	v_ashrrev_i32_e32 v89, 31, v88
	s_delay_alu instid0(VALU_DEP_1) | instskip(NEXT) | instid1(VALU_DEP_1)
	v_add_nc_u64_e32 v[0:1], v[22:23], v[88:89]
	v_mad_nc_u64_u32 v[2:3], v0, 36, s[2:3]
	s_delay_alu instid0(VALU_DEP_1)
	v_mad_i32_i24 v3, v1, 36, v3
	global_load_b32 v0, v[2:3], off offset:288
	s_wait_loadcnt 0x0
	v_cvt_f32_f16_e32 v0, v0
	ds_store_b32 v41, v0
.LBB229_26:                             ;   in Loop: Header=BB229_5 Depth=1
	s_or_b32 exec_lo, exec_lo, s20
	v_dual_mov_b32 v89, v35 :: v_dual_mov_b32 v91, v39
	s_mov_b32 s1, 16
	s_mov_b32 s24, 14
	;; [unrolled: 1-line block ×3, first 2 shown]
	s_wait_dscnt 0x0
	s_barrier_signal -1
	s_barrier_wait -1
.LBB229_27:                             ;   Parent Loop BB229_5 Depth=1
                                        ; =>  This Inner Loop Header: Depth=2
	s_add_co_i32 s21, s24, 2
	s_add_co_i32 s22, s24, -14
	s_lshr_b32 s26, s21, 4
	s_and_b32 s23, s21, 0x3ffffff8
	s_and_b32 s25, s1, -16
	v_lshl_add_u32 v4, s23, 2, v81
	s_lshl_b32 s23, s26, 5
	s_add_co_i32 s24, s24, s25
	s_addk_co_i32 s23, 0x4200
	s_lshl_b32 s25, s26, 2
	v_add3_u32 v92, s23, v83, v85
	ds_load_2addr_b32 v[0:1], v4 offset1:1
	s_addk_co_i32 s25, 0x7380
	ds_load_b32 v90, v91
	s_add_co_i32 s1, s1, 2
	ds_load_2addr_b32 v[2:3], v92 offset1:1
	s_wait_dscnt 0x2
	v_dual_add_nc_u32 v139, s24, v49 :: v_dual_ashrrev_i32 v0, s22, v0
	s_wait_dscnt 0x0
	v_ashrrev_i32_e32 v2, s20, v2
	s_delay_alu instid0(VALU_DEP_2) | instskip(NEXT) | instid1(VALU_DEP_2)
	v_and_b32_e32 v5, 0x3030303, v0
	v_dual_ashrrev_i32 v3, s20, v3 :: v_dual_lshlrev_b32 v2, 2, v2
	s_delay_alu instid0(VALU_DEP_2) | instskip(SKIP_2) | instid1(VALU_DEP_4)
	v_lshrrev_b32_e32 v7, 16, v5
	v_bfe_u32 v0, v0, 24, 2
	v_lshrrev_b16 v6, 8, v5
	v_lshlrev_b32_e32 v3, 2, v3
	v_and_b32_e32 v2, 0x4040404, v2
	s_delay_alu instid0(VALU_DEP_2) | instskip(NEXT) | instid1(VALU_DEP_2)
	v_and_b32_e32 v3, 0x4040404, v3
	v_dual_lshrrev_b32 v94, 24, v2 :: v_dual_lshrrev_b32 v95, 16, v2
	v_lshrrev_b16 v93, 8, v2
	s_delay_alu instid0(VALU_DEP_2) | instskip(NEXT) | instid1(VALU_DEP_3)
	v_sub_nc_u16 v0, v0, v94
	v_sub_nc_u16 v163, v7, v95
	v_lshrrev_b32_e32 v7, 24, v3
	s_delay_alu instid0(VALU_DEP_3) | instskip(NEXT) | instid1(VALU_DEP_1)
	v_lshlrev_b16 v0, 8, v0
	v_bitop3_b16 v164, v163, v0, 0xff bitop3:0xec
	v_sub_nc_u16 v0, v5, v2
	v_sub_nc_u16 v2, v6, v93
	v_lshrrev_b32_e32 v93, 16, v3
	v_lshrrev_b16 v6, 8, v3
	v_perm_b32 v163, v164, v163, 0xc0c0500
	s_delay_alu instid0(VALU_DEP_4) | instskip(NEXT) | instid1(VALU_DEP_1)
	v_lshlrev_b16 v2, 8, v2
	v_bitop3_b16 v0, v0, v2, 0xff bitop3:0xec
	s_delay_alu instid0(VALU_DEP_1) | instskip(SKIP_1) | instid1(VALU_DEP_1)
	v_and_b32_e32 v167, 0xffff, v0
	v_ashrrev_i32_e32 v0, s22, v1
	v_and_b32_e32 v1, 0x3030303, v0
	v_bfe_u32 v0, v0, 24, 2
	s_delay_alu instid0(VALU_DEP_2) | instskip(NEXT) | instid1(VALU_DEP_2)
	v_lshrrev_b32_e32 v5, 16, v1
	v_sub_nc_u16 v0, v0, v7
	v_lshrrev_b16 v2, 8, v1
	v_sub_nc_u16 v168, v1, v3
	s_delay_alu instid0(VALU_DEP_4) | instskip(NEXT) | instid1(VALU_DEP_4)
	v_sub_nc_u16 v165, v5, v93
	v_lshlrev_b16 v0, 8, v0
	s_delay_alu instid0(VALU_DEP_1) | instskip(SKIP_4) | instid1(VALU_DEP_1)
	v_bitop3_b16 v166, v165, v0, 0xff bitop3:0xec
	v_sub_nc_u16 v0, v2, v6
	ds_load_2addr_b32 v[2:3], v92 offset0:2 offset1:3
	v_perm_b32 v165, v166, v165, 0xc0c0500
	v_lshlrev_b16 v0, 8, v0
	v_bitop3_b16 v169, v168, v0, 0xff bitop3:0xec
	ds_load_2addr_b32 v[0:1], v4 offset0:2 offset1:3
	v_perm_b32 v164, v169, v168, 0x5000c0c
	s_wait_dscnt 0x1
	s_delay_alu instid0(VALU_DEP_1) | instskip(NEXT) | instid1(VALU_DEP_1)
	v_dual_ashrrev_i32 v2, s20, v2 :: v_dual_bitop2_b32 v163, v164, v163 bitop3:0x54
	v_dual_ashrrev_i32 v3, s20, v3 :: v_dual_lshlrev_b32 v2, 2, v2
	s_wait_dscnt 0x0
	s_delay_alu instid0(VALU_DEP_1) | instskip(NEXT) | instid1(VALU_DEP_2)
	v_dual_lshlrev_b32 v3, 2, v3 :: v_dual_ashrrev_i32 v0, s22, v0
	v_and_b32_e32 v2, 0x4040404, v2
	s_delay_alu instid0(VALU_DEP_2) | instskip(NEXT) | instid1(VALU_DEP_3)
	v_and_b32_e32 v3, 0x4040404, v3
	v_and_b32_e32 v5, 0x3030303, v0
	v_bfe_u32 v0, v0, 24, 2
	s_delay_alu instid0(VALU_DEP_4) | instskip(SKIP_1) | instid1(VALU_DEP_4)
	v_dual_lshrrev_b32 v93, 16, v2 :: v_dual_lshrrev_b32 v94, 24, v2
	v_lshrrev_b16 v95, 8, v2
	v_lshrrev_b16 v7, 8, v5
	v_lshrrev_b32_e32 v6, 16, v5
	v_sub_nc_u16 v171, v5, v2
	v_sub_nc_u16 v0, v0, v94
	s_delay_alu instid0(VALU_DEP_4) | instskip(SKIP_2) | instid1(VALU_DEP_4)
	v_sub_nc_u16 v2, v7, v95
	v_lshrrev_b32_e32 v7, 24, v3
	v_sub_nc_u16 v174, v6, v93
	v_lshlrev_b16 v129, 8, v0
	v_ashrrev_i32_e32 v0, s22, v1
	v_lshlrev_b16 v2, 8, v2
	v_lshrrev_b32_e32 v93, 16, v3
	v_lshrrev_b16 v6, 8, v3
	v_bfe_i32 v174, v174, 0, 8
	v_and_b32_e32 v1, 0x3030303, v0
	v_bfe_u32 v0, v0, 24, 2
	v_bitop3_b16 v172, v171, v2, 0xff bitop3:0xec
	v_bfe_i32 v129, v129, 8, 8
	s_delay_alu instid0(VALU_DEP_4) | instskip(NEXT) | instid1(VALU_DEP_4)
	v_lshrrev_b32_e32 v5, 16, v1
	v_sub_nc_u16 v0, v0, v7
	v_lshrrev_b16 v2, 8, v1
	v_sub_nc_u16 v132, v1, v3
	v_perm_b32 v166, v172, v171, 0x5000c0c
	v_sub_nc_u16 v130, v5, v93
	v_lshlrev_b16 v0, 8, v0
	s_delay_alu instid0(VALU_DEP_1) | instskip(SKIP_4) | instid1(VALU_DEP_1)
	v_bitop3_b16 v131, v130, v0, 0xff bitop3:0xec
	v_sub_nc_u16 v0, v2, v6
	ds_load_2addr_b32 v[2:3], v92 offset0:4 offset1:5
	v_perm_b32 v130, v131, v130, 0x5000c0c
	v_lshlrev_b16 v0, 8, v0
	v_bitop3_b16 v133, v132, v0, 0xff bitop3:0xec
	ds_load_2addr_b32 v[0:1], v4 offset0:4 offset1:5
	v_perm_b32 v132, v133, v132, 0xc0c0500
	s_wait_dscnt 0x1
	s_delay_alu instid0(VALU_DEP_1) | instskip(NEXT) | instid1(VALU_DEP_1)
	v_dual_ashrrev_i32 v2, s20, v2 :: v_dual_bitop2_b32 v130, v130, v132 bitop3:0x54
	v_dual_ashrrev_i32 v3, s20, v3 :: v_dual_lshlrev_b32 v2, 2, v2
	s_wait_dscnt 0x0
	s_delay_alu instid0(VALU_DEP_1) | instskip(NEXT) | instid1(VALU_DEP_2)
	v_dual_lshlrev_b32 v3, 2, v3 :: v_dual_ashrrev_i32 v0, s22, v0
	v_and_b32_e32 v2, 0x4040404, v2
	s_delay_alu instid0(VALU_DEP_2) | instskip(NEXT) | instid1(VALU_DEP_3)
	v_and_b32_e32 v3, 0x4040404, v3
	v_and_b32_e32 v5, 0x3030303, v0
	v_bfe_u32 v0, v0, 24, 2
	s_delay_alu instid0(VALU_DEP_4) | instskip(SKIP_1) | instid1(VALU_DEP_4)
	v_dual_lshrrev_b32 v94, 24, v2 :: v_dual_lshrrev_b32 v95, 16, v2
	v_lshrrev_b16 v93, 8, v2
	v_lshrrev_b32_e32 v7, 16, v5
	v_lshrrev_b16 v6, 8, v5
	s_delay_alu instid0(VALU_DEP_4) | instskip(NEXT) | instid1(VALU_DEP_3)
	v_sub_nc_u16 v0, v0, v94
	v_sub_nc_u16 v151, v7, v95
	v_lshrrev_b32_e32 v7, 24, v3
	s_delay_alu instid0(VALU_DEP_3) | instskip(NEXT) | instid1(VALU_DEP_1)
	v_lshlrev_b16 v0, 8, v0
	v_bitop3_b16 v152, v151, v0, 0xff bitop3:0xec
	v_sub_nc_u16 v0, v5, v2
	v_sub_nc_u16 v2, v6, v93
	v_lshrrev_b32_e32 v93, 16, v3
	v_lshrrev_b16 v6, 8, v3
	v_perm_b32 v151, v152, v151, 0xc0c0500
	s_delay_alu instid0(VALU_DEP_4) | instskip(NEXT) | instid1(VALU_DEP_1)
	v_lshlrev_b16 v2, 8, v2
	v_bitop3_b16 v0, v0, v2, 0xff bitop3:0xec
	s_delay_alu instid0(VALU_DEP_1) | instskip(SKIP_1) | instid1(VALU_DEP_1)
	v_and_b32_e32 v158, 0xffff, v0
	v_ashrrev_i32_e32 v0, s22, v1
	v_and_b32_e32 v1, 0x3030303, v0
	v_bfe_u32 v0, v0, 24, 2
	s_delay_alu instid0(VALU_DEP_2) | instskip(NEXT) | instid1(VALU_DEP_2)
	v_lshrrev_b32_e32 v5, 16, v1
	v_sub_nc_u16 v0, v0, v7
	v_lshrrev_b16 v2, 8, v1
	v_sub_nc_u16 v159, v1, v3
	s_delay_alu instid0(VALU_DEP_4) | instskip(NEXT) | instid1(VALU_DEP_4)
	v_sub_nc_u16 v153, v5, v93
	v_lshlrev_b16 v0, 8, v0
	s_delay_alu instid0(VALU_DEP_1) | instskip(SKIP_3) | instid1(VALU_DEP_1)
	v_bitop3_b16 v154, v153, v0, 0xff bitop3:0xec
	v_sub_nc_u16 v0, v2, v6
	ds_load_2addr_b32 v[2:3], v92 offset0:6 offset1:7
	v_lshlrev_b16 v0, 8, v0
	v_bitop3_b16 v160, v159, v0, 0xff bitop3:0xec
	ds_load_2addr_b32 v[0:1], v4 offset0:6 offset1:7
	v_perm_b32 v152, v160, v159, 0x5000c0c
	s_wait_dscnt 0x1
	v_dual_ashrrev_i32 v2, s20, v2 :: v_dual_ashrrev_i32 v3, s20, v3
	s_delay_alu instid0(VALU_DEP_1) | instskip(SKIP_2) | instid1(VALU_DEP_2)
	v_dual_lshlrev_b32 v2, 2, v2 :: v_dual_lshlrev_b32 v3, 2, v3
	s_wait_dscnt 0x0
	v_ashrrev_i32_e32 v0, s22, v0
	v_and_b32_e32 v2, 0x4040404, v2
	s_delay_alu instid0(VALU_DEP_3) | instskip(NEXT) | instid1(VALU_DEP_3)
	v_and_b32_e32 v3, 0x4040404, v3
	v_and_b32_e32 v5, 0x3030303, v0
	v_bfe_u32 v0, v0, 24, 2
	s_delay_alu instid0(VALU_DEP_4) | instskip(SKIP_1) | instid1(VALU_DEP_4)
	v_dual_lshrrev_b32 v92, 16, v2 :: v_dual_lshrrev_b32 v93, 24, v2
	v_lshrrev_b16 v94, 8, v2
	v_lshrrev_b16 v7, 8, v5
	v_lshrrev_b32_e32 v6, 16, v5
	v_sub_nc_u16 v161, v5, v2
	v_sub_nc_u16 v0, v0, v93
	v_add3_u32 v93, s23, v97, v98
	v_sub_nc_u16 v2, v7, v94
	v_lshrrev_b32_e32 v7, 24, v3
	v_sub_nc_u16 v170, v6, v92
	v_lshlrev_b16 v134, 8, v0
	v_ashrrev_i32_e32 v0, s22, v1
	v_lshlrev_b16 v2, 8, v2
	v_lshrrev_b32_e32 v92, 16, v3
	v_lshrrev_b16 v6, 8, v3
	v_bfe_i32 v170, v170, 0, 8
	v_and_b32_e32 v1, 0x3030303, v0
	v_bfe_u32 v0, v0, 24, 2
	v_bitop3_b16 v162, v161, v2, 0xff bitop3:0xec
	v_bfe_i32 v131, v134, 8, 8
	s_delay_alu instid0(VALU_DEP_4) | instskip(NEXT) | instid1(VALU_DEP_4)
	v_lshrrev_b32_e32 v5, 16, v1
	v_sub_nc_u16 v0, v0, v7
	v_lshrrev_b16 v2, 8, v1
	v_sub_nc_u16 v137, v1, v3
	s_delay_alu instid0(VALU_DEP_4) | instskip(NEXT) | instid1(VALU_DEP_4)
	v_sub_nc_u16 v135, v5, v92
	v_lshlrev_b16 v0, 8, v0
	s_delay_alu instid0(VALU_DEP_1) | instskip(SKIP_3) | instid1(VALU_DEP_1)
	v_bitop3_b16 v136, v135, v0, 0xff bitop3:0xec
	v_sub_nc_u16 v0, v2, v6
	ds_load_2addr_b32 v[2:3], v93 offset1:1
	v_lshlrev_b16 v0, 8, v0
	v_bitop3_b16 v138, v137, v0, 0xff bitop3:0xec
	v_add3_u32 v0, s25, v127, v96
	ds_load_b32 v92, v0
	v_add_nc_u32_e32 v0, 0x1080, v4
	s_wait_dscnt 0x1
	v_ashrrev_i32_e32 v2, s20, v2
	ds_load_2addr_b32 v[0:1], v0 offset1:1
	v_dual_ashrrev_i32 v3, s20, v3 :: v_dual_lshlrev_b32 v2, 2, v2
	s_delay_alu instid0(VALU_DEP_1) | instskip(NEXT) | instid1(VALU_DEP_2)
	v_lshlrev_b32_e32 v3, 2, v3
	v_and_b32_e32 v2, 0x4040404, v2
	s_delay_alu instid0(VALU_DEP_2) | instskip(NEXT) | instid1(VALU_DEP_2)
	v_and_b32_e32 v3, 0x4040404, v3
	v_dual_lshrrev_b32 v95, 24, v2 :: v_dual_lshrrev_b32 v128, 16, v2
	v_lshrrev_b16 v94, 8, v2
	s_wait_dscnt 0x0
	v_ashrrev_i32_e32 v0, s22, v0
	s_delay_alu instid0(VALU_DEP_1) | instskip(SKIP_1) | instid1(VALU_DEP_2)
	v_and_b32_e32 v5, 0x3030303, v0
	v_bfe_u32 v0, v0, 24, 2
	v_lshrrev_b32_e32 v7, 16, v5
	s_delay_alu instid0(VALU_DEP_2) | instskip(SKIP_2) | instid1(VALU_DEP_4)
	v_sub_nc_u16 v0, v0, v95
	v_lshrrev_b16 v6, 8, v5
	v_sub_nc_u16 v195, v5, v2
	v_sub_nc_u16 v187, v7, v128
	s_delay_alu instid0(VALU_DEP_4) | instskip(SKIP_1) | instid1(VALU_DEP_4)
	v_lshlrev_b16 v0, 8, v0
	v_lshrrev_b32_e32 v7, 24, v3
	v_bfe_i32 v195, v195, 0, 8
	s_delay_alu instid0(VALU_DEP_3) | instskip(SKIP_3) | instid1(VALU_DEP_4)
	v_bitop3_b16 v188, v187, v0, 0xff bitop3:0xec
	v_sub_nc_u16 v0, v6, v94
	v_lshrrev_b32_e32 v94, 16, v3
	v_lshrrev_b16 v6, 8, v3
	v_perm_b32 v187, v188, v187, 0xc0c0500
	s_delay_alu instid0(VALU_DEP_4) | instskip(SKIP_1) | instid1(VALU_DEP_2)
	v_lshlrev_b16 v192, 8, v0
	v_ashrrev_i32_e32 v0, s22, v1
	v_bfe_i32 v192, v192, 8, 8
	s_delay_alu instid0(VALU_DEP_2) | instskip(SKIP_1) | instid1(VALU_DEP_2)
	v_and_b32_e32 v1, 0x3030303, v0
	v_bfe_u32 v0, v0, 24, 2
	v_lshrrev_b32_e32 v5, 16, v1
	s_delay_alu instid0(VALU_DEP_2) | instskip(SKIP_2) | instid1(VALU_DEP_4)
	v_sub_nc_u16 v0, v0, v7
	v_lshrrev_b16 v2, 8, v1
	v_sub_nc_u16 v197, v1, v3
	v_sub_nc_u16 v191, v5, v94
	s_delay_alu instid0(VALU_DEP_4) | instskip(NEXT) | instid1(VALU_DEP_3)
	v_lshlrev_b16 v0, 8, v0
	v_bfe_i32 v197, v197, 0, 8
	s_delay_alu instid0(VALU_DEP_2) | instskip(SKIP_4) | instid1(VALU_DEP_2)
	v_bitop3_b16 v193, v191, v0, 0xff bitop3:0xec
	v_sub_nc_u16 v0, v2, v6
	ds_load_2addr_b32 v[2:3], v93 offset0:2 offset1:3
	v_lshlrev_b16 v194, 8, v0
	v_add_nc_u32_e32 v0, 0x1088, v4
	v_perm_b32 v164, v194, v194, 0xc0c0c01
	ds_load_2addr_b32 v[0:1], v0 offset1:1
	s_wait_dscnt 0x1
	v_dual_ashrrev_i32 v2, s20, v2 :: v_dual_ashrrev_i32 v3, s20, v3
	s_delay_alu instid0(VALU_DEP_1) | instskip(SKIP_2) | instid1(VALU_DEP_2)
	v_dual_lshlrev_b32 v2, 2, v2 :: v_dual_lshlrev_b32 v3, 2, v3
	s_wait_dscnt 0x0
	v_ashrrev_i32_e32 v0, s22, v0
	v_and_b32_e32 v2, 0x4040404, v2
	s_delay_alu instid0(VALU_DEP_3) | instskip(NEXT) | instid1(VALU_DEP_3)
	v_and_b32_e32 v3, 0x4040404, v3
	v_and_b32_e32 v5, 0x3030303, v0
	v_bfe_u32 v0, v0, 24, 2
	s_delay_alu instid0(VALU_DEP_4) | instskip(SKIP_1) | instid1(VALU_DEP_4)
	v_dual_lshrrev_b32 v94, 16, v2 :: v_dual_lshrrev_b32 v128, 24, v2
	v_lshrrev_b16 v95, 8, v2
	v_lshrrev_b32_e32 v6, 16, v5
	v_lshrrev_b16 v7, 8, v5
	v_sub_nc_u16 v199, v5, v2
	v_sub_nc_u16 v0, v0, v128
	s_delay_alu instid0(VALU_DEP_4) | instskip(SKIP_2) | instid1(VALU_DEP_4)
	v_sub_nc_u16 v200, v6, v94
	v_lshrrev_b32_e32 v94, 16, v3
	v_lshrrev_b16 v6, 8, v3
	v_lshlrev_b16 v140, 8, v0
	v_sub_nc_u16 v0, v7, v95
	v_lshrrev_b32_e32 v7, 24, v3
	v_bfe_i32 v200, v200, 0, 8
	v_bfe_i32 v199, v199, 0, 8
	;; [unrolled: 1-line block ×3, first 2 shown]
	v_lshlrev_b16 v198, 8, v0
	v_ashrrev_i32_e32 v0, s22, v1
	v_perm_b32 v174, v200, v174, 0x5040100
	s_delay_alu instid0(VALU_DEP_3) | instskip(NEXT) | instid1(VALU_DEP_3)
	v_bfe_i32 v198, v198, 8, 8
	v_and_b32_e32 v1, 0x3030303, v0
	v_bfe_u32 v0, v0, 24, 2
	s_delay_alu instid0(VALU_DEP_2) | instskip(NEXT) | instid1(VALU_DEP_2)
	v_lshrrev_b32_e32 v5, 16, v1
	v_sub_nc_u16 v0, v0, v7
	v_lshrrev_b16 v2, 8, v1
	v_sub_nc_u16 v144, v1, v3
	s_delay_alu instid0(VALU_DEP_4) | instskip(NEXT) | instid1(VALU_DEP_4)
	v_sub_nc_u16 v141, v5, v94
	v_lshlrev_b16 v0, 8, v0
	s_delay_alu instid0(VALU_DEP_3) | instskip(NEXT) | instid1(VALU_DEP_2)
	v_bfe_i32 v144, v144, 0, 8
	v_bitop3_b16 v142, v141, v0, 0xff bitop3:0xec
	v_sub_nc_u16 v0, v2, v6
	ds_load_2addr_b32 v[2:3], v93 offset0:4 offset1:5
	v_lshlrev_b16 v143, 8, v0
	v_add_nc_u32_e32 v0, 0x1090, v4
	ds_load_2addr_b32 v[0:1], v0 offset1:1
	s_wait_dscnt 0x1
	v_dual_ashrrev_i32 v2, s20, v2 :: v_dual_ashrrev_i32 v3, s20, v3
	s_delay_alu instid0(VALU_DEP_1) | instskip(SKIP_2) | instid1(VALU_DEP_2)
	v_dual_lshlrev_b32 v2, 2, v2 :: v_dual_lshlrev_b32 v3, 2, v3
	s_wait_dscnt 0x0
	v_ashrrev_i32_e32 v0, s22, v0
	v_and_b32_e32 v2, 0x4040404, v2
	s_delay_alu instid0(VALU_DEP_3) | instskip(NEXT) | instid1(VALU_DEP_3)
	v_and_b32_e32 v3, 0x4040404, v3
	v_and_b32_e32 v5, 0x3030303, v0
	v_bfe_u32 v0, v0, 24, 2
	s_delay_alu instid0(VALU_DEP_4) | instskip(SKIP_1) | instid1(VALU_DEP_4)
	v_dual_lshrrev_b32 v95, 24, v2 :: v_dual_lshrrev_b32 v128, 16, v2
	v_lshrrev_b16 v94, 8, v2
	v_lshrrev_b32_e32 v7, 16, v5
	v_lshrrev_b16 v6, 8, v5
	s_delay_alu instid0(VALU_DEP_4) | instskip(SKIP_1) | instid1(VALU_DEP_4)
	v_sub_nc_u16 v0, v0, v95
	v_sub_nc_u16 v185, v5, v2
	;; [unrolled: 1-line block ×3, first 2 shown]
	v_lshrrev_b32_e32 v7, 24, v3
	s_delay_alu instid0(VALU_DEP_4) | instskip(NEXT) | instid1(VALU_DEP_4)
	v_lshlrev_b16 v0, 8, v0
	v_bfe_i32 v185, v185, 0, 8
	s_delay_alu instid0(VALU_DEP_2) | instskip(SKIP_3) | instid1(VALU_DEP_4)
	v_bitop3_b16 v180, v179, v0, 0xff bitop3:0xec
	v_sub_nc_u16 v0, v6, v94
	v_lshrrev_b32_e32 v94, 16, v3
	v_lshrrev_b16 v6, 8, v3
	v_perm_b32 v179, v180, v179, 0xc0c0500
	s_delay_alu instid0(VALU_DEP_4) | instskip(SKIP_1) | instid1(VALU_DEP_2)
	v_lshlrev_b16 v182, 8, v0
	v_ashrrev_i32_e32 v0, s22, v1
	v_bfe_i32 v182, v182, 8, 8
	s_delay_alu instid0(VALU_DEP_2) | instskip(SKIP_1) | instid1(VALU_DEP_2)
	v_and_b32_e32 v1, 0x3030303, v0
	v_bfe_u32 v0, v0, 24, 2
	v_lshrrev_b32_e32 v5, 16, v1
	s_delay_alu instid0(VALU_DEP_2) | instskip(SKIP_2) | instid1(VALU_DEP_4)
	v_sub_nc_u16 v0, v0, v7
	v_lshrrev_b16 v2, 8, v1
	v_sub_nc_u16 v186, v1, v3
	v_sub_nc_u16 v181, v5, v94
	s_delay_alu instid0(VALU_DEP_4) | instskip(NEXT) | instid1(VALU_DEP_3)
	v_lshlrev_b16 v0, 8, v0
	v_bfe_i32 v186, v186, 0, 8
	s_delay_alu instid0(VALU_DEP_2)
	v_bitop3_b16 v183, v181, v0, 0xff bitop3:0xec
	v_sub_nc_u16 v0, v2, v6
	ds_load_2addr_b32 v[2:3], v93 offset0:6 offset1:7
	v_lshlrev_b16 v184, 8, v0
	v_add_nc_u32_e32 v0, 0x1098, v4
	ds_load_2addr_b32 v[0:1], v0 offset1:1
	s_wait_dscnt 0x1
	v_dual_ashrrev_i32 v2, s20, v2 :: v_dual_ashrrev_i32 v3, s20, v3
	s_delay_alu instid0(VALU_DEP_1) | instskip(SKIP_2) | instid1(VALU_DEP_2)
	v_dual_lshlrev_b32 v2, 2, v2 :: v_dual_lshlrev_b32 v3, 2, v3
	s_wait_dscnt 0x0
	v_ashrrev_i32_e32 v0, s22, v0
	v_and_b32_e32 v2, 0x4040404, v2
	s_delay_alu instid0(VALU_DEP_3) | instskip(NEXT) | instid1(VALU_DEP_3)
	v_and_b32_e32 v3, 0x4040404, v3
	v_and_b32_e32 v5, 0x3030303, v0
	v_bfe_u32 v0, v0, 24, 2
	s_delay_alu instid0(VALU_DEP_4) | instskip(SKIP_1) | instid1(VALU_DEP_4)
	v_dual_lshrrev_b32 v93, 16, v2 :: v_dual_lshrrev_b32 v95, 24, v2
	v_lshrrev_b16 v94, 8, v2
	v_lshrrev_b32_e32 v6, 16, v5
	v_lshrrev_b16 v7, 8, v5
	v_sub_nc_u16 v190, v5, v2
	v_sub_nc_u16 v0, v0, v95
	s_delay_alu instid0(VALU_DEP_4) | instskip(SKIP_2) | instid1(VALU_DEP_4)
	v_sub_nc_u16 v196, v6, v93
	v_lshrrev_b32_e32 v93, 16, v3
	v_lshrrev_b16 v6, 8, v3
	v_lshlrev_b16 v145, 8, v0
	v_sub_nc_u16 v0, v7, v94
	v_lshrrev_b32_e32 v7, 24, v3
	v_add3_u32 v94, s23, v101, v102
	v_bfe_i32 v196, v196, 0, 8
	v_bfe_i32 v190, v190, 0, 8
	v_lshlrev_b16 v189, 8, v0
	v_ashrrev_i32_e32 v0, s22, v1
	s_delay_alu instid0(VALU_DEP_4) | instskip(NEXT) | instid1(VALU_DEP_3)
	v_perm_b32 v170, v196, v170, 0x5040100
	v_bfe_i32 v189, v189, 8, 8
	s_delay_alu instid0(VALU_DEP_3) | instskip(SKIP_1) | instid1(VALU_DEP_2)
	v_and_b32_e32 v1, 0x3030303, v0
	v_bfe_u32 v0, v0, 24, 2
	v_lshrrev_b32_e32 v5, 16, v1
	s_delay_alu instid0(VALU_DEP_2) | instskip(SKIP_2) | instid1(VALU_DEP_4)
	v_sub_nc_u16 v0, v0, v7
	v_lshrrev_b16 v2, 8, v1
	v_sub_nc_u16 v149, v1, v3
	v_sub_nc_u16 v146, v5, v93
	s_delay_alu instid0(VALU_DEP_4) | instskip(NEXT) | instid1(VALU_DEP_3)
	v_lshlrev_b16 v0, 8, v0
	v_bfe_i32 v149, v149, 0, 8
	s_delay_alu instid0(VALU_DEP_2)
	v_bitop3_b16 v147, v146, v0, 0xff bitop3:0xec
	v_sub_nc_u16 v0, v2, v6
	ds_load_2addr_b32 v[2:3], v94 offset1:1
	v_lshlrev_b16 v148, 8, v0
	v_add3_u32 v0, s25, v99, v100
	ds_load_b32 v93, v0
	v_add_nc_u32_e32 v0, 0x2100, v4
	ds_load_2addr_b32 v[0:1], v0 offset1:1
	s_wait_dscnt 0x2
	v_dual_ashrrev_i32 v2, s20, v2 :: v_dual_ashrrev_i32 v3, s20, v3
	s_delay_alu instid0(VALU_DEP_1) | instskip(NEXT) | instid1(VALU_DEP_1)
	v_dual_lshlrev_b32 v2, 2, v2 :: v_dual_lshlrev_b32 v3, 2, v3
	v_and_b32_e32 v2, 0x4040404, v2
	s_delay_alu instid0(VALU_DEP_2) | instskip(NEXT) | instid1(VALU_DEP_2)
	v_and_b32_e32 v3, 0x4040404, v3
	v_dual_lshrrev_b32 v128, 24, v2 :: v_dual_lshrrev_b32 v155, 16, v2
	s_wait_dscnt 0x0
	v_ashrrev_i32_e32 v0, s22, v0
	v_lshrrev_b16 v95, 8, v2
	s_delay_alu instid0(VALU_DEP_2) | instskip(SKIP_1) | instid1(VALU_DEP_2)
	v_and_b32_e32 v5, 0x3030303, v0
	v_bfe_u32 v0, v0, 24, 2
	v_dual_add_nc_u32 v150, s24, v47 :: v_dual_lshrrev_b32 v7, 16, v5
	s_delay_alu instid0(VALU_DEP_2)
	v_sub_nc_u16 v0, v0, v128
	v_lshrrev_b16 v6, 8, v5
	v_lshrrev_b32_e32 v128, 24, v3
	v_sub_nc_u16 v5, v5, v2
	v_sub_nc_u16 v201, v7, v155
	v_lshlrev_b16 v0, 8, v0
	v_lshrrev_b32_e32 v155, 16, v3
	s_delay_alu instid0(VALU_DEP_4) | instskip(NEXT) | instid1(VALU_DEP_3)
	v_bfe_i32 v224, v5, 0, 8
	v_bitop3_b16 v202, v201, v0, 0xff bitop3:0xec
	v_sub_nc_u16 v0, v6, v95
	v_lshrrev_b16 v95, 8, v3
	s_delay_alu instid0(VALU_DEP_3) | instskip(NEXT) | instid1(VALU_DEP_3)
	v_perm_b32 v201, v202, v201, 0xc0c0500
	v_lshlrev_b16 v6, 8, v0
	v_ashrrev_i32_e32 v0, s22, v1
	s_delay_alu instid0(VALU_DEP_2) | instskip(NEXT) | instid1(VALU_DEP_2)
	v_bfe_i32 v225, v6, 8, 8
	v_and_b32_e32 v1, 0x3030303, v0
	v_bfe_u32 v0, v0, 24, 2
	s_delay_alu instid0(VALU_DEP_2) | instskip(NEXT) | instid1(VALU_DEP_2)
	v_lshrrev_b32_e32 v7, 16, v1
	v_sub_nc_u16 v0, v0, v128
	v_lshrrev_b16 v2, 8, v1
	s_delay_alu instid0(VALU_DEP_3) | instskip(NEXT) | instid1(VALU_DEP_3)
	v_sub_nc_u16 v203, v7, v155
	v_lshlrev_b16 v0, 8, v0
	v_sub_nc_u16 v7, v1, v3
	s_delay_alu instid0(VALU_DEP_2)
	v_bitop3_b16 v204, v203, v0, 0xff bitop3:0xec
	v_sub_nc_u16 v0, v2, v95
	ds_load_2addr_b32 v[2:3], v94 offset0:2 offset1:3
	v_bfe_i32 v226, v7, 0, 8
	v_perm_b32 v203, v204, v203, 0xc05000c
	v_lshlrev_b16 v205, 8, v0
	v_add_nc_u32_e32 v0, 0x2108, v4
	s_delay_alu instid0(VALU_DEP_2) | instskip(SKIP_3) | instid1(VALU_DEP_1)
	v_perm_b32 v204, v205, v205, 0xc0c0c01
	ds_load_2addr_b32 v[0:1], v0 offset1:1
	s_wait_dscnt 0x1
	v_dual_ashrrev_i32 v2, s20, v2 :: v_dual_bitop2_b32 v203, v203, v204 bitop3:0x54
	v_dual_ashrrev_i32 v3, s20, v3 :: v_dual_lshlrev_b32 v2, 2, v2
	s_wait_dscnt 0x0
	s_delay_alu instid0(VALU_DEP_1) | instskip(NEXT) | instid1(VALU_DEP_2)
	v_dual_lshlrev_b32 v3, 2, v3 :: v_dual_ashrrev_i32 v0, s22, v0
	v_and_b32_e32 v2, 0x4040404, v2
	s_delay_alu instid0(VALU_DEP_2) | instskip(NEXT) | instid1(VALU_DEP_3)
	v_and_b32_e32 v3, 0x4040404, v3
	v_and_b32_e32 v95, 0x3030303, v0
	v_bfe_u32 v0, v0, 24, 2
	s_delay_alu instid0(VALU_DEP_4) | instskip(SKIP_1) | instid1(VALU_DEP_4)
	v_dual_lshrrev_b32 v157, 24, v2 :: v_dual_lshrrev_b32 v173, 16, v2
	v_lshrrev_b16 v156, 8, v2
	v_lshrrev_b32_e32 v155, 16, v95
	v_lshrrev_b16 v128, 8, v95
	s_delay_alu instid0(VALU_DEP_4) | instskip(SKIP_1) | instid1(VALU_DEP_4)
	v_sub_nc_u16 v0, v0, v157
	v_sub_nc_u16 v209, v95, v2
	;; [unrolled: 1-line block ×3, first 2 shown]
	v_lshrrev_b32_e32 v155, 24, v3
	s_delay_alu instid0(VALU_DEP_4) | instskip(NEXT) | instid1(VALU_DEP_4)
	v_lshlrev_b16 v0, 8, v0
	v_bfe_i32 v200, v209, 0, 8
	v_bfe_i32 v209, v167, 8, 8
	;; [unrolled: 1-line block ×3, first 2 shown]
	s_delay_alu instid0(VALU_DEP_4) | instskip(SKIP_3) | instid1(VALU_DEP_3)
	v_bitop3_b16 v207, v206, v0, 0xff bitop3:0xec
	v_sub_nc_u16 v0, v128, v156
	v_lshrrev_b32_e32 v156, 16, v3
	v_lshrrev_b16 v128, 8, v3
	v_lshlrev_b16 v208, 8, v0
	v_ashrrev_i32_e32 v0, s22, v1
	s_delay_alu instid0(VALU_DEP_1) | instskip(NEXT) | instid1(VALU_DEP_1)
	v_and_b32_e32 v1, 0x3030303, v0
	v_lshrrev_b32_e32 v95, 16, v1
	v_bfe_u32 v0, v0, 24, 2
	v_lshrrev_b16 v2, 8, v1
	v_sub_nc_u16 v213, v1, v3
	s_delay_alu instid0(VALU_DEP_4) | instskip(NEXT) | instid1(VALU_DEP_4)
	v_sub_nc_u16 v210, v95, v156
	v_sub_nc_u16 v0, v0, v155
	s_delay_alu instid0(VALU_DEP_1) | instskip(NEXT) | instid1(VALU_DEP_1)
	v_lshlrev_b16 v0, 8, v0
	v_bitop3_b16 v211, v210, v0, 0xff bitop3:0xec
	v_sub_nc_u16 v0, v2, v128
	ds_load_2addr_b32 v[2:3], v94 offset0:4 offset1:5
	v_lshlrev_b16 v212, 8, v0
	v_add_nc_u32_e32 v0, 0x2110, v4
	s_delay_alu instid0(VALU_DEP_2) | instskip(SKIP_3) | instid1(VALU_DEP_1)
	v_perm_b32 v188, v212, v212, 0xc0c0c01
	ds_load_2addr_b32 v[0:1], v0 offset1:1
	s_wait_dscnt 0x1
	v_dual_ashrrev_i32 v2, s20, v2 :: v_dual_ashrrev_i32 v3, s20, v3
	v_dual_lshlrev_b32 v2, 2, v2 :: v_dual_lshlrev_b32 v3, 2, v3
	s_wait_dscnt 0x0
	v_ashrrev_i32_e32 v0, s22, v0
	s_delay_alu instid0(VALU_DEP_2) | instskip(NEXT) | instid1(VALU_DEP_3)
	v_and_b32_e32 v2, 0x4040404, v2
	v_and_b32_e32 v3, 0x4040404, v3
	s_delay_alu instid0(VALU_DEP_3) | instskip(SKIP_1) | instid1(VALU_DEP_4)
	v_and_b32_e32 v95, 0x3030303, v0
	v_bfe_u32 v0, v0, 24, 2
	v_dual_lshrrev_b32 v157, 24, v2 :: v_dual_lshrrev_b32 v173, 16, v2
	v_lshrrev_b16 v156, 8, v2
	s_delay_alu instid0(VALU_DEP_4) | instskip(SKIP_1) | instid1(VALU_DEP_4)
	v_lshrrev_b32_e32 v155, 16, v95
	v_lshrrev_b16 v128, 8, v95
	v_sub_nc_u16 v0, v0, v157
	v_lshrrev_b32_e32 v157, 24, v3
	v_sub_nc_u16 v95, v95, v2
	v_sub_nc_u16 v214, v155, v173
	v_lshrrev_b32_e32 v173, 16, v3
	v_lshlrev_b16 v0, 8, v0
	s_delay_alu instid0(VALU_DEP_4) | instskip(SKIP_1) | instid1(VALU_DEP_3)
	v_bfe_i32 v228, v95, 0, 8
	v_add3_u32 v95, s23, v105, v106
	v_bitop3_b16 v215, v214, v0, 0xff bitop3:0xec
	v_sub_nc_u16 v0, v128, v156
	v_lshrrev_b16 v156, 8, v3
	s_delay_alu instid0(VALU_DEP_2) | instskip(SKIP_1) | instid1(VALU_DEP_2)
	v_lshlrev_b16 v128, 8, v0
	v_ashrrev_i32_e32 v0, s22, v1
	v_bfe_i32 v229, v128, 8, 8
	s_delay_alu instid0(VALU_DEP_2) | instskip(NEXT) | instid1(VALU_DEP_1)
	v_and_b32_e32 v1, 0x3030303, v0
	v_lshrrev_b32_e32 v155, 16, v1
	v_bfe_u32 v0, v0, 24, 2
	v_lshrrev_b16 v2, 8, v1
	s_delay_alu instid0(VALU_DEP_3) | instskip(NEXT) | instid1(VALU_DEP_3)
	v_sub_nc_u16 v216, v155, v173
	v_sub_nc_u16 v0, v0, v157
	;; [unrolled: 1-line block ×3, first 2 shown]
	s_delay_alu instid0(VALU_DEP_2) | instskip(NEXT) | instid1(VALU_DEP_2)
	v_lshlrev_b16 v0, 8, v0
	v_bfe_i32 v230, v173, 0, 8
	s_delay_alu instid0(VALU_DEP_2)
	v_bitop3_b16 v217, v216, v0, 0xff bitop3:0xec
	v_sub_nc_u16 v0, v2, v156
	ds_load_2addr_b32 v[2:3], v94 offset0:6 offset1:7
	v_lshlrev_b16 v218, 8, v0
	v_add_nc_u32_e32 v0, 0x2118, v4
	ds_load_2addr_b32 v[0:1], v0 offset1:1
	s_wait_dscnt 0x1
	v_dual_ashrrev_i32 v2, s20, v2 :: v_dual_ashrrev_i32 v3, s20, v3
	s_delay_alu instid0(VALU_DEP_1) | instskip(SKIP_2) | instid1(VALU_DEP_2)
	v_dual_lshlrev_b32 v2, 2, v2 :: v_dual_lshlrev_b32 v3, 2, v3
	s_wait_dscnt 0x0
	v_ashrrev_i32_e32 v0, s22, v0
	v_and_b32_e32 v2, 0x4040404, v2
	s_delay_alu instid0(VALU_DEP_3) | instskip(NEXT) | instid1(VALU_DEP_3)
	v_and_b32_e32 v3, 0x4040404, v3
	v_and_b32_e32 v155, 0x3030303, v0
	v_bfe_u32 v0, v0, 24, 2
	s_delay_alu instid0(VALU_DEP_4) | instskip(SKIP_1) | instid1(VALU_DEP_4)
	v_dual_lshrrev_b32 v175, 24, v2 :: v_dual_lshrrev_b32 v176, 16, v2
	v_lshrrev_b16 v94, 8, v2
	v_lshrrev_b32_e32 v157, 16, v155
	v_lshrrev_b16 v156, 8, v155
	s_delay_alu instid0(VALU_DEP_4)
	v_sub_nc_u16 v0, v0, v175
	v_sub_nc_u16 v222, v155, v2
	v_lshrrev_b32_e32 v155, 16, v3
	v_sub_nc_u16 v219, v157, v176
	v_lshrrev_b16 v157, 8, v3
	v_lshlrev_b16 v0, 8, v0
	v_bfe_i32 v196, v222, 0, 8
	s_delay_alu instid0(VALU_DEP_2) | instskip(SKIP_2) | instid1(VALU_DEP_2)
	v_bitop3_b16 v220, v219, v0, 0xff bitop3:0xec
	v_sub_nc_u16 v0, v156, v94
	v_lshrrev_b32_e32 v156, 24, v3
	v_lshlrev_b16 v221, 8, v0
	v_ashrrev_i32_e32 v0, s22, v1
	s_delay_alu instid0(VALU_DEP_1) | instskip(NEXT) | instid1(VALU_DEP_1)
	v_and_b32_e32 v1, 0x3030303, v0
	v_lshrrev_b32_e32 v94, 16, v1
	v_bfe_u32 v0, v0, 24, 2
	v_lshrrev_b16 v2, 8, v1
	v_sub_nc_u16 v223, v1, v3
	v_add3_u32 v1, s25, v103, v104
	v_sub_nc_u16 v155, v94, v155
	v_sub_nc_u16 v0, v0, v156
	ds_load_b32 v94, v1
	v_lshlrev_b16 v0, 8, v0
	s_delay_alu instid0(VALU_DEP_1)
	v_bitop3_b16 v156, v155, v0, 0xff bitop3:0xec
	v_sub_nc_u16 v0, v2, v157
	ds_load_2addr_b32 v[2:3], v95 offset1:1
	v_lshlrev_b16 v157, 8, v0
	v_add_nc_u32_e32 v0, s24, v45
	ds_load_u16 v0, v0 offset:27378
	s_wait_dscnt 0x1
	v_dual_ashrrev_i32 v2, s20, v2 :: v_dual_ashrrev_i32 v3, s20, v3
	s_delay_alu instid0(VALU_DEP_1)
	v_lshlrev_b32_e32 v3, 2, v3
	s_wait_dscnt 0x0
	v_lshrrev_b16 v1, 8, v0
	v_bfe_i32 v227, v0, 0, 8
	v_add_nc_u32_e32 v0, 0x3180, v4
	v_and_b32_e32 v3, 0x4040404, v3
	s_delay_alu instid0(VALU_DEP_4) | instskip(SKIP_2) | instid1(VALU_DEP_1)
	v_bfe_i32 v128, v1, 0, 8
	ds_load_2addr_b32 v[0:1], v0 offset1:1
	v_lshlrev_b32_e32 v2, 2, v2
	v_and_b32_e32 v2, 0x4040404, v2
	s_delay_alu instid0(VALU_DEP_1) | instskip(SKIP_3) | instid1(VALU_DEP_1)
	v_dual_lshrrev_b32 v173, 16, v2 :: v_dual_lshrrev_b32 v175, 24, v2
	v_lshrrev_b16 v176, 8, v2
	s_wait_dscnt 0x0
	v_ashrrev_i32_e32 v0, s22, v0
	v_and_b32_e32 v5, 0x3030303, v0
	v_bfe_u32 v0, v0, 24, 2
	s_delay_alu instid0(VALU_DEP_2) | instskip(NEXT) | instid1(VALU_DEP_2)
	v_lshrrev_b32_e32 v6, 16, v5
	v_sub_nc_u16 v232, v0, v175
	v_ashrrev_i32_e32 v0, s22, v1
	v_sub_nc_u16 v234, v5, v2
	v_lshrrev_b16 v7, 8, v5
	v_sub_nc_u16 v233, v6, v173
	v_lshrrev_b32_e32 v6, 24, v3
	v_bfe_u32 v1, v0, 24, 2
	v_and_b32_e32 v0, 0x3030303, v0
	v_sub_nc_u16 v231, v7, v176
	v_lshrrev_b32_e32 v7, 16, v3
	v_lshrrev_b16 v173, 8, v3
	v_sub_nc_u16 v238, v1, v6
	v_lshrrev_b32_e32 v2, 16, v0
	v_lshrrev_b16 v5, 8, v0
	v_sub_nc_u16 v235, v0, v3
	v_add_nc_u32_e32 v0, 0x3188, v4
	v_bfe_i32 v232, v232, 0, 16
	v_sub_nc_u16 v237, v2, v7
	ds_load_2addr_b32 v[2:3], v95 offset0:2 offset1:3
	v_sub_nc_u16 v236, v5, v173
	ds_load_2addr_b32 v[0:1], v0 offset1:1
	v_bfe_i32 v231, v231, 0, 16
	v_bfe_i32 v205, v237, 0, 8
	;; [unrolled: 1-line block ×3, first 2 shown]
	s_wait_dscnt 0x1
	v_dual_ashrrev_i32 v2, s20, v2 :: v_dual_ashrrev_i32 v3, s20, v3
	s_wait_dscnt 0x0
	s_delay_alu instid0(VALU_DEP_1) | instskip(NEXT) | instid1(VALU_DEP_2)
	v_dual_ashrrev_i32 v0, s22, v0 :: v_dual_lshlrev_b32 v2, 2, v2
	v_lshlrev_b32_e32 v3, 2, v3
	s_delay_alu instid0(VALU_DEP_2) | instskip(SKIP_1) | instid1(VALU_DEP_4)
	v_bfe_u32 v5, v0, 24, 2
	v_and_b32_e32 v0, 0x3030303, v0
	v_and_b32_e32 v2, 0x4040404, v2
	s_delay_alu instid0(VALU_DEP_4) | instskip(NEXT) | instid1(VALU_DEP_3)
	v_and_b32_e32 v3, 0x4040404, v3
	v_lshrrev_b32_e32 v6, 16, v0
	v_lshrrev_b16 v7, 8, v0
	s_delay_alu instid0(VALU_DEP_4) | instskip(SKIP_3) | instid1(VALU_DEP_3)
	v_sub_nc_u16 v239, v0, v2
	v_dual_ashrrev_i32 v0, s22, v1 :: v_dual_lshrrev_b32 v173, 24, v2
	v_lshrrev_b32_e32 v175, 16, v2
	v_lshrrev_b16 v176, 8, v2
	v_bfe_u32 v1, v0, 24, 2
	v_and_b32_e32 v0, 0x3030303, v0
	s_delay_alu instid0(VALU_DEP_4)
	v_sub_nc_u16 v241, v6, v175
	v_sub_nc_u16 v242, v5, v173
	v_lshrrev_b32_e32 v6, 24, v3
	v_sub_nc_u16 v240, v7, v176
	v_lshrrev_b32_e32 v2, 16, v0
	v_lshrrev_b16 v5, 8, v0
	v_sub_nc_u16 v243, v0, v3
	v_add_nc_u32_e32 v0, 0x3190, v4
	v_lshrrev_b32_e32 v7, 16, v3
	v_sub_nc_u16 v246, v1, v6
	v_lshrrev_b16 v173, 8, v3
	ds_load_2addr_b32 v[0:1], v0 offset1:1
	v_sub_nc_u16 v245, v2, v7
	ds_load_2addr_b32 v[2:3], v95 offset0:4 offset1:5
	v_sub_nc_u16 v244, v5, v173
	s_wait_dscnt 0x0
	v_dual_ashrrev_i32 v0, s22, v0 :: v_dual_ashrrev_i32 v2, s20, v2
	v_ashrrev_i32_e32 v3, s20, v3
	s_delay_alu instid0(VALU_DEP_2) | instskip(SKIP_1) | instid1(VALU_DEP_3)
	v_and_b32_e32 v5, 0x3030303, v0
	v_bfe_u32 v0, v0, 24, 2
	v_dual_lshlrev_b32 v2, 2, v2 :: v_dual_lshlrev_b32 v3, 2, v3
	s_delay_alu instid0(VALU_DEP_3) | instskip(SKIP_1) | instid1(VALU_DEP_3)
	v_lshrrev_b32_e32 v6, 16, v5
	v_lshrrev_b16 v7, 8, v5
	v_and_b32_e32 v2, 0x4040404, v2
	s_delay_alu instid0(VALU_DEP_4) | instskip(NEXT) | instid1(VALU_DEP_2)
	v_and_b32_e32 v3, 0x4040404, v3
	v_dual_lshrrev_b32 v173, 16, v2 :: v_dual_lshrrev_b32 v175, 24, v2
	v_lshrrev_b16 v176, 8, v2
	v_sub_nc_u16 v250, v5, v2
	s_delay_alu instid0(VALU_DEP_3) | instskip(NEXT) | instid1(VALU_DEP_4)
	v_sub_nc_u16 v249, v6, v173
	v_sub_nc_u16 v248, v0, v175
	v_dual_ashrrev_i32 v0, s22, v1 :: v_dual_lshrrev_b32 v6, 24, v3
	v_sub_nc_u16 v247, v7, v176
	v_lshrrev_b32_e32 v7, 16, v3
	v_lshrrev_b16 v173, 8, v3
	s_delay_alu instid0(VALU_DEP_4) | instskip(SKIP_2) | instid1(VALU_DEP_3)
	v_bfe_u32 v1, v0, 24, 2
	v_and_b32_e32 v0, 0x3030303, v0
	v_bfe_i32 v194, v249, 0, 8
	v_sub_nc_u16 v254, v1, v6
	s_delay_alu instid0(VALU_DEP_3) | instskip(SKIP_3) | instid1(VALU_DEP_4)
	v_lshrrev_b32_e32 v2, 16, v0
	v_lshrrev_b16 v5, 8, v0
	v_sub_nc_u16 v251, v0, v3
	v_add_nc_u32_e32 v0, 0x3198, v4
	v_sub_nc_u16 v253, v2, v7
	ds_load_2addr_b32 v[2:3], v95 offset0:6 offset1:7
	v_sub_nc_u16 v252, v5, v173
	ds_load_2addr_b32 v[0:1], v0 offset1:1
	s_wait_dscnt 0x1
	v_dual_ashrrev_i32 v2, s20, v2 :: v_dual_ashrrev_i32 v3, s20, v3
	s_wait_dscnt 0x0
	v_ashrrev_i32_e32 v0, s22, v0
	s_add_co_i32 s20, s20, 1
	s_cmp_lt_u32 s21, 22
	v_dual_lshlrev_b32 v2, 2, v2 :: v_dual_lshlrev_b32 v3, 2, v3
	s_delay_alu instid0(VALU_DEP_2) | instskip(SKIP_1) | instid1(VALU_DEP_3)
	v_bfe_u32 v4, v0, 24, 2
	v_and_b32_e32 v0, 0x3030303, v0
	v_and_b32_e32 v2, 0x4040404, v2
	s_delay_alu instid0(VALU_DEP_4) | instskip(NEXT) | instid1(VALU_DEP_3)
	v_and_b32_e32 v3, 0x4040404, v3
	v_lshrrev_b32_e32 v5, 16, v0
	v_lshrrev_b16 v6, 8, v0
	s_delay_alu instid0(VALU_DEP_4) | instskip(SKIP_3) | instid1(VALU_DEP_3)
	v_sub_nc_u16 v255, v0, v2
	v_dual_ashrrev_i32 v0, s22, v1 :: v_dual_lshrrev_b32 v7, 24, v2
	v_lshrrev_b32_e32 v95, 16, v2
	v_lshrrev_b16 v173, 8, v2
	v_bfe_u32 v1, v0, 24, 2
	v_and_b32_e32 v0, 0x3030303, v0
	s_set_vgpr_msb 64                       ;  msbs: dst=1 src0=0 src1=0 src2=0
	v_sub_nc_u16 v1 /*v257*/, v5, v95
	v_sub_nc_u16 v0 /*v256*/, v6, v173
	;; [unrolled: 1-line block ×3, first 2 shown]
	s_set_vgpr_msb 0                        ;  msbs: dst=0 src0=0 src1=0 src2=0
	v_dual_lshrrev_b32 v5, 24, v3 :: v_dual_lshrrev_b32 v6, 16, v3
	v_lshrrev_b32_e32 v2, 16, v0
	v_lshrrev_b16 v4, 8, v0
	v_lshrrev_b16 v7, 8, v3
	v_sub_nc_u16 v175, v0, v3
	v_add3_u32 v0, s25, v107, v108
	v_sub_nc_u16 v177, v2, v6
	v_sub_nc_u16 v178, v1, v5
	;; [unrolled: 1-line block ×3, first 2 shown]
	ds_load_b32 v95, v0
	ds_load_b128 v[4:7], v89
	ds_load_b128 v[0:3], v89 offset:16
	v_dual_add_nc_u32 v173, s24, v43 :: v_dual_bitop2_b32 v165, v166, v165 bitop3:0x54
	v_perm_b32 v166, v208, v208, 0xc0c0c01
	v_add_nc_u32_e32 v89, 32, v89
	ds_load_u16 v139, v139 offset:25330
	ds_load_u16 v150, v150 offset:26354
	s_mov_b32 s24, s21
	s_wait_dscnt 0x3
	s_set_vgpr_msb 64                       ;  msbs: dst=1 src0=0 src1=0 src2=0
	v_lshrrev_b16 v3 /*v259*/, 8, v4
	v_bfe_i32 v9 /*v265*/, v4, 0, 8
	s_set_vgpr_msb 0                        ;  msbs: dst=0 src0=0 src1=0 src2=0
	v_perm_b32 v202, v4, v4, 0xc0c0302
	s_set_vgpr_msb 64                       ;  msbs: dst=1 src0=0 src1=0 src2=0
	v_bfe_i32 v10 /*v266*/, v5, 0, 8
	s_set_vgpr_msb 0                        ;  msbs: dst=0 src0=0 src1=0 src2=0
	v_perm_b32 v204, v5, v5, 0xc030201
	s_set_vgpr_msb 0x41                     ;  msbs: dst=1 src0=1 src1=0 src2=0
	v_bfe_i32 v3 /*v259*/, v3 /*v259*/, 0, 8
	s_set_vgpr_msb 1                        ;  msbs: dst=0 src0=1 src1=0 src2=0
	v_mul_i32_i24_e32 v224, v9 /*v265*/, v224
	s_set_vgpr_msb 64                       ;  msbs: dst=1 src0=0 src1=0 src2=0
	v_lshrrev_b16 v4 /*v260*/, 8, v5
	v_ashrrev_i32_e32 v7 /*v263*/, 24, v4
	v_bfe_i32 v8 /*v264*/, v4, 16, 8
	s_set_vgpr_msb 1                        ;  msbs: dst=0 src0=1 src1=0 src2=0
	v_mul_i32_i24_e32 v209, v3 /*v259*/, v209
	v_mad_i32_i24 v224, v3 /*v259*/, v225, v224
	s_set_vgpr_msb 0                        ;  msbs: dst=0 src0=0 src1=0 src2=0
	v_bfe_i32 v225, v233, 0, 8
	v_ashrrev_i32_e32 v233, 24, v5
	s_set_vgpr_msb 1                        ;  msbs: dst=0 src0=1 src1=0 src2=0
	v_mul_i32_i24_e32 v195, v9 /*v265*/, v195
	v_mad_i32_i24 v167, v9 /*v265*/, v167, v209
	s_set_vgpr_msb 0                        ;  msbs: dst=0 src0=0 src1=0 src2=0
	v_dot4_i32_iu8 v201, v202, v201, v224 neg_lo:[1,1,0]
	v_perm_b32 v4, v5, v4, 0x5040302
	v_bfe_i32 v224, v234, 0, 8
	s_set_vgpr_msb 1                        ;  msbs: dst=0 src0=1 src1=0 src2=0
	v_bfe_i32 v234, v4 /*v260*/, 0, 8
	s_set_vgpr_msb 64                       ;  msbs: dst=1 src0=0 src1=0 src2=0
	v_bfe_i32 v4 /*v260*/, v5, 16, 8
	s_set_vgpr_msb 1                        ;  msbs: dst=0 src0=1 src1=0 src2=0
	v_mad_i32_i24 v201, v10 /*v266*/, v226, v201
	v_mad_i32_i24 v192, v3 /*v259*/, v192, v195
	s_set_vgpr_msb 0                        ;  msbs: dst=0 src0=0 src1=0 src2=0
	v_perm_b32 v5, v6, v5, 0x5040302
	s_set_vgpr_msb 64                       ;  msbs: dst=1 src0=0 src1=0 src2=0
	v_lshrrev_b16 v5 /*v261*/, 8, v6
	s_set_vgpr_msb 0                        ;  msbs: dst=0 src0=0 src1=0 src2=0
	v_bfe_i32 v226, v236, 0, 16
	v_dot4_i32_iu8 v201, v204, v203, v201 neg_lo:[1,1,0]
	v_bfe_i32 v203, v238, 0, 16
	v_bfe_i32 v236, v6, 0, 8
	v_dot4_i32_iu8 v187, v202, v187, v192 neg_lo:[1,1,0]
	v_mul_i32_i24_e32 v226, v226, v234
	s_set_vgpr_msb 1                        ;  msbs: dst=0 src0=1 src1=0 src2=0
	v_bfe_i32 v234, v5 /*v261*/, 0, 8
	s_set_vgpr_msb 0                        ;  msbs: dst=0 src0=0 src1=0 src2=0
	v_mul_i32_i24_e32 v203, v203, v233
	v_ashrrev_i32_e32 v233, 24, v6
	v_bfe_i32 v237, v6, 16, 8
	s_set_vgpr_msb 1                        ;  msbs: dst=0 src0=1 src1=0 src2=0
	v_mad_i32_i24 v187, v10 /*v266*/, v197, v187
	s_set_vgpr_msb 0                        ;  msbs: dst=0 src0=0 src1=0 src2=0
	v_perm_b32 v6, v6, v6, 0xc030201
	v_bfe_i32 v172, v7, 0, 8
	s_set_vgpr_msb 64                       ;  msbs: dst=1 src0=0 src1=0 src2=0
	v_lshrrev_b16 v6 /*v262*/, 8, v7
	s_set_vgpr_msb 4                        ;  msbs: dst=0 src0=0 src1=1 src2=0
	v_mul_i32_i24_e32 v231, v231, v3 /*v259*/
	v_mul_i32_i24_e32 v235, v235, v10 /*v266*/
	;; [unrolled: 1-line block ×3, first 2 shown]
	v_bfe_i32 v171, v7, 16, 8
	s_set_vgpr_msb 1                        ;  msbs: dst=0 src0=1 src1=0 src2=0
	v_bfe_i32 v169, v6 /*v262*/, 0, 8
	s_set_vgpr_msb 0                        ;  msbs: dst=0 src0=0 src1=0 src2=0
	v_bfe_i32 v192, v244, 0, 16
	v_bfe_i32 v197, v247, 0, 16
	v_pk_mul_lo_u16 v174, v174, v237 op_sel_hi:[1,0]
	v_perm_b32 v202, v218, v218, 0xc0c0c01
	v_or_b32_e32 v151, v152, v151
	v_mul_i32_i24_e32 v169, v192, v169
	s_set_vgpr_msb 4                        ;  msbs: dst=0 src0=0 src1=1 src2=0
	v_mad_i32_i24 v192, v224, v9 /*v265*/, v235
	s_set_vgpr_msb 0                        ;  msbs: dst=0 src0=0 src1=0 src2=0
	v_perm_b32 v152, v184, v184, 0xc0c0c01
	s_wait_dscnt 0x2
	v_bfe_i32 v160, v3, 16, 8
	v_bfe_i32 v195, v248, 0, 16
	v_mul_i32_i24_e32 v144, v172, v144
	v_dot4_i32_iu8 v4, v4, v163, v167 neg_lo:[1,1,0]
	v_perm_b32 v163, v193, v191, 0xc05000c
	v_bfe_i32 v167, v239, 0, 8
	v_bfe_i32 v191, v245, 0, 8
	;; [unrolled: 1-line block ×3, first 2 shown]
	v_mul_i32_i24_e32 v129, v233, v129
	v_mul_i32_i24_e32 v140, v233, v140
	v_dot4_i32_iu8 v165, v5, v165, v4 neg_lo:[1,1,0]
	v_perm_b32 v5, v207, v206, 0xc05000c
	v_dual_ashrrev_i32 v168, 24, v7 :: v_dual_bitop2_b32 v163, v163, v164 bitop3:0x54
	v_mad_i32_i24 v4, v236, v200, v201
	v_mul_i32_i24_e32 v164, v234, v198
	v_mul_i32_i24_e32 v167, v167, v236
	;; [unrolled: 1-line block ×4, first 2 shown]
	s_set_vgpr_msb 4                        ;  msbs: dst=0 src0=0 src1=1 src2=0
	v_mad_i32_i24 v191, v225, v8 /*v264*/, v205
	v_bfe_i32 v206, v158, 8, 8
	v_bfe_i32 v158, v158, 0, 8
	;; [unrolled: 1-line block ×3, first 2 shown]
	s_set_vgpr_msb 0                        ;  msbs: dst=0 src0=0 src1=0 src2=0
	v_perm_b32 v201, v217, v216, 0xc05000c
	v_bfe_i32 v205, v251, 0, 8
	v_dual_ashrrev_i32 v198, 24, v1 :: v_dual_bitop2_b32 v5, v5, v166 bitop3:0x54
	v_dot4_i32_iu8 v163, v204, v163, v187 neg_lo:[1,1,0]
	v_bfe_i32 v187, v213, 0, 8
	v_bfe_i32 v166, v240, 0, 16
	v_add3_u32 v167, v192, v167, v193
	v_perm_b32 v192, v215, v214, 0xc0c0500
	v_perm_b32 v193, v0, v0, 0xc0c0302
	v_bfe_i32 v204, v252, 0, 16
	v_or_b32_e32 v201, v201, v202
	v_perm_b32 v202, v1, v1, 0xc030201
	v_mul_i32_i24_e32 v205, v205, v200
	v_dot4_i32_iu8 v4, v6, v5, v4 neg_lo:[1,1,0]
	v_bfe_i32 v5, v242, 0, 16
	v_bfe_i32 v6, v241, 0, 8
	v_mul_i32_i24_e32 v166, v166, v234
	v_mad_i32_i24 v163, v236, v199, v163
	v_bfe_i32 v199, v1, 16, 8
	v_mad_i32_i24 v4, v172, v187, v4
	v_perm_b32 v187, v211, v210, 0xc05000c
	v_mul_i32_i24_e32 v5, v5, v233
	v_mul_i32_i24_e32 v6, v6, v237
	v_add3_u32 v166, v231, v226, v166
	s_delay_alu instid0(VALU_DEP_4) | instskip(SKIP_1) | instid1(VALU_DEP_4)
	v_or_b32_e32 v187, v187, v188
	v_perm_b32 v188, v7, v7, 0xc030201
	v_add3_u32 v6, v191, v6, v171
	v_bfe_i32 v171, v0, 16, 8
	s_delay_alu instid0(VALU_DEP_3) | instskip(SKIP_1) | instid1(VALU_DEP_2)
	v_dot4_i32_iu8 v4, v188, v187, v4 neg_lo:[1,1,0]
	v_bfe_i32 v187, v246, 0, 16
	v_mul_lo_u32 v4, v4, v227
	s_delay_alu instid0(VALU_DEP_2) | instskip(SKIP_4) | instid1(VALU_DEP_2)
	v_mul_i32_i24_e32 v168, v187, v168
	s_set_vgpr_msb 4                        ;  msbs: dst=0 src0=0 src1=1 src2=0
	v_mad_i32_i24 v187, v232, v7 /*v263*/, v203
	v_bfe_i32 v203, v253, 0, 8
	s_set_vgpr_msb 0                        ;  msbs: dst=0 src0=0 src1=0 src2=0
	v_add3_u32 v5, v187, v5, v168
	v_bfe_i32 v187, v0, 0, 8
	s_delay_alu instid0(VALU_DEP_3)
	v_mul_i32_i24_e32 v199, v203, v199
	v_bfe_i32 v203, v2, 0, 8
	v_lshrrev_b16 v168, 8, v3
	v_add3_u32 v5, v166, v169, v5
	v_mul_i32_i24_e32 v191, v187, v228
	v_lshrrev_b16 v166, 8, v1
	v_mul_i32_i24_e32 v185, v187, v185
	v_ashrrev_i32_e32 v169, 24, v0
	v_bfe_i32 v159, v168, 0, 8
	v_mad_i32_i24 v134, v194, v171, v199
	v_add3_u32 v5, v167, v6, v5
	v_lshrrev_b16 v6, 8, v0
	v_bfe_i32 v166, v166, 0, 8
	v_perm_b32 v0, v1, v0, 0x5040302
	v_lshrrev_b16 v167, 8, v2
	v_perm_b32 v1, v2, v1, 0x5040302
	v_bfe_i32 v6, v6, 0, 8
	v_mul_i32_i24_e32 v166, v204, v166
	v_bfe_i32 v204, v2, 16, 8
	v_bfe_i32 v167, v167, 0, 8
	s_delay_alu instid0(VALU_DEP_4)
	v_mad_i32_i24 v191, v6, v229, v191
	v_mul_i32_i24_e32 v206, v6, v206
	v_mul_i32_i24_e32 v197, v197, v6
	v_mad_i32_i24 v6, v6, v182, v185
	v_pk_mul_lo_u16 v170, v170, v204 op_sel_hi:[1,0]
	v_dot4_i32_iu8 v191, v193, v192, v191 neg_lo:[1,1,0]
	v_mad_i32_i24 v158, v187, v158, v206
	v_bfe_i32 v192, v250, 0, 8
	v_dot4_i32_iu8 v6, v193, v179, v6 neg_lo:[1,1,0]
	v_bfe_i32 v179, v174, 0, 16
	v_ashrrev_i32_e32 v174, 16, v174
	v_bfe_i32 v132, v170, 0, 16
	v_mad_i32_i24 v191, v200, v230, v191
	v_dot4_i32_iu8 v0, v0, v151, v158 neg_lo:[1,1,0]
	v_perm_b32 v151, v183, v181, 0xc05000c
	v_mad_i32_i24 v6, v200, v186, v6
	v_ashrrev_i32_e32 v158, 24, v3
	v_add3_u32 v129, v165, v179, v129
	v_add3_u32 v163, v163, v164, v174
	v_dot4_i32_iu8 v191, v202, v201, v191 neg_lo:[1,1,0]
	v_bfe_i32 v201, v254, 0, 16
	v_dual_ashrrev_i32 v133, 16, v170 :: v_dual_bitop2_b32 v151, v151, v152 bitop3:0x54
	v_perm_b32 v152, v154, v153, 0xc0c0500
	v_perm_b32 v153, v162, v161, 0x5000c0c
	v_dot4_i32_iu8 v7, v7, v130, v129 neg_lo:[1,1,0]
	v_perm_b32 v129, v142, v141, 0xc05000c
	v_perm_b32 v130, v143, v143, 0xc0c0c01
	v_bfe_i32 v161, v3, 0, 8
	v_bfe_i32 v162, v223, 0, 8
	;; [unrolled: 1-line block ×3, first 2 shown]
	v_add3_u32 v140, v163, v140, v144
	v_mul_i32_i24_e32 v198, v201, v198
	v_ashrrev_i32_e32 v201, 24, v2
	v_dot4_i32_iu8 v6, v202, v151, v6 neg_lo:[1,1,0]
	v_or_b32_e32 v152, v153, v152
	v_mul_i32_i24_e32 v151, v167, v189
	v_or_b32_e32 v129, v129, v130
	v_bfe_i32 v130, v145, 8, 8
	v_perm_b32 v153, v221, v221, 0xc0c0c01
	v_perm_b32 v2, v2, v2, 0xc030201
	v_mul_i32_i24_e32 v154, v154, v203
	v_mad_i32_i24 v6, v203, v190, v6
	v_dot4_i32_iu8 v0, v1, v152, v0 neg_lo:[1,1,0]
	v_mul_i32_i24_e32 v131, v201, v131
	v_mul_i32_i24_e32 v130, v201, v130
	v_perm_b32 v152, v220, v219, 0xc05000c
	v_mad_i32_i24 v1, v203, v196, v191
	v_dot4_i32_iu8 v129, v188, v129, v140 neg_lo:[1,1,0]
	v_add3_u32 v6, v6, v151, v133
	v_add3_u32 v0, v0, v132, v131
	v_mul_i32_i24_e32 v131, v161, v149
	v_or_b32_e32 v152, v152, v153
	s_set_vgpr_msb 1                        ;  msbs: dst=0 src0=1 src1=0 src2=0
	v_bfe_i32 v153, v0 /*v256*/, 0, 16
	s_set_vgpr_msb 0                        ;  msbs: dst=0 src0=0 src1=0 src2=0
	v_bfe_i32 v132, v175, 0, 8
	v_mad_i32_i24 v133, v195, v169, v198
	v_add3_u32 v6, v6, v130, v131
	v_perm_b32 v130, v138, v137, 0xc0c0500
	v_perm_b32 v131, v136, v135, 0x5000c0c
	v_dot4_i32_iu8 v1, v2, v152, v1 neg_lo:[1,1,0]
	s_set_vgpr_msb 1                        ;  msbs: dst=0 src0=1 src1=0 src2=0
	v_bfe_i32 v2, v2 /*v258*/, 0, 16
	v_bfe_i32 v152, v1 /*v257*/, 0, 8
	s_set_vgpr_msb 0                        ;  msbs: dst=0 src0=0 src1=0 src2=0
	v_mul_i32_i24_e32 v153, v153, v167
	v_mul_i32_i24_e32 v132, v132, v161
	v_mad_i32_i24 v135, v192, v187, v205
	v_or_b32_e32 v130, v131, v130
	v_perm_b32 v131, v148, v148, 0xc0c0c01
	v_mul_i32_i24_e32 v2, v2, v201
	v_mul_i32_i24_e32 v152, v152, v204
	v_add3_u32 v136, v197, v166, v153
	v_add3_u32 v132, v135, v154, v132
	v_dot4_i32_iu8 v130, v3, v130, v0 neg_lo:[1,1,0]
	v_perm_b32 v0, v147, v146, 0xc05000c
	v_perm_b32 v3, v3, v3, 0xc030201
	s_delay_alu instid0(VALU_DEP_2) | instskip(SKIP_1) | instid1(VALU_DEP_2)
	v_or_b32_e32 v0, v0, v131
	v_perm_b32 v131, v157, v157, 0xc0c0c01
	v_dot4_i32_iu8 v6, v3, v0, v6 neg_lo:[1,1,0]
	v_mad_i32_i24 v0, v161, v162, v1
	v_perm_b32 v1, v156, v155, 0xc05000c
	s_delay_alu instid0(VALU_DEP_1) | instskip(NEXT) | instid1(VALU_DEP_1)
	v_or_b32_e32 v1, v1, v131
	v_dot4_i32_iu8 v131, v3, v1, v0 neg_lo:[1,1,0]
	v_bfe_i32 v0, v178, 0, 16
	v_bfe_i32 v1, v177, 0, 8
	;; [unrolled: 1-line block ×3, first 2 shown]
	s_delay_alu instid0(VALU_DEP_3) | instskip(NEXT) | instid1(VALU_DEP_3)
	v_mul_i32_i24_e32 v0, v0, v158
	v_mul_i32_i24_e32 v1, v1, v160
	s_delay_alu instid0(VALU_DEP_3) | instskip(NEXT) | instid1(VALU_DEP_3)
	v_mul_i32_i24_e32 v3, v3, v159
	v_add3_u32 v0, v133, v2, v0
	s_delay_alu instid0(VALU_DEP_3) | instskip(NEXT) | instid1(VALU_DEP_2)
	v_add3_u32 v1, v134, v152, v1
	v_add3_u32 v0, v136, v3, v0
	v_pk_mul_f32 v[2:3], v[90:91], v[94:95] op_sel_hi:[0,1]
	s_delay_alu instid0(VALU_DEP_2)
	v_add3_u32 v132, v132, v1, v0
	ds_load_u16 v0, v173 offset:28402
	s_wait_dscnt 0x2
	v_lshrrev_b16 v167, 8, v139
	s_wait_dscnt 0x1
	v_lshrrev_b16 v168, 8, v150
	v_bfe_i32 v150, v150, 0, 8
	v_bfe_i32 v139, v139, 0, 8
	;; [unrolled: 1-line block ×3, first 2 shown]
	s_delay_alu instid0(VALU_DEP_4) | instskip(NEXT) | instid1(VALU_DEP_4)
	v_bfe_i32 v168, v168, 0, 8
	v_mul_lo_u32 v129, v129, v150
	s_delay_alu instid0(VALU_DEP_4) | instskip(NEXT) | instid1(VALU_DEP_2)
	v_mul_lo_u32 v7, v7, v139
	v_mad_u32 v6, v6, v168, v129
	s_delay_alu instid0(VALU_DEP_2) | instskip(SKIP_3) | instid1(VALU_DEP_2)
	v_mad_u32 v7, v130, v167, v7
	s_wait_dscnt 0x0
	v_lshrrev_b16 v1, 8, v0
	v_bfe_i32 v0, v0, 0, 8
	v_bfe_i32 v133, v1, 0, 8
	s_delay_alu instid0(VALU_DEP_2)
	v_mul_lo_u32 v5, v5, v0
	v_pk_mul_f32 v[0:1], v[90:91], v[92:93] op_sel_hi:[0,1]
	v_mad_u32 v90, v131, v128, v4
	v_add_nc_u32_e32 v91, 4, v91
	v_cvt_f32_i32_e32 v4, v7
	v_mad_u32 v92, v132, v133, v5
	v_cvt_f32_i32_e32 v5, v6
	v_cvt_f32_i32_e32 v6, v90
	s_delay_alu instid0(VALU_DEP_2) | instskip(NEXT) | instid1(VALU_DEP_4)
	v_pk_fma_f32 v[20:21], v[0:1], v[4:5], v[20:21]
	v_cvt_f32_i32_e32 v7, v92
	s_delay_alu instid0(VALU_DEP_1)
	v_pk_fma_f32 v[18:19], v[2:3], v[6:7], v[18:19]
	s_cbranch_scc1 .LBB229_27
; %bb.28:                               ;   in Loop: Header=BB229_5 Depth=1
	s_or_b32 s1, s16, 0x180
	s_delay_alu instid0(SALU_CYCLE_1)
	s_cmp_ge_i32 s1, s11
	s_barrier_signal -1
	s_barrier_wait -1
	s_cbranch_scc1 .LBB229_4
; %bb.29:                               ;   in Loop: Header=BB229_5 Depth=1
	v_add_nc_u32_e32 v0, s17, v79
	s_delay_alu instid0(VALU_DEP_1) | instskip(SKIP_1) | instid1(SALU_CYCLE_1)
	v_cmp_gt_i32_e64 s1, s5, v0
	s_and_b32 s16, s0, s1
	s_and_saveexec_b32 s1, s16
	s_cbranch_execz .LBB229_31
; %bb.30:                               ;   in Loop: Header=BB229_5 Depth=1
	v_add_nc_u32_e32 v0, v22, v0
	s_delay_alu instid0(VALU_DEP_1)
	v_mad_nc_i64_i32 v[0:1], v0, 36, v[26:27]
	global_load_b32 v0, v[0:1], off offset:4
	s_wait_loadcnt 0x0
	ds_store_b32 v37, v0
.LBB229_31:                             ;   in Loop: Header=BB229_5 Depth=1
	s_or_b32 exec_lo, exec_lo, s1
	s_and_saveexec_b32 s16, vcc_lo
	s_cbranch_execz .LBB229_34
; %bb.32:                               ;   in Loop: Header=BB229_5 Depth=1
	v_or_b32_e32 v0, 12, v88
	s_delay_alu instid0(VALU_DEP_1) | instskip(SKIP_1) | instid1(SALU_CYCLE_1)
	v_cmp_gt_i32_e64 s1, s5, v0
	s_and_b32 s1, s0, s1
	s_and_b32 exec_lo, exec_lo, s1
	s_cbranch_execz .LBB229_34
; %bb.33:                               ;   in Loop: Header=BB229_5 Depth=1
	v_ashrrev_i32_e32 v89, 31, v88
	s_delay_alu instid0(VALU_DEP_1) | instskip(NEXT) | instid1(VALU_DEP_1)
	v_add_nc_u64_e32 v[0:1], v[22:23], v[88:89]
	v_mad_nc_u64_u32 v[2:3], v0, 36, s[2:3]
	s_delay_alu instid0(VALU_DEP_1)
	v_mad_i32_i24 v3, v1, 36, v3
	global_load_b32 v0, v[2:3], off offset:432
	s_wait_loadcnt 0x0
	v_cvt_f32_f16_e32 v0, v0
	ds_store_b32 v41, v0
.LBB229_34:                             ;   in Loop: Header=BB229_5 Depth=1
	s_or_b32 exec_lo, exec_lo, s16
	v_dual_mov_b32 v89, v35 :: v_dual_mov_b32 v94, v39
	s_mov_b32 s1, 24
	s_mov_b32 s22, 22
	;; [unrolled: 1-line block ×3, first 2 shown]
	s_wait_dscnt 0x0
	s_barrier_signal -1
	s_barrier_wait -1
.LBB229_35:                             ;   Parent Loop BB229_5 Depth=1
                                        ; =>  This Inner Loop Header: Depth=2
	s_add_co_i32 s17, s22, 2
	s_sub_co_i32 s20, s22, 22
	s_lshr_b32 s24, s17, 4
	s_and_b32 s21, s17, 0x3ffffff8
	s_and_b32 s23, s1, -16
	v_lshl_add_u32 v4, s21, 2, v81
	s_lshl_b32 s21, s24, 5
	s_add_co_i32 s22, s22, s23
	s_addk_co_i32 s21, 0x4200
	s_lshl_b32 s23, s24, 2
	v_add3_u32 v90, s21, v83, v85
	ds_load_2addr_b32 v[0:1], v4 offset1:1
	s_addk_co_i32 s23, 0x7380
	ds_load_b32 v88, v94
	s_add_co_i32 s1, s1, 2
	ds_load_2addr_b32 v[2:3], v90 offset1:1
	v_dual_add_nc_u32 v138, s22, v49 :: v_dual_add_nc_u32 v94, 4, v94
	s_wait_dscnt 0x0
	v_dual_ashrrev_i32 v0, s20, v0 :: v_dual_ashrrev_i32 v2, s16, v2
	s_delay_alu instid0(VALU_DEP_1) | instskip(NEXT) | instid1(VALU_DEP_2)
	v_and_b32_e32 v5, 0x3030303, v0
	v_dual_ashrrev_i32 v3, s16, v3 :: v_dual_lshlrev_b32 v2, 2, v2
	s_delay_alu instid0(VALU_DEP_2) | instskip(SKIP_2) | instid1(VALU_DEP_4)
	v_lshrrev_b32_e32 v7, 16, v5
	v_bfe_u32 v0, v0, 24, 2
	v_lshrrev_b16 v6, 8, v5
	v_lshlrev_b32_e32 v3, 2, v3
	v_and_b32_e32 v2, 0x4040404, v2
	s_delay_alu instid0(VALU_DEP_2) | instskip(NEXT) | instid1(VALU_DEP_2)
	v_and_b32_e32 v3, 0x4040404, v3
	v_dual_lshrrev_b32 v92, 24, v2 :: v_dual_lshrrev_b32 v93, 16, v2
	v_lshrrev_b16 v91, 8, v2
	s_delay_alu instid0(VALU_DEP_2) | instskip(NEXT) | instid1(VALU_DEP_3)
	v_sub_nc_u16 v0, v0, v92
	v_sub_nc_u16 v162, v7, v93
	v_lshrrev_b32_e32 v7, 24, v3
	s_delay_alu instid0(VALU_DEP_3) | instskip(NEXT) | instid1(VALU_DEP_1)
	v_lshlrev_b16 v0, 8, v0
	v_bitop3_b16 v163, v162, v0, 0xff bitop3:0xec
	v_sub_nc_u16 v0, v5, v2
	v_sub_nc_u16 v2, v6, v91
	v_lshrrev_b32_e32 v91, 16, v3
	v_lshrrev_b16 v6, 8, v3
	v_perm_b32 v162, v163, v162, 0xc0c0500
	s_delay_alu instid0(VALU_DEP_4) | instskip(NEXT) | instid1(VALU_DEP_1)
	v_lshlrev_b16 v2, 8, v2
	v_bitop3_b16 v0, v0, v2, 0xff bitop3:0xec
	s_delay_alu instid0(VALU_DEP_1) | instskip(SKIP_1) | instid1(VALU_DEP_1)
	v_and_b32_e32 v166, 0xffff, v0
	v_ashrrev_i32_e32 v0, s20, v1
	v_and_b32_e32 v1, 0x3030303, v0
	v_bfe_u32 v0, v0, 24, 2
	s_delay_alu instid0(VALU_DEP_2) | instskip(NEXT) | instid1(VALU_DEP_2)
	v_lshrrev_b32_e32 v5, 16, v1
	v_sub_nc_u16 v0, v0, v7
	v_lshrrev_b16 v2, 8, v1
	v_sub_nc_u16 v167, v1, v3
	s_delay_alu instid0(VALU_DEP_4) | instskip(NEXT) | instid1(VALU_DEP_4)
	v_sub_nc_u16 v164, v5, v91
	v_lshlrev_b16 v0, 8, v0
	s_delay_alu instid0(VALU_DEP_1) | instskip(SKIP_4) | instid1(VALU_DEP_1)
	v_bitop3_b16 v165, v164, v0, 0xff bitop3:0xec
	v_sub_nc_u16 v0, v2, v6
	ds_load_2addr_b32 v[2:3], v90 offset0:2 offset1:3
	v_perm_b32 v164, v165, v164, 0xc0c0500
	v_lshlrev_b16 v0, 8, v0
	v_bitop3_b16 v168, v167, v0, 0xff bitop3:0xec
	ds_load_2addr_b32 v[0:1], v4 offset0:2 offset1:3
	v_perm_b32 v163, v168, v167, 0x5000c0c
	s_wait_dscnt 0x1
	v_dual_ashrrev_i32 v2, s16, v2 :: v_dual_ashrrev_i32 v3, s16, v3
	s_delay_alu instid0(VALU_DEP_1) | instskip(SKIP_2) | instid1(VALU_DEP_2)
	v_dual_lshlrev_b32 v2, 2, v2 :: v_dual_lshlrev_b32 v3, 2, v3
	s_wait_dscnt 0x0
	v_ashrrev_i32_e32 v0, s20, v0
	v_and_b32_e32 v2, 0x4040404, v2
	s_delay_alu instid0(VALU_DEP_3) | instskip(NEXT) | instid1(VALU_DEP_3)
	v_and_b32_e32 v3, 0x4040404, v3
	v_and_b32_e32 v5, 0x3030303, v0
	v_bfe_u32 v0, v0, 24, 2
	s_delay_alu instid0(VALU_DEP_4) | instskip(SKIP_1) | instid1(VALU_DEP_4)
	v_dual_lshrrev_b32 v91, 16, v2 :: v_dual_lshrrev_b32 v92, 24, v2
	v_lshrrev_b16 v93, 8, v2
	v_lshrrev_b16 v7, 8, v5
	v_lshrrev_b32_e32 v6, 16, v5
	v_sub_nc_u16 v170, v5, v2
	v_sub_nc_u16 v0, v0, v92
	s_delay_alu instid0(VALU_DEP_4) | instskip(SKIP_2) | instid1(VALU_DEP_4)
	v_sub_nc_u16 v2, v7, v93
	v_lshrrev_b32_e32 v7, 24, v3
	v_sub_nc_u16 v173, v6, v91
	v_lshlrev_b16 v128, 8, v0
	v_ashrrev_i32_e32 v0, s20, v1
	v_lshlrev_b16 v2, 8, v2
	v_lshrrev_b32_e32 v91, 16, v3
	v_lshrrev_b16 v6, 8, v3
	v_bfe_i32 v173, v173, 0, 8
	v_and_b32_e32 v1, 0x3030303, v0
	v_bfe_u32 v0, v0, 24, 2
	v_bitop3_b16 v171, v170, v2, 0xff bitop3:0xec
	v_bfe_i32 v128, v128, 8, 8
	s_delay_alu instid0(VALU_DEP_4) | instskip(NEXT) | instid1(VALU_DEP_4)
	v_lshrrev_b32_e32 v5, 16, v1
	v_sub_nc_u16 v0, v0, v7
	v_lshrrev_b16 v2, 8, v1
	v_sub_nc_u16 v131, v1, v3
	v_perm_b32 v165, v171, v170, 0x5000c0c
	v_sub_nc_u16 v129, v5, v91
	v_lshlrev_b16 v0, 8, v0
	s_delay_alu instid0(VALU_DEP_1) | instskip(SKIP_4) | instid1(VALU_DEP_1)
	v_bitop3_b16 v130, v129, v0, 0xff bitop3:0xec
	v_sub_nc_u16 v0, v2, v6
	ds_load_2addr_b32 v[2:3], v90 offset0:4 offset1:5
	v_perm_b32 v129, v130, v129, 0x5000c0c
	v_lshlrev_b16 v0, 8, v0
	v_bitop3_b16 v132, v131, v0, 0xff bitop3:0xec
	ds_load_2addr_b32 v[0:1], v4 offset0:4 offset1:5
	v_perm_b32 v131, v132, v131, 0xc0c0500
	s_wait_dscnt 0x1
	s_delay_alu instid0(VALU_DEP_1) | instskip(NEXT) | instid1(VALU_DEP_1)
	v_dual_ashrrev_i32 v2, s16, v2 :: v_dual_bitop2_b32 v129, v129, v131 bitop3:0x54
	v_dual_ashrrev_i32 v3, s16, v3 :: v_dual_lshlrev_b32 v2, 2, v2
	s_wait_dscnt 0x0
	s_delay_alu instid0(VALU_DEP_1) | instskip(NEXT) | instid1(VALU_DEP_2)
	v_dual_lshlrev_b32 v3, 2, v3 :: v_dual_ashrrev_i32 v0, s20, v0
	v_and_b32_e32 v2, 0x4040404, v2
	s_delay_alu instid0(VALU_DEP_2) | instskip(NEXT) | instid1(VALU_DEP_3)
	v_and_b32_e32 v3, 0x4040404, v3
	v_and_b32_e32 v5, 0x3030303, v0
	v_bfe_u32 v0, v0, 24, 2
	s_delay_alu instid0(VALU_DEP_4) | instskip(SKIP_1) | instid1(VALU_DEP_4)
	v_dual_lshrrev_b32 v92, 24, v2 :: v_dual_lshrrev_b32 v93, 16, v2
	v_lshrrev_b16 v91, 8, v2
	v_lshrrev_b32_e32 v7, 16, v5
	v_lshrrev_b16 v6, 8, v5
	s_delay_alu instid0(VALU_DEP_4) | instskip(NEXT) | instid1(VALU_DEP_3)
	v_sub_nc_u16 v0, v0, v92
	v_sub_nc_u16 v150, v7, v93
	v_lshrrev_b32_e32 v7, 24, v3
	s_delay_alu instid0(VALU_DEP_3) | instskip(NEXT) | instid1(VALU_DEP_1)
	v_lshlrev_b16 v0, 8, v0
	v_bitop3_b16 v151, v150, v0, 0xff bitop3:0xec
	v_sub_nc_u16 v0, v5, v2
	v_sub_nc_u16 v2, v6, v91
	v_lshrrev_b32_e32 v91, 16, v3
	v_lshrrev_b16 v6, 8, v3
	v_perm_b32 v150, v151, v150, 0xc0c0500
	s_delay_alu instid0(VALU_DEP_4) | instskip(NEXT) | instid1(VALU_DEP_1)
	v_lshlrev_b16 v2, 8, v2
	v_bitop3_b16 v0, v0, v2, 0xff bitop3:0xec
	s_delay_alu instid0(VALU_DEP_1) | instskip(SKIP_1) | instid1(VALU_DEP_1)
	v_and_b32_e32 v157, 0xffff, v0
	v_ashrrev_i32_e32 v0, s20, v1
	v_and_b32_e32 v1, 0x3030303, v0
	v_bfe_u32 v0, v0, 24, 2
	s_delay_alu instid0(VALU_DEP_2) | instskip(NEXT) | instid1(VALU_DEP_2)
	v_lshrrev_b32_e32 v5, 16, v1
	v_sub_nc_u16 v0, v0, v7
	v_lshrrev_b16 v2, 8, v1
	v_sub_nc_u16 v158, v1, v3
	s_delay_alu instid0(VALU_DEP_4) | instskip(NEXT) | instid1(VALU_DEP_4)
	v_sub_nc_u16 v152, v5, v91
	v_lshlrev_b16 v0, 8, v0
	s_delay_alu instid0(VALU_DEP_1) | instskip(SKIP_3) | instid1(VALU_DEP_1)
	v_bitop3_b16 v153, v152, v0, 0xff bitop3:0xec
	v_sub_nc_u16 v0, v2, v6
	ds_load_2addr_b32 v[2:3], v90 offset0:6 offset1:7
	v_lshlrev_b16 v0, 8, v0
	v_bitop3_b16 v159, v158, v0, 0xff bitop3:0xec
	ds_load_2addr_b32 v[0:1], v4 offset0:6 offset1:7
	v_perm_b32 v151, v159, v158, 0x5000c0c
	s_wait_dscnt 0x1
	v_dual_ashrrev_i32 v2, s16, v2 :: v_dual_ashrrev_i32 v3, s16, v3
	s_delay_alu instid0(VALU_DEP_1) | instskip(SKIP_2) | instid1(VALU_DEP_2)
	v_dual_lshlrev_b32 v2, 2, v2 :: v_dual_lshlrev_b32 v3, 2, v3
	s_wait_dscnt 0x0
	v_ashrrev_i32_e32 v0, s20, v0
	v_and_b32_e32 v2, 0x4040404, v2
	s_delay_alu instid0(VALU_DEP_3) | instskip(NEXT) | instid1(VALU_DEP_3)
	v_and_b32_e32 v3, 0x4040404, v3
	v_and_b32_e32 v5, 0x3030303, v0
	v_bfe_u32 v0, v0, 24, 2
	s_delay_alu instid0(VALU_DEP_4) | instskip(SKIP_1) | instid1(VALU_DEP_4)
	v_dual_lshrrev_b32 v90, 16, v2 :: v_dual_lshrrev_b32 v91, 24, v2
	v_lshrrev_b16 v92, 8, v2
	v_lshrrev_b16 v7, 8, v5
	v_lshrrev_b32_e32 v6, 16, v5
	v_sub_nc_u16 v160, v5, v2
	v_sub_nc_u16 v0, v0, v91
	v_add3_u32 v91, s21, v97, v98
	v_sub_nc_u16 v2, v7, v92
	v_lshrrev_b32_e32 v7, 24, v3
	v_sub_nc_u16 v169, v6, v90
	v_lshlrev_b16 v133, 8, v0
	v_ashrrev_i32_e32 v0, s20, v1
	v_lshlrev_b16 v2, 8, v2
	v_lshrrev_b32_e32 v90, 16, v3
	v_lshrrev_b16 v6, 8, v3
	v_bfe_i32 v169, v169, 0, 8
	v_and_b32_e32 v1, 0x3030303, v0
	v_bfe_u32 v0, v0, 24, 2
	v_bitop3_b16 v161, v160, v2, 0xff bitop3:0xec
	v_bfe_i32 v130, v133, 8, 8
	s_delay_alu instid0(VALU_DEP_4) | instskip(NEXT) | instid1(VALU_DEP_4)
	v_lshrrev_b32_e32 v5, 16, v1
	v_sub_nc_u16 v0, v0, v7
	v_lshrrev_b16 v2, 8, v1
	v_sub_nc_u16 v136, v1, v3
	s_delay_alu instid0(VALU_DEP_4) | instskip(NEXT) | instid1(VALU_DEP_4)
	v_sub_nc_u16 v134, v5, v90
	v_lshlrev_b16 v0, 8, v0
	s_delay_alu instid0(VALU_DEP_1) | instskip(SKIP_3) | instid1(VALU_DEP_1)
	v_bitop3_b16 v135, v134, v0, 0xff bitop3:0xec
	v_sub_nc_u16 v0, v2, v6
	ds_load_2addr_b32 v[2:3], v91 offset1:1
	v_lshlrev_b16 v0, 8, v0
	v_bitop3_b16 v137, v136, v0, 0xff bitop3:0xec
	v_add3_u32 v0, s23, v127, v96
	ds_load_b32 v90, v0
	v_add_nc_u32_e32 v0, 0x1080, v4
	s_wait_dscnt 0x1
	v_ashrrev_i32_e32 v2, s16, v2
	ds_load_2addr_b32 v[0:1], v0 offset1:1
	v_dual_ashrrev_i32 v3, s16, v3 :: v_dual_lshlrev_b32 v2, 2, v2
	s_delay_alu instid0(VALU_DEP_1) | instskip(NEXT) | instid1(VALU_DEP_2)
	v_lshlrev_b32_e32 v3, 2, v3
	v_and_b32_e32 v2, 0x4040404, v2
	s_delay_alu instid0(VALU_DEP_2) | instskip(NEXT) | instid1(VALU_DEP_2)
	v_and_b32_e32 v3, 0x4040404, v3
	v_dual_lshrrev_b32 v93, 24, v2 :: v_dual_lshrrev_b32 v95, 16, v2
	v_lshrrev_b16 v92, 8, v2
	s_wait_dscnt 0x0
	v_ashrrev_i32_e32 v0, s20, v0
	s_delay_alu instid0(VALU_DEP_1) | instskip(SKIP_1) | instid1(VALU_DEP_2)
	v_and_b32_e32 v5, 0x3030303, v0
	v_bfe_u32 v0, v0, 24, 2
	v_lshrrev_b32_e32 v7, 16, v5
	s_delay_alu instid0(VALU_DEP_2) | instskip(SKIP_2) | instid1(VALU_DEP_4)
	v_sub_nc_u16 v0, v0, v93
	v_lshrrev_b16 v6, 8, v5
	v_sub_nc_u16 v194, v5, v2
	v_sub_nc_u16 v186, v7, v95
	s_delay_alu instid0(VALU_DEP_4) | instskip(SKIP_1) | instid1(VALU_DEP_4)
	v_lshlrev_b16 v0, 8, v0
	v_lshrrev_b32_e32 v7, 24, v3
	v_bfe_i32 v194, v194, 0, 8
	s_delay_alu instid0(VALU_DEP_3) | instskip(SKIP_3) | instid1(VALU_DEP_4)
	v_bitop3_b16 v187, v186, v0, 0xff bitop3:0xec
	v_sub_nc_u16 v0, v6, v92
	v_lshrrev_b32_e32 v92, 16, v3
	v_lshrrev_b16 v6, 8, v3
	v_perm_b32 v186, v187, v186, 0xc0c0500
	s_delay_alu instid0(VALU_DEP_4) | instskip(SKIP_1) | instid1(VALU_DEP_2)
	v_lshlrev_b16 v191, 8, v0
	v_ashrrev_i32_e32 v0, s20, v1
	v_bfe_i32 v191, v191, 8, 8
	s_delay_alu instid0(VALU_DEP_2) | instskip(SKIP_1) | instid1(VALU_DEP_2)
	v_and_b32_e32 v1, 0x3030303, v0
	v_bfe_u32 v0, v0, 24, 2
	v_lshrrev_b32_e32 v5, 16, v1
	s_delay_alu instid0(VALU_DEP_2) | instskip(SKIP_2) | instid1(VALU_DEP_4)
	v_sub_nc_u16 v0, v0, v7
	v_lshrrev_b16 v2, 8, v1
	v_sub_nc_u16 v196, v1, v3
	v_sub_nc_u16 v190, v5, v92
	s_delay_alu instid0(VALU_DEP_4) | instskip(NEXT) | instid1(VALU_DEP_3)
	v_lshlrev_b16 v0, 8, v0
	v_bfe_i32 v196, v196, 0, 8
	s_delay_alu instid0(VALU_DEP_2)
	v_bitop3_b16 v192, v190, v0, 0xff bitop3:0xec
	v_sub_nc_u16 v0, v2, v6
	ds_load_2addr_b32 v[2:3], v91 offset0:2 offset1:3
	v_lshlrev_b16 v193, 8, v0
	v_add_nc_u32_e32 v0, 0x1088, v4
	ds_load_2addr_b32 v[0:1], v0 offset1:1
	s_wait_dscnt 0x1
	v_dual_ashrrev_i32 v2, s16, v2 :: v_dual_ashrrev_i32 v3, s16, v3
	s_delay_alu instid0(VALU_DEP_1) | instskip(SKIP_2) | instid1(VALU_DEP_2)
	v_dual_lshlrev_b32 v2, 2, v2 :: v_dual_lshlrev_b32 v3, 2, v3
	s_wait_dscnt 0x0
	v_ashrrev_i32_e32 v0, s20, v0
	v_and_b32_e32 v2, 0x4040404, v2
	s_delay_alu instid0(VALU_DEP_3) | instskip(NEXT) | instid1(VALU_DEP_3)
	v_and_b32_e32 v3, 0x4040404, v3
	v_and_b32_e32 v5, 0x3030303, v0
	v_bfe_u32 v0, v0, 24, 2
	s_delay_alu instid0(VALU_DEP_4) | instskip(SKIP_1) | instid1(VALU_DEP_4)
	v_dual_lshrrev_b32 v92, 16, v2 :: v_dual_lshrrev_b32 v95, 24, v2
	v_lshrrev_b16 v93, 8, v2
	v_lshrrev_b32_e32 v6, 16, v5
	v_lshrrev_b16 v7, 8, v5
	v_sub_nc_u16 v198, v5, v2
	v_sub_nc_u16 v0, v0, v95
	s_delay_alu instid0(VALU_DEP_4) | instskip(SKIP_2) | instid1(VALU_DEP_4)
	v_sub_nc_u16 v199, v6, v92
	v_lshrrev_b32_e32 v92, 16, v3
	v_lshrrev_b16 v6, 8, v3
	v_lshlrev_b16 v139, 8, v0
	v_sub_nc_u16 v0, v7, v93
	v_lshrrev_b32_e32 v7, 24, v3
	v_bfe_i32 v199, v199, 0, 8
	v_bfe_i32 v198, v198, 0, 8
	;; [unrolled: 1-line block ×3, first 2 shown]
	v_lshlrev_b16 v197, 8, v0
	v_ashrrev_i32_e32 v0, s20, v1
	v_perm_b32 v173, v199, v173, 0x5040100
	s_delay_alu instid0(VALU_DEP_3) | instskip(NEXT) | instid1(VALU_DEP_3)
	v_bfe_i32 v197, v197, 8, 8
	v_and_b32_e32 v1, 0x3030303, v0
	v_bfe_u32 v0, v0, 24, 2
	s_delay_alu instid0(VALU_DEP_2) | instskip(NEXT) | instid1(VALU_DEP_2)
	v_lshrrev_b32_e32 v5, 16, v1
	v_sub_nc_u16 v0, v0, v7
	v_lshrrev_b16 v2, 8, v1
	v_sub_nc_u16 v143, v1, v3
	s_delay_alu instid0(VALU_DEP_4) | instskip(NEXT) | instid1(VALU_DEP_4)
	v_sub_nc_u16 v140, v5, v92
	v_lshlrev_b16 v0, 8, v0
	s_delay_alu instid0(VALU_DEP_3) | instskip(NEXT) | instid1(VALU_DEP_2)
	v_bfe_i32 v143, v143, 0, 8
	v_bitop3_b16 v141, v140, v0, 0xff bitop3:0xec
	v_sub_nc_u16 v0, v2, v6
	ds_load_2addr_b32 v[2:3], v91 offset0:4 offset1:5
	v_lshlrev_b16 v142, 8, v0
	v_add_nc_u32_e32 v0, 0x1090, v4
	ds_load_2addr_b32 v[0:1], v0 offset1:1
	s_wait_dscnt 0x1
	v_dual_ashrrev_i32 v2, s16, v2 :: v_dual_ashrrev_i32 v3, s16, v3
	s_delay_alu instid0(VALU_DEP_1) | instskip(SKIP_2) | instid1(VALU_DEP_2)
	v_dual_lshlrev_b32 v2, 2, v2 :: v_dual_lshlrev_b32 v3, 2, v3
	s_wait_dscnt 0x0
	v_ashrrev_i32_e32 v0, s20, v0
	v_and_b32_e32 v2, 0x4040404, v2
	s_delay_alu instid0(VALU_DEP_3) | instskip(NEXT) | instid1(VALU_DEP_3)
	v_and_b32_e32 v3, 0x4040404, v3
	v_and_b32_e32 v5, 0x3030303, v0
	v_bfe_u32 v0, v0, 24, 2
	s_delay_alu instid0(VALU_DEP_4) | instskip(SKIP_1) | instid1(VALU_DEP_4)
	v_dual_lshrrev_b32 v93, 24, v2 :: v_dual_lshrrev_b32 v95, 16, v2
	v_lshrrev_b16 v92, 8, v2
	v_lshrrev_b32_e32 v7, 16, v5
	v_lshrrev_b16 v6, 8, v5
	s_delay_alu instid0(VALU_DEP_4) | instskip(SKIP_1) | instid1(VALU_DEP_4)
	v_sub_nc_u16 v0, v0, v93
	v_sub_nc_u16 v184, v5, v2
	;; [unrolled: 1-line block ×3, first 2 shown]
	v_lshrrev_b32_e32 v7, 24, v3
	s_delay_alu instid0(VALU_DEP_4) | instskip(NEXT) | instid1(VALU_DEP_4)
	v_lshlrev_b16 v0, 8, v0
	v_bfe_i32 v184, v184, 0, 8
	s_delay_alu instid0(VALU_DEP_2) | instskip(SKIP_3) | instid1(VALU_DEP_4)
	v_bitop3_b16 v179, v178, v0, 0xff bitop3:0xec
	v_sub_nc_u16 v0, v6, v92
	v_lshrrev_b32_e32 v92, 16, v3
	v_lshrrev_b16 v6, 8, v3
	v_perm_b32 v178, v179, v178, 0xc0c0500
	s_delay_alu instid0(VALU_DEP_4) | instskip(SKIP_1) | instid1(VALU_DEP_2)
	v_lshlrev_b16 v181, 8, v0
	v_ashrrev_i32_e32 v0, s20, v1
	v_bfe_i32 v181, v181, 8, 8
	s_delay_alu instid0(VALU_DEP_2) | instskip(SKIP_1) | instid1(VALU_DEP_2)
	v_and_b32_e32 v1, 0x3030303, v0
	v_bfe_u32 v0, v0, 24, 2
	v_lshrrev_b32_e32 v5, 16, v1
	s_delay_alu instid0(VALU_DEP_2) | instskip(SKIP_2) | instid1(VALU_DEP_4)
	v_sub_nc_u16 v0, v0, v7
	v_lshrrev_b16 v2, 8, v1
	v_sub_nc_u16 v185, v1, v3
	v_sub_nc_u16 v180, v5, v92
	s_delay_alu instid0(VALU_DEP_4) | instskip(NEXT) | instid1(VALU_DEP_3)
	v_lshlrev_b16 v0, 8, v0
	v_bfe_i32 v185, v185, 0, 8
	s_delay_alu instid0(VALU_DEP_2)
	v_bitop3_b16 v182, v180, v0, 0xff bitop3:0xec
	v_sub_nc_u16 v0, v2, v6
	ds_load_2addr_b32 v[2:3], v91 offset0:6 offset1:7
	v_lshlrev_b16 v183, 8, v0
	v_add_nc_u32_e32 v0, 0x1098, v4
	ds_load_2addr_b32 v[0:1], v0 offset1:1
	s_wait_dscnt 0x1
	v_dual_ashrrev_i32 v2, s16, v2 :: v_dual_ashrrev_i32 v3, s16, v3
	s_delay_alu instid0(VALU_DEP_1) | instskip(SKIP_2) | instid1(VALU_DEP_2)
	v_dual_lshlrev_b32 v2, 2, v2 :: v_dual_lshlrev_b32 v3, 2, v3
	s_wait_dscnt 0x0
	v_ashrrev_i32_e32 v0, s20, v0
	v_and_b32_e32 v2, 0x4040404, v2
	s_delay_alu instid0(VALU_DEP_3) | instskip(NEXT) | instid1(VALU_DEP_3)
	v_and_b32_e32 v3, 0x4040404, v3
	v_and_b32_e32 v5, 0x3030303, v0
	v_bfe_u32 v0, v0, 24, 2
	s_delay_alu instid0(VALU_DEP_4) | instskip(SKIP_1) | instid1(VALU_DEP_4)
	v_dual_lshrrev_b32 v91, 16, v2 :: v_dual_lshrrev_b32 v93, 24, v2
	v_lshrrev_b16 v92, 8, v2
	v_lshrrev_b32_e32 v6, 16, v5
	v_lshrrev_b16 v7, 8, v5
	v_sub_nc_u16 v189, v5, v2
	v_sub_nc_u16 v0, v0, v93
	s_delay_alu instid0(VALU_DEP_4) | instskip(SKIP_2) | instid1(VALU_DEP_4)
	v_sub_nc_u16 v195, v6, v91
	v_lshrrev_b32_e32 v91, 16, v3
	v_lshrrev_b16 v6, 8, v3
	v_lshlrev_b16 v144, 8, v0
	v_sub_nc_u16 v0, v7, v92
	v_lshrrev_b32_e32 v7, 24, v3
	v_add3_u32 v92, s21, v101, v102
	v_bfe_i32 v195, v195, 0, 8
	v_bfe_i32 v189, v189, 0, 8
	v_lshlrev_b16 v188, 8, v0
	v_ashrrev_i32_e32 v0, s20, v1
	s_delay_alu instid0(VALU_DEP_4) | instskip(NEXT) | instid1(VALU_DEP_3)
	v_perm_b32 v169, v195, v169, 0x5040100
	v_bfe_i32 v188, v188, 8, 8
	s_delay_alu instid0(VALU_DEP_3) | instskip(SKIP_1) | instid1(VALU_DEP_2)
	v_and_b32_e32 v1, 0x3030303, v0
	v_bfe_u32 v0, v0, 24, 2
	v_lshrrev_b32_e32 v5, 16, v1
	s_delay_alu instid0(VALU_DEP_2) | instskip(SKIP_2) | instid1(VALU_DEP_4)
	v_sub_nc_u16 v0, v0, v7
	v_lshrrev_b16 v2, 8, v1
	v_sub_nc_u16 v148, v1, v3
	v_sub_nc_u16 v145, v5, v91
	s_delay_alu instid0(VALU_DEP_4) | instskip(NEXT) | instid1(VALU_DEP_3)
	v_lshlrev_b16 v0, 8, v0
	v_bfe_i32 v148, v148, 0, 8
	s_delay_alu instid0(VALU_DEP_2)
	v_bitop3_b16 v146, v145, v0, 0xff bitop3:0xec
	v_sub_nc_u16 v0, v2, v6
	ds_load_2addr_b32 v[2:3], v92 offset1:1
	v_lshlrev_b16 v147, 8, v0
	v_add3_u32 v0, s23, v99, v100
	ds_load_b32 v91, v0
	v_add_nc_u32_e32 v0, 0x2100, v4
	ds_load_2addr_b32 v[0:1], v0 offset1:1
	s_wait_dscnt 0x2
	v_dual_ashrrev_i32 v2, s16, v2 :: v_dual_ashrrev_i32 v3, s16, v3
	s_delay_alu instid0(VALU_DEP_1) | instskip(NEXT) | instid1(VALU_DEP_1)
	v_dual_lshlrev_b32 v2, 2, v2 :: v_dual_lshlrev_b32 v3, 2, v3
	v_and_b32_e32 v2, 0x4040404, v2
	s_delay_alu instid0(VALU_DEP_2) | instskip(NEXT) | instid1(VALU_DEP_2)
	v_and_b32_e32 v3, 0x4040404, v3
	v_dual_lshrrev_b32 v95, 24, v2 :: v_dual_lshrrev_b32 v154, 16, v2
	s_wait_dscnt 0x0
	v_ashrrev_i32_e32 v0, s20, v0
	v_lshrrev_b16 v93, 8, v2
	s_delay_alu instid0(VALU_DEP_2) | instskip(SKIP_1) | instid1(VALU_DEP_2)
	v_and_b32_e32 v5, 0x3030303, v0
	v_bfe_u32 v0, v0, 24, 2
	v_dual_add_nc_u32 v149, s22, v47 :: v_dual_lshrrev_b32 v7, 16, v5
	s_delay_alu instid0(VALU_DEP_2)
	v_sub_nc_u16 v0, v0, v95
	v_lshrrev_b16 v6, 8, v5
	v_lshrrev_b32_e32 v95, 24, v3
	v_sub_nc_u16 v5, v5, v2
	v_sub_nc_u16 v200, v7, v154
	v_lshlrev_b16 v0, 8, v0
	v_lshrrev_b32_e32 v154, 16, v3
	s_delay_alu instid0(VALU_DEP_4) | instskip(NEXT) | instid1(VALU_DEP_3)
	v_bfe_i32 v223, v5, 0, 8
	v_bitop3_b16 v201, v200, v0, 0xff bitop3:0xec
	v_sub_nc_u16 v0, v6, v93
	v_lshrrev_b16 v93, 8, v3
	s_delay_alu instid0(VALU_DEP_3) | instskip(NEXT) | instid1(VALU_DEP_3)
	v_perm_b32 v200, v201, v200, 0xc0c0500
	v_lshlrev_b16 v6, 8, v0
	v_ashrrev_i32_e32 v0, s20, v1
	s_delay_alu instid0(VALU_DEP_2) | instskip(NEXT) | instid1(VALU_DEP_2)
	v_bfe_i32 v224, v6, 8, 8
	v_and_b32_e32 v1, 0x3030303, v0
	v_bfe_u32 v0, v0, 24, 2
	s_delay_alu instid0(VALU_DEP_2) | instskip(NEXT) | instid1(VALU_DEP_2)
	v_lshrrev_b32_e32 v7, 16, v1
	v_sub_nc_u16 v0, v0, v95
	v_lshrrev_b16 v2, 8, v1
	s_delay_alu instid0(VALU_DEP_3) | instskip(NEXT) | instid1(VALU_DEP_3)
	v_sub_nc_u16 v202, v7, v154
	v_lshlrev_b16 v0, 8, v0
	v_sub_nc_u16 v7, v1, v3
	s_delay_alu instid0(VALU_DEP_2)
	v_bitop3_b16 v203, v202, v0, 0xff bitop3:0xec
	v_sub_nc_u16 v0, v2, v93
	ds_load_2addr_b32 v[2:3], v92 offset0:2 offset1:3
	v_bfe_i32 v225, v7, 0, 8
	v_perm_b32 v202, v203, v202, 0xc05000c
	v_lshlrev_b16 v204, 8, v0
	v_add_nc_u32_e32 v0, 0x2108, v4
	s_delay_alu instid0(VALU_DEP_2) | instskip(SKIP_3) | instid1(VALU_DEP_1)
	v_perm_b32 v203, v204, v204, 0xc0c0c01
	ds_load_2addr_b32 v[0:1], v0 offset1:1
	s_wait_dscnt 0x1
	v_dual_ashrrev_i32 v2, s16, v2 :: v_dual_ashrrev_i32 v3, s16, v3
	v_dual_lshlrev_b32 v2, 2, v2 :: v_dual_lshlrev_b32 v3, 2, v3
	s_wait_dscnt 0x0
	v_ashrrev_i32_e32 v0, s20, v0
	s_delay_alu instid0(VALU_DEP_2) | instskip(NEXT) | instid1(VALU_DEP_3)
	v_and_b32_e32 v2, 0x4040404, v2
	v_and_b32_e32 v3, 0x4040404, v3
	s_delay_alu instid0(VALU_DEP_3) | instskip(SKIP_1) | instid1(VALU_DEP_4)
	v_and_b32_e32 v93, 0x3030303, v0
	v_bfe_u32 v0, v0, 24, 2
	v_dual_lshrrev_b32 v156, 24, v2 :: v_dual_lshrrev_b32 v172, 16, v2
	v_lshrrev_b16 v155, 8, v2
	s_delay_alu instid0(VALU_DEP_4) | instskip(SKIP_1) | instid1(VALU_DEP_4)
	v_lshrrev_b32_e32 v154, 16, v93
	v_lshrrev_b16 v95, 8, v93
	v_sub_nc_u16 v0, v0, v156
	v_sub_nc_u16 v208, v93, v2
	s_delay_alu instid0(VALU_DEP_4) | instskip(SKIP_1) | instid1(VALU_DEP_4)
	v_sub_nc_u16 v205, v154, v172
	v_lshrrev_b32_e32 v154, 24, v3
	v_lshlrev_b16 v0, 8, v0
	s_delay_alu instid0(VALU_DEP_4) | instskip(SKIP_2) | instid1(VALU_DEP_4)
	v_bfe_i32 v199, v208, 0, 8
	v_bfe_i32 v208, v166, 8, 8
	;; [unrolled: 1-line block ×3, first 2 shown]
	v_bitop3_b16 v206, v205, v0, 0xff bitop3:0xec
	v_sub_nc_u16 v0, v95, v155
	v_lshrrev_b32_e32 v155, 16, v3
	v_lshrrev_b16 v95, 8, v3
	s_delay_alu instid0(VALU_DEP_3) | instskip(SKIP_1) | instid1(VALU_DEP_1)
	v_lshlrev_b16 v207, 8, v0
	v_ashrrev_i32_e32 v0, s20, v1
	v_and_b32_e32 v1, 0x3030303, v0
	v_bfe_u32 v0, v0, 24, 2
	s_delay_alu instid0(VALU_DEP_2) | instskip(NEXT) | instid1(VALU_DEP_2)
	v_lshrrev_b32_e32 v93, 16, v1
	v_sub_nc_u16 v0, v0, v154
	v_lshrrev_b16 v2, 8, v1
	v_sub_nc_u16 v212, v1, v3
	s_delay_alu instid0(VALU_DEP_4) | instskip(NEXT) | instid1(VALU_DEP_4)
	v_sub_nc_u16 v209, v93, v155
	v_lshlrev_b16 v0, 8, v0
	s_delay_alu instid0(VALU_DEP_1) | instskip(SKIP_4) | instid1(VALU_DEP_2)
	v_bitop3_b16 v210, v209, v0, 0xff bitop3:0xec
	v_sub_nc_u16 v0, v2, v95
	ds_load_2addr_b32 v[2:3], v92 offset0:4 offset1:5
	v_lshlrev_b16 v211, 8, v0
	v_add_nc_u32_e32 v0, 0x2110, v4
	v_perm_b32 v187, v211, v211, 0xc0c0c01
	ds_load_2addr_b32 v[0:1], v0 offset1:1
	s_wait_dscnt 0x1
	v_dual_ashrrev_i32 v2, s16, v2 :: v_dual_ashrrev_i32 v3, s16, v3
	s_delay_alu instid0(VALU_DEP_1) | instskip(SKIP_2) | instid1(VALU_DEP_2)
	v_dual_lshlrev_b32 v2, 2, v2 :: v_dual_lshlrev_b32 v3, 2, v3
	s_wait_dscnt 0x0
	v_ashrrev_i32_e32 v0, s20, v0
	v_and_b32_e32 v2, 0x4040404, v2
	s_delay_alu instid0(VALU_DEP_3) | instskip(NEXT) | instid1(VALU_DEP_3)
	v_and_b32_e32 v3, 0x4040404, v3
	v_and_b32_e32 v93, 0x3030303, v0
	v_bfe_u32 v0, v0, 24, 2
	s_delay_alu instid0(VALU_DEP_4) | instskip(SKIP_1) | instid1(VALU_DEP_4)
	v_dual_lshrrev_b32 v156, 24, v2 :: v_dual_lshrrev_b32 v172, 16, v2
	v_lshrrev_b16 v155, 8, v2
	v_lshrrev_b32_e32 v154, 16, v93
	v_lshrrev_b16 v95, 8, v93
	s_delay_alu instid0(VALU_DEP_4)
	v_sub_nc_u16 v0, v0, v156
	v_lshrrev_b32_e32 v156, 24, v3
	v_sub_nc_u16 v93, v93, v2
	v_sub_nc_u16 v213, v154, v172
	v_lshrrev_b32_e32 v172, 16, v3
	v_lshlrev_b16 v0, 8, v0
	s_delay_alu instid0(VALU_DEP_4) | instskip(SKIP_1) | instid1(VALU_DEP_3)
	v_bfe_i32 v227, v93, 0, 8
	v_add3_u32 v93, s21, v105, v106
	v_bitop3_b16 v214, v213, v0, 0xff bitop3:0xec
	v_sub_nc_u16 v0, v95, v155
	v_lshrrev_b16 v155, 8, v3
	s_delay_alu instid0(VALU_DEP_2) | instskip(SKIP_1) | instid1(VALU_DEP_2)
	v_lshlrev_b16 v95, 8, v0
	v_ashrrev_i32_e32 v0, s20, v1
	v_bfe_i32 v228, v95, 8, 8
	s_delay_alu instid0(VALU_DEP_2) | instskip(SKIP_1) | instid1(VALU_DEP_2)
	v_and_b32_e32 v1, 0x3030303, v0
	v_bfe_u32 v0, v0, 24, 2
	v_lshrrev_b32_e32 v154, 16, v1
	s_delay_alu instid0(VALU_DEP_2) | instskip(SKIP_1) | instid1(VALU_DEP_3)
	v_sub_nc_u16 v0, v0, v156
	v_lshrrev_b16 v2, 8, v1
	v_sub_nc_u16 v215, v154, v172
	s_delay_alu instid0(VALU_DEP_3) | instskip(SKIP_1) | instid1(VALU_DEP_2)
	v_lshlrev_b16 v0, 8, v0
	v_sub_nc_u16 v172, v1, v3
	v_bitop3_b16 v216, v215, v0, 0xff bitop3:0xec
	v_sub_nc_u16 v0, v2, v155
	ds_load_2addr_b32 v[2:3], v92 offset0:6 offset1:7
	v_bfe_i32 v229, v172, 0, 8
	v_lshlrev_b16 v217, 8, v0
	v_add_nc_u32_e32 v0, 0x2118, v4
	ds_load_2addr_b32 v[0:1], v0 offset1:1
	s_wait_dscnt 0x1
	v_dual_ashrrev_i32 v2, s16, v2 :: v_dual_ashrrev_i32 v3, s16, v3
	s_delay_alu instid0(VALU_DEP_1) | instskip(SKIP_2) | instid1(VALU_DEP_2)
	v_dual_lshlrev_b32 v2, 2, v2 :: v_dual_lshlrev_b32 v3, 2, v3
	s_wait_dscnt 0x0
	v_ashrrev_i32_e32 v0, s20, v0
	v_and_b32_e32 v2, 0x4040404, v2
	s_delay_alu instid0(VALU_DEP_3) | instskip(NEXT) | instid1(VALU_DEP_3)
	v_and_b32_e32 v3, 0x4040404, v3
	v_and_b32_e32 v154, 0x3030303, v0
	v_bfe_u32 v0, v0, 24, 2
	s_delay_alu instid0(VALU_DEP_4) | instskip(SKIP_1) | instid1(VALU_DEP_4)
	v_dual_lshrrev_b32 v174, 24, v2 :: v_dual_lshrrev_b32 v175, 16, v2
	v_lshrrev_b16 v92, 8, v2
	v_lshrrev_b32_e32 v156, 16, v154
	v_lshrrev_b16 v155, 8, v154
	s_delay_alu instid0(VALU_DEP_4)
	v_sub_nc_u16 v0, v0, v174
	v_sub_nc_u16 v221, v154, v2
	v_lshrrev_b32_e32 v154, 16, v3
	v_sub_nc_u16 v218, v156, v175
	v_lshrrev_b16 v156, 8, v3
	v_lshlrev_b16 v0, 8, v0
	v_bfe_i32 v195, v221, 0, 8
	s_delay_alu instid0(VALU_DEP_2) | instskip(SKIP_2) | instid1(VALU_DEP_2)
	v_bitop3_b16 v219, v218, v0, 0xff bitop3:0xec
	v_sub_nc_u16 v0, v155, v92
	v_lshrrev_b32_e32 v155, 24, v3
	v_lshlrev_b16 v220, 8, v0
	v_ashrrev_i32_e32 v0, s20, v1
	s_delay_alu instid0(VALU_DEP_1) | instskip(SKIP_1) | instid1(VALU_DEP_2)
	v_and_b32_e32 v1, 0x3030303, v0
	v_bfe_u32 v0, v0, 24, 2
	v_lshrrev_b32_e32 v92, 16, v1
	s_delay_alu instid0(VALU_DEP_2)
	v_sub_nc_u16 v0, v0, v155
	v_lshrrev_b16 v2, 8, v1
	v_sub_nc_u16 v222, v1, v3
	v_add3_u32 v1, s23, v103, v104
	v_sub_nc_u16 v154, v92, v154
	v_lshlrev_b16 v0, 8, v0
	ds_load_b32 v92, v1
	v_bitop3_b16 v155, v154, v0, 0xff bitop3:0xec
	v_sub_nc_u16 v0, v2, v156
	ds_load_2addr_b32 v[2:3], v93 offset1:1
	v_lshlrev_b16 v156, 8, v0
	v_add_nc_u32_e32 v0, s22, v45
	ds_load_u16 v0, v0 offset:27378
	s_wait_dscnt 0x1
	v_dual_ashrrev_i32 v2, s16, v2 :: v_dual_ashrrev_i32 v3, s16, v3
	s_delay_alu instid0(VALU_DEP_1)
	v_lshlrev_b32_e32 v3, 2, v3
	s_wait_dscnt 0x0
	v_lshrrev_b16 v1, 8, v0
	v_bfe_i32 v226, v0, 0, 8
	v_add_nc_u32_e32 v0, 0x3180, v4
	v_and_b32_e32 v3, 0x4040404, v3
	s_delay_alu instid0(VALU_DEP_4) | instskip(SKIP_2) | instid1(VALU_DEP_1)
	v_bfe_i32 v95, v1, 0, 8
	ds_load_2addr_b32 v[0:1], v0 offset1:1
	v_lshlrev_b32_e32 v2, 2, v2
	v_and_b32_e32 v2, 0x4040404, v2
	s_delay_alu instid0(VALU_DEP_1) | instskip(SKIP_3) | instid1(VALU_DEP_1)
	v_dual_lshrrev_b32 v172, 16, v2 :: v_dual_lshrrev_b32 v174, 24, v2
	v_lshrrev_b16 v175, 8, v2
	s_wait_dscnt 0x0
	v_ashrrev_i32_e32 v0, s20, v0
	v_and_b32_e32 v5, 0x3030303, v0
	v_bfe_u32 v0, v0, 24, 2
	s_delay_alu instid0(VALU_DEP_2) | instskip(NEXT) | instid1(VALU_DEP_2)
	v_lshrrev_b32_e32 v6, 16, v5
	v_sub_nc_u16 v231, v0, v174
	v_ashrrev_i32_e32 v0, s20, v1
	v_sub_nc_u16 v233, v5, v2
	v_lshrrev_b16 v7, 8, v5
	v_sub_nc_u16 v232, v6, v172
	v_lshrrev_b32_e32 v6, 24, v3
	v_bfe_u32 v1, v0, 24, 2
	v_and_b32_e32 v0, 0x3030303, v0
	v_sub_nc_u16 v230, v7, v175
	v_lshrrev_b32_e32 v7, 16, v3
	v_lshrrev_b16 v172, 8, v3
	v_sub_nc_u16 v237, v1, v6
	v_lshrrev_b32_e32 v2, 16, v0
	v_lshrrev_b16 v5, 8, v0
	v_sub_nc_u16 v234, v0, v3
	v_add_nc_u32_e32 v0, 0x3188, v4
	v_bfe_i32 v231, v231, 0, 16
	v_sub_nc_u16 v236, v2, v7
	ds_load_2addr_b32 v[2:3], v93 offset0:2 offset1:3
	v_sub_nc_u16 v235, v5, v172
	ds_load_2addr_b32 v[0:1], v0 offset1:1
	v_bfe_i32 v230, v230, 0, 16
	v_bfe_i32 v204, v236, 0, 8
	;; [unrolled: 1-line block ×3, first 2 shown]
	s_wait_dscnt 0x1
	v_dual_ashrrev_i32 v2, s16, v2 :: v_dual_ashrrev_i32 v3, s16, v3
	s_wait_dscnt 0x0
	s_delay_alu instid0(VALU_DEP_1) | instskip(NEXT) | instid1(VALU_DEP_2)
	v_dual_ashrrev_i32 v0, s20, v0 :: v_dual_lshlrev_b32 v2, 2, v2
	v_lshlrev_b32_e32 v3, 2, v3
	s_delay_alu instid0(VALU_DEP_2) | instskip(SKIP_1) | instid1(VALU_DEP_4)
	v_bfe_u32 v5, v0, 24, 2
	v_and_b32_e32 v0, 0x3030303, v0
	v_and_b32_e32 v2, 0x4040404, v2
	s_delay_alu instid0(VALU_DEP_4) | instskip(NEXT) | instid1(VALU_DEP_3)
	v_and_b32_e32 v3, 0x4040404, v3
	v_lshrrev_b32_e32 v6, 16, v0
	v_lshrrev_b16 v7, 8, v0
	s_delay_alu instid0(VALU_DEP_4) | instskip(SKIP_3) | instid1(VALU_DEP_3)
	v_sub_nc_u16 v238, v0, v2
	v_dual_ashrrev_i32 v0, s20, v1 :: v_dual_lshrrev_b32 v172, 24, v2
	v_lshrrev_b32_e32 v174, 16, v2
	v_lshrrev_b16 v175, 8, v2
	v_bfe_u32 v1, v0, 24, 2
	v_and_b32_e32 v0, 0x3030303, v0
	s_delay_alu instid0(VALU_DEP_4)
	v_sub_nc_u16 v240, v6, v174
	v_sub_nc_u16 v241, v5, v172
	v_lshrrev_b32_e32 v6, 24, v3
	v_sub_nc_u16 v239, v7, v175
	v_lshrrev_b32_e32 v2, 16, v0
	v_lshrrev_b16 v5, 8, v0
	v_sub_nc_u16 v242, v0, v3
	v_add_nc_u32_e32 v0, 0x3190, v4
	v_lshrrev_b32_e32 v7, 16, v3
	v_sub_nc_u16 v245, v1, v6
	v_lshrrev_b16 v172, 8, v3
	ds_load_2addr_b32 v[0:1], v0 offset1:1
	v_sub_nc_u16 v244, v2, v7
	ds_load_2addr_b32 v[2:3], v93 offset0:4 offset1:5
	v_sub_nc_u16 v243, v5, v172
	s_wait_dscnt 0x0
	v_dual_ashrrev_i32 v0, s20, v0 :: v_dual_ashrrev_i32 v2, s16, v2
	v_ashrrev_i32_e32 v3, s16, v3
	s_delay_alu instid0(VALU_DEP_2) | instskip(SKIP_1) | instid1(VALU_DEP_3)
	v_and_b32_e32 v5, 0x3030303, v0
	v_bfe_u32 v0, v0, 24, 2
	v_dual_lshlrev_b32 v2, 2, v2 :: v_dual_lshlrev_b32 v3, 2, v3
	s_delay_alu instid0(VALU_DEP_3) | instskip(SKIP_1) | instid1(VALU_DEP_3)
	v_lshrrev_b32_e32 v6, 16, v5
	v_lshrrev_b16 v7, 8, v5
	v_and_b32_e32 v2, 0x4040404, v2
	s_delay_alu instid0(VALU_DEP_4) | instskip(NEXT) | instid1(VALU_DEP_2)
	v_and_b32_e32 v3, 0x4040404, v3
	v_dual_lshrrev_b32 v172, 16, v2 :: v_dual_lshrrev_b32 v174, 24, v2
	v_lshrrev_b16 v175, 8, v2
	v_sub_nc_u16 v249, v5, v2
	s_delay_alu instid0(VALU_DEP_3) | instskip(NEXT) | instid1(VALU_DEP_4)
	v_sub_nc_u16 v248, v6, v172
	v_sub_nc_u16 v247, v0, v174
	v_dual_ashrrev_i32 v0, s20, v1 :: v_dual_lshrrev_b32 v6, 24, v3
	v_sub_nc_u16 v246, v7, v175
	v_lshrrev_b32_e32 v7, 16, v3
	v_lshrrev_b16 v172, 8, v3
	s_delay_alu instid0(VALU_DEP_4) | instskip(SKIP_1) | instid1(VALU_DEP_2)
	v_bfe_u32 v1, v0, 24, 2
	v_and_b32_e32 v0, 0x3030303, v0
	v_sub_nc_u16 v253, v1, v6
	s_delay_alu instid0(VALU_DEP_2) | instskip(SKIP_3) | instid1(VALU_DEP_4)
	v_lshrrev_b32_e32 v2, 16, v0
	v_lshrrev_b16 v5, 8, v0
	v_sub_nc_u16 v250, v0, v3
	v_add_nc_u32_e32 v0, 0x3198, v4
	v_sub_nc_u16 v252, v2, v7
	ds_load_2addr_b32 v[2:3], v93 offset0:6 offset1:7
	v_sub_nc_u16 v251, v5, v172
	ds_load_2addr_b32 v[0:1], v0 offset1:1
	s_wait_dscnt 0x1
	v_dual_ashrrev_i32 v2, s16, v2 :: v_dual_ashrrev_i32 v3, s16, v3
	s_wait_dscnt 0x0
	v_ashrrev_i32_e32 v0, s20, v0
	s_add_co_i32 s16, s16, 1
	s_cmp_lt_u32 s17, 30
	v_dual_lshlrev_b32 v2, 2, v2 :: v_dual_lshlrev_b32 v3, 2, v3
	s_delay_alu instid0(VALU_DEP_2) | instskip(SKIP_1) | instid1(VALU_DEP_3)
	v_bfe_u32 v4, v0, 24, 2
	v_and_b32_e32 v0, 0x3030303, v0
	v_and_b32_e32 v2, 0x4040404, v2
	s_delay_alu instid0(VALU_DEP_4) | instskip(NEXT) | instid1(VALU_DEP_3)
	v_and_b32_e32 v3, 0x4040404, v3
	v_lshrrev_b32_e32 v5, 16, v0
	v_lshrrev_b16 v6, 8, v0
	s_delay_alu instid0(VALU_DEP_4) | instskip(SKIP_3) | instid1(VALU_DEP_3)
	v_sub_nc_u16 v254, v0, v2
	v_dual_ashrrev_i32 v0, s20, v1 :: v_dual_lshrrev_b32 v7, 24, v2
	v_lshrrev_b32_e32 v93, 16, v2
	v_lshrrev_b16 v172, 8, v2
	v_bfe_u32 v1, v0, 24, 2
	v_and_b32_e32 v0, 0x3030303, v0
	s_set_vgpr_msb 64                       ;  msbs: dst=1 src0=0 src1=0 src2=0
	v_sub_nc_u16 v0 /*v256*/, v5, v93
	s_set_vgpr_msb 0                        ;  msbs: dst=0 src0=0 src1=0 src2=0
	v_sub_nc_u16 v255, v6, v172
	s_set_vgpr_msb 64                       ;  msbs: dst=1 src0=0 src1=0 src2=0
	v_sub_nc_u16 v1 /*v257*/, v4, v7
	s_set_vgpr_msb 0                        ;  msbs: dst=0 src0=0 src1=0 src2=0
	v_dual_lshrrev_b32 v5, 24, v3 :: v_dual_lshrrev_b32 v6, 16, v3
	v_lshrrev_b32_e32 v2, 16, v0
	v_lshrrev_b16 v4, 8, v0
	v_lshrrev_b16 v7, 8, v3
	v_sub_nc_u16 v174, v0, v3
	v_add3_u32 v0, s23, v107, v108
	v_sub_nc_u16 v176, v2, v6
	v_sub_nc_u16 v177, v1, v5
	;; [unrolled: 1-line block ×3, first 2 shown]
	ds_load_b32 v93, v0
	ds_load_b128 v[4:7], v89
	ds_load_b128 v[0:3], v89 offset:16
	v_or_b32_e32 v162, v163, v162
	v_or_b32_e32 v202, v202, v203
	;; [unrolled: 1-line block ×3, first 2 shown]
	v_perm_b32 v163, v193, v193, 0xc0c0c01
	v_perm_b32 v165, v207, v207, 0xc0c0c01
	v_add_nc_u32_e32 v172, s22, v43
	v_bfe_i32 v193, v248, 0, 8
	ds_load_u16 v138, v138 offset:25330
	ds_load_u16 v149, v149 offset:26354
	s_mov_b32 s22, s17
	s_wait_dscnt 0x3
	s_set_vgpr_msb 64                       ;  msbs: dst=1 src0=0 src1=0 src2=0
	v_lshrrev_b16 v2 /*v258*/, 8, v4
	v_bfe_i32 v8 /*v264*/, v4, 0, 8
	s_set_vgpr_msb 0                        ;  msbs: dst=0 src0=0 src1=0 src2=0
	v_perm_b32 v201, v4, v4, 0xc0c0302
	s_set_vgpr_msb 0x41                     ;  msbs: dst=1 src0=1 src1=0 src2=0
	v_lshrrev_b16 v3 /*v259*/, 8, v5
	v_ashrrev_i32_e32 v6 /*v262*/, 24, v4
	v_bfe_i32 v2 /*v258*/, v2 /*v258*/, 0, 8
	s_set_vgpr_msb 1                        ;  msbs: dst=0 src0=1 src1=0 src2=0
	v_mul_i32_i24_e32 v223, v8 /*v264*/, v223
	s_set_vgpr_msb 64                       ;  msbs: dst=1 src0=0 src1=0 src2=0
	v_bfe_i32 v7 /*v263*/, v4, 16, 8
	v_bfe_i32 v9 /*v265*/, v5, 0, 8
	s_set_vgpr_msb 1                        ;  msbs: dst=0 src0=1 src1=0 src2=0
	v_mul_i32_i24_e32 v194, v8 /*v264*/, v194
	v_mul_i32_i24_e32 v208, v2 /*v258*/, v208
	v_mad_i32_i24 v223, v2 /*v258*/, v224, v223
	s_set_vgpr_msb 0                        ;  msbs: dst=0 src0=0 src1=0 src2=0
	v_perm_b32 v4, v5, v4, 0x5040302
	v_bfe_i32 v224, v232, 0, 8
	v_ashrrev_i32_e32 v232, 24, v5
	s_set_vgpr_msb 1                        ;  msbs: dst=0 src0=1 src1=0 src2=0
	v_mad_i32_i24 v166, v8 /*v264*/, v166, v208
	s_set_vgpr_msb 0                        ;  msbs: dst=0 src0=0 src1=0 src2=0
	v_dot4_i32_iu8 v200, v201, v200, v223 neg_lo:[1,1,0]
	v_bfe_i32 v223, v233, 0, 8
	s_set_vgpr_msb 1                        ;  msbs: dst=0 src0=1 src1=0 src2=0
	v_bfe_i32 v233, v3 /*v259*/, 0, 8
	s_set_vgpr_msb 64                       ;  msbs: dst=1 src0=0 src1=0 src2=0
	v_bfe_i32 v3 /*v259*/, v5, 16, 8
	s_set_vgpr_msb 0                        ;  msbs: dst=0 src0=0 src1=0 src2=0
	v_perm_b32 v203, v5, v5, 0xc030201
	s_set_vgpr_msb 1                        ;  msbs: dst=0 src0=1 src1=0 src2=0
	v_mad_i32_i24 v200, v9 /*v265*/, v225, v200
	v_mad_i32_i24 v191, v2 /*v258*/, v191, v194
	s_set_vgpr_msb 0                        ;  msbs: dst=0 src0=0 src1=0 src2=0
	v_perm_b32 v5, v6, v5, 0x5040302
	v_ashrrev_i32_e32 v167, 24, v7
	v_dot4_i32_iu8 v4, v4, v162, v166 neg_lo:[1,1,0]
	s_set_vgpr_msb 64                       ;  msbs: dst=1 src0=0 src1=0 src2=0
	v_lshrrev_b16 v4 /*v260*/, 8, v6
	s_set_vgpr_msb 0                        ;  msbs: dst=0 src0=0 src1=0 src2=0
	v_dot4_i32_iu8 v200, v203, v202, v200 neg_lo:[1,1,0]
	v_bfe_i32 v202, v237, 0, 16
	v_bfe_i32 v225, v235, 0, 16
	;; [unrolled: 1-line block ×3, first 2 shown]
	v_dot4_i32_iu8 v186, v201, v186, v191 neg_lo:[1,1,0]
	v_perm_b32 v162, v192, v190, 0xc05000c
	v_dot4_i32_iu8 v164, v5, v164, v4 neg_lo:[1,1,0]
	v_perm_b32 v5, v206, v205, 0xc05000c
	v_mul_i32_i24_e32 v225, v225, v233
	v_mul_i32_i24_e32 v202, v202, v232
	v_ashrrev_i32_e32 v232, 24, v6
	s_set_vgpr_msb 1                        ;  msbs: dst=0 src0=1 src1=0 src2=0
	v_bfe_i32 v233, v4 /*v260*/, 0, 8
	s_set_vgpr_msb 0                        ;  msbs: dst=0 src0=0 src1=0 src2=0
	v_bfe_i32 v236, v6, 16, 8
	s_set_vgpr_msb 1                        ;  msbs: dst=0 src0=1 src1=0 src2=0
	v_mad_i32_i24 v186, v9 /*v265*/, v196, v186
	s_set_vgpr_msb 0                        ;  msbs: dst=0 src0=0 src1=0 src2=0
	v_or_b32_e32 v162, v162, v163
	v_mad_i32_i24 v4, v235, v199, v200
	v_or_b32_e32 v5, v5, v165
	v_perm_b32 v6, v6, v6, 0xc030201
	v_mul_i32_i24_e32 v163, v233, v197
	v_bfe_i32 v171, v7, 0, 8
	s_wait_dscnt 0x2
	v_ashrrev_i32_e32 v197, 24, v1
	v_dot4_i32_iu8 v162, v203, v162, v186 neg_lo:[1,1,0]
	v_dot4_i32_iu8 v4, v6, v5, v4 neg_lo:[1,1,0]
	v_bfe_i32 v186, v212, 0, 8
	v_pk_mul_lo_u16 v173, v173, v236 op_sel_hi:[1,0]
	s_set_vgpr_msb 64                       ;  msbs: dst=1 src0=0 src1=0 src2=0
	v_lshrrev_b16 v5 /*v261*/, 8, v7
	s_set_vgpr_msb 4                        ;  msbs: dst=0 src0=0 src1=1 src2=0
	v_bfe_i32 v5, v241, 0, 16
	v_bfe_i32 v165, v239, 0, 16
	v_mul_i32_i24_e32 v230, v230, v2 /*v258*/
	v_mul_i32_i24_e32 v234, v234, v9 /*v265*/
	;; [unrolled: 1-line block ×3, first 2 shown]
	v_bfe_i32 v6, v240, 0, 8
	v_bfe_i32 v166, v238, 0, 8
	s_set_vgpr_msb 0                        ;  msbs: dst=0 src0=0 src1=0 src2=0
	v_mul_i32_i24_e32 v165, v165, v233
	s_set_vgpr_msb 1                        ;  msbs: dst=0 src0=1 src1=0 src2=0
	v_bfe_i32 v168, v5 /*v261*/, 0, 8
	s_set_vgpr_msb 0                        ;  msbs: dst=0 src0=0 src1=0 src2=0
	v_bfe_i32 v170, v7, 16, 8
	v_bfe_i32 v190, v244, 0, 8
	;; [unrolled: 1-line block ×4, first 2 shown]
	v_mul_i32_i24_e32 v166, v166, v235
	v_bfe_i32 v203, v251, 0, 16
	v_mul_i32_i24_e32 v170, v190, v170
	v_mul_i32_i24_e32 v168, v191, v168
	v_mul_i32_i24_e32 v192, v192, v171
	s_set_vgpr_msb 4                        ;  msbs: dst=0 src0=0 src1=1 src2=0
	v_mad_i32_i24 v190, v224, v7 /*v263*/, v204
	v_mad_i32_i24 v191, v223, v8 /*v264*/, v234
	v_bfe_i32 v205, v157, 8, 8
	v_bfe_i32 v196, v246, 0, 16
	;; [unrolled: 1-line block ×4, first 2 shown]
	s_set_vgpr_msb 0                        ;  msbs: dst=0 src0=0 src1=0 src2=0
	v_add3_u32 v166, v191, v166, v192
	v_perm_b32 v191, v214, v213, 0xc0c0500
	v_perm_b32 v192, v0, v0, 0xc0c0302
	;; [unrolled: 1-line block ×4, first 2 shown]
	v_mul_i32_i24_e32 v128, v232, v128
	v_mad_i32_i24 v162, v235, v198, v162
	v_bfe_i32 v198, v1, 16, 8
	v_bfe_i32 v159, v3, 16, 8
	v_or_b32_e32 v200, v200, v201
	v_perm_b32 v201, v1, v1, 0xc030201
	v_bfe_i32 v194, v247, 0, 16
	v_bfe_i32 v204, v250, 0, 8
	v_mul_i32_i24_e32 v139, v232, v139
	v_mul_i32_i24_e32 v143, v171, v143
	v_mad_i32_i24 v4, v171, v186, v4
	v_perm_b32 v186, v210, v209, 0xc05000c
	v_mul_i32_i24_e32 v5, v5, v232
	v_mul_i32_i24_e32 v6, v6, v236
	v_add3_u32 v165, v230, v225, v165
	v_mul_i32_i24_e32 v204, v204, v199
	v_or_b32_e32 v186, v186, v187
	v_perm_b32 v187, v7, v7, 0xc030201
	v_add3_u32 v6, v190, v6, v170
	v_bfe_i32 v170, v0, 16, 8
	s_delay_alu instid0(VALU_DEP_3) | instskip(SKIP_1) | instid1(VALU_DEP_2)
	v_dot4_i32_iu8 v4, v187, v186, v4 neg_lo:[1,1,0]
	v_bfe_i32 v186, v245, 0, 16
	v_mul_lo_u32 v4, v4, v226
	s_delay_alu instid0(VALU_DEP_2) | instskip(SKIP_4) | instid1(VALU_DEP_2)
	v_mul_i32_i24_e32 v167, v186, v167
	s_set_vgpr_msb 4                        ;  msbs: dst=0 src0=0 src1=1 src2=0
	v_mad_i32_i24 v186, v231, v6 /*v262*/, v202
	v_bfe_i32 v202, v252, 0, 8
	s_set_vgpr_msb 0                        ;  msbs: dst=0 src0=0 src1=0 src2=0
	v_add3_u32 v5, v186, v5, v167
	v_bfe_i32 v186, v0, 0, 8
	s_delay_alu instid0(VALU_DEP_3)
	v_mul_i32_i24_e32 v198, v202, v198
	v_bfe_i32 v202, v2, 0, 8
	v_lshrrev_b16 v167, 8, v3
	v_add3_u32 v5, v165, v168, v5
	v_lshrrev_b16 v165, 8, v1
	v_mul_i32_i24_e32 v190, v186, v227
	v_mul_i32_i24_e32 v184, v186, v184
	v_ashrrev_i32_e32 v168, 24, v0
	v_bfe_i32 v158, v167, 0, 8
	v_mad_i32_i24 v133, v193, v170, v198
	v_add3_u32 v5, v166, v6, v5
	v_lshrrev_b16 v6, 8, v0
	v_bfe_i32 v165, v165, 0, 8
	v_perm_b32 v0, v1, v0, 0x5040302
	v_lshrrev_b16 v166, 8, v2
	v_perm_b32 v1, v2, v1, 0x5040302
	v_bfe_i32 v6, v6, 0, 8
	v_mul_i32_i24_e32 v165, v203, v165
	v_bfe_i32 v203, v2, 16, 8
	v_bfe_i32 v166, v166, 0, 8
	s_delay_alu instid0(VALU_DEP_4)
	v_mad_i32_i24 v190, v6, v228, v190
	v_mul_i32_i24_e32 v205, v6, v205
	v_mul_i32_i24_e32 v196, v196, v6
	v_pk_mul_lo_u16 v169, v169, v203 op_sel_hi:[1,0]
	v_mad_i32_i24 v6, v6, v181, v184
	v_or_b32_e32 v150, v151, v150
	v_perm_b32 v151, v183, v183, 0xc0c0c01
	v_dot4_i32_iu8 v190, v192, v191, v190 neg_lo:[1,1,0]
	v_mad_i32_i24 v157, v186, v157, v205
	v_dot4_i32_iu8 v6, v192, v178, v6 neg_lo:[1,1,0]
	v_bfe_i32 v178, v173, 0, 16
	v_ashrrev_i32_e32 v132, 16, v169
	v_bfe_i32 v131, v169, 0, 16
	v_bfe_i32 v191, v249, 0, 8
	v_ashrrev_i32_e32 v173, 16, v173
	v_mad_i32_i24 v190, v199, v229, v190
	v_dot4_i32_iu8 v0, v0, v150, v157 neg_lo:[1,1,0]
	v_perm_b32 v150, v182, v180, 0xc05000c
	v_mad_i32_i24 v6, v199, v185, v6
	v_add3_u32 v128, v164, v178, v128
	v_ashrrev_i32_e32 v157, 24, v3
	v_add3_u32 v162, v162, v163, v173
	v_dot4_i32_iu8 v190, v201, v200, v190 neg_lo:[1,1,0]
	v_bfe_i32 v200, v253, 0, 16
	v_or_b32_e32 v150, v150, v151
	v_perm_b32 v151, v153, v152, 0xc0c0500
	v_perm_b32 v152, v161, v160, 0x5000c0c
	v_dot4_i32_iu8 v7, v7, v129, v128 neg_lo:[1,1,0]
	v_perm_b32 v128, v141, v140, 0xc05000c
	v_perm_b32 v129, v142, v142, 0xc0c0c01
	v_bfe_i32 v160, v3, 0, 8
	v_bfe_i32 v161, v222, 0, 8
	;; [unrolled: 1-line block ×3, first 2 shown]
	v_add3_u32 v139, v162, v139, v143
	v_mul_i32_i24_e32 v197, v200, v197
	v_ashrrev_i32_e32 v200, 24, v2
	v_dot4_i32_iu8 v6, v201, v150, v6 neg_lo:[1,1,0]
	v_or_b32_e32 v151, v152, v151
	v_mul_i32_i24_e32 v150, v166, v188
	v_or_b32_e32 v128, v128, v129
	v_bfe_i32 v129, v144, 8, 8
	v_perm_b32 v152, v220, v220, 0xc0c0c01
	v_perm_b32 v2, v2, v2, 0xc030201
	v_mul_i32_i24_e32 v153, v153, v202
	v_mad_i32_i24 v6, v202, v189, v6
	v_dot4_i32_iu8 v0, v1, v151, v0 neg_lo:[1,1,0]
	v_mul_i32_i24_e32 v130, v200, v130
	v_mul_i32_i24_e32 v129, v200, v129
	v_perm_b32 v151, v219, v218, 0xc05000c
	v_mad_i32_i24 v1, v202, v195, v190
	v_dot4_i32_iu8 v128, v187, v128, v139 neg_lo:[1,1,0]
	v_add3_u32 v6, v6, v150, v132
	v_add3_u32 v0, v0, v131, v130
	v_mul_i32_i24_e32 v130, v160, v148
	v_or_b32_e32 v151, v151, v152
	v_bfe_i32 v152, v255, 0, 16
	v_bfe_i32 v131, v174, 0, 8
	v_mad_i32_i24 v132, v194, v168, v197
	v_add3_u32 v6, v6, v129, v130
	v_perm_b32 v129, v137, v136, 0xc0c0500
	v_perm_b32 v130, v135, v134, 0x5000c0c
	v_dot4_i32_iu8 v1, v2, v151, v1 neg_lo:[1,1,0]
	s_set_vgpr_msb 1                        ;  msbs: dst=0 src0=1 src1=0 src2=0
	v_bfe_i32 v2, v1 /*v257*/, 0, 16
	v_bfe_i32 v151, v0 /*v256*/, 0, 8
	s_set_vgpr_msb 0                        ;  msbs: dst=0 src0=0 src1=0 src2=0
	v_mul_i32_i24_e32 v152, v152, v166
	v_mul_i32_i24_e32 v131, v131, v160
	v_mad_i32_i24 v134, v191, v186, v204
	v_or_b32_e32 v129, v130, v129
	v_perm_b32 v130, v147, v147, 0xc0c0c01
	v_mul_i32_i24_e32 v2, v2, v200
	v_mul_i32_i24_e32 v151, v151, v203
	v_add3_u32 v135, v196, v165, v152
	v_add3_u32 v131, v134, v153, v131
	v_dot4_i32_iu8 v129, v3, v129, v0 neg_lo:[1,1,0]
	v_perm_b32 v0, v146, v145, 0xc05000c
	v_perm_b32 v3, v3, v3, 0xc030201
	s_delay_alu instid0(VALU_DEP_2) | instskip(SKIP_1) | instid1(VALU_DEP_2)
	v_or_b32_e32 v0, v0, v130
	v_perm_b32 v130, v156, v156, 0xc0c0c01
	v_dot4_i32_iu8 v6, v3, v0, v6 neg_lo:[1,1,0]
	v_mad_i32_i24 v0, v160, v161, v1
	v_perm_b32 v1, v155, v154, 0xc05000c
	s_delay_alu instid0(VALU_DEP_1) | instskip(NEXT) | instid1(VALU_DEP_1)
	v_or_b32_e32 v1, v1, v130
	v_dot4_i32_iu8 v130, v3, v1, v0 neg_lo:[1,1,0]
	v_bfe_i32 v0, v177, 0, 16
	v_bfe_i32 v1, v176, 0, 8
	;; [unrolled: 1-line block ×3, first 2 shown]
	s_delay_alu instid0(VALU_DEP_3) | instskip(NEXT) | instid1(VALU_DEP_3)
	v_mul_i32_i24_e32 v0, v0, v157
	v_mul_i32_i24_e32 v1, v1, v159
	s_delay_alu instid0(VALU_DEP_3) | instskip(NEXT) | instid1(VALU_DEP_3)
	v_mul_i32_i24_e32 v3, v3, v158
	v_add3_u32 v0, v132, v2, v0
	s_delay_alu instid0(VALU_DEP_3) | instskip(NEXT) | instid1(VALU_DEP_2)
	v_add3_u32 v1, v133, v151, v1
	v_add3_u32 v0, v135, v3, v0
	v_pk_mul_f32 v[2:3], v[88:89], v[92:93] op_sel_hi:[0,1]
	s_delay_alu instid0(VALU_DEP_2)
	v_add3_u32 v131, v131, v1, v0
	ds_load_u16 v0, v172 offset:28402
	s_wait_dscnt 0x2
	v_lshrrev_b16 v166, 8, v138
	s_wait_dscnt 0x1
	v_lshrrev_b16 v167, 8, v149
	v_bfe_i32 v149, v149, 0, 8
	v_bfe_i32 v138, v138, 0, 8
	;; [unrolled: 1-line block ×3, first 2 shown]
	s_delay_alu instid0(VALU_DEP_4) | instskip(NEXT) | instid1(VALU_DEP_4)
	v_bfe_i32 v167, v167, 0, 8
	v_mul_lo_u32 v128, v128, v149
	s_delay_alu instid0(VALU_DEP_4) | instskip(NEXT) | instid1(VALU_DEP_2)
	v_mul_lo_u32 v7, v7, v138
	v_mad_u32 v6, v6, v167, v128
	s_delay_alu instid0(VALU_DEP_2) | instskip(SKIP_3) | instid1(VALU_DEP_2)
	v_mad_u32 v7, v129, v166, v7
	s_wait_dscnt 0x0
	v_lshrrev_b16 v1, 8, v0
	v_bfe_i32 v0, v0, 0, 8
	v_bfe_i32 v132, v1, 0, 8
	s_delay_alu instid0(VALU_DEP_2)
	v_mul_lo_u32 v5, v5, v0
	v_pk_mul_f32 v[0:1], v[88:89], v[90:91] op_sel_hi:[0,1]
	v_mad_u32 v88, v130, v95, v4
	v_add_nc_u32_e32 v89, 32, v89
	v_cvt_f32_i32_e32 v4, v7
	v_mad_u32 v90, v131, v132, v5
	v_cvt_f32_i32_e32 v5, v6
	v_cvt_f32_i32_e32 v6, v88
	s_delay_alu instid0(VALU_DEP_2) | instskip(NEXT) | instid1(VALU_DEP_4)
	v_pk_fma_f32 v[20:21], v[0:1], v[4:5], v[20:21]
	v_cvt_f32_i32_e32 v7, v90
	s_delay_alu instid0(VALU_DEP_1)
	v_pk_fma_f32 v[18:19], v[2:3], v[6:7], v[18:19]
	s_cbranch_scc1 .LBB229_35
; %bb.36:                               ;   in Loop: Header=BB229_5 Depth=1
	s_barrier_signal -1
	s_barrier_wait -1
	s_branch .LBB229_4
.LBB229_37:
	v_mov_b32_e32 v20, 0
	s_delay_alu instid0(VALU_DEP_1)
	v_dual_mov_b32 v21, v20 :: v_dual_mov_b32 v18, v20
	v_mov_b32_e32 v19, v20
.LBB229_38:
	s_mul_i32 s0, s7, s4
	s_wait_loadcnt 0x0
	v_cmp_gt_i32_e32 vcc_lo, s0, v9
	s_and_saveexec_b32 s0, vcc_lo
	s_cbranch_execz .LBB229_47
; %bb.39:
	v_mul_lo_u32 v0, v9, s6
	v_add_nc_u32_e32 v1, s18, v11
	s_mov_b32 s0, exec_lo
	s_delay_alu instid0(VALU_DEP_1)
	v_cmpx_gt_u32_e64 s6, v1
	s_cbranch_execz .LBB229_41
; %bb.40:
	v_bfe_u32 v2, v20, 16, 1
	v_cmp_o_f32_e32 vcc_lo, v20, v20
	v_add_nc_u32_e32 v3, v0, v1
	s_delay_alu instid0(VALU_DEP_3) | instskip(NEXT) | instid1(VALU_DEP_1)
	v_add3_u32 v2, v20, v2, 0x7fff
	v_lshrrev_b32_e32 v2, 16, v2
	s_delay_alu instid0(VALU_DEP_1)
	v_cndmask_b32_e32 v2, 0x7fc0, v2, vcc_lo
	global_store_b16 v3, v2, s[8:9] scale_offset
.LBB229_41:
	s_wait_xcnt 0x0
	s_or_b32 exec_lo, exec_lo, s0
	v_add_nc_u32_e32 v2, 32, v1
	s_mov_b32 s0, exec_lo
	s_delay_alu instid0(VALU_DEP_1)
	v_cmpx_gt_u32_e64 s6, v2
	s_cbranch_execz .LBB229_43
; %bb.42:
	v_bfe_u32 v3, v21, 16, 1
	v_cmp_o_f32_e32 vcc_lo, v21, v21
	v_add_nc_u32_e32 v2, v0, v2
	s_delay_alu instid0(VALU_DEP_3) | instskip(NEXT) | instid1(VALU_DEP_1)
	v_add3_u32 v3, v21, v3, 0x7fff
	v_lshrrev_b32_e32 v3, 16, v3
	s_delay_alu instid0(VALU_DEP_1)
	v_cndmask_b32_e32 v3, 0x7fc0, v3, vcc_lo
	global_store_b16 v2, v3, s[8:9] scale_offset
.LBB229_43:
	s_wait_xcnt 0x0
	s_or_b32 exec_lo, exec_lo, s0
	;; [unrolled: 18-line block ×3, first 2 shown]
	v_add_nc_u32_e32 v1, 0x60, v1
	s_delay_alu instid0(VALU_DEP_1)
	v_cmp_gt_u32_e32 vcc_lo, s6, v1
	s_and_b32 exec_lo, exec_lo, vcc_lo
	s_cbranch_execz .LBB229_47
; %bb.46:
	v_bfe_u32 v2, v19, 16, 1
	v_cmp_o_f32_e32 vcc_lo, v19, v19
	v_add_nc_u32_e32 v0, v0, v1
	s_delay_alu instid0(VALU_DEP_3) | instskip(NEXT) | instid1(VALU_DEP_1)
	v_add3_u32 v2, v19, v2, 0x7fff
	v_lshrrev_b32_e32 v2, 16, v2
	s_delay_alu instid0(VALU_DEP_1)
	v_cndmask_b32_e32 v2, 0x7fc0, v2, vcc_lo
	global_store_b16 v0, v2, s[8:9] scale_offset
.LBB229_47:
	s_sendmsg sendmsg(MSG_DEALLOC_VGPRS)
	s_endpgm
	.section	.rodata,"a",@progbits
	.p2align	6, 0x0
	.amdhsa_kernel _ZL8moe_q3_KIN3c108BFloat16ELb0EEvPKvS3_PT_PKiS7_S7_iiiiiii
		.amdhsa_group_segment_fixed_size 31776
		.amdhsa_private_segment_fixed_size 0
		.amdhsa_kernarg_size 76
		.amdhsa_user_sgpr_count 2
		.amdhsa_user_sgpr_dispatch_ptr 0
		.amdhsa_user_sgpr_queue_ptr 0
		.amdhsa_user_sgpr_kernarg_segment_ptr 1
		.amdhsa_user_sgpr_dispatch_id 0
		.amdhsa_user_sgpr_kernarg_preload_length 0
		.amdhsa_user_sgpr_kernarg_preload_offset 0
		.amdhsa_user_sgpr_private_segment_size 0
		.amdhsa_wavefront_size32 1
		.amdhsa_uses_dynamic_stack 0
		.amdhsa_enable_private_segment 0
		.amdhsa_system_sgpr_workgroup_id_x 1
		.amdhsa_system_sgpr_workgroup_id_y 1
		.amdhsa_system_sgpr_workgroup_id_z 0
		.amdhsa_system_sgpr_workgroup_info 0
		.amdhsa_system_vgpr_workitem_id 1
		.amdhsa_next_free_vgpr 326
		.amdhsa_next_free_sgpr 27
		.amdhsa_named_barrier_count 0
		.amdhsa_reserve_vcc 1
		.amdhsa_float_round_mode_32 0
		.amdhsa_float_round_mode_16_64 0
		.amdhsa_float_denorm_mode_32 3
		.amdhsa_float_denorm_mode_16_64 3
		.amdhsa_fp16_overflow 0
		.amdhsa_memory_ordered 1
		.amdhsa_forward_progress 1
		.amdhsa_inst_pref_size 255
		.amdhsa_round_robin_scheduling 0
		.amdhsa_exception_fp_ieee_invalid_op 0
		.amdhsa_exception_fp_denorm_src 0
		.amdhsa_exception_fp_ieee_div_zero 0
		.amdhsa_exception_fp_ieee_overflow 0
		.amdhsa_exception_fp_ieee_underflow 0
		.amdhsa_exception_fp_ieee_inexact 0
		.amdhsa_exception_int_div_zero 0
	.end_amdhsa_kernel
	.section	.text._ZL8moe_q3_KIN3c108BFloat16ELb0EEvPKvS3_PT_PKiS7_S7_iiiiiii,"axG",@progbits,_ZL8moe_q3_KIN3c108BFloat16ELb0EEvPKvS3_PT_PKiS7_S7_iiiiiii,comdat
.Lfunc_end229:
	.size	_ZL8moe_q3_KIN3c108BFloat16ELb0EEvPKvS3_PT_PKiS7_S7_iiiiiii, .Lfunc_end229-_ZL8moe_q3_KIN3c108BFloat16ELb0EEvPKvS3_PT_PKiS7_S7_iiiiiii
                                        ; -- End function
	.set _ZL8moe_q3_KIN3c108BFloat16ELb0EEvPKvS3_PT_PKiS7_S7_iiiiiii.num_vgpr, 326
	.set _ZL8moe_q3_KIN3c108BFloat16ELb0EEvPKvS3_PT_PKiS7_S7_iiiiiii.num_agpr, 0
	.set _ZL8moe_q3_KIN3c108BFloat16ELb0EEvPKvS3_PT_PKiS7_S7_iiiiiii.numbered_sgpr, 27
	.set _ZL8moe_q3_KIN3c108BFloat16ELb0EEvPKvS3_PT_PKiS7_S7_iiiiiii.num_named_barrier, 0
	.set _ZL8moe_q3_KIN3c108BFloat16ELb0EEvPKvS3_PT_PKiS7_S7_iiiiiii.private_seg_size, 0
	.set _ZL8moe_q3_KIN3c108BFloat16ELb0EEvPKvS3_PT_PKiS7_S7_iiiiiii.uses_vcc, 1
	.set _ZL8moe_q3_KIN3c108BFloat16ELb0EEvPKvS3_PT_PKiS7_S7_iiiiiii.uses_flat_scratch, 0
	.set _ZL8moe_q3_KIN3c108BFloat16ELb0EEvPKvS3_PT_PKiS7_S7_iiiiiii.has_dyn_sized_stack, 0
	.set _ZL8moe_q3_KIN3c108BFloat16ELb0EEvPKvS3_PT_PKiS7_S7_iiiiiii.has_recursion, 0
	.set _ZL8moe_q3_KIN3c108BFloat16ELb0EEvPKvS3_PT_PKiS7_S7_iiiiiii.has_indirect_call, 0
	.section	.AMDGPU.csdata,"",@progbits
; Kernel info:
; codeLenInByte = 37380
; TotalNumSgprs: 29
; NumVgprs: 326
; ScratchSize: 0
; MemoryBound: 0
; FloatMode: 240
; IeeeMode: 1
; LDSByteSize: 31776 bytes/workgroup (compile time only)
; SGPRBlocks: 0
; VGPRBlocks: 20
; NumSGPRsForWavesPerEU: 29
; NumVGPRsForWavesPerEU: 326
; NamedBarCnt: 0
; Occupancy: 3
; WaveLimiterHint : 1
; COMPUTE_PGM_RSRC2:SCRATCH_EN: 0
; COMPUTE_PGM_RSRC2:USER_SGPR: 2
; COMPUTE_PGM_RSRC2:TRAP_HANDLER: 0
; COMPUTE_PGM_RSRC2:TGID_X_EN: 1
; COMPUTE_PGM_RSRC2:TGID_Y_EN: 1
; COMPUTE_PGM_RSRC2:TGID_Z_EN: 0
; COMPUTE_PGM_RSRC2:TIDIG_COMP_CNT: 1
	.section	.text._ZL8moe_q3_KIN3c108BFloat16ELb1EEvPKvS3_PT_PKiS7_S7_iiiiiii,"axG",@progbits,_ZL8moe_q3_KIN3c108BFloat16ELb1EEvPKvS3_PT_PKiS7_S7_iiiiiii,comdat
	.globl	_ZL8moe_q3_KIN3c108BFloat16ELb1EEvPKvS3_PT_PKiS7_S7_iiiiiii ; -- Begin function _ZL8moe_q3_KIN3c108BFloat16ELb1EEvPKvS3_PT_PKiS7_S7_iiiiiii
	.p2align	8
	.type	_ZL8moe_q3_KIN3c108BFloat16ELb1EEvPKvS3_PT_PKiS7_S7_iiiiiii,@function
_ZL8moe_q3_KIN3c108BFloat16ELb1EEvPKvS3_PT_PKiS7_S7_iiiiiii: ; @_ZL8moe_q3_KIN3c108BFloat16ELb1EEvPKvS3_PT_PKiS7_S7_iiiiiii
; %bb.0:
	s_load_b128 s[4:7], s[0:1], 0x18
	s_bfe_u32 s2, ttmp6, 0x40010
	s_bfe_u32 s8, ttmp6, 0x40004
	s_add_co_i32 s2, s2, 1
	s_delay_alu instid0(SALU_CYCLE_1)
	s_mul_i32 s3, ttmp7, s2
	s_getreg_b32 s2, hwreg(HW_REG_IB_STS2, 6, 4)
	s_add_co_i32 s8, s8, s3
	s_cmp_eq_u32 s2, 0
	s_cselect_b32 s3, ttmp7, s8
	s_wait_kmcnt 0x0
	s_load_b32 s14, s[6:7], s3 offset:0x0 scale_offset
	s_wait_kmcnt 0x0
	s_cmp_gt_u32 s14, 0xff
	s_cbranch_scc1 .LBB230_47
; %bb.1:
	s_load_b64 s[6:7], s[0:1], 0x28
	s_lshl_b32 s3, s3, 3
	s_wait_kmcnt 0x0
	s_load_b32 s6, s[6:7], 0x0
	s_wait_kmcnt 0x0
	s_cmp_gt_u32 s3, s6
	s_cbranch_scc1 .LBB230_47
; %bb.2:
	v_bfe_u32 v1, v0, 10, 10
	s_and_b32 s11, ttmp6, 15
	v_and_b32_e32 v13, 0x3ff, v0
	s_mov_b32 s15, 0
	s_delay_alu instid0(VALU_DEP_2) | instskip(SKIP_1) | instid1(SALU_CYCLE_1)
	v_add_nc_u32_e32 v2, s3, v1
	s_bfe_u32 s3, ttmp6, 0x4000c
	s_add_co_i32 s3, s3, 1
	s_delay_alu instid0(SALU_CYCLE_1)
	s_mul_i32 s3, ttmp9, s3
	global_load_b32 v9, v2, s[4:5] scale_offset
	s_wait_xcnt 0x0
	s_clause 0x2
	s_load_b128 s[4:7], s[0:1], 0x30
	s_load_b64 s[12:13], s[0:1], 0x10
	s_load_b96 s[8:10], s[0:1], 0x40
	s_add_co_i32 s11, s11, s3
	s_cmp_eq_u32 s2, 0
	s_cselect_b32 s2, ttmp9, s11
	s_delay_alu instid0(SALU_CYCLE_1)
	s_lshl_b32 s11, s2, 7
	s_wait_kmcnt 0x0
	s_cmp_lt_i32 s5, 0x100
	s_cbranch_scc1 .LBB230_37
; %bb.3:
	v_dual_lshlrev_b32 v2, 4, v1 :: v_dual_bitop2_b32 v5, 15, v0 bitop3:0x40
	v_bfe_u32 v3, v0, 1, 9
	s_load_b128 s[0:3], s[0:1], 0x0
	s_mul_i32 s18, s14, s4
	v_mov_b32_e32 v11, 0
	s_not_b32 s4, s11
	v_add_nc_u32_e32 v4, v3, v2
	s_add_co_i32 s14, s6, s4
	v_bfe_u32 v8, v0, 4, 6
	s_abs_i32 s20, s10
	s_ashr_i32 s19, s18, 31
	v_and_b32_e32 v4, 0x7f, v4
	v_dual_add_nc_u32 v54, 64, v13 :: v_dual_add_nc_u32 v56, 32, v13
	v_lshlrev_b32_e32 v10, 2, v5
	v_lshl_add_u32 v15, v1, 1, v8
	s_delay_alu instid0(VALU_DEP_4)
	v_min_i32_e32 v4, s14, v4
	v_and_b32_e32 v37, 0xfc, v0
	s_ashr_i32 s17, s8, 31
	v_min_i32_e32 v7, s14, v1
	v_add_min_i32_e64 v62, v15, 16, s14
	v_ashrrev_i32_e32 v6, 31, v4
	v_and_b32_e32 v12, 1, v0
	s_wait_kmcnt 0x0
	s_add_nc_u64 s[18:19], s[0:1], s[18:19]
	s_cvt_f32_u32 s0, s20
	s_sub_co_i32 s1, 0, s20
	v_lshrrev_b32_e32 v6, 28, v6
	v_add_min_i32_e64 v68, v15, 64, s14
	v_rcp_iflag_f32_e32 v17, s0
	v_lshlrev_b32_e32 v14, 2, v12
	v_add_min_i32_e64 v64, v15, 32, s14
	v_add_nc_u32_e32 v6, v4, v6
	v_add_min_i32_e64 v66, v15, 48, s14
	v_add_min_i32_e64 v70, 0x50, v15, s14
	v_min_i32_e32 v60, s14, v15
	v_readfirstlane_b32 s0, v17
	v_ashrrev_i32_e32 v6, 4, v6
	v_add_min_i32_e64 v72, 0x60, v15, s14
	v_dual_lshrrev_b32 v26, 31, v70 :: v_dual_lshlrev_b32 v40, 6, v64
	s_delay_alu instid0(VALU_DEP_3) | instskip(SKIP_1) | instid1(VALU_DEP_2)
	v_dual_lshrrev_b32 v16, 31, v60 :: v_dual_lshlrev_b32 v6, 2, v6
	s_mul_f32 s0, s0, 0x4f7ffffe
	v_add_lshl_u32 v26, v70, v26, 1
	v_and_b32_e32 v86, 7, v0
	s_delay_alu instid0(VALU_DEP_3)
	v_add_lshl_u32 v16, v60, v16, 1
	s_cvt_u32_f32 s0, s0
	v_add3_u32 v6, v6, v14, 0x7380
	s_wait_loadcnt 0x0
	v_dual_lshrrev_b32 v14, 31, v62 :: v_dual_sub_nc_u32 v21, 0, v9
	v_and_b32_e32 v16, -4, v16
	s_mul_i32 s1, s1, s0
	v_dual_lshlrev_b32 v44, 6, v68 :: v_dual_bitop2_b32 v26, -4, v26 bitop3:0x40
	s_delay_alu instid0(VALU_DEP_3)
	v_dual_lshrrev_b32 v25, 31, v68 :: v_dual_max_i32 v21, v9, v21
	s_mul_hi_u32 s1, s0, s1
	v_add_lshl_u32 v19, v62, v14, 1
	s_add_co_i32 s0, s0, s1
	v_lshrrev_b32_e32 v20, 31, v64
	v_mul_hi_u32 v23, v21, s0
	s_delay_alu instid0(VALU_DEP_3) | instskip(SKIP_3) | instid1(VALU_DEP_4)
	v_dual_lshrrev_b32 v22, 31, v66 :: v_dual_bitop2_b32 v17, -4, v19 bitop3:0x40
	v_lshlrev_b32_e32 v19, 6, v60
	v_lshrrev_b32_e32 v29, 31, v72
	v_add_min_i32_e64 v74, 0x70, v15, s14
	v_add_lshl_u32 v22, v66, v22, 1
	v_add3_u32 v15, v26, v10, 0x4200
	v_dual_lshlrev_b32 v18, 3, v4 :: v_dual_lshlrev_b32 v14, 2, v86
	v_add_lshl_u32 v29, v72, v29, 1
	v_mul_lo_u32 v27, v23, s20
	v_and_b32_e32 v22, -4, v22
	v_add3_u32 v16, v16, v10, 0x4200
	v_add_lshl_u32 v20, v64, v20, 1
	v_add_lshl_u32 v25, v68, v25, 1
	v_add3_u32 v17, v17, v10, 0x4200
	v_lshlrev_b32_e32 v24, 6, v62
	v_add3_u32 v22, v22, v10, 0x4200
	v_and_b32_e32 v20, -4, v20
	v_dual_lshlrev_b32 v42, 6, v66 :: v_dual_bitop2_b32 v25, -4, v25 bitop3:0x40
	v_dual_sub_nc_u32 v21, v21, v27 :: v_dual_bitop2_b32 v26, -4, v29 bitop3:0x40
	v_dual_add_nc_u32 v27, 1, v23 :: v_dual_lshrrev_b32 v29, 31, v74
	s_delay_alu instid0(VALU_DEP_4) | instskip(NEXT) | instid1(VALU_DEP_3)
	v_add3_u32 v20, v20, v10, 0x4200
	v_cmp_le_u32_e32 vcc_lo, s20, v21
	v_lshlrev_b32_e32 v46, 6, v70
	v_subrev_nc_u32_e32 v31, s20, v21
	v_add3_u32 v25, v25, v10, 0x4200
	v_add3_u32 v26, v26, v10, 0x4200
	v_cndmask_b32_e32 v23, v23, v27, vcc_lo
	v_add_lshl_u32 v27, v74, v29, 1
	v_dual_cndmask_b32 v21, v21, v31, vcc_lo :: v_dual_bitop2_b32 v29, s10, v9 bitop3:0x14
	s_delay_alu instid0(VALU_DEP_3) | instskip(NEXT) | instid1(VALU_DEP_3)
	v_dual_add_nc_u32 v49, v15, v46 :: v_dual_add_nc_u32 v31, 1, v23
	v_and_b32_e32 v33, -4, v27
	v_bfe_u32 v27, v0, 3, 7
	s_delay_alu instid0(VALU_DEP_4) | instskip(SKIP_2) | instid1(VALU_DEP_3)
	v_cmp_le_u32_e32 vcc_lo, s20, v21
	v_dual_ashrrev_i32 v29, 31, v29 :: v_dual_lshlrev_b32 v50, 6, v74
	s_lshr_b32 s6, s17, 27
	v_lshl_add_u32 v45, v1, 2, v27
	v_dual_cndmask_b32 v21, v23, v31, vcc_lo :: v_dual_lshlrev_b32 v23, 6, v72
	v_add3_u32 v48, v33, v10, 0x4200
	v_and_b32_e32 v33, 0x1fc, v56
	s_delay_alu instid0(VALU_DEP_4) | instskip(SKIP_3) | instid1(VALU_DEP_3)
	v_min_i32_e32 v76, s14, v45
	v_dual_lshlrev_b32 v35, 5, v13 :: v_dual_add_nc_u32 v39, v16, v19
	v_and_b32_e32 v31, 0x1fc, v54
	v_add_min_i32_e64 v80, v45, 64, s14
	v_dual_ashrrev_i32 v41, 31, v76 :: v_dual_add_nc_u32 v33, v35, v33
	v_and_b32_e32 v16, 3, v0
	s_delay_alu instid0(VALU_DEP_4) | instskip(SKIP_2) | instid1(VALU_DEP_4)
	v_dual_add_nc_u32 v31, v35, v31 :: v_dual_bitop2_b32 v21, v21, v29 bitop3:0x14
	v_add_min_i32_e64 v82, 0x60, v45, s14
	v_add_nc_u32_e32 v47, v25, v44
	v_add_nc_u16 v15, v16, -2
	v_cmp_gt_u32_e32 vcc_lo, 2, v16
	v_add_nc_u32_e32 v52, 0x60, v13
	v_sub_nc_u32_e32 v21, v21, v29
	v_add_min_i32_e64 v28, v1, 8, s14
	v_ashrrev_i32_e32 v19, 31, v80
	v_cndmask_b32_e32 v15, v15, v16, vcc_lo
	v_and_b32_e32 v29, 0x1fc, v52
	v_add_min_i32_e64 v30, v1, 16, s14
	v_add_min_i32_e64 v32, v1, 24, s14
	v_dual_add_nc_u32 v43, v20, v40 :: v_dual_ashrrev_i32 v20, 31, v82
	s_delay_alu instid0(VALU_DEP_4) | instskip(SKIP_4) | instid1(VALU_DEP_3)
	v_add_nc_u32_e32 v29, v35, v29
	v_dual_add_nc_u32 v35, v35, v37 :: v_dual_add_nc_u32 v37, v6, v18
	v_add_min_i32_e64 v6, v45, 32, s14
	v_dual_lshrrev_b32 v18, 30, v41 :: v_dual_add_nc_u32 v41, v17, v24
	v_dual_add_nc_u32 v45, v22, v42 :: v_dual_lshrrev_b32 v19, 30, v19
	v_ashrrev_i32_e32 v17, 31, v6
	s_delay_alu instid0(VALU_DEP_3) | instskip(SKIP_1) | instid1(VALU_DEP_2)
	v_dual_add_nc_u32 v18, v76, v18 :: v_dual_lshrrev_b32 v20, 30, v20
	v_dual_add_nc_u32 v51, v26, v23 :: v_dual_lshlrev_b32 v22, 5, v76
	v_dual_lshrrev_b32 v17, 30, v17 :: v_dual_bitop2_b32 v18, -4, v18 bitop3:0x40
	s_delay_alu instid0(VALU_DEP_3) | instskip(NEXT) | instid1(VALU_DEP_2)
	v_dual_add_nc_u32 v19, v80, v19 :: v_dual_add_nc_u32 v20, v82, v20
	v_dual_add_nc_u32 v53, v48, v50 :: v_dual_add_nc_u32 v17, v6, v17
	s_delay_alu instid0(VALU_DEP_3) | instskip(NEXT) | instid1(VALU_DEP_3)
	v_add3_u32 v18, v18, v14, 0x6300
	v_and_b32_e32 v19, -4, v19
	s_delay_alu instid0(VALU_DEP_4) | instskip(NEXT) | instid1(VALU_DEP_3)
	v_dual_lshlrev_b32 v23, 5, v6 :: v_dual_bitop2_b32 v20, -4, v20 bitop3:0x40
	v_dual_add_nc_u32 v55, v18, v22 :: v_dual_bitop2_b32 v17, -4, v17 bitop3:0x40
	v_lshlrev_b32_e32 v18, 5, v80
	s_delay_alu instid0(VALU_DEP_4) | instskip(NEXT) | instid1(VALU_DEP_4)
	v_add3_u32 v19, v19, v14, 0x6300
	v_add3_u32 v20, v20, v14, 0x6300
	s_delay_alu instid0(VALU_DEP_4)
	v_add3_u32 v17, v17, v14, 0x6300
	v_lshlrev_b32_e32 v63, 1, v16
	v_and_b32_e32 v16, 31, v0
	v_add_min_i32_e64 v34, v1, 32, s14
	v_add_min_i32_e64 v36, v1, 40, s14
	v_dual_add_nc_u32 v57, v17, v23 :: v_dual_lshlrev_b32 v17, 5, v82
	v_add_nc_u32_e32 v59, v19, v18
	v_mov_b32_e32 v19, v11
	v_add_min_i32_e64 v38, v1, 48, s14
	v_and_b32_e32 v22, 0xff, v15
	v_add_nc_u32_e32 v61, v20, v17
	v_lshlrev_b32_e32 v17, 2, v13
	v_add_min_i32_e64 v40, v1, 56, s14
	v_add_min_i32_e64 v42, v1, 64, s14
	;; [unrolled: 1-line block ×7, first 2 shown]
	v_lshl_add_u32 v65, v1, 7, 0x77a0
	v_add_min_i32_e64 v78, 0x70, v1, s14
	v_add_min_i32_e64 v84, 0x78, v1, s14
	v_dual_mov_b32 v1, v11 :: v_dual_bitop2_b32 v0, 28, v17 bitop3:0x40
	v_dual_mov_b32 v20, v11 :: v_dual_add_nc_u32 v69, 0x7ba0, v2
	s_add_co_i32 s6, s8, s6
	s_ashr_i32 s16, s5, 31
	s_ashr_i32 s6, s6, 5
	s_lshr_b32 s4, s16, 24
	v_dual_mov_b32 v15, v11 :: v_dual_lshlrev_b32 v18, 2, v22
	v_lshl_add_u32 v67, v16, 2, v65
	v_dual_add_nc_u32 v103, v69, v17 :: v_dual_lshlrev_b32 v2, 4, v56
	v_dual_lshrrev_b32 v26, 1, v56 :: v_dual_lshlrev_b32 v88, 1, v56
	v_dual_lshrrev_b32 v89, 4, v56 :: v_dual_lshrrev_b32 v104, 3, v56
	v_dual_lshlrev_b32 v56, 4, v54 :: v_dual_lshrrev_b32 v90, 1, v54
	v_dual_lshlrev_b32 v91, 1, v54 :: v_dual_lshrrev_b32 v92, 4, v54
	v_mul_lo_u32 v22, v21, s6
	v_dual_lshrrev_b32 v105, 3, v54 :: v_dual_lshlrev_b32 v54, 4, v52
	v_mul_u32_u24_e32 v16, 33, v13
	v_add_nc_u64_e32 v[24:25], s[2:3], v[0:1]
	v_lshlrev_b32_e32 v1, 1, v13
	s_add_co_i32 s4, s5, s4
	v_cmp_lt_u32_e64 s1, 7, v5
	s_ashr_i32 s4, s4, 8
	v_mad_u32 v71, 0x84, v7, v17
	v_mad_u32 v73, 0x84, v28, v17
	;; [unrolled: 1-line block ×16, first 2 shown]
	v_dual_lshrrev_b32 v93, 1, v52 :: v_dual_lshlrev_b32 v94, 1, v52
	v_dual_lshrrev_b32 v95, 4, v52 :: v_dual_lshrrev_b32 v106, 3, v52
	v_dual_lshlrev_b32 v107, 2, v16 :: v_dual_ashrrev_i32 v23, 31, v22
	v_dual_mov_b32 v16, v11 :: v_dual_lshlrev_b32 v111, 2, v1
	v_dual_lshlrev_b32 v112, 2, v26 :: v_dual_lshlrev_b32 v117, 2, v56
	v_dual_lshlrev_b32 v119, 2, v91 :: v_dual_lshlrev_b32 v121, 2, v54
	v_lshlrev_b32_e32 v122, 2, v95
	v_mul_lo_u32 v26, v7, s4
	v_mul_lo_u32 v28, v28, s4
	;; [unrolled: 1-line block ×29, first 2 shown]
	v_cmp_gt_i32_e64 s0, s7, v21
	v_dual_mov_b32 v21, v11 :: v_dual_lshlrev_b32 v0, 4, v13
	v_cndmask_b32_e64 v84, 0, 1, s1
	v_cmp_lt_u32_e64 s1, 3, v86
	s_mul_i32 s16, s4, s11
	v_cmp_gt_u32_e32 vcc_lo, 4, v13
	s_ashr_i32 s17, s16, 31
	v_dual_mov_b32 v17, v11 :: v_dual_lshlrev_b32 v108, 2, v3
	v_dual_lshlrev_b32 v109, 2, v0 :: v_dual_bitop2_b32 v110, 4, v1 bitop3:0x40
	v_dual_lshlrev_b32 v113, 2, v2 :: v_dual_lshlrev_b32 v114, 2, v89
	v_dual_lshlrev_b32 v115, 2, v88 :: v_dual_lshlrev_b32 v116, 2, v90
	;; [unrolled: 1-line block ×4, first 2 shown]
	v_add_nc_u32_e32 v124, 0x6f00, v29
	v_add_nc_u32_e32 v125, 0x6700, v33
	;; [unrolled: 1-line block ×3, first 2 shown]
	v_cndmask_b32_e64 v86, 0, 1, s1
	s_mul_u64 s[16:17], s[16:17], 0x6e
	s_and_b32 s8, vcc_lo, s0
	s_add_nc_u64 s[16:17], s[18:19], s[16:17]
	s_mov_b32 s14, s15
	s_branch .LBB230_5
.LBB230_4:                              ;   in Loop: Header=BB230_5 Depth=1
	s_add_co_i32 s14, s14, 2
	s_delay_alu instid0(SALU_CYCLE_1)
	s_cmp_ge_i32 s14, s4
	s_cbranch_scc1 .LBB230_38
.LBB230_5:                              ; =>This Loop Header: Depth=1
                                        ;     Child Loop BB230_11 Depth 2
                                        ;     Child Loop BB230_19 Depth 2
	;; [unrolled: 1-line block ×4, first 2 shown]
	s_mul_u64 s[18:19], s[14:15], 0x6e
	s_delay_alu instid0(SALU_CYCLE_1) | instskip(NEXT) | instid1(SALU_CYCLE_1)
	s_add_nc_u64 s[18:19], s[16:17], s[18:19]
	v_mad_nc_u64_u32 v[0:1], 0x6e, v8, s[18:19]
	v_mad_nc_i64_i32 v[2:3], 0x6e, v58, s[18:19]
	v_mad_nc_u64_u32 v[4:5], 0x6e, v84, s[18:19]
	v_mad_nc_u64_u32 v[6:7], 0x6e, v86, s[18:19]
	s_lshl_b32 s18, s14, 8
	s_delay_alu instid0(SALU_CYCLE_1) | instskip(NEXT) | instid1(VALU_DEP_4)
	s_cmp_lt_i32 s18, s5
	v_mad_nc_i64_i32 v[88:89], 0x6e, v26, v[0:1]
	v_mad_nc_i64_i32 v[90:91], 0x6e, v28, v[0:1]
	v_mad_nc_i64_i32 v[92:93], 0x6e, v30, v[0:1]
	v_mad_nc_i64_i32 v[94:95], 0x6e, v32, v[0:1]
	v_mad_nc_i64_i32 v[128:129], 0x6e, v34, v[0:1]
	v_mad_nc_i64_i32 v[130:131], 0x6e, v36, v[0:1]
	v_mad_nc_i64_i32 v[132:133], 0x6e, v38, v[0:1]
	v_mad_nc_i64_i32 v[134:135], 0x6e, v40, v[0:1]
	v_mad_nc_i64_i32 v[136:137], 0x6e, v42, v[0:1]
	v_mad_nc_u64_u32 v[2:3], 0x6e, v12, v[2:3]
	v_mad_nc_i64_i32 v[138:139], 0x6e, v44, v[0:1]
	v_add_nc_u64_e32 v[88:89], v[88:89], v[10:11]
	v_add_nc_u64_e32 v[90:91], v[90:91], v[10:11]
	;; [unrolled: 1-line block ×3, first 2 shown]
	v_mad_nc_i64_i32 v[140:141], 0x6e, v46, v[0:1]
	v_add_nc_u64_e32 v[94:95], v[94:95], v[10:11]
	v_mad_nc_i64_i32 v[142:143], 0x6e, v48, v[0:1]
	v_add_nc_u64_e32 v[128:129], v[128:129], v[10:11]
	v_add_nc_u64_e32 v[130:131], v[130:131], v[10:11]
	;; [unrolled: 1-line block ×5, first 2 shown]
	s_clause 0x7
	global_load_b32 v152, v[88:89], off offset:32
	global_load_b32 v153, v[90:91], off offset:32
	;; [unrolled: 1-line block ×8, first 2 shown]
	s_wait_xcnt 0x6
	v_mad_nc_i64_i32 v[90:91], 0x6e, v50, v[0:1]
	s_wait_xcnt 0x5
	v_mad_nc_i64_i32 v[92:93], 0x6e, v52, v[0:1]
	;; [unrolled: 2-line block ×3, first 2 shown]
	v_mad_nc_i64_i32 v[0:1], 0x6e, v56, v[0:1]
	s_wait_xcnt 0x0
	v_mad_nc_i64_i32 v[134:135], 0x6e, v80, v[6:7]
	v_mad_nc_i64_i32 v[148:149], 0x6e, v76, v[6:7]
	v_add_nc_u64_e32 v[88:89], v[136:137], v[10:11]
	v_mad_nc_i64_i32 v[136:137], 0x6e, v82, v[6:7]
	global_load_u16 v160, v[2:3], off offset:108
	s_wait_xcnt 0x0
	v_mad_nc_i64_i32 v[2:3], 0x6e, v60, v[4:5]
	v_add_nc_u64_e32 v[128:129], v[138:139], v[10:11]
	v_mad_nc_i64_i32 v[138:139], 0x6e, v62, v[4:5]
	v_mad_nc_i64_i32 v[6:7], 0x6e, v78, v[6:7]
	v_add_nc_u64_e32 v[130:131], v[140:141], v[10:11]
	v_mad_nc_i64_i32 v[140:141], 0x6e, v64, v[4:5]
	v_add_nc_u64_e32 v[132:133], v[142:143], v[10:11]
	v_mad_nc_i64_i32 v[142:143], 0x6e, v66, v[4:5]
	v_mad_nc_i64_i32 v[144:145], 0x6e, v68, v[4:5]
	;; [unrolled: 1-line block ×3, first 2 shown]
	v_add_nc_u64_e32 v[90:91], v[90:91], v[10:11]
	v_mad_nc_i64_i32 v[150:151], 0x6e, v72, v[4:5]
	v_add_nc_u64_e32 v[92:93], v[92:93], v[10:11]
	v_add_nc_u64_e32 v[94:95], v[94:95], v[10:11]
	;; [unrolled: 1-line block ×3, first 2 shown]
	s_clause 0x9
	global_load_b32 v161, v[134:135], off offset:104
	global_load_b32 v162, v[136:137], off offset:104
	;; [unrolled: 1-line block ×10, first 2 shown]
	s_wait_xcnt 0x0
	v_add_nc_u64_e32 v[0:1], v[148:149], v[18:19]
	v_add_nc_u64_e32 v[90:91], v[134:135], v[18:19]
	s_clause 0x6
	global_load_b32 v92, v[2:3], off
	global_load_b32 v93, v[138:139], off
	global_load_b32 v94, v[140:141], off
	global_load_b32 v95, v[142:143], off
	global_load_b32 v128, v[144:145], off
	global_load_b32 v129, v[146:147], off
	global_load_b32 v130, v[150:151], off
	s_wait_xcnt 0x6
	v_mad_nc_i64_i32 v[2:3], 0x6e, v74, v[4:5]
	v_add_nc_u64_e32 v[88:89], v[6:7], v[18:19]
	v_add_nc_u64_e32 v[4:5], v[136:137], v[18:19]
	s_clause 0x6
	global_load_b32 v131, v[0:1], off offset:96
	global_load_b32 v132, v[6:7], off offset:104
	;; [unrolled: 1-line block ×6, first 2 shown]
	global_load_b32 v137, v[2:3], off
	s_wait_loadcnt 0x20
	ds_store_b32 v71, v152
	s_wait_loadcnt 0x1f
	ds_store_b32 v73, v153
	s_wait_loadcnt 0x1e
	ds_store_b32 v75, v154
	s_wait_loadcnt 0x1d
	ds_store_b32 v77, v155
	s_wait_loadcnt 0x1c
	ds_store_b32 v79, v156
	s_wait_loadcnt 0x1b
	ds_store_b32 v81, v157
	s_wait_loadcnt 0x1a
	ds_store_b32 v83, v158
	s_wait_loadcnt 0x19
	ds_store_b32 v85, v159
	s_wait_loadcnt 0x15
	ds_store_b32 v87, v163
	s_wait_loadcnt 0x14
	ds_store_b32 v96, v164
	s_wait_loadcnt 0x13
	ds_store_b32 v97, v165
	s_wait_loadcnt 0x12
	ds_store_b32 v98, v166
	s_wait_loadcnt 0x11
	ds_store_b32 v99, v167
	s_wait_loadcnt 0x10
	ds_store_b32 v100, v168
	s_wait_loadcnt 0xf
	ds_store_b32 v101, v169
	s_wait_loadcnt 0xe
	ds_store_b32 v102, v170
	s_wait_xcnt 0x0
	v_cvt_f32_f16_e64 v2, v160
	s_wait_loadcnt 0xd
	v_not_b32_e32 v3, v92
	s_wait_loadcnt 0x6
	v_ashrrev_i32_e32 v90, v110, v131
	v_not_b32_e32 v4, v93
	s_wait_loadcnt 0x3
	v_dual_ashrrev_i32 v93, v63, v132 :: v_dual_ashrrev_i32 v92, v110, v134
	s_wait_loadcnt 0x2
	v_dual_ashrrev_i32 v91, v63, v135 :: v_dual_ashrrev_i32 v0, v63, v161
	v_ashrrev_i32_e32 v1, v63, v162
	v_not_b32_e32 v5, v94
	v_ashrrev_i32_e32 v94, v110, v133
	v_not_b32_e32 v6, v95
	s_wait_loadcnt 0x1
	v_ashrrev_i32_e32 v95, v110, v136
	v_not_b32_e32 v7, v128
	ds_store_b32 v37, v2
	ds_store_b32 v39, v3
	;; [unrolled: 1-line block ×6, first 2 shown]
	v_and_b32_e32 v2, 0xf0f0f0f, v90
	v_dual_lshlrev_b32 v3, 4, v91 :: v_dual_lshlrev_b32 v5, 4, v93
	v_and_b32_e32 v4, 0xf0f0f0f, v92
	v_dual_lshlrev_b32 v0, 4, v0 :: v_dual_lshlrev_b32 v1, 4, v1
	v_and_b32_e32 v6, 0xf0f0f0f, v94
	v_and_b32_e32 v7, 0xf0f0f0f, v95
	v_and_or_b32 v2, 0x30303030, v3, v2
	v_and_or_b32 v3, 0x30303030, v5, v4
	v_not_b32_e32 v88, v129
	v_and_or_b32 v0, 0x30303030, v0, v6
	v_and_or_b32 v1, 0x30303030, v1, v7
	v_lshlrev_b16 v4, 8, v2
	v_dual_lshrrev_b32 v5, 16, v2 :: v_dual_lshrrev_b32 v7, 16, v3
	v_lshlrev_b16 v6, 8, v3
	ds_store_b32 v49, v88
	v_lshlrev_b16 v88, 8, v0
	v_dual_lshrrev_b32 v90, 16, v0 :: v_dual_lshrrev_b32 v92, 16, v1
	v_add_nc_u16 v4, 0xe000, v4
	v_lshlrev_b16 v93, 8, v5
	v_add_nc_u16 v6, 0xe000, v6
	v_lshlrev_b16 v94, 8, v7
	;; [unrolled: 2-line block ×3, first 2 shown]
	v_lshlrev_b16 v91, 8, v1
	v_lshlrev_b16 v129, 8, v92
	v_lshrrev_b16 v4, 8, v4
	v_add_nc_u16 v93, 0xe000, v93
	v_lshrrev_b16 v6, 8, v6
	v_add_nc_u16 v94, 0xe000, v94
	;; [unrolled: 2-line block ×3, first 2 shown]
	v_add_nc_u16 v91, 0xe000, v91
	v_add_nc_u16 v129, 0xe000, v129
	v_bitop3_b16 v2, v2, v4, 0x3f00 bitop3:0xec
	v_lshrrev_b16 v4, 8, v93
	v_bitop3_b16 v3, v3, v6, 0x3f00 bitop3:0xec
	v_lshrrev_b16 v6, 8, v94
	;; [unrolled: 2-line block ×3, first 2 shown]
	v_lshrrev_b16 v91, 8, v91
	v_lshrrev_b16 v93, 8, v129
	v_bitop3_b16 v4, v5, v4, 0x3f00 bitop3:0xec
	v_bitop3_b16 v5, v7, v6, 0x3f00 bitop3:0xec
	;; [unrolled: 1-line block ×5, first 2 shown]
	v_add_nc_u16 v2, 0xe000, v2
	v_add_nc_u16 v4, 0xe000, v4
	;; [unrolled: 1-line block ×8, first 2 shown]
	v_and_b32_e32 v2, 0xffff, v2
	v_dual_lshlrev_b32 v4, 16, v4 :: v_dual_lshlrev_b32 v5, 16, v5
	v_and_b32_e32 v3, 0xffff, v3
	v_and_b32_e32 v0, 0xffff, v0
	v_dual_lshlrev_b32 v6, 16, v6 :: v_dual_lshlrev_b32 v7, 16, v7
	v_and_b32_e32 v1, 0xffff, v1
	v_not_b32_e32 v89, v130
	s_wait_loadcnt 0x0
	v_not_b32_e32 v128, v137
	v_or_b32_e32 v2, v2, v4
	v_or_b32_e32 v3, v3, v5
	;; [unrolled: 1-line block ×4, first 2 shown]
	ds_store_b32 v51, v89
	ds_store_b32 v53, v128
	;; [unrolled: 1-line block ×6, first 2 shown]
	s_cbranch_scc0 .LBB230_4
; %bb.6:                                ;   in Loop: Header=BB230_5 Depth=1
	s_lshl_b32 s19, s14, 3
	s_delay_alu instid0(SALU_CYCLE_1) | instskip(NEXT) | instid1(VALU_DEP_1)
	v_add_nc_u32_e32 v0, s19, v27
	v_cmp_gt_i32_e64 s1, s6, v0
	s_and_b32 s20, s0, s1
	s_delay_alu instid0(SALU_CYCLE_1)
	s_and_saveexec_b32 s1, s20
	s_cbranch_execz .LBB230_8
; %bb.7:                                ;   in Loop: Header=BB230_5 Depth=1
	v_add_nc_u32_e32 v0, v22, v0
	s_delay_alu instid0(VALU_DEP_1)
	v_mad_nc_i64_i32 v[0:1], v0, 36, v[24:25]
	global_load_b32 v0, v[0:1], off offset:4
	s_wait_loadcnt 0x0
	ds_store_b32 v67, v0
.LBB230_8:                              ;   in Loop: Header=BB230_5 Depth=1
	s_or_b32 exec_lo, exec_lo, s1
	v_add_nc_u32_e32 v88, s19, v13
	s_delay_alu instid0(VALU_DEP_1) | instskip(SKIP_1) | instid1(SALU_CYCLE_1)
	v_cmp_gt_i32_e64 s1, s6, v88
	s_and_b32 s20, s8, s1
	s_and_saveexec_b32 s1, s20
	s_cbranch_execz .LBB230_10
; %bb.9:                                ;   in Loop: Header=BB230_5 Depth=1
	v_add_nc_u32_e32 v0, v22, v88
	s_delay_alu instid0(VALU_DEP_1)
	v_mad_nc_i64_i32 v[0:1], v0, 36, s[2:3]
	global_load_b32 v0, v[0:1], off
	s_wait_loadcnt 0x0
	v_cvt_f32_f16_e32 v0, v0
	ds_store_b32 v103, v0
.LBB230_10:                             ;   in Loop: Header=BB230_5 Depth=1
	s_or_b32 exec_lo, exec_lo, s1
	v_dual_mov_b32 v89, v69 :: v_dual_mov_b32 v91, v65
	s_mov_b32 s22, -2
	s_mov_b32 s1, 0
	s_mov_b32 s20, 0
	s_wait_dscnt 0x0
	s_barrier_signal -1
	s_barrier_wait -1
.LBB230_11:                             ;   Parent Loop BB230_5 Depth=1
                                        ; =>  This Inner Loop Header: Depth=2
	s_add_co_i32 s21, s22, 2
	s_and_b32 s23, s20, -16
	s_and_b32 s25, s21, 0x3ffffff8
	s_lshr_b32 s24, s21, 4
	s_add_co_i32 s22, s22, s23
	v_lshl_add_u32 v92, s25, 2, v107
	s_lshl_b32 s23, s24, 5
	v_dual_add_nc_u32 v93, s22, v125 :: v_dual_add_nc_u32 v94, s22, v124
	s_lshl_b32 s24, s24, 2
	v_dual_add_nc_u32 v95, s22, v31 :: v_dual_add_nc_u32 v128, s22, v126
	s_addk_co_i32 s23, 0x4200
	s_addk_co_i32 s24, 0x7380
	v_add3_u32 v129, s23, v108, v109
	v_add_nc_u32_e32 v194, 0x2118, v92
	v_add_nc_u32_e32 v196, 0x3180, v92
	;; [unrolled: 1-line block ×5, first 2 shown]
	ds_load_b128 v[4:7], v91
	ds_load_b128 v[0:3], v91 offset:16
	ds_load_b32 v90, v89
	v_add3_u32 v130, s24, v127, v111
	v_add3_u32 v131, s23, v112, v113
	;; [unrolled: 1-line block ×7, first 2 shown]
	ds_load_2addr_b32 v[144:145], v92 offset1:1
	ds_load_2addr_b32 v[146:147], v92 offset0:2 offset1:3
	ds_load_2addr_b32 v[148:149], v92 offset0:4 offset1:5
	;; [unrolled: 1-line block ×3, first 2 shown]
	v_add_nc_u32_e32 v137, 0x1080, v92
	v_add_nc_u32_e32 v138, 0x1088, v92
	;; [unrolled: 1-line block ×7, first 2 shown]
	ds_load_u16 v208, v93 offset:2
	ds_load_u16 v209, v94 offset:2
	ds_load_u16 v210, v95 offset:27394
	ds_load_u16 v211, v128 offset:2
	ds_load_2addr_b32 v[152:153], v129 offset1:1
	ds_load_2addr_b32 v[154:155], v129 offset0:2 offset1:3
	ds_load_2addr_b32 v[156:157], v129 offset0:4 offset1:5
	;; [unrolled: 1-line block ×5, first 2 shown]
	ds_load_b32 v95, v132
	ds_load_b32 v92, v134
	ds_load_2addr_b32 v[164:165], v135 offset0:2 offset1:3
	ds_load_2addr_b32 v[166:167], v135 offset0:4 offset1:5
	ds_load_b32 v93, v136
	ds_load_b32 v94, v130
	ds_load_2addr_b32 v[168:169], v131 offset1:1
	ds_load_2addr_b32 v[170:171], v131 offset0:6 offset1:7
	ds_load_2addr_b32 v[172:173], v133 offset1:1
	ds_load_2addr_b32 v[174:175], v133 offset0:2 offset1:3
	ds_load_2addr_b32 v[176:177], v133 offset0:4 offset1:5
	;; [unrolled: 1-line block ×3, first 2 shown]
	ds_load_2addr_b32 v[180:181], v135 offset1:1
	ds_load_2addr_b32 v[182:183], v135 offset0:6 offset1:7
	ds_load_2addr_b32 v[184:185], v137 offset1:1
	ds_load_2addr_b32 v[186:187], v138 offset1:1
	;; [unrolled: 1-line block ×12, first 2 shown]
	s_wait_dscnt 0x16
	v_dual_ashrrev_i32 v166, s1, v166 :: v_dual_ashrrev_i32 v167, s1, v167
	v_dual_ashrrev_i32 v152, s1, v152 :: v_dual_ashrrev_i32 v153, s1, v153
	;; [unrolled: 1-line block ×3, first 2 shown]
	s_delay_alu instid0(VALU_DEP_3) | instskip(SKIP_3) | instid1(VALU_DEP_3)
	v_dual_lshlrev_b32 v166, 2, v166 :: v_dual_lshlrev_b32 v167, 2, v167
	s_wait_dscnt 0xd
	v_dual_ashrrev_i32 v180, s1, v180 :: v_dual_ashrrev_i32 v181, s1, v181
	v_dual_lshlrev_b32 v152, 2, v152 :: v_dual_lshlrev_b32 v153, 2, v153
	v_and_b32_e32 v167, 0x4040404, v167
	v_and_b32_e32 v166, 0x4040404, v166
	s_wait_dscnt 0x5
	v_dual_ashrrev_i32 v196, s21, v196 :: v_dual_ashrrev_i32 v197, s21, v197
	v_dual_lshlrev_b32 v180, 2, v180 :: v_dual_lshlrev_b32 v181, 2, v181
	s_wait_dscnt 0x1
	v_dual_ashrrev_i32 v204, s21, v204 :: v_dual_ashrrev_i32 v205, s21, v205
	s_set_vgpr_msb 64                       ;  msbs: dst=1 src0=0 src1=0 src2=0
	v_bfe_u32 v19 /*v275*/, v197, 24, 2
	s_set_vgpr_msb 0                        ;  msbs: dst=0 src0=0 src1=0 src2=0
	v_and_b32_e32 v197, 0x3030303, v197
	s_set_vgpr_msb 64                       ;  msbs: dst=1 src0=0 src1=0 src2=0
	v_lshrrev_b32_e32 v69 /*v325*/, 24, v167
	v_and_b32_e32 v15 /*v271*/, 0x3030303, v204
	v_bfe_u32 v16 /*v272*/, v205, 24, 2
	s_set_vgpr_msb 0                        ;  msbs: dst=0 src0=0 src1=0 src2=0
	v_and_b32_e32 v205, 0x3030303, v205
	v_bfe_u32 v204, v204, 24, 2
	s_set_vgpr_msb 64                       ;  msbs: dst=1 src0=0 src1=0 src2=0
	v_lshrrev_b32_e32 v33 /*v289*/, 16, v197
	s_set_vgpr_msb 0                        ;  msbs: dst=0 src0=0 src1=0 src2=0
	v_and_b32_e32 v152, 0x4040404, v152
	s_set_vgpr_msb 0x45                     ;  msbs: dst=1 src0=1 src1=1 src2=0
	v_sub_nc_u16 v16 /*v272*/, v16 /*v272*/, v69 /*v325*/
	s_set_vgpr_msb 64                       ;  msbs: dst=1 src0=0 src1=0 src2=0
	v_dual_lshrrev_b32 v31 /*v287*/, 16, v205 :: v_dual_lshrrev_b32 v69 /*v325*/, 24, v166
	s_set_vgpr_msb 0                        ;  msbs: dst=0 src0=0 src1=0 src2=0
	v_dual_ashrrev_i32 v156, s1, v156 :: v_dual_ashrrev_i32 v157, s1, v157
	v_dual_lshlrev_b32 v158, 2, v158 :: v_dual_lshlrev_b32 v159, 2, v159
	s_set_vgpr_msb 4                        ;  msbs: dst=0 src0=0 src1=1 src2=0
	v_sub_nc_u16 v204, v204, v69 /*v325*/
	s_set_vgpr_msb 64                       ;  msbs: dst=1 src0=0 src1=0 src2=0
	v_lshrrev_b32_e32 v69 /*v325*/, 16, v167
	v_and_b32_e32 v14 /*v270*/, 0x3030303, v196
	s_set_vgpr_msb 0                        ;  msbs: dst=0 src0=0 src1=0 src2=0
	v_and_b32_e32 v181, 0x4040404, v181
	s_set_vgpr_msb 0x44                     ;  msbs: dst=1 src0=0 src1=1 src2=0
	v_lshrrev_b32_e32 v30 /*v286*/, 16, v15 /*v271*/
	s_set_vgpr_msb 0                        ;  msbs: dst=0 src0=0 src1=0 src2=0
	v_dual_lshlrev_b32 v156, 2, v156 :: v_dual_lshlrev_b32 v157, 2, v157
	s_set_vgpr_msb 0x45                     ;  msbs: dst=1 src0=1 src1=1 src2=0
	v_sub_nc_u16 v31 /*v287*/, v31 /*v287*/, v69 /*v325*/
	s_set_vgpr_msb 64                       ;  msbs: dst=1 src0=0 src1=0 src2=0
	v_lshrrev_b32_e32 v69 /*v325*/, 16, v166
	s_set_vgpr_msb 0                        ;  msbs: dst=0 src0=0 src1=0 src2=0
	v_and_b32_e32 v180, 0x4040404, v180
	v_and_b32_e32 v158, 0x4040404, v158
	s_set_vgpr_msb 0x44                     ;  msbs: dst=1 src0=0 src1=1 src2=0
	v_lshrrev_b32_e32 v32 /*v288*/, 16, v14 /*v270*/
	s_set_vgpr_msb 0                        ;  msbs: dst=0 src0=0 src1=0 src2=0
	v_bfe_u32 v196, v196, 24, 2
	s_set_vgpr_msb 0x45                     ;  msbs: dst=1 src0=1 src1=1 src2=0
	v_sub_nc_u16 v30 /*v286*/, v30 /*v286*/, v69 /*v325*/
	s_set_vgpr_msb 64                       ;  msbs: dst=1 src0=0 src1=0 src2=0
	v_lshrrev_b32_e32 v69 /*v325*/, 24, v181
	s_set_vgpr_msb 0                        ;  msbs: dst=0 src0=0 src1=0 src2=0
	v_and_b32_e32 v157, 0x4040404, v157
	v_dual_ashrrev_i32 v144, s21, v144 :: v_dual_ashrrev_i32 v145, s21, v145
	v_and_b32_e32 v159, 0x4040404, v159
	s_set_vgpr_msb 0x45                     ;  msbs: dst=1 src0=1 src1=1 src2=0
	v_sub_nc_u16 v19 /*v275*/, v19 /*v275*/, v69 /*v325*/
	s_set_vgpr_msb 64                       ;  msbs: dst=1 src0=0 src1=0 src2=0
	v_lshrrev_b32_e32 v69 /*v325*/, 24, v180
	s_set_vgpr_msb 0                        ;  msbs: dst=0 src0=0 src1=0 src2=0
	v_and_b32_e32 v238, 0x3030303, v144
	s_set_vgpr_msb 0x44                     ;  msbs: dst=1 src0=0 src1=1 src2=0
	v_lshrrev_b16 v34 /*v290*/, 8, v14 /*v270*/
	s_set_vgpr_msb 0x41                     ;  msbs: dst=1 src0=1 src1=0 src2=0
	v_sub_nc_u16 v14 /*v270*/, v14 /*v270*/, v180
	s_set_vgpr_msb 0                        ;  msbs: dst=0 src0=0 src1=0 src2=0
	v_dual_ashrrev_i32 v148, s21, v148 :: v_dual_ashrrev_i32 v149, s21, v149
	s_set_vgpr_msb 4                        ;  msbs: dst=0 src0=0 src1=1 src2=0
	v_sub_nc_u16 v196, v196, v69 /*v325*/
	s_set_vgpr_msb 64                       ;  msbs: dst=1 src0=0 src1=0 src2=0
	v_lshrrev_b32_e32 v69 /*v325*/, 16, v181
	s_set_vgpr_msb 0                        ;  msbs: dst=0 src0=0 src1=0 src2=0
	v_and_b32_e32 v239, 0x3030303, v145
	v_lshrrev_b32_e32 v247, 16, v238
	v_dual_ashrrev_i32 v154, s1, v154 :: v_dual_ashrrev_i32 v155, s1, v155
	s_set_vgpr_msb 0x45                     ;  msbs: dst=1 src0=1 src1=1 src2=0
	v_sub_nc_u16 v33 /*v289*/, v33 /*v289*/, v69 /*v325*/
	s_set_vgpr_msb 64                       ;  msbs: dst=1 src0=0 src1=0 src2=0
	v_lshrrev_b32_e32 v69 /*v325*/, 16, v180
	s_set_vgpr_msb 1                        ;  msbs: dst=0 src0=1 src1=0 src2=0
	v_lshrrev_b16 v180, 8, v180
	v_and_b32_e32 v242, 0x3030303, v148
	v_lshrrev_b16 v246, 8, v238
	v_lshrrev_b32_e32 v249, 16, v239
	v_and_b32_e32 v153, 0x4040404, v153
	v_sub_nc_u16 v180, v34 /*v290*/, v180
	s_set_vgpr_msb 64                       ;  msbs: dst=1 src0=0 src1=0 src2=0
	v_lshrrev_b32_e32 v34 /*v290*/, 16, v152
	s_set_vgpr_msb 0                        ;  msbs: dst=0 src0=0 src1=0 src2=0
	v_sub_nc_u16 v238, v238, v152
	v_dual_ashrrev_i32 v146, s21, v146 :: v_dual_ashrrev_i32 v147, s21, v147
	v_dual_lshlrev_b32 v154, 2, v154 :: v_dual_lshlrev_b32 v155, 2, v155
	s_set_vgpr_msb 4                        ;  msbs: dst=0 src0=0 src1=1 src2=0
	v_sub_nc_u16 v247, v247, v34 /*v290*/
	s_set_vgpr_msb 64                       ;  msbs: dst=1 src0=0 src1=0 src2=0
	v_lshrrev_b32_e32 v34 /*v290*/, 24, v152
	s_set_vgpr_msb 0                        ;  msbs: dst=0 src0=0 src1=0 src2=0
	v_lshrrev_b16 v152, 8, v152
	v_lshrrev_b32_e32 v255, 16, v242
	v_and_b32_e32 v240, 0x3030303, v146
	v_lshrrev_b16 v248, 8, v239
	v_and_b32_e32 v154, 0x4040404, v154
	v_sub_nc_u16 v152, v246, v152
	v_lshrrev_b32_e32 v246, 16, v153
	v_sub_nc_u16 v239, v239, v153
	v_lshrrev_b16 v251, 8, v240
	v_and_b32_e32 v241, 0x3030303, v147
	v_lshrrev_b32_e32 v250, 16, v240
	v_sub_nc_u16 v246, v249, v246
	v_lshrrev_b32_e32 v249, 24, v153
	v_lshrrev_b16 v153, 8, v153
	v_and_b32_e32 v155, 0x4040404, v155
	v_sub_nc_u16 v240, v240, v154
	v_lshrrev_b32_e32 v253, 16, v241
	v_lshrrev_b16 v252, 8, v241
	v_sub_nc_u16 v153, v248, v153
	v_lshrrev_b16 v248, 8, v154
	v_and_b32_e32 v156, 0x4040404, v156
	v_sub_nc_u16 v241, v241, v155
	v_dual_ashrrev_i32 v150, s21, v150 :: v_dual_ashrrev_i32 v151, s21, v151
	s_delay_alu instid0(VALU_DEP_4)
	v_sub_nc_u16 v248, v251, v248
	v_dual_lshrrev_b32 v251, 24, v154 :: v_dual_lshrrev_b32 v154, 16, v154
	v_and_b32_e32 v243, 0x3030303, v149
	v_lshrrev_b16 v254, 8, v242
	v_sub_nc_u16 v242, v242, v156
	v_and_b32_e32 v244, 0x3030303, v150
	v_sub_nc_u16 v154, v250, v154
	v_lshrrev_b32_e32 v250, 16, v155
	s_set_vgpr_msb 64                       ;  msbs: dst=1 src0=0 src1=0 src2=0
	v_lshrrev_b32_e32 v1 /*v257*/, 16, v243
	s_set_vgpr_msb 0                        ;  msbs: dst=0 src0=0 src1=0 src2=0
	v_dual_ashrrev_i32 v160, s1, v160 :: v_dual_ashrrev_i32 v161, s1, v161
	s_set_vgpr_msb 64                       ;  msbs: dst=1 src0=0 src1=0 src2=0
	v_lshrrev_b16 v0 /*v256*/, 8, v243
	s_set_vgpr_msb 0                        ;  msbs: dst=0 src0=0 src1=0 src2=0
	v_sub_nc_u16 v250, v253, v250
	v_lshrrev_b32_e32 v253, 24, v155
	v_lshrrev_b16 v155, 8, v155
	s_set_vgpr_msb 64                       ;  msbs: dst=1 src0=0 src1=0 src2=0
	v_lshrrev_b32_e32 v2 /*v258*/, 16, v244
	s_set_vgpr_msb 0                        ;  msbs: dst=0 src0=0 src1=0 src2=0
	v_sub_nc_u16 v243, v243, v157
	v_dual_lshlrev_b32 v160, 2, v160 :: v_dual_lshlrev_b32 v161, 2, v161
	v_sub_nc_u16 v155, v252, v155
	v_lshrrev_b32_e32 v252, 16, v156
	s_set_vgpr_msb 64                       ;  msbs: dst=1 src0=0 src1=0 src2=0
	v_lshrrev_b16 v3 /*v259*/, 8, v244
	s_set_vgpr_msb 0                        ;  msbs: dst=0 src0=0 src1=0 src2=0
	v_and_b32_e32 v245, 0x3030303, v151
	v_dual_ashrrev_i32 v198, s21, v198 :: v_dual_ashrrev_i32 v199, s21, v199
	v_sub_nc_u16 v252, v255, v252
	v_lshrrev_b32_e32 v255, 24, v156
	v_lshrrev_b16 v156, 8, v156
	v_and_b32_e32 v160, 0x4040404, v160
	v_sub_nc_u16 v244, v244, v158
	v_dual_ashrrev_i32 v186, s21, v186 :: v_dual_ashrrev_i32 v187, s21, v187
	s_delay_alu instid0(VALU_DEP_4)
	v_sub_nc_u16 v156, v254, v156
	v_lshrrev_b32_e32 v254, 16, v157
	s_set_vgpr_msb 64                       ;  msbs: dst=1 src0=0 src1=0 src2=0
	v_bfe_u32 v24 /*v280*/, v199, 24, 2
	s_set_vgpr_msb 0                        ;  msbs: dst=0 src0=0 src1=0 src2=0
	v_and_b32_e32 v199, 0x3030303, v199
	s_set_vgpr_msb 64                       ;  msbs: dst=1 src0=0 src1=0 src2=0
	v_lshrrev_b32_e32 v5 /*v261*/, 16, v245
	s_set_vgpr_msb 1                        ;  msbs: dst=0 src0=1 src1=0 src2=0
	v_dual_ashrrev_i32 v162, s1, v162 :: v_dual_ashrrev_i32 v163, s1, v163
	v_sub_nc_u16 v254, v1 /*v257*/, v254
	s_set_vgpr_msb 64                       ;  msbs: dst=1 src0=0 src1=0 src2=0
	v_lshrrev_b32_e32 v1 /*v257*/, 24, v157
	s_set_vgpr_msb 0                        ;  msbs: dst=0 src0=0 src1=0 src2=0
	v_lshrrev_b16 v157, 8, v157
	v_bfe_u32 v151, v151, 24, 2
	v_dual_ashrrev_i32 v184, s21, v184 :: v_dual_ashrrev_i32 v185, s21, v185
	s_set_vgpr_msb 64                       ;  msbs: dst=1 src0=0 src1=0 src2=0
	v_lshrrev_b16 v4 /*v260*/, 8, v245
	s_set_vgpr_msb 1                        ;  msbs: dst=0 src0=1 src1=0 src2=0
	v_sub_nc_u16 v157, v0 /*v256*/, v157
	s_set_vgpr_msb 64                       ;  msbs: dst=1 src0=0 src1=0 src2=0
	v_lshrrev_b16 v0 /*v256*/, 8, v158
	v_and_b32_e32 v8 /*v264*/, 0x3030303, v186
	v_lshrrev_b32_e32 v49 /*v305*/, 16, v199
	s_set_vgpr_msb 0                        ;  msbs: dst=0 src0=0 src1=0 src2=0
	v_sub_nc_u16 v245, v245, v159
	v_dual_ashrrev_i32 v164, s1, v164 :: v_dual_ashrrev_i32 v165, s1, v165
	s_set_vgpr_msb 0x45                     ;  msbs: dst=1 src0=1 src1=1 src2=0
	v_sub_nc_u16 v0 /*v256*/, v3 /*v259*/, v0 /*v256*/
	s_set_vgpr_msb 64                       ;  msbs: dst=1 src0=0 src1=0 src2=0
	v_lshrrev_b32_e32 v3 /*v259*/, 24, v158
	s_set_vgpr_msb 1                        ;  msbs: dst=0 src0=1 src1=0 src2=0
	v_dual_lshrrev_b32 v158, 16, v158 :: v_dual_ashrrev_i32 v168, s1, v168
	v_dual_ashrrev_i32 v169, s1, v169 :: v_dual_ashrrev_i32 v200, s21, v200
	v_ashrrev_i32_e32 v201, s21, v201
	s_delay_alu instid0(VALU_DEP_3)
	v_sub_nc_u16 v158, v2 /*v258*/, v158
	s_set_vgpr_msb 64                       ;  msbs: dst=1 src0=0 src1=0 src2=0
	v_lshrrev_b32_e32 v2 /*v258*/, 16, v159
	s_set_vgpr_msb 0                        ;  msbs: dst=0 src0=0 src1=0 src2=0
	v_dual_lshlrev_b32 v162, 2, v162 :: v_dual_lshlrev_b32 v163, 2, v163
	s_set_vgpr_msb 64                       ;  msbs: dst=1 src0=0 src1=0 src2=0
	v_and_b32_e32 v6 /*v262*/, 0x3030303, v184
	s_set_vgpr_msb 0                        ;  msbs: dst=0 src0=0 src1=0 src2=0
	v_bfe_u32 v186, v186, 24, 2
	s_set_vgpr_msb 0x45                     ;  msbs: dst=1 src0=1 src1=1 src2=0
	v_sub_nc_u16 v2 /*v258*/, v5 /*v261*/, v2 /*v258*/
	s_set_vgpr_msb 64                       ;  msbs: dst=1 src0=0 src1=0 src2=0
	v_lshrrev_b32_e32 v5 /*v261*/, 24, v159
	s_set_vgpr_msb 0                        ;  msbs: dst=0 src0=0 src1=0 src2=0
	v_lshrrev_b16 v159, 8, v159
	s_set_vgpr_msb 64                       ;  msbs: dst=1 src0=0 src1=0 src2=0
	v_and_b32_e32 v9 /*v265*/, 0x3030303, v187
	s_set_vgpr_msb 0                        ;  msbs: dst=0 src0=0 src1=0 src2=0
	v_and_b32_e32 v161, 0x4040404, v161
	s_set_vgpr_msb 0x44                     ;  msbs: dst=1 src0=0 src1=1 src2=0
	v_lshrrev_b16 v41 /*v297*/, 8, v8 /*v264*/
	s_set_vgpr_msb 4                        ;  msbs: dst=0 src0=0 src1=1 src2=0
	v_sub_nc_u16 v151, v151, v5 /*v261*/
	s_set_vgpr_msb 64                       ;  msbs: dst=1 src0=0 src1=0 src2=0
	v_lshrrev_b32_e32 v5 /*v261*/, 24, v160
	s_set_vgpr_msb 1                        ;  msbs: dst=0 src0=1 src1=0 src2=0
	v_sub_nc_u16 v159, v4 /*v260*/, v159
	s_set_vgpr_msb 64                       ;  msbs: dst=1 src0=0 src1=0 src2=0
	v_lshrrev_b16 v4 /*v260*/, 8, v160
	s_set_vgpr_msb 0                        ;  msbs: dst=0 src0=0 src1=0 src2=0
	v_dual_ashrrev_i32 v170, s1, v170 :: v_dual_ashrrev_i32 v171, s1, v171
	v_dual_ashrrev_i32 v172, s1, v172 :: v_dual_ashrrev_i32 v173, s1, v173
	v_bfe_u32 v144, v144, 24, 2
	v_dual_lshlrev_b32 v164, 2, v164 :: v_dual_lshlrev_b32 v165, 2, v165
	v_dual_lshlrev_b32 v168, 2, v168 :: v_dual_lshlrev_b32 v169, 2, v169
	v_bfe_u32 v187, v187, 24, 2
	s_set_vgpr_msb 64                       ;  msbs: dst=1 src0=0 src1=0 src2=0
	v_and_b32_e32 v10 /*v266*/, 0x3030303, v200
	v_and_b32_e32 v11 /*v267*/, 0x3030303, v201
	s_set_vgpr_msb 0                        ;  msbs: dst=0 src0=0 src1=0 src2=0
	v_and_b32_e32 v162, 0x4040404, v162
	v_and_b32_e32 v163, 0x4040404, v163
	s_set_vgpr_msb 0x44                     ;  msbs: dst=1 src0=0 src1=1 src2=0
	v_dual_lshrrev_b32 v38 /*v294*/, 16, v6 /*v262*/ :: v_dual_lshrrev_b32 v40 /*v296*/, 16, v8 /*v264*/
	v_lshrrev_b16 v42 /*v298*/, 8, v9 /*v265*/
	v_dual_lshrrev_b32 v43 /*v299*/, 16, v9 /*v265*/ :: v_dual_lshrrev_b32 v45 /*v301*/, 16, v10 /*v266*/
	s_set_vgpr_msb 0x41                     ;  msbs: dst=1 src0=1 src1=0 src2=0
	v_sub_nc_u16 v8 /*v264*/, v8 /*v264*/, v160
	s_set_vgpr_msb 0                        ;  msbs: dst=0 src0=0 src1=0 src2=0
	v_lshrrev_b32_e32 v160, 16, v160
	s_set_vgpr_msb 0x45                     ;  msbs: dst=1 src0=1 src1=1 src2=0
	v_sub_nc_u16 v4 /*v260*/, v41 /*v297*/, v4 /*v260*/
	s_set_vgpr_msb 64                       ;  msbs: dst=1 src0=0 src1=0 src2=0
	v_lshrrev_b32_e32 v41 /*v297*/, 24, v161
	s_set_vgpr_msb 4                        ;  msbs: dst=0 src0=0 src1=1 src2=0
	v_sub_nc_u16 v186, v186, v5 /*v261*/
	s_set_vgpr_msb 0x41                     ;  msbs: dst=1 src0=1 src1=0 src2=0
	v_lshrrev_b32_e32 v5 /*v261*/, 16, v161
	v_sub_nc_u16 v9 /*v265*/, v9 /*v265*/, v161
	s_set_vgpr_msb 0                        ;  msbs: dst=0 src0=0 src1=0 src2=0
	v_lshrrev_b16 v161, 8, v161
	v_dual_ashrrev_i32 v174, s1, v174 :: v_dual_ashrrev_i32 v175, s1, v175
	v_dual_ashrrev_i32 v176, s1, v176 :: v_dual_ashrrev_i32 v177, s1, v177
	;; [unrolled: 1-line block ×6, first 2 shown]
	v_dual_lshlrev_b32 v170, 2, v170 :: v_dual_lshlrev_b32 v171, 2, v171
	v_dual_lshlrev_b32 v172, 2, v172 :: v_dual_lshlrev_b32 v173, 2, v173
	v_bfe_u32 v200, v200, 24, 2
	v_bfe_u32 v201, v201, 24, 2
	s_set_vgpr_msb 64                       ;  msbs: dst=1 src0=0 src1=0 src2=0
	v_and_b32_e32 v20 /*v276*/, 0x3030303, v198
	s_set_vgpr_msb 0                        ;  msbs: dst=0 src0=0 src1=0 src2=0
	v_and_b32_e32 v164, 0x4040404, v164
	v_and_b32_e32 v165, 0x4040404, v165
	;; [unrolled: 1-line block ×3, first 2 shown]
	s_set_vgpr_msb 0x44                     ;  msbs: dst=1 src0=0 src1=1 src2=0
	v_lshrrev_b16 v44 /*v300*/, 8, v10 /*v266*/
	v_dual_lshrrev_b32 v47 /*v303*/, 16, v11 /*v267*/ :: v_dual_lshrrev_b32 v48 /*v304*/, 16, v20 /*v276*/
	s_set_vgpr_msb 4                        ;  msbs: dst=0 src0=0 src1=1 src2=0
	v_sub_nc_u16 v144, v144, v34 /*v290*/
	s_set_vgpr_msb 1                        ;  msbs: dst=0 src0=1 src1=0 src2=0
	v_sub_nc_u16 v160, v40 /*v296*/, v160
	s_set_vgpr_msb 64                       ;  msbs: dst=1 src0=0 src1=0 src2=0
	v_lshrrev_b32_e32 v40 /*v296*/, 16, v162
	s_set_vgpr_msb 0x45                     ;  msbs: dst=1 src0=1 src1=1 src2=0
	v_sub_nc_u16 v5 /*v261*/, v43 /*v299*/, v5 /*v261*/
	s_set_vgpr_msb 0x41                     ;  msbs: dst=1 src0=1 src1=0 src2=0
	v_lshrrev_b32_e32 v43 /*v299*/, 24, v162
	v_sub_nc_u16 v10 /*v266*/, v10 /*v266*/, v162
	s_set_vgpr_msb 0                        ;  msbs: dst=0 src0=0 src1=0 src2=0
	v_lshrrev_b16 v162, 8, v162
	s_set_vgpr_msb 4                        ;  msbs: dst=0 src0=0 src1=1 src2=0
	v_sub_nc_u16 v187, v187, v41 /*v297*/
	s_set_vgpr_msb 64                       ;  msbs: dst=1 src0=0 src1=0 src2=0
	v_lshrrev_b32_e32 v41 /*v297*/, 16, v163
	s_set_vgpr_msb 1                        ;  msbs: dst=0 src0=1 src1=0 src2=0
	v_sub_nc_u16 v161, v42 /*v298*/, v161
	s_set_vgpr_msb 64                       ;  msbs: dst=1 src0=0 src1=0 src2=0
	v_lshrrev_b32_e32 v42 /*v298*/, 24, v163
	s_set_vgpr_msb 0                        ;  msbs: dst=0 src0=0 src1=0 src2=0
	v_dual_ashrrev_i32 v190, s21, v190 :: v_dual_ashrrev_i32 v191, s21, v191
	v_dual_ashrrev_i32 v192, s21, v192 :: v_dual_ashrrev_i32 v193, s21, v193
	;; [unrolled: 1-line block ×3, first 2 shown]
	s_wait_dscnt 0x0
	v_dual_ashrrev_i32 v206, s21, v206 :: v_dual_ashrrev_i32 v207, s21, v207
	v_dual_lshlrev_b32 v182, 2, v182 :: v_dual_lshlrev_b32 v183, 2, v183
	v_dual_lshlrev_b32 v174, 2, v174 :: v_dual_lshlrev_b32 v175, 2, v175
	;; [unrolled: 1-line block ×4, first 2 shown]
	v_bfe_u32 v184, v184, 24, 2
	s_set_vgpr_msb 64                       ;  msbs: dst=1 src0=0 src1=0 src2=0
	v_and_b32_e32 v7 /*v263*/, 0x3030303, v185
	v_and_b32_e32 v12 /*v268*/, 0x3030303, v202
	;; [unrolled: 1-line block ×5, first 2 shown]
	s_set_vgpr_msb 0                        ;  msbs: dst=0 src0=0 src1=0 src2=0
	v_bfe_u32 v198, v198, 24, 2
	v_and_b32_e32 v169, 0x4040404, v169
	v_and_b32_e32 v170, 0x4040404, v170
	;; [unrolled: 1-line block ×5, first 2 shown]
	s_set_vgpr_msb 0x44                     ;  msbs: dst=1 src0=0 src1=1 src2=0
	v_lshrrev_b16 v36 /*v292*/, 8, v20 /*v276*/
	v_lshrrev_b16 v46 /*v302*/, 8, v11 /*v267*/
	s_set_vgpr_msb 64                       ;  msbs: dst=1 src0=0 src1=0 src2=0
	v_lshrrev_b16 v50 /*v306*/, 8, v199
	s_set_vgpr_msb 0x44                     ;  msbs: dst=1 src0=0 src1=1 src2=0
	v_lshrrev_b16 v53 /*v309*/, 8, v15 /*v271*/
	s_set_vgpr_msb 64                       ;  msbs: dst=1 src0=0 src1=0 src2=0
	v_lshrrev_b16 v55 /*v311*/, 8, v205
	s_set_vgpr_msb 0x45                     ;  msbs: dst=1 src0=1 src1=1 src2=0
	v_sub_nc_u16 v32 /*v288*/, v32 /*v288*/, v69 /*v325*/
	s_set_vgpr_msb 64                       ;  msbs: dst=1 src0=0 src1=0 src2=0
	v_lshrrev_b16 v69 /*v325*/, 8, v164
	s_set_vgpr_msb 0                        ;  msbs: dst=0 src0=0 src1=0 src2=0
	v_sub_nc_u16 v205, v205, v167
	s_set_vgpr_msb 0x41                     ;  msbs: dst=1 src0=1 src1=0 src2=0
	v_sub_nc_u16 v15 /*v271*/, v15 /*v271*/, v166
	v_sub_nc_u16 v11 /*v267*/, v11 /*v267*/, v163
	s_set_vgpr_msb 0                        ;  msbs: dst=0 src0=0 src1=0 src2=0
	v_lshrrev_b16 v163, 8, v163
	s_set_vgpr_msb 0x45                     ;  msbs: dst=1 src0=1 src1=1 src2=0
	v_sub_nc_u16 v40 /*v296*/, v45 /*v301*/, v40 /*v296*/
	s_set_vgpr_msb 0x41                     ;  msbs: dst=1 src0=1 src1=0 src2=0
	v_lshrrev_b32_e32 v45 /*v301*/, 16, v164
	v_sub_nc_u16 v20 /*v276*/, v20 /*v276*/, v164
	s_set_vgpr_msb 0                        ;  msbs: dst=0 src0=0 src1=0 src2=0
	v_lshrrev_b32_e32 v164, 24, v164
	s_set_vgpr_msb 4                        ;  msbs: dst=0 src0=0 src1=1 src2=0
	v_sub_nc_u16 v200, v200, v43 /*v299*/
	s_set_vgpr_msb 64                       ;  msbs: dst=1 src0=0 src1=0 src2=0
	v_lshrrev_b16 v43 /*v299*/, 8, v165
	s_set_vgpr_msb 1                        ;  msbs: dst=0 src0=1 src1=0 src2=0
	v_sub_nc_u16 v162, v44 /*v300*/, v162
	s_set_vgpr_msb 64                       ;  msbs: dst=1 src0=0 src1=0 src2=0
	v_lshrrev_b32_e32 v44 /*v300*/, 16, v165
	s_set_vgpr_msb 0                        ;  msbs: dst=0 src0=0 src1=0 src2=0
	v_sub_nc_u16 v199, v199, v165
	v_lshrrev_b32_e32 v165, 24, v165
	v_lshrrev_b16 v166, 8, v166
	v_lshrrev_b16 v167, 8, v167
	s_set_vgpr_msb 0x45                     ;  msbs: dst=1 src0=1 src1=1 src2=0
	v_sub_nc_u16 v41 /*v297*/, v47 /*v303*/, v41 /*v297*/
	s_set_vgpr_msb 64                       ;  msbs: dst=1 src0=0 src1=0 src2=0
	v_lshrrev_b32_e32 v47 /*v303*/, 16, v168
	s_set_vgpr_msb 4                        ;  msbs: dst=0 src0=0 src1=1 src2=0
	v_sub_nc_u16 v201, v201, v42 /*v298*/
	s_set_vgpr_msb 64                       ;  msbs: dst=1 src0=0 src1=0 src2=0
	v_lshrrev_b32_e32 v42 /*v298*/, 24, v168
	s_set_vgpr_msb 0                        ;  msbs: dst=0 src0=0 src1=0 src2=0
	v_lshlrev_b16 v144, 8, v144
	v_lshlrev_b16 v153, 8, v153
	v_bfe_u32 v145, v145, 24, 2
	v_bfe_u32 v146, v146, 24, 2
	;; [unrolled: 1-line block ×7, first 2 shown]
	s_set_vgpr_msb 64                       ;  msbs: dst=1 src0=0 src1=0 src2=0
	v_and_b32_e32 v17 /*v273*/, 0x3030303, v206
	v_and_b32_e32 v18 /*v274*/, 0x3030303, v207
	s_set_vgpr_msb 0                        ;  msbs: dst=0 src0=0 src1=0 src2=0
	v_bfe_u32 v188, v188, 24, 2
	v_bfe_u32 v189, v189, 24, 2
	s_set_vgpr_msb 64                       ;  msbs: dst=1 src0=0 src1=0 src2=0
	v_and_b32_e32 v23 /*v279*/, 0x3030303, v190
	v_and_b32_e32 v25 /*v281*/, 0x3030303, v191
	;; [unrolled: 1-line block ×4, first 2 shown]
	s_set_vgpr_msb 0                        ;  msbs: dst=0 src0=0 src1=0 src2=0
	v_and_b32_e32 v182, 0x4040404, v182
	v_and_b32_e32 v183, 0x4040404, v183
	v_and_b32_e32 v174, 0x4040404, v174
	v_and_b32_e32 v175, 0x4040404, v175
	v_and_b32_e32 v176, 0x4040404, v176
	v_and_b32_e32 v179, 0x4040404, v179
	s_set_vgpr_msb 0x44                     ;  msbs: dst=1 src0=0 src1=1 src2=0
	v_lshrrev_b16 v37 /*v293*/, 8, v6 /*v262*/
	v_lshrrev_b16 v39 /*v295*/, 8, v7 /*v263*/
	v_dual_lshrrev_b32 v51 /*v307*/, 16, v7 /*v263*/ :: v_dual_lshrrev_b32 v52 /*v308*/, 16, v12 /*v268*/
	v_lshrrev_b16 v54 /*v310*/, 8, v12 /*v268*/
	v_dual_lshrrev_b32 v57 /*v313*/, 16, v13 /*v269*/ :: v_dual_lshrrev_b32 v60 /*v316*/, 16, v22 /*v278*/
	;; [unrolled: 2-line block ×3, first 2 shown]
	v_lshrrev_b16 v61 /*v317*/, 8, v22 /*v278*/
	s_set_vgpr_msb 0x41                     ;  msbs: dst=1 src0=1 src1=0 src2=0
	v_sub_nc_u16 v6 /*v262*/, v6 /*v262*/, v168
	s_set_vgpr_msb 1                        ;  msbs: dst=0 src0=1 src1=0 src2=0
	v_lshrrev_b16 v168, 8, v168
	v_sub_nc_u16 v163, v46 /*v302*/, v163
	s_set_vgpr_msb 64                       ;  msbs: dst=1 src0=0 src1=0 src2=0
	v_lshrrev_b32_e32 v46 /*v302*/, 16, v169
	s_set_vgpr_msb 0x45                     ;  msbs: dst=1 src0=1 src1=1 src2=0
	v_sub_nc_u16 v45 /*v301*/, v48 /*v304*/, v45 /*v301*/
	s_set_vgpr_msb 0x41                     ;  msbs: dst=1 src0=1 src1=0 src2=0
	v_lshrrev_b32_e32 v48 /*v304*/, 24, v169
	v_sub_nc_u16 v7 /*v263*/, v7 /*v263*/, v169
	s_set_vgpr_msb 0                        ;  msbs: dst=0 src0=0 src1=0 src2=0
	v_lshrrev_b16 v169, 8, v169
	v_sub_nc_u16 v164, v198, v164
	v_lshrrev_b32_e32 v198, 24, v170
	s_set_vgpr_msb 0x45                     ;  msbs: dst=1 src0=1 src1=1 src2=0
	v_sub_nc_u16 v43 /*v299*/, v50 /*v306*/, v43 /*v299*/
	s_set_vgpr_msb 64                       ;  msbs: dst=1 src0=0 src1=0 src2=0
	v_lshrrev_b16 v50 /*v306*/, 8, v170
	s_set_vgpr_msb 1                        ;  msbs: dst=0 src0=1 src1=0 src2=0
	v_sub_nc_u16 v165, v24 /*v280*/, v165
	s_set_vgpr_msb 64                       ;  msbs: dst=1 src0=0 src1=0 src2=0
	v_lshrrev_b32_e32 v24 /*v280*/, 24, v171
	s_set_vgpr_msb 1                        ;  msbs: dst=0 src0=1 src1=0 src2=0
	v_sub_nc_u16 v166, v53 /*v309*/, v166
	s_set_vgpr_msb 64                       ;  msbs: dst=1 src0=0 src1=0 src2=0
	v_lshrrev_b32_e32 v53 /*v309*/, 16, v172
	s_set_vgpr_msb 1                        ;  msbs: dst=0 src0=1 src1=0 src2=0
	v_sub_nc_u16 v167, v55 /*v311*/, v167
	s_set_vgpr_msb 0x41                     ;  msbs: dst=1 src0=1 src1=0 src2=0
	v_lshrrev_b32_e32 v55 /*v311*/, 24, v172
	v_sub_nc_u16 v21 /*v277*/, v21 /*v277*/, v172
	s_set_vgpr_msb 0                        ;  msbs: dst=0 src0=0 src1=0 src2=0
	v_lshrrev_b16 v172, 8, v172
	s_set_vgpr_msb 0x45                     ;  msbs: dst=1 src0=1 src1=1 src2=0
	v_sub_nc_u16 v38 /*v294*/, v38 /*v294*/, v47 /*v303*/
	s_set_vgpr_msb 64                       ;  msbs: dst=1 src0=0 src1=0 src2=0
	v_lshrrev_b32_e32 v47 /*v303*/, 16, v173
	s_set_vgpr_msb 4                        ;  msbs: dst=0 src0=0 src1=1 src2=0
	v_sub_nc_u16 v184, v184, v42 /*v298*/
	s_set_vgpr_msb 0x41                     ;  msbs: dst=1 src0=1 src1=0 src2=0
	v_lshrrev_b32_e32 v42 /*v298*/, 24, v173
	v_sub_nc_u16 v22 /*v278*/, v22 /*v278*/, v173
	s_set_vgpr_msb 0                        ;  msbs: dst=0 src0=0 src1=0 src2=0
	v_lshrrev_b16 v173, 8, v173
	v_bitop3_b16 v144, v247, v144, 0xff bitop3:0xec
	v_bitop3_b16 v153, v239, v153, 0xff bitop3:0xec
	v_bfe_u32 v185, v185, 24, 2
	v_bfe_u32 v192, v192, 24, 2
	;; [unrolled: 1-line block ×4, first 2 shown]
	v_and_b32_e32 v177, 0x4040404, v177
	s_set_vgpr_msb 0x44                     ;  msbs: dst=1 src0=0 src1=1 src2=0
	v_dual_lshrrev_b32 v64 /*v320*/, 16, v25 /*v281*/ :: v_dual_lshrrev_b32 v66 /*v322*/, 16, v26 /*v282*/
	v_lshrrev_b16 v67 /*v323*/, 8, v26 /*v282*/
	s_set_vgpr_msb 0                        ;  msbs: dst=0 src0=0 src1=0 src2=0
	v_sub_nc_u16 v145, v145, v249
	s_set_vgpr_msb 4                        ;  msbs: dst=0 src0=0 src1=1 src2=0
	v_lshrrev_b32_e32 v249, 16, v29 /*v285*/
	s_set_vgpr_msb 0                        ;  msbs: dst=0 src0=0 src1=0 src2=0
	v_sub_nc_u16 v146, v146, v251
	s_set_vgpr_msb 4                        ;  msbs: dst=0 src0=0 src1=1 src2=0
	v_lshrrev_b16 v251, 8, v29 /*v285*/
	s_set_vgpr_msb 0                        ;  msbs: dst=0 src0=0 src1=0 src2=0
	v_sub_nc_u16 v147, v147, v253
	s_set_vgpr_msb 4                        ;  msbs: dst=0 src0=0 src1=1 src2=0
	v_lshrrev_b16 v253, 8, v17 /*v273*/
	s_set_vgpr_msb 0                        ;  msbs: dst=0 src0=0 src1=0 src2=0
	v_sub_nc_u16 v148, v148, v255
	s_set_vgpr_msb 4                        ;  msbs: dst=0 src0=0 src1=1 src2=0
	v_lshrrev_b32_e32 v255, 16, v17 /*v273*/
	v_sub_nc_u16 v149, v149, v1 /*v257*/
	s_set_vgpr_msb 0x44                     ;  msbs: dst=1 src0=0 src1=1 src2=0
	v_lshrrev_b16 v1 /*v257*/, 8, v18 /*v274*/
	s_set_vgpr_msb 4                        ;  msbs: dst=0 src0=0 src1=1 src2=0
	v_sub_nc_u16 v150, v150, v3 /*v259*/
	s_set_vgpr_msb 0x44                     ;  msbs: dst=1 src0=0 src1=1 src2=0
	v_lshrrev_b32_e32 v3 /*v259*/, 16, v18 /*v274*/
	s_set_vgpr_msb 0x41                     ;  msbs: dst=1 src0=1 src1=0 src2=0
	v_sub_nc_u16 v17 /*v273*/, v17 /*v273*/, v182
	v_sub_nc_u16 v18 /*v274*/, v18 /*v274*/, v183
	;; [unrolled: 1-line block ×3, first 2 shown]
	s_set_vgpr_msb 0                        ;  msbs: dst=0 src0=0 src1=0 src2=0
	v_lshrrev_b32_e32 v170, 16, v170
	s_set_vgpr_msb 0x45                     ;  msbs: dst=1 src0=1 src1=1 src2=0
	v_sub_nc_u16 v44 /*v300*/, v49 /*v305*/, v44 /*v300*/
	s_set_vgpr_msb 64                       ;  msbs: dst=1 src0=0 src1=0 src2=0
	v_lshrrev_b32_e32 v49 /*v305*/, 16, v171
	s_set_vgpr_msb 1                        ;  msbs: dst=0 src0=1 src1=0 src2=0
	v_sub_nc_u16 v168, v37 /*v293*/, v168
	s_set_vgpr_msb 64                       ;  msbs: dst=1 src0=0 src1=0 src2=0
	v_lshrrev_b32_e32 v37 /*v293*/, 16, v174
	s_set_vgpr_msb 1                        ;  msbs: dst=0 src0=1 src1=0 src2=0
	v_sub_nc_u16 v169, v39 /*v295*/, v169
	s_set_vgpr_msb 64                       ;  msbs: dst=1 src0=0 src1=0 src2=0
	v_lshrrev_b32_e32 v39 /*v295*/, 24, v175
	s_set_vgpr_msb 0                        ;  msbs: dst=0 src0=0 src1=0 src2=0
	v_sub_nc_u16 v198, v202, v198
	v_lshrrev_b32_e32 v202, 16, v176
	s_set_vgpr_msb 0x45                     ;  msbs: dst=1 src0=1 src1=1 src2=0
	v_sub_nc_u16 v50 /*v306*/, v54 /*v310*/, v50 /*v306*/
	s_set_vgpr_msb 0x41                     ;  msbs: dst=1 src0=1 src1=0 src2=0
	v_lshrrev_b32_e32 v54 /*v310*/, 24, v176
	v_sub_nc_u16 v26 /*v282*/, v26 /*v282*/, v176
	s_set_vgpr_msb 0                        ;  msbs: dst=0 src0=0 src1=0 src2=0
	v_lshrrev_b16 v176, 8, v176
	s_set_vgpr_msb 0x45                     ;  msbs: dst=1 src0=1 src1=1 src2=0
	v_sub_nc_u16 v53 /*v309*/, v59 /*v315*/, v53 /*v309*/
	s_set_vgpr_msb 64                       ;  msbs: dst=1 src0=0 src1=0 src2=0
	v_lshrrev_b32_e32 v59 /*v315*/, 16, v179
	s_set_vgpr_msb 4                        ;  msbs: dst=0 src0=0 src1=1 src2=0
	v_sub_nc_u16 v188, v188, v55 /*v311*/
	s_set_vgpr_msb 0x41                     ;  msbs: dst=1 src0=1 src1=0 src2=0
	v_lshrrev_b32_e32 v55 /*v311*/, 24, v179
	v_sub_nc_u16 v29 /*v285*/, v29 /*v285*/, v179
	s_set_vgpr_msb 1                        ;  msbs: dst=0 src0=1 src1=0 src2=0
	v_lshrrev_b16 v179, 8, v179
	v_sub_nc_u16 v172, v58 /*v314*/, v172
	s_set_vgpr_msb 64                       ;  msbs: dst=1 src0=0 src1=0 src2=0
	v_lshrrev_b16 v58 /*v314*/, 8, v182
	s_set_vgpr_msb 0x45                     ;  msbs: dst=1 src0=1 src1=1 src2=0
	v_sub_nc_u16 v47 /*v303*/, v60 /*v316*/, v47 /*v303*/
	s_set_vgpr_msb 64                       ;  msbs: dst=1 src0=0 src1=0 src2=0
	v_lshrrev_b32_e32 v60 /*v316*/, 16, v182
	s_set_vgpr_msb 0                        ;  msbs: dst=0 src0=0 src1=0 src2=0
	v_lshrrev_b32_e32 v182, 24, v182
	s_set_vgpr_msb 4                        ;  msbs: dst=0 src0=0 src1=1 src2=0
	v_sub_nc_u16 v189, v189, v42 /*v298*/
	s_set_vgpr_msb 64                       ;  msbs: dst=1 src0=0 src1=0 src2=0
	v_lshrrev_b16 v42 /*v298*/, 8, v183
	s_set_vgpr_msb 1                        ;  msbs: dst=0 src0=1 src1=0 src2=0
	v_sub_nc_u16 v173, v61 /*v317*/, v173
	s_set_vgpr_msb 64                       ;  msbs: dst=1 src0=0 src1=0 src2=0
	v_lshrrev_b32_e32 v61 /*v317*/, 16, v183
	s_set_vgpr_msb 0                        ;  msbs: dst=0 src0=0 src1=0 src2=0
	v_perm_b32 v144, v144, v247, 0xc0c0500
	v_perm_b32 v153, v153, v239, 0x5000c0c
	v_lshrrev_b32_e32 v183, 24, v183
	v_lshrrev_b16 v141, 8, v4
	v_dual_ashrrev_i32 v217, 24, v0 :: v_dual_ashrrev_i32 v219, 24, v1
	v_lshrrev_b16 v224, 8, v1
	v_bfe_i32 v134, v4, 0, 8
	v_lshrrev_b16 v229, 8, v0
	v_lshrrev_b16 v231, 8, v2
	s_set_vgpr_msb 64                       ;  msbs: dst=1 src0=0 src1=0 src2=0
	v_and_b32_e32 v27 /*v283*/, 0x3030303, v193
	s_set_vgpr_msb 0                        ;  msbs: dst=0 src0=0 src1=0 src2=0
	v_bfe_u32 v193, v193, 24, 2
	s_set_vgpr_msb 64                       ;  msbs: dst=1 src0=0 src1=0 src2=0
	v_lshrrev_b16 v35 /*v291*/, 8, v197
	s_set_vgpr_msb 0                        ;  msbs: dst=0 src0=0 src1=0 src2=0
	v_sub_nc_u16 v197, v197, v181
	v_lshrrev_b16 v181, 8, v181
	s_set_vgpr_msb 4                        ;  msbs: dst=0 src0=0 src1=1 src2=0
	v_sub_nc_u16 v185, v185, v48 /*v304*/
	s_set_vgpr_msb 1                        ;  msbs: dst=0 src0=1 src1=0 src2=0
	v_sub_nc_u16 v170, v52 /*v308*/, v170
	s_set_vgpr_msb 64                       ;  msbs: dst=1 src0=0 src1=0 src2=0
	v_lshrrev_b32_e32 v52 /*v308*/, 16, v177
	s_set_vgpr_msb 0x45                     ;  msbs: dst=1 src0=1 src1=1 src2=0
	v_sub_nc_u16 v49 /*v305*/, v57 /*v313*/, v49 /*v305*/
	s_set_vgpr_msb 64                       ;  msbs: dst=1 src0=0 src1=0 src2=0
	v_lshrrev_b32_e32 v57 /*v313*/, 24, v177
	s_set_vgpr_msb 4                        ;  msbs: dst=0 src0=0 src1=1 src2=0
	v_sub_nc_u16 v192, v192, v54 /*v310*/
	s_set_vgpr_msb 1                        ;  msbs: dst=0 src0=1 src1=0 src2=0
	v_sub_nc_u16 v176, v67 /*v323*/, v176
	s_set_vgpr_msb 0                        ;  msbs: dst=0 src0=0 src1=0 src2=0
	v_sub_nc_u16 v179, v251, v179
	s_set_vgpr_msb 4                        ;  msbs: dst=0 src0=0 src1=1 src2=0
	v_sub_nc_u16 v251, v253, v58 /*v314*/
	s_set_vgpr_msb 0                        ;  msbs: dst=0 src0=0 src1=0 src2=0
	v_sub_nc_u16 v182, v206, v182
	s_set_vgpr_msb 5                        ;  msbs: dst=0 src0=1 src1=1 src2=0
	v_sub_nc_u16 v206, v1 /*v257*/, v42 /*v298*/
	s_set_vgpr_msb 0x41                     ;  msbs: dst=1 src0=1 src1=0 src2=0
	v_bfe_i32 v1 /*v257*/, v10 /*v266*/, 0, 8
	v_bfe_i32 v10 /*v266*/, v21 /*v277*/, 0, 8
	;; [unrolled: 1-line block ×4, first 2 shown]
	s_set_vgpr_msb 0                        ;  msbs: dst=0 src0=0 src1=0 src2=0
	v_lshlrev_b16 v152, 8, v152
	v_lshlrev_b16 v155, 8, v155
	;; [unrolled: 1-line block ×8, first 2 shown]
	v_or_b32_e32 v144, v153, v144
	v_sub_nc_u16 v183, v207, v183
	v_lshrrev_b16 v143, 8, v5
	v_lshrrev_b16 v212, 8, v6
	v_dual_ashrrev_i32 v213, 24, v4 :: v_dual_ashrrev_i32 v215, 24, v5
	v_bfe_i32 v131, v0, 0, 8
	v_lshrrev_b16 v225, 8, v3
	v_dual_ashrrev_i32 v227, 24, v3 :: v_dual_ashrrev_i32 v232, 24, v2
	v_bfe_i32 v234, v141, 0, 8
	v_bfe_i32 v224, v224, 0, 8
	;; [unrolled: 1-line block ×4, first 2 shown]
	v_bfe_u32 v190, v190, 24, 2
	v_bfe_u32 v191, v191, 24, 2
	s_set_vgpr_msb 64                       ;  msbs: dst=1 src0=0 src1=0 src2=0
	v_and_b32_e32 v28 /*v284*/, 0x3030303, v194
	s_set_vgpr_msb 0                        ;  msbs: dst=0 src0=0 src1=0 src2=0
	v_and_b32_e32 v178, 0x4040404, v178
	s_set_vgpr_msb 0x45                     ;  msbs: dst=1 src0=1 src1=1 src2=0
	v_lshrrev_b32_e32 v68 /*v324*/, 16, v27 /*v283*/
	v_sub_nc_u16 v36 /*v292*/, v36 /*v292*/, v69 /*v325*/
	v_lshrrev_b16 v69 /*v325*/, 8, v27 /*v283*/
	s_set_vgpr_msb 1                        ;  msbs: dst=0 src0=1 src1=0 src2=0
	v_sub_nc_u16 v181, v35 /*v291*/, v181
	s_set_vgpr_msb 0x45                     ;  msbs: dst=1 src0=1 src1=1 src2=0
	v_sub_nc_u16 v46 /*v302*/, v51 /*v307*/, v46 /*v302*/
	s_set_vgpr_msb 0x41                     ;  msbs: dst=1 src0=1 src1=0 src2=0
	v_dual_lshrrev_b32 v51 /*v307*/, 24, v174 :: v_dual_lshrrev_b32 v48 /*v304*/, 16, v175
	v_sub_nc_u16 v27 /*v283*/, v27 /*v283*/, v177
	s_set_vgpr_msb 1                        ;  msbs: dst=0 src0=1 src1=0 src2=0
	v_lshrrev_b16 v177, 8, v177
	v_sub_nc_u16 v202, v66 /*v322*/, v202
	s_set_vgpr_msb 4                        ;  msbs: dst=0 src0=0 src1=1 src2=0
	v_sub_nc_u16 v193, v193, v57 /*v313*/
	s_set_vgpr_msb 1                        ;  msbs: dst=0 src0=1 src1=0 src2=0
	v_bfe_i32 v207, v14 /*v270*/, 0, 8
	s_set_vgpr_msb 0x41                     ;  msbs: dst=1 src0=1 src1=0 src2=0
	v_bfe_i32 v14 /*v270*/, v26 /*v282*/, 0, 8
	s_set_vgpr_msb 0                        ;  msbs: dst=0 src0=0 src1=0 src2=0
	v_bfe_i32 v204, v204, 0, 16
	s_set_vgpr_msb 0x41                     ;  msbs: dst=1 src0=1 src1=0 src2=0
	v_bfe_i32 v19 /*v275*/, v19 /*v275*/, 0, 16
	s_set_vgpr_msb 0                        ;  msbs: dst=0 src0=0 src1=0 src2=0
	v_bfe_i32 v167, v167, 0, 16
	v_bfe_i32 v183, v183, 0, 16
	v_lshlrev_b16 v162, 8, v162
	v_lshlrev_b16 v200, 8, v200
	s_set_vgpr_msb 0x44                     ;  msbs: dst=1 src0=0 src1=1 src2=0
	v_mul_i32_i24_e32 v10 /*v266*/, v134, v10 /*v266*/
	s_set_vgpr_msb 0                        ;  msbs: dst=0 src0=0 src1=0 src2=0
	v_lshlrev_b16 v189, 8, v189
	s_set_vgpr_msb 0x44                     ;  msbs: dst=1 src0=0 src1=1 src2=0
	v_mul_i32_i24_e32 v6 /*v262*/, v134, v6 /*v262*/
	s_set_vgpr_msb 0                        ;  msbs: dst=0 src0=0 src1=0 src2=0
	v_lshlrev_b16 v185, 8, v185
	v_lshlrev_b16 v176, 8, v176
	;; [unrolled: 1-line block ×3, first 2 shown]
	v_bfe_i32 v251, v251, 0, 16
	v_lshlrev_b16 v161, 8, v161
	v_bfe_i32 v166, v166, 0, 16
	v_bfe_i32 v182, v182, 0, 16
	s_set_vgpr_msb 1                        ;  msbs: dst=0 src0=1 src1=0 src2=0
	v_mul_i32_i24_e32 v219, v16 /*v272*/, v219
	s_set_vgpr_msb 0                        ;  msbs: dst=0 src0=0 src1=0 src2=0
	v_bitop3_b16 v152, v238, v152, 0xff bitop3:0xec
	v_bitop3_b16 v155, v241, v155, 0xff bitop3:0xec
	v_bitop3_b16 v147, v250, v147, 0xff bitop3:0xec
	s_set_vgpr_msb 1                        ;  msbs: dst=0 src0=1 src1=0 src2=0
	v_bitop3_b16 v187, v5 /*v261*/, v187, 0xff bitop3:0xec
	s_set_vgpr_msb 0                        ;  msbs: dst=0 src0=0 src1=0 src2=0
	v_bfe_i32 v172, v172, 8, 8
	s_set_vgpr_msb 1                        ;  msbs: dst=0 src0=1 src1=0 src2=0
	v_bitop3_b16 v188, v53 /*v309*/, v188, 0xff bitop3:0xec
	s_set_vgpr_msb 0                        ;  msbs: dst=0 src0=0 src1=0 src2=0
	v_bfe_i32 v168, v168, 8, 8
	s_set_vgpr_msb 1                        ;  msbs: dst=0 src0=1 src1=0 src2=0
	v_bitop3_b16 v184, v38 /*v294*/, v184, 0xff bitop3:0xec
	v_lshrrev_b16 v221, 8, v7
	v_dual_ashrrev_i32 v223, 24, v7 :: v_dual_ashrrev_i32 v230, 24, v6
	s_set_vgpr_msb 0                        ;  msbs: dst=0 src0=0 src1=0 src2=0
	v_perm_b32 v138, v4, v4, 0xc0c0302
	v_bfe_i32 v143, v143, 0, 8
	v_bfe_i32 v212, v212, 0, 8
	;; [unrolled: 1-line block ×3, first 2 shown]
	s_set_vgpr_msb 0x44                     ;  msbs: dst=1 src0=0 src1=1 src2=0
	v_lshrrev_b16 v63 /*v319*/, 8, v23 /*v279*/
	v_lshrrev_b16 v65 /*v321*/, 8, v25 /*v281*/
	v_lshrrev_b32_e32 v35 /*v291*/, 16, v28 /*v284*/
	v_lshrrev_b16 v34 /*v290*/, 8, v28 /*v284*/
	s_set_vgpr_msb 0x41                     ;  msbs: dst=1 src0=1 src1=0 src2=0
	v_sub_nc_u16 v23 /*v279*/, v23 /*v279*/, v174
	s_set_vgpr_msb 0                        ;  msbs: dst=0 src0=0 src1=0 src2=0
	v_lshrrev_b16 v174, 8, v174
	s_set_vgpr_msb 0x41                     ;  msbs: dst=1 src0=1 src1=0 src2=0
	v_sub_nc_u16 v25 /*v281*/, v25 /*v281*/, v175
	v_sub_nc_u16 v28 /*v284*/, v28 /*v284*/, v178
	s_set_vgpr_msb 4                        ;  msbs: dst=0 src0=0 src1=1 src2=0
	v_sub_nc_u16 v190, v190, v51 /*v307*/
	v_sub_nc_u16 v191, v191, v39 /*v295*/
	s_set_vgpr_msb 0x45                     ;  msbs: dst=1 src0=1 src1=1 src2=0
	v_sub_nc_u16 v39 /*v295*/, v68 /*v324*/, v52 /*v308*/
	s_set_vgpr_msb 1                        ;  msbs: dst=0 src0=1 src1=0 src2=0
	v_sub_nc_u16 v177, v69 /*v325*/, v177
	s_set_vgpr_msb 0x41                     ;  msbs: dst=1 src0=1 src1=0 src2=0
	v_bfe_i32 v21 /*v277*/, v27 /*v283*/, 0, 8
	v_bfe_i32 v27 /*v283*/, v31 /*v287*/, 0, 8
	s_set_vgpr_msb 0                        ;  msbs: dst=0 src0=0 src1=0 src2=0
	v_bfe_i32 v196, v196, 0, 16
	v_bfe_i32 v181, v181, 0, 16
	s_set_vgpr_msb 0x41                     ;  msbs: dst=1 src0=1 src1=0 src2=0
	v_bfe_i32 v31 /*v287*/, v36 /*v292*/, 0, 16
	s_set_vgpr_msb 0                        ;  msbs: dst=0 src0=0 src1=0 src2=0
	v_bfe_i32 v180, v180, 0, 16
	v_bfe_i32 v165, v165, 0, 16
	;; [unrolled: 1-line block ×5, first 2 shown]
	s_set_vgpr_msb 0x44                     ;  msbs: dst=1 src0=0 src1=1 src2=0
	v_mul_i32_i24_e32 v1 /*v257*/, v131, v1 /*v257*/
	s_set_vgpr_msb 0                        ;  msbs: dst=0 src0=0 src1=0 src2=0
	v_lshlrev_b16 v148, 8, v148
	v_lshlrev_b16 v157, 8, v157
	;; [unrolled: 1-line block ×3, first 2 shown]
	v_bfe_i32 v164, v164, 0, 16
	s_set_vgpr_msb 0x44                     ;  msbs: dst=1 src0=0 src1=1 src2=0
	v_mul_i32_i24_e32 v14 /*v270*/, v131, v14 /*v270*/
	s_set_vgpr_msb 1                        ;  msbs: dst=0 src0=1 src1=0 src2=0
	v_lshlrev_b16 v193, 8, v193
	v_lshlrev_b16 v169, 8, v169
	v_lshlrev_b16 v173, 8, v173
	v_mul_i32_i24_e32 v215, v19 /*v275*/, v215
	s_set_vgpr_msb 0                        ;  msbs: dst=0 src0=0 src1=0 src2=0
	v_mul_i32_i24_e32 v167, v167, v224
	v_mul_i32_i24_e32 v183, v183, v227
	v_bfe_i32 v162, v162, 8, 8
	s_set_vgpr_msb 1                        ;  msbs: dst=0 src0=1 src1=0 src2=0
	v_bitop3_b16 v200, v40 /*v296*/, v200, 0xff bitop3:0xec
	v_bitop3_b16 v189, v47 /*v303*/, v189, 0xff bitop3:0xec
	;; [unrolled: 1-line block ×3, first 2 shown]
	s_set_vgpr_msb 0                        ;  msbs: dst=0 src0=0 src1=0 src2=0
	v_bfe_i32 v176, v176, 8, 8
	v_bitop3_b16 v192, v202, v192, 0xff bitop3:0xec
	v_mul_i32_i24_e32 v227, v251, v231
	v_mul_i32_i24_e32 v166, v166, v229
	v_perm_b32 v161, v161, v161, 0xc0c0c01
	v_mul_i32_i24_e32 v182, v182, v232
	v_mad_i32_i24 v204, v204, v217, v219
	v_perm_b32 v155, v155, v241, 0xc0c0500
	v_perm_b32 v147, v147, v250, 0x5000c0c
	s_set_vgpr_msb 4                        ;  msbs: dst=0 src0=0 src1=1 src2=0
	v_perm_b32 v187, v187, v5 /*v261*/, 0xc05000c
	s_set_vgpr_msb 16                       ;  msbs: dst=0 src0=0 src1=0 src2=1
	v_mad_i32_i24 v172, v234, v172, v10 /*v266*/
	s_set_vgpr_msb 4                        ;  msbs: dst=0 src0=0 src1=1 src2=0
	v_perm_b32 v188, v188, v53 /*v309*/, 0xc0c0500
	s_set_vgpr_msb 16                       ;  msbs: dst=0 src0=0 src1=0 src2=1
	v_mad_i32_i24 v168, v234, v168, v6 /*v262*/
	s_set_vgpr_msb 4                        ;  msbs: dst=0 src0=0 src1=1 src2=0
	v_perm_b32 v184, v184, v38 /*v294*/, 0xc0c0500
	s_set_vgpr_msb 0                        ;  msbs: dst=0 src0=0 src1=0 src2=0
	v_and_b32_e32 v152, 0xffff, v152
	v_bfe_u32 v203, v203, 24, 2
	s_set_vgpr_msb 0x44                     ;  msbs: dst=1 src0=0 src1=1 src2=0
	v_lshrrev_b16 v56 /*v312*/, 8, v13 /*v269*/
	s_set_vgpr_msb 0x41                     ;  msbs: dst=1 src0=1 src1=0 src2=0
	v_sub_nc_u16 v13 /*v269*/, v13 /*v269*/, v171
	s_set_vgpr_msb 0                        ;  msbs: dst=0 src0=0 src1=0 src2=0
	v_lshrrev_b16 v171, 8, v171
	v_lshlrev_b16 v156, 8, v156
	v_bfe_i32 v135, v5, 0, 8
	v_perm_b32 v142, v0, v0, 0xc0c0302
	v_bfe_i32 v221, v221, 0, 8
	s_set_vgpr_msb 0x45                     ;  msbs: dst=1 src0=1 src1=1 src2=0
	v_sub_nc_u16 v37 /*v293*/, v62 /*v318*/, v37 /*v293*/
	s_set_vgpr_msb 1                        ;  msbs: dst=0 src0=1 src1=0 src2=0
	v_sub_nc_u16 v174, v63 /*v319*/, v174
	s_set_vgpr_msb 4                        ;  msbs: dst=0 src0=0 src1=1 src2=0
	v_sub_nc_u16 v253, v255, v60 /*v316*/
	s_set_vgpr_msb 5                        ;  msbs: dst=0 src0=1 src1=1 src2=0
	v_sub_nc_u16 v255, v3 /*v259*/, v61 /*v317*/
	s_set_vgpr_msb 0                        ;  msbs: dst=0 src0=0 src1=0 src2=0
	v_bfe_i32 v197, v197, 0, 8
	s_set_vgpr_msb 0x41                     ;  msbs: dst=1 src0=1 src1=0 src2=0
	v_bfe_i32 v3 /*v259*/, v20 /*v276*/, 0, 8
	v_bfe_i32 v20 /*v276*/, v22 /*v278*/, 0, 8
	;; [unrolled: 1-line block ×8, first 2 shown]
	s_set_vgpr_msb 0                        ;  msbs: dst=0 src0=0 src1=0 src2=0
	v_bfe_i32 v154, v154, 0, 8
	v_bfe_i32 v160, v160, 0, 8
	s_set_vgpr_msb 0x41                     ;  msbs: dst=1 src0=1 src1=0 src2=0
	v_bfe_i32 v32 /*v288*/, v43 /*v299*/, 0, 16
	s_set_vgpr_msb 0                        ;  msbs: dst=0 src0=0 src1=0 src2=0
	v_lshlrev_b16 v145, 8, v145
	v_lshlrev_b16 v248, 8, v248
	v_lshlrev_b16 v190, 8, v190
	v_lshlrev_b16 v163, 8, v163
	v_lshlrev_b16 v177, 8, v177
	v_mul_i32_i24_e32 v143, v181, v143
	s_set_vgpr_msb 1                        ;  msbs: dst=0 src0=1 src1=0 src2=0
	v_mul_i32_i24_e32 v181, v31 /*v287*/, v212
	s_set_vgpr_msb 0                        ;  msbs: dst=0 src0=0 src1=0 src2=0
	v_mul_i32_i24_e32 v180, v180, v234
	v_mul_i32_i24_e32 v165, v165, v223
	v_perm_b32 v158, v170, v158, 0x5040100
	v_mul_i32_i24_e32 v170, v206, v225
	v_bitop3_b16 v148, v252, v148, 0xff bitop3:0xec
	v_bitop3_b16 v157, v243, v157, 0xff bitop3:0xec
	s_set_vgpr_msb 1                        ;  msbs: dst=0 src0=1 src1=0 src2=0
	v_bitop3_b16 v201, v41 /*v297*/, v201, 0xff bitop3:0xec
	s_set_vgpr_msb 0                        ;  msbs: dst=0 src0=0 src1=0 src2=0
	v_mul_i32_i24_e32 v164, v164, v230
	s_set_vgpr_msb 1                        ;  msbs: dst=0 src0=1 src1=0 src2=0
	v_bitop3_b16 v193, v39 /*v295*/, v193, 0xff bitop3:0xec
	s_set_vgpr_msb 0                        ;  msbs: dst=0 src0=0 src1=0 src2=0
	v_perm_b32 v173, v173, v173, 0xc0c0c01
	v_perm_b32 v169, v169, v169, 0xc0c0c01
	v_mad_i32_i24 v196, v196, v213, v215
	s_set_vgpr_msb 16                       ;  msbs: dst=0 src0=0 src1=0 src2=1
	v_mad_i32_i24 v162, v229, v162, v1 /*v257*/
	s_set_vgpr_msb 4                        ;  msbs: dst=0 src0=0 src1=1 src2=0
	v_perm_b32 v200, v200, v40 /*v296*/, 0xc0c0500
	v_perm_b32 v189, v189, v47 /*v303*/, 0xc05000c
	;; [unrolled: 1-line block ×3, first 2 shown]
	s_set_vgpr_msb 16                       ;  msbs: dst=0 src0=0 src1=0 src2=1
	v_mad_i32_i24 v176, v229, v176, v14 /*v270*/
	v_perm_b32 v192, v192, v202, 0xc0c0500
	s_set_vgpr_msb 0                        ;  msbs: dst=0 src0=0 src1=0 src2=0
	v_add3_u32 v166, v166, v167, v227
	v_bfe_i32 v167, v152, 8, 8
	v_or_b32_e32 v147, v147, v155
	v_or_b32_e32 v155, v187, v161
	v_add3_u32 v161, v204, v182, v183
	v_dot4_i32_iu8 v172, v138, v188, v172 neg_lo:[1,1,0]
	v_dot4_i32_iu8 v138, v138, v184, v168 neg_lo:[1,1,0]
	v_bfe_u32 v194, v194, 24, 2
	s_set_vgpr_msb 4                        ;  msbs: dst=0 src0=0 src1=1 src2=0
	v_sub_nc_u16 v203, v203, v24 /*v280*/
	s_set_vgpr_msb 64                       ;  msbs: dst=1 src0=0 src1=0 src2=0
	v_lshrrev_b32_e32 v24 /*v280*/, 16, v178
	s_set_vgpr_msb 1                        ;  msbs: dst=0 src0=1 src1=0 src2=0
	v_sub_nc_u16 v171, v56 /*v312*/, v171
	s_set_vgpr_msb 64                       ;  msbs: dst=1 src0=0 src1=0 src2=0
	v_lshrrev_b32_e32 v56 /*v312*/, 24, v178
	s_set_vgpr_msb 0                        ;  msbs: dst=0 src0=0 src1=0 src2=0
	v_bitop3_b16 v156, v242, v156, 0xff bitop3:0xec
	v_bfe_i32 v132, v1, 0, 8
	v_bfe_i32 v222, v7, 16, 8
	;; [unrolled: 1-line block ×3, first 2 shown]
	v_perm_b32 v136, v5, v5, 0xc030201
	v_bfe_i32 v233, v2, 16, 8
	v_lshrrev_b16 v175, 8, v175
	v_bfe_i32 v205, v205, 0, 8
	s_set_vgpr_msb 0x41                     ;  msbs: dst=1 src0=1 src1=0 src2=0
	v_bfe_i32 v11 /*v267*/, v11 /*v267*/, 0, 8
	v_bfe_i32 v26 /*v282*/, v29 /*v285*/, 0, 8
	;; [unrolled: 1-line block ×4, first 2 shown]
	s_set_vgpr_msb 0                        ;  msbs: dst=0 src0=0 src1=0 src2=0
	v_mul_i32_i24_e32 v197, v197, v135
	s_set_vgpr_msb 0x44                     ;  msbs: dst=1 src0=0 src1=1 src2=0
	v_lshlrev_b16 v4 /*v260*/, 8, v4 /*v260*/
	s_set_vgpr_msb 0                        ;  msbs: dst=0 src0=0 src1=0 src2=0
	v_lshlrev_b16 v174, 8, v174
	v_perm_b32 v154, v160, v154, 0x5040100
	s_set_vgpr_msb 1                        ;  msbs: dst=0 src0=1 src1=0 src2=0
	v_mul_i32_i24_e32 v160, v32 /*v288*/, v221
	s_set_vgpr_msb 0                        ;  msbs: dst=0 src0=0 src1=0 src2=0
	v_bitop3_b16 v145, v246, v145, 0xff bitop3:0xec
	v_bitop3_b16 v223, v240, v248, 0xff bitop3:0xec
	s_set_vgpr_msb 1                        ;  msbs: dst=0 src0=1 src1=0 src2=0
	v_bitop3_b16 v190, v37 /*v293*/, v190, 0xff bitop3:0xec
	s_set_vgpr_msb 0                        ;  msbs: dst=0 src0=0 src1=0 src2=0
	v_perm_b32 v163, v163, v163, 0xc0c0c01
	v_perm_b32 v177, v177, v177, 0xc0c0c01
	v_add3_u32 v143, v180, v143, v181
	v_perm_b32 v148, v148, v252, 0xc0c0500
	v_perm_b32 v157, v157, v243, 0x5000c0c
	s_set_vgpr_msb 4                        ;  msbs: dst=0 src0=0 src1=1 src2=0
	v_perm_b32 v201, v201, v41 /*v297*/, 0xc05000c
	v_perm_b32 v193, v193, v39 /*v295*/, 0xc05000c
	v_bfe_i32 v152, v152, 0, 8
	s_set_vgpr_msb 0                        ;  msbs: dst=0 src0=0 src1=0 src2=0
	v_dot4_i32_iu8 v162, v142, v200, v162 neg_lo:[1,1,0]
	v_or_b32_e32 v173, v189, v173
	v_or_b32_e32 v168, v185, v169
	v_add3_u32 v164, v196, v164, v165
	v_dot4_i32_iu8 v142, v142, v192, v176 neg_lo:[1,1,0]
	v_mul_i32_i24_e32 v167, v234, v167
	v_add3_u32 v161, v166, v170, v161
	s_set_vgpr_msb 4                        ;  msbs: dst=0 src0=0 src1=1 src2=0
	v_mad_i32_i24 v166, v135, v20 /*v276*/, v172
	v_mad_i32_i24 v135, v135, v7 /*v263*/, v138
	s_set_vgpr_msb 0                        ;  msbs: dst=0 src0=0 src1=0 src2=0
	v_lshrrev_b16 v178, 8, v178
	s_set_vgpr_msb 4                        ;  msbs: dst=0 src0=0 src1=1 src2=0
	v_sub_nc_u16 v194, v194, v56 /*v312*/
	s_set_vgpr_msb 0                        ;  msbs: dst=0 src0=0 src1=0 src2=0
	v_and_b32_e32 v156, 0xffff, v156
	v_bfe_i32 v216, v5, 16, 8
	v_bfe_i32 v133, v6, 0, 8
	v_perm_b32 v137, v5, v4, 0x5040302
	v_perm_b32 v139, v1, v1, 0xc030201
	s_set_vgpr_msb 0x45                     ;  msbs: dst=1 src0=1 src1=1 src2=0
	v_sub_nc_u16 v48 /*v304*/, v64 /*v320*/, v48 /*v304*/
	s_set_vgpr_msb 1                        ;  msbs: dst=0 src0=1 src1=0 src2=0
	v_sub_nc_u16 v175, v65 /*v321*/, v175
	s_set_vgpr_msb 0x41                     ;  msbs: dst=1 src0=1 src1=0 src2=0
	v_bfe_i32 v8 /*v264*/, v8 /*v264*/, 0, 8
	s_set_vgpr_msb 0                        ;  msbs: dst=0 src0=0 src1=0 src2=0
	v_mul_i32_i24_e32 v205, v205, v132
	v_lshlrev_b16 v146, 8, v146
	v_lshlrev_b16 v186, 8, v186
	;; [unrolled: 1-line block ×3, first 2 shown]
	s_set_vgpr_msb 1                        ;  msbs: dst=0 src0=1 src1=0 src2=0
	v_mul_i32_i24_e32 v221, v33 /*v289*/, v222
	s_set_vgpr_msb 0                        ;  msbs: dst=0 src0=0 src1=0 src2=0
	v_mad_i32_i24 v197, v207, v134, v197
	s_set_vgpr_msb 1                        ;  msbs: dst=0 src0=1 src1=0 src2=0
	v_bfe_i32 v222, v4 /*v260*/, 8, 8
	s_set_vgpr_msb 0                        ;  msbs: dst=0 src0=0 src1=0 src2=0
	v_perm_b32 v174, v174, v174, 0xc0c0c01
	v_pk_mul_lo_u16 v154, v154, v228 op_sel_hi:[1,0]
	v_perm_b32 v145, v145, v246, 0xc0c0500
	v_perm_b32 v181, v223, v240, 0x5000c0c
	s_set_vgpr_msb 4                        ;  msbs: dst=0 src0=0 src1=1 src2=0
	v_perm_b32 v190, v190, v37 /*v293*/, 0xc05000c
	s_set_vgpr_msb 0                        ;  msbs: dst=0 src0=0 src1=0 src2=0
	v_pk_mul_lo_u16 v158, v158, v233 op_sel_hi:[1,0]
	v_or_b32_e32 v148, v157, v148
	v_dual_add_nc_u32 v89, 4, v89 :: v_dual_bitop2_b32 v157, v201, v163 bitop3:0x54
	v_or_b32_e32 v165, v193, v177
	s_set_vgpr_msb 4                        ;  msbs: dst=0 src0=0 src1=1 src2=0
	v_mad_i32_i24 v162, v132, v11 /*v267*/, v162
	s_set_vgpr_msb 0                        ;  msbs: dst=0 src0=0 src1=0 src2=0
	v_add3_u32 v138, v143, v160, v164
	s_set_vgpr_msb 4                        ;  msbs: dst=0 src0=0 src1=1 src2=0
	v_mad_i32_i24 v132, v132, v21 /*v277*/, v142
	s_set_vgpr_msb 0                        ;  msbs: dst=0 src0=0 src1=0 src2=0
	v_mad_i32_i24 v134, v134, v152, v167
	v_dot4_i32_iu8 v143, v136, v173, v166 neg_lo:[1,1,0]
	v_dot4_i32_iu8 v135, v136, v168, v135 neg_lo:[1,1,0]
	v_bfe_i32 v130, v7, 0, 8
	v_bfe_u32 v195, v195, 24, 2
	s_set_vgpr_msb 0x45                     ;  msbs: dst=1 src0=1 src1=1 src2=0
	v_sub_nc_u16 v24 /*v280*/, v35 /*v291*/, v24 /*v280*/
	s_set_vgpr_msb 1                        ;  msbs: dst=0 src0=1 src1=0 src2=0
	v_sub_nc_u16 v178, v34 /*v290*/, v178
	s_set_vgpr_msb 0                        ;  msbs: dst=0 src0=0 src1=0 src2=0
	v_bfe_i32 v199, v199, 0, 8
	v_lshlrev_b16 v149, 8, v149
	s_set_vgpr_msb 0x44                     ;  msbs: dst=1 src0=0 src1=1 src2=0
	v_lshlrev_b16 v0 /*v256*/, 8, v0 /*v256*/
	s_set_vgpr_msb 0                        ;  msbs: dst=0 src0=0 src1=0 src2=0
	v_lshlrev_b16 v194, 8, v194
	v_bfe_i32 v153, v156, 8, 8
	v_bfe_i32 v214, v4, 16, 8
	;; [unrolled: 1-line block ×3, first 2 shown]
	v_perm_b32 v5, v6, v5, 0x5040302
	v_perm_b32 v6, v6, v6, 0xc030201
	s_set_vgpr_msb 0x41                     ;  msbs: dst=1 src0=1 src1=0 src2=0
	v_bfe_i32 v17 /*v273*/, v17 /*v273*/, 0, 8
	v_bfe_i32 v9 /*v265*/, v9 /*v265*/, 0, 8
	v_bfe_i32 v12 /*v268*/, v12 /*v268*/, 0, 8
	v_bfe_i32 v34 /*v290*/, v45 /*v301*/, 0, 8
	v_mul_i32_i24_e32 v3 /*v259*/, v3 /*v259*/, v133
	s_set_vgpr_msb 1                        ;  msbs: dst=0 src0=1 src1=0 src2=0
	v_lshlrev_b16 v175, 8, v175
	v_mul_i32_i24_e32 v216, v29 /*v285*/, v216
	s_set_vgpr_msb 0                        ;  msbs: dst=0 src0=0 src1=0 src2=0
	v_bfe_i32 v146, v146, 8, 8
	v_bfe_i32 v186, v186, 8, 8
	s_set_vgpr_msb 1                        ;  msbs: dst=0 src0=1 src1=0 src2=0
	v_bitop3_b16 v191, v48 /*v304*/, v191, 0xff bitop3:0xec
	s_set_vgpr_msb 0                        ;  msbs: dst=0 src0=0 src1=0 src2=0
	v_mul_i32_i24_e32 v180, v212, v222
	v_or_b32_e32 v145, v181, v145
	v_bfe_i32 v163, v154, 0, 16
	v_ashrrev_i32_e32 v154, 16, v154
	v_or_b32_e32 v169, v190, v174
	v_dot4_i32_iu8 v142, v139, v157, v162 neg_lo:[1,1,0]
	v_dot4_i32_iu8 v132, v139, v165, v132 neg_lo:[1,1,0]
	;; [unrolled: 1-line block ×3, first 2 shown]
	s_set_vgpr_msb 4                        ;  msbs: dst=0 src0=0 src1=1 src2=0
	v_mad_i32_i24 v137, v133, v22 /*v278*/, v143
	v_mad_i32_i24 v133, v133, v8 /*v264*/, v135
	v_bfe_i32 v226, v3, 16, 8
	s_set_vgpr_msb 0x41                     ;  msbs: dst=1 src0=1 src1=0 src2=0
	v_bfe_i32 v15 /*v271*/, v15 /*v271*/, 0, 8
	s_set_vgpr_msb 4                        ;  msbs: dst=0 src0=0 src1=1 src2=0
	v_sub_nc_u16 v195, v195, v55 /*v311*/
	v_bfe_i32 v255, v255, 0, 8
	s_set_vgpr_msb 0                        ;  msbs: dst=0 src0=0 src1=0 src2=0
	v_mul_i32_i24_e32 v199, v199, v130
	s_set_vgpr_msb 0x44                     ;  msbs: dst=1 src0=0 src1=1 src2=0
	v_lshlrev_b16 v35 /*v291*/, 8, v50 /*v306*/
	s_set_vgpr_msb 0                        ;  msbs: dst=0 src0=0 src1=0 src2=0
	v_lshlrev_b16 v178, 8, v178
	v_bitop3_b16 v149, v254, v149, 0xff bitop3:0xec
	s_set_vgpr_msb 4                        ;  msbs: dst=0 src0=0 src1=1 src2=0
	v_bitop3_b16 v224, v244, v0 /*v256*/, 0xff bitop3:0xec
	s_set_vgpr_msb 1                        ;  msbs: dst=0 src0=1 src1=0 src2=0
	v_bitop3_b16 v194, v24 /*v280*/, v194, 0xff bitop3:0xec
	s_set_vgpr_msb 0                        ;  msbs: dst=0 src0=0 src1=0 src2=0
	v_bfe_i32 v156, v156, 0, 8
	v_mul_i32_i24_e32 v153, v229, v153
	s_set_vgpr_msb 0x41                     ;  msbs: dst=1 src0=1 src1=0 src2=0
	v_mul_i32_i24_e32 v17 /*v273*/, v17 /*v273*/, v129
	s_set_vgpr_msb 0x44                     ;  msbs: dst=1 src0=0 src1=1 src2=0
	v_mul_i32_i24_e32 v9 /*v265*/, v130, v9 /*v265*/
	s_set_vgpr_msb 1                        ;  msbs: dst=0 src0=1 src1=0 src2=0
	v_mul_i32_i24_e32 v207, v34 /*v290*/, v228
	s_set_vgpr_msb 0                        ;  msbs: dst=0 src0=0 src1=0 src2=0
	v_perm_b32 v175, v175, v175, 0xc0c0c01
	s_set_vgpr_msb 1                        ;  msbs: dst=0 src0=1 src1=0 src2=0
	v_mad_i32_i24 v213, v30 /*v286*/, v214, v216
	s_set_vgpr_msb 0                        ;  msbs: dst=0 src0=0 src1=0 src2=0
	v_mul_i32_i24_e32 v146, v230, v146
	v_mul_i32_i24_e32 v186, v230, v186
	s_set_vgpr_msb 4                        ;  msbs: dst=0 src0=0 src1=1 src2=0
	v_perm_b32 v191, v191, v48 /*v304*/, 0xc05000c
	v_mad_i32_i24 v135, v129, v12 /*v268*/, v142
	v_mad_i32_i24 v129, v129, v25 /*v281*/, v132
	s_set_vgpr_msb 0                        ;  msbs: dst=0 src0=0 src1=0 src2=0
	v_dot4_i32_iu8 v5, v5, v145, v134 neg_lo:[1,1,0]
	v_dot4_i32_iu8 v6, v6, v169, v137 neg_lo:[1,1,0]
	v_add3_u32 v132, v133, v180, v154
	v_bfe_i32 v220, v1, 16, 8
	v_perm_b32 v140, v1, v0, 0x5040302
	s_set_vgpr_msb 4                        ;  msbs: dst=0 src0=0 src1=1 src2=0
	v_sub_nc_u16 v249, v249, v59 /*v315*/
	s_set_vgpr_msb 1                        ;  msbs: dst=0 src0=1 src1=0 src2=0
	v_lshlrev_b16 v159, 8, v159
	v_lshlrev_b16 v151, 8, v151
	;; [unrolled: 1-line block ×6, first 2 shown]
	v_mad_i32_i24 v205, v15 /*v271*/, v131, v205
	s_set_vgpr_msb 0                        ;  msbs: dst=0 src0=0 src1=0 src2=0
	v_mul_i32_i24_e32 v206, v255, v226
	s_set_vgpr_msb 1                        ;  msbs: dst=0 src0=1 src1=0 src2=0
	v_bfe_i32 v226, v35 /*v291*/, 8, 8
	s_set_vgpr_msb 0                        ;  msbs: dst=0 src0=0 src1=0 src2=0
	v_perm_b32 v178, v178, v178, 0xc0c0c01
	s_set_vgpr_msb 4                        ;  msbs: dst=0 src0=0 src1=1 src2=0
	v_add3_u32 v197, v197, v3 /*v259*/, v199
	s_set_vgpr_msb 0                        ;  msbs: dst=0 src0=0 src1=0 src2=0
	v_perm_b32 v149, v149, v254, 0xc0c0500
	v_perm_b32 v199, v224, v244, 0x5000c0c
	s_set_vgpr_msb 4                        ;  msbs: dst=0 src0=0 src1=1 src2=0
	v_perm_b32 v194, v194, v24 /*v280*/, 0xc05000c
	s_set_vgpr_msb 0                        ;  msbs: dst=0 src0=0 src1=0 src2=0
	v_mad_i32_i24 v131, v131, v156, v153
	v_perm_b32 v4, v7, v7, 0xc030201
	v_or_b32_e32 v174, v191, v175
	v_add3_u32 v175, v213, v207, v221
	v_add3_u32 v5, v5, v163, v146
	s_set_vgpr_msb 4                        ;  msbs: dst=0 src0=0 src1=1 src2=0
	v_mad_i32_i24 v6, v130, v23 /*v279*/, v6
	s_set_vgpr_msb 16                       ;  msbs: dst=0 src0=0 src1=0 src2=1
	v_add3_u32 v130, v132, v186, v9 /*v265*/
	v_bfe_i32 v218, v0, 16, 8
	v_bfe_i32 v128, v3, 0, 8
	v_perm_b32 v1, v2, v1, 0x5040302
	v_perm_b32 v2, v2, v2, 0xc030201
	s_set_vgpr_msb 0x41                     ;  msbs: dst=1 src0=1 src1=0 src2=0
	v_bfe_i32 v18 /*v274*/, v18 /*v274*/, 0, 8
	v_bfe_i32 v13 /*v269*/, v13 /*v269*/, 0, 8
	s_set_vgpr_msb 0                        ;  msbs: dst=0 src0=0 src1=0 src2=0
	v_bfe_i32 v253, v253, 0, 8
	v_lshlrev_b16 v171, 8, v171
	v_lshlrev_b16 v179, 8, v179
	s_set_vgpr_msb 1                        ;  msbs: dst=0 src0=1 src1=0 src2=0
	v_mul_i32_i24_e32 v220, v27 /*v283*/, v220
	s_set_vgpr_msb 0                        ;  msbs: dst=0 src0=0 src1=0 src2=0
	v_bitop3_b16 v159, v245, v159, 0xff bitop3:0xec
	s_set_vgpr_msb 1                        ;  msbs: dst=0 src0=1 src1=0 src2=0
	v_bitop3_b16 v151, v2 /*v258*/, v151, 0xff bitop3:0xec
	s_set_vgpr_msb 0                        ;  msbs: dst=0 src0=0 src1=0 src2=0
	v_bfe_i32 v150, v150, 8, 8
	s_set_vgpr_msb 1                        ;  msbs: dst=0 src0=1 src1=0 src2=0
	v_bitop3_b16 v203, v49 /*v305*/, v203, 0xff bitop3:0xec
	s_set_vgpr_msb 0                        ;  msbs: dst=0 src0=0 src1=0 src2=0
	v_bitop3_b16 v195, v249, v195, 0xff bitop3:0xec
	v_bfe_i32 v198, v198, 8, 8
	v_mul_i32_i24_e32 v202, v231, v226
	v_or_b32_e32 v149, v199, v149
	v_or_b32_e32 v176, v194, v178
	v_bfe_i32 v177, v158, 0, 16
	v_ashrrev_i32_e32 v158, 16, v158
	v_dot4_i32_iu8 v131, v140, v148, v131 neg_lo:[1,1,0]
	v_lshrrev_b16 v235, 8, v210
	v_bfe_i32 v141, v210, 0, 8
	v_lshrrev_b16 v210, 8, v211
	v_lshrrev_b16 v236, 8, v208
	v_bfe_i32 v208, v208, 0, 8
	v_bfe_i32 v211, v211, 0, 8
	v_lshrrev_b16 v237, 8, v209
	v_bfe_i32 v209, v209, 0, 8
	v_add3_u32 v136, v197, v175, v138
	v_dot4_i32_iu8 v5, v7, v147, v5 neg_lo:[1,1,0]
	v_dot4_i32_iu8 v6, v4, v174, v6 neg_lo:[1,1,0]
	;; [unrolled: 1-line block ×3, first 2 shown]
	s_set_vgpr_msb 0x41                     ;  msbs: dst=1 src0=1 src1=0 src2=0
	v_mul_i32_i24_e32 v18 /*v274*/, v18 /*v274*/, v128
	s_set_vgpr_msb 0x44                     ;  msbs: dst=1 src0=0 src1=1 src2=0
	v_mul_i32_i24_e32 v13 /*v269*/, v128, v13 /*v269*/
	s_set_vgpr_msb 0                        ;  msbs: dst=0 src0=0 src1=0 src2=0
	v_mul_i32_i24_e32 v225, v253, v233
	v_perm_b32 v171, v171, v171, 0xc0c0c01
	v_perm_b32 v179, v179, v179, 0xc0c0c01
	s_set_vgpr_msb 1                        ;  msbs: dst=0 src0=1 src1=0 src2=0
	v_mad_i32_i24 v217, v28 /*v284*/, v218, v220
	s_set_vgpr_msb 0                        ;  msbs: dst=0 src0=0 src1=0 src2=0
	v_perm_b32 v159, v159, v245, 0xc0c0500
	s_set_vgpr_msb 4                        ;  msbs: dst=0 src0=0 src1=1 src2=0
	v_perm_b32 v151, v151, v2 /*v258*/, 0x5000c0c
	s_set_vgpr_msb 0                        ;  msbs: dst=0 src0=0 src1=0 src2=0
	v_mul_i32_i24_e32 v150, v232, v150
	v_mul_i32_i24_e32 v198, v232, v198
	s_set_vgpr_msb 4                        ;  msbs: dst=0 src0=0 src1=1 src2=0
	v_perm_b32 v203, v203, v49 /*v305*/, 0xc05000c
	s_set_vgpr_msb 0                        ;  msbs: dst=0 src0=0 src1=0 src2=0
	v_perm_b32 v195, v195, v249, 0xc05000c
	v_dot4_i32_iu8 v1, v1, v149, v131 neg_lo:[1,1,0]
	v_add3_u32 v131, v135, v202, v158
	v_dot4_i32_iu8 v2, v2, v176, v129 neg_lo:[1,1,0]
	v_mul_lo_u32 v133, v136, v209
	v_mul_lo_u32 v5, v5, v211
	;; [unrolled: 1-line block ×4, first 2 shown]
	v_perm_b32 v0, v3, v3, 0xc030201
	s_set_vgpr_msb 20                       ;  msbs: dst=0 src0=0 src1=1 src2=1
	v_add3_u32 v205, v205, v17 /*v273*/, v18 /*v274*/
	s_set_vgpr_msb 0                        ;  msbs: dst=0 src0=0 src1=0 src2=0
	v_or_b32_e32 v151, v151, v159
	v_add3_u32 v159, v217, v225, v206
	v_or_b32_e32 v171, v203, v171
	v_or_b32_e32 v178, v195, v179
	v_add3_u32 v1, v1, v177, v150
	s_set_vgpr_msb 4                        ;  msbs: dst=0 src0=0 src1=1 src2=0
	v_mad_i32_i24 v2, v128, v26 /*v282*/, v2
	s_set_vgpr_msb 16                       ;  msbs: dst=0 src0=0 src1=0 src2=1
	v_add3_u32 v7, v131, v198, v13 /*v269*/
	v_bfe_i32 v235, v235, 0, 8
	v_bfe_i32 v236, v236, 0, 8
	;; [unrolled: 1-line block ×4, first 2 shown]
	s_set_vgpr_msb 0                        ;  msbs: dst=0 src0=0 src1=0 src2=0
	v_add3_u32 v129, v205, v159, v161
	v_dot4_i32_iu8 v1, v3, v151, v1 neg_lo:[1,1,0]
	v_dot4_i32_iu8 v2, v0, v178, v2 neg_lo:[1,1,0]
	;; [unrolled: 1-line block ×3, first 2 shown]
	s_add_co_i32 s20, s20, 2
	v_mad_u32 v7, v129, v128, v133
	v_mad_u32 v128, v1, v210, v5
	;; [unrolled: 1-line block ×4, first 2 shown]
	v_pk_mul_f32 v[0:1], v[90:91], v[94:95] op_sel_hi:[0,1]
	v_pk_mul_f32 v[2:3], v[90:91], v[92:93] op_sel_hi:[0,1]
	v_add_nc_u32_e32 v91, 32, v91
	s_add_co_i32 s1, s1, 1
	s_cmp_lt_u32 s21, 6
	s_mov_b32 s22, s21
	v_cvt_f32_i32_e32 v5, v7
	v_cvt_f32_i32_e32 v6, v128
	;; [unrolled: 1-line block ×4, first 2 shown]
	s_delay_alu instid0(VALU_DEP_2) | instskip(NEXT) | instid1(VALU_DEP_2)
	v_pk_fma_f32 v[16:17], v[2:3], v[4:5], v[16:17]
	v_pk_fma_f32 v[20:21], v[0:1], v[6:7], v[20:21]
	s_cbranch_scc1 .LBB230_11
; %bb.12:                               ;   in Loop: Header=BB230_5 Depth=1
	s_or_b32 s1, s18, 0x80
	s_delay_alu instid0(SALU_CYCLE_1)
	s_cmp_ge_i32 s1, s5
	s_barrier_signal -1
	s_barrier_wait -1
	s_cbranch_scc1 .LBB230_4
; %bb.13:                               ;   in Loop: Header=BB230_5 Depth=1
	v_add_nc_u32_e32 v0, s19, v104
	s_delay_alu instid0(VALU_DEP_1) | instskip(SKIP_1) | instid1(SALU_CYCLE_1)
	v_cmp_gt_i32_e64 s1, s6, v0
	s_and_b32 s20, s0, s1
	s_and_saveexec_b32 s1, s20
	s_cbranch_execz .LBB230_15
; %bb.14:                               ;   in Loop: Header=BB230_5 Depth=1
	v_add_nc_u32_e32 v0, v22, v0
	s_delay_alu instid0(VALU_DEP_1)
	v_mad_nc_i64_i32 v[0:1], v0, 36, v[24:25]
	global_load_b32 v0, v[0:1], off offset:4
	s_wait_loadcnt 0x0
	ds_store_b32 v67, v0
.LBB230_15:                             ;   in Loop: Header=BB230_5 Depth=1
	s_or_b32 exec_lo, exec_lo, s1
	s_and_saveexec_b32 s20, vcc_lo
	s_cbranch_execz .LBB230_18
; %bb.16:                               ;   in Loop: Header=BB230_5 Depth=1
	v_or_b32_e32 v0, 4, v88
	s_delay_alu instid0(VALU_DEP_1) | instskip(SKIP_1) | instid1(SALU_CYCLE_1)
	v_cmp_gt_i32_e64 s1, s6, v0
	s_and_b32 s1, s0, s1
	s_and_b32 exec_lo, exec_lo, s1
	s_cbranch_execz .LBB230_18
; %bb.17:                               ;   in Loop: Header=BB230_5 Depth=1
	v_ashrrev_i32_e32 v89, 31, v88
	s_delay_alu instid0(VALU_DEP_1) | instskip(NEXT) | instid1(VALU_DEP_1)
	v_add_nc_u64_e32 v[0:1], v[22:23], v[88:89]
	v_mad_nc_u64_u32 v[2:3], v0, 36, s[2:3]
	s_delay_alu instid0(VALU_DEP_1)
	v_mad_i32_i24 v3, v1, 36, v3
	global_load_b32 v0, v[2:3], off offset:144
	s_wait_loadcnt 0x0
	v_cvt_f32_f16_e32 v0, v0
	ds_store_b32 v103, v0
.LBB230_18:                             ;   in Loop: Header=BB230_5 Depth=1
	s_or_b32 exec_lo, exec_lo, s20
	v_dual_mov_b32 v89, v65 :: v_dual_mov_b32 v91, v69
	s_mov_b32 s1, 8
	s_mov_b32 s24, 6
	;; [unrolled: 1-line block ×3, first 2 shown]
	s_wait_dscnt 0x0
	s_barrier_signal -1
	s_barrier_wait -1
.LBB230_19:                             ;   Parent Loop BB230_5 Depth=1
                                        ; =>  This Inner Loop Header: Depth=2
	s_add_co_i32 s21, s24, 2
	s_add_co_i32 s22, s24, -6
	s_lshr_b32 s26, s21, 4
	s_and_b32 s23, s21, 0x3ffffff8
	s_and_b32 s25, s1, -16
	v_lshl_add_u32 v4, s23, 2, v107
	s_lshl_b32 s23, s26, 5
	s_add_co_i32 s24, s24, s25
	s_addk_co_i32 s23, 0x4200
	s_lshl_b32 s25, s26, 2
	v_add3_u32 v92, s23, v108, v109
	ds_load_2addr_b32 v[0:1], v4 offset1:1
	s_addk_co_i32 s25, 0x7380
	ds_load_b32 v90, v91
	s_add_co_i32 s1, s1, 2
	ds_load_2addr_b32 v[2:3], v92 offset1:1
	s_wait_dscnt 0x2
	v_dual_add_nc_u32 v150, s24, v33 :: v_dual_ashrrev_i32 v0, s22, v0
	s_wait_dscnt 0x0
	v_ashrrev_i32_e32 v2, s20, v2
	s_delay_alu instid0(VALU_DEP_2) | instskip(NEXT) | instid1(VALU_DEP_2)
	v_and_b32_e32 v5, 0x3030303, v0
	v_dual_ashrrev_i32 v3, s20, v3 :: v_dual_lshlrev_b32 v2, 2, v2
	s_delay_alu instid0(VALU_DEP_2) | instskip(SKIP_2) | instid1(VALU_DEP_4)
	v_lshrrev_b32_e32 v7, 16, v5
	v_bfe_u32 v0, v0, 24, 2
	v_lshrrev_b16 v6, 8, v5
	v_lshlrev_b32_e32 v3, 2, v3
	v_and_b32_e32 v2, 0x4040404, v2
	s_delay_alu instid0(VALU_DEP_2) | instskip(NEXT) | instid1(VALU_DEP_2)
	v_and_b32_e32 v3, 0x4040404, v3
	v_dual_lshrrev_b32 v94, 24, v2 :: v_dual_lshrrev_b32 v95, 16, v2
	v_lshrrev_b16 v93, 8, v2
	s_delay_alu instid0(VALU_DEP_2) | instskip(NEXT) | instid1(VALU_DEP_3)
	v_sub_nc_u16 v0, v0, v94
	v_sub_nc_u16 v163, v7, v95
	v_lshrrev_b32_e32 v7, 24, v3
	s_delay_alu instid0(VALU_DEP_3) | instskip(NEXT) | instid1(VALU_DEP_1)
	v_lshlrev_b16 v0, 8, v0
	v_bitop3_b16 v164, v163, v0, 0xff bitop3:0xec
	v_sub_nc_u16 v0, v5, v2
	v_sub_nc_u16 v2, v6, v93
	v_lshrrev_b32_e32 v93, 16, v3
	v_lshrrev_b16 v6, 8, v3
	v_perm_b32 v163, v164, v163, 0xc0c0500
	s_delay_alu instid0(VALU_DEP_4) | instskip(NEXT) | instid1(VALU_DEP_1)
	v_lshlrev_b16 v2, 8, v2
	v_bitop3_b16 v0, v0, v2, 0xff bitop3:0xec
	s_delay_alu instid0(VALU_DEP_1) | instskip(SKIP_1) | instid1(VALU_DEP_1)
	v_and_b32_e32 v167, 0xffff, v0
	v_ashrrev_i32_e32 v0, s22, v1
	v_and_b32_e32 v1, 0x3030303, v0
	v_bfe_u32 v0, v0, 24, 2
	s_delay_alu instid0(VALU_DEP_2) | instskip(NEXT) | instid1(VALU_DEP_2)
	v_lshrrev_b32_e32 v5, 16, v1
	v_sub_nc_u16 v0, v0, v7
	v_lshrrev_b16 v2, 8, v1
	v_sub_nc_u16 v168, v1, v3
	s_delay_alu instid0(VALU_DEP_4) | instskip(NEXT) | instid1(VALU_DEP_4)
	v_sub_nc_u16 v165, v5, v93
	v_lshlrev_b16 v0, 8, v0
	s_delay_alu instid0(VALU_DEP_1) | instskip(SKIP_4) | instid1(VALU_DEP_1)
	v_bitop3_b16 v166, v165, v0, 0xff bitop3:0xec
	v_sub_nc_u16 v0, v2, v6
	ds_load_2addr_b32 v[2:3], v92 offset0:2 offset1:3
	v_perm_b32 v165, v166, v165, 0xc0c0500
	v_lshlrev_b16 v0, 8, v0
	v_bitop3_b16 v169, v168, v0, 0xff bitop3:0xec
	ds_load_2addr_b32 v[0:1], v4 offset0:2 offset1:3
	v_perm_b32 v164, v169, v168, 0x5000c0c
	s_wait_dscnt 0x1
	s_delay_alu instid0(VALU_DEP_1) | instskip(NEXT) | instid1(VALU_DEP_1)
	v_dual_ashrrev_i32 v2, s20, v2 :: v_dual_bitop2_b32 v163, v164, v163 bitop3:0x54
	v_dual_ashrrev_i32 v3, s20, v3 :: v_dual_lshlrev_b32 v2, 2, v2
	s_wait_dscnt 0x0
	s_delay_alu instid0(VALU_DEP_1) | instskip(NEXT) | instid1(VALU_DEP_2)
	v_dual_lshlrev_b32 v3, 2, v3 :: v_dual_ashrrev_i32 v0, s22, v0
	v_and_b32_e32 v2, 0x4040404, v2
	s_delay_alu instid0(VALU_DEP_2) | instskip(NEXT) | instid1(VALU_DEP_3)
	v_and_b32_e32 v3, 0x4040404, v3
	v_and_b32_e32 v5, 0x3030303, v0
	v_bfe_u32 v0, v0, 24, 2
	s_delay_alu instid0(VALU_DEP_4) | instskip(SKIP_1) | instid1(VALU_DEP_4)
	v_dual_lshrrev_b32 v93, 16, v2 :: v_dual_lshrrev_b32 v94, 24, v2
	v_lshrrev_b16 v95, 8, v2
	v_lshrrev_b16 v7, 8, v5
	v_lshrrev_b32_e32 v6, 16, v5
	v_sub_nc_u16 v171, v5, v2
	v_sub_nc_u16 v0, v0, v94
	s_delay_alu instid0(VALU_DEP_4) | instskip(SKIP_2) | instid1(VALU_DEP_4)
	v_sub_nc_u16 v2, v7, v95
	v_lshrrev_b32_e32 v7, 24, v3
	v_sub_nc_u16 v174, v6, v93
	v_lshlrev_b16 v129, 8, v0
	v_ashrrev_i32_e32 v0, s22, v1
	v_lshlrev_b16 v2, 8, v2
	v_lshrrev_b32_e32 v93, 16, v3
	v_lshrrev_b16 v6, 8, v3
	v_bfe_i32 v174, v174, 0, 8
	v_and_b32_e32 v1, 0x3030303, v0
	v_bfe_u32 v0, v0, 24, 2
	v_bitop3_b16 v172, v171, v2, 0xff bitop3:0xec
	v_bfe_i32 v129, v129, 8, 8
	s_delay_alu instid0(VALU_DEP_4) | instskip(NEXT) | instid1(VALU_DEP_4)
	v_lshrrev_b32_e32 v5, 16, v1
	v_sub_nc_u16 v0, v0, v7
	v_lshrrev_b16 v2, 8, v1
	v_sub_nc_u16 v132, v1, v3
	v_perm_b32 v166, v172, v171, 0x5000c0c
	v_sub_nc_u16 v130, v5, v93
	v_lshlrev_b16 v0, 8, v0
	s_delay_alu instid0(VALU_DEP_1) | instskip(SKIP_4) | instid1(VALU_DEP_1)
	v_bitop3_b16 v131, v130, v0, 0xff bitop3:0xec
	v_sub_nc_u16 v0, v2, v6
	ds_load_2addr_b32 v[2:3], v92 offset0:4 offset1:5
	v_perm_b32 v130, v131, v130, 0x5000c0c
	v_lshlrev_b16 v0, 8, v0
	v_bitop3_b16 v133, v132, v0, 0xff bitop3:0xec
	ds_load_2addr_b32 v[0:1], v4 offset0:4 offset1:5
	v_perm_b32 v132, v133, v132, 0xc0c0500
	s_wait_dscnt 0x1
	s_delay_alu instid0(VALU_DEP_1) | instskip(NEXT) | instid1(VALU_DEP_1)
	v_dual_ashrrev_i32 v2, s20, v2 :: v_dual_bitop2_b32 v130, v130, v132 bitop3:0x54
	v_dual_ashrrev_i32 v3, s20, v3 :: v_dual_lshlrev_b32 v2, 2, v2
	s_wait_dscnt 0x0
	s_delay_alu instid0(VALU_DEP_1) | instskip(NEXT) | instid1(VALU_DEP_2)
	v_dual_lshlrev_b32 v3, 2, v3 :: v_dual_ashrrev_i32 v0, s22, v0
	v_and_b32_e32 v2, 0x4040404, v2
	s_delay_alu instid0(VALU_DEP_2) | instskip(NEXT) | instid1(VALU_DEP_3)
	v_and_b32_e32 v3, 0x4040404, v3
	v_and_b32_e32 v5, 0x3030303, v0
	v_bfe_u32 v0, v0, 24, 2
	s_delay_alu instid0(VALU_DEP_4) | instskip(SKIP_1) | instid1(VALU_DEP_4)
	v_dual_lshrrev_b32 v94, 24, v2 :: v_dual_lshrrev_b32 v95, 16, v2
	v_lshrrev_b16 v93, 8, v2
	v_lshrrev_b32_e32 v7, 16, v5
	v_lshrrev_b16 v6, 8, v5
	s_delay_alu instid0(VALU_DEP_4) | instskip(NEXT) | instid1(VALU_DEP_3)
	v_sub_nc_u16 v0, v0, v94
	v_sub_nc_u16 v151, v7, v95
	v_lshrrev_b32_e32 v7, 24, v3
	s_delay_alu instid0(VALU_DEP_3) | instskip(NEXT) | instid1(VALU_DEP_1)
	v_lshlrev_b16 v0, 8, v0
	v_bitop3_b16 v152, v151, v0, 0xff bitop3:0xec
	v_sub_nc_u16 v0, v5, v2
	v_sub_nc_u16 v2, v6, v93
	v_lshrrev_b32_e32 v93, 16, v3
	v_lshrrev_b16 v6, 8, v3
	v_perm_b32 v151, v152, v151, 0xc0c0500
	s_delay_alu instid0(VALU_DEP_4) | instskip(NEXT) | instid1(VALU_DEP_1)
	v_lshlrev_b16 v2, 8, v2
	v_bitop3_b16 v0, v0, v2, 0xff bitop3:0xec
	s_delay_alu instid0(VALU_DEP_1) | instskip(SKIP_1) | instid1(VALU_DEP_1)
	v_and_b32_e32 v158, 0xffff, v0
	v_ashrrev_i32_e32 v0, s22, v1
	v_and_b32_e32 v1, 0x3030303, v0
	v_bfe_u32 v0, v0, 24, 2
	s_delay_alu instid0(VALU_DEP_2) | instskip(NEXT) | instid1(VALU_DEP_2)
	v_lshrrev_b32_e32 v5, 16, v1
	v_sub_nc_u16 v0, v0, v7
	v_lshrrev_b16 v2, 8, v1
	v_sub_nc_u16 v159, v1, v3
	s_delay_alu instid0(VALU_DEP_4) | instskip(NEXT) | instid1(VALU_DEP_4)
	v_sub_nc_u16 v153, v5, v93
	v_lshlrev_b16 v0, 8, v0
	s_delay_alu instid0(VALU_DEP_1) | instskip(SKIP_3) | instid1(VALU_DEP_1)
	v_bitop3_b16 v154, v153, v0, 0xff bitop3:0xec
	v_sub_nc_u16 v0, v2, v6
	ds_load_2addr_b32 v[2:3], v92 offset0:6 offset1:7
	v_lshlrev_b16 v0, 8, v0
	v_bitop3_b16 v160, v159, v0, 0xff bitop3:0xec
	ds_load_2addr_b32 v[0:1], v4 offset0:6 offset1:7
	v_perm_b32 v152, v160, v159, 0x5000c0c
	s_wait_dscnt 0x1
	v_dual_ashrrev_i32 v2, s20, v2 :: v_dual_ashrrev_i32 v3, s20, v3
	s_delay_alu instid0(VALU_DEP_1) | instskip(SKIP_2) | instid1(VALU_DEP_2)
	v_dual_lshlrev_b32 v2, 2, v2 :: v_dual_lshlrev_b32 v3, 2, v3
	s_wait_dscnt 0x0
	v_ashrrev_i32_e32 v0, s22, v0
	v_and_b32_e32 v2, 0x4040404, v2
	s_delay_alu instid0(VALU_DEP_3) | instskip(NEXT) | instid1(VALU_DEP_3)
	v_and_b32_e32 v3, 0x4040404, v3
	v_and_b32_e32 v5, 0x3030303, v0
	v_bfe_u32 v0, v0, 24, 2
	s_delay_alu instid0(VALU_DEP_4) | instskip(SKIP_1) | instid1(VALU_DEP_4)
	v_dual_lshrrev_b32 v92, 16, v2 :: v_dual_lshrrev_b32 v93, 24, v2
	v_lshrrev_b16 v94, 8, v2
	v_lshrrev_b16 v7, 8, v5
	v_lshrrev_b32_e32 v6, 16, v5
	v_sub_nc_u16 v161, v5, v2
	v_sub_nc_u16 v0, v0, v93
	v_add3_u32 v93, s23, v112, v113
	v_sub_nc_u16 v2, v7, v94
	v_lshrrev_b32_e32 v7, 24, v3
	v_sub_nc_u16 v170, v6, v92
	v_lshlrev_b16 v134, 8, v0
	v_ashrrev_i32_e32 v0, s22, v1
	v_lshlrev_b16 v2, 8, v2
	v_lshrrev_b32_e32 v92, 16, v3
	v_lshrrev_b16 v6, 8, v3
	v_bfe_i32 v170, v170, 0, 8
	v_and_b32_e32 v1, 0x3030303, v0
	v_bfe_u32 v0, v0, 24, 2
	v_bitop3_b16 v162, v161, v2, 0xff bitop3:0xec
	v_bfe_i32 v131, v134, 8, 8
	s_delay_alu instid0(VALU_DEP_4) | instskip(NEXT) | instid1(VALU_DEP_4)
	v_lshrrev_b32_e32 v5, 16, v1
	v_sub_nc_u16 v0, v0, v7
	v_lshrrev_b16 v2, 8, v1
	v_sub_nc_u16 v137, v1, v3
	s_delay_alu instid0(VALU_DEP_4) | instskip(NEXT) | instid1(VALU_DEP_4)
	v_sub_nc_u16 v135, v5, v92
	v_lshlrev_b16 v0, 8, v0
	s_delay_alu instid0(VALU_DEP_1) | instskip(SKIP_4) | instid1(VALU_DEP_1)
	v_bitop3_b16 v136, v135, v0, 0xff bitop3:0xec
	v_sub_nc_u16 v0, v2, v6
	ds_load_2addr_b32 v[2:3], v93 offset1:1
	v_add_nc_u32_e32 v139, s24, v35
	v_lshlrev_b16 v0, 8, v0
	v_bitop3_b16 v138, v137, v0, 0xff bitop3:0xec
	v_add3_u32 v0, s25, v127, v111
	ds_load_b32 v92, v0
	v_add_nc_u32_e32 v0, 0x1080, v4
	s_wait_dscnt 0x1
	v_ashrrev_i32_e32 v2, s20, v2
	ds_load_2addr_b32 v[0:1], v0 offset1:1
	v_dual_ashrrev_i32 v3, s20, v3 :: v_dual_lshlrev_b32 v2, 2, v2
	s_delay_alu instid0(VALU_DEP_1) | instskip(NEXT) | instid1(VALU_DEP_2)
	v_lshlrev_b32_e32 v3, 2, v3
	v_and_b32_e32 v2, 0x4040404, v2
	s_delay_alu instid0(VALU_DEP_2) | instskip(NEXT) | instid1(VALU_DEP_2)
	v_and_b32_e32 v3, 0x4040404, v3
	v_dual_lshrrev_b32 v95, 24, v2 :: v_dual_lshrrev_b32 v128, 16, v2
	v_lshrrev_b16 v94, 8, v2
	s_wait_dscnt 0x0
	v_ashrrev_i32_e32 v0, s22, v0
	s_delay_alu instid0(VALU_DEP_1) | instskip(SKIP_1) | instid1(VALU_DEP_2)
	v_and_b32_e32 v5, 0x3030303, v0
	v_bfe_u32 v0, v0, 24, 2
	v_lshrrev_b32_e32 v7, 16, v5
	s_delay_alu instid0(VALU_DEP_2) | instskip(SKIP_2) | instid1(VALU_DEP_4)
	v_sub_nc_u16 v0, v0, v95
	v_lshrrev_b16 v6, 8, v5
	v_sub_nc_u16 v195, v5, v2
	v_sub_nc_u16 v187, v7, v128
	s_delay_alu instid0(VALU_DEP_4) | instskip(SKIP_1) | instid1(VALU_DEP_4)
	v_lshlrev_b16 v0, 8, v0
	v_lshrrev_b32_e32 v7, 24, v3
	v_bfe_i32 v195, v195, 0, 8
	s_delay_alu instid0(VALU_DEP_3) | instskip(SKIP_3) | instid1(VALU_DEP_4)
	v_bitop3_b16 v188, v187, v0, 0xff bitop3:0xec
	v_sub_nc_u16 v0, v6, v94
	v_lshrrev_b32_e32 v94, 16, v3
	v_lshrrev_b16 v6, 8, v3
	v_perm_b32 v187, v188, v187, 0xc0c0500
	s_delay_alu instid0(VALU_DEP_4) | instskip(SKIP_1) | instid1(VALU_DEP_2)
	v_lshlrev_b16 v192, 8, v0
	v_ashrrev_i32_e32 v0, s22, v1
	v_bfe_i32 v192, v192, 8, 8
	s_delay_alu instid0(VALU_DEP_2) | instskip(SKIP_1) | instid1(VALU_DEP_2)
	v_and_b32_e32 v1, 0x3030303, v0
	v_bfe_u32 v0, v0, 24, 2
	v_lshrrev_b32_e32 v5, 16, v1
	s_delay_alu instid0(VALU_DEP_2) | instskip(SKIP_2) | instid1(VALU_DEP_4)
	v_sub_nc_u16 v0, v0, v7
	v_lshrrev_b16 v2, 8, v1
	v_sub_nc_u16 v197, v1, v3
	v_sub_nc_u16 v191, v5, v94
	s_delay_alu instid0(VALU_DEP_4) | instskip(NEXT) | instid1(VALU_DEP_3)
	v_lshlrev_b16 v0, 8, v0
	v_bfe_i32 v197, v197, 0, 8
	s_delay_alu instid0(VALU_DEP_2) | instskip(SKIP_4) | instid1(VALU_DEP_2)
	v_bitop3_b16 v193, v191, v0, 0xff bitop3:0xec
	v_sub_nc_u16 v0, v2, v6
	ds_load_2addr_b32 v[2:3], v93 offset0:2 offset1:3
	v_lshlrev_b16 v194, 8, v0
	v_add_nc_u32_e32 v0, 0x1088, v4
	v_perm_b32 v164, v194, v194, 0xc0c0c01
	ds_load_2addr_b32 v[0:1], v0 offset1:1
	s_wait_dscnt 0x1
	v_dual_ashrrev_i32 v2, s20, v2 :: v_dual_ashrrev_i32 v3, s20, v3
	s_delay_alu instid0(VALU_DEP_1) | instskip(SKIP_2) | instid1(VALU_DEP_2)
	v_dual_lshlrev_b32 v2, 2, v2 :: v_dual_lshlrev_b32 v3, 2, v3
	s_wait_dscnt 0x0
	v_ashrrev_i32_e32 v0, s22, v0
	v_and_b32_e32 v2, 0x4040404, v2
	s_delay_alu instid0(VALU_DEP_3) | instskip(NEXT) | instid1(VALU_DEP_3)
	v_and_b32_e32 v3, 0x4040404, v3
	v_and_b32_e32 v5, 0x3030303, v0
	v_bfe_u32 v0, v0, 24, 2
	s_delay_alu instid0(VALU_DEP_4) | instskip(SKIP_1) | instid1(VALU_DEP_4)
	v_dual_lshrrev_b32 v94, 16, v2 :: v_dual_lshrrev_b32 v128, 24, v2
	v_lshrrev_b16 v95, 8, v2
	v_lshrrev_b32_e32 v6, 16, v5
	v_lshrrev_b16 v7, 8, v5
	v_sub_nc_u16 v199, v5, v2
	v_sub_nc_u16 v0, v0, v128
	s_delay_alu instid0(VALU_DEP_4) | instskip(SKIP_2) | instid1(VALU_DEP_4)
	v_sub_nc_u16 v200, v6, v94
	v_lshrrev_b32_e32 v94, 16, v3
	v_lshrrev_b16 v6, 8, v3
	v_lshlrev_b16 v140, 8, v0
	v_sub_nc_u16 v0, v7, v95
	v_lshrrev_b32_e32 v7, 24, v3
	v_bfe_i32 v200, v200, 0, 8
	v_bfe_i32 v199, v199, 0, 8
	;; [unrolled: 1-line block ×3, first 2 shown]
	v_lshlrev_b16 v198, 8, v0
	v_ashrrev_i32_e32 v0, s22, v1
	v_perm_b32 v174, v200, v174, 0x5040100
	s_delay_alu instid0(VALU_DEP_3) | instskip(NEXT) | instid1(VALU_DEP_3)
	v_bfe_i32 v198, v198, 8, 8
	v_and_b32_e32 v1, 0x3030303, v0
	v_bfe_u32 v0, v0, 24, 2
	s_delay_alu instid0(VALU_DEP_2) | instskip(NEXT) | instid1(VALU_DEP_2)
	v_lshrrev_b32_e32 v5, 16, v1
	v_sub_nc_u16 v0, v0, v7
	v_lshrrev_b16 v2, 8, v1
	v_sub_nc_u16 v144, v1, v3
	s_delay_alu instid0(VALU_DEP_4) | instskip(NEXT) | instid1(VALU_DEP_4)
	v_sub_nc_u16 v141, v5, v94
	v_lshlrev_b16 v0, 8, v0
	s_delay_alu instid0(VALU_DEP_3) | instskip(NEXT) | instid1(VALU_DEP_2)
	v_bfe_i32 v144, v144, 0, 8
	v_bitop3_b16 v142, v141, v0, 0xff bitop3:0xec
	v_sub_nc_u16 v0, v2, v6
	ds_load_2addr_b32 v[2:3], v93 offset0:4 offset1:5
	v_lshlrev_b16 v143, 8, v0
	v_add_nc_u32_e32 v0, 0x1090, v4
	ds_load_2addr_b32 v[0:1], v0 offset1:1
	s_wait_dscnt 0x1
	v_dual_ashrrev_i32 v2, s20, v2 :: v_dual_ashrrev_i32 v3, s20, v3
	s_delay_alu instid0(VALU_DEP_1) | instskip(SKIP_2) | instid1(VALU_DEP_2)
	v_dual_lshlrev_b32 v2, 2, v2 :: v_dual_lshlrev_b32 v3, 2, v3
	s_wait_dscnt 0x0
	v_ashrrev_i32_e32 v0, s22, v0
	v_and_b32_e32 v2, 0x4040404, v2
	s_delay_alu instid0(VALU_DEP_3) | instskip(NEXT) | instid1(VALU_DEP_3)
	v_and_b32_e32 v3, 0x4040404, v3
	v_and_b32_e32 v5, 0x3030303, v0
	v_bfe_u32 v0, v0, 24, 2
	s_delay_alu instid0(VALU_DEP_4) | instskip(SKIP_1) | instid1(VALU_DEP_4)
	v_dual_lshrrev_b32 v95, 24, v2 :: v_dual_lshrrev_b32 v128, 16, v2
	v_lshrrev_b16 v94, 8, v2
	v_lshrrev_b32_e32 v7, 16, v5
	v_lshrrev_b16 v6, 8, v5
	s_delay_alu instid0(VALU_DEP_4) | instskip(SKIP_1) | instid1(VALU_DEP_4)
	v_sub_nc_u16 v0, v0, v95
	v_sub_nc_u16 v185, v5, v2
	;; [unrolled: 1-line block ×3, first 2 shown]
	v_lshrrev_b32_e32 v7, 24, v3
	s_delay_alu instid0(VALU_DEP_4) | instskip(NEXT) | instid1(VALU_DEP_4)
	v_lshlrev_b16 v0, 8, v0
	v_bfe_i32 v185, v185, 0, 8
	s_delay_alu instid0(VALU_DEP_2) | instskip(SKIP_3) | instid1(VALU_DEP_4)
	v_bitop3_b16 v180, v179, v0, 0xff bitop3:0xec
	v_sub_nc_u16 v0, v6, v94
	v_lshrrev_b32_e32 v94, 16, v3
	v_lshrrev_b16 v6, 8, v3
	v_perm_b32 v179, v180, v179, 0xc0c0500
	s_delay_alu instid0(VALU_DEP_4) | instskip(SKIP_1) | instid1(VALU_DEP_2)
	v_lshlrev_b16 v182, 8, v0
	v_ashrrev_i32_e32 v0, s22, v1
	v_bfe_i32 v182, v182, 8, 8
	s_delay_alu instid0(VALU_DEP_2) | instskip(SKIP_1) | instid1(VALU_DEP_2)
	v_and_b32_e32 v1, 0x3030303, v0
	v_bfe_u32 v0, v0, 24, 2
	v_lshrrev_b32_e32 v5, 16, v1
	s_delay_alu instid0(VALU_DEP_2) | instskip(SKIP_2) | instid1(VALU_DEP_4)
	v_sub_nc_u16 v0, v0, v7
	v_lshrrev_b16 v2, 8, v1
	v_sub_nc_u16 v186, v1, v3
	v_sub_nc_u16 v181, v5, v94
	s_delay_alu instid0(VALU_DEP_4) | instskip(NEXT) | instid1(VALU_DEP_3)
	v_lshlrev_b16 v0, 8, v0
	v_bfe_i32 v186, v186, 0, 8
	s_delay_alu instid0(VALU_DEP_2)
	v_bitop3_b16 v183, v181, v0, 0xff bitop3:0xec
	v_sub_nc_u16 v0, v2, v6
	ds_load_2addr_b32 v[2:3], v93 offset0:6 offset1:7
	v_lshlrev_b16 v184, 8, v0
	v_add_nc_u32_e32 v0, 0x1098, v4
	ds_load_2addr_b32 v[0:1], v0 offset1:1
	s_wait_dscnt 0x1
	v_dual_ashrrev_i32 v2, s20, v2 :: v_dual_ashrrev_i32 v3, s20, v3
	s_delay_alu instid0(VALU_DEP_1) | instskip(SKIP_2) | instid1(VALU_DEP_2)
	v_dual_lshlrev_b32 v2, 2, v2 :: v_dual_lshlrev_b32 v3, 2, v3
	s_wait_dscnt 0x0
	v_ashrrev_i32_e32 v0, s22, v0
	v_and_b32_e32 v2, 0x4040404, v2
	s_delay_alu instid0(VALU_DEP_3) | instskip(NEXT) | instid1(VALU_DEP_3)
	v_and_b32_e32 v3, 0x4040404, v3
	v_and_b32_e32 v5, 0x3030303, v0
	v_bfe_u32 v0, v0, 24, 2
	s_delay_alu instid0(VALU_DEP_4) | instskip(SKIP_1) | instid1(VALU_DEP_4)
	v_dual_lshrrev_b32 v93, 16, v2 :: v_dual_lshrrev_b32 v95, 24, v2
	v_lshrrev_b16 v94, 8, v2
	v_lshrrev_b32_e32 v6, 16, v5
	v_lshrrev_b16 v7, 8, v5
	v_sub_nc_u16 v190, v5, v2
	v_sub_nc_u16 v0, v0, v95
	s_delay_alu instid0(VALU_DEP_4) | instskip(SKIP_2) | instid1(VALU_DEP_4)
	v_sub_nc_u16 v196, v6, v93
	v_lshrrev_b32_e32 v93, 16, v3
	v_lshrrev_b16 v6, 8, v3
	v_lshlrev_b16 v145, 8, v0
	v_sub_nc_u16 v0, v7, v94
	v_lshrrev_b32_e32 v7, 24, v3
	v_add3_u32 v94, s23, v116, v117
	v_bfe_i32 v196, v196, 0, 8
	v_bfe_i32 v190, v190, 0, 8
	v_lshlrev_b16 v189, 8, v0
	v_ashrrev_i32_e32 v0, s22, v1
	s_delay_alu instid0(VALU_DEP_4) | instskip(NEXT) | instid1(VALU_DEP_3)
	v_perm_b32 v170, v196, v170, 0x5040100
	v_bfe_i32 v189, v189, 8, 8
	s_delay_alu instid0(VALU_DEP_3) | instskip(SKIP_1) | instid1(VALU_DEP_2)
	v_and_b32_e32 v1, 0x3030303, v0
	v_bfe_u32 v0, v0, 24, 2
	v_lshrrev_b32_e32 v5, 16, v1
	s_delay_alu instid0(VALU_DEP_2) | instskip(SKIP_2) | instid1(VALU_DEP_4)
	v_sub_nc_u16 v0, v0, v7
	v_lshrrev_b16 v2, 8, v1
	v_sub_nc_u16 v149, v1, v3
	v_sub_nc_u16 v146, v5, v93
	s_delay_alu instid0(VALU_DEP_4) | instskip(NEXT) | instid1(VALU_DEP_3)
	v_lshlrev_b16 v0, 8, v0
	v_bfe_i32 v149, v149, 0, 8
	s_delay_alu instid0(VALU_DEP_2)
	v_bitop3_b16 v147, v146, v0, 0xff bitop3:0xec
	v_sub_nc_u16 v0, v2, v6
	ds_load_2addr_b32 v[2:3], v94 offset1:1
	v_lshlrev_b16 v148, 8, v0
	v_add3_u32 v0, s25, v114, v115
	ds_load_b32 v93, v0
	v_add_nc_u32_e32 v0, 0x2100, v4
	ds_load_2addr_b32 v[0:1], v0 offset1:1
	s_wait_dscnt 0x2
	v_dual_ashrrev_i32 v2, s20, v2 :: v_dual_ashrrev_i32 v3, s20, v3
	s_delay_alu instid0(VALU_DEP_1) | instskip(NEXT) | instid1(VALU_DEP_1)
	v_dual_lshlrev_b32 v2, 2, v2 :: v_dual_lshlrev_b32 v3, 2, v3
	v_and_b32_e32 v2, 0x4040404, v2
	s_delay_alu instid0(VALU_DEP_2) | instskip(NEXT) | instid1(VALU_DEP_2)
	v_and_b32_e32 v3, 0x4040404, v3
	v_dual_lshrrev_b32 v128, 24, v2 :: v_dual_lshrrev_b32 v155, 16, v2
	s_wait_dscnt 0x0
	v_ashrrev_i32_e32 v0, s22, v0
	v_lshrrev_b16 v95, 8, v2
	s_delay_alu instid0(VALU_DEP_2) | instskip(NEXT) | instid1(VALU_DEP_1)
	v_and_b32_e32 v5, 0x3030303, v0
	v_lshrrev_b32_e32 v7, 16, v5
	v_bfe_u32 v0, v0, 24, 2
	v_lshrrev_b16 v6, 8, v5
	v_sub_nc_u16 v5, v5, v2
	s_delay_alu instid0(VALU_DEP_4) | instskip(NEXT) | instid1(VALU_DEP_4)
	v_sub_nc_u16 v201, v7, v155
	v_sub_nc_u16 v0, v0, v128
	v_dual_lshrrev_b32 v128, 24, v3 :: v_dual_lshrrev_b32 v155, 16, v3
	s_delay_alu instid0(VALU_DEP_4) | instskip(NEXT) | instid1(VALU_DEP_3)
	v_bfe_i32 v224, v5, 0, 8
	v_lshlrev_b16 v0, 8, v0
	s_delay_alu instid0(VALU_DEP_1) | instskip(SKIP_2) | instid1(VALU_DEP_3)
	v_bitop3_b16 v202, v201, v0, 0xff bitop3:0xec
	v_sub_nc_u16 v0, v6, v95
	v_lshrrev_b16 v95, 8, v3
	v_perm_b32 v201, v202, v201, 0xc0c0500
	s_delay_alu instid0(VALU_DEP_3) | instskip(SKIP_1) | instid1(VALU_DEP_2)
	v_lshlrev_b16 v6, 8, v0
	v_ashrrev_i32_e32 v0, s22, v1
	v_bfe_i32 v225, v6, 8, 8
	s_delay_alu instid0(VALU_DEP_2) | instskip(SKIP_1) | instid1(VALU_DEP_2)
	v_and_b32_e32 v1, 0x3030303, v0
	v_bfe_u32 v0, v0, 24, 2
	v_lshrrev_b32_e32 v7, 16, v1
	s_delay_alu instid0(VALU_DEP_2) | instskip(SKIP_1) | instid1(VALU_DEP_3)
	v_sub_nc_u16 v0, v0, v128
	v_lshrrev_b16 v2, 8, v1
	v_sub_nc_u16 v203, v7, v155
	s_delay_alu instid0(VALU_DEP_3) | instskip(SKIP_1) | instid1(VALU_DEP_2)
	v_lshlrev_b16 v0, 8, v0
	v_sub_nc_u16 v7, v1, v3
	v_bitop3_b16 v204, v203, v0, 0xff bitop3:0xec
	v_sub_nc_u16 v0, v2, v95
	ds_load_2addr_b32 v[2:3], v94 offset0:2 offset1:3
	v_bfe_i32 v226, v7, 0, 8
	v_perm_b32 v203, v204, v203, 0xc05000c
	v_lshlrev_b16 v205, 8, v0
	v_add_nc_u32_e32 v0, 0x2108, v4
	s_delay_alu instid0(VALU_DEP_2) | instskip(SKIP_3) | instid1(VALU_DEP_1)
	v_perm_b32 v204, v205, v205, 0xc0c0c01
	ds_load_2addr_b32 v[0:1], v0 offset1:1
	s_wait_dscnt 0x1
	v_dual_ashrrev_i32 v2, s20, v2 :: v_dual_bitop2_b32 v203, v203, v204 bitop3:0x54
	v_dual_ashrrev_i32 v3, s20, v3 :: v_dual_lshlrev_b32 v2, 2, v2
	s_wait_dscnt 0x0
	s_delay_alu instid0(VALU_DEP_1) | instskip(NEXT) | instid1(VALU_DEP_2)
	v_dual_lshlrev_b32 v3, 2, v3 :: v_dual_ashrrev_i32 v0, s22, v0
	v_and_b32_e32 v2, 0x4040404, v2
	s_delay_alu instid0(VALU_DEP_2) | instskip(NEXT) | instid1(VALU_DEP_3)
	v_and_b32_e32 v3, 0x4040404, v3
	v_and_b32_e32 v95, 0x3030303, v0
	v_bfe_u32 v0, v0, 24, 2
	s_delay_alu instid0(VALU_DEP_4) | instskip(SKIP_1) | instid1(VALU_DEP_4)
	v_dual_lshrrev_b32 v157, 24, v2 :: v_dual_lshrrev_b32 v173, 16, v2
	v_lshrrev_b16 v156, 8, v2
	v_lshrrev_b32_e32 v155, 16, v95
	v_lshrrev_b16 v128, 8, v95
	s_delay_alu instid0(VALU_DEP_4) | instskip(SKIP_1) | instid1(VALU_DEP_4)
	v_sub_nc_u16 v0, v0, v157
	v_sub_nc_u16 v209, v95, v2
	;; [unrolled: 1-line block ×3, first 2 shown]
	v_lshrrev_b32_e32 v155, 24, v3
	s_delay_alu instid0(VALU_DEP_4) | instskip(NEXT) | instid1(VALU_DEP_4)
	v_lshlrev_b16 v0, 8, v0
	v_bfe_i32 v200, v209, 0, 8
	v_bfe_i32 v209, v167, 8, 8
	;; [unrolled: 1-line block ×3, first 2 shown]
	s_delay_alu instid0(VALU_DEP_4) | instskip(SKIP_3) | instid1(VALU_DEP_3)
	v_bitop3_b16 v207, v206, v0, 0xff bitop3:0xec
	v_sub_nc_u16 v0, v128, v156
	v_lshrrev_b32_e32 v156, 16, v3
	v_lshrrev_b16 v128, 8, v3
	v_lshlrev_b16 v208, 8, v0
	v_ashrrev_i32_e32 v0, s22, v1
	s_delay_alu instid0(VALU_DEP_1) | instskip(NEXT) | instid1(VALU_DEP_1)
	v_and_b32_e32 v1, 0x3030303, v0
	v_lshrrev_b32_e32 v95, 16, v1
	v_bfe_u32 v0, v0, 24, 2
	v_lshrrev_b16 v2, 8, v1
	v_sub_nc_u16 v213, v1, v3
	s_delay_alu instid0(VALU_DEP_4) | instskip(NEXT) | instid1(VALU_DEP_4)
	v_sub_nc_u16 v210, v95, v156
	v_sub_nc_u16 v0, v0, v155
	s_delay_alu instid0(VALU_DEP_1) | instskip(NEXT) | instid1(VALU_DEP_1)
	v_lshlrev_b16 v0, 8, v0
	v_bitop3_b16 v211, v210, v0, 0xff bitop3:0xec
	v_sub_nc_u16 v0, v2, v128
	ds_load_2addr_b32 v[2:3], v94 offset0:4 offset1:5
	v_lshlrev_b16 v212, 8, v0
	v_add_nc_u32_e32 v0, 0x2110, v4
	s_delay_alu instid0(VALU_DEP_2) | instskip(SKIP_3) | instid1(VALU_DEP_1)
	v_perm_b32 v188, v212, v212, 0xc0c0c01
	ds_load_2addr_b32 v[0:1], v0 offset1:1
	s_wait_dscnt 0x1
	v_dual_ashrrev_i32 v2, s20, v2 :: v_dual_ashrrev_i32 v3, s20, v3
	v_dual_lshlrev_b32 v2, 2, v2 :: v_dual_lshlrev_b32 v3, 2, v3
	s_wait_dscnt 0x0
	v_ashrrev_i32_e32 v0, s22, v0
	s_delay_alu instid0(VALU_DEP_2) | instskip(NEXT) | instid1(VALU_DEP_3)
	v_and_b32_e32 v2, 0x4040404, v2
	v_and_b32_e32 v3, 0x4040404, v3
	s_delay_alu instid0(VALU_DEP_3) | instskip(SKIP_1) | instid1(VALU_DEP_4)
	v_and_b32_e32 v95, 0x3030303, v0
	v_bfe_u32 v0, v0, 24, 2
	v_dual_lshrrev_b32 v157, 24, v2 :: v_dual_lshrrev_b32 v173, 16, v2
	v_lshrrev_b16 v156, 8, v2
	s_delay_alu instid0(VALU_DEP_4) | instskip(SKIP_1) | instid1(VALU_DEP_4)
	v_lshrrev_b32_e32 v155, 16, v95
	v_lshrrev_b16 v128, 8, v95
	v_sub_nc_u16 v0, v0, v157
	v_lshrrev_b32_e32 v157, 24, v3
	v_sub_nc_u16 v95, v95, v2
	v_sub_nc_u16 v214, v155, v173
	v_lshrrev_b32_e32 v173, 16, v3
	v_lshlrev_b16 v0, 8, v0
	s_delay_alu instid0(VALU_DEP_4) | instskip(SKIP_1) | instid1(VALU_DEP_3)
	v_bfe_i32 v228, v95, 0, 8
	v_add3_u32 v95, s23, v120, v121
	v_bitop3_b16 v215, v214, v0, 0xff bitop3:0xec
	v_sub_nc_u16 v0, v128, v156
	v_lshrrev_b16 v156, 8, v3
	s_delay_alu instid0(VALU_DEP_2) | instskip(SKIP_1) | instid1(VALU_DEP_2)
	v_lshlrev_b16 v128, 8, v0
	v_ashrrev_i32_e32 v0, s22, v1
	v_bfe_i32 v229, v128, 8, 8
	s_delay_alu instid0(VALU_DEP_2) | instskip(NEXT) | instid1(VALU_DEP_1)
	v_and_b32_e32 v1, 0x3030303, v0
	v_lshrrev_b32_e32 v155, 16, v1
	v_bfe_u32 v0, v0, 24, 2
	v_lshrrev_b16 v2, 8, v1
	s_delay_alu instid0(VALU_DEP_3) | instskip(NEXT) | instid1(VALU_DEP_3)
	v_sub_nc_u16 v216, v155, v173
	v_sub_nc_u16 v0, v0, v157
	;; [unrolled: 1-line block ×3, first 2 shown]
	s_delay_alu instid0(VALU_DEP_2) | instskip(NEXT) | instid1(VALU_DEP_2)
	v_lshlrev_b16 v0, 8, v0
	v_bfe_i32 v230, v173, 0, 8
	s_delay_alu instid0(VALU_DEP_2)
	v_bitop3_b16 v217, v216, v0, 0xff bitop3:0xec
	v_sub_nc_u16 v0, v2, v156
	ds_load_2addr_b32 v[2:3], v94 offset0:6 offset1:7
	v_lshlrev_b16 v218, 8, v0
	v_add_nc_u32_e32 v0, 0x2118, v4
	ds_load_2addr_b32 v[0:1], v0 offset1:1
	s_wait_dscnt 0x1
	v_dual_ashrrev_i32 v2, s20, v2 :: v_dual_ashrrev_i32 v3, s20, v3
	s_delay_alu instid0(VALU_DEP_1) | instskip(SKIP_2) | instid1(VALU_DEP_2)
	v_dual_lshlrev_b32 v2, 2, v2 :: v_dual_lshlrev_b32 v3, 2, v3
	s_wait_dscnt 0x0
	v_ashrrev_i32_e32 v0, s22, v0
	v_and_b32_e32 v2, 0x4040404, v2
	s_delay_alu instid0(VALU_DEP_3) | instskip(NEXT) | instid1(VALU_DEP_3)
	v_and_b32_e32 v3, 0x4040404, v3
	v_and_b32_e32 v155, 0x3030303, v0
	v_bfe_u32 v0, v0, 24, 2
	s_delay_alu instid0(VALU_DEP_4) | instskip(SKIP_1) | instid1(VALU_DEP_4)
	v_dual_lshrrev_b32 v175, 24, v2 :: v_dual_lshrrev_b32 v176, 16, v2
	v_lshrrev_b16 v94, 8, v2
	v_lshrrev_b32_e32 v157, 16, v155
	v_lshrrev_b16 v156, 8, v155
	s_delay_alu instid0(VALU_DEP_4)
	v_sub_nc_u16 v0, v0, v175
	v_sub_nc_u16 v222, v155, v2
	v_lshrrev_b32_e32 v155, 16, v3
	v_sub_nc_u16 v219, v157, v176
	v_lshrrev_b16 v157, 8, v3
	v_lshlrev_b16 v0, 8, v0
	v_bfe_i32 v196, v222, 0, 8
	s_delay_alu instid0(VALU_DEP_2) | instskip(SKIP_2) | instid1(VALU_DEP_2)
	v_bitop3_b16 v220, v219, v0, 0xff bitop3:0xec
	v_sub_nc_u16 v0, v156, v94
	v_lshrrev_b32_e32 v156, 24, v3
	v_lshlrev_b16 v221, 8, v0
	v_ashrrev_i32_e32 v0, s22, v1
	s_delay_alu instid0(VALU_DEP_1) | instskip(NEXT) | instid1(VALU_DEP_1)
	v_and_b32_e32 v1, 0x3030303, v0
	v_lshrrev_b32_e32 v94, 16, v1
	v_bfe_u32 v0, v0, 24, 2
	v_lshrrev_b16 v2, 8, v1
	v_sub_nc_u16 v223, v1, v3
	v_add3_u32 v1, s25, v118, v119
	v_sub_nc_u16 v155, v94, v155
	v_sub_nc_u16 v0, v0, v156
	ds_load_b32 v94, v1
	v_lshlrev_b16 v0, 8, v0
	s_delay_alu instid0(VALU_DEP_1)
	v_bitop3_b16 v156, v155, v0, 0xff bitop3:0xec
	v_sub_nc_u16 v0, v2, v157
	ds_load_2addr_b32 v[2:3], v95 offset1:1
	v_lshlrev_b16 v157, 8, v0
	s_wait_dscnt 0x0
	v_dual_add_nc_u32 v0, s24, v31 :: v_dual_ashrrev_i32 v2, s20, v2
	ds_load_u16 v0, v0 offset:27394
	v_ashrrev_i32_e32 v3, s20, v3
	s_delay_alu instid0(VALU_DEP_1) | instskip(NEXT) | instid1(VALU_DEP_1)
	v_lshlrev_b32_e32 v3, 2, v3
	v_and_b32_e32 v3, 0x4040404, v3
	s_wait_dscnt 0x0
	v_lshrrev_b16 v1, 8, v0
	v_bfe_i32 v227, v0, 0, 8
	v_add_nc_u32_e32 v0, 0x3180, v4
	s_delay_alu instid0(VALU_DEP_3) | instskip(SKIP_2) | instid1(VALU_DEP_1)
	v_bfe_i32 v128, v1, 0, 8
	ds_load_2addr_b32 v[0:1], v0 offset1:1
	v_lshlrev_b32_e32 v2, 2, v2
	v_and_b32_e32 v2, 0x4040404, v2
	s_delay_alu instid0(VALU_DEP_1) | instskip(SKIP_3) | instid1(VALU_DEP_1)
	v_dual_lshrrev_b32 v173, 16, v2 :: v_dual_lshrrev_b32 v175, 24, v2
	v_lshrrev_b16 v176, 8, v2
	s_wait_dscnt 0x0
	v_ashrrev_i32_e32 v0, s22, v0
	v_and_b32_e32 v5, 0x3030303, v0
	v_bfe_u32 v0, v0, 24, 2
	s_delay_alu instid0(VALU_DEP_2) | instskip(NEXT) | instid1(VALU_DEP_2)
	v_sub_nc_u16 v234, v5, v2
	v_sub_nc_u16 v232, v0, v175
	v_ashrrev_i32_e32 v0, s22, v1
	v_lshrrev_b32_e32 v6, 16, v5
	v_lshrrev_b16 v7, 8, v5
	s_delay_alu instid0(VALU_DEP_4) | instskip(NEXT) | instid1(VALU_DEP_4)
	v_bfe_i32 v232, v232, 0, 16
	v_bfe_u32 v1, v0, 24, 2
	v_and_b32_e32 v0, 0x3030303, v0
	v_sub_nc_u16 v233, v6, v173
	v_lshrrev_b32_e32 v6, 24, v3
	v_sub_nc_u16 v231, v7, v176
	s_delay_alu instid0(VALU_DEP_4)
	v_dual_lshrrev_b32 v7, 16, v3 :: v_dual_lshrrev_b32 v2, 16, v0
	v_lshrrev_b16 v5, 8, v0
	v_sub_nc_u16 v235, v0, v3
	v_add_nc_u32_e32 v0, 0x3188, v4
	v_sub_nc_u16 v238, v1, v6
	v_lshrrev_b16 v173, 8, v3
	v_sub_nc_u16 v237, v2, v7
	ds_load_2addr_b32 v[2:3], v95 offset0:2 offset1:3
	ds_load_2addr_b32 v[0:1], v0 offset1:1
	v_bfe_i32 v231, v231, 0, 16
	v_sub_nc_u16 v236, v5, v173
	v_bfe_i32 v205, v237, 0, 8
	v_bfe_i32 v235, v235, 0, 8
	s_wait_dscnt 0x0
	v_dual_ashrrev_i32 v2, s20, v2 :: v_dual_ashrrev_i32 v0, s22, v0
	s_delay_alu instid0(VALU_DEP_1) | instskip(NEXT) | instid1(VALU_DEP_2)
	v_dual_ashrrev_i32 v3, s20, v3 :: v_dual_lshlrev_b32 v2, 2, v2
	v_bfe_u32 v5, v0, 24, 2
	v_and_b32_e32 v0, 0x3030303, v0
	s_delay_alu instid0(VALU_DEP_3) | instskip(NEXT) | instid1(VALU_DEP_4)
	v_lshlrev_b32_e32 v3, 2, v3
	v_and_b32_e32 v2, 0x4040404, v2
	s_delay_alu instid0(VALU_DEP_3) | instskip(SKIP_1) | instid1(VALU_DEP_4)
	v_lshrrev_b32_e32 v6, 16, v0
	v_lshrrev_b16 v7, 8, v0
	v_and_b32_e32 v3, 0x4040404, v3
	s_delay_alu instid0(VALU_DEP_4) | instskip(SKIP_3) | instid1(VALU_DEP_3)
	v_sub_nc_u16 v239, v0, v2
	v_dual_ashrrev_i32 v0, s22, v1 :: v_dual_lshrrev_b32 v173, 24, v2
	v_lshrrev_b32_e32 v175, 16, v2
	v_lshrrev_b16 v176, 8, v2
	v_bfe_u32 v1, v0, 24, 2
	v_and_b32_e32 v0, 0x3030303, v0
	s_delay_alu instid0(VALU_DEP_4)
	v_sub_nc_u16 v241, v6, v175
	v_sub_nc_u16 v242, v5, v173
	v_lshrrev_b32_e32 v6, 24, v3
	v_sub_nc_u16 v240, v7, v176
	v_lshrrev_b32_e32 v2, 16, v0
	v_lshrrev_b16 v5, 8, v0
	v_sub_nc_u16 v243, v0, v3
	v_add_nc_u32_e32 v0, 0x3190, v4
	v_lshrrev_b32_e32 v7, 16, v3
	v_sub_nc_u16 v246, v1, v6
	v_lshrrev_b16 v173, 8, v3
	ds_load_2addr_b32 v[0:1], v0 offset1:1
	v_sub_nc_u16 v245, v2, v7
	ds_load_2addr_b32 v[2:3], v95 offset0:4 offset1:5
	v_sub_nc_u16 v244, v5, v173
	s_wait_dscnt 0x0
	v_dual_ashrrev_i32 v0, s22, v0 :: v_dual_ashrrev_i32 v2, s20, v2
	v_ashrrev_i32_e32 v3, s20, v3
	s_delay_alu instid0(VALU_DEP_2) | instskip(SKIP_1) | instid1(VALU_DEP_3)
	v_and_b32_e32 v5, 0x3030303, v0
	v_bfe_u32 v0, v0, 24, 2
	v_dual_lshlrev_b32 v2, 2, v2 :: v_dual_lshlrev_b32 v3, 2, v3
	s_delay_alu instid0(VALU_DEP_3) | instskip(SKIP_1) | instid1(VALU_DEP_3)
	v_lshrrev_b32_e32 v6, 16, v5
	v_lshrrev_b16 v7, 8, v5
	v_and_b32_e32 v2, 0x4040404, v2
	s_delay_alu instid0(VALU_DEP_4) | instskip(NEXT) | instid1(VALU_DEP_2)
	v_and_b32_e32 v3, 0x4040404, v3
	v_dual_lshrrev_b32 v173, 16, v2 :: v_dual_lshrrev_b32 v175, 24, v2
	v_lshrrev_b16 v176, 8, v2
	v_sub_nc_u16 v250, v5, v2
	s_delay_alu instid0(VALU_DEP_3) | instskip(NEXT) | instid1(VALU_DEP_4)
	v_sub_nc_u16 v249, v6, v173
	v_sub_nc_u16 v248, v0, v175
	v_dual_ashrrev_i32 v0, s22, v1 :: v_dual_lshrrev_b32 v6, 24, v3
	v_sub_nc_u16 v247, v7, v176
	v_lshrrev_b32_e32 v7, 16, v3
	v_lshrrev_b16 v173, 8, v3
	s_delay_alu instid0(VALU_DEP_4) | instskip(SKIP_2) | instid1(VALU_DEP_3)
	v_bfe_u32 v1, v0, 24, 2
	v_and_b32_e32 v0, 0x3030303, v0
	v_bfe_i32 v194, v249, 0, 8
	v_sub_nc_u16 v254, v1, v6
	s_delay_alu instid0(VALU_DEP_3) | instskip(SKIP_3) | instid1(VALU_DEP_4)
	v_lshrrev_b32_e32 v2, 16, v0
	v_lshrrev_b16 v5, 8, v0
	v_sub_nc_u16 v251, v0, v3
	v_add_nc_u32_e32 v0, 0x3198, v4
	v_sub_nc_u16 v253, v2, v7
	ds_load_2addr_b32 v[2:3], v95 offset0:6 offset1:7
	v_sub_nc_u16 v252, v5, v173
	ds_load_2addr_b32 v[0:1], v0 offset1:1
	s_wait_dscnt 0x1
	v_dual_ashrrev_i32 v2, s20, v2 :: v_dual_ashrrev_i32 v3, s20, v3
	s_wait_dscnt 0x0
	v_ashrrev_i32_e32 v0, s22, v0
	s_add_co_i32 s20, s20, 1
	s_cmp_lt_u32 s21, 14
	v_dual_lshlrev_b32 v2, 2, v2 :: v_dual_lshlrev_b32 v3, 2, v3
	s_delay_alu instid0(VALU_DEP_2) | instskip(SKIP_1) | instid1(VALU_DEP_3)
	v_bfe_u32 v4, v0, 24, 2
	v_and_b32_e32 v0, 0x3030303, v0
	v_and_b32_e32 v2, 0x4040404, v2
	s_delay_alu instid0(VALU_DEP_2) | instskip(SKIP_1) | instid1(VALU_DEP_3)
	v_lshrrev_b32_e32 v5, 16, v0
	v_lshrrev_b16 v6, 8, v0
	v_sub_nc_u16 v255, v0, v2
	v_dual_ashrrev_i32 v0, s22, v1 :: v_dual_lshrrev_b32 v7, 24, v2
	v_lshrrev_b32_e32 v95, 16, v2
	v_lshrrev_b16 v173, 8, v2
	s_delay_alu instid0(VALU_DEP_3)
	v_bfe_u32 v1, v0, 24, 2
	v_and_b32_e32 v0, 0x3030303, v0
	s_set_vgpr_msb 64                       ;  msbs: dst=1 src0=0 src1=0 src2=0
	v_sub_nc_u16 v1 /*v257*/, v5, v95
	v_sub_nc_u16 v0 /*v256*/, v6, v173
	s_set_vgpr_msb 0                        ;  msbs: dst=0 src0=0 src1=0 src2=0
	v_add_nc_u32_e32 v173, s24, v29
	v_and_b32_e32 v3, 0x4040404, v3
	v_lshrrev_b32_e32 v2, 16, v0
	s_set_vgpr_msb 64                       ;  msbs: dst=1 src0=0 src1=0 src2=0
	v_sub_nc_u16 v2 /*v258*/, v4, v7
	s_set_vgpr_msb 0                        ;  msbs: dst=0 src0=0 src1=0 src2=0
	v_lshrrev_b16 v4, 8, v0
	s_mov_b32 s24, s21
	v_dual_lshrrev_b32 v5, 24, v3 :: v_dual_lshrrev_b32 v6, 16, v3
	v_lshrrev_b16 v7, 8, v3
	v_sub_nc_u16 v175, v0, v3
	v_add3_u32 v0, s25, v122, v123
	s_delay_alu instid0(VALU_DEP_4)
	v_sub_nc_u16 v178, v1, v5
	v_sub_nc_u16 v177, v2, v6
	;; [unrolled: 1-line block ×3, first 2 shown]
	ds_load_b32 v95, v0
	ds_load_b128 v[4:7], v89
	ds_load_b128 v[0:3], v89 offset:16
	v_or_b32_e32 v165, v166, v165
	v_perm_b32 v166, v208, v208, 0xc0c0c01
	v_add_nc_u32_e32 v89, 32, v89
	ds_load_u16 v139, v139 offset:25346
	ds_load_u16 v150, v150 offset:26370
	s_wait_dscnt 0x3
	s_set_vgpr_msb 64                       ;  msbs: dst=1 src0=0 src1=0 src2=0
	v_lshrrev_b16 v3 /*v259*/, 8, v4
	v_bfe_i32 v9 /*v265*/, v4, 0, 8
	s_set_vgpr_msb 0                        ;  msbs: dst=0 src0=0 src1=0 src2=0
	v_perm_b32 v202, v4, v4, 0xc0c0302
	s_set_vgpr_msb 64                       ;  msbs: dst=1 src0=0 src1=0 src2=0
	v_bfe_i32 v10 /*v266*/, v5, 0, 8
	s_set_vgpr_msb 0                        ;  msbs: dst=0 src0=0 src1=0 src2=0
	v_perm_b32 v204, v5, v5, 0xc030201
	s_set_vgpr_msb 0x41                     ;  msbs: dst=1 src0=1 src1=0 src2=0
	v_bfe_i32 v3 /*v259*/, v3 /*v259*/, 0, 8
	s_set_vgpr_msb 1                        ;  msbs: dst=0 src0=1 src1=0 src2=0
	v_mul_i32_i24_e32 v224, v9 /*v265*/, v224
	s_set_vgpr_msb 64                       ;  msbs: dst=1 src0=0 src1=0 src2=0
	v_lshrrev_b16 v4 /*v260*/, 8, v5
	v_ashrrev_i32_e32 v7 /*v263*/, 24, v4
	v_bfe_i32 v8 /*v264*/, v4, 16, 8
	s_set_vgpr_msb 1                        ;  msbs: dst=0 src0=1 src1=0 src2=0
	v_mul_i32_i24_e32 v209, v3 /*v259*/, v209
	v_mad_i32_i24 v224, v3 /*v259*/, v225, v224
	s_set_vgpr_msb 0                        ;  msbs: dst=0 src0=0 src1=0 src2=0
	v_bfe_i32 v225, v233, 0, 8
	v_ashrrev_i32_e32 v233, 24, v5
	s_set_vgpr_msb 1                        ;  msbs: dst=0 src0=1 src1=0 src2=0
	v_mul_i32_i24_e32 v195, v9 /*v265*/, v195
	v_mad_i32_i24 v167, v9 /*v265*/, v167, v209
	s_set_vgpr_msb 0                        ;  msbs: dst=0 src0=0 src1=0 src2=0
	v_dot4_i32_iu8 v201, v202, v201, v224 neg_lo:[1,1,0]
	v_perm_b32 v4, v5, v4, 0x5040302
	v_bfe_i32 v224, v234, 0, 8
	s_set_vgpr_msb 1                        ;  msbs: dst=0 src0=1 src1=0 src2=0
	v_bfe_i32 v234, v4 /*v260*/, 0, 8
	s_set_vgpr_msb 64                       ;  msbs: dst=1 src0=0 src1=0 src2=0
	v_bfe_i32 v4 /*v260*/, v5, 16, 8
	s_set_vgpr_msb 1                        ;  msbs: dst=0 src0=1 src1=0 src2=0
	v_mad_i32_i24 v201, v10 /*v266*/, v226, v201
	v_mad_i32_i24 v192, v3 /*v259*/, v192, v195
	s_set_vgpr_msb 0                        ;  msbs: dst=0 src0=0 src1=0 src2=0
	v_perm_b32 v5, v6, v5, 0x5040302
	s_set_vgpr_msb 64                       ;  msbs: dst=1 src0=0 src1=0 src2=0
	v_lshrrev_b16 v5 /*v261*/, 8, v6
	s_set_vgpr_msb 0                        ;  msbs: dst=0 src0=0 src1=0 src2=0
	v_bfe_i32 v226, v236, 0, 16
	v_dot4_i32_iu8 v201, v204, v203, v201 neg_lo:[1,1,0]
	v_bfe_i32 v203, v238, 0, 16
	v_bfe_i32 v236, v6, 0, 8
	v_dot4_i32_iu8 v187, v202, v187, v192 neg_lo:[1,1,0]
	v_mul_i32_i24_e32 v226, v226, v234
	s_set_vgpr_msb 1                        ;  msbs: dst=0 src0=1 src1=0 src2=0
	v_bfe_i32 v234, v5 /*v261*/, 0, 8
	s_set_vgpr_msb 0                        ;  msbs: dst=0 src0=0 src1=0 src2=0
	v_mul_i32_i24_e32 v203, v203, v233
	v_ashrrev_i32_e32 v233, 24, v6
	v_bfe_i32 v237, v6, 16, 8
	s_set_vgpr_msb 1                        ;  msbs: dst=0 src0=1 src1=0 src2=0
	v_mad_i32_i24 v187, v10 /*v266*/, v197, v187
	s_set_vgpr_msb 0                        ;  msbs: dst=0 src0=0 src1=0 src2=0
	v_perm_b32 v6, v6, v6, 0xc030201
	v_bfe_i32 v172, v7, 0, 8
	s_set_vgpr_msb 64                       ;  msbs: dst=1 src0=0 src1=0 src2=0
	v_lshrrev_b16 v6 /*v262*/, 8, v7
	s_set_vgpr_msb 4                        ;  msbs: dst=0 src0=0 src1=1 src2=0
	v_mul_i32_i24_e32 v231, v231, v3 /*v259*/
	v_mul_i32_i24_e32 v235, v235, v10 /*v266*/
	v_mul_i32_i24_e32 v205, v205, v4 /*v260*/
	v_bfe_i32 v171, v7, 16, 8
	s_set_vgpr_msb 1                        ;  msbs: dst=0 src0=1 src1=0 src2=0
	v_bfe_i32 v169, v6 /*v262*/, 0, 8
	s_set_vgpr_msb 0                        ;  msbs: dst=0 src0=0 src1=0 src2=0
	v_bfe_i32 v192, v244, 0, 16
	v_bfe_i32 v197, v247, 0, 16
	v_pk_mul_lo_u16 v174, v174, v237 op_sel_hi:[1,0]
	v_perm_b32 v202, v218, v218, 0xc0c0c01
	v_or_b32_e32 v151, v152, v151
	v_mul_i32_i24_e32 v169, v192, v169
	s_set_vgpr_msb 4                        ;  msbs: dst=0 src0=0 src1=1 src2=0
	v_mad_i32_i24 v192, v224, v9 /*v265*/, v235
	s_set_vgpr_msb 0                        ;  msbs: dst=0 src0=0 src1=0 src2=0
	v_perm_b32 v152, v184, v184, 0xc0c0c01
	s_wait_dscnt 0x2
	v_bfe_i32 v160, v3, 16, 8
	v_bfe_i32 v195, v248, 0, 16
	v_mul_i32_i24_e32 v144, v172, v144
	v_dot4_i32_iu8 v4, v4, v163, v167 neg_lo:[1,1,0]
	v_perm_b32 v163, v193, v191, 0xc05000c
	v_bfe_i32 v167, v239, 0, 8
	v_bfe_i32 v191, v245, 0, 8
	;; [unrolled: 1-line block ×3, first 2 shown]
	v_mul_i32_i24_e32 v129, v233, v129
	v_mul_i32_i24_e32 v140, v233, v140
	v_dot4_i32_iu8 v165, v5, v165, v4 neg_lo:[1,1,0]
	v_perm_b32 v5, v207, v206, 0xc05000c
	v_dual_ashrrev_i32 v168, 24, v7 :: v_dual_bitop2_b32 v163, v163, v164 bitop3:0x54
	v_mad_i32_i24 v4, v236, v200, v201
	v_mul_i32_i24_e32 v164, v234, v198
	v_mul_i32_i24_e32 v167, v167, v236
	;; [unrolled: 1-line block ×4, first 2 shown]
	s_set_vgpr_msb 4                        ;  msbs: dst=0 src0=0 src1=1 src2=0
	v_mad_i32_i24 v191, v225, v8 /*v264*/, v205
	v_bfe_i32 v206, v158, 8, 8
	v_bfe_i32 v158, v158, 0, 8
	;; [unrolled: 1-line block ×3, first 2 shown]
	s_set_vgpr_msb 0                        ;  msbs: dst=0 src0=0 src1=0 src2=0
	v_perm_b32 v201, v217, v216, 0xc05000c
	v_bfe_i32 v205, v251, 0, 8
	v_dual_ashrrev_i32 v198, 24, v1 :: v_dual_bitop2_b32 v5, v5, v166 bitop3:0x54
	v_dot4_i32_iu8 v163, v204, v163, v187 neg_lo:[1,1,0]
	v_bfe_i32 v187, v213, 0, 8
	v_bfe_i32 v166, v240, 0, 16
	v_add3_u32 v167, v192, v167, v193
	v_perm_b32 v192, v215, v214, 0xc0c0500
	v_perm_b32 v193, v0, v0, 0xc0c0302
	v_bfe_i32 v204, v252, 0, 16
	v_or_b32_e32 v201, v201, v202
	v_perm_b32 v202, v1, v1, 0xc030201
	v_mul_i32_i24_e32 v205, v205, v200
	v_dot4_i32_iu8 v4, v6, v5, v4 neg_lo:[1,1,0]
	v_bfe_i32 v5, v242, 0, 16
	v_bfe_i32 v6, v241, 0, 8
	v_mul_i32_i24_e32 v166, v166, v234
	v_mad_i32_i24 v163, v236, v199, v163
	v_bfe_i32 v199, v1, 16, 8
	v_mad_i32_i24 v4, v172, v187, v4
	v_perm_b32 v187, v211, v210, 0xc05000c
	v_mul_i32_i24_e32 v5, v5, v233
	v_mul_i32_i24_e32 v6, v6, v237
	v_add3_u32 v166, v231, v226, v166
	s_delay_alu instid0(VALU_DEP_4) | instskip(SKIP_1) | instid1(VALU_DEP_4)
	v_or_b32_e32 v187, v187, v188
	v_perm_b32 v188, v7, v7, 0xc030201
	v_add3_u32 v6, v191, v6, v171
	v_bfe_i32 v171, v0, 16, 8
	s_delay_alu instid0(VALU_DEP_3) | instskip(SKIP_1) | instid1(VALU_DEP_2)
	v_dot4_i32_iu8 v4, v188, v187, v4 neg_lo:[1,1,0]
	v_bfe_i32 v187, v246, 0, 16
	v_mul_lo_u32 v4, v4, v227
	s_delay_alu instid0(VALU_DEP_2) | instskip(SKIP_4) | instid1(VALU_DEP_2)
	v_mul_i32_i24_e32 v168, v187, v168
	s_set_vgpr_msb 4                        ;  msbs: dst=0 src0=0 src1=1 src2=0
	v_mad_i32_i24 v187, v232, v7 /*v263*/, v203
	v_bfe_i32 v203, v253, 0, 8
	s_set_vgpr_msb 0                        ;  msbs: dst=0 src0=0 src1=0 src2=0
	v_add3_u32 v5, v187, v5, v168
	v_bfe_i32 v187, v0, 0, 8
	s_delay_alu instid0(VALU_DEP_3)
	v_mul_i32_i24_e32 v199, v203, v199
	v_bfe_i32 v203, v2, 0, 8
	v_lshrrev_b16 v168, 8, v3
	v_add3_u32 v5, v166, v169, v5
	v_mul_i32_i24_e32 v191, v187, v228
	v_lshrrev_b16 v166, 8, v1
	v_mul_i32_i24_e32 v185, v187, v185
	v_ashrrev_i32_e32 v169, 24, v0
	v_bfe_i32 v159, v168, 0, 8
	v_mad_i32_i24 v134, v194, v171, v199
	v_add3_u32 v5, v167, v6, v5
	v_lshrrev_b16 v6, 8, v0
	v_bfe_i32 v166, v166, 0, 8
	v_perm_b32 v0, v1, v0, 0x5040302
	v_lshrrev_b16 v167, 8, v2
	v_perm_b32 v1, v2, v1, 0x5040302
	v_bfe_i32 v6, v6, 0, 8
	v_mul_i32_i24_e32 v166, v204, v166
	v_bfe_i32 v204, v2, 16, 8
	v_bfe_i32 v167, v167, 0, 8
	s_delay_alu instid0(VALU_DEP_4)
	v_mad_i32_i24 v191, v6, v229, v191
	v_mul_i32_i24_e32 v206, v6, v206
	v_mul_i32_i24_e32 v197, v197, v6
	v_mad_i32_i24 v6, v6, v182, v185
	v_pk_mul_lo_u16 v170, v170, v204 op_sel_hi:[1,0]
	v_dot4_i32_iu8 v191, v193, v192, v191 neg_lo:[1,1,0]
	v_mad_i32_i24 v158, v187, v158, v206
	v_bfe_i32 v192, v250, 0, 8
	v_dot4_i32_iu8 v6, v193, v179, v6 neg_lo:[1,1,0]
	v_bfe_i32 v179, v174, 0, 16
	v_ashrrev_i32_e32 v174, 16, v174
	v_bfe_i32 v132, v170, 0, 16
	v_mad_i32_i24 v191, v200, v230, v191
	v_dot4_i32_iu8 v0, v0, v151, v158 neg_lo:[1,1,0]
	v_perm_b32 v151, v183, v181, 0xc05000c
	v_mad_i32_i24 v6, v200, v186, v6
	v_ashrrev_i32_e32 v158, 24, v3
	v_add3_u32 v129, v165, v179, v129
	v_add3_u32 v163, v163, v164, v174
	v_dot4_i32_iu8 v191, v202, v201, v191 neg_lo:[1,1,0]
	v_bfe_i32 v201, v254, 0, 16
	v_dual_ashrrev_i32 v133, 16, v170 :: v_dual_bitop2_b32 v151, v151, v152 bitop3:0x54
	v_perm_b32 v152, v154, v153, 0xc0c0500
	v_perm_b32 v153, v162, v161, 0x5000c0c
	v_dot4_i32_iu8 v7, v7, v130, v129 neg_lo:[1,1,0]
	v_perm_b32 v129, v142, v141, 0xc05000c
	v_perm_b32 v130, v143, v143, 0xc0c0c01
	v_bfe_i32 v161, v3, 0, 8
	v_bfe_i32 v162, v223, 0, 8
	;; [unrolled: 1-line block ×3, first 2 shown]
	v_add3_u32 v140, v163, v140, v144
	v_mul_i32_i24_e32 v198, v201, v198
	v_ashrrev_i32_e32 v201, 24, v2
	v_dot4_i32_iu8 v6, v202, v151, v6 neg_lo:[1,1,0]
	v_or_b32_e32 v152, v153, v152
	v_mul_i32_i24_e32 v151, v167, v189
	v_or_b32_e32 v129, v129, v130
	v_bfe_i32 v130, v145, 8, 8
	v_perm_b32 v153, v221, v221, 0xc0c0c01
	v_perm_b32 v2, v2, v2, 0xc030201
	v_mul_i32_i24_e32 v154, v154, v203
	v_mad_i32_i24 v6, v203, v190, v6
	v_dot4_i32_iu8 v0, v1, v152, v0 neg_lo:[1,1,0]
	v_mul_i32_i24_e32 v131, v201, v131
	v_mul_i32_i24_e32 v130, v201, v130
	v_perm_b32 v152, v220, v219, 0xc05000c
	v_mad_i32_i24 v1, v203, v196, v191
	v_dot4_i32_iu8 v129, v188, v129, v140 neg_lo:[1,1,0]
	v_add3_u32 v6, v6, v151, v133
	v_add3_u32 v0, v0, v132, v131
	v_mul_i32_i24_e32 v131, v161, v149
	v_or_b32_e32 v152, v152, v153
	s_set_vgpr_msb 1                        ;  msbs: dst=0 src0=1 src1=0 src2=0
	v_bfe_i32 v153, v0 /*v256*/, 0, 16
	s_set_vgpr_msb 0                        ;  msbs: dst=0 src0=0 src1=0 src2=0
	v_bfe_i32 v132, v175, 0, 8
	v_mad_i32_i24 v133, v195, v169, v198
	v_add3_u32 v6, v6, v130, v131
	v_perm_b32 v130, v138, v137, 0xc0c0500
	v_perm_b32 v131, v136, v135, 0x5000c0c
	v_dot4_i32_iu8 v1, v2, v152, v1 neg_lo:[1,1,0]
	s_set_vgpr_msb 1                        ;  msbs: dst=0 src0=1 src1=0 src2=0
	v_bfe_i32 v2, v2 /*v258*/, 0, 16
	v_bfe_i32 v152, v1 /*v257*/, 0, 8
	s_set_vgpr_msb 0                        ;  msbs: dst=0 src0=0 src1=0 src2=0
	v_mul_i32_i24_e32 v153, v153, v167
	v_mul_i32_i24_e32 v132, v132, v161
	v_mad_i32_i24 v135, v192, v187, v205
	v_or_b32_e32 v130, v131, v130
	v_perm_b32 v131, v148, v148, 0xc0c0c01
	v_mul_i32_i24_e32 v2, v2, v201
	v_mul_i32_i24_e32 v152, v152, v204
	v_add3_u32 v136, v197, v166, v153
	v_add3_u32 v132, v135, v154, v132
	v_dot4_i32_iu8 v130, v3, v130, v0 neg_lo:[1,1,0]
	v_perm_b32 v0, v147, v146, 0xc05000c
	v_perm_b32 v3, v3, v3, 0xc030201
	s_delay_alu instid0(VALU_DEP_2) | instskip(SKIP_1) | instid1(VALU_DEP_2)
	v_or_b32_e32 v0, v0, v131
	v_perm_b32 v131, v157, v157, 0xc0c0c01
	v_dot4_i32_iu8 v6, v3, v0, v6 neg_lo:[1,1,0]
	v_mad_i32_i24 v0, v161, v162, v1
	v_perm_b32 v1, v156, v155, 0xc05000c
	s_delay_alu instid0(VALU_DEP_1) | instskip(NEXT) | instid1(VALU_DEP_1)
	v_or_b32_e32 v1, v1, v131
	v_dot4_i32_iu8 v131, v3, v1, v0 neg_lo:[1,1,0]
	v_bfe_i32 v0, v178, 0, 16
	v_bfe_i32 v1, v177, 0, 8
	;; [unrolled: 1-line block ×3, first 2 shown]
	s_delay_alu instid0(VALU_DEP_3) | instskip(NEXT) | instid1(VALU_DEP_3)
	v_mul_i32_i24_e32 v0, v0, v158
	v_mul_i32_i24_e32 v1, v1, v160
	s_delay_alu instid0(VALU_DEP_3) | instskip(NEXT) | instid1(VALU_DEP_3)
	v_mul_i32_i24_e32 v3, v3, v159
	v_add3_u32 v0, v133, v2, v0
	s_delay_alu instid0(VALU_DEP_3) | instskip(NEXT) | instid1(VALU_DEP_2)
	v_add3_u32 v1, v134, v152, v1
	v_add3_u32 v0, v136, v3, v0
	v_pk_mul_f32 v[2:3], v[90:91], v[94:95] op_sel_hi:[0,1]
	s_delay_alu instid0(VALU_DEP_2)
	v_add3_u32 v132, v132, v1, v0
	ds_load_u16 v0, v173 offset:28418
	s_wait_dscnt 0x2
	v_lshrrev_b16 v167, 8, v139
	s_wait_dscnt 0x1
	v_lshrrev_b16 v168, 8, v150
	v_bfe_i32 v150, v150, 0, 8
	v_bfe_i32 v139, v139, 0, 8
	;; [unrolled: 1-line block ×3, first 2 shown]
	s_delay_alu instid0(VALU_DEP_4) | instskip(NEXT) | instid1(VALU_DEP_4)
	v_bfe_i32 v168, v168, 0, 8
	v_mul_lo_u32 v129, v129, v150
	s_delay_alu instid0(VALU_DEP_4) | instskip(NEXT) | instid1(VALU_DEP_2)
	v_mul_lo_u32 v7, v7, v139
	v_mad_u32 v6, v6, v168, v129
	s_delay_alu instid0(VALU_DEP_2) | instskip(SKIP_3) | instid1(VALU_DEP_2)
	v_mad_u32 v7, v130, v167, v7
	s_wait_dscnt 0x0
	v_lshrrev_b16 v1, 8, v0
	v_bfe_i32 v0, v0, 0, 8
	v_bfe_i32 v133, v1, 0, 8
	s_delay_alu instid0(VALU_DEP_2)
	v_mul_lo_u32 v5, v5, v0
	v_pk_mul_f32 v[0:1], v[90:91], v[92:93] op_sel_hi:[0,1]
	v_mad_u32 v90, v131, v128, v4
	v_add_nc_u32_e32 v91, 4, v91
	v_cvt_f32_i32_e32 v4, v7
	v_mad_u32 v92, v132, v133, v5
	v_cvt_f32_i32_e32 v5, v6
	v_cvt_f32_i32_e32 v6, v90
	s_delay_alu instid0(VALU_DEP_2) | instskip(NEXT) | instid1(VALU_DEP_4)
	v_pk_fma_f32 v[20:21], v[0:1], v[4:5], v[20:21]
	v_cvt_f32_i32_e32 v7, v92
	s_delay_alu instid0(VALU_DEP_1)
	v_pk_fma_f32 v[16:17], v[2:3], v[6:7], v[16:17]
	s_cbranch_scc1 .LBB230_19
; %bb.20:                               ;   in Loop: Header=BB230_5 Depth=1
	s_or_b32 s1, s18, 0x100
	s_delay_alu instid0(SALU_CYCLE_1)
	s_cmp_ge_i32 s1, s5
	s_barrier_signal -1
	s_barrier_wait -1
	s_cbranch_scc1 .LBB230_4
; %bb.21:                               ;   in Loop: Header=BB230_5 Depth=1
	v_add_nc_u32_e32 v0, s19, v105
	s_delay_alu instid0(VALU_DEP_1) | instskip(SKIP_1) | instid1(SALU_CYCLE_1)
	v_cmp_gt_i32_e64 s1, s6, v0
	s_and_b32 s20, s0, s1
	s_and_saveexec_b32 s1, s20
	s_cbranch_execz .LBB230_23
; %bb.22:                               ;   in Loop: Header=BB230_5 Depth=1
	v_add_nc_u32_e32 v0, v22, v0
	s_delay_alu instid0(VALU_DEP_1)
	v_mad_nc_i64_i32 v[0:1], v0, 36, v[24:25]
	global_load_b32 v0, v[0:1], off offset:4
	s_wait_loadcnt 0x0
	ds_store_b32 v67, v0
.LBB230_23:                             ;   in Loop: Header=BB230_5 Depth=1
	s_or_b32 exec_lo, exec_lo, s1
	s_and_saveexec_b32 s20, vcc_lo
	s_cbranch_execz .LBB230_26
; %bb.24:                               ;   in Loop: Header=BB230_5 Depth=1
	v_or_b32_e32 v0, 8, v88
	s_delay_alu instid0(VALU_DEP_1) | instskip(SKIP_1) | instid1(SALU_CYCLE_1)
	v_cmp_gt_i32_e64 s1, s6, v0
	s_and_b32 s1, s0, s1
	s_and_b32 exec_lo, exec_lo, s1
	s_cbranch_execz .LBB230_26
; %bb.25:                               ;   in Loop: Header=BB230_5 Depth=1
	v_ashrrev_i32_e32 v89, 31, v88
	s_delay_alu instid0(VALU_DEP_1) | instskip(NEXT) | instid1(VALU_DEP_1)
	v_add_nc_u64_e32 v[0:1], v[22:23], v[88:89]
	v_mad_nc_u64_u32 v[2:3], v0, 36, s[2:3]
	s_delay_alu instid0(VALU_DEP_1)
	v_mad_i32_i24 v3, v1, 36, v3
	global_load_b32 v0, v[2:3], off offset:288
	s_wait_loadcnt 0x0
	v_cvt_f32_f16_e32 v0, v0
	ds_store_b32 v103, v0
.LBB230_26:                             ;   in Loop: Header=BB230_5 Depth=1
	s_or_b32 exec_lo, exec_lo, s20
	v_dual_mov_b32 v89, v65 :: v_dual_mov_b32 v91, v69
	s_mov_b32 s1, 16
	s_mov_b32 s24, 14
	;; [unrolled: 1-line block ×3, first 2 shown]
	s_wait_dscnt 0x0
	s_barrier_signal -1
	s_barrier_wait -1
.LBB230_27:                             ;   Parent Loop BB230_5 Depth=1
                                        ; =>  This Inner Loop Header: Depth=2
	s_add_co_i32 s21, s24, 2
	s_add_co_i32 s22, s24, -14
	s_lshr_b32 s26, s21, 4
	s_and_b32 s23, s21, 0x3ffffff8
	s_and_b32 s25, s1, -16
	v_lshl_add_u32 v4, s23, 2, v107
	s_lshl_b32 s23, s26, 5
	s_add_co_i32 s24, s24, s25
	s_addk_co_i32 s23, 0x4200
	s_lshl_b32 s25, s26, 2
	v_add3_u32 v92, s23, v108, v109
	ds_load_2addr_b32 v[0:1], v4 offset1:1
	s_addk_co_i32 s25, 0x7380
	ds_load_b32 v90, v91
	s_add_co_i32 s1, s1, 2
	ds_load_2addr_b32 v[2:3], v92 offset1:1
	s_wait_dscnt 0x2
	v_dual_add_nc_u32 v150, s24, v33 :: v_dual_ashrrev_i32 v0, s22, v0
	s_wait_dscnt 0x0
	v_ashrrev_i32_e32 v2, s20, v2
	s_delay_alu instid0(VALU_DEP_2) | instskip(NEXT) | instid1(VALU_DEP_2)
	v_and_b32_e32 v5, 0x3030303, v0
	v_dual_ashrrev_i32 v3, s20, v3 :: v_dual_lshlrev_b32 v2, 2, v2
	s_delay_alu instid0(VALU_DEP_2) | instskip(SKIP_2) | instid1(VALU_DEP_4)
	v_lshrrev_b32_e32 v7, 16, v5
	v_bfe_u32 v0, v0, 24, 2
	v_lshrrev_b16 v6, 8, v5
	v_lshlrev_b32_e32 v3, 2, v3
	v_and_b32_e32 v2, 0x4040404, v2
	s_delay_alu instid0(VALU_DEP_2) | instskip(NEXT) | instid1(VALU_DEP_2)
	v_and_b32_e32 v3, 0x4040404, v3
	v_dual_lshrrev_b32 v94, 24, v2 :: v_dual_lshrrev_b32 v95, 16, v2
	v_lshrrev_b16 v93, 8, v2
	s_delay_alu instid0(VALU_DEP_2) | instskip(NEXT) | instid1(VALU_DEP_3)
	v_sub_nc_u16 v0, v0, v94
	v_sub_nc_u16 v163, v7, v95
	v_lshrrev_b32_e32 v7, 24, v3
	s_delay_alu instid0(VALU_DEP_3) | instskip(NEXT) | instid1(VALU_DEP_1)
	v_lshlrev_b16 v0, 8, v0
	v_bitop3_b16 v164, v163, v0, 0xff bitop3:0xec
	v_sub_nc_u16 v0, v5, v2
	v_sub_nc_u16 v2, v6, v93
	v_lshrrev_b32_e32 v93, 16, v3
	v_lshrrev_b16 v6, 8, v3
	v_perm_b32 v163, v164, v163, 0xc0c0500
	s_delay_alu instid0(VALU_DEP_4) | instskip(NEXT) | instid1(VALU_DEP_1)
	v_lshlrev_b16 v2, 8, v2
	v_bitop3_b16 v0, v0, v2, 0xff bitop3:0xec
	s_delay_alu instid0(VALU_DEP_1) | instskip(SKIP_1) | instid1(VALU_DEP_1)
	v_and_b32_e32 v167, 0xffff, v0
	v_ashrrev_i32_e32 v0, s22, v1
	v_and_b32_e32 v1, 0x3030303, v0
	v_bfe_u32 v0, v0, 24, 2
	s_delay_alu instid0(VALU_DEP_2) | instskip(NEXT) | instid1(VALU_DEP_2)
	v_lshrrev_b32_e32 v5, 16, v1
	v_sub_nc_u16 v0, v0, v7
	v_lshrrev_b16 v2, 8, v1
	v_sub_nc_u16 v168, v1, v3
	s_delay_alu instid0(VALU_DEP_4) | instskip(NEXT) | instid1(VALU_DEP_4)
	v_sub_nc_u16 v165, v5, v93
	v_lshlrev_b16 v0, 8, v0
	s_delay_alu instid0(VALU_DEP_1) | instskip(SKIP_4) | instid1(VALU_DEP_1)
	v_bitop3_b16 v166, v165, v0, 0xff bitop3:0xec
	v_sub_nc_u16 v0, v2, v6
	ds_load_2addr_b32 v[2:3], v92 offset0:2 offset1:3
	v_perm_b32 v165, v166, v165, 0xc0c0500
	v_lshlrev_b16 v0, 8, v0
	v_bitop3_b16 v169, v168, v0, 0xff bitop3:0xec
	ds_load_2addr_b32 v[0:1], v4 offset0:2 offset1:3
	v_perm_b32 v164, v169, v168, 0x5000c0c
	s_wait_dscnt 0x1
	s_delay_alu instid0(VALU_DEP_1) | instskip(NEXT) | instid1(VALU_DEP_1)
	v_dual_ashrrev_i32 v2, s20, v2 :: v_dual_bitop2_b32 v163, v164, v163 bitop3:0x54
	v_dual_ashrrev_i32 v3, s20, v3 :: v_dual_lshlrev_b32 v2, 2, v2
	s_wait_dscnt 0x0
	s_delay_alu instid0(VALU_DEP_1) | instskip(NEXT) | instid1(VALU_DEP_2)
	v_dual_lshlrev_b32 v3, 2, v3 :: v_dual_ashrrev_i32 v0, s22, v0
	v_and_b32_e32 v2, 0x4040404, v2
	s_delay_alu instid0(VALU_DEP_2) | instskip(NEXT) | instid1(VALU_DEP_3)
	v_and_b32_e32 v3, 0x4040404, v3
	v_and_b32_e32 v5, 0x3030303, v0
	v_bfe_u32 v0, v0, 24, 2
	s_delay_alu instid0(VALU_DEP_4) | instskip(SKIP_1) | instid1(VALU_DEP_4)
	v_dual_lshrrev_b32 v93, 16, v2 :: v_dual_lshrrev_b32 v94, 24, v2
	v_lshrrev_b16 v95, 8, v2
	v_lshrrev_b16 v7, 8, v5
	v_lshrrev_b32_e32 v6, 16, v5
	v_sub_nc_u16 v171, v5, v2
	v_sub_nc_u16 v0, v0, v94
	s_delay_alu instid0(VALU_DEP_4) | instskip(SKIP_2) | instid1(VALU_DEP_4)
	v_sub_nc_u16 v2, v7, v95
	v_lshrrev_b32_e32 v7, 24, v3
	v_sub_nc_u16 v174, v6, v93
	v_lshlrev_b16 v129, 8, v0
	v_ashrrev_i32_e32 v0, s22, v1
	v_lshlrev_b16 v2, 8, v2
	v_lshrrev_b32_e32 v93, 16, v3
	v_lshrrev_b16 v6, 8, v3
	v_bfe_i32 v174, v174, 0, 8
	v_and_b32_e32 v1, 0x3030303, v0
	v_bfe_u32 v0, v0, 24, 2
	v_bitop3_b16 v172, v171, v2, 0xff bitop3:0xec
	v_bfe_i32 v129, v129, 8, 8
	s_delay_alu instid0(VALU_DEP_4) | instskip(NEXT) | instid1(VALU_DEP_4)
	v_lshrrev_b32_e32 v5, 16, v1
	v_sub_nc_u16 v0, v0, v7
	v_lshrrev_b16 v2, 8, v1
	v_sub_nc_u16 v132, v1, v3
	v_perm_b32 v166, v172, v171, 0x5000c0c
	v_sub_nc_u16 v130, v5, v93
	v_lshlrev_b16 v0, 8, v0
	s_delay_alu instid0(VALU_DEP_1) | instskip(SKIP_4) | instid1(VALU_DEP_1)
	v_bitop3_b16 v131, v130, v0, 0xff bitop3:0xec
	v_sub_nc_u16 v0, v2, v6
	ds_load_2addr_b32 v[2:3], v92 offset0:4 offset1:5
	v_perm_b32 v130, v131, v130, 0x5000c0c
	v_lshlrev_b16 v0, 8, v0
	v_bitop3_b16 v133, v132, v0, 0xff bitop3:0xec
	ds_load_2addr_b32 v[0:1], v4 offset0:4 offset1:5
	v_perm_b32 v132, v133, v132, 0xc0c0500
	s_wait_dscnt 0x1
	s_delay_alu instid0(VALU_DEP_1) | instskip(NEXT) | instid1(VALU_DEP_1)
	v_dual_ashrrev_i32 v2, s20, v2 :: v_dual_bitop2_b32 v130, v130, v132 bitop3:0x54
	v_dual_ashrrev_i32 v3, s20, v3 :: v_dual_lshlrev_b32 v2, 2, v2
	s_wait_dscnt 0x0
	s_delay_alu instid0(VALU_DEP_1) | instskip(NEXT) | instid1(VALU_DEP_2)
	v_dual_lshlrev_b32 v3, 2, v3 :: v_dual_ashrrev_i32 v0, s22, v0
	v_and_b32_e32 v2, 0x4040404, v2
	s_delay_alu instid0(VALU_DEP_2) | instskip(NEXT) | instid1(VALU_DEP_3)
	v_and_b32_e32 v3, 0x4040404, v3
	v_and_b32_e32 v5, 0x3030303, v0
	v_bfe_u32 v0, v0, 24, 2
	s_delay_alu instid0(VALU_DEP_4) | instskip(SKIP_1) | instid1(VALU_DEP_4)
	v_dual_lshrrev_b32 v94, 24, v2 :: v_dual_lshrrev_b32 v95, 16, v2
	v_lshrrev_b16 v93, 8, v2
	v_lshrrev_b32_e32 v7, 16, v5
	v_lshrrev_b16 v6, 8, v5
	s_delay_alu instid0(VALU_DEP_4) | instskip(NEXT) | instid1(VALU_DEP_3)
	v_sub_nc_u16 v0, v0, v94
	v_sub_nc_u16 v151, v7, v95
	v_lshrrev_b32_e32 v7, 24, v3
	s_delay_alu instid0(VALU_DEP_3) | instskip(NEXT) | instid1(VALU_DEP_1)
	v_lshlrev_b16 v0, 8, v0
	v_bitop3_b16 v152, v151, v0, 0xff bitop3:0xec
	v_sub_nc_u16 v0, v5, v2
	v_sub_nc_u16 v2, v6, v93
	v_lshrrev_b32_e32 v93, 16, v3
	v_lshrrev_b16 v6, 8, v3
	v_perm_b32 v151, v152, v151, 0xc0c0500
	s_delay_alu instid0(VALU_DEP_4) | instskip(NEXT) | instid1(VALU_DEP_1)
	v_lshlrev_b16 v2, 8, v2
	v_bitop3_b16 v0, v0, v2, 0xff bitop3:0xec
	s_delay_alu instid0(VALU_DEP_1) | instskip(SKIP_1) | instid1(VALU_DEP_1)
	v_and_b32_e32 v158, 0xffff, v0
	v_ashrrev_i32_e32 v0, s22, v1
	v_and_b32_e32 v1, 0x3030303, v0
	v_bfe_u32 v0, v0, 24, 2
	s_delay_alu instid0(VALU_DEP_2) | instskip(NEXT) | instid1(VALU_DEP_2)
	v_lshrrev_b32_e32 v5, 16, v1
	v_sub_nc_u16 v0, v0, v7
	v_lshrrev_b16 v2, 8, v1
	v_sub_nc_u16 v159, v1, v3
	s_delay_alu instid0(VALU_DEP_4) | instskip(NEXT) | instid1(VALU_DEP_4)
	v_sub_nc_u16 v153, v5, v93
	v_lshlrev_b16 v0, 8, v0
	s_delay_alu instid0(VALU_DEP_1) | instskip(SKIP_3) | instid1(VALU_DEP_1)
	v_bitop3_b16 v154, v153, v0, 0xff bitop3:0xec
	v_sub_nc_u16 v0, v2, v6
	ds_load_2addr_b32 v[2:3], v92 offset0:6 offset1:7
	v_lshlrev_b16 v0, 8, v0
	v_bitop3_b16 v160, v159, v0, 0xff bitop3:0xec
	ds_load_2addr_b32 v[0:1], v4 offset0:6 offset1:7
	v_perm_b32 v152, v160, v159, 0x5000c0c
	s_wait_dscnt 0x1
	v_dual_ashrrev_i32 v2, s20, v2 :: v_dual_ashrrev_i32 v3, s20, v3
	s_delay_alu instid0(VALU_DEP_1) | instskip(SKIP_2) | instid1(VALU_DEP_2)
	v_dual_lshlrev_b32 v2, 2, v2 :: v_dual_lshlrev_b32 v3, 2, v3
	s_wait_dscnt 0x0
	v_ashrrev_i32_e32 v0, s22, v0
	v_and_b32_e32 v2, 0x4040404, v2
	s_delay_alu instid0(VALU_DEP_3) | instskip(NEXT) | instid1(VALU_DEP_3)
	v_and_b32_e32 v3, 0x4040404, v3
	v_and_b32_e32 v5, 0x3030303, v0
	v_bfe_u32 v0, v0, 24, 2
	s_delay_alu instid0(VALU_DEP_4) | instskip(SKIP_1) | instid1(VALU_DEP_4)
	v_dual_lshrrev_b32 v92, 16, v2 :: v_dual_lshrrev_b32 v93, 24, v2
	v_lshrrev_b16 v94, 8, v2
	v_lshrrev_b16 v7, 8, v5
	v_lshrrev_b32_e32 v6, 16, v5
	v_sub_nc_u16 v161, v5, v2
	v_sub_nc_u16 v0, v0, v93
	v_add3_u32 v93, s23, v112, v113
	v_sub_nc_u16 v2, v7, v94
	v_lshrrev_b32_e32 v7, 24, v3
	v_sub_nc_u16 v170, v6, v92
	v_lshlrev_b16 v134, 8, v0
	v_ashrrev_i32_e32 v0, s22, v1
	v_lshlrev_b16 v2, 8, v2
	v_lshrrev_b32_e32 v92, 16, v3
	v_lshrrev_b16 v6, 8, v3
	v_bfe_i32 v170, v170, 0, 8
	v_and_b32_e32 v1, 0x3030303, v0
	v_bfe_u32 v0, v0, 24, 2
	v_bitop3_b16 v162, v161, v2, 0xff bitop3:0xec
	v_bfe_i32 v131, v134, 8, 8
	s_delay_alu instid0(VALU_DEP_4) | instskip(NEXT) | instid1(VALU_DEP_4)
	v_lshrrev_b32_e32 v5, 16, v1
	v_sub_nc_u16 v0, v0, v7
	v_lshrrev_b16 v2, 8, v1
	v_sub_nc_u16 v137, v1, v3
	s_delay_alu instid0(VALU_DEP_4) | instskip(NEXT) | instid1(VALU_DEP_4)
	v_sub_nc_u16 v135, v5, v92
	v_lshlrev_b16 v0, 8, v0
	s_delay_alu instid0(VALU_DEP_1) | instskip(SKIP_4) | instid1(VALU_DEP_1)
	v_bitop3_b16 v136, v135, v0, 0xff bitop3:0xec
	v_sub_nc_u16 v0, v2, v6
	ds_load_2addr_b32 v[2:3], v93 offset1:1
	v_add_nc_u32_e32 v139, s24, v35
	v_lshlrev_b16 v0, 8, v0
	v_bitop3_b16 v138, v137, v0, 0xff bitop3:0xec
	v_add3_u32 v0, s25, v127, v111
	ds_load_b32 v92, v0
	v_add_nc_u32_e32 v0, 0x1080, v4
	s_wait_dscnt 0x1
	v_ashrrev_i32_e32 v2, s20, v2
	ds_load_2addr_b32 v[0:1], v0 offset1:1
	v_dual_ashrrev_i32 v3, s20, v3 :: v_dual_lshlrev_b32 v2, 2, v2
	s_delay_alu instid0(VALU_DEP_1) | instskip(NEXT) | instid1(VALU_DEP_2)
	v_lshlrev_b32_e32 v3, 2, v3
	v_and_b32_e32 v2, 0x4040404, v2
	s_delay_alu instid0(VALU_DEP_2) | instskip(NEXT) | instid1(VALU_DEP_2)
	v_and_b32_e32 v3, 0x4040404, v3
	v_dual_lshrrev_b32 v95, 24, v2 :: v_dual_lshrrev_b32 v128, 16, v2
	v_lshrrev_b16 v94, 8, v2
	s_wait_dscnt 0x0
	v_ashrrev_i32_e32 v0, s22, v0
	s_delay_alu instid0(VALU_DEP_1) | instskip(SKIP_1) | instid1(VALU_DEP_2)
	v_and_b32_e32 v5, 0x3030303, v0
	v_bfe_u32 v0, v0, 24, 2
	v_lshrrev_b32_e32 v7, 16, v5
	s_delay_alu instid0(VALU_DEP_2) | instskip(SKIP_2) | instid1(VALU_DEP_4)
	v_sub_nc_u16 v0, v0, v95
	v_lshrrev_b16 v6, 8, v5
	v_sub_nc_u16 v195, v5, v2
	v_sub_nc_u16 v187, v7, v128
	s_delay_alu instid0(VALU_DEP_4) | instskip(SKIP_1) | instid1(VALU_DEP_4)
	v_lshlrev_b16 v0, 8, v0
	v_lshrrev_b32_e32 v7, 24, v3
	v_bfe_i32 v195, v195, 0, 8
	s_delay_alu instid0(VALU_DEP_3) | instskip(SKIP_3) | instid1(VALU_DEP_4)
	v_bitop3_b16 v188, v187, v0, 0xff bitop3:0xec
	v_sub_nc_u16 v0, v6, v94
	v_lshrrev_b32_e32 v94, 16, v3
	v_lshrrev_b16 v6, 8, v3
	v_perm_b32 v187, v188, v187, 0xc0c0500
	s_delay_alu instid0(VALU_DEP_4) | instskip(SKIP_1) | instid1(VALU_DEP_2)
	v_lshlrev_b16 v192, 8, v0
	v_ashrrev_i32_e32 v0, s22, v1
	v_bfe_i32 v192, v192, 8, 8
	s_delay_alu instid0(VALU_DEP_2) | instskip(SKIP_1) | instid1(VALU_DEP_2)
	v_and_b32_e32 v1, 0x3030303, v0
	v_bfe_u32 v0, v0, 24, 2
	v_lshrrev_b32_e32 v5, 16, v1
	s_delay_alu instid0(VALU_DEP_2) | instskip(SKIP_2) | instid1(VALU_DEP_4)
	v_sub_nc_u16 v0, v0, v7
	v_lshrrev_b16 v2, 8, v1
	v_sub_nc_u16 v197, v1, v3
	v_sub_nc_u16 v191, v5, v94
	s_delay_alu instid0(VALU_DEP_4) | instskip(NEXT) | instid1(VALU_DEP_3)
	v_lshlrev_b16 v0, 8, v0
	v_bfe_i32 v197, v197, 0, 8
	s_delay_alu instid0(VALU_DEP_2) | instskip(SKIP_4) | instid1(VALU_DEP_2)
	v_bitop3_b16 v193, v191, v0, 0xff bitop3:0xec
	v_sub_nc_u16 v0, v2, v6
	ds_load_2addr_b32 v[2:3], v93 offset0:2 offset1:3
	v_lshlrev_b16 v194, 8, v0
	v_add_nc_u32_e32 v0, 0x1088, v4
	v_perm_b32 v164, v194, v194, 0xc0c0c01
	ds_load_2addr_b32 v[0:1], v0 offset1:1
	s_wait_dscnt 0x1
	v_dual_ashrrev_i32 v2, s20, v2 :: v_dual_ashrrev_i32 v3, s20, v3
	s_delay_alu instid0(VALU_DEP_1) | instskip(SKIP_2) | instid1(VALU_DEP_2)
	v_dual_lshlrev_b32 v2, 2, v2 :: v_dual_lshlrev_b32 v3, 2, v3
	s_wait_dscnt 0x0
	v_ashrrev_i32_e32 v0, s22, v0
	v_and_b32_e32 v2, 0x4040404, v2
	s_delay_alu instid0(VALU_DEP_3) | instskip(NEXT) | instid1(VALU_DEP_3)
	v_and_b32_e32 v3, 0x4040404, v3
	v_and_b32_e32 v5, 0x3030303, v0
	v_bfe_u32 v0, v0, 24, 2
	s_delay_alu instid0(VALU_DEP_4) | instskip(SKIP_1) | instid1(VALU_DEP_4)
	v_dual_lshrrev_b32 v94, 16, v2 :: v_dual_lshrrev_b32 v128, 24, v2
	v_lshrrev_b16 v95, 8, v2
	v_lshrrev_b32_e32 v6, 16, v5
	v_lshrrev_b16 v7, 8, v5
	v_sub_nc_u16 v199, v5, v2
	v_sub_nc_u16 v0, v0, v128
	s_delay_alu instid0(VALU_DEP_4) | instskip(SKIP_2) | instid1(VALU_DEP_4)
	v_sub_nc_u16 v200, v6, v94
	v_lshrrev_b32_e32 v94, 16, v3
	v_lshrrev_b16 v6, 8, v3
	v_lshlrev_b16 v140, 8, v0
	v_sub_nc_u16 v0, v7, v95
	v_lshrrev_b32_e32 v7, 24, v3
	v_bfe_i32 v200, v200, 0, 8
	v_bfe_i32 v199, v199, 0, 8
	;; [unrolled: 1-line block ×3, first 2 shown]
	v_lshlrev_b16 v198, 8, v0
	v_ashrrev_i32_e32 v0, s22, v1
	v_perm_b32 v174, v200, v174, 0x5040100
	s_delay_alu instid0(VALU_DEP_3) | instskip(NEXT) | instid1(VALU_DEP_3)
	v_bfe_i32 v198, v198, 8, 8
	v_and_b32_e32 v1, 0x3030303, v0
	v_bfe_u32 v0, v0, 24, 2
	s_delay_alu instid0(VALU_DEP_2) | instskip(NEXT) | instid1(VALU_DEP_2)
	v_lshrrev_b32_e32 v5, 16, v1
	v_sub_nc_u16 v0, v0, v7
	v_lshrrev_b16 v2, 8, v1
	v_sub_nc_u16 v144, v1, v3
	s_delay_alu instid0(VALU_DEP_4) | instskip(NEXT) | instid1(VALU_DEP_4)
	v_sub_nc_u16 v141, v5, v94
	v_lshlrev_b16 v0, 8, v0
	s_delay_alu instid0(VALU_DEP_3) | instskip(NEXT) | instid1(VALU_DEP_2)
	v_bfe_i32 v144, v144, 0, 8
	v_bitop3_b16 v142, v141, v0, 0xff bitop3:0xec
	v_sub_nc_u16 v0, v2, v6
	ds_load_2addr_b32 v[2:3], v93 offset0:4 offset1:5
	v_lshlrev_b16 v143, 8, v0
	v_add_nc_u32_e32 v0, 0x1090, v4
	ds_load_2addr_b32 v[0:1], v0 offset1:1
	s_wait_dscnt 0x1
	v_dual_ashrrev_i32 v2, s20, v2 :: v_dual_ashrrev_i32 v3, s20, v3
	s_delay_alu instid0(VALU_DEP_1) | instskip(SKIP_2) | instid1(VALU_DEP_2)
	v_dual_lshlrev_b32 v2, 2, v2 :: v_dual_lshlrev_b32 v3, 2, v3
	s_wait_dscnt 0x0
	v_ashrrev_i32_e32 v0, s22, v0
	v_and_b32_e32 v2, 0x4040404, v2
	s_delay_alu instid0(VALU_DEP_3) | instskip(NEXT) | instid1(VALU_DEP_3)
	v_and_b32_e32 v3, 0x4040404, v3
	v_and_b32_e32 v5, 0x3030303, v0
	v_bfe_u32 v0, v0, 24, 2
	s_delay_alu instid0(VALU_DEP_4) | instskip(SKIP_1) | instid1(VALU_DEP_4)
	v_dual_lshrrev_b32 v95, 24, v2 :: v_dual_lshrrev_b32 v128, 16, v2
	v_lshrrev_b16 v94, 8, v2
	v_lshrrev_b32_e32 v7, 16, v5
	v_lshrrev_b16 v6, 8, v5
	s_delay_alu instid0(VALU_DEP_4) | instskip(SKIP_1) | instid1(VALU_DEP_4)
	v_sub_nc_u16 v0, v0, v95
	v_sub_nc_u16 v185, v5, v2
	;; [unrolled: 1-line block ×3, first 2 shown]
	v_lshrrev_b32_e32 v7, 24, v3
	s_delay_alu instid0(VALU_DEP_4) | instskip(NEXT) | instid1(VALU_DEP_4)
	v_lshlrev_b16 v0, 8, v0
	v_bfe_i32 v185, v185, 0, 8
	s_delay_alu instid0(VALU_DEP_2) | instskip(SKIP_3) | instid1(VALU_DEP_4)
	v_bitop3_b16 v180, v179, v0, 0xff bitop3:0xec
	v_sub_nc_u16 v0, v6, v94
	v_lshrrev_b32_e32 v94, 16, v3
	v_lshrrev_b16 v6, 8, v3
	v_perm_b32 v179, v180, v179, 0xc0c0500
	s_delay_alu instid0(VALU_DEP_4) | instskip(SKIP_1) | instid1(VALU_DEP_2)
	v_lshlrev_b16 v182, 8, v0
	v_ashrrev_i32_e32 v0, s22, v1
	v_bfe_i32 v182, v182, 8, 8
	s_delay_alu instid0(VALU_DEP_2) | instskip(SKIP_1) | instid1(VALU_DEP_2)
	v_and_b32_e32 v1, 0x3030303, v0
	v_bfe_u32 v0, v0, 24, 2
	v_lshrrev_b32_e32 v5, 16, v1
	s_delay_alu instid0(VALU_DEP_2) | instskip(SKIP_2) | instid1(VALU_DEP_4)
	v_sub_nc_u16 v0, v0, v7
	v_lshrrev_b16 v2, 8, v1
	v_sub_nc_u16 v186, v1, v3
	v_sub_nc_u16 v181, v5, v94
	s_delay_alu instid0(VALU_DEP_4) | instskip(NEXT) | instid1(VALU_DEP_3)
	v_lshlrev_b16 v0, 8, v0
	v_bfe_i32 v186, v186, 0, 8
	s_delay_alu instid0(VALU_DEP_2)
	v_bitop3_b16 v183, v181, v0, 0xff bitop3:0xec
	v_sub_nc_u16 v0, v2, v6
	ds_load_2addr_b32 v[2:3], v93 offset0:6 offset1:7
	v_lshlrev_b16 v184, 8, v0
	v_add_nc_u32_e32 v0, 0x1098, v4
	ds_load_2addr_b32 v[0:1], v0 offset1:1
	s_wait_dscnt 0x1
	v_dual_ashrrev_i32 v2, s20, v2 :: v_dual_ashrrev_i32 v3, s20, v3
	s_delay_alu instid0(VALU_DEP_1) | instskip(SKIP_2) | instid1(VALU_DEP_2)
	v_dual_lshlrev_b32 v2, 2, v2 :: v_dual_lshlrev_b32 v3, 2, v3
	s_wait_dscnt 0x0
	v_ashrrev_i32_e32 v0, s22, v0
	v_and_b32_e32 v2, 0x4040404, v2
	s_delay_alu instid0(VALU_DEP_3) | instskip(NEXT) | instid1(VALU_DEP_3)
	v_and_b32_e32 v3, 0x4040404, v3
	v_and_b32_e32 v5, 0x3030303, v0
	v_bfe_u32 v0, v0, 24, 2
	s_delay_alu instid0(VALU_DEP_4) | instskip(SKIP_1) | instid1(VALU_DEP_4)
	v_dual_lshrrev_b32 v93, 16, v2 :: v_dual_lshrrev_b32 v95, 24, v2
	v_lshrrev_b16 v94, 8, v2
	v_lshrrev_b32_e32 v6, 16, v5
	v_lshrrev_b16 v7, 8, v5
	v_sub_nc_u16 v190, v5, v2
	v_sub_nc_u16 v0, v0, v95
	s_delay_alu instid0(VALU_DEP_4) | instskip(SKIP_2) | instid1(VALU_DEP_4)
	v_sub_nc_u16 v196, v6, v93
	v_lshrrev_b32_e32 v93, 16, v3
	v_lshrrev_b16 v6, 8, v3
	v_lshlrev_b16 v145, 8, v0
	v_sub_nc_u16 v0, v7, v94
	v_lshrrev_b32_e32 v7, 24, v3
	v_add3_u32 v94, s23, v116, v117
	v_bfe_i32 v196, v196, 0, 8
	v_bfe_i32 v190, v190, 0, 8
	v_lshlrev_b16 v189, 8, v0
	v_ashrrev_i32_e32 v0, s22, v1
	s_delay_alu instid0(VALU_DEP_4) | instskip(NEXT) | instid1(VALU_DEP_3)
	v_perm_b32 v170, v196, v170, 0x5040100
	v_bfe_i32 v189, v189, 8, 8
	s_delay_alu instid0(VALU_DEP_3) | instskip(SKIP_1) | instid1(VALU_DEP_2)
	v_and_b32_e32 v1, 0x3030303, v0
	v_bfe_u32 v0, v0, 24, 2
	v_lshrrev_b32_e32 v5, 16, v1
	s_delay_alu instid0(VALU_DEP_2) | instskip(SKIP_2) | instid1(VALU_DEP_4)
	v_sub_nc_u16 v0, v0, v7
	v_lshrrev_b16 v2, 8, v1
	v_sub_nc_u16 v149, v1, v3
	v_sub_nc_u16 v146, v5, v93
	s_delay_alu instid0(VALU_DEP_4) | instskip(NEXT) | instid1(VALU_DEP_3)
	v_lshlrev_b16 v0, 8, v0
	v_bfe_i32 v149, v149, 0, 8
	s_delay_alu instid0(VALU_DEP_2)
	v_bitop3_b16 v147, v146, v0, 0xff bitop3:0xec
	v_sub_nc_u16 v0, v2, v6
	ds_load_2addr_b32 v[2:3], v94 offset1:1
	v_lshlrev_b16 v148, 8, v0
	v_add3_u32 v0, s25, v114, v115
	ds_load_b32 v93, v0
	v_add_nc_u32_e32 v0, 0x2100, v4
	ds_load_2addr_b32 v[0:1], v0 offset1:1
	s_wait_dscnt 0x2
	v_dual_ashrrev_i32 v2, s20, v2 :: v_dual_ashrrev_i32 v3, s20, v3
	s_delay_alu instid0(VALU_DEP_1) | instskip(NEXT) | instid1(VALU_DEP_1)
	v_dual_lshlrev_b32 v2, 2, v2 :: v_dual_lshlrev_b32 v3, 2, v3
	v_and_b32_e32 v2, 0x4040404, v2
	s_delay_alu instid0(VALU_DEP_2) | instskip(NEXT) | instid1(VALU_DEP_2)
	v_and_b32_e32 v3, 0x4040404, v3
	v_dual_lshrrev_b32 v128, 24, v2 :: v_dual_lshrrev_b32 v155, 16, v2
	s_wait_dscnt 0x0
	v_ashrrev_i32_e32 v0, s22, v0
	v_lshrrev_b16 v95, 8, v2
	s_delay_alu instid0(VALU_DEP_2) | instskip(NEXT) | instid1(VALU_DEP_1)
	v_and_b32_e32 v5, 0x3030303, v0
	v_lshrrev_b32_e32 v7, 16, v5
	v_bfe_u32 v0, v0, 24, 2
	v_lshrrev_b16 v6, 8, v5
	v_sub_nc_u16 v5, v5, v2
	s_delay_alu instid0(VALU_DEP_4) | instskip(NEXT) | instid1(VALU_DEP_4)
	v_sub_nc_u16 v201, v7, v155
	v_sub_nc_u16 v0, v0, v128
	v_dual_lshrrev_b32 v128, 24, v3 :: v_dual_lshrrev_b32 v155, 16, v3
	s_delay_alu instid0(VALU_DEP_4) | instskip(NEXT) | instid1(VALU_DEP_3)
	v_bfe_i32 v224, v5, 0, 8
	v_lshlrev_b16 v0, 8, v0
	s_delay_alu instid0(VALU_DEP_1) | instskip(SKIP_2) | instid1(VALU_DEP_3)
	v_bitop3_b16 v202, v201, v0, 0xff bitop3:0xec
	v_sub_nc_u16 v0, v6, v95
	v_lshrrev_b16 v95, 8, v3
	v_perm_b32 v201, v202, v201, 0xc0c0500
	s_delay_alu instid0(VALU_DEP_3) | instskip(SKIP_1) | instid1(VALU_DEP_2)
	v_lshlrev_b16 v6, 8, v0
	v_ashrrev_i32_e32 v0, s22, v1
	v_bfe_i32 v225, v6, 8, 8
	s_delay_alu instid0(VALU_DEP_2) | instskip(SKIP_1) | instid1(VALU_DEP_2)
	v_and_b32_e32 v1, 0x3030303, v0
	v_bfe_u32 v0, v0, 24, 2
	v_lshrrev_b32_e32 v7, 16, v1
	s_delay_alu instid0(VALU_DEP_2) | instskip(SKIP_1) | instid1(VALU_DEP_3)
	v_sub_nc_u16 v0, v0, v128
	v_lshrrev_b16 v2, 8, v1
	v_sub_nc_u16 v203, v7, v155
	s_delay_alu instid0(VALU_DEP_3) | instskip(SKIP_1) | instid1(VALU_DEP_2)
	v_lshlrev_b16 v0, 8, v0
	v_sub_nc_u16 v7, v1, v3
	v_bitop3_b16 v204, v203, v0, 0xff bitop3:0xec
	v_sub_nc_u16 v0, v2, v95
	ds_load_2addr_b32 v[2:3], v94 offset0:2 offset1:3
	v_bfe_i32 v226, v7, 0, 8
	v_perm_b32 v203, v204, v203, 0xc05000c
	v_lshlrev_b16 v205, 8, v0
	v_add_nc_u32_e32 v0, 0x2108, v4
	s_delay_alu instid0(VALU_DEP_2) | instskip(SKIP_3) | instid1(VALU_DEP_1)
	v_perm_b32 v204, v205, v205, 0xc0c0c01
	ds_load_2addr_b32 v[0:1], v0 offset1:1
	s_wait_dscnt 0x1
	v_dual_ashrrev_i32 v2, s20, v2 :: v_dual_bitop2_b32 v203, v203, v204 bitop3:0x54
	v_dual_ashrrev_i32 v3, s20, v3 :: v_dual_lshlrev_b32 v2, 2, v2
	s_wait_dscnt 0x0
	s_delay_alu instid0(VALU_DEP_1) | instskip(NEXT) | instid1(VALU_DEP_2)
	v_dual_lshlrev_b32 v3, 2, v3 :: v_dual_ashrrev_i32 v0, s22, v0
	v_and_b32_e32 v2, 0x4040404, v2
	s_delay_alu instid0(VALU_DEP_2) | instskip(NEXT) | instid1(VALU_DEP_3)
	v_and_b32_e32 v3, 0x4040404, v3
	v_and_b32_e32 v95, 0x3030303, v0
	v_bfe_u32 v0, v0, 24, 2
	s_delay_alu instid0(VALU_DEP_4) | instskip(SKIP_1) | instid1(VALU_DEP_4)
	v_dual_lshrrev_b32 v157, 24, v2 :: v_dual_lshrrev_b32 v173, 16, v2
	v_lshrrev_b16 v156, 8, v2
	v_lshrrev_b32_e32 v155, 16, v95
	v_lshrrev_b16 v128, 8, v95
	s_delay_alu instid0(VALU_DEP_4) | instskip(SKIP_1) | instid1(VALU_DEP_4)
	v_sub_nc_u16 v0, v0, v157
	v_sub_nc_u16 v209, v95, v2
	;; [unrolled: 1-line block ×3, first 2 shown]
	v_lshrrev_b32_e32 v155, 24, v3
	s_delay_alu instid0(VALU_DEP_4) | instskip(NEXT) | instid1(VALU_DEP_4)
	v_lshlrev_b16 v0, 8, v0
	v_bfe_i32 v200, v209, 0, 8
	v_bfe_i32 v209, v167, 8, 8
	;; [unrolled: 1-line block ×3, first 2 shown]
	s_delay_alu instid0(VALU_DEP_4) | instskip(SKIP_3) | instid1(VALU_DEP_3)
	v_bitop3_b16 v207, v206, v0, 0xff bitop3:0xec
	v_sub_nc_u16 v0, v128, v156
	v_lshrrev_b32_e32 v156, 16, v3
	v_lshrrev_b16 v128, 8, v3
	v_lshlrev_b16 v208, 8, v0
	v_ashrrev_i32_e32 v0, s22, v1
	s_delay_alu instid0(VALU_DEP_1) | instskip(NEXT) | instid1(VALU_DEP_1)
	v_and_b32_e32 v1, 0x3030303, v0
	v_lshrrev_b32_e32 v95, 16, v1
	v_bfe_u32 v0, v0, 24, 2
	v_lshrrev_b16 v2, 8, v1
	v_sub_nc_u16 v213, v1, v3
	s_delay_alu instid0(VALU_DEP_4) | instskip(NEXT) | instid1(VALU_DEP_4)
	v_sub_nc_u16 v210, v95, v156
	v_sub_nc_u16 v0, v0, v155
	s_delay_alu instid0(VALU_DEP_1) | instskip(NEXT) | instid1(VALU_DEP_1)
	v_lshlrev_b16 v0, 8, v0
	v_bitop3_b16 v211, v210, v0, 0xff bitop3:0xec
	v_sub_nc_u16 v0, v2, v128
	ds_load_2addr_b32 v[2:3], v94 offset0:4 offset1:5
	v_lshlrev_b16 v212, 8, v0
	v_add_nc_u32_e32 v0, 0x2110, v4
	s_delay_alu instid0(VALU_DEP_2) | instskip(SKIP_3) | instid1(VALU_DEP_1)
	v_perm_b32 v188, v212, v212, 0xc0c0c01
	ds_load_2addr_b32 v[0:1], v0 offset1:1
	s_wait_dscnt 0x1
	v_dual_ashrrev_i32 v2, s20, v2 :: v_dual_ashrrev_i32 v3, s20, v3
	v_dual_lshlrev_b32 v2, 2, v2 :: v_dual_lshlrev_b32 v3, 2, v3
	s_wait_dscnt 0x0
	v_ashrrev_i32_e32 v0, s22, v0
	s_delay_alu instid0(VALU_DEP_2) | instskip(NEXT) | instid1(VALU_DEP_3)
	v_and_b32_e32 v2, 0x4040404, v2
	v_and_b32_e32 v3, 0x4040404, v3
	s_delay_alu instid0(VALU_DEP_3) | instskip(SKIP_1) | instid1(VALU_DEP_4)
	v_and_b32_e32 v95, 0x3030303, v0
	v_bfe_u32 v0, v0, 24, 2
	v_dual_lshrrev_b32 v157, 24, v2 :: v_dual_lshrrev_b32 v173, 16, v2
	v_lshrrev_b16 v156, 8, v2
	s_delay_alu instid0(VALU_DEP_4) | instskip(SKIP_1) | instid1(VALU_DEP_4)
	v_lshrrev_b32_e32 v155, 16, v95
	v_lshrrev_b16 v128, 8, v95
	v_sub_nc_u16 v0, v0, v157
	v_lshrrev_b32_e32 v157, 24, v3
	v_sub_nc_u16 v95, v95, v2
	v_sub_nc_u16 v214, v155, v173
	v_lshrrev_b32_e32 v173, 16, v3
	v_lshlrev_b16 v0, 8, v0
	s_delay_alu instid0(VALU_DEP_4) | instskip(SKIP_1) | instid1(VALU_DEP_3)
	v_bfe_i32 v228, v95, 0, 8
	v_add3_u32 v95, s23, v120, v121
	v_bitop3_b16 v215, v214, v0, 0xff bitop3:0xec
	v_sub_nc_u16 v0, v128, v156
	v_lshrrev_b16 v156, 8, v3
	s_delay_alu instid0(VALU_DEP_2) | instskip(SKIP_1) | instid1(VALU_DEP_2)
	v_lshlrev_b16 v128, 8, v0
	v_ashrrev_i32_e32 v0, s22, v1
	v_bfe_i32 v229, v128, 8, 8
	s_delay_alu instid0(VALU_DEP_2) | instskip(NEXT) | instid1(VALU_DEP_1)
	v_and_b32_e32 v1, 0x3030303, v0
	v_lshrrev_b32_e32 v155, 16, v1
	v_bfe_u32 v0, v0, 24, 2
	v_lshrrev_b16 v2, 8, v1
	s_delay_alu instid0(VALU_DEP_3) | instskip(NEXT) | instid1(VALU_DEP_3)
	v_sub_nc_u16 v216, v155, v173
	v_sub_nc_u16 v0, v0, v157
	;; [unrolled: 1-line block ×3, first 2 shown]
	s_delay_alu instid0(VALU_DEP_2) | instskip(NEXT) | instid1(VALU_DEP_2)
	v_lshlrev_b16 v0, 8, v0
	v_bfe_i32 v230, v173, 0, 8
	s_delay_alu instid0(VALU_DEP_2)
	v_bitop3_b16 v217, v216, v0, 0xff bitop3:0xec
	v_sub_nc_u16 v0, v2, v156
	ds_load_2addr_b32 v[2:3], v94 offset0:6 offset1:7
	v_lshlrev_b16 v218, 8, v0
	v_add_nc_u32_e32 v0, 0x2118, v4
	ds_load_2addr_b32 v[0:1], v0 offset1:1
	s_wait_dscnt 0x1
	v_dual_ashrrev_i32 v2, s20, v2 :: v_dual_ashrrev_i32 v3, s20, v3
	s_delay_alu instid0(VALU_DEP_1) | instskip(SKIP_2) | instid1(VALU_DEP_2)
	v_dual_lshlrev_b32 v2, 2, v2 :: v_dual_lshlrev_b32 v3, 2, v3
	s_wait_dscnt 0x0
	v_ashrrev_i32_e32 v0, s22, v0
	v_and_b32_e32 v2, 0x4040404, v2
	s_delay_alu instid0(VALU_DEP_3) | instskip(NEXT) | instid1(VALU_DEP_3)
	v_and_b32_e32 v3, 0x4040404, v3
	v_and_b32_e32 v155, 0x3030303, v0
	v_bfe_u32 v0, v0, 24, 2
	s_delay_alu instid0(VALU_DEP_4) | instskip(SKIP_1) | instid1(VALU_DEP_4)
	v_dual_lshrrev_b32 v175, 24, v2 :: v_dual_lshrrev_b32 v176, 16, v2
	v_lshrrev_b16 v94, 8, v2
	v_lshrrev_b32_e32 v157, 16, v155
	v_lshrrev_b16 v156, 8, v155
	s_delay_alu instid0(VALU_DEP_4)
	v_sub_nc_u16 v0, v0, v175
	v_sub_nc_u16 v222, v155, v2
	v_lshrrev_b32_e32 v155, 16, v3
	v_sub_nc_u16 v219, v157, v176
	v_lshrrev_b16 v157, 8, v3
	v_lshlrev_b16 v0, 8, v0
	v_bfe_i32 v196, v222, 0, 8
	s_delay_alu instid0(VALU_DEP_2) | instskip(SKIP_2) | instid1(VALU_DEP_2)
	v_bitop3_b16 v220, v219, v0, 0xff bitop3:0xec
	v_sub_nc_u16 v0, v156, v94
	v_lshrrev_b32_e32 v156, 24, v3
	v_lshlrev_b16 v221, 8, v0
	v_ashrrev_i32_e32 v0, s22, v1
	s_delay_alu instid0(VALU_DEP_1) | instskip(NEXT) | instid1(VALU_DEP_1)
	v_and_b32_e32 v1, 0x3030303, v0
	v_lshrrev_b32_e32 v94, 16, v1
	v_bfe_u32 v0, v0, 24, 2
	v_lshrrev_b16 v2, 8, v1
	v_sub_nc_u16 v223, v1, v3
	v_add3_u32 v1, s25, v118, v119
	v_sub_nc_u16 v155, v94, v155
	v_sub_nc_u16 v0, v0, v156
	ds_load_b32 v94, v1
	v_lshlrev_b16 v0, 8, v0
	s_delay_alu instid0(VALU_DEP_1)
	v_bitop3_b16 v156, v155, v0, 0xff bitop3:0xec
	v_sub_nc_u16 v0, v2, v157
	ds_load_2addr_b32 v[2:3], v95 offset1:1
	v_lshlrev_b16 v157, 8, v0
	s_wait_dscnt 0x0
	v_dual_add_nc_u32 v0, s24, v31 :: v_dual_ashrrev_i32 v2, s20, v2
	ds_load_u16 v0, v0 offset:27378
	v_ashrrev_i32_e32 v3, s20, v3
	s_delay_alu instid0(VALU_DEP_1) | instskip(NEXT) | instid1(VALU_DEP_1)
	v_lshlrev_b32_e32 v3, 2, v3
	v_and_b32_e32 v3, 0x4040404, v3
	s_wait_dscnt 0x0
	v_lshrrev_b16 v1, 8, v0
	v_bfe_i32 v227, v0, 0, 8
	v_add_nc_u32_e32 v0, 0x3180, v4
	s_delay_alu instid0(VALU_DEP_3) | instskip(SKIP_2) | instid1(VALU_DEP_1)
	v_bfe_i32 v128, v1, 0, 8
	ds_load_2addr_b32 v[0:1], v0 offset1:1
	v_lshlrev_b32_e32 v2, 2, v2
	v_and_b32_e32 v2, 0x4040404, v2
	s_delay_alu instid0(VALU_DEP_1) | instskip(SKIP_3) | instid1(VALU_DEP_1)
	v_dual_lshrrev_b32 v173, 16, v2 :: v_dual_lshrrev_b32 v175, 24, v2
	v_lshrrev_b16 v176, 8, v2
	s_wait_dscnt 0x0
	v_ashrrev_i32_e32 v0, s22, v0
	v_and_b32_e32 v5, 0x3030303, v0
	v_bfe_u32 v0, v0, 24, 2
	s_delay_alu instid0(VALU_DEP_2) | instskip(NEXT) | instid1(VALU_DEP_2)
	v_sub_nc_u16 v234, v5, v2
	v_sub_nc_u16 v232, v0, v175
	v_ashrrev_i32_e32 v0, s22, v1
	v_lshrrev_b32_e32 v6, 16, v5
	v_lshrrev_b16 v7, 8, v5
	s_delay_alu instid0(VALU_DEP_4) | instskip(NEXT) | instid1(VALU_DEP_4)
	v_bfe_i32 v232, v232, 0, 16
	v_bfe_u32 v1, v0, 24, 2
	v_and_b32_e32 v0, 0x3030303, v0
	v_sub_nc_u16 v233, v6, v173
	v_lshrrev_b32_e32 v6, 24, v3
	v_sub_nc_u16 v231, v7, v176
	s_delay_alu instid0(VALU_DEP_4)
	v_dual_lshrrev_b32 v7, 16, v3 :: v_dual_lshrrev_b32 v2, 16, v0
	v_lshrrev_b16 v5, 8, v0
	v_sub_nc_u16 v235, v0, v3
	v_add_nc_u32_e32 v0, 0x3188, v4
	v_sub_nc_u16 v238, v1, v6
	v_lshrrev_b16 v173, 8, v3
	v_sub_nc_u16 v237, v2, v7
	ds_load_2addr_b32 v[2:3], v95 offset0:2 offset1:3
	ds_load_2addr_b32 v[0:1], v0 offset1:1
	v_bfe_i32 v231, v231, 0, 16
	v_sub_nc_u16 v236, v5, v173
	v_bfe_i32 v205, v237, 0, 8
	v_bfe_i32 v235, v235, 0, 8
	s_wait_dscnt 0x0
	v_dual_ashrrev_i32 v2, s20, v2 :: v_dual_ashrrev_i32 v0, s22, v0
	s_delay_alu instid0(VALU_DEP_1) | instskip(NEXT) | instid1(VALU_DEP_2)
	v_dual_ashrrev_i32 v3, s20, v3 :: v_dual_lshlrev_b32 v2, 2, v2
	v_bfe_u32 v5, v0, 24, 2
	v_and_b32_e32 v0, 0x3030303, v0
	s_delay_alu instid0(VALU_DEP_3) | instskip(NEXT) | instid1(VALU_DEP_4)
	v_lshlrev_b32_e32 v3, 2, v3
	v_and_b32_e32 v2, 0x4040404, v2
	s_delay_alu instid0(VALU_DEP_3) | instskip(SKIP_1) | instid1(VALU_DEP_4)
	v_lshrrev_b32_e32 v6, 16, v0
	v_lshrrev_b16 v7, 8, v0
	v_and_b32_e32 v3, 0x4040404, v3
	s_delay_alu instid0(VALU_DEP_4) | instskip(SKIP_3) | instid1(VALU_DEP_3)
	v_sub_nc_u16 v239, v0, v2
	v_dual_ashrrev_i32 v0, s22, v1 :: v_dual_lshrrev_b32 v173, 24, v2
	v_lshrrev_b32_e32 v175, 16, v2
	v_lshrrev_b16 v176, 8, v2
	v_bfe_u32 v1, v0, 24, 2
	v_and_b32_e32 v0, 0x3030303, v0
	s_delay_alu instid0(VALU_DEP_4)
	v_sub_nc_u16 v241, v6, v175
	v_sub_nc_u16 v242, v5, v173
	v_lshrrev_b32_e32 v6, 24, v3
	v_sub_nc_u16 v240, v7, v176
	v_lshrrev_b32_e32 v2, 16, v0
	v_lshrrev_b16 v5, 8, v0
	v_sub_nc_u16 v243, v0, v3
	v_add_nc_u32_e32 v0, 0x3190, v4
	v_lshrrev_b32_e32 v7, 16, v3
	v_sub_nc_u16 v246, v1, v6
	v_lshrrev_b16 v173, 8, v3
	ds_load_2addr_b32 v[0:1], v0 offset1:1
	v_sub_nc_u16 v245, v2, v7
	ds_load_2addr_b32 v[2:3], v95 offset0:4 offset1:5
	v_sub_nc_u16 v244, v5, v173
	s_wait_dscnt 0x0
	v_dual_ashrrev_i32 v0, s22, v0 :: v_dual_ashrrev_i32 v2, s20, v2
	v_ashrrev_i32_e32 v3, s20, v3
	s_delay_alu instid0(VALU_DEP_2) | instskip(SKIP_1) | instid1(VALU_DEP_3)
	v_and_b32_e32 v5, 0x3030303, v0
	v_bfe_u32 v0, v0, 24, 2
	v_dual_lshlrev_b32 v2, 2, v2 :: v_dual_lshlrev_b32 v3, 2, v3
	s_delay_alu instid0(VALU_DEP_3) | instskip(SKIP_1) | instid1(VALU_DEP_3)
	v_lshrrev_b32_e32 v6, 16, v5
	v_lshrrev_b16 v7, 8, v5
	v_and_b32_e32 v2, 0x4040404, v2
	s_delay_alu instid0(VALU_DEP_4) | instskip(NEXT) | instid1(VALU_DEP_2)
	v_and_b32_e32 v3, 0x4040404, v3
	v_dual_lshrrev_b32 v173, 16, v2 :: v_dual_lshrrev_b32 v175, 24, v2
	v_lshrrev_b16 v176, 8, v2
	v_sub_nc_u16 v250, v5, v2
	s_delay_alu instid0(VALU_DEP_3) | instskip(NEXT) | instid1(VALU_DEP_4)
	v_sub_nc_u16 v249, v6, v173
	v_sub_nc_u16 v248, v0, v175
	v_dual_ashrrev_i32 v0, s22, v1 :: v_dual_lshrrev_b32 v6, 24, v3
	v_sub_nc_u16 v247, v7, v176
	v_lshrrev_b32_e32 v7, 16, v3
	v_lshrrev_b16 v173, 8, v3
	s_delay_alu instid0(VALU_DEP_4) | instskip(SKIP_2) | instid1(VALU_DEP_3)
	v_bfe_u32 v1, v0, 24, 2
	v_and_b32_e32 v0, 0x3030303, v0
	v_bfe_i32 v194, v249, 0, 8
	v_sub_nc_u16 v254, v1, v6
	s_delay_alu instid0(VALU_DEP_3) | instskip(SKIP_3) | instid1(VALU_DEP_4)
	v_lshrrev_b32_e32 v2, 16, v0
	v_lshrrev_b16 v5, 8, v0
	v_sub_nc_u16 v251, v0, v3
	v_add_nc_u32_e32 v0, 0x3198, v4
	v_sub_nc_u16 v253, v2, v7
	ds_load_2addr_b32 v[2:3], v95 offset0:6 offset1:7
	v_sub_nc_u16 v252, v5, v173
	ds_load_2addr_b32 v[0:1], v0 offset1:1
	s_wait_dscnt 0x1
	v_dual_ashrrev_i32 v2, s20, v2 :: v_dual_ashrrev_i32 v3, s20, v3
	s_wait_dscnt 0x0
	v_ashrrev_i32_e32 v0, s22, v0
	s_add_co_i32 s20, s20, 1
	s_cmp_lt_u32 s21, 22
	v_dual_lshlrev_b32 v2, 2, v2 :: v_dual_lshlrev_b32 v3, 2, v3
	s_delay_alu instid0(VALU_DEP_2) | instskip(SKIP_1) | instid1(VALU_DEP_3)
	v_bfe_u32 v4, v0, 24, 2
	v_and_b32_e32 v0, 0x3030303, v0
	v_and_b32_e32 v2, 0x4040404, v2
	s_delay_alu instid0(VALU_DEP_2) | instskip(SKIP_1) | instid1(VALU_DEP_3)
	v_lshrrev_b32_e32 v5, 16, v0
	v_lshrrev_b16 v6, 8, v0
	v_sub_nc_u16 v255, v0, v2
	v_dual_ashrrev_i32 v0, s22, v1 :: v_dual_lshrrev_b32 v7, 24, v2
	v_lshrrev_b32_e32 v95, 16, v2
	v_lshrrev_b16 v173, 8, v2
	s_delay_alu instid0(VALU_DEP_3)
	v_bfe_u32 v1, v0, 24, 2
	v_and_b32_e32 v0, 0x3030303, v0
	s_set_vgpr_msb 64                       ;  msbs: dst=1 src0=0 src1=0 src2=0
	v_sub_nc_u16 v1 /*v257*/, v5, v95
	v_sub_nc_u16 v0 /*v256*/, v6, v173
	s_set_vgpr_msb 0                        ;  msbs: dst=0 src0=0 src1=0 src2=0
	v_add_nc_u32_e32 v173, s24, v29
	v_and_b32_e32 v3, 0x4040404, v3
	v_lshrrev_b32_e32 v2, 16, v0
	s_set_vgpr_msb 64                       ;  msbs: dst=1 src0=0 src1=0 src2=0
	v_sub_nc_u16 v2 /*v258*/, v4, v7
	s_set_vgpr_msb 0                        ;  msbs: dst=0 src0=0 src1=0 src2=0
	v_lshrrev_b16 v4, 8, v0
	s_mov_b32 s24, s21
	v_dual_lshrrev_b32 v5, 24, v3 :: v_dual_lshrrev_b32 v6, 16, v3
	v_lshrrev_b16 v7, 8, v3
	v_sub_nc_u16 v175, v0, v3
	v_add3_u32 v0, s25, v122, v123
	s_delay_alu instid0(VALU_DEP_4)
	v_sub_nc_u16 v178, v1, v5
	v_sub_nc_u16 v177, v2, v6
	;; [unrolled: 1-line block ×3, first 2 shown]
	ds_load_b32 v95, v0
	ds_load_b128 v[4:7], v89
	ds_load_b128 v[0:3], v89 offset:16
	v_or_b32_e32 v165, v166, v165
	v_perm_b32 v166, v208, v208, 0xc0c0c01
	v_add_nc_u32_e32 v89, 32, v89
	ds_load_u16 v139, v139 offset:25330
	ds_load_u16 v150, v150 offset:26354
	s_wait_dscnt 0x3
	s_set_vgpr_msb 64                       ;  msbs: dst=1 src0=0 src1=0 src2=0
	v_lshrrev_b16 v3 /*v259*/, 8, v4
	v_bfe_i32 v9 /*v265*/, v4, 0, 8
	s_set_vgpr_msb 0                        ;  msbs: dst=0 src0=0 src1=0 src2=0
	v_perm_b32 v202, v4, v4, 0xc0c0302
	s_set_vgpr_msb 64                       ;  msbs: dst=1 src0=0 src1=0 src2=0
	v_bfe_i32 v10 /*v266*/, v5, 0, 8
	s_set_vgpr_msb 0                        ;  msbs: dst=0 src0=0 src1=0 src2=0
	v_perm_b32 v204, v5, v5, 0xc030201
	s_set_vgpr_msb 0x41                     ;  msbs: dst=1 src0=1 src1=0 src2=0
	v_bfe_i32 v3 /*v259*/, v3 /*v259*/, 0, 8
	s_set_vgpr_msb 1                        ;  msbs: dst=0 src0=1 src1=0 src2=0
	v_mul_i32_i24_e32 v224, v9 /*v265*/, v224
	s_set_vgpr_msb 64                       ;  msbs: dst=1 src0=0 src1=0 src2=0
	v_lshrrev_b16 v4 /*v260*/, 8, v5
	v_ashrrev_i32_e32 v7 /*v263*/, 24, v4
	v_bfe_i32 v8 /*v264*/, v4, 16, 8
	s_set_vgpr_msb 1                        ;  msbs: dst=0 src0=1 src1=0 src2=0
	v_mul_i32_i24_e32 v209, v3 /*v259*/, v209
	v_mad_i32_i24 v224, v3 /*v259*/, v225, v224
	s_set_vgpr_msb 0                        ;  msbs: dst=0 src0=0 src1=0 src2=0
	v_bfe_i32 v225, v233, 0, 8
	v_ashrrev_i32_e32 v233, 24, v5
	s_set_vgpr_msb 1                        ;  msbs: dst=0 src0=1 src1=0 src2=0
	v_mul_i32_i24_e32 v195, v9 /*v265*/, v195
	v_mad_i32_i24 v167, v9 /*v265*/, v167, v209
	s_set_vgpr_msb 0                        ;  msbs: dst=0 src0=0 src1=0 src2=0
	v_dot4_i32_iu8 v201, v202, v201, v224 neg_lo:[1,1,0]
	v_perm_b32 v4, v5, v4, 0x5040302
	v_bfe_i32 v224, v234, 0, 8
	s_set_vgpr_msb 1                        ;  msbs: dst=0 src0=1 src1=0 src2=0
	v_bfe_i32 v234, v4 /*v260*/, 0, 8
	s_set_vgpr_msb 64                       ;  msbs: dst=1 src0=0 src1=0 src2=0
	v_bfe_i32 v4 /*v260*/, v5, 16, 8
	s_set_vgpr_msb 1                        ;  msbs: dst=0 src0=1 src1=0 src2=0
	v_mad_i32_i24 v201, v10 /*v266*/, v226, v201
	v_mad_i32_i24 v192, v3 /*v259*/, v192, v195
	s_set_vgpr_msb 0                        ;  msbs: dst=0 src0=0 src1=0 src2=0
	v_perm_b32 v5, v6, v5, 0x5040302
	s_set_vgpr_msb 64                       ;  msbs: dst=1 src0=0 src1=0 src2=0
	v_lshrrev_b16 v5 /*v261*/, 8, v6
	s_set_vgpr_msb 0                        ;  msbs: dst=0 src0=0 src1=0 src2=0
	v_bfe_i32 v226, v236, 0, 16
	v_dot4_i32_iu8 v201, v204, v203, v201 neg_lo:[1,1,0]
	v_bfe_i32 v203, v238, 0, 16
	v_bfe_i32 v236, v6, 0, 8
	v_dot4_i32_iu8 v187, v202, v187, v192 neg_lo:[1,1,0]
	v_mul_i32_i24_e32 v226, v226, v234
	s_set_vgpr_msb 1                        ;  msbs: dst=0 src0=1 src1=0 src2=0
	v_bfe_i32 v234, v5 /*v261*/, 0, 8
	s_set_vgpr_msb 0                        ;  msbs: dst=0 src0=0 src1=0 src2=0
	v_mul_i32_i24_e32 v203, v203, v233
	v_ashrrev_i32_e32 v233, 24, v6
	v_bfe_i32 v237, v6, 16, 8
	s_set_vgpr_msb 1                        ;  msbs: dst=0 src0=1 src1=0 src2=0
	v_mad_i32_i24 v187, v10 /*v266*/, v197, v187
	s_set_vgpr_msb 0                        ;  msbs: dst=0 src0=0 src1=0 src2=0
	v_perm_b32 v6, v6, v6, 0xc030201
	v_bfe_i32 v172, v7, 0, 8
	s_set_vgpr_msb 64                       ;  msbs: dst=1 src0=0 src1=0 src2=0
	v_lshrrev_b16 v6 /*v262*/, 8, v7
	s_set_vgpr_msb 4                        ;  msbs: dst=0 src0=0 src1=1 src2=0
	v_mul_i32_i24_e32 v231, v231, v3 /*v259*/
	v_mul_i32_i24_e32 v235, v235, v10 /*v266*/
	;; [unrolled: 1-line block ×3, first 2 shown]
	v_bfe_i32 v171, v7, 16, 8
	s_set_vgpr_msb 1                        ;  msbs: dst=0 src0=1 src1=0 src2=0
	v_bfe_i32 v169, v6 /*v262*/, 0, 8
	s_set_vgpr_msb 0                        ;  msbs: dst=0 src0=0 src1=0 src2=0
	v_bfe_i32 v192, v244, 0, 16
	v_bfe_i32 v197, v247, 0, 16
	v_pk_mul_lo_u16 v174, v174, v237 op_sel_hi:[1,0]
	v_perm_b32 v202, v218, v218, 0xc0c0c01
	v_or_b32_e32 v151, v152, v151
	v_mul_i32_i24_e32 v169, v192, v169
	s_set_vgpr_msb 4                        ;  msbs: dst=0 src0=0 src1=1 src2=0
	v_mad_i32_i24 v192, v224, v9 /*v265*/, v235
	s_set_vgpr_msb 0                        ;  msbs: dst=0 src0=0 src1=0 src2=0
	v_perm_b32 v152, v184, v184, 0xc0c0c01
	s_wait_dscnt 0x2
	v_bfe_i32 v160, v3, 16, 8
	v_bfe_i32 v195, v248, 0, 16
	v_mul_i32_i24_e32 v144, v172, v144
	v_dot4_i32_iu8 v4, v4, v163, v167 neg_lo:[1,1,0]
	v_perm_b32 v163, v193, v191, 0xc05000c
	v_bfe_i32 v167, v239, 0, 8
	v_bfe_i32 v191, v245, 0, 8
	;; [unrolled: 1-line block ×3, first 2 shown]
	v_mul_i32_i24_e32 v129, v233, v129
	v_mul_i32_i24_e32 v140, v233, v140
	v_dot4_i32_iu8 v165, v5, v165, v4 neg_lo:[1,1,0]
	v_perm_b32 v5, v207, v206, 0xc05000c
	v_dual_ashrrev_i32 v168, 24, v7 :: v_dual_bitop2_b32 v163, v163, v164 bitop3:0x54
	v_mad_i32_i24 v4, v236, v200, v201
	v_mul_i32_i24_e32 v164, v234, v198
	v_mul_i32_i24_e32 v167, v167, v236
	;; [unrolled: 1-line block ×4, first 2 shown]
	s_set_vgpr_msb 4                        ;  msbs: dst=0 src0=0 src1=1 src2=0
	v_mad_i32_i24 v191, v225, v8 /*v264*/, v205
	v_bfe_i32 v206, v158, 8, 8
	v_bfe_i32 v158, v158, 0, 8
	;; [unrolled: 1-line block ×3, first 2 shown]
	s_set_vgpr_msb 0                        ;  msbs: dst=0 src0=0 src1=0 src2=0
	v_perm_b32 v201, v217, v216, 0xc05000c
	v_bfe_i32 v205, v251, 0, 8
	v_dual_ashrrev_i32 v198, 24, v1 :: v_dual_bitop2_b32 v5, v5, v166 bitop3:0x54
	v_dot4_i32_iu8 v163, v204, v163, v187 neg_lo:[1,1,0]
	v_bfe_i32 v187, v213, 0, 8
	v_bfe_i32 v166, v240, 0, 16
	v_add3_u32 v167, v192, v167, v193
	v_perm_b32 v192, v215, v214, 0xc0c0500
	v_perm_b32 v193, v0, v0, 0xc0c0302
	v_bfe_i32 v204, v252, 0, 16
	v_or_b32_e32 v201, v201, v202
	v_perm_b32 v202, v1, v1, 0xc030201
	v_mul_i32_i24_e32 v205, v205, v200
	v_dot4_i32_iu8 v4, v6, v5, v4 neg_lo:[1,1,0]
	v_bfe_i32 v5, v242, 0, 16
	v_bfe_i32 v6, v241, 0, 8
	v_mul_i32_i24_e32 v166, v166, v234
	v_mad_i32_i24 v163, v236, v199, v163
	v_bfe_i32 v199, v1, 16, 8
	v_mad_i32_i24 v4, v172, v187, v4
	v_perm_b32 v187, v211, v210, 0xc05000c
	v_mul_i32_i24_e32 v5, v5, v233
	v_mul_i32_i24_e32 v6, v6, v237
	v_add3_u32 v166, v231, v226, v166
	s_delay_alu instid0(VALU_DEP_4) | instskip(SKIP_1) | instid1(VALU_DEP_4)
	v_or_b32_e32 v187, v187, v188
	v_perm_b32 v188, v7, v7, 0xc030201
	v_add3_u32 v6, v191, v6, v171
	v_bfe_i32 v171, v0, 16, 8
	s_delay_alu instid0(VALU_DEP_3) | instskip(SKIP_1) | instid1(VALU_DEP_2)
	v_dot4_i32_iu8 v4, v188, v187, v4 neg_lo:[1,1,0]
	v_bfe_i32 v187, v246, 0, 16
	v_mul_lo_u32 v4, v4, v227
	s_delay_alu instid0(VALU_DEP_2) | instskip(SKIP_4) | instid1(VALU_DEP_2)
	v_mul_i32_i24_e32 v168, v187, v168
	s_set_vgpr_msb 4                        ;  msbs: dst=0 src0=0 src1=1 src2=0
	v_mad_i32_i24 v187, v232, v7 /*v263*/, v203
	v_bfe_i32 v203, v253, 0, 8
	s_set_vgpr_msb 0                        ;  msbs: dst=0 src0=0 src1=0 src2=0
	v_add3_u32 v5, v187, v5, v168
	v_bfe_i32 v187, v0, 0, 8
	s_delay_alu instid0(VALU_DEP_3)
	v_mul_i32_i24_e32 v199, v203, v199
	v_bfe_i32 v203, v2, 0, 8
	v_lshrrev_b16 v168, 8, v3
	v_add3_u32 v5, v166, v169, v5
	v_mul_i32_i24_e32 v191, v187, v228
	v_lshrrev_b16 v166, 8, v1
	v_mul_i32_i24_e32 v185, v187, v185
	v_ashrrev_i32_e32 v169, 24, v0
	v_bfe_i32 v159, v168, 0, 8
	v_mad_i32_i24 v134, v194, v171, v199
	v_add3_u32 v5, v167, v6, v5
	v_lshrrev_b16 v6, 8, v0
	v_bfe_i32 v166, v166, 0, 8
	v_perm_b32 v0, v1, v0, 0x5040302
	v_lshrrev_b16 v167, 8, v2
	v_perm_b32 v1, v2, v1, 0x5040302
	v_bfe_i32 v6, v6, 0, 8
	v_mul_i32_i24_e32 v166, v204, v166
	v_bfe_i32 v204, v2, 16, 8
	v_bfe_i32 v167, v167, 0, 8
	s_delay_alu instid0(VALU_DEP_4)
	v_mad_i32_i24 v191, v6, v229, v191
	v_mul_i32_i24_e32 v206, v6, v206
	v_mul_i32_i24_e32 v197, v197, v6
	v_mad_i32_i24 v6, v6, v182, v185
	v_pk_mul_lo_u16 v170, v170, v204 op_sel_hi:[1,0]
	v_dot4_i32_iu8 v191, v193, v192, v191 neg_lo:[1,1,0]
	v_mad_i32_i24 v158, v187, v158, v206
	v_bfe_i32 v192, v250, 0, 8
	v_dot4_i32_iu8 v6, v193, v179, v6 neg_lo:[1,1,0]
	v_bfe_i32 v179, v174, 0, 16
	v_ashrrev_i32_e32 v174, 16, v174
	v_bfe_i32 v132, v170, 0, 16
	v_mad_i32_i24 v191, v200, v230, v191
	v_dot4_i32_iu8 v0, v0, v151, v158 neg_lo:[1,1,0]
	v_perm_b32 v151, v183, v181, 0xc05000c
	v_mad_i32_i24 v6, v200, v186, v6
	v_ashrrev_i32_e32 v158, 24, v3
	v_add3_u32 v129, v165, v179, v129
	v_add3_u32 v163, v163, v164, v174
	v_dot4_i32_iu8 v191, v202, v201, v191 neg_lo:[1,1,0]
	v_bfe_i32 v201, v254, 0, 16
	v_dual_ashrrev_i32 v133, 16, v170 :: v_dual_bitop2_b32 v151, v151, v152 bitop3:0x54
	v_perm_b32 v152, v154, v153, 0xc0c0500
	v_perm_b32 v153, v162, v161, 0x5000c0c
	v_dot4_i32_iu8 v7, v7, v130, v129 neg_lo:[1,1,0]
	v_perm_b32 v129, v142, v141, 0xc05000c
	v_perm_b32 v130, v143, v143, 0xc0c0c01
	v_bfe_i32 v161, v3, 0, 8
	v_bfe_i32 v162, v223, 0, 8
	;; [unrolled: 1-line block ×3, first 2 shown]
	v_add3_u32 v140, v163, v140, v144
	v_mul_i32_i24_e32 v198, v201, v198
	v_ashrrev_i32_e32 v201, 24, v2
	v_dot4_i32_iu8 v6, v202, v151, v6 neg_lo:[1,1,0]
	v_or_b32_e32 v152, v153, v152
	v_mul_i32_i24_e32 v151, v167, v189
	v_or_b32_e32 v129, v129, v130
	v_bfe_i32 v130, v145, 8, 8
	v_perm_b32 v153, v221, v221, 0xc0c0c01
	v_perm_b32 v2, v2, v2, 0xc030201
	v_mul_i32_i24_e32 v154, v154, v203
	v_mad_i32_i24 v6, v203, v190, v6
	v_dot4_i32_iu8 v0, v1, v152, v0 neg_lo:[1,1,0]
	v_mul_i32_i24_e32 v131, v201, v131
	v_mul_i32_i24_e32 v130, v201, v130
	v_perm_b32 v152, v220, v219, 0xc05000c
	v_mad_i32_i24 v1, v203, v196, v191
	v_dot4_i32_iu8 v129, v188, v129, v140 neg_lo:[1,1,0]
	v_add3_u32 v6, v6, v151, v133
	v_add3_u32 v0, v0, v132, v131
	v_mul_i32_i24_e32 v131, v161, v149
	v_or_b32_e32 v152, v152, v153
	s_set_vgpr_msb 1                        ;  msbs: dst=0 src0=1 src1=0 src2=0
	v_bfe_i32 v153, v0 /*v256*/, 0, 16
	s_set_vgpr_msb 0                        ;  msbs: dst=0 src0=0 src1=0 src2=0
	v_bfe_i32 v132, v175, 0, 8
	v_mad_i32_i24 v133, v195, v169, v198
	v_add3_u32 v6, v6, v130, v131
	v_perm_b32 v130, v138, v137, 0xc0c0500
	v_perm_b32 v131, v136, v135, 0x5000c0c
	v_dot4_i32_iu8 v1, v2, v152, v1 neg_lo:[1,1,0]
	s_set_vgpr_msb 1                        ;  msbs: dst=0 src0=1 src1=0 src2=0
	v_bfe_i32 v2, v2 /*v258*/, 0, 16
	v_bfe_i32 v152, v1 /*v257*/, 0, 8
	s_set_vgpr_msb 0                        ;  msbs: dst=0 src0=0 src1=0 src2=0
	v_mul_i32_i24_e32 v153, v153, v167
	v_mul_i32_i24_e32 v132, v132, v161
	v_mad_i32_i24 v135, v192, v187, v205
	v_or_b32_e32 v130, v131, v130
	v_perm_b32 v131, v148, v148, 0xc0c0c01
	v_mul_i32_i24_e32 v2, v2, v201
	v_mul_i32_i24_e32 v152, v152, v204
	v_add3_u32 v136, v197, v166, v153
	v_add3_u32 v132, v135, v154, v132
	v_dot4_i32_iu8 v130, v3, v130, v0 neg_lo:[1,1,0]
	v_perm_b32 v0, v147, v146, 0xc05000c
	v_perm_b32 v3, v3, v3, 0xc030201
	s_delay_alu instid0(VALU_DEP_2) | instskip(SKIP_1) | instid1(VALU_DEP_2)
	v_or_b32_e32 v0, v0, v131
	v_perm_b32 v131, v157, v157, 0xc0c0c01
	v_dot4_i32_iu8 v6, v3, v0, v6 neg_lo:[1,1,0]
	v_mad_i32_i24 v0, v161, v162, v1
	v_perm_b32 v1, v156, v155, 0xc05000c
	s_delay_alu instid0(VALU_DEP_1) | instskip(NEXT) | instid1(VALU_DEP_1)
	v_or_b32_e32 v1, v1, v131
	v_dot4_i32_iu8 v131, v3, v1, v0 neg_lo:[1,1,0]
	v_bfe_i32 v0, v178, 0, 16
	v_bfe_i32 v1, v177, 0, 8
	;; [unrolled: 1-line block ×3, first 2 shown]
	s_delay_alu instid0(VALU_DEP_3) | instskip(NEXT) | instid1(VALU_DEP_3)
	v_mul_i32_i24_e32 v0, v0, v158
	v_mul_i32_i24_e32 v1, v1, v160
	s_delay_alu instid0(VALU_DEP_3) | instskip(NEXT) | instid1(VALU_DEP_3)
	v_mul_i32_i24_e32 v3, v3, v159
	v_add3_u32 v0, v133, v2, v0
	s_delay_alu instid0(VALU_DEP_3) | instskip(NEXT) | instid1(VALU_DEP_2)
	v_add3_u32 v1, v134, v152, v1
	v_add3_u32 v0, v136, v3, v0
	v_pk_mul_f32 v[2:3], v[90:91], v[94:95] op_sel_hi:[0,1]
	s_delay_alu instid0(VALU_DEP_2)
	v_add3_u32 v132, v132, v1, v0
	ds_load_u16 v0, v173 offset:28402
	s_wait_dscnt 0x2
	v_lshrrev_b16 v167, 8, v139
	s_wait_dscnt 0x1
	v_lshrrev_b16 v168, 8, v150
	v_bfe_i32 v150, v150, 0, 8
	v_bfe_i32 v139, v139, 0, 8
	;; [unrolled: 1-line block ×3, first 2 shown]
	s_delay_alu instid0(VALU_DEP_4) | instskip(NEXT) | instid1(VALU_DEP_4)
	v_bfe_i32 v168, v168, 0, 8
	v_mul_lo_u32 v129, v129, v150
	s_delay_alu instid0(VALU_DEP_4) | instskip(NEXT) | instid1(VALU_DEP_2)
	v_mul_lo_u32 v7, v7, v139
	v_mad_u32 v6, v6, v168, v129
	s_delay_alu instid0(VALU_DEP_2) | instskip(SKIP_3) | instid1(VALU_DEP_2)
	v_mad_u32 v7, v130, v167, v7
	s_wait_dscnt 0x0
	v_lshrrev_b16 v1, 8, v0
	v_bfe_i32 v0, v0, 0, 8
	v_bfe_i32 v133, v1, 0, 8
	s_delay_alu instid0(VALU_DEP_2)
	v_mul_lo_u32 v5, v5, v0
	v_pk_mul_f32 v[0:1], v[90:91], v[92:93] op_sel_hi:[0,1]
	v_mad_u32 v90, v131, v128, v4
	v_add_nc_u32_e32 v91, 4, v91
	v_cvt_f32_i32_e32 v4, v7
	v_mad_u32 v92, v132, v133, v5
	v_cvt_f32_i32_e32 v5, v6
	v_cvt_f32_i32_e32 v6, v90
	s_delay_alu instid0(VALU_DEP_2) | instskip(NEXT) | instid1(VALU_DEP_4)
	v_pk_fma_f32 v[20:21], v[0:1], v[4:5], v[20:21]
	v_cvt_f32_i32_e32 v7, v92
	s_delay_alu instid0(VALU_DEP_1)
	v_pk_fma_f32 v[16:17], v[2:3], v[6:7], v[16:17]
	s_cbranch_scc1 .LBB230_27
; %bb.28:                               ;   in Loop: Header=BB230_5 Depth=1
	s_or_b32 s1, s18, 0x180
	s_delay_alu instid0(SALU_CYCLE_1)
	s_cmp_ge_i32 s1, s5
	s_barrier_signal -1
	s_barrier_wait -1
	s_cbranch_scc1 .LBB230_4
; %bb.29:                               ;   in Loop: Header=BB230_5 Depth=1
	v_add_nc_u32_e32 v0, s19, v106
	s_delay_alu instid0(VALU_DEP_1) | instskip(SKIP_1) | instid1(SALU_CYCLE_1)
	v_cmp_gt_i32_e64 s1, s6, v0
	s_and_b32 s18, s0, s1
	s_and_saveexec_b32 s1, s18
	s_cbranch_execz .LBB230_31
; %bb.30:                               ;   in Loop: Header=BB230_5 Depth=1
	v_add_nc_u32_e32 v0, v22, v0
	s_delay_alu instid0(VALU_DEP_1)
	v_mad_nc_i64_i32 v[0:1], v0, 36, v[24:25]
	global_load_b32 v0, v[0:1], off offset:4
	s_wait_loadcnt 0x0
	ds_store_b32 v67, v0
.LBB230_31:                             ;   in Loop: Header=BB230_5 Depth=1
	s_or_b32 exec_lo, exec_lo, s1
	s_and_saveexec_b32 s18, vcc_lo
	s_cbranch_execz .LBB230_34
; %bb.32:                               ;   in Loop: Header=BB230_5 Depth=1
	v_or_b32_e32 v0, 12, v88
	s_delay_alu instid0(VALU_DEP_1) | instskip(SKIP_1) | instid1(SALU_CYCLE_1)
	v_cmp_gt_i32_e64 s1, s6, v0
	s_and_b32 s1, s0, s1
	s_and_b32 exec_lo, exec_lo, s1
	s_cbranch_execz .LBB230_34
; %bb.33:                               ;   in Loop: Header=BB230_5 Depth=1
	v_ashrrev_i32_e32 v89, 31, v88
	s_delay_alu instid0(VALU_DEP_1) | instskip(NEXT) | instid1(VALU_DEP_1)
	v_add_nc_u64_e32 v[0:1], v[22:23], v[88:89]
	v_mad_nc_u64_u32 v[2:3], v0, 36, s[2:3]
	s_delay_alu instid0(VALU_DEP_1)
	v_mad_i32_i24 v3, v1, 36, v3
	global_load_b32 v0, v[2:3], off offset:432
	s_wait_loadcnt 0x0
	v_cvt_f32_f16_e32 v0, v0
	ds_store_b32 v103, v0
.LBB230_34:                             ;   in Loop: Header=BB230_5 Depth=1
	s_or_b32 exec_lo, exec_lo, s18
	v_dual_mov_b32 v89, v65 :: v_dual_mov_b32 v94, v69
	s_mov_b32 s1, 24
	s_mov_b32 s22, 22
	;; [unrolled: 1-line block ×3, first 2 shown]
	s_wait_dscnt 0x0
	s_barrier_signal -1
	s_barrier_wait -1
.LBB230_35:                             ;   Parent Loop BB230_5 Depth=1
                                        ; =>  This Inner Loop Header: Depth=2
	s_add_co_i32 s19, s22, 2
	s_sub_co_i32 s20, s22, 22
	s_lshr_b32 s24, s19, 4
	s_and_b32 s21, s19, 0x3ffffff8
	s_and_b32 s23, s1, -16
	v_lshl_add_u32 v4, s21, 2, v107
	s_lshl_b32 s21, s24, 5
	s_add_co_i32 s22, s22, s23
	s_addk_co_i32 s21, 0x4200
	s_lshl_b32 s23, s24, 2
	v_add3_u32 v90, s21, v108, v109
	ds_load_2addr_b32 v[0:1], v4 offset1:1
	s_addk_co_i32 s23, 0x7380
	ds_load_b32 v88, v94
	s_add_co_i32 s1, s1, 2
	ds_load_2addr_b32 v[2:3], v90 offset1:1
	v_dual_add_nc_u32 v149, s22, v33 :: v_dual_add_nc_u32 v94, 4, v94
	s_wait_dscnt 0x0
	v_dual_ashrrev_i32 v0, s20, v0 :: v_dual_ashrrev_i32 v2, s18, v2
	s_delay_alu instid0(VALU_DEP_1) | instskip(NEXT) | instid1(VALU_DEP_2)
	v_and_b32_e32 v5, 0x3030303, v0
	v_dual_ashrrev_i32 v3, s18, v3 :: v_dual_lshlrev_b32 v2, 2, v2
	s_delay_alu instid0(VALU_DEP_2) | instskip(SKIP_2) | instid1(VALU_DEP_4)
	v_lshrrev_b32_e32 v7, 16, v5
	v_bfe_u32 v0, v0, 24, 2
	v_lshrrev_b16 v6, 8, v5
	v_lshlrev_b32_e32 v3, 2, v3
	v_and_b32_e32 v2, 0x4040404, v2
	s_delay_alu instid0(VALU_DEP_2) | instskip(NEXT) | instid1(VALU_DEP_2)
	v_and_b32_e32 v3, 0x4040404, v3
	v_dual_lshrrev_b32 v92, 24, v2 :: v_dual_lshrrev_b32 v93, 16, v2
	v_lshrrev_b16 v91, 8, v2
	s_delay_alu instid0(VALU_DEP_2) | instskip(NEXT) | instid1(VALU_DEP_3)
	v_sub_nc_u16 v0, v0, v92
	v_sub_nc_u16 v162, v7, v93
	v_lshrrev_b32_e32 v7, 24, v3
	s_delay_alu instid0(VALU_DEP_3) | instskip(NEXT) | instid1(VALU_DEP_1)
	v_lshlrev_b16 v0, 8, v0
	v_bitop3_b16 v163, v162, v0, 0xff bitop3:0xec
	v_sub_nc_u16 v0, v5, v2
	v_sub_nc_u16 v2, v6, v91
	v_lshrrev_b32_e32 v91, 16, v3
	v_lshrrev_b16 v6, 8, v3
	v_perm_b32 v162, v163, v162, 0xc0c0500
	s_delay_alu instid0(VALU_DEP_4) | instskip(NEXT) | instid1(VALU_DEP_1)
	v_lshlrev_b16 v2, 8, v2
	v_bitop3_b16 v0, v0, v2, 0xff bitop3:0xec
	s_delay_alu instid0(VALU_DEP_1) | instskip(SKIP_1) | instid1(VALU_DEP_1)
	v_and_b32_e32 v166, 0xffff, v0
	v_ashrrev_i32_e32 v0, s20, v1
	v_and_b32_e32 v1, 0x3030303, v0
	v_bfe_u32 v0, v0, 24, 2
	s_delay_alu instid0(VALU_DEP_2) | instskip(NEXT) | instid1(VALU_DEP_2)
	v_lshrrev_b32_e32 v5, 16, v1
	v_sub_nc_u16 v0, v0, v7
	v_lshrrev_b16 v2, 8, v1
	v_sub_nc_u16 v167, v1, v3
	s_delay_alu instid0(VALU_DEP_4) | instskip(NEXT) | instid1(VALU_DEP_4)
	v_sub_nc_u16 v164, v5, v91
	v_lshlrev_b16 v0, 8, v0
	s_delay_alu instid0(VALU_DEP_1) | instskip(SKIP_4) | instid1(VALU_DEP_1)
	v_bitop3_b16 v165, v164, v0, 0xff bitop3:0xec
	v_sub_nc_u16 v0, v2, v6
	ds_load_2addr_b32 v[2:3], v90 offset0:2 offset1:3
	v_perm_b32 v164, v165, v164, 0xc0c0500
	v_lshlrev_b16 v0, 8, v0
	v_bitop3_b16 v168, v167, v0, 0xff bitop3:0xec
	ds_load_2addr_b32 v[0:1], v4 offset0:2 offset1:3
	v_perm_b32 v163, v168, v167, 0x5000c0c
	s_wait_dscnt 0x1
	v_dual_ashrrev_i32 v2, s18, v2 :: v_dual_ashrrev_i32 v3, s18, v3
	s_delay_alu instid0(VALU_DEP_1) | instskip(SKIP_2) | instid1(VALU_DEP_2)
	v_dual_lshlrev_b32 v2, 2, v2 :: v_dual_lshlrev_b32 v3, 2, v3
	s_wait_dscnt 0x0
	v_ashrrev_i32_e32 v0, s20, v0
	v_and_b32_e32 v2, 0x4040404, v2
	s_delay_alu instid0(VALU_DEP_3) | instskip(NEXT) | instid1(VALU_DEP_3)
	v_and_b32_e32 v3, 0x4040404, v3
	v_and_b32_e32 v5, 0x3030303, v0
	v_bfe_u32 v0, v0, 24, 2
	s_delay_alu instid0(VALU_DEP_4) | instskip(SKIP_1) | instid1(VALU_DEP_4)
	v_dual_lshrrev_b32 v91, 16, v2 :: v_dual_lshrrev_b32 v92, 24, v2
	v_lshrrev_b16 v93, 8, v2
	v_lshrrev_b16 v7, 8, v5
	v_lshrrev_b32_e32 v6, 16, v5
	v_sub_nc_u16 v170, v5, v2
	v_sub_nc_u16 v0, v0, v92
	s_delay_alu instid0(VALU_DEP_4) | instskip(SKIP_2) | instid1(VALU_DEP_4)
	v_sub_nc_u16 v2, v7, v93
	v_lshrrev_b32_e32 v7, 24, v3
	v_sub_nc_u16 v173, v6, v91
	v_lshlrev_b16 v128, 8, v0
	v_ashrrev_i32_e32 v0, s20, v1
	v_lshlrev_b16 v2, 8, v2
	v_lshrrev_b32_e32 v91, 16, v3
	v_lshrrev_b16 v6, 8, v3
	v_bfe_i32 v173, v173, 0, 8
	v_and_b32_e32 v1, 0x3030303, v0
	v_bfe_u32 v0, v0, 24, 2
	v_bitop3_b16 v171, v170, v2, 0xff bitop3:0xec
	v_bfe_i32 v128, v128, 8, 8
	s_delay_alu instid0(VALU_DEP_4) | instskip(NEXT) | instid1(VALU_DEP_4)
	v_lshrrev_b32_e32 v5, 16, v1
	v_sub_nc_u16 v0, v0, v7
	v_lshrrev_b16 v2, 8, v1
	v_sub_nc_u16 v131, v1, v3
	v_perm_b32 v165, v171, v170, 0x5000c0c
	v_sub_nc_u16 v129, v5, v91
	v_lshlrev_b16 v0, 8, v0
	s_delay_alu instid0(VALU_DEP_1) | instskip(SKIP_4) | instid1(VALU_DEP_1)
	v_bitop3_b16 v130, v129, v0, 0xff bitop3:0xec
	v_sub_nc_u16 v0, v2, v6
	ds_load_2addr_b32 v[2:3], v90 offset0:4 offset1:5
	v_perm_b32 v129, v130, v129, 0x5000c0c
	v_lshlrev_b16 v0, 8, v0
	v_bitop3_b16 v132, v131, v0, 0xff bitop3:0xec
	ds_load_2addr_b32 v[0:1], v4 offset0:4 offset1:5
	v_perm_b32 v131, v132, v131, 0xc0c0500
	s_wait_dscnt 0x1
	s_delay_alu instid0(VALU_DEP_1) | instskip(NEXT) | instid1(VALU_DEP_1)
	v_dual_ashrrev_i32 v2, s18, v2 :: v_dual_bitop2_b32 v129, v129, v131 bitop3:0x54
	v_dual_ashrrev_i32 v3, s18, v3 :: v_dual_lshlrev_b32 v2, 2, v2
	s_wait_dscnt 0x0
	s_delay_alu instid0(VALU_DEP_1) | instskip(NEXT) | instid1(VALU_DEP_2)
	v_dual_lshlrev_b32 v3, 2, v3 :: v_dual_ashrrev_i32 v0, s20, v0
	v_and_b32_e32 v2, 0x4040404, v2
	s_delay_alu instid0(VALU_DEP_2) | instskip(NEXT) | instid1(VALU_DEP_3)
	v_and_b32_e32 v3, 0x4040404, v3
	v_and_b32_e32 v5, 0x3030303, v0
	v_bfe_u32 v0, v0, 24, 2
	s_delay_alu instid0(VALU_DEP_4) | instskip(SKIP_1) | instid1(VALU_DEP_4)
	v_dual_lshrrev_b32 v92, 24, v2 :: v_dual_lshrrev_b32 v93, 16, v2
	v_lshrrev_b16 v91, 8, v2
	v_lshrrev_b32_e32 v7, 16, v5
	v_lshrrev_b16 v6, 8, v5
	s_delay_alu instid0(VALU_DEP_4) | instskip(NEXT) | instid1(VALU_DEP_3)
	v_sub_nc_u16 v0, v0, v92
	v_sub_nc_u16 v150, v7, v93
	v_lshrrev_b32_e32 v7, 24, v3
	s_delay_alu instid0(VALU_DEP_3) | instskip(NEXT) | instid1(VALU_DEP_1)
	v_lshlrev_b16 v0, 8, v0
	v_bitop3_b16 v151, v150, v0, 0xff bitop3:0xec
	v_sub_nc_u16 v0, v5, v2
	v_sub_nc_u16 v2, v6, v91
	v_lshrrev_b32_e32 v91, 16, v3
	v_lshrrev_b16 v6, 8, v3
	v_perm_b32 v150, v151, v150, 0xc0c0500
	s_delay_alu instid0(VALU_DEP_4) | instskip(NEXT) | instid1(VALU_DEP_1)
	v_lshlrev_b16 v2, 8, v2
	v_bitop3_b16 v0, v0, v2, 0xff bitop3:0xec
	s_delay_alu instid0(VALU_DEP_1) | instskip(SKIP_1) | instid1(VALU_DEP_1)
	v_and_b32_e32 v157, 0xffff, v0
	v_ashrrev_i32_e32 v0, s20, v1
	v_and_b32_e32 v1, 0x3030303, v0
	v_bfe_u32 v0, v0, 24, 2
	s_delay_alu instid0(VALU_DEP_2) | instskip(NEXT) | instid1(VALU_DEP_2)
	v_lshrrev_b32_e32 v5, 16, v1
	v_sub_nc_u16 v0, v0, v7
	v_lshrrev_b16 v2, 8, v1
	v_sub_nc_u16 v158, v1, v3
	s_delay_alu instid0(VALU_DEP_4) | instskip(NEXT) | instid1(VALU_DEP_4)
	v_sub_nc_u16 v152, v5, v91
	v_lshlrev_b16 v0, 8, v0
	s_delay_alu instid0(VALU_DEP_1) | instskip(SKIP_3) | instid1(VALU_DEP_1)
	v_bitop3_b16 v153, v152, v0, 0xff bitop3:0xec
	v_sub_nc_u16 v0, v2, v6
	ds_load_2addr_b32 v[2:3], v90 offset0:6 offset1:7
	v_lshlrev_b16 v0, 8, v0
	v_bitop3_b16 v159, v158, v0, 0xff bitop3:0xec
	ds_load_2addr_b32 v[0:1], v4 offset0:6 offset1:7
	v_perm_b32 v151, v159, v158, 0x5000c0c
	s_wait_dscnt 0x1
	v_dual_ashrrev_i32 v2, s18, v2 :: v_dual_ashrrev_i32 v3, s18, v3
	s_delay_alu instid0(VALU_DEP_1) | instskip(SKIP_2) | instid1(VALU_DEP_2)
	v_dual_lshlrev_b32 v2, 2, v2 :: v_dual_lshlrev_b32 v3, 2, v3
	s_wait_dscnt 0x0
	v_ashrrev_i32_e32 v0, s20, v0
	v_and_b32_e32 v2, 0x4040404, v2
	s_delay_alu instid0(VALU_DEP_3) | instskip(NEXT) | instid1(VALU_DEP_3)
	v_and_b32_e32 v3, 0x4040404, v3
	v_and_b32_e32 v5, 0x3030303, v0
	v_bfe_u32 v0, v0, 24, 2
	s_delay_alu instid0(VALU_DEP_4) | instskip(SKIP_1) | instid1(VALU_DEP_4)
	v_dual_lshrrev_b32 v90, 16, v2 :: v_dual_lshrrev_b32 v91, 24, v2
	v_lshrrev_b16 v92, 8, v2
	v_lshrrev_b16 v7, 8, v5
	v_lshrrev_b32_e32 v6, 16, v5
	v_sub_nc_u16 v160, v5, v2
	v_sub_nc_u16 v0, v0, v91
	v_add3_u32 v91, s21, v112, v113
	v_sub_nc_u16 v2, v7, v92
	v_lshrrev_b32_e32 v7, 24, v3
	v_sub_nc_u16 v169, v6, v90
	v_lshlrev_b16 v133, 8, v0
	v_ashrrev_i32_e32 v0, s20, v1
	v_lshlrev_b16 v2, 8, v2
	v_lshrrev_b32_e32 v90, 16, v3
	v_lshrrev_b16 v6, 8, v3
	v_bfe_i32 v169, v169, 0, 8
	v_and_b32_e32 v1, 0x3030303, v0
	v_bfe_u32 v0, v0, 24, 2
	v_bitop3_b16 v161, v160, v2, 0xff bitop3:0xec
	v_bfe_i32 v130, v133, 8, 8
	s_delay_alu instid0(VALU_DEP_4) | instskip(NEXT) | instid1(VALU_DEP_4)
	v_lshrrev_b32_e32 v5, 16, v1
	v_sub_nc_u16 v0, v0, v7
	v_lshrrev_b16 v2, 8, v1
	v_sub_nc_u16 v136, v1, v3
	s_delay_alu instid0(VALU_DEP_4) | instskip(NEXT) | instid1(VALU_DEP_4)
	v_sub_nc_u16 v134, v5, v90
	v_lshlrev_b16 v0, 8, v0
	s_delay_alu instid0(VALU_DEP_1) | instskip(SKIP_4) | instid1(VALU_DEP_1)
	v_bitop3_b16 v135, v134, v0, 0xff bitop3:0xec
	v_sub_nc_u16 v0, v2, v6
	ds_load_2addr_b32 v[2:3], v91 offset1:1
	v_add_nc_u32_e32 v138, s22, v35
	v_lshlrev_b16 v0, 8, v0
	v_bitop3_b16 v137, v136, v0, 0xff bitop3:0xec
	v_add3_u32 v0, s23, v127, v111
	ds_load_b32 v90, v0
	v_add_nc_u32_e32 v0, 0x1080, v4
	s_wait_dscnt 0x1
	v_ashrrev_i32_e32 v2, s18, v2
	ds_load_2addr_b32 v[0:1], v0 offset1:1
	v_dual_ashrrev_i32 v3, s18, v3 :: v_dual_lshlrev_b32 v2, 2, v2
	s_delay_alu instid0(VALU_DEP_1) | instskip(NEXT) | instid1(VALU_DEP_2)
	v_lshlrev_b32_e32 v3, 2, v3
	v_and_b32_e32 v2, 0x4040404, v2
	s_delay_alu instid0(VALU_DEP_2) | instskip(NEXT) | instid1(VALU_DEP_2)
	v_and_b32_e32 v3, 0x4040404, v3
	v_dual_lshrrev_b32 v93, 24, v2 :: v_dual_lshrrev_b32 v95, 16, v2
	v_lshrrev_b16 v92, 8, v2
	s_wait_dscnt 0x0
	v_ashrrev_i32_e32 v0, s20, v0
	s_delay_alu instid0(VALU_DEP_1) | instskip(SKIP_1) | instid1(VALU_DEP_2)
	v_and_b32_e32 v5, 0x3030303, v0
	v_bfe_u32 v0, v0, 24, 2
	v_lshrrev_b32_e32 v7, 16, v5
	s_delay_alu instid0(VALU_DEP_2) | instskip(SKIP_2) | instid1(VALU_DEP_4)
	v_sub_nc_u16 v0, v0, v93
	v_lshrrev_b16 v6, 8, v5
	v_sub_nc_u16 v194, v5, v2
	v_sub_nc_u16 v186, v7, v95
	s_delay_alu instid0(VALU_DEP_4) | instskip(SKIP_1) | instid1(VALU_DEP_4)
	v_lshlrev_b16 v0, 8, v0
	v_lshrrev_b32_e32 v7, 24, v3
	v_bfe_i32 v194, v194, 0, 8
	s_delay_alu instid0(VALU_DEP_3) | instskip(SKIP_3) | instid1(VALU_DEP_4)
	v_bitop3_b16 v187, v186, v0, 0xff bitop3:0xec
	v_sub_nc_u16 v0, v6, v92
	v_lshrrev_b32_e32 v92, 16, v3
	v_lshrrev_b16 v6, 8, v3
	v_perm_b32 v186, v187, v186, 0xc0c0500
	s_delay_alu instid0(VALU_DEP_4) | instskip(SKIP_1) | instid1(VALU_DEP_2)
	v_lshlrev_b16 v191, 8, v0
	v_ashrrev_i32_e32 v0, s20, v1
	v_bfe_i32 v191, v191, 8, 8
	s_delay_alu instid0(VALU_DEP_2) | instskip(SKIP_1) | instid1(VALU_DEP_2)
	v_and_b32_e32 v1, 0x3030303, v0
	v_bfe_u32 v0, v0, 24, 2
	v_lshrrev_b32_e32 v5, 16, v1
	s_delay_alu instid0(VALU_DEP_2) | instskip(SKIP_2) | instid1(VALU_DEP_4)
	v_sub_nc_u16 v0, v0, v7
	v_lshrrev_b16 v2, 8, v1
	v_sub_nc_u16 v196, v1, v3
	v_sub_nc_u16 v190, v5, v92
	s_delay_alu instid0(VALU_DEP_4) | instskip(NEXT) | instid1(VALU_DEP_3)
	v_lshlrev_b16 v0, 8, v0
	v_bfe_i32 v196, v196, 0, 8
	s_delay_alu instid0(VALU_DEP_2)
	v_bitop3_b16 v192, v190, v0, 0xff bitop3:0xec
	v_sub_nc_u16 v0, v2, v6
	ds_load_2addr_b32 v[2:3], v91 offset0:2 offset1:3
	v_lshlrev_b16 v193, 8, v0
	v_add_nc_u32_e32 v0, 0x1088, v4
	ds_load_2addr_b32 v[0:1], v0 offset1:1
	s_wait_dscnt 0x1
	v_dual_ashrrev_i32 v2, s18, v2 :: v_dual_ashrrev_i32 v3, s18, v3
	s_delay_alu instid0(VALU_DEP_1) | instskip(SKIP_2) | instid1(VALU_DEP_2)
	v_dual_lshlrev_b32 v2, 2, v2 :: v_dual_lshlrev_b32 v3, 2, v3
	s_wait_dscnt 0x0
	v_ashrrev_i32_e32 v0, s20, v0
	v_and_b32_e32 v2, 0x4040404, v2
	s_delay_alu instid0(VALU_DEP_3) | instskip(NEXT) | instid1(VALU_DEP_3)
	v_and_b32_e32 v3, 0x4040404, v3
	v_and_b32_e32 v5, 0x3030303, v0
	v_bfe_u32 v0, v0, 24, 2
	s_delay_alu instid0(VALU_DEP_4) | instskip(SKIP_1) | instid1(VALU_DEP_4)
	v_dual_lshrrev_b32 v92, 16, v2 :: v_dual_lshrrev_b32 v95, 24, v2
	v_lshrrev_b16 v93, 8, v2
	v_lshrrev_b32_e32 v6, 16, v5
	v_lshrrev_b16 v7, 8, v5
	v_sub_nc_u16 v198, v5, v2
	v_sub_nc_u16 v0, v0, v95
	s_delay_alu instid0(VALU_DEP_4) | instskip(SKIP_2) | instid1(VALU_DEP_4)
	v_sub_nc_u16 v199, v6, v92
	v_lshrrev_b32_e32 v92, 16, v3
	v_lshrrev_b16 v6, 8, v3
	v_lshlrev_b16 v139, 8, v0
	v_sub_nc_u16 v0, v7, v93
	v_lshrrev_b32_e32 v7, 24, v3
	v_bfe_i32 v199, v199, 0, 8
	v_bfe_i32 v198, v198, 0, 8
	;; [unrolled: 1-line block ×3, first 2 shown]
	v_lshlrev_b16 v197, 8, v0
	v_ashrrev_i32_e32 v0, s20, v1
	v_perm_b32 v173, v199, v173, 0x5040100
	s_delay_alu instid0(VALU_DEP_3) | instskip(NEXT) | instid1(VALU_DEP_3)
	v_bfe_i32 v197, v197, 8, 8
	v_and_b32_e32 v1, 0x3030303, v0
	v_bfe_u32 v0, v0, 24, 2
	s_delay_alu instid0(VALU_DEP_2) | instskip(NEXT) | instid1(VALU_DEP_2)
	v_lshrrev_b32_e32 v5, 16, v1
	v_sub_nc_u16 v0, v0, v7
	v_lshrrev_b16 v2, 8, v1
	v_sub_nc_u16 v143, v1, v3
	s_delay_alu instid0(VALU_DEP_4) | instskip(NEXT) | instid1(VALU_DEP_4)
	v_sub_nc_u16 v140, v5, v92
	v_lshlrev_b16 v0, 8, v0
	s_delay_alu instid0(VALU_DEP_3) | instskip(NEXT) | instid1(VALU_DEP_2)
	v_bfe_i32 v143, v143, 0, 8
	v_bitop3_b16 v141, v140, v0, 0xff bitop3:0xec
	v_sub_nc_u16 v0, v2, v6
	ds_load_2addr_b32 v[2:3], v91 offset0:4 offset1:5
	v_lshlrev_b16 v142, 8, v0
	v_add_nc_u32_e32 v0, 0x1090, v4
	ds_load_2addr_b32 v[0:1], v0 offset1:1
	s_wait_dscnt 0x1
	v_dual_ashrrev_i32 v2, s18, v2 :: v_dual_ashrrev_i32 v3, s18, v3
	s_delay_alu instid0(VALU_DEP_1) | instskip(SKIP_2) | instid1(VALU_DEP_2)
	v_dual_lshlrev_b32 v2, 2, v2 :: v_dual_lshlrev_b32 v3, 2, v3
	s_wait_dscnt 0x0
	v_ashrrev_i32_e32 v0, s20, v0
	v_and_b32_e32 v2, 0x4040404, v2
	s_delay_alu instid0(VALU_DEP_3) | instskip(NEXT) | instid1(VALU_DEP_3)
	v_and_b32_e32 v3, 0x4040404, v3
	v_and_b32_e32 v5, 0x3030303, v0
	v_bfe_u32 v0, v0, 24, 2
	s_delay_alu instid0(VALU_DEP_4) | instskip(SKIP_1) | instid1(VALU_DEP_4)
	v_dual_lshrrev_b32 v93, 24, v2 :: v_dual_lshrrev_b32 v95, 16, v2
	v_lshrrev_b16 v92, 8, v2
	v_lshrrev_b32_e32 v7, 16, v5
	v_lshrrev_b16 v6, 8, v5
	s_delay_alu instid0(VALU_DEP_4) | instskip(SKIP_1) | instid1(VALU_DEP_4)
	v_sub_nc_u16 v0, v0, v93
	v_sub_nc_u16 v184, v5, v2
	;; [unrolled: 1-line block ×3, first 2 shown]
	v_lshrrev_b32_e32 v7, 24, v3
	s_delay_alu instid0(VALU_DEP_4) | instskip(NEXT) | instid1(VALU_DEP_4)
	v_lshlrev_b16 v0, 8, v0
	v_bfe_i32 v184, v184, 0, 8
	s_delay_alu instid0(VALU_DEP_2) | instskip(SKIP_3) | instid1(VALU_DEP_4)
	v_bitop3_b16 v179, v178, v0, 0xff bitop3:0xec
	v_sub_nc_u16 v0, v6, v92
	v_lshrrev_b32_e32 v92, 16, v3
	v_lshrrev_b16 v6, 8, v3
	v_perm_b32 v178, v179, v178, 0xc0c0500
	s_delay_alu instid0(VALU_DEP_4) | instskip(SKIP_1) | instid1(VALU_DEP_2)
	v_lshlrev_b16 v181, 8, v0
	v_ashrrev_i32_e32 v0, s20, v1
	v_bfe_i32 v181, v181, 8, 8
	s_delay_alu instid0(VALU_DEP_2) | instskip(SKIP_1) | instid1(VALU_DEP_2)
	v_and_b32_e32 v1, 0x3030303, v0
	v_bfe_u32 v0, v0, 24, 2
	v_lshrrev_b32_e32 v5, 16, v1
	s_delay_alu instid0(VALU_DEP_2) | instskip(SKIP_2) | instid1(VALU_DEP_4)
	v_sub_nc_u16 v0, v0, v7
	v_lshrrev_b16 v2, 8, v1
	v_sub_nc_u16 v185, v1, v3
	v_sub_nc_u16 v180, v5, v92
	s_delay_alu instid0(VALU_DEP_4) | instskip(NEXT) | instid1(VALU_DEP_3)
	v_lshlrev_b16 v0, 8, v0
	v_bfe_i32 v185, v185, 0, 8
	s_delay_alu instid0(VALU_DEP_2)
	v_bitop3_b16 v182, v180, v0, 0xff bitop3:0xec
	v_sub_nc_u16 v0, v2, v6
	ds_load_2addr_b32 v[2:3], v91 offset0:6 offset1:7
	v_lshlrev_b16 v183, 8, v0
	v_add_nc_u32_e32 v0, 0x1098, v4
	ds_load_2addr_b32 v[0:1], v0 offset1:1
	s_wait_dscnt 0x1
	v_dual_ashrrev_i32 v2, s18, v2 :: v_dual_ashrrev_i32 v3, s18, v3
	s_delay_alu instid0(VALU_DEP_1) | instskip(SKIP_2) | instid1(VALU_DEP_2)
	v_dual_lshlrev_b32 v2, 2, v2 :: v_dual_lshlrev_b32 v3, 2, v3
	s_wait_dscnt 0x0
	v_ashrrev_i32_e32 v0, s20, v0
	v_and_b32_e32 v2, 0x4040404, v2
	s_delay_alu instid0(VALU_DEP_3) | instskip(NEXT) | instid1(VALU_DEP_3)
	v_and_b32_e32 v3, 0x4040404, v3
	v_and_b32_e32 v5, 0x3030303, v0
	v_bfe_u32 v0, v0, 24, 2
	s_delay_alu instid0(VALU_DEP_4) | instskip(SKIP_1) | instid1(VALU_DEP_4)
	v_dual_lshrrev_b32 v91, 16, v2 :: v_dual_lshrrev_b32 v93, 24, v2
	v_lshrrev_b16 v92, 8, v2
	v_lshrrev_b32_e32 v6, 16, v5
	v_lshrrev_b16 v7, 8, v5
	v_sub_nc_u16 v189, v5, v2
	v_sub_nc_u16 v0, v0, v93
	s_delay_alu instid0(VALU_DEP_4) | instskip(SKIP_2) | instid1(VALU_DEP_4)
	v_sub_nc_u16 v195, v6, v91
	v_lshrrev_b32_e32 v91, 16, v3
	v_lshrrev_b16 v6, 8, v3
	v_lshlrev_b16 v144, 8, v0
	v_sub_nc_u16 v0, v7, v92
	v_lshrrev_b32_e32 v7, 24, v3
	v_add3_u32 v92, s21, v116, v117
	v_bfe_i32 v195, v195, 0, 8
	v_bfe_i32 v189, v189, 0, 8
	v_lshlrev_b16 v188, 8, v0
	v_ashrrev_i32_e32 v0, s20, v1
	s_delay_alu instid0(VALU_DEP_4) | instskip(NEXT) | instid1(VALU_DEP_3)
	v_perm_b32 v169, v195, v169, 0x5040100
	v_bfe_i32 v188, v188, 8, 8
	s_delay_alu instid0(VALU_DEP_3) | instskip(SKIP_1) | instid1(VALU_DEP_2)
	v_and_b32_e32 v1, 0x3030303, v0
	v_bfe_u32 v0, v0, 24, 2
	v_lshrrev_b32_e32 v5, 16, v1
	s_delay_alu instid0(VALU_DEP_2) | instskip(SKIP_2) | instid1(VALU_DEP_4)
	v_sub_nc_u16 v0, v0, v7
	v_lshrrev_b16 v2, 8, v1
	v_sub_nc_u16 v148, v1, v3
	v_sub_nc_u16 v145, v5, v91
	s_delay_alu instid0(VALU_DEP_4) | instskip(NEXT) | instid1(VALU_DEP_3)
	v_lshlrev_b16 v0, 8, v0
	v_bfe_i32 v148, v148, 0, 8
	s_delay_alu instid0(VALU_DEP_2)
	v_bitop3_b16 v146, v145, v0, 0xff bitop3:0xec
	v_sub_nc_u16 v0, v2, v6
	ds_load_2addr_b32 v[2:3], v92 offset1:1
	v_lshlrev_b16 v147, 8, v0
	v_add3_u32 v0, s23, v114, v115
	ds_load_b32 v91, v0
	v_add_nc_u32_e32 v0, 0x2100, v4
	ds_load_2addr_b32 v[0:1], v0 offset1:1
	s_wait_dscnt 0x2
	v_dual_ashrrev_i32 v2, s18, v2 :: v_dual_ashrrev_i32 v3, s18, v3
	s_delay_alu instid0(VALU_DEP_1) | instskip(NEXT) | instid1(VALU_DEP_1)
	v_dual_lshlrev_b32 v2, 2, v2 :: v_dual_lshlrev_b32 v3, 2, v3
	v_and_b32_e32 v2, 0x4040404, v2
	s_delay_alu instid0(VALU_DEP_2) | instskip(NEXT) | instid1(VALU_DEP_2)
	v_and_b32_e32 v3, 0x4040404, v3
	v_dual_lshrrev_b32 v95, 24, v2 :: v_dual_lshrrev_b32 v154, 16, v2
	s_wait_dscnt 0x0
	v_ashrrev_i32_e32 v0, s20, v0
	v_lshrrev_b16 v93, 8, v2
	s_delay_alu instid0(VALU_DEP_2) | instskip(NEXT) | instid1(VALU_DEP_1)
	v_and_b32_e32 v5, 0x3030303, v0
	v_lshrrev_b32_e32 v7, 16, v5
	v_bfe_u32 v0, v0, 24, 2
	v_lshrrev_b16 v6, 8, v5
	v_sub_nc_u16 v5, v5, v2
	s_delay_alu instid0(VALU_DEP_4) | instskip(NEXT) | instid1(VALU_DEP_4)
	v_sub_nc_u16 v200, v7, v154
	v_sub_nc_u16 v0, v0, v95
	v_dual_lshrrev_b32 v95, 24, v3 :: v_dual_lshrrev_b32 v154, 16, v3
	s_delay_alu instid0(VALU_DEP_4) | instskip(NEXT) | instid1(VALU_DEP_3)
	v_bfe_i32 v223, v5, 0, 8
	v_lshlrev_b16 v0, 8, v0
	s_delay_alu instid0(VALU_DEP_1) | instskip(SKIP_2) | instid1(VALU_DEP_3)
	v_bitop3_b16 v201, v200, v0, 0xff bitop3:0xec
	v_sub_nc_u16 v0, v6, v93
	v_lshrrev_b16 v93, 8, v3
	v_perm_b32 v200, v201, v200, 0xc0c0500
	s_delay_alu instid0(VALU_DEP_3) | instskip(SKIP_1) | instid1(VALU_DEP_2)
	v_lshlrev_b16 v6, 8, v0
	v_ashrrev_i32_e32 v0, s20, v1
	v_bfe_i32 v224, v6, 8, 8
	s_delay_alu instid0(VALU_DEP_2) | instskip(SKIP_1) | instid1(VALU_DEP_2)
	v_and_b32_e32 v1, 0x3030303, v0
	v_bfe_u32 v0, v0, 24, 2
	v_lshrrev_b32_e32 v7, 16, v1
	s_delay_alu instid0(VALU_DEP_2) | instskip(SKIP_1) | instid1(VALU_DEP_3)
	v_sub_nc_u16 v0, v0, v95
	v_lshrrev_b16 v2, 8, v1
	v_sub_nc_u16 v202, v7, v154
	s_delay_alu instid0(VALU_DEP_3) | instskip(SKIP_1) | instid1(VALU_DEP_2)
	v_lshlrev_b16 v0, 8, v0
	v_sub_nc_u16 v7, v1, v3
	v_bitop3_b16 v203, v202, v0, 0xff bitop3:0xec
	v_sub_nc_u16 v0, v2, v93
	ds_load_2addr_b32 v[2:3], v92 offset0:2 offset1:3
	v_bfe_i32 v225, v7, 0, 8
	v_perm_b32 v202, v203, v202, 0xc05000c
	v_lshlrev_b16 v204, 8, v0
	v_add_nc_u32_e32 v0, 0x2108, v4
	s_delay_alu instid0(VALU_DEP_2) | instskip(SKIP_3) | instid1(VALU_DEP_1)
	v_perm_b32 v203, v204, v204, 0xc0c0c01
	ds_load_2addr_b32 v[0:1], v0 offset1:1
	s_wait_dscnt 0x1
	v_dual_ashrrev_i32 v2, s18, v2 :: v_dual_bitop2_b32 v202, v202, v203 bitop3:0x54
	v_dual_ashrrev_i32 v3, s18, v3 :: v_dual_lshlrev_b32 v2, 2, v2
	s_wait_dscnt 0x0
	s_delay_alu instid0(VALU_DEP_1) | instskip(NEXT) | instid1(VALU_DEP_2)
	v_dual_lshlrev_b32 v3, 2, v3 :: v_dual_ashrrev_i32 v0, s20, v0
	v_and_b32_e32 v2, 0x4040404, v2
	s_delay_alu instid0(VALU_DEP_2) | instskip(NEXT) | instid1(VALU_DEP_3)
	v_and_b32_e32 v3, 0x4040404, v3
	v_and_b32_e32 v93, 0x3030303, v0
	v_bfe_u32 v0, v0, 24, 2
	s_delay_alu instid0(VALU_DEP_4) | instskip(SKIP_1) | instid1(VALU_DEP_4)
	v_dual_lshrrev_b32 v156, 24, v2 :: v_dual_lshrrev_b32 v172, 16, v2
	v_lshrrev_b16 v155, 8, v2
	v_lshrrev_b32_e32 v154, 16, v93
	v_lshrrev_b16 v95, 8, v93
	s_delay_alu instid0(VALU_DEP_4) | instskip(SKIP_1) | instid1(VALU_DEP_4)
	v_sub_nc_u16 v0, v0, v156
	v_sub_nc_u16 v208, v93, v2
	;; [unrolled: 1-line block ×3, first 2 shown]
	v_lshrrev_b32_e32 v154, 24, v3
	s_delay_alu instid0(VALU_DEP_4) | instskip(NEXT) | instid1(VALU_DEP_4)
	v_lshlrev_b16 v0, 8, v0
	v_bfe_i32 v199, v208, 0, 8
	v_bfe_i32 v208, v166, 8, 8
	;; [unrolled: 1-line block ×3, first 2 shown]
	s_delay_alu instid0(VALU_DEP_4) | instskip(SKIP_3) | instid1(VALU_DEP_3)
	v_bitop3_b16 v206, v205, v0, 0xff bitop3:0xec
	v_sub_nc_u16 v0, v95, v155
	v_lshrrev_b32_e32 v155, 16, v3
	v_lshrrev_b16 v95, 8, v3
	v_lshlrev_b16 v207, 8, v0
	v_ashrrev_i32_e32 v0, s20, v1
	s_delay_alu instid0(VALU_DEP_1) | instskip(SKIP_1) | instid1(VALU_DEP_2)
	v_and_b32_e32 v1, 0x3030303, v0
	v_bfe_u32 v0, v0, 24, 2
	v_lshrrev_b32_e32 v93, 16, v1
	s_delay_alu instid0(VALU_DEP_2) | instskip(SKIP_2) | instid1(VALU_DEP_4)
	v_sub_nc_u16 v0, v0, v154
	v_lshrrev_b16 v2, 8, v1
	v_sub_nc_u16 v212, v1, v3
	v_sub_nc_u16 v209, v93, v155
	s_delay_alu instid0(VALU_DEP_4) | instskip(NEXT) | instid1(VALU_DEP_1)
	v_lshlrev_b16 v0, 8, v0
	v_bitop3_b16 v210, v209, v0, 0xff bitop3:0xec
	v_sub_nc_u16 v0, v2, v95
	ds_load_2addr_b32 v[2:3], v92 offset0:4 offset1:5
	v_lshlrev_b16 v211, 8, v0
	v_add_nc_u32_e32 v0, 0x2110, v4
	s_delay_alu instid0(VALU_DEP_2) | instskip(SKIP_3) | instid1(VALU_DEP_1)
	v_perm_b32 v187, v211, v211, 0xc0c0c01
	ds_load_2addr_b32 v[0:1], v0 offset1:1
	s_wait_dscnt 0x1
	v_dual_ashrrev_i32 v2, s18, v2 :: v_dual_ashrrev_i32 v3, s18, v3
	v_dual_lshlrev_b32 v2, 2, v2 :: v_dual_lshlrev_b32 v3, 2, v3
	s_wait_dscnt 0x0
	v_ashrrev_i32_e32 v0, s20, v0
	s_delay_alu instid0(VALU_DEP_2) | instskip(NEXT) | instid1(VALU_DEP_3)
	v_and_b32_e32 v2, 0x4040404, v2
	v_and_b32_e32 v3, 0x4040404, v3
	s_delay_alu instid0(VALU_DEP_3) | instskip(SKIP_1) | instid1(VALU_DEP_4)
	v_and_b32_e32 v93, 0x3030303, v0
	v_bfe_u32 v0, v0, 24, 2
	v_dual_lshrrev_b32 v156, 24, v2 :: v_dual_lshrrev_b32 v172, 16, v2
	v_lshrrev_b16 v155, 8, v2
	s_delay_alu instid0(VALU_DEP_4) | instskip(SKIP_1) | instid1(VALU_DEP_4)
	v_lshrrev_b32_e32 v154, 16, v93
	v_lshrrev_b16 v95, 8, v93
	v_sub_nc_u16 v0, v0, v156
	v_lshrrev_b32_e32 v156, 24, v3
	v_sub_nc_u16 v93, v93, v2
	v_sub_nc_u16 v213, v154, v172
	v_lshrrev_b32_e32 v172, 16, v3
	v_lshlrev_b16 v0, 8, v0
	s_delay_alu instid0(VALU_DEP_4) | instskip(SKIP_1) | instid1(VALU_DEP_3)
	v_bfe_i32 v227, v93, 0, 8
	v_add3_u32 v93, s21, v120, v121
	v_bitop3_b16 v214, v213, v0, 0xff bitop3:0xec
	v_sub_nc_u16 v0, v95, v155
	v_lshrrev_b16 v155, 8, v3
	s_delay_alu instid0(VALU_DEP_2) | instskip(SKIP_1) | instid1(VALU_DEP_2)
	v_lshlrev_b16 v95, 8, v0
	v_ashrrev_i32_e32 v0, s20, v1
	v_bfe_i32 v228, v95, 8, 8
	s_delay_alu instid0(VALU_DEP_2) | instskip(SKIP_1) | instid1(VALU_DEP_2)
	v_and_b32_e32 v1, 0x3030303, v0
	v_bfe_u32 v0, v0, 24, 2
	v_lshrrev_b32_e32 v154, 16, v1
	s_delay_alu instid0(VALU_DEP_2) | instskip(SKIP_1) | instid1(VALU_DEP_3)
	v_sub_nc_u16 v0, v0, v156
	v_lshrrev_b16 v2, 8, v1
	v_sub_nc_u16 v215, v154, v172
	s_delay_alu instid0(VALU_DEP_3) | instskip(SKIP_1) | instid1(VALU_DEP_2)
	v_lshlrev_b16 v0, 8, v0
	v_sub_nc_u16 v172, v1, v3
	v_bitop3_b16 v216, v215, v0, 0xff bitop3:0xec
	v_sub_nc_u16 v0, v2, v155
	ds_load_2addr_b32 v[2:3], v92 offset0:6 offset1:7
	v_bfe_i32 v229, v172, 0, 8
	v_lshlrev_b16 v217, 8, v0
	v_add_nc_u32_e32 v0, 0x2118, v4
	ds_load_2addr_b32 v[0:1], v0 offset1:1
	s_wait_dscnt 0x1
	v_dual_ashrrev_i32 v2, s18, v2 :: v_dual_ashrrev_i32 v3, s18, v3
	s_delay_alu instid0(VALU_DEP_1) | instskip(SKIP_2) | instid1(VALU_DEP_2)
	v_dual_lshlrev_b32 v2, 2, v2 :: v_dual_lshlrev_b32 v3, 2, v3
	s_wait_dscnt 0x0
	v_ashrrev_i32_e32 v0, s20, v0
	v_and_b32_e32 v2, 0x4040404, v2
	s_delay_alu instid0(VALU_DEP_3) | instskip(NEXT) | instid1(VALU_DEP_3)
	v_and_b32_e32 v3, 0x4040404, v3
	v_and_b32_e32 v154, 0x3030303, v0
	v_bfe_u32 v0, v0, 24, 2
	s_delay_alu instid0(VALU_DEP_4) | instskip(SKIP_1) | instid1(VALU_DEP_4)
	v_dual_lshrrev_b32 v174, 24, v2 :: v_dual_lshrrev_b32 v175, 16, v2
	v_lshrrev_b16 v92, 8, v2
	v_lshrrev_b32_e32 v156, 16, v154
	v_lshrrev_b16 v155, 8, v154
	s_delay_alu instid0(VALU_DEP_4)
	v_sub_nc_u16 v0, v0, v174
	v_sub_nc_u16 v221, v154, v2
	v_lshrrev_b32_e32 v154, 16, v3
	v_sub_nc_u16 v218, v156, v175
	v_lshrrev_b16 v156, 8, v3
	v_lshlrev_b16 v0, 8, v0
	v_bfe_i32 v195, v221, 0, 8
	s_delay_alu instid0(VALU_DEP_2) | instskip(SKIP_2) | instid1(VALU_DEP_2)
	v_bitop3_b16 v219, v218, v0, 0xff bitop3:0xec
	v_sub_nc_u16 v0, v155, v92
	v_lshrrev_b32_e32 v155, 24, v3
	v_lshlrev_b16 v220, 8, v0
	v_ashrrev_i32_e32 v0, s20, v1
	s_delay_alu instid0(VALU_DEP_1) | instskip(SKIP_1) | instid1(VALU_DEP_2)
	v_and_b32_e32 v1, 0x3030303, v0
	v_bfe_u32 v0, v0, 24, 2
	v_lshrrev_b32_e32 v92, 16, v1
	s_delay_alu instid0(VALU_DEP_2)
	v_sub_nc_u16 v0, v0, v155
	v_lshrrev_b16 v2, 8, v1
	v_sub_nc_u16 v222, v1, v3
	v_add3_u32 v1, s23, v118, v119
	v_sub_nc_u16 v154, v92, v154
	v_lshlrev_b16 v0, 8, v0
	ds_load_b32 v92, v1
	v_bitop3_b16 v155, v154, v0, 0xff bitop3:0xec
	v_sub_nc_u16 v0, v2, v156
	ds_load_2addr_b32 v[2:3], v93 offset1:1
	v_lshlrev_b16 v156, 8, v0
	v_add_nc_u32_e32 v0, s22, v31
	ds_load_u16 v0, v0 offset:27378
	s_wait_dscnt 0x1
	v_dual_ashrrev_i32 v2, s18, v2 :: v_dual_ashrrev_i32 v3, s18, v3
	s_delay_alu instid0(VALU_DEP_1)
	v_lshlrev_b32_e32 v3, 2, v3
	s_wait_dscnt 0x0
	v_lshrrev_b16 v1, 8, v0
	v_bfe_i32 v226, v0, 0, 8
	v_add_nc_u32_e32 v0, 0x3180, v4
	v_and_b32_e32 v3, 0x4040404, v3
	s_delay_alu instid0(VALU_DEP_4) | instskip(SKIP_2) | instid1(VALU_DEP_1)
	v_bfe_i32 v95, v1, 0, 8
	ds_load_2addr_b32 v[0:1], v0 offset1:1
	v_lshlrev_b32_e32 v2, 2, v2
	v_and_b32_e32 v2, 0x4040404, v2
	s_delay_alu instid0(VALU_DEP_1) | instskip(SKIP_3) | instid1(VALU_DEP_1)
	v_dual_lshrrev_b32 v172, 16, v2 :: v_dual_lshrrev_b32 v174, 24, v2
	v_lshrrev_b16 v175, 8, v2
	s_wait_dscnt 0x0
	v_ashrrev_i32_e32 v0, s20, v0
	v_and_b32_e32 v5, 0x3030303, v0
	v_bfe_u32 v0, v0, 24, 2
	s_delay_alu instid0(VALU_DEP_2) | instskip(NEXT) | instid1(VALU_DEP_2)
	v_sub_nc_u16 v233, v5, v2
	v_sub_nc_u16 v231, v0, v174
	v_ashrrev_i32_e32 v0, s20, v1
	v_lshrrev_b32_e32 v6, 16, v5
	v_lshrrev_b16 v7, 8, v5
	s_delay_alu instid0(VALU_DEP_4) | instskip(NEXT) | instid1(VALU_DEP_4)
	v_bfe_i32 v231, v231, 0, 16
	v_bfe_u32 v1, v0, 24, 2
	v_and_b32_e32 v0, 0x3030303, v0
	v_sub_nc_u16 v232, v6, v172
	v_lshrrev_b32_e32 v6, 24, v3
	v_sub_nc_u16 v230, v7, v175
	s_delay_alu instid0(VALU_DEP_4)
	v_dual_lshrrev_b32 v7, 16, v3 :: v_dual_lshrrev_b32 v2, 16, v0
	v_lshrrev_b16 v5, 8, v0
	v_sub_nc_u16 v234, v0, v3
	v_add_nc_u32_e32 v0, 0x3188, v4
	v_sub_nc_u16 v237, v1, v6
	v_lshrrev_b16 v172, 8, v3
	v_sub_nc_u16 v236, v2, v7
	ds_load_2addr_b32 v[2:3], v93 offset0:2 offset1:3
	ds_load_2addr_b32 v[0:1], v0 offset1:1
	v_bfe_i32 v230, v230, 0, 16
	v_sub_nc_u16 v235, v5, v172
	v_bfe_i32 v204, v236, 0, 8
	v_bfe_i32 v234, v234, 0, 8
	s_wait_dscnt 0x0
	v_dual_ashrrev_i32 v2, s18, v2 :: v_dual_ashrrev_i32 v0, s20, v0
	s_delay_alu instid0(VALU_DEP_1) | instskip(NEXT) | instid1(VALU_DEP_2)
	v_dual_ashrrev_i32 v3, s18, v3 :: v_dual_lshlrev_b32 v2, 2, v2
	v_bfe_u32 v5, v0, 24, 2
	v_and_b32_e32 v0, 0x3030303, v0
	s_delay_alu instid0(VALU_DEP_3) | instskip(NEXT) | instid1(VALU_DEP_4)
	v_lshlrev_b32_e32 v3, 2, v3
	v_and_b32_e32 v2, 0x4040404, v2
	s_delay_alu instid0(VALU_DEP_3) | instskip(SKIP_1) | instid1(VALU_DEP_4)
	v_lshrrev_b32_e32 v6, 16, v0
	v_lshrrev_b16 v7, 8, v0
	v_and_b32_e32 v3, 0x4040404, v3
	s_delay_alu instid0(VALU_DEP_4) | instskip(SKIP_3) | instid1(VALU_DEP_3)
	v_sub_nc_u16 v238, v0, v2
	v_dual_ashrrev_i32 v0, s20, v1 :: v_dual_lshrrev_b32 v172, 24, v2
	v_lshrrev_b32_e32 v174, 16, v2
	v_lshrrev_b16 v175, 8, v2
	v_bfe_u32 v1, v0, 24, 2
	v_and_b32_e32 v0, 0x3030303, v0
	s_delay_alu instid0(VALU_DEP_4)
	v_sub_nc_u16 v240, v6, v174
	v_sub_nc_u16 v241, v5, v172
	v_lshrrev_b32_e32 v6, 24, v3
	v_sub_nc_u16 v239, v7, v175
	v_lshrrev_b32_e32 v2, 16, v0
	v_lshrrev_b16 v5, 8, v0
	v_sub_nc_u16 v242, v0, v3
	v_add_nc_u32_e32 v0, 0x3190, v4
	v_lshrrev_b32_e32 v7, 16, v3
	v_sub_nc_u16 v245, v1, v6
	v_lshrrev_b16 v172, 8, v3
	ds_load_2addr_b32 v[0:1], v0 offset1:1
	v_sub_nc_u16 v244, v2, v7
	ds_load_2addr_b32 v[2:3], v93 offset0:4 offset1:5
	v_sub_nc_u16 v243, v5, v172
	s_wait_dscnt 0x0
	v_dual_ashrrev_i32 v0, s20, v0 :: v_dual_ashrrev_i32 v2, s18, v2
	v_ashrrev_i32_e32 v3, s18, v3
	s_delay_alu instid0(VALU_DEP_2) | instskip(SKIP_1) | instid1(VALU_DEP_3)
	v_and_b32_e32 v5, 0x3030303, v0
	v_bfe_u32 v0, v0, 24, 2
	v_dual_lshlrev_b32 v2, 2, v2 :: v_dual_lshlrev_b32 v3, 2, v3
	s_delay_alu instid0(VALU_DEP_3) | instskip(SKIP_1) | instid1(VALU_DEP_3)
	v_lshrrev_b32_e32 v6, 16, v5
	v_lshrrev_b16 v7, 8, v5
	v_and_b32_e32 v2, 0x4040404, v2
	s_delay_alu instid0(VALU_DEP_4) | instskip(NEXT) | instid1(VALU_DEP_2)
	v_and_b32_e32 v3, 0x4040404, v3
	v_dual_lshrrev_b32 v172, 16, v2 :: v_dual_lshrrev_b32 v174, 24, v2
	v_lshrrev_b16 v175, 8, v2
	v_sub_nc_u16 v249, v5, v2
	s_delay_alu instid0(VALU_DEP_3) | instskip(NEXT) | instid1(VALU_DEP_4)
	v_sub_nc_u16 v248, v6, v172
	v_sub_nc_u16 v247, v0, v174
	v_dual_ashrrev_i32 v0, s20, v1 :: v_dual_lshrrev_b32 v6, 24, v3
	v_sub_nc_u16 v246, v7, v175
	v_lshrrev_b32_e32 v7, 16, v3
	v_lshrrev_b16 v172, 8, v3
	s_delay_alu instid0(VALU_DEP_4) | instskip(SKIP_1) | instid1(VALU_DEP_2)
	v_bfe_u32 v1, v0, 24, 2
	v_and_b32_e32 v0, 0x3030303, v0
	v_sub_nc_u16 v253, v1, v6
	s_delay_alu instid0(VALU_DEP_2) | instskip(SKIP_3) | instid1(VALU_DEP_4)
	v_lshrrev_b32_e32 v2, 16, v0
	v_lshrrev_b16 v5, 8, v0
	v_sub_nc_u16 v250, v0, v3
	v_add_nc_u32_e32 v0, 0x3198, v4
	v_sub_nc_u16 v252, v2, v7
	ds_load_2addr_b32 v[2:3], v93 offset0:6 offset1:7
	v_sub_nc_u16 v251, v5, v172
	ds_load_2addr_b32 v[0:1], v0 offset1:1
	s_wait_dscnt 0x1
	v_dual_ashrrev_i32 v2, s18, v2 :: v_dual_ashrrev_i32 v3, s18, v3
	s_wait_dscnt 0x0
	v_ashrrev_i32_e32 v0, s20, v0
	s_add_co_i32 s18, s18, 1
	s_cmp_lt_u32 s19, 30
	v_dual_lshlrev_b32 v2, 2, v2 :: v_dual_lshlrev_b32 v3, 2, v3
	s_delay_alu instid0(VALU_DEP_2) | instskip(SKIP_1) | instid1(VALU_DEP_3)
	v_bfe_u32 v4, v0, 24, 2
	v_and_b32_e32 v0, 0x3030303, v0
	v_and_b32_e32 v2, 0x4040404, v2
	s_delay_alu instid0(VALU_DEP_2) | instskip(SKIP_1) | instid1(VALU_DEP_3)
	v_lshrrev_b32_e32 v5, 16, v0
	v_lshrrev_b16 v6, 8, v0
	v_sub_nc_u16 v254, v0, v2
	v_dual_ashrrev_i32 v0, s20, v1 :: v_dual_lshrrev_b32 v7, 24, v2
	v_lshrrev_b32_e32 v93, 16, v2
	v_lshrrev_b16 v172, 8, v2
	s_delay_alu instid0(VALU_DEP_3)
	v_bfe_u32 v1, v0, 24, 2
	v_and_b32_e32 v0, 0x3030303, v0
	s_set_vgpr_msb 64                       ;  msbs: dst=1 src0=0 src1=0 src2=0
	v_sub_nc_u16 v0 /*v256*/, v5, v93
	s_set_vgpr_msb 0                        ;  msbs: dst=0 src0=0 src1=0 src2=0
	v_sub_nc_u16 v255, v6, v172
	v_add_nc_u32_e32 v172, s22, v29
	v_and_b32_e32 v3, 0x4040404, v3
	v_lshrrev_b32_e32 v2, 16, v0
	s_set_vgpr_msb 64                       ;  msbs: dst=1 src0=0 src1=0 src2=0
	v_sub_nc_u16 v1 /*v257*/, v4, v7
	s_set_vgpr_msb 0                        ;  msbs: dst=0 src0=0 src1=0 src2=0
	v_lshrrev_b16 v4, 8, v0
	s_mov_b32 s22, s19
	v_dual_lshrrev_b32 v5, 24, v3 :: v_dual_lshrrev_b32 v6, 16, v3
	v_lshrrev_b16 v7, 8, v3
	v_sub_nc_u16 v174, v0, v3
	v_add3_u32 v0, s23, v122, v123
	s_delay_alu instid0(VALU_DEP_4)
	v_sub_nc_u16 v177, v1, v5
	v_sub_nc_u16 v176, v2, v6
	;; [unrolled: 1-line block ×3, first 2 shown]
	ds_load_b32 v93, v0
	ds_load_b128 v[4:7], v89
	ds_load_b128 v[0:3], v89 offset:16
	v_or_b32_e32 v162, v163, v162
	v_perm_b32 v163, v193, v193, 0xc0c0c01
	v_or_b32_e32 v164, v165, v164
	v_perm_b32 v165, v207, v207, 0xc0c0c01
	v_bfe_i32 v193, v248, 0, 8
	ds_load_u16 v138, v138 offset:25330
	ds_load_u16 v149, v149 offset:26354
	s_wait_dscnt 0x3
	s_set_vgpr_msb 64                       ;  msbs: dst=1 src0=0 src1=0 src2=0
	v_lshrrev_b16 v2 /*v258*/, 8, v4
	v_bfe_i32 v8 /*v264*/, v4, 0, 8
	s_set_vgpr_msb 0                        ;  msbs: dst=0 src0=0 src1=0 src2=0
	v_perm_b32 v201, v4, v4, 0xc0c0302
	s_set_vgpr_msb 64                       ;  msbs: dst=1 src0=0 src1=0 src2=0
	v_lshrrev_b16 v3 /*v259*/, 8, v5
	v_bfe_i32 v9 /*v265*/, v5, 0, 8
	s_set_vgpr_msb 0x41                     ;  msbs: dst=1 src0=1 src1=0 src2=0
	v_bfe_i32 v2 /*v258*/, v2 /*v258*/, 0, 8
	s_set_vgpr_msb 1                        ;  msbs: dst=0 src0=1 src1=0 src2=0
	v_mul_i32_i24_e32 v223, v8 /*v264*/, v223
	s_set_vgpr_msb 64                       ;  msbs: dst=1 src0=0 src1=0 src2=0
	v_lshrrev_b16 v4 /*v260*/, 8, v6
	v_ashrrev_i32_e32 v6 /*v262*/, 24, v4
	v_bfe_i32 v7 /*v263*/, v4, 16, 8
	s_set_vgpr_msb 1                        ;  msbs: dst=0 src0=1 src1=0 src2=0
	v_mul_i32_i24_e32 v208, v2 /*v258*/, v208
	v_mad_i32_i24 v223, v2 /*v258*/, v224, v223
	s_set_vgpr_msb 0                        ;  msbs: dst=0 src0=0 src1=0 src2=0
	v_bfe_i32 v224, v232, 0, 8
	v_ashrrev_i32_e32 v232, 24, v5
	v_perm_b32 v203, v5, v5, 0xc030201
	s_set_vgpr_msb 1                        ;  msbs: dst=0 src0=1 src1=0 src2=0
	v_mul_i32_i24_e32 v194, v8 /*v264*/, v194
	s_set_vgpr_msb 0                        ;  msbs: dst=0 src0=0 src1=0 src2=0
	v_dot4_i32_iu8 v200, v201, v200, v223 neg_lo:[1,1,0]
	v_bfe_i32 v223, v233, 0, 8
	s_set_vgpr_msb 1                        ;  msbs: dst=0 src0=1 src1=0 src2=0
	v_bfe_i32 v233, v3 /*v259*/, 0, 8
	v_mad_i32_i24 v166, v8 /*v264*/, v166, v208
	s_set_vgpr_msb 0                        ;  msbs: dst=0 src0=0 src1=0 src2=0
	v_perm_b32 v4, v5, v4, 0x5040302
	s_set_vgpr_msb 1                        ;  msbs: dst=0 src0=1 src1=0 src2=0
	v_mad_i32_i24 v200, v9 /*v265*/, v225, v200
	s_set_vgpr_msb 0                        ;  msbs: dst=0 src0=0 src1=0 src2=0
	v_bfe_i32 v225, v235, 0, 16
	s_set_vgpr_msb 64                       ;  msbs: dst=1 src0=0 src1=0 src2=0
	v_bfe_i32 v3 /*v259*/, v5, 16, 8
	s_set_vgpr_msb 1                        ;  msbs: dst=0 src0=1 src1=0 src2=0
	v_mad_i32_i24 v191, v2 /*v258*/, v191, v194
	s_set_vgpr_msb 0                        ;  msbs: dst=0 src0=0 src1=0 src2=0
	v_perm_b32 v5, v6, v5, 0x5040302
	v_dot4_i32_iu8 v200, v203, v202, v200 neg_lo:[1,1,0]
	v_bfe_i32 v202, v237, 0, 16
	v_mul_i32_i24_e32 v225, v225, v233
	s_set_vgpr_msb 1                        ;  msbs: dst=0 src0=1 src1=0 src2=0
	v_bfe_i32 v233, v4 /*v260*/, 0, 8
	v_ashrrev_i32_e32 v167, 24, v7
	s_set_vgpr_msb 0                        ;  msbs: dst=0 src0=0 src1=0 src2=0
	v_dot4_i32_iu8 v4, v4, v162, v166 neg_lo:[1,1,0]
	v_perm_b32 v162, v192, v190, 0xc05000c
	v_mul_i32_i24_e32 v202, v202, v232
	v_ashrrev_i32_e32 v232, 24, v6
	v_bfe_i32 v235, v6, 0, 8
	v_dot4_i32_iu8 v186, v201, v186, v191 neg_lo:[1,1,0]
	v_or_b32_e32 v162, v162, v163
	v_mul_i32_i24_e32 v163, v233, v197
	s_wait_dscnt 0x2
	v_ashrrev_i32_e32 v197, 24, v1
	v_dot4_i32_iu8 v164, v5, v164, v4 neg_lo:[1,1,0]
	v_perm_b32 v5, v206, v205, 0xc05000c
	v_bfe_i32 v236, v6, 16, 8
	s_set_vgpr_msb 1                        ;  msbs: dst=0 src0=1 src1=0 src2=0
	v_mad_i32_i24 v186, v9 /*v265*/, v196, v186
	s_set_vgpr_msb 0                        ;  msbs: dst=0 src0=0 src1=0 src2=0
	v_mad_i32_i24 v4, v235, v199, v200
	v_perm_b32 v6, v6, v6, 0xc030201
	v_or_b32_e32 v5, v5, v165
	v_bfe_i32 v171, v7, 0, 8
	v_dot4_i32_iu8 v162, v203, v162, v186 neg_lo:[1,1,0]
	v_bfe_i32 v186, v212, 0, 8
	s_set_vgpr_msb 64                       ;  msbs: dst=1 src0=0 src1=0 src2=0
	v_lshrrev_b16 v5 /*v261*/, 8, v7
	s_set_vgpr_msb 0                        ;  msbs: dst=0 src0=0 src1=0 src2=0
	v_dot4_i32_iu8 v4, v6, v5, v4 neg_lo:[1,1,0]
	v_bfe_i32 v5, v241, 0, 16
	v_bfe_i32 v165, v239, 0, 16
	s_set_vgpr_msb 4                        ;  msbs: dst=0 src0=0 src1=1 src2=0
	v_mul_i32_i24_e32 v230, v230, v2 /*v258*/
	v_mul_i32_i24_e32 v234, v234, v9 /*v265*/
	s_set_vgpr_msb 0                        ;  msbs: dst=0 src0=0 src1=0 src2=0
	v_mad_i32_i24 v4, v171, v186, v4
	v_perm_b32 v186, v210, v209, 0xc05000c
	s_set_vgpr_msb 4                        ;  msbs: dst=0 src0=0 src1=1 src2=0
	v_mul_i32_i24_e32 v204, v204, v3 /*v259*/
	v_bfe_i32 v6, v240, 0, 8
	v_bfe_i32 v166, v238, 0, 8
	s_set_vgpr_msb 0                        ;  msbs: dst=0 src0=0 src1=0 src2=0
	v_mul_i32_i24_e32 v165, v165, v233
	v_or_b32_e32 v186, v186, v187
	v_perm_b32 v187, v7, v7, 0xc030201
	v_mul_i32_i24_e32 v5, v5, v232
	s_set_vgpr_msb 1                        ;  msbs: dst=0 src0=1 src1=0 src2=0
	v_bfe_i32 v168, v5 /*v261*/, 0, 8
	s_set_vgpr_msb 0                        ;  msbs: dst=0 src0=0 src1=0 src2=0
	v_bfe_i32 v170, v7, 16, 8
	v_bfe_i32 v190, v244, 0, 8
	v_dot4_i32_iu8 v4, v187, v186, v4 neg_lo:[1,1,0]
	v_bfe_i32 v186, v245, 0, 16
	v_bfe_i32 v191, v243, 0, 16
	;; [unrolled: 1-line block ×3, first 2 shown]
	v_mul_i32_i24_e32 v166, v166, v235
	v_mul_i32_i24_e32 v6, v6, v236
	;; [unrolled: 1-line block ×3, first 2 shown]
	s_set_vgpr_msb 4                        ;  msbs: dst=0 src0=0 src1=1 src2=0
	v_mad_i32_i24 v186, v231, v6 /*v262*/, v202
	s_set_vgpr_msb 0                        ;  msbs: dst=0 src0=0 src1=0 src2=0
	v_mul_i32_i24_e32 v192, v192, v171
	v_mul_i32_i24_e32 v168, v191, v168
	v_mul_i32_i24_e32 v170, v190, v170
	s_set_vgpr_msb 4                        ;  msbs: dst=0 src0=0 src1=1 src2=0
	v_mad_i32_i24 v190, v224, v7 /*v263*/, v204
	v_mad_i32_i24 v191, v223, v8 /*v264*/, v234
	s_set_vgpr_msb 0                        ;  msbs: dst=0 src0=0 src1=0 src2=0
	v_add3_u32 v165, v230, v225, v165
	v_add3_u32 v5, v186, v5, v167
	v_bfe_i32 v186, v0, 0, 8
	v_add3_u32 v6, v190, v6, v170
	v_add3_u32 v166, v191, v166, v192
	v_bfe_i32 v205, v157, 8, 8
	v_add3_u32 v5, v165, v168, v5
	v_mul_i32_i24_e32 v190, v186, v227
	v_lshrrev_b16 v165, 8, v1
	v_perm_b32 v191, v214, v213, 0xc0c0500
	v_perm_b32 v192, v0, v0, 0xc0c0302
	v_add3_u32 v5, v166, v6, v5
	v_lshrrev_b16 v6, 8, v0
	v_bfe_i32 v196, v246, 0, 16
	v_bfe_i32 v157, v157, 0, 8
	v_mul_i32_i24_e32 v184, v186, v184
	v_pk_mul_lo_u16 v173, v173, v236 op_sel_hi:[1,0]
	v_bfe_i32 v6, v6, 0, 8
	v_ashrrev_i32_e32 v168, 24, v0
	v_bfe_i32 v170, v0, 16, 8
	v_bfe_i32 v165, v165, 0, 8
	;; [unrolled: 1-line block ×3, first 2 shown]
	v_mad_i32_i24 v190, v6, v228, v190
	v_mul_i32_i24_e32 v205, v6, v205
	v_mul_i32_i24_e32 v196, v196, v6
	v_perm_b32 v200, v216, v215, 0xc05000c
	v_perm_b32 v201, v217, v217, 0xc0c0c01
	v_dot4_i32_iu8 v190, v192, v191, v190 neg_lo:[1,1,0]
	v_bfe_i32 v203, v251, 0, 16
	v_mad_i32_i24 v157, v186, v157, v205
	v_mad_i32_i24 v6, v6, v181, v184
	v_or_b32_e32 v150, v151, v150
	v_perm_b32 v0, v1, v0, 0x5040302
	v_mad_i32_i24 v190, v199, v229, v190
	v_or_b32_e32 v200, v200, v201
	v_perm_b32 v201, v1, v1, 0xc030201
	v_mul_i32_i24_e32 v165, v203, v165
	v_bfe_i32 v203, v2, 16, 8
	v_dot4_i32_iu8 v6, v192, v178, v6 neg_lo:[1,1,0]
	v_perm_b32 v151, v183, v183, 0xc0c0c01
	v_mul_i32_i24_e32 v128, v232, v128
	v_bfe_i32 v178, v173, 0, 16
	v_ashrrev_i32_e32 v173, 16, v173
	v_dot4_i32_iu8 v0, v0, v150, v157 neg_lo:[1,1,0]
	v_perm_b32 v150, v182, v180, 0xc05000c
	v_mad_i32_i24 v162, v235, v198, v162
	v_lshrrev_b16 v166, 8, v2
	v_bfe_i32 v198, v1, 16, 8
	v_bfe_i32 v202, v252, 0, 8
	v_pk_mul_lo_u16 v169, v169, v203 op_sel_hi:[1,0]
	v_mad_i32_i24 v6, v199, v185, v6
	v_or_b32_e32 v150, v150, v151
	v_perm_b32 v151, v153, v152, 0xc0c0500
	v_perm_b32 v152, v161, v160, 0x5000c0c
	v_ashrrev_i32_e32 v157, 24, v3
	v_dot4_i32_iu8 v190, v201, v200, v190 neg_lo:[1,1,0]
	v_bfe_i32 v200, v253, 0, 16
	v_add3_u32 v128, v164, v178, v128
	v_mul_i32_i24_e32 v198, v202, v198
	v_bfe_i32 v166, v166, 0, 8
	v_bfe_i32 v202, v2, 0, 8
	v_mul_i32_i24_e32 v197, v200, v197
	v_dual_ashrrev_i32 v200, 24, v2 :: v_dual_bitop2_b32 v151, v152, v151 bitop3:0x54
	v_perm_b32 v1, v2, v1, 0x5040302
	v_dot4_i32_iu8 v7, v7, v129, v128 neg_lo:[1,1,0]
	v_perm_b32 v128, v141, v140, 0xc05000c
	v_perm_b32 v129, v142, v142, 0xc0c0c01
	v_ashrrev_i32_e32 v132, 16, v169
	v_dot4_i32_iu8 v6, v201, v150, v6 neg_lo:[1,1,0]
	v_mul_i32_i24_e32 v150, v166, v188
	v_bfe_i32 v160, v3, 0, 8
	v_or_b32_e32 v128, v128, v129
	v_bfe_i32 v129, v144, 8, 8
	v_bfe_i32 v131, v169, 0, 16
	v_perm_b32 v152, v220, v220, 0xc0c0c01
	v_perm_b32 v2, v2, v2, 0xc030201
	v_lshrrev_b16 v167, 8, v3
	v_bfe_i32 v159, v3, 16, 8
	v_bfe_i32 v161, v222, 0, 8
	;; [unrolled: 1-line block ×7, first 2 shown]
	v_mad_i32_i24 v133, v193, v170, v198
	v_mul_i32_i24_e32 v204, v204, v199
	v_mul_i32_i24_e32 v139, v232, v139
	;; [unrolled: 1-line block ×3, first 2 shown]
	v_add3_u32 v162, v162, v163, v173
	v_mul_i32_i24_e32 v143, v171, v143
	v_mul_lo_u32 v4, v4, v226
	v_mad_i32_i24 v6, v202, v189, v6
	v_dot4_i32_iu8 v0, v1, v151, v0 neg_lo:[1,1,0]
	v_mul_i32_i24_e32 v130, v200, v130
	v_mul_i32_i24_e32 v129, v200, v129
	v_perm_b32 v151, v219, v218, 0xc05000c
	v_mad_i32_i24 v1, v202, v195, v190
	v_add3_u32 v139, v162, v139, v143
	v_add3_u32 v6, v6, v150, v132
	v_add3_u32 v0, v0, v131, v130
	v_mul_i32_i24_e32 v130, v160, v148
	v_or_b32_e32 v151, v151, v152
	v_bfe_i32 v152, v255, 0, 16
	v_bfe_i32 v131, v174, 0, 8
	v_mad_i32_i24 v132, v194, v168, v197
	v_dot4_i32_iu8 v128, v187, v128, v139 neg_lo:[1,1,0]
	v_add3_u32 v6, v6, v129, v130
	v_perm_b32 v129, v137, v136, 0xc0c0500
	v_perm_b32 v130, v135, v134, 0x5000c0c
	v_dot4_i32_iu8 v1, v2, v151, v1 neg_lo:[1,1,0]
	s_set_vgpr_msb 1                        ;  msbs: dst=0 src0=1 src1=0 src2=0
	v_bfe_i32 v2, v1 /*v257*/, 0, 16
	v_bfe_i32 v151, v0 /*v256*/, 0, 8
	s_set_vgpr_msb 0                        ;  msbs: dst=0 src0=0 src1=0 src2=0
	v_mul_i32_i24_e32 v152, v152, v166
	v_mul_i32_i24_e32 v131, v131, v160
	v_mad_i32_i24 v134, v191, v186, v204
	v_or_b32_e32 v129, v130, v129
	v_perm_b32 v130, v147, v147, 0xc0c0c01
	v_mul_i32_i24_e32 v2, v2, v200
	v_mul_i32_i24_e32 v151, v151, v203
	v_add3_u32 v135, v196, v165, v152
	v_add3_u32 v131, v134, v153, v131
	v_dot4_i32_iu8 v129, v3, v129, v0 neg_lo:[1,1,0]
	v_perm_b32 v0, v146, v145, 0xc05000c
	v_perm_b32 v3, v3, v3, 0xc030201
	s_delay_alu instid0(VALU_DEP_2) | instskip(SKIP_1) | instid1(VALU_DEP_2)
	v_or_b32_e32 v0, v0, v130
	v_perm_b32 v130, v156, v156, 0xc0c0c01
	v_dot4_i32_iu8 v6, v3, v0, v6 neg_lo:[1,1,0]
	v_mad_i32_i24 v0, v160, v161, v1
	v_perm_b32 v1, v155, v154, 0xc05000c
	s_delay_alu instid0(VALU_DEP_1) | instskip(NEXT) | instid1(VALU_DEP_1)
	v_or_b32_e32 v1, v1, v130
	v_dot4_i32_iu8 v130, v3, v1, v0 neg_lo:[1,1,0]
	v_bfe_i32 v0, v177, 0, 16
	v_bfe_i32 v1, v176, 0, 8
	;; [unrolled: 1-line block ×3, first 2 shown]
	s_delay_alu instid0(VALU_DEP_3) | instskip(NEXT) | instid1(VALU_DEP_3)
	v_mul_i32_i24_e32 v0, v0, v157
	v_mul_i32_i24_e32 v1, v1, v159
	s_delay_alu instid0(VALU_DEP_3) | instskip(NEXT) | instid1(VALU_DEP_3)
	v_mul_i32_i24_e32 v3, v3, v158
	v_add3_u32 v0, v132, v2, v0
	s_delay_alu instid0(VALU_DEP_3) | instskip(NEXT) | instid1(VALU_DEP_2)
	v_add3_u32 v1, v133, v151, v1
	v_add3_u32 v0, v135, v3, v0
	v_pk_mul_f32 v[2:3], v[88:89], v[92:93] op_sel_hi:[0,1]
	s_delay_alu instid0(VALU_DEP_2)
	v_add3_u32 v131, v131, v1, v0
	ds_load_u16 v0, v172 offset:28402
	s_wait_dscnt 0x2
	v_lshrrev_b16 v166, 8, v138
	s_wait_dscnt 0x1
	v_lshrrev_b16 v167, 8, v149
	v_bfe_i32 v149, v149, 0, 8
	v_bfe_i32 v138, v138, 0, 8
	;; [unrolled: 1-line block ×3, first 2 shown]
	s_delay_alu instid0(VALU_DEP_4) | instskip(NEXT) | instid1(VALU_DEP_4)
	v_bfe_i32 v167, v167, 0, 8
	v_mul_lo_u32 v128, v128, v149
	s_delay_alu instid0(VALU_DEP_4) | instskip(NEXT) | instid1(VALU_DEP_2)
	v_mul_lo_u32 v7, v7, v138
	v_mad_u32 v6, v6, v167, v128
	s_delay_alu instid0(VALU_DEP_2) | instskip(SKIP_3) | instid1(VALU_DEP_2)
	v_mad_u32 v7, v129, v166, v7
	s_wait_dscnt 0x0
	v_lshrrev_b16 v1, 8, v0
	v_bfe_i32 v0, v0, 0, 8
	v_bfe_i32 v132, v1, 0, 8
	s_delay_alu instid0(VALU_DEP_2)
	v_mul_lo_u32 v5, v5, v0
	v_pk_mul_f32 v[0:1], v[88:89], v[90:91] op_sel_hi:[0,1]
	v_mad_u32 v88, v130, v95, v4
	v_add_nc_u32_e32 v89, 32, v89
	v_cvt_f32_i32_e32 v4, v7
	v_mad_u32 v90, v131, v132, v5
	v_cvt_f32_i32_e32 v5, v6
	v_cvt_f32_i32_e32 v6, v88
	s_delay_alu instid0(VALU_DEP_2) | instskip(NEXT) | instid1(VALU_DEP_4)
	v_pk_fma_f32 v[20:21], v[0:1], v[4:5], v[20:21]
	v_cvt_f32_i32_e32 v7, v90
	s_delay_alu instid0(VALU_DEP_1)
	v_pk_fma_f32 v[16:17], v[2:3], v[6:7], v[16:17]
	s_cbranch_scc1 .LBB230_35
; %bb.36:                               ;   in Loop: Header=BB230_5 Depth=1
	s_barrier_signal -1
	s_barrier_wait -1
	s_branch .LBB230_4
.LBB230_37:
	v_mov_b32_e32 v20, 0
	s_delay_alu instid0(VALU_DEP_1)
	v_dual_mov_b32 v21, v20 :: v_dual_mov_b32 v16, v20
	v_mov_b32_e32 v17, v20
.LBB230_38:
	s_mul_i32 s0, s10, s7
	s_wait_loadcnt 0x0
	v_cmp_gt_i32_e32 vcc_lo, s0, v9
	s_and_saveexec_b32 s0, vcc_lo
	s_cbranch_execz .LBB230_47
; %bb.39:
	v_mul_lo_u32 v0, v9, s9
	v_add_nc_u32_e32 v1, s11, v13
	s_mov_b32 s0, exec_lo
	s_delay_alu instid0(VALU_DEP_1)
	v_cmpx_gt_u32_e64 s9, v1
	s_cbranch_execz .LBB230_41
; %bb.40:
	v_bfe_u32 v2, v20, 16, 1
	v_cmp_o_f32_e32 vcc_lo, v20, v20
	v_add_nc_u32_e32 v3, v0, v1
	s_delay_alu instid0(VALU_DEP_3) | instskip(NEXT) | instid1(VALU_DEP_1)
	v_add3_u32 v2, v20, v2, 0x7fff
	v_lshrrev_b32_e32 v2, 16, v2
	s_delay_alu instid0(VALU_DEP_1)
	v_cndmask_b32_e32 v2, 0x7fc0, v2, vcc_lo
	global_store_b16 v3, v2, s[12:13] scale_offset
.LBB230_41:
	s_wait_xcnt 0x0
	s_or_b32 exec_lo, exec_lo, s0
	v_add_nc_u32_e32 v2, 32, v1
	s_mov_b32 s0, exec_lo
	s_delay_alu instid0(VALU_DEP_1)
	v_cmpx_gt_u32_e64 s9, v2
	s_cbranch_execz .LBB230_43
; %bb.42:
	v_bfe_u32 v3, v21, 16, 1
	v_cmp_o_f32_e32 vcc_lo, v21, v21
	v_add_nc_u32_e32 v2, v0, v2
	s_delay_alu instid0(VALU_DEP_3) | instskip(NEXT) | instid1(VALU_DEP_1)
	v_add3_u32 v3, v21, v3, 0x7fff
	v_lshrrev_b32_e32 v3, 16, v3
	s_delay_alu instid0(VALU_DEP_1)
	v_cndmask_b32_e32 v3, 0x7fc0, v3, vcc_lo
	global_store_b16 v2, v3, s[12:13] scale_offset
.LBB230_43:
	s_wait_xcnt 0x0
	s_or_b32 exec_lo, exec_lo, s0
	v_add_nc_u32_e32 v2, 64, v1
	s_mov_b32 s0, exec_lo
	s_delay_alu instid0(VALU_DEP_1)
	v_cmpx_gt_u32_e64 s9, v2
	s_cbranch_execz .LBB230_45
; %bb.44:
	v_bfe_u32 v3, v16, 16, 1
	v_cmp_o_f32_e32 vcc_lo, v16, v16
	v_add_nc_u32_e32 v2, v0, v2
	s_delay_alu instid0(VALU_DEP_3) | instskip(NEXT) | instid1(VALU_DEP_1)
	v_add3_u32 v3, v16, v3, 0x7fff
	v_lshrrev_b32_e32 v3, 16, v3
	s_delay_alu instid0(VALU_DEP_1)
	v_cndmask_b32_e32 v3, 0x7fc0, v3, vcc_lo
	global_store_b16 v2, v3, s[12:13] scale_offset
.LBB230_45:
	s_wait_xcnt 0x0
	s_or_b32 exec_lo, exec_lo, s0
	v_add_nc_u32_e32 v1, 0x60, v1
	s_delay_alu instid0(VALU_DEP_1)
	v_cmp_gt_u32_e32 vcc_lo, s9, v1
	s_and_b32 exec_lo, exec_lo, vcc_lo
	s_cbranch_execz .LBB230_47
; %bb.46:
	v_bfe_u32 v2, v17, 16, 1
	v_cmp_o_f32_e32 vcc_lo, v17, v17
	v_add_nc_u32_e32 v0, v0, v1
	s_delay_alu instid0(VALU_DEP_3) | instskip(NEXT) | instid1(VALU_DEP_1)
	v_add3_u32 v2, v17, v2, 0x7fff
	v_lshrrev_b32_e32 v2, 16, v2
	s_delay_alu instid0(VALU_DEP_1)
	v_cndmask_b32_e32 v2, 0x7fc0, v2, vcc_lo
	global_store_b16 v0, v2, s[12:13] scale_offset
.LBB230_47:
	s_sendmsg sendmsg(MSG_DEALLOC_VGPRS)
	s_endpgm
	.section	.rodata,"a",@progbits
	.p2align	6, 0x0
	.amdhsa_kernel _ZL8moe_q3_KIN3c108BFloat16ELb1EEvPKvS3_PT_PKiS7_S7_iiiiiii
		.amdhsa_group_segment_fixed_size 31776
		.amdhsa_private_segment_fixed_size 0
		.amdhsa_kernarg_size 76
		.amdhsa_user_sgpr_count 2
		.amdhsa_user_sgpr_dispatch_ptr 0
		.amdhsa_user_sgpr_queue_ptr 0
		.amdhsa_user_sgpr_kernarg_segment_ptr 1
		.amdhsa_user_sgpr_dispatch_id 0
		.amdhsa_user_sgpr_kernarg_preload_length 0
		.amdhsa_user_sgpr_kernarg_preload_offset 0
		.amdhsa_user_sgpr_private_segment_size 0
		.amdhsa_wavefront_size32 1
		.amdhsa_uses_dynamic_stack 0
		.amdhsa_enable_private_segment 0
		.amdhsa_system_sgpr_workgroup_id_x 1
		.amdhsa_system_sgpr_workgroup_id_y 1
		.amdhsa_system_sgpr_workgroup_id_z 0
		.amdhsa_system_sgpr_workgroup_info 0
		.amdhsa_system_vgpr_workitem_id 1
		.amdhsa_next_free_vgpr 326
		.amdhsa_next_free_sgpr 27
		.amdhsa_named_barrier_count 0
		.amdhsa_reserve_vcc 1
		.amdhsa_float_round_mode_32 0
		.amdhsa_float_round_mode_16_64 0
		.amdhsa_float_denorm_mode_32 3
		.amdhsa_float_denorm_mode_16_64 3
		.amdhsa_fp16_overflow 0
		.amdhsa_memory_ordered 1
		.amdhsa_forward_progress 1
		.amdhsa_inst_pref_size 255
		.amdhsa_round_robin_scheduling 0
		.amdhsa_exception_fp_ieee_invalid_op 0
		.amdhsa_exception_fp_denorm_src 0
		.amdhsa_exception_fp_ieee_div_zero 0
		.amdhsa_exception_fp_ieee_overflow 0
		.amdhsa_exception_fp_ieee_underflow 0
		.amdhsa_exception_fp_ieee_inexact 0
		.amdhsa_exception_int_div_zero 0
	.end_amdhsa_kernel
	.section	.text._ZL8moe_q3_KIN3c108BFloat16ELb1EEvPKvS3_PT_PKiS7_S7_iiiiiii,"axG",@progbits,_ZL8moe_q3_KIN3c108BFloat16ELb1EEvPKvS3_PT_PKiS7_S7_iiiiiii,comdat
.Lfunc_end230:
	.size	_ZL8moe_q3_KIN3c108BFloat16ELb1EEvPKvS3_PT_PKiS7_S7_iiiiiii, .Lfunc_end230-_ZL8moe_q3_KIN3c108BFloat16ELb1EEvPKvS3_PT_PKiS7_S7_iiiiiii
                                        ; -- End function
	.set _ZL8moe_q3_KIN3c108BFloat16ELb1EEvPKvS3_PT_PKiS7_S7_iiiiiii.num_vgpr, 326
	.set _ZL8moe_q3_KIN3c108BFloat16ELb1EEvPKvS3_PT_PKiS7_S7_iiiiiii.num_agpr, 0
	.set _ZL8moe_q3_KIN3c108BFloat16ELb1EEvPKvS3_PT_PKiS7_S7_iiiiiii.numbered_sgpr, 27
	.set _ZL8moe_q3_KIN3c108BFloat16ELb1EEvPKvS3_PT_PKiS7_S7_iiiiiii.num_named_barrier, 0
	.set _ZL8moe_q3_KIN3c108BFloat16ELb1EEvPKvS3_PT_PKiS7_S7_iiiiiii.private_seg_size, 0
	.set _ZL8moe_q3_KIN3c108BFloat16ELb1EEvPKvS3_PT_PKiS7_S7_iiiiiii.uses_vcc, 1
	.set _ZL8moe_q3_KIN3c108BFloat16ELb1EEvPKvS3_PT_PKiS7_S7_iiiiiii.uses_flat_scratch, 0
	.set _ZL8moe_q3_KIN3c108BFloat16ELb1EEvPKvS3_PT_PKiS7_S7_iiiiiii.has_dyn_sized_stack, 0
	.set _ZL8moe_q3_KIN3c108BFloat16ELb1EEvPKvS3_PT_PKiS7_S7_iiiiiii.has_recursion, 0
	.set _ZL8moe_q3_KIN3c108BFloat16ELb1EEvPKvS3_PT_PKiS7_S7_iiiiiii.has_indirect_call, 0
	.section	.AMDGPU.csdata,"",@progbits
; Kernel info:
; codeLenInByte = 37860
; TotalNumSgprs: 29
; NumVgprs: 326
; ScratchSize: 0
; MemoryBound: 0
; FloatMode: 240
; IeeeMode: 1
; LDSByteSize: 31776 bytes/workgroup (compile time only)
; SGPRBlocks: 0
; VGPRBlocks: 20
; NumSGPRsForWavesPerEU: 29
; NumVGPRsForWavesPerEU: 326
; NamedBarCnt: 0
; Occupancy: 3
; WaveLimiterHint : 1
; COMPUTE_PGM_RSRC2:SCRATCH_EN: 0
; COMPUTE_PGM_RSRC2:USER_SGPR: 2
; COMPUTE_PGM_RSRC2:TRAP_HANDLER: 0
; COMPUTE_PGM_RSRC2:TGID_X_EN: 1
; COMPUTE_PGM_RSRC2:TGID_Y_EN: 1
; COMPUTE_PGM_RSRC2:TGID_Z_EN: 0
; COMPUTE_PGM_RSRC2:TIDIG_COMP_CNT: 1
	.section	.text._ZL8moe_q4_KIN3c108BFloat16ELb0EEvPKvS3_PT_PKiS7_S7_iiiiiii,"axG",@progbits,_ZL8moe_q4_KIN3c108BFloat16ELb0EEvPKvS3_PT_PKiS7_S7_iiiiiii,comdat
	.globl	_ZL8moe_q4_KIN3c108BFloat16ELb0EEvPKvS3_PT_PKiS7_S7_iiiiiii ; -- Begin function _ZL8moe_q4_KIN3c108BFloat16ELb0EEvPKvS3_PT_PKiS7_S7_iiiiiii
	.p2align	8
	.type	_ZL8moe_q4_KIN3c108BFloat16ELb0EEvPKvS3_PT_PKiS7_S7_iiiiiii,@function
_ZL8moe_q4_KIN3c108BFloat16ELb0EEvPKvS3_PT_PKiS7_S7_iiiiiii: ; @_ZL8moe_q4_KIN3c108BFloat16ELb0EEvPKvS3_PT_PKiS7_S7_iiiiiii
; %bb.0:
	s_load_b128 s[4:7], s[0:1], 0x18
	s_bfe_u32 s2, ttmp6, 0x40010
	s_bfe_u32 s8, ttmp6, 0x40004
	s_add_co_i32 s2, s2, 1
	s_delay_alu instid0(SALU_CYCLE_1)
	s_mul_i32 s3, ttmp7, s2
	s_getreg_b32 s2, hwreg(HW_REG_IB_STS2, 6, 4)
	s_add_co_i32 s8, s8, s3
	s_cmp_eq_u32 s2, 0
	s_cselect_b32 s3, ttmp7, s8
	s_wait_kmcnt 0x0
	s_load_b32 s12, s[6:7], s3 offset:0x0 scale_offset
	s_wait_kmcnt 0x0
	s_cmp_gt_u32 s12, 0xff
	s_cbranch_scc1 .LBB231_31
; %bb.1:
	s_load_b64 s[6:7], s[0:1], 0x28
	s_lshl_b32 s3, s3, 3
	s_wait_kmcnt 0x0
	s_load_b32 s6, s[6:7], 0x0
	s_wait_kmcnt 0x0
	s_cmp_gt_u32 s3, s6
	s_cbranch_scc1 .LBB231_31
; %bb.2:
	v_bfe_u32 v1, v0, 10, 10
	s_and_b32 s13, ttmp6, 15
	v_and_b32_e32 v17, 0x3ff, v0
	s_delay_alu instid0(VALU_DEP_2) | instskip(SKIP_1) | instid1(SALU_CYCLE_1)
	v_add_nc_u32_e32 v2, s3, v1
	s_bfe_u32 s3, ttmp6, 0x4000c
	s_add_co_i32 s3, s3, 1
	s_delay_alu instid0(SALU_CYCLE_1)
	s_mul_i32 s3, ttmp9, s3
	global_load_b32 v13, v2, s[4:5] scale_offset
	s_clause 0x2
	s_load_b64 s[10:11], s[0:1], 0x30
	s_load_b64 s[8:9], s[0:1], 0x10
	s_load_b128 s[4:7], s[0:1], 0x3c
	s_add_co_i32 s13, s13, s3
	s_cmp_eq_u32 s2, 0
	s_cselect_b32 s2, ttmp9, s13
	s_mov_b32 s13, 0
	s_lshl_b32 s18, s2, 7
	s_wait_kmcnt 0x0
	s_cmp_lt_i32 s11, 0x100
	s_cbranch_scc1 .LBB231_21
; %bb.3:
	s_load_b128 s[0:3], s[0:1], 0x0
	s_mul_i32 s16, s12, s10
	v_lshlrev_b32_e32 v33, 5, v1
	s_ashr_i32 s17, s16, 31
	v_dual_mov_b32 v15, 0 :: v_dual_lshlrev_b32 v3, 2, v17
	v_bfe_u32 v7, v0, 2, 8
	s_delay_alu instid0(VALU_DEP_3)
	v_add_nc_u32_e32 v2, v33, v17
	s_ashr_i32 s14, s11, 31
	s_ashr_i32 s15, s5, 31
	s_lshr_b32 s10, s14, 24
	s_lshr_b32 s12, s15, 27
	v_lshrrev_b32_e32 v4, 3, v2
	v_and_b32_e32 v8, 0x7f, v2
	s_add_co_i32 s10, s11, s10
	v_lshl_add_u32 v89, v1, 7, 0x4a40
	s_add_co_i32 s12, s5, s12
	v_and_b32_e32 v2, 12, v4
	v_lshlrev_b32_e32 v4, 2, v8
	s_ashr_i32 s5, s10, 8
	s_wait_kmcnt 0x0
	s_add_nc_u64 s[16:17], s[0:1], s[16:17]
	s_abs_i32 s1, s7
	s_ashr_i32 s10, s12, 5
	s_cvt_f32_u32 s0, s1
	v_add3_u32 v59, v4, v2, 0x4e40
	v_lshlrev_b32_e32 v4, 3, v1
	s_sub_co_i32 s22, 0, s1
	v_rcp_iflag_f32_e32 v5, s0
	s_lshl_b32 s12, s5, 3
	v_bfe_u32 v12, v0, 5, 5
	v_add_nc_u32_e32 v10, v7, v4
	v_add_nc_u16 v4, v7, v4
	s_wait_loadcnt 0x0
	v_dual_sub_nc_u32 v6, 0, v13 :: v_dual_bitop2_b32 v7, 4, v3 bitop3:0x40
	v_readfirstlane_b32 s0, v5
	v_and_b32_e32 v5, 3, v0
	v_bitop3_b32 v58, v10, 64, 0x7f bitop3:0x6c
	v_and_b32_e32 v10, 0x7f, v10
	v_lshrrev_b16 v4, 1, v4
	s_mul_f32 s0, s0, 0x4f7ffffe
	v_add_nc_u32_e32 v2, 0xfe, v5
	v_cmp_gt_u32_e32 vcc_lo, 2, v5
	v_dual_lshlrev_b32 v20, 2, v5 :: v_dual_lshrrev_b32 v21, 1, v58
	s_cvt_u32_f32 s0, s0
	s_delay_alu instid0(VALU_DEP_3)
	v_and_b32_e32 v2, 0xff, v2
	v_max_i32_e32 v6, v13, v6
	v_mad_i32_i24 v18, s5, v1, s12
	s_mul_i32 s22, s22, s0
	v_mad_u32_u24 v19, 0x84, v1, v3
	s_mul_hi_u32 s22, s0, s22
	v_cndmask_b32_e32 v9, v2, v5, vcc_lo
	s_add_co_i32 s0, s0, s22
	v_cmp_ne_u32_e32 vcc_lo, 0, v5
	v_mul_hi_u32 v11, v6, s0
	s_delay_alu instid0(VALU_DEP_3)
	v_dual_lshlrev_b32 v63, 1, v9 :: v_dual_bitop2_b32 v23, 60, v4 bitop3:0x40
	v_mul_i32_i24_e32 v16, s5, v1
	v_add_co_ci_u32_e64 v2, null, 0, v9, vcc_lo
	v_cmp_lt_u32_e32 vcc_lo, 1, v5
	v_lshl_or_b32 v5, v10, 4, v20
	v_lshl_or_b32 v20, v58, 4, v20
	v_lshlrev_b32_e32 v1, 4, v1
	v_bfe_u32 v91, v0, 3, 7
	v_mul_lo_u32 v22, v11, s1
	v_and_b32_e32 v21, 60, v21
	v_add3_u32 v65, v5, v23, 0x4200
	v_cndmask_b32_e32 v61, 0, v7, vcc_lo
	v_cndmask_b32_e64 v4, 0, 1, vcc_lo
	v_add_nc_u32_e32 v7, 1, v11
	v_add_nc_u32_e32 v9, 0x5050, v3
	s_mul_i32 s14, s5, s18
	s_movk_i32 s19, 0x1080
	s_movk_i32 s20, 0x2100
	;; [unrolled: 1-line block ×3, first 2 shown]
	v_sub_nc_u32_e32 v5, v6, v22
	v_add3_u32 v88, v20, v21, 0x4200
	v_and_b32_e32 v20, 31, v0
	v_dual_lshlrev_b32 v0, 2, v12 :: v_dual_bitop2_b32 v6, 28, v3 bitop3:0x40
	s_delay_alu instid0(VALU_DEP_4) | instskip(SKIP_1) | instid1(VALU_DEP_4)
	v_subrev_nc_u32_e32 v21, s1, v5
	v_cmp_le_u32_e32 vcc_lo, s1, v5
	v_lshl_add_u32 v90, v20, 2, v89
	v_xor_b32_e32 v22, s7, v13
	v_add3_u32 v93, v0, v3, 0x4e40
	v_cmp_gt_u32_e64 s0, 4, v17
	v_dual_cndmask_b32 v11, v11, v7, vcc_lo :: v_dual_cndmask_b32 v5, v5, v21, vcc_lo
	v_mov_b32_e32 v7, v15
	s_ashr_i32 s15, s14, 31
	v_and_b32_e32 v14, 0x7c, v3
	s_delay_alu instid0(VALU_DEP_3)
	v_add_nc_u32_e32 v21, 1, v11
	v_cmp_le_u32_e32 vcc_lo, s1, v5
	v_ashrrev_i32_e32 v20, 31, v22
	v_add_nc_u32_e32 v24, s12, v18
	v_add_nc_u32_e32 v22, 0x60, v17
	v_add_nc_u64_e32 v[36:37], s[2:3], v[6:7]
	v_cndmask_b32_e32 v5, v11, v21, vcc_lo
	v_dual_add_nc_u32 v11, 32, v17 :: v_dual_add_nc_u32 v21, 64, v17
	s_delay_alu instid0(VALU_DEP_4) | instskip(NEXT) | instid1(VALU_DEP_2)
	v_dual_add_nc_u32 v26, s12, v24 :: v_dual_lshrrev_b32 v23, 3, v22
	v_dual_lshrrev_b32 v92, 3, v11 :: v_dual_bitop2_b32 v5, v5, v20 bitop3:0x14
	s_delay_alu instid0(VALU_DEP_2) | instskip(SKIP_1) | instid1(VALU_DEP_3)
	v_dual_lshlrev_b32 v11, 2, v11 :: v_dual_add_nc_u32 v28, s12, v26
	v_add_nc_u32_e32 v25, 0x420, v19
	v_dual_sub_nc_u32 v0, v5, v20 :: v_dual_lshrrev_b32 v5, 3, v21
	s_delay_alu instid0(VALU_DEP_4) | instskip(NEXT) | instid1(VALU_DEP_4)
	v_and_b32_e32 v20, 60, v92
	v_dual_add_nc_u32 v32, s12, v28 :: v_dual_lshlrev_b32 v50, 2, v21
	s_delay_alu instid0(VALU_DEP_3) | instskip(NEXT) | instid1(VALU_DEP_4)
	v_mul_lo_u32 v30, v0, s10
	v_and_b32_e32 v31, 60, v5
	s_delay_alu instid0(VALU_DEP_4)
	v_add3_u32 v94, v3, v20, 0x4e40
	v_and_b32_e32 v20, 60, v23
	v_cmp_gt_i32_e64 s1, s4, v0
	v_dual_lshlrev_b32 v102, 2, v11 :: v_dual_lshlrev_b32 v103, 2, v50
	v_add3_u32 v95, v3, v31, 0x4e40
	v_dual_mov_b32 v23, v15 :: v_dual_lshlrev_b32 v98, 2, v23
	v_dual_add_nc_u32 v34, s12, v32 :: v_dual_lshlrev_b32 v0, 2, v22
	v_dual_ashrrev_i32 v31, 31, v30 :: v_dual_lshlrev_b32 v99, 2, v5
	v_add_nc_u32_e32 v27, 0x840, v19
	s_delay_alu instid0(VALU_DEP_3)
	v_add_nc_u32_e32 v38, s12, v34
	v_add_nc_u32_e32 v29, 0xc60, v19
	;; [unrolled: 1-line block ×7, first 2 shown]
	v_mov_b32_e32 v21, v15
	v_add_nc_u32_e32 v43, 0x1ce0, v19
	v_add_nc_u32_e32 v49, 0x2100, v19
	;; [unrolled: 1-line block ×3, first 2 shown]
	v_lshlrev_b32_e32 v46, 2, v4
	v_add_nc_u32_e32 v51, 0x2520, v19
	v_add_nc_u32_e32 v53, 0x2940, v19
	;; [unrolled: 1-line block ×5, first 2 shown]
	v_lshlrev_b32_e32 v113, 4, v17
	v_add3_u32 v96, v3, v20, 0x4e40
	v_add_nc_u32_e32 v97, 0x5050, v1
	v_add_nc_u32_e32 v50, s12, v48
	v_dual_lshlrev_b32 v104, 2, v0 :: v_dual_mov_b32 v22, v15
	v_dual_mov_b32 v20, v15 :: v_dual_lshlrev_b32 v44, 2, v2
	s_delay_alu instid0(VALU_DEP_3) | instskip(SKIP_3) | instid1(VALU_DEP_4)
	v_dual_mov_b32 v45, v15 :: v_dual_add_nc_u32 v52, s12, v50
	v_dual_mov_b32 v47, v15 :: v_dual_lshlrev_b32 v116, 2, v91
	v_lshlrev_b32_e32 v101, 2, v3
	v_add_nc_u32_e32 v105, 0x35a0, v19
	v_add_nc_u32_e32 v60, s12, v52
	;; [unrolled: 1-line block ×4, first 2 shown]
	v_mul_i32_i24_e32 v54, s5, v8
	v_mul_i32_i24_e32 v56, s5, v10
	v_add_nc_u32_e32 v62, s12, v60
	v_mul_i32_i24_e32 v58, s5, v58
	v_mul_u32_u24_e32 v108, 0x84, v17
	v_mad_u32_u24 v109, 0x84, v17, s19
	v_mad_u32_u24 v110, 0x84, v17, s20
	v_mad_u32_u24 v111, 0x84, v17, s21
	v_mad_u32_u24 v112, 0x84, v17, 64
	v_dual_lshlrev_b32 v114, 2, v92 :: v_dual_add_nc_u32 v64, s12, v62
	v_lshl_or_b32 v115, v91, 2, 0x4200
	s_mul_u64 s[14:15], s[14:15], 0x90
	s_and_b32 s19, s0, s1
	s_add_nc_u64 s[14:15], s[16:17], s[14:15]
	s_mov_b32 s12, s13
	s_branch .LBB231_5
.LBB231_4:                              ;   in Loop: Header=BB231_5 Depth=1
	s_add_co_i32 s12, s12, 1
	s_delay_alu instid0(SALU_CYCLE_1)
	s_cmp_eq_u32 s12, s5
	s_cbranch_scc1 .LBB231_22
.LBB231_5:                              ; =>This Loop Header: Depth=1
                                        ;     Child Loop BB231_11 Depth 2
                                        ;     Child Loop BB231_19 Depth 2
	s_mul_u64 s[16:17], s[12:13], 0x90
	s_delay_alu instid0(SALU_CYCLE_1) | instskip(NEXT) | instid1(SALU_CYCLE_1)
	s_add_nc_u64 s[16:17], s[14:15], s[16:17]
	v_mad_nc_u64_u32 v[0:1], 0x90, v12, s[16:17]
	v_mad_nc_u64_u32 v[2:3], 0x90, v56, s[16:17]
	v_mad_nc_u64_u32 v[4:5], 0x90, v58, s[16:17]
	s_delay_alu instid0(VALU_DEP_3)
	v_mad_nc_u64_u32 v[6:7], 0x90, v16, v[0:1]
	v_mad_nc_u64_u32 v[8:9], 0x90, v18, v[0:1]
	;; [unrolled: 1-line block ×4, first 2 shown]
	s_wait_xcnt 0x0
	v_mad_nc_u64_u32 v[68:69], 0x90, v28, v[0:1]
	v_add_nc_u64_e32 v[82:83], v[2:3], v[44:45]
	v_mad_nc_u64_u32 v[70:71], 0x90, v32, v[0:1]
	v_add_nc_u64_e32 v[84:85], v[4:5], v[44:45]
	v_mad_nc_u64_u32 v[72:73], 0x90, v34, v[0:1]
	v_mad_nc_u64_u32 v[76:77], 0x90, v40, v[0:1]
	v_add_nc_u64_e32 v[4:5], v[4:5], v[46:47]
	v_mad_nc_u64_u32 v[74:75], 0x90, v38, v[0:1]
	;; [unrolled: 3-line block ×3, first 2 shown]
	v_mad_nc_u64_u32 v[86:87], 0x90, v50, v[0:1]
	v_mad_nc_u64_u32 v[118:119], 0x90, v52, v[0:1]
	v_add_nc_u64_e32 v[6:7], v[6:7], v[14:15]
	s_clause 0x3
	global_load_b32 v117, v[82:83], off offset:4
	global_load_b32 v120, v[84:85], off offset:4
	;; [unrolled: 1-line block ×4, first 2 shown]
	s_wait_xcnt 0x0
	v_mad_nc_u64_u32 v[2:3], 0x90, v60, v[0:1]
	v_add_nc_u64_e32 v[8:9], v[8:9], v[14:15]
	v_mad_nc_u64_u32 v[4:5], 0x90, v62, v[0:1]
	v_add_nc_u64_e32 v[10:11], v[10:11], v[14:15]
	;; [unrolled: 2-line block ×3, first 2 shown]
	v_add_nc_u64_e32 v[68:69], v[68:69], v[14:15]
	v_add_nc_u64_e32 v[70:71], v[70:71], v[14:15]
	;; [unrolled: 1-line block ×5, first 2 shown]
	s_clause 0x7
	global_load_b32 v82, v[6:7], off offset:16
	global_load_b32 v83, v[8:9], off offset:16
	;; [unrolled: 1-line block ×8, first 2 shown]
	s_wait_xcnt 0x7
	v_add_nc_u64_e32 v[6:7], v[78:79], v[14:15]
	s_wait_xcnt 0x6
	v_add_nc_u64_e32 v[8:9], v[80:81], v[14:15]
	;; [unrolled: 2-line block ×4, first 2 shown]
	s_wait_xcnt 0x3
	v_mad_nc_u64_u32 v[68:69], 0x90, v54, s[16:17]
	v_add_nc_u64_e32 v[2:3], v[2:3], v[14:15]
	v_add_nc_u64_e32 v[4:5], v[4:5], v[14:15]
	;; [unrolled: 1-line block ×3, first 2 shown]
	s_clause 0x8
	global_load_b32 v70, v[76:77], off offset:16
	global_load_b32 v71, v[6:7], off offset:16
	;; [unrolled: 1-line block ×8, first 2 shown]
	global_load_b32 v80, v[68:69], off
	s_lshl_b32 s16, s12, 8
	s_delay_alu instid0(SALU_CYCLE_1)
	s_cmp_lt_i32 s16, s11
	s_wait_loadcnt 0x13
	s_wait_xcnt 0x1
	v_dual_ashrrev_i32 v0, v61, v117 :: v_dual_ashrrev_i32 v1, v61, v120
	s_wait_loadcnt 0x11
	v_dual_ashrrev_i32 v3, v63, v121 :: v_dual_ashrrev_i32 v2, v63, v122
	s_delay_alu instid0(VALU_DEP_2) | instskip(NEXT) | instid1(VALU_DEP_3)
	v_and_b32_e32 v0, 0xf0f0f0f, v0
	v_and_b32_e32 v1, 0xf0f0f0f, v1
	s_delay_alu instid0(VALU_DEP_2) | instskip(NEXT) | instid1(VALU_DEP_2)
	v_and_or_b32 v0, 0x30303030, v2, v0
	v_and_or_b32 v1, 0x30303030, v3, v1
	s_wait_loadcnt 0x10
	ds_store_b32 v19, v82
	s_wait_loadcnt 0xf
	ds_store_b32 v25, v83
	;; [unrolled: 2-line block ×17, first 2 shown]
	ds_store_b32 v65, v0
	ds_store_b32 v88, v1
	s_cbranch_scc0 .LBB231_4
; %bb.6:                                ;   in Loop: Header=BB231_5 Depth=1
	s_lshl_b32 s17, s12, 3
	s_delay_alu instid0(SALU_CYCLE_1) | instskip(NEXT) | instid1(VALU_DEP_1)
	v_add_nc_u32_e32 v0, s17, v91
	v_cmp_gt_i32_e32 vcc_lo, s10, v0
	s_and_b32 s21, s1, vcc_lo
	s_wait_xcnt 0x0
	s_and_saveexec_b32 s20, s21
	s_cbranch_execz .LBB231_8
; %bb.7:                                ;   in Loop: Header=BB231_5 Depth=1
	v_add_nc_u32_e32 v0, v30, v0
	s_delay_alu instid0(VALU_DEP_1)
	v_mad_nc_i64_i32 v[0:1], v0, 36, v[36:37]
	global_load_b32 v0, v[0:1], off offset:4
	s_wait_loadcnt 0x0
	ds_store_b32 v90, v0
.LBB231_8:                              ;   in Loop: Header=BB231_5 Depth=1
	s_or_b32 exec_lo, exec_lo, s20
	v_add_nc_u32_e32 v0, s17, v17
	s_delay_alu instid0(VALU_DEP_1) | instskip(SKIP_1) | instid1(SALU_CYCLE_1)
	v_cmp_gt_i32_e32 vcc_lo, s10, v0
	s_and_b32 s21, s19, vcc_lo
	s_and_saveexec_b32 s20, s21
	s_cbranch_execz .LBB231_10
; %bb.9:                                ;   in Loop: Header=BB231_5 Depth=1
	v_add_nc_u32_e32 v1, v30, v0
	s_delay_alu instid0(VALU_DEP_1)
	v_mad_nc_i64_i32 v[2:3], v1, 36, s[2:3]
	global_load_b32 v1, v[2:3], off
	s_wait_loadcnt 0x0
	ds_store_b32 v100, v1
.LBB231_10:                             ;   in Loop: Header=BB231_5 Depth=1
	s_or_b32 exec_lo, exec_lo, s20
	s_wait_dscnt 0x0
	s_barrier_signal -1
	s_barrier_wait -1
	ds_load_b32 v1, v94 offset:128
	ds_load_b32 v2, v93
	ds_load_b32 v4, v95 offset:256
	ds_load_b32 v6, v96 offset:384
	s_mov_b32 s21, 0
	s_mov_b32 s20, -1
	s_wait_dscnt 0x2
	v_dual_lshrrev_b32 v5, 16, v1 :: v_dual_lshrrev_b32 v7, 16, v2
	s_wait_dscnt 0x0
	v_dual_lshrrev_b32 v8, 16, v4 :: v_dual_lshrrev_b32 v9, 16, v6
	v_cvt_f32_f16_e32 v3, v1
	v_cvt_f32_f16_e32 v2, v2
	;; [unrolled: 1-line block ×8, first 2 shown]
.LBB231_11:                             ;   Parent Loop BB231_5 Depth=1
                                        ; =>  This Inner Loop Header: Depth=2
	s_lshr_b32 s23, s21, 2
	v_lshl_or_b32 v8, s21, 1, v33
	s_lshl_b32 s22, s21, 2
	s_add_co_i32 s21, s23, 0x4200
	v_dual_add_nc_u32 v80, s22, v108 :: v_dual_add_nc_u32 v141, s22, v109
	v_add3_u32 v81, s21, v114, v102
	v_dual_lshlrev_b32 v9, 2, v8 :: v_dual_lshrrev_b32 v8, 1, v8
	v_add3_u32 v10, s21, v116, v101
	ds_load_2addr_b32 v[72:73], v141 offset0:2 offset1:3
	ds_load_2addr_b32 v[70:71], v141 offset0:4 offset1:5
	ds_load_u16 v11, v81 offset:8
	ds_load_b128 v[66:69], v9 offset:19008
	ds_load_b128 v[74:77], v9 offset:19024
	;; [unrolled: 1-line block ×4, first 2 shown]
	ds_load_b64 v[8:9], v8 offset:20560
	ds_load_u16 v83, v10
	ds_load_u16 v10, v10 offset:8
	v_add3_u32 v186, s21, v98, v104
	v_add3_u32 v189, s21, v99, v103
	s_mov_b32 s21, 8
	s_and_b32 vcc_lo, exec_lo, s20
	s_mov_b32 s20, 0
	v_dual_add_nc_u32 v185, s22, v111 :: v_dual_add_nc_u32 v188, s22, v110
	s_wait_dscnt 0x7
	v_cvt_f32_ubyte0_e32 v79, v11
	v_cvt_f32_ubyte1_e32 v173, v11
	s_wait_dscnt 0x5
	v_lshrrev_b16 v162, 8, v74
	v_lshrrev_b16 v154, 8, v75
	v_dual_ashrrev_i32 v129, 24, v74 :: v_dual_ashrrev_i32 v117, 24, v75
	v_bfe_i32 v130, v74, 16, 8
	v_bfe_i32 v133, v74, 0, 8
	;; [unrolled: 1-line block ×4, first 2 shown]
	ds_load_2addr_b32 v[74:75], v80 offset1:1
	s_wait_dscnt 0x3
	v_lshrrev_b32_e32 v11, 16, v8
	v_lshrrev_b16 v167, 8, v67
	v_lshrrev_b16 v168, 8, v68
	v_dual_ashrrev_i32 v175, 24, v66 :: v_dual_ashrrev_i32 v159, 24, v67
	v_bfe_i32 v160, v67, 16, 8
	v_bfe_i32 v164, v67, 0, 8
	v_dual_ashrrev_i32 v142, 24, v68 :: v_dual_ashrrev_i32 v135, 24, v69
	v_bfe_i32 v143, v68, 16, 8
	v_bfe_i32 v149, v68, 0, 8
	v_lshrrev_b32_e32 v68, 16, v9
	v_cvt_f32_f16_e32 v67, v11
	v_lshrrev_b16 v177, 8, v120
	v_dual_ashrrev_i32 v169, 24, v120 :: v_dual_ashrrev_i32 v153, 24, v121
	v_bfe_i32 v171, v120, 16, 8
	v_bfe_i32 v174, v120, 0, 8
	v_ashrrev_i32_e32 v120, 24, v180
	s_wait_dscnt 0x1
	v_cvt_f32_ubyte0_e32 v78, v10
	v_cvt_f32_ubyte1_e32 v172, v10
	v_cvt_f32_f16_e32 v11, v68
	v_mov_b32_e32 v10, v67
	v_lshrrev_b16 v147, 8, v66
	v_lshrrev_b16 v161, 8, v69
	v_bfe_i32 v184, v66, 0, 8
	v_bfe_i32 v137, v69, 16, 8
	;; [unrolled: 1-line block ×3, first 2 shown]
	v_lshrrev_b16 v155, 8, v76
	v_dual_ashrrev_i32 v86, 24, v76 :: v_dual_ashrrev_i32 v84, 24, v77
	v_bfe_i32 v87, v76, 16, 8
	v_bfe_i32 v118, v76, 0, 8
	v_pk_fma_f32 v[68:69], v[10:11], v[78:79], 0 op_sel_hi:[0,1,0]
	s_wait_dscnt 0x0
	v_dual_mov_b32 v10, v11 :: v_dual_bitop2_b32 v76, 15, v74 bitop3:0x40
	v_bfe_i32 v176, v66, 16, 8
	v_lshrrev_b16 v148, 8, v77
	v_bfe_i32 v85, v77, 16, 8
	v_bfe_i32 v66, v77, 0, 8
	v_lshrrev_b16 v166, 8, v121
	v_bfe_i32 v158, v121, 16, 8
	v_bfe_i32 v165, v121, 0, 8
	v_ashrrev_i32_e32 v121, 24, v181
	v_pk_fma_f32 v[68:69], v[10:11], v[172:173], v[68:69] op_sel_hi:[0,1,1]
	v_bfe_i32 v173, v147, 0, 8
	v_mul_i32_i24_e32 v76, v184, v76
	v_bfe_u32 v77, v74, 8, 4
	v_bfe_u32 v78, v74, 24, 4
	v_lshrrev_b16 v163, 8, v122
	v_lshrrev_b16 v156, 8, v123
	v_dual_ashrrev_i32 v144, 24, v122 :: v_dual_ashrrev_i32 v136, 24, v123
	v_mad_i32_i24 v76, v173, v77, v76
	v_bfe_u32 v77, v74, 16, 4
	v_mul_i32_i24_e32 v78, v175, v78
	v_bfe_i32 v145, v122, 16, 8
	v_bfe_i32 v152, v122, 0, 8
	;; [unrolled: 1-line block ×3, first 2 shown]
	v_mul_i32_i24_e32 v77, v176, v77
	v_bfe_i32 v140, v123, 0, 8
	v_lshrrev_b16 v157, 8, v178
	v_lshrrev_b16 v150, 8, v179
	;; [unrolled: 1-line block ×3, first 2 shown]
	v_add3_u32 v170, v76, v77, v78
	ds_load_2addr_b32 v[76:77], v141 offset1:1
	v_lshrrev_b16 v146, 8, v181
	v_dual_ashrrev_i32 v131, 24, v178 :: v_dual_ashrrev_i32 v123, 24, v179
	v_bfe_i32 v132, v178, 16, 8
	v_bfe_i32 v134, v178, 0, 8
	;; [unrolled: 1-line block ×16, first 2 shown]
	s_wait_dscnt 0x0
	v_and_b32_e32 v78, 15, v76
	v_bfe_u32 v79, v76, 8, 4
	v_bfe_u32 v147, v76, 24, 4
	v_bfe_i32 v148, v148, 0, 8
	v_pk_mul_f32 v[68:69], v[68:69], v[4:5]
	v_mul_i32_i24_e32 v78, v184, v78
	s_delay_alu instid0(VALU_DEP_4) | instskip(NEXT) | instid1(VALU_DEP_2)
	v_mul_i32_i24_e32 v147, v175, v147
	v_mad_i32_i24 v78, v173, v79, v78
	v_bfe_u32 v79, v76, 16, 4
	s_delay_alu instid0(VALU_DEP_1) | instskip(NEXT) | instid1(VALU_DEP_1)
	v_mul_i32_i24_e32 v79, v176, v79
	v_add3_u32 v172, v78, v79, v147
	ds_load_2addr_b32 v[178:179], v185 offset0:2 offset1:3
	ds_load_2addr_b32 v[78:79], v185 offset0:4 offset1:5
	ds_load_u16 v147, v186 offset:8
	ds_load_2addr_b32 v[180:181], v185 offset1:1
	s_wait_dscnt 0x0
	v_and_b32_e32 v182, 15, v181
	v_and_b32_e32 v183, 15, v180
	v_bfe_u32 v192, v180, 16, 4
	v_bfe_u32 v193, v180, 24, 4
	v_lshrrev_b32_e32 v194, 28, v180
	v_mul_i32_i24_e32 v182, v182, v164
	s_delay_alu instid0(VALU_DEP_1) | instskip(SKIP_4) | instid1(VALU_DEP_1)
	v_mad_i32_i24 v187, v183, v184, v182
	ds_load_u16 v190, v189 offset:8
	ds_load_2addr_b32 v[182:183], v188 offset1:1
	s_wait_dscnt 0x0
	v_and_b32_e32 v191, 15, v182
	v_mul_i32_i24_e32 v184, v184, v191
	v_bfe_u32 v191, v181, 16, 4
	s_delay_alu instid0(VALU_DEP_1) | instskip(NEXT) | instid1(VALU_DEP_1)
	v_mul_i32_i24_e32 v191, v191, v160
	v_mad_i32_i24 v191, v192, v176, v191
	v_bfe_u32 v192, v182, 16, 4
	s_delay_alu instid0(VALU_DEP_1) | instskip(SKIP_1) | instid1(VALU_DEP_1)
	v_mul_i32_i24_e32 v176, v176, v192
	v_bfe_u32 v192, v181, 24, 4
	v_mul_i32_i24_e32 v192, v192, v159
	s_delay_alu instid0(VALU_DEP_1) | instskip(SKIP_1) | instid1(VALU_DEP_1)
	v_mad_i32_i24 v192, v193, v175, v192
	v_bfe_u32 v193, v182, 24, 4
	v_mul_i32_i24_e32 v175, v175, v193
	v_bfe_u32 v193, v182, 8, 4
	s_delay_alu instid0(VALU_DEP_1) | instskip(SKIP_2) | instid1(VALU_DEP_3)
	v_mad_i32_i24 v184, v173, v193, v184
	v_bfe_i32 v193, v177, 0, 8
	v_bfe_u32 v177, v180, 20, 4
	v_add3_u32 v184, v184, v176, v175
	v_bfe_u32 v175, v178, 16, 4
	v_bfe_u32 v176, v179, 16, 4
	s_delay_alu instid0(VALU_DEP_2) | instskip(NEXT) | instid1(VALU_DEP_2)
	v_mul_i32_i24_e32 v175, v175, v143
	v_mul_i32_i24_e32 v176, v176, v137
	s_delay_alu instid0(VALU_DEP_1) | instskip(SKIP_2) | instid1(VALU_DEP_2)
	v_add3_u32 v191, v191, v175, v176
	v_and_b32_e32 v175, 15, v178
	v_and_b32_e32 v176, 15, v179
	v_mul_i32_i24_e32 v175, v175, v149
	s_delay_alu instid0(VALU_DEP_2) | instskip(NEXT) | instid1(VALU_DEP_1)
	v_mul_i32_i24_e32 v176, v176, v139
	v_add3_u32 v187, v187, v175, v176
	v_bfe_u32 v175, v178, 24, 4
	v_bfe_u32 v176, v179, 24, 4
	s_delay_alu instid0(VALU_DEP_2) | instskip(NEXT) | instid1(VALU_DEP_2)
	v_mul_i32_i24_e32 v175, v175, v142
	v_mul_i32_i24_e32 v176, v176, v135
	s_delay_alu instid0(VALU_DEP_1) | instskip(SKIP_2) | instid1(VALU_DEP_2)
	v_add3_u32 v192, v192, v175, v176
	v_bfe_u32 v175, v74, 4, 4
	v_bfe_u32 v176, v74, 12, 4
	v_mul_i32_i24_e32 v175, v174, v175
	s_delay_alu instid0(VALU_DEP_1) | instskip(SKIP_2) | instid1(VALU_DEP_2)
	v_mad_i32_i24 v175, v193, v176, v175
	v_bfe_u32 v176, v74, 20, 4
	v_lshrrev_b32_e32 v74, 28, v74
	v_mul_i32_i24_e32 v176, v171, v176
	s_delay_alu instid0(VALU_DEP_2) | instskip(NEXT) | instid1(VALU_DEP_1)
	v_mul_i32_i24_e32 v74, v169, v74
	v_add3_u32 v74, v175, v176, v74
	v_bfe_u32 v175, v76, 4, 4
	v_bfe_u32 v176, v76, 12, 4
	s_delay_alu instid0(VALU_DEP_2) | instskip(NEXT) | instid1(VALU_DEP_1)
	v_mul_i32_i24_e32 v175, v174, v175
	v_mad_i32_i24 v175, v193, v176, v175
	v_bfe_u32 v176, v76, 20, 4
	v_lshrrev_b32_e32 v76, 28, v76
	s_delay_alu instid0(VALU_DEP_2) | instskip(NEXT) | instid1(VALU_DEP_2)
	v_mul_i32_i24_e32 v176, v171, v176
	v_mul_i32_i24_e32 v76, v169, v76
	s_delay_alu instid0(VALU_DEP_1) | instskip(SKIP_2) | instid1(VALU_DEP_2)
	v_add3_u32 v76, v175, v176, v76
	v_bfe_u32 v175, v181, 4, 4
	v_bfe_u32 v176, v180, 4, 4
	v_mul_i32_i24_e32 v175, v175, v165
	s_delay_alu instid0(VALU_DEP_1) | instskip(SKIP_1) | instid1(VALU_DEP_1)
	v_mad_i32_i24 v175, v176, v174, v175
	v_bfe_u32 v176, v182, 4, 4
	v_mul_i32_i24_e32 v174, v174, v176
	v_bfe_u32 v176, v181, 20, 4
	s_delay_alu instid0(VALU_DEP_1) | instskip(NEXT) | instid1(VALU_DEP_1)
	v_mul_i32_i24_e32 v176, v176, v158
	v_mad_i32_i24 v176, v177, v171, v176
	v_bfe_u32 v177, v182, 20, 4
	s_delay_alu instid0(VALU_DEP_1) | instskip(SKIP_1) | instid1(VALU_DEP_1)
	v_mul_i32_i24_e32 v171, v171, v177
	v_lshrrev_b32_e32 v177, 28, v181
	v_mul_i32_i24_e32 v177, v177, v153
	s_delay_alu instid0(VALU_DEP_1) | instskip(SKIP_2) | instid1(VALU_DEP_2)
	v_mad_i32_i24 v177, v194, v169, v177
	v_lshrrev_b32_e32 v194, 28, v182
	v_bfe_u32 v182, v182, 12, 4
	v_mul_i32_i24_e32 v169, v169, v194
	s_delay_alu instid0(VALU_DEP_2) | instskip(NEXT) | instid1(VALU_DEP_1)
	v_mad_i32_i24 v174, v193, v182, v174
	v_add3_u32 v169, v174, v171, v169
	v_bfe_u32 v171, v178, 20, 4
	v_bfe_u32 v174, v179, 20, 4
	s_delay_alu instid0(VALU_DEP_2) | instskip(NEXT) | instid1(VALU_DEP_2)
	v_mul_i32_i24_e32 v171, v171, v145
	v_mul_i32_i24_e32 v174, v174, v138
	s_delay_alu instid0(VALU_DEP_1) | instskip(SKIP_2) | instid1(VALU_DEP_2)
	v_add3_u32 v171, v176, v171, v174
	v_bfe_u32 v174, v178, 4, 4
	v_bfe_u32 v176, v179, 4, 4
	v_mul_i32_i24_e32 v174, v174, v152
	s_delay_alu instid0(VALU_DEP_2) | instskip(NEXT) | instid1(VALU_DEP_1)
	v_mul_i32_i24_e32 v176, v176, v140
	v_add3_u32 v182, v175, v174, v176
	v_dual_lshrrev_b32 v174, 28, v178 :: v_dual_lshrrev_b32 v175, 28, v179
	v_mov_b32_e32 v176, v67
	s_delay_alu instid0(VALU_DEP_2) | instskip(NEXT) | instid1(VALU_DEP_3)
	v_mul_i32_i24_e32 v174, v174, v144
	v_mul_i32_i24_e32 v175, v175, v136
	s_delay_alu instid0(VALU_DEP_1) | instskip(SKIP_4) | instid1(VALU_DEP_2)
	v_add3_u32 v194, v177, v174, v175
	v_cvt_f32_ubyte0_e32 v174, v190
	v_cvt_f32_ubyte1_e32 v175, v190
	v_mov_b32_e32 v177, v11
	v_bfe_i32 v190, v161, 0, 8
	v_pk_mul_f32 v[174:175], v[176:177], v[174:175]
	v_and_b32_e32 v176, 0xf0f0f0f, v180
	v_and_b32_e32 v177, 0xf0f0f0f, v178
	v_lshrrev_b32_e32 v178, 4, v178
	s_delay_alu instid0(VALU_DEP_3) | instskip(NEXT) | instid1(VALU_DEP_3)
	v_lshrrev_b16 v176, 8, v176
	v_lshrrev_b16 v177, 8, v177
	s_delay_alu instid0(VALU_DEP_3) | instskip(NEXT) | instid1(VALU_DEP_3)
	v_lshrrev_b16 v178, 8, v178
	v_and_b32_e32 v176, 0xffff, v176
	s_delay_alu instid0(VALU_DEP_3) | instskip(NEXT) | instid1(VALU_DEP_3)
	v_and_b32_e32 v177, 0xffff, v177
	v_and_b32_e32 v178, 15, v178
	s_delay_alu instid0(VALU_DEP_3) | instskip(SKIP_1) | instid1(VALU_DEP_4)
	v_mul_i32_i24_e32 v173, v176, v173
	v_and_b32_e32 v176, 0xf0f0f0f, v181
	v_mul_i32_i24_e32 v177, v177, v168
	s_delay_alu instid0(VALU_DEP_4) | instskip(NEXT) | instid1(VALU_DEP_3)
	v_and_b32_e32 v178, 0xffff, v178
	v_lshrrev_b16 v176, 8, v176
	s_delay_alu instid0(VALU_DEP_2) | instskip(NEXT) | instid1(VALU_DEP_2)
	v_mul_i32_i24_e32 v178, v178, v163
	v_and_b32_e32 v176, 0xffff, v176
	s_delay_alu instid0(VALU_DEP_1) | instskip(NEXT) | instid1(VALU_DEP_1)
	v_mul_i32_i24_e32 v176, v176, v167
	v_add3_u32 v173, v173, v176, v177
	v_and_b32_e32 v176, 15, v75
	v_bfe_u32 v177, v75, 8, 4
	s_delay_alu instid0(VALU_DEP_2) | instskip(NEXT) | instid1(VALU_DEP_2)
	v_mul_i32_i24_e32 v176, v164, v176
	v_mul_i32_i24_e32 v177, v167, v177
	s_delay_alu instid0(VALU_DEP_1) | instskip(SKIP_2) | instid1(VALU_DEP_2)
	v_add3_u32 v170, v170, v177, v176
	v_and_b32_e32 v176, 15, v77
	v_bfe_u32 v177, v77, 8, 4
	v_mul_i32_i24_e32 v176, v164, v176
	s_delay_alu instid0(VALU_DEP_2) | instskip(NEXT) | instid1(VALU_DEP_1)
	v_mul_i32_i24_e32 v177, v167, v177
	v_add3_u32 v172, v172, v177, v176
	v_and_b32_e32 v176, 15, v183
	v_and_b32_e32 v177, 15, v79
	s_delay_alu instid0(VALU_DEP_2) | instskip(SKIP_1) | instid1(VALU_DEP_3)
	v_mul_i32_i24_e32 v164, v164, v176
	v_bfe_u32 v176, v183, 8, 4
	v_mul_i32_i24_e32 v177, v177, v128
	s_delay_alu instid0(VALU_DEP_2) | instskip(SKIP_1) | instid1(VALU_DEP_2)
	v_mul_i32_i24_e32 v167, v167, v176
	v_bfe_u32 v176, v79, 24, 4
	v_add3_u32 v164, v184, v167, v164
	v_bfe_u32 v167, v78, 24, 4
	s_delay_alu instid0(VALU_DEP_3) | instskip(SKIP_1) | instid1(VALU_DEP_3)
	v_mul_i32_i24_e32 v176, v176, v117
	v_bfe_u32 v184, v79, 16, 4
	v_mul_i32_i24_e32 v167, v167, v129
	s_delay_alu instid0(VALU_DEP_2) | instskip(NEXT) | instid1(VALU_DEP_2)
	v_mul_i32_i24_e32 v184, v184, v119
	v_add3_u32 v167, v192, v167, v176
	v_and_b32_e32 v176, 15, v78
	s_delay_alu instid0(VALU_DEP_1) | instskip(NEXT) | instid1(VALU_DEP_1)
	v_mul_i32_i24_e32 v176, v176, v133
	v_add3_u32 v176, v187, v176, v177
	v_bfe_u32 v177, v78, 16, 4
	v_bfe_u32 v187, v75, 12, 4
	s_delay_alu instid0(VALU_DEP_2) | instskip(NEXT) | instid1(VALU_DEP_2)
	v_mul_i32_i24_e32 v177, v177, v130
	v_mul_i32_i24_e32 v187, v166, v187
	s_delay_alu instid0(VALU_DEP_2) | instskip(SKIP_1) | instid1(VALU_DEP_1)
	v_add3_u32 v177, v191, v177, v184
	v_bfe_u32 v184, v75, 4, 4
	v_mul_i32_i24_e32 v184, v165, v184
	s_delay_alu instid0(VALU_DEP_1) | instskip(SKIP_2) | instid1(VALU_DEP_2)
	v_add3_u32 v74, v74, v184, v187
	v_bfe_u32 v184, v77, 4, 4
	v_bfe_u32 v187, v77, 12, 4
	v_mul_i32_i24_e32 v184, v165, v184
	s_delay_alu instid0(VALU_DEP_2) | instskip(NEXT) | instid1(VALU_DEP_1)
	v_mul_i32_i24_e32 v187, v166, v187
	v_add3_u32 v76, v76, v184, v187
	v_bfe_u32 v184, v183, 4, 4
	v_bfe_u32 v187, v79, 4, 4
	s_delay_alu instid0(VALU_DEP_2) | instskip(SKIP_1) | instid1(VALU_DEP_3)
	v_mul_i32_i24_e32 v165, v165, v184
	v_bfe_u32 v184, v183, 12, 4
	v_mul_i32_i24_e32 v187, v187, v127
	s_delay_alu instid0(VALU_DEP_2) | instskip(NEXT) | instid1(VALU_DEP_1)
	v_mul_i32_i24_e32 v184, v166, v184
	v_add3_u32 v165, v169, v165, v184
	v_dual_lshrrev_b32 v169, 28, v78 :: v_dual_lshrrev_b32 v184, 28, v79
	s_delay_alu instid0(VALU_DEP_1) | instskip(NEXT) | instid1(VALU_DEP_2)
	v_mul_i32_i24_e32 v169, v169, v131
	v_mul_i32_i24_e32 v184, v184, v123
	s_delay_alu instid0(VALU_DEP_1) | instskip(SKIP_1) | instid1(VALU_DEP_1)
	v_add3_u32 v169, v194, v169, v184
	v_bfe_u32 v184, v78, 4, 4
	v_mul_i32_i24_e32 v184, v184, v134
	s_delay_alu instid0(VALU_DEP_1) | instskip(SKIP_2) | instid1(VALU_DEP_2)
	v_add3_u32 v182, v182, v184, v187
	v_bfe_u32 v184, v78, 20, 4
	v_bfe_u32 v187, v79, 20, 4
	v_mul_i32_i24_e32 v184, v184, v132
	s_delay_alu instid0(VALU_DEP_2) | instskip(NEXT) | instid1(VALU_DEP_1)
	v_mul_i32_i24_e32 v187, v187, v124
	v_add3_u32 v171, v171, v184, v187
	v_and_b32_e32 v184, 0xf0f0f0f, v179
	v_and_b32_e32 v187, 0xf0f0f0f, v78
	s_delay_alu instid0(VALU_DEP_2) | instskip(NEXT) | instid1(VALU_DEP_2)
	v_lshrrev_b16 v184, 8, v184
	v_lshrrev_b16 v187, 8, v187
	s_delay_alu instid0(VALU_DEP_2) | instskip(NEXT) | instid1(VALU_DEP_2)
	v_and_b32_e32 v161, 0xffff, v184
	v_and_b32_e32 v184, 0xffff, v187
	s_delay_alu instid0(VALU_DEP_2) | instskip(NEXT) | instid1(VALU_DEP_2)
	v_mul_i32_i24_e32 v161, v161, v190
	v_mul_i32_i24_e32 v184, v184, v162
	s_delay_alu instid0(VALU_DEP_1) | instskip(SKIP_1) | instid1(VALU_DEP_1)
	v_add3_u32 v173, v173, v161, v184
	v_dual_lshrrev_b32 v161, 4, v180 :: v_dual_lshrrev_b32 v180, 4, v181
	v_lshrrev_b16 v161, 8, v161
	s_delay_alu instid0(VALU_DEP_2) | instskip(NEXT) | instid1(VALU_DEP_2)
	v_lshrrev_b16 v180, 8, v180
	v_and_b32_e32 v161, 15, v161
	s_delay_alu instid0(VALU_DEP_2) | instskip(NEXT) | instid1(VALU_DEP_2)
	v_and_b32_e32 v180, 15, v180
	v_and_b32_e32 v161, 0xffff, v161
	s_delay_alu instid0(VALU_DEP_2) | instskip(NEXT) | instid1(VALU_DEP_2)
	v_and_b32_e32 v180, 0xffff, v180
	v_mul_i32_i24_e32 v161, v161, v193
	s_delay_alu instid0(VALU_DEP_2) | instskip(NEXT) | instid1(VALU_DEP_1)
	v_mul_i32_i24_e32 v166, v180, v166
	v_add3_u32 v166, v161, v166, v178
	v_bfe_u32 v161, v75, 16, 4
	v_bfe_u32 v178, v75, 24, 4
	s_delay_alu instid0(VALU_DEP_2) | instskip(NEXT) | instid1(VALU_DEP_2)
	v_mul_i32_i24_e32 v161, v160, v161
	v_mul_i32_i24_e32 v178, v159, v178
	s_delay_alu instid0(VALU_DEP_1) | instskip(SKIP_2) | instid1(VALU_DEP_2)
	v_add3_u32 v170, v170, v161, v178
	v_bfe_u32 v161, v77, 16, 4
	v_bfe_u32 v178, v77, 24, 4
	v_mul_i32_i24_e32 v161, v160, v161
	s_delay_alu instid0(VALU_DEP_2) | instskip(NEXT) | instid1(VALU_DEP_1)
	v_mul_i32_i24_e32 v178, v159, v178
	v_add3_u32 v172, v172, v161, v178
	v_bfe_u32 v161, v183, 16, 4
	s_delay_alu instid0(VALU_DEP_1) | instskip(SKIP_1) | instid1(VALU_DEP_1)
	v_mul_i32_i24_e32 v160, v160, v161
	v_bfe_u32 v161, v183, 24, 4
	v_mul_i32_i24_e32 v159, v159, v161
	s_delay_alu instid0(VALU_DEP_1) | instskip(SKIP_4) | instid1(VALU_DEP_2)
	v_add3_u32 v164, v164, v160, v159
	ds_load_2addr_b32 v[160:161], v185 offset0:6 offset1:7
	s_wait_dscnt 0x0
	v_bfe_u32 v159, v160, 16, 4
	v_bfe_u32 v178, v161, 16, 4
	v_mul_i32_i24_e32 v159, v159, v87
	s_delay_alu instid0(VALU_DEP_2) | instskip(NEXT) | instid1(VALU_DEP_1)
	v_mul_i32_i24_e32 v178, v178, v85
	v_add3_u32 v177, v177, v159, v178
	v_and_b32_e32 v159, 15, v160
	v_and_b32_e32 v178, 15, v161
	s_delay_alu instid0(VALU_DEP_2) | instskip(NEXT) | instid1(VALU_DEP_2)
	v_mul_i32_i24_e32 v159, v159, v118
	v_mul_i32_i24_e32 v178, v178, v66
	s_delay_alu instid0(VALU_DEP_1) | instskip(SKIP_2) | instid1(VALU_DEP_2)
	v_add3_u32 v176, v176, v159, v178
	v_bfe_u32 v159, v160, 24, 4
	v_bfe_u32 v178, v161, 24, 4
	v_mul_i32_i24_e32 v159, v159, v86
	s_delay_alu instid0(VALU_DEP_2) | instskip(NEXT) | instid1(VALU_DEP_1)
	v_mul_i32_i24_e32 v178, v178, v84
	v_add3_u32 v167, v167, v159, v178
	v_bfe_u32 v159, v75, 20, 4
	v_lshrrev_b32_e32 v75, 28, v75
	s_delay_alu instid0(VALU_DEP_2) | instskip(NEXT) | instid1(VALU_DEP_2)
	v_mul_i32_i24_e32 v159, v158, v159
	v_mul_i32_i24_e32 v75, v153, v75
	s_delay_alu instid0(VALU_DEP_1) | instskip(SKIP_2) | instid1(VALU_DEP_2)
	v_add3_u32 v178, v74, v159, v75
	v_bfe_u32 v74, v77, 20, 4
	v_lshrrev_b32_e32 v75, 28, v77
	v_mul_i32_i24_e32 v74, v158, v74
	s_delay_alu instid0(VALU_DEP_2) | instskip(NEXT) | instid1(VALU_DEP_1)
	v_mul_i32_i24_e32 v75, v153, v75
	v_add3_u32 v180, v76, v74, v75
	v_bfe_u32 v74, v183, 20, 4
	v_lshrrev_b32_e32 v75, 28, v183
	s_delay_alu instid0(VALU_DEP_2) | instskip(NEXT) | instid1(VALU_DEP_2)
	v_mul_i32_i24_e32 v74, v158, v74
	v_mul_i32_i24_e32 v75, v153, v75
	s_delay_alu instid0(VALU_DEP_1) | instskip(SKIP_2) | instid1(VALU_DEP_2)
	v_add3_u32 v165, v165, v74, v75
	v_bfe_u32 v74, v160, 20, 4
	v_bfe_u32 v75, v161, 20, 4
	v_mul_i32_i24_e32 v74, v74, v125
	s_delay_alu instid0(VALU_DEP_2) | instskip(NEXT) | instid1(VALU_DEP_1)
	v_mul_i32_i24_e32 v75, v75, v122
	v_add3_u32 v171, v171, v74, v75
	v_bfe_u32 v74, v160, 4, 4
	v_bfe_u32 v75, v161, 4, 4
	s_delay_alu instid0(VALU_DEP_2) | instskip(NEXT) | instid1(VALU_DEP_2)
	v_mul_i32_i24_e32 v74, v74, v126
	v_mul_i32_i24_e32 v75, v75, v10
	s_delay_alu instid0(VALU_DEP_1) | instskip(SKIP_2) | instid1(VALU_DEP_2)
	v_add3_u32 v181, v182, v74, v75
	v_dual_lshrrev_b32 v74, 28, v160 :: v_dual_lshrrev_b32 v75, 28, v161
	v_bfe_i32 v182, v157, 0, 8
	v_mul_i32_i24_e32 v74, v74, v120
	s_delay_alu instid0(VALU_DEP_3) | instskip(NEXT) | instid1(VALU_DEP_1)
	v_mul_i32_i24_e32 v75, v75, v121
	v_add3_u32 v169, v169, v74, v75
	v_add_f32_e32 v74, 0, v174
	v_and_b32_e32 v75, 0xf0f0f0f, v160
	v_bfe_i32 v174, v154, 0, 8
	s_delay_alu instid0(VALU_DEP_3) | instskip(SKIP_1) | instid1(VALU_DEP_4)
	v_add_f32_e32 v153, v74, v175
	v_and_b32_e32 v74, 0xf0f0f0f, v79
	v_lshrrev_b16 v75, 8, v75
	v_bfe_i32 v175, v155, 0, 8
	v_lshrrev_b32_e32 v79, 4, v79
	s_delay_alu instid0(VALU_DEP_4) | instskip(NEXT) | instid1(VALU_DEP_4)
	v_lshrrev_b16 v74, 8, v74
	v_and_b32_e32 v75, 0xffff, v75
	s_delay_alu instid0(VALU_DEP_3) | instskip(SKIP_1) | instid1(VALU_DEP_4)
	v_lshrrev_b16 v79, 8, v79
	v_lshrrev_b32_e32 v160, 4, v160
	v_and_b32_e32 v74, 0xffff, v74
	s_delay_alu instid0(VALU_DEP_4) | instskip(NEXT) | instid1(VALU_DEP_4)
	v_mul_i32_i24_e32 v75, v75, v175
	v_and_b32_e32 v79, 15, v79
	s_delay_alu instid0(VALU_DEP_4) | instskip(NEXT) | instid1(VALU_DEP_4)
	v_lshrrev_b16 v160, 8, v160
	v_mul_i32_i24_e32 v74, v74, v174
	s_delay_alu instid0(VALU_DEP_3) | instskip(NEXT) | instid1(VALU_DEP_3)
	v_and_b32_e32 v79, 0xffff, v79
	v_and_b32_e32 v160, 15, v160
	s_delay_alu instid0(VALU_DEP_3) | instskip(SKIP_2) | instid1(VALU_DEP_4)
	v_add3_u32 v173, v173, v74, v75
	v_dual_lshrrev_b32 v74, 4, v179 :: v_dual_lshrrev_b32 v75, 4, v78
	v_bfe_i32 v179, v156, 0, 8
	v_and_b32_e32 v160, 0xffff, v160
	v_mul_i32_i24_e32 v79, v79, v150
	s_delay_alu instid0(VALU_DEP_4) | instskip(SKIP_1) | instid1(VALU_DEP_4)
	v_lshrrev_b16 v74, 8, v74
	v_lshrrev_b16 v75, 8, v75
	v_mul_i32_i24_e32 v160, v160, v151
	s_delay_alu instid0(VALU_DEP_3) | instskip(NEXT) | instid1(VALU_DEP_3)
	v_and_b32_e32 v74, 15, v74
	v_and_b32_e32 v75, 15, v75
	s_delay_alu instid0(VALU_DEP_2) | instskip(NEXT) | instid1(VALU_DEP_2)
	v_and_b32_e32 v74, 0xffff, v74
	v_and_b32_e32 v75, 0xffff, v75
	s_delay_alu instid0(VALU_DEP_2) | instskip(NEXT) | instid1(VALU_DEP_2)
	v_mul_i32_i24_e32 v74, v74, v179
	v_mul_i32_i24_e32 v75, v75, v182
	s_delay_alu instid0(VALU_DEP_1)
	v_add3_u32 v166, v166, v74, v75
	ds_load_u16 v78, v81
	ds_load_2addr_b32 v[154:155], v80 offset0:2 offset1:3
	ds_load_2addr_b32 v[76:77], v80 offset0:4 offset1:5
	;; [unrolled: 1-line block ×3, first 2 shown]
	v_add3_u32 v79, v166, v79, v160
	v_bfe_u32 v166, v72, 24, 4
	s_delay_alu instid0(VALU_DEP_1)
	v_mul_i32_i24_e32 v166, v142, v166
	s_wait_dscnt 0x2
	v_and_b32_e32 v80, 15, v154
	v_bfe_u32 v81, v154, 8, 4
	v_bfe_u32 v160, v154, 16, 4
	s_wait_dscnt 0x0
	v_and_b32_e32 v185, 15, v75
	v_bfe_u32 v187, v74, 12, 4
	v_mul_i32_i24_e32 v80, v149, v80
	v_mul_i32_i24_e32 v81, v168, v81
	;; [unrolled: 1-line block ×3, first 2 shown]
	v_bfe_u32 v191, v75, 20, 4
	s_delay_alu instid0(VALU_DEP_3) | instskip(SKIP_2) | instid1(VALU_DEP_2)
	v_add3_u32 v170, v170, v81, v80
	v_and_b32_e32 v80, 15, v72
	v_bfe_u32 v81, v72, 8, 4
	v_mul_i32_i24_e32 v80, v149, v80
	s_delay_alu instid0(VALU_DEP_2) | instskip(NEXT) | instid1(VALU_DEP_1)
	v_mul_i32_i24_e32 v81, v168, v81
	v_add3_u32 v172, v172, v81, v80
	ds_load_u16 v183, v186
	ds_load_2addr_b32 v[156:157], v188 offset0:2 offset1:3
	ds_load_2addr_b32 v[158:159], v188 offset0:4 offset1:5
	;; [unrolled: 1-line block ×3, first 2 shown]
	v_bfe_u32 v186, v74, 4, 4
	s_wait_dscnt 0x2
	v_dual_lshrrev_b32 v188, 28, v74 :: v_dual_bitop2_b32 v184, 15, v156 bitop3:0x40
	s_delay_alu instid0(VALU_DEP_1) | instskip(SKIP_1) | instid1(VALU_DEP_1)
	v_mul_i32_i24_e32 v149, v149, v184
	v_bfe_u32 v184, v156, 8, 4
	v_mul_i32_i24_e32 v168, v168, v184
	v_lshrrev_b32_e32 v184, 4, v75
	s_delay_alu instid0(VALU_DEP_2) | instskip(SKIP_2) | instid1(VALU_DEP_2)
	v_add3_u32 v149, v164, v168, v149
	v_bfe_u32 v164, v154, 4, 4
	v_bfe_u32 v168, v154, 12, 4
	v_mul_i32_i24_e32 v164, v152, v164
	s_delay_alu instid0(VALU_DEP_2) | instskip(NEXT) | instid1(VALU_DEP_1)
	v_mul_i32_i24_e32 v168, v163, v168
	v_add3_u32 v164, v178, v164, v168
	v_bfe_u32 v168, v72, 4, 4
	v_bfe_u32 v178, v72, 12, 4
	s_delay_alu instid0(VALU_DEP_2) | instskip(NEXT) | instid1(VALU_DEP_2)
	v_mul_i32_i24_e32 v168, v152, v168
	v_mul_i32_i24_e32 v178, v163, v178
	s_delay_alu instid0(VALU_DEP_1) | instskip(SKIP_2) | instid1(VALU_DEP_2)
	v_add3_u32 v168, v180, v168, v178
	v_bfe_u32 v178, v156, 4, 4
	v_bfe_u32 v180, v74, 24, 4
	v_mul_i32_i24_e32 v152, v152, v178
	v_bfe_u32 v178, v156, 12, 4
	s_delay_alu instid0(VALU_DEP_1) | instskip(SKIP_1) | instid1(VALU_DEP_2)
	v_mul_i32_i24_e32 v163, v163, v178
	v_bfe_u32 v178, v74, 8, 4
	v_add3_u32 v152, v165, v152, v163
	v_bfe_u32 v165, v154, 24, 4
	v_and_b32_e32 v163, 0xf0f0f0f, v161
	s_delay_alu instid0(VALU_DEP_2) | instskip(NEXT) | instid1(VALU_DEP_2)
	v_mul_i32_i24_e32 v165, v142, v165
	v_lshrrev_b16 v163, 8, v163
	s_delay_alu instid0(VALU_DEP_2) | instskip(SKIP_1) | instid1(VALU_DEP_3)
	v_add3_u32 v160, v170, v160, v165
	v_bfe_u32 v165, v72, 16, 4
	v_and_b32_e32 v163, 0xffff, v163
	s_delay_alu instid0(VALU_DEP_2) | instskip(NEXT) | instid1(VALU_DEP_2)
	v_mul_i32_i24_e32 v165, v143, v165
	v_mul_i32_i24_e32 v163, v163, v148
	s_delay_alu instid0(VALU_DEP_2) | instskip(SKIP_1) | instid1(VALU_DEP_3)
	v_add3_u32 v165, v172, v165, v166
	v_bfe_u32 v166, v156, 16, 4
	v_add3_u32 v163, v173, v163, v167
	v_bfe_u32 v167, v157, 20, 4
	s_delay_alu instid0(VALU_DEP_3) | instskip(SKIP_1) | instid1(VALU_DEP_1)
	v_mul_i32_i24_e32 v143, v143, v166
	v_bfe_u32 v166, v156, 24, 4
	v_mul_i32_i24_e32 v142, v142, v166
	v_and_b32_e32 v166, 15, v77
	s_delay_alu instid0(VALU_DEP_2) | instskip(SKIP_2) | instid1(VALU_DEP_2)
	v_add3_u32 v149, v149, v143, v142
	v_bfe_u32 v142, v154, 20, 4
	v_lshrrev_b32_e32 v143, 28, v154
	v_mul_i32_i24_e32 v142, v145, v142
	s_delay_alu instid0(VALU_DEP_2) | instskip(NEXT) | instid1(VALU_DEP_1)
	v_mul_i32_i24_e32 v143, v144, v143
	v_add3_u32 v154, v164, v142, v143
	v_bfe_u32 v142, v72, 20, 4
	v_lshrrev_b32_e32 v72, 28, v72
	v_lshrrev_b32_e32 v143, 28, v156
	v_bfe_u32 v164, v73, 16, 4
	s_delay_alu instid0(VALU_DEP_4) | instskip(NEXT) | instid1(VALU_DEP_4)
	v_mul_i32_i24_e32 v142, v145, v142
	v_mul_i32_i24_e32 v72, v144, v72
	s_delay_alu instid0(VALU_DEP_4) | instskip(NEXT) | instid1(VALU_DEP_4)
	v_mul_i32_i24_e32 v143, v144, v143
	v_mul_i32_i24_e32 v164, v137, v164
	s_delay_alu instid0(VALU_DEP_3) | instskip(SKIP_2) | instid1(VALU_DEP_2)
	v_add3_u32 v72, v168, v142, v72
	v_bfe_u32 v142, v156, 20, 4
	v_bfe_u32 v168, v76, 12, 4
	v_mul_i32_i24_e32 v142, v145, v142
	v_add3_u32 v145, v176, v177, v163
	v_and_b32_e32 v163, 15, v76
	s_delay_alu instid0(VALU_DEP_4)
	v_mul_i32_i24_e32 v168, v182, v168
	v_and_b32_e32 v177, 15, v74
	v_add3_u32 v144, v152, v142, v143
	v_lshrrev_b32_e32 v142, 4, v161
	v_bfe_u32 v143, v155, 8, 4
	v_bfe_u32 v161, v155, 4, 4
	v_mul_i32_i24_e32 v163, v133, v163
	s_delay_alu instid0(VALU_DEP_4) | instskip(NEXT) | instid1(VALU_DEP_4)
	v_lshrrev_b16 v142, 8, v142
	v_mul_i32_i24_e32 v143, v190, v143
	s_delay_alu instid0(VALU_DEP_4) | instskip(NEXT) | instid1(VALU_DEP_3)
	v_mul_i32_i24_e32 v161, v140, v161
	v_and_b32_e32 v142, 15, v142
	s_delay_alu instid0(VALU_DEP_1) | instskip(NEXT) | instid1(VALU_DEP_1)
	v_and_b32_e32 v142, 0xffff, v142
	v_mul_i32_i24_e32 v142, v142, v146
	s_delay_alu instid0(VALU_DEP_1) | instskip(SKIP_3) | instid1(VALU_DEP_3)
	v_add3_u32 v79, v79, v142, v169
	v_and_b32_e32 v142, 15, v155
	s_wait_dscnt 0x1
	v_bfe_u32 v169, v158, 16, 4
	v_add3_u32 v79, v181, v171, v79
	s_delay_alu instid0(VALU_DEP_3) | instskip(SKIP_1) | instid1(VALU_DEP_2)
	v_mul_i32_i24_e32 v142, v139, v142
	v_bfe_u32 v181, v75, 8, 4
	v_add3_u32 v152, v160, v143, v142
	v_and_b32_e32 v142, 15, v73
	v_and_b32_e32 v160, 15, v157
	v_bfe_u32 v143, v73, 8, 4
	s_delay_alu instid0(VALU_DEP_3) | instskip(NEXT) | instid1(VALU_DEP_3)
	v_mul_i32_i24_e32 v142, v139, v142
	v_mul_i32_i24_e32 v139, v139, v160
	v_bfe_u32 v160, v157, 8, 4
	s_delay_alu instid0(VALU_DEP_4) | instskip(NEXT) | instid1(VALU_DEP_2)
	v_mul_i32_i24_e32 v143, v190, v143
	v_mul_i32_i24_e32 v160, v190, v160
	s_delay_alu instid0(VALU_DEP_2)
	v_add3_u32 v156, v165, v143, v142
	v_bfe_u32 v165, v73, 24, 4
	ds_load_2addr_b32 v[142:143], v141 offset0:6 offset1:7
	ds_load_u16 v141, v189
	v_bfe_u32 v189, v75, 24, 4
	v_add3_u32 v139, v149, v160, v139
	v_bfe_u32 v149, v155, 12, 4
	v_bfe_u32 v160, v73, 4, 4
	v_mul_i32_i24_e32 v165, v135, v165
	v_lshrrev_b32_e32 v190, 28, v75
	s_delay_alu instid0(VALU_DEP_4) | instskip(NEXT) | instid1(VALU_DEP_4)
	v_mul_i32_i24_e32 v149, v179, v149
	v_mul_i32_i24_e32 v160, v140, v160
	s_delay_alu instid0(VALU_DEP_4)
	v_add3_u32 v156, v156, v164, v165
	v_bfe_u32 v164, v155, 20, 4
	v_bfe_u32 v165, v157, 24, 4
	v_add3_u32 v149, v154, v161, v149
	v_bfe_u32 v154, v73, 12, 4
	v_bfe_u32 v161, v157, 4, 4
	v_mul_i32_i24_e32 v164, v138, v164
	s_delay_alu instid0(VALU_DEP_3) | instskip(NEXT) | instid1(VALU_DEP_3)
	v_mul_i32_i24_e32 v154, v179, v154
	v_mul_i32_i24_e32 v140, v140, v161
	v_bfe_u32 v161, v155, 24, 4
	s_wait_dscnt 0x1
	v_lshrrev_b32_e32 v172, 28, v142
	v_bfe_u32 v170, v142, 4, 4
	v_add3_u32 v72, v72, v160, v154
	v_bfe_u32 v154, v157, 12, 4
	v_bfe_u32 v160, v155, 16, 4
	v_lshrrev_b32_e32 v155, 28, v155
	v_mul_i32_i24_e32 v161, v135, v161
	v_mul_i32_i24_e32 v135, v135, v165
	;; [unrolled: 1-line block ×5, first 2 shown]
	v_bfe_u32 v165, v77, 16, 4
	v_bfe_u32 v179, v74, 16, 4
	v_add3_u32 v140, v144, v140, v154
	v_bfe_u32 v144, v76, 8, 4
	v_add3_u32 v149, v149, v164, v155
	v_bfe_u32 v164, v73, 20, 4
	v_lshrrev_b32_e32 v73, 28, v73
	v_add3_u32 v152, v152, v160, v161
	v_bfe_u32 v161, v157, 16, 4
	v_mul_i32_i24_e32 v144, v162, v144
	v_mul_i32_i24_e32 v164, v138, v164
	;; [unrolled: 1-line block ×3, first 2 shown]
	v_lshrrev_b32_e32 v157, 28, v157
	v_mul_i32_i24_e32 v137, v137, v161
	v_add3_u32 v144, v152, v144, v163
	v_and_b32_e32 v152, 15, v158
	v_add3_u32 v72, v72, v164, v73
	v_and_b32_e32 v73, 15, v70
	v_bfe_u32 v164, v70, 8, 4
	v_bfe_u32 v163, v158, 8, 4
	;; [unrolled: 1-line block ×4, first 2 shown]
	v_add3_u32 v135, v139, v137, v135
	v_bfe_u32 v139, v76, 20, 4
	v_bfe_u32 v155, v76, 4, 4
	v_mul_i32_i24_e32 v138, v138, v167
	v_mul_i32_i24_e32 v136, v136, v157
	;; [unrolled: 1-line block ×4, first 2 shown]
	v_bfe_u32 v163, v158, 12, 4
	v_lshrrev_b32_e32 v76, 28, v76
	v_mul_i32_i24_e32 v73, v133, v73
	v_mul_i32_i24_e32 v133, v133, v152
	v_bfe_u32 v152, v158, 4, 4
	v_add3_u32 v136, v140, v138, v136
	v_mul_i32_i24_e32 v163, v182, v163
	v_mul_i32_i24_e32 v155, v134, v155
	v_bfe_u32 v167, v70, 16, 4
	v_mul_i32_i24_e32 v152, v134, v152
	v_bfe_u32 v157, v70, 24, 4
	v_add3_u32 v133, v135, v162, v133
	v_mul_i32_i24_e32 v154, v130, v154
	v_mul_i32_i24_e32 v160, v129, v160
	v_add3_u32 v136, v136, v152, v163
	v_bfe_u32 v152, v70, 4, 4
	v_bfe_u32 v163, v70, 12, 4
	v_mul_i32_i24_e32 v167, v130, v167
	v_mul_i32_i24_e32 v157, v129, v157
	;; [unrolled: 1-line block ×5, first 2 shown]
	v_bfe_u32 v169, v158, 20, 4
	v_bfe_u32 v161, v77, 8, 4
	v_and_b32_e32 v138, 15, v71
	v_bfe_u32 v152, v70, 20, 4
	v_add3_u32 v72, v72, v134, v163
	v_bfe_u32 v134, v158, 24, 4
	v_and_b32_e32 v163, 15, v159
	v_add3_u32 v144, v144, v154, v160
	v_bfe_u32 v154, v159, 8, 4
	v_lshrrev_b32_e32 v70, 28, v70
	v_mul_i32_i24_e32 v129, v129, v134
	v_lshrrev_b32_e32 v134, 28, v158
	v_mul_i32_i24_e32 v158, v174, v161
	v_mul_i32_i24_e32 v138, v128, v138
	;; [unrolled: 1-line block ×3, first 2 shown]
	v_add3_u32 v129, v133, v130, v129
	v_mul_i32_i24_e32 v133, v132, v169
	v_mul_i32_i24_e32 v134, v131, v134
	v_lshrrev_b32_e32 v169, 28, v77
	v_add3_u32 v149, v149, v155, v168
	v_mul_i32_i24_e32 v76, v131, v76
	v_mul_i32_i24_e32 v70, v131, v70
	v_add3_u32 v133, v136, v133, v134
	v_mul_i32_i24_e32 v136, v152, v132
	v_mul_i32_i24_e32 v152, v128, v166
	;; [unrolled: 1-line block ×4, first 2 shown]
	v_bfe_u32 v140, v71, 8, 4
	v_add3_u32 v70, v72, v136, v70
	v_add3_u32 v144, v144, v158, v152
	v_bfe_u32 v152, v159, 4, 4
	v_bfe_u32 v158, v159, 12, 4
	v_add3_u32 v128, v129, v154, v128
	v_bfe_u32 v129, v77, 4, 4
	v_bfe_u32 v154, v77, 12, 4
	v_add3_u32 v76, v149, v132, v76
	v_mul_i32_i24_e32 v152, v127, v152
	v_mul_i32_i24_e32 v158, v150, v158
	;; [unrolled: 1-line block ×4, first 2 shown]
	v_add3_u32 v73, v156, v164, v73
	v_bfe_u32 v137, v77, 24, 4
	v_add3_u32 v133, v133, v152, v158
	v_bfe_u32 v158, v71, 4, 4
	;; [unrolled: 2-line block ×3, first 2 shown]
	v_bfe_u32 v156, v71, 16, 4
	v_bfe_u32 v164, v71, 24, 4
	v_mul_i32_i24_e32 v127, v127, v158
	v_and_b32_e32 v135, 15, v142
	v_mul_i32_i24_e32 v150, v150, v154
	v_bfe_u32 v155, v142, 16, 4
	v_bfe_u32 v168, v142, 24, 4
	;; [unrolled: 1-line block ×3, first 2 shown]
	v_add3_u32 v73, v73, v167, v157
	v_add3_u32 v127, v70, v127, v150
	v_and_b32_e32 v70, 15, v143
	v_bfe_u32 v157, v159, 24, 4
	v_dual_lshrrev_b32 v154, 4, v143 :: v_dual_bitop2_b32 v167, 15, v80 bitop3:0x40
	v_bfe_u32 v134, v80, 16, 4
	v_bfe_u32 v72, v80, 24, 4
	v_dual_lshrrev_b32 v150, 28, v71 :: v_dual_bitop2_b32 v136, 15, v81 bitop3:0x40
	v_mul_i32_i24_e32 v140, v174, v140
	v_lshrrev_b32_e32 v174, 28, v143
	v_perm_b32 v70, v70, v185, 0x5040100
	v_bfe_u32 v139, v81, 8, 4
	v_bfe_u32 v131, v81, 16, 4
	;; [unrolled: 1-line block ×4, first 2 shown]
	v_lshrrev_b32_e32 v159, 28, v159
	v_add3_u32 v138, v73, v140, v138
	v_bfe_u32 v73, v80, 4, 4
	v_bfe_u32 v140, v80, 12, 4
	;; [unrolled: 1-line block ×5, first 2 shown]
	v_lshrrev_b32_e32 v81, 28, v81
	v_bfe_u32 v166, v143, 8, 4
	v_bfe_u32 v158, v143, 16, 4
	;; [unrolled: 1-line block ×8, first 2 shown]
	v_mul_i32_i24_e32 v165, v119, v165
	v_mul_i32_i24_e32 v156, v119, v156
	;; [unrolled: 1-line block ×16, first 2 shown]
	v_pk_mul_lo_u16 v72, v70, v66 op_sel_hi:[1,0]
	v_and_b32_e32 v66, 15, v184
	v_and_b32_e32 v70, 15, v154
	v_mul_i32_i24_e32 v159, v123, v159
	v_mul_i32_i24_e32 v168, v123, v169
	;; [unrolled: 1-line block ×15, first 2 shown]
	v_perm_b32 v66, v70, v66, 0x5040100
	v_mul_i32_i24_e32 v174, v148, v181
	v_mul_i32_i24_e32 v166, v148, v166
	;; [unrolled: 1-line block ×9, first 2 shown]
	v_lshrrev_b16 v146, 8, v183
	v_and_b32_e32 v171, 0xff, v183
	v_add3_u32 v137, v144, v165, v137
	v_mul_i32_i24_e32 v144, v10, v152
	v_pk_mul_lo_u16 v152, v66, v10 op_sel_hi:[1,0]
	v_and_b32_e32 v10, 0xffff, v146
	v_mul_lo_u32 v145, v145, v171
	v_bfe_u32 v130, v80, 8, 4
	v_bfe_u32 v77, v77, 20, 4
	;; [unrolled: 1-line block ×3, first 2 shown]
	v_mul_lo_u32 v79, v79, v10
	v_bfe_u32 v71, v71, 20, 4
	v_mul_i32_i24_e32 v149, v124, v149
	v_mul_i32_i24_e32 v77, v124, v77
	;; [unrolled: 1-line block ×3, first 2 shown]
	s_wait_dscnt 0x0
	v_lshrrev_b16 v70, 8, v141
	v_add3_u32 v117, v128, v119, v117
	v_bfe_u32 v161, v80, 20, 4
	v_lshrrev_b32_e32 v80, 28, v80
	v_bfe_u32 v142, v142, 20, 4
	v_bfe_u32 v74, v74, 20, 4
	v_mul_i32_i24_e32 v124, v124, v71
	v_mul_i32_i24_e32 v154, v175, v178
	;; [unrolled: 1-line block ×3, first 2 shown]
	v_cvt_f32_ubyte0_e32 v71, v147
	v_cvt_f32_f16_e32 v66, v8
	v_and_b32_e32 v165, 0xffff, v70
	v_cvt_f32_i32_e32 v70, v145
	v_add3_u32 v138, v138, v156, v160
	v_add3_u32 v119, v133, v149, v159
	;; [unrolled: 1-line block ×4, first 2 shown]
	v_mul_i32_i24_e32 v161, v125, v161
	v_mul_i32_i24_e32 v74, v125, v74
	;; [unrolled: 1-line block ×5, first 2 shown]
	v_cvt_f32_ubyte1_e32 v73, v147
	v_cvt_f32_f16_e32 v10, v9
	v_ashrrev_i32_e32 v145, 16, v72
	v_bfe_i32 v171, v72, 0, 16
	v_cvt_f32_i32_e32 v72, v79
	v_add3_u32 v123, v127, v124, v123
	v_add3_u32 v77, v137, v154, v157
	;; [unrolled: 1-line block ×6, first 2 shown]
	v_pk_fma_f32 v[70:71], v[70:71], v[66:67], 0 op_sel_hi:[1,1,0]
	v_mul_i32_i24_e32 v120, v120, v172
	v_add3_u32 v119, v123, v126, v151
	v_add3_u32 v77, v77, v164, v134
	;; [unrolled: 1-line block ×6, first 2 shown]
	v_pk_fma_f32 v[70:71], v[72:73], v[10:11], v[70:71]
	v_mul_i32_i24_e32 v163, v122, v163
	v_and_b32_e32 v141, 0xff, v141
	v_add3_u32 v117, v119, v125, v120
	v_add3_u32 v80, v80, v144, v129
	;; [unrolled: 1-line block ×5, first 2 shown]
	v_pk_mul_f32 v[70:71], v[70:71], v[6:7]
	v_ashrrev_i32_e32 v79, 16, v152
	v_bfe_i32 v152, v152, 0, 16
	v_mul_i32_i24_e32 v172, v122, v191
	v_mul_i32_i24_e32 v122, v122, v176
	v_lshrrev_b16 v147, 8, v78
	v_and_b32_e32 v78, 0xff, v78
	v_lshrrev_b16 v146, 8, v83
	v_and_b32_e32 v83, 0xff, v83
	v_add3_u32 v74, v74, v152, v75
	v_add3_u32 v75, v117, v79, v143
	;; [unrolled: 1-line block ×5, first 2 shown]
	v_mul_lo_u32 v76, v76, v141
	v_and_b32_e32 v147, 0xffff, v147
	v_and_b32_e32 v146, 0xffff, v146
	v_add3_u32 v75, v75, v122, v121
	v_add3_u32 v74, v74, v172, v173
	v_mul_lo_u32 v79, v79, v165
	v_mul_lo_u32 v78, v80, v78
	;; [unrolled: 1-line block ×5, first 2 shown]
	v_cvt_f32_i32_e32 v75, v76
	v_cvt_f32_i32_e32 v76, v79
	;; [unrolled: 1-line block ×4, first 2 shown]
	s_delay_alu instid0(VALU_DEP_4) | instskip(SKIP_2) | instid1(VALU_DEP_4)
	v_fma_mix_f32 v8, v8, v75, 0 op_sel_hi:[1,0,0]
	v_cvt_f32_i32_e32 v75, v67
	v_cvt_f32_i32_e32 v74, v74
	v_pk_fma_f32 v[66:67], v[66:67], v[72:73], 0 op_sel_hi:[0,1,0]
	s_delay_alu instid0(VALU_DEP_4) | instskip(SKIP_2) | instid1(VALU_DEP_4)
	v_fma_mix_f32 v72, v9, v76, v8 op_sel_hi:[1,0,0]
	v_dual_mul_f32 v8, v153, v82 :: v_dual_mov_b32 v73, v70
	v_mov_b32_e32 v9, v71
	v_pk_fma_f32 v[10:11], v[10:11], v[74:75], v[66:67] op_sel_hi:[0,1,1]
	s_delay_alu instid0(VALU_DEP_4) | instskip(NEXT) | instid1(VALU_DEP_2)
	v_mul_f32_e32 v72, v72, v1
	v_pk_fma_f32 v[10:11], v[10:11], v[2:3], v[68:69] neg_lo:[0,0,1] neg_hi:[0,0,1]
	s_delay_alu instid0(VALU_DEP_2) | instskip(NEXT) | instid1(VALU_DEP_2)
	v_pk_add_f32 v[8:9], v[72:73], v[8:9] neg_lo:[0,1] neg_hi:[0,1]
	v_pk_add_f32 v[22:23], v[22:23], v[10:11]
	s_delay_alu instid0(VALU_DEP_2)
	v_pk_add_f32 v[20:21], v[20:21], v[8:9]
	s_cbranch_vccnz .LBB231_11
; %bb.12:                               ;   in Loop: Header=BB231_5 Depth=1
	s_bitset1_b32 s16, 7
	s_delay_alu instid0(SALU_CYCLE_1)
	s_cmp_ge_i32 s16, s11
	s_barrier_signal -1
	s_barrier_wait -1
	s_cbranch_scc1 .LBB231_4
; %bb.13:                               ;   in Loop: Header=BB231_5 Depth=1
	v_add_nc_u32_e32 v1, s17, v92
	s_delay_alu instid0(VALU_DEP_1) | instskip(SKIP_1) | instid1(SALU_CYCLE_1)
	v_cmp_gt_i32_e32 vcc_lo, s10, v1
	s_and_b32 s17, s1, vcc_lo
	s_and_saveexec_b32 s16, s17
	s_cbranch_execz .LBB231_15
; %bb.14:                               ;   in Loop: Header=BB231_5 Depth=1
	v_add_nc_u32_e32 v1, v30, v1
	s_delay_alu instid0(VALU_DEP_1)
	v_mad_nc_i64_i32 v[2:3], v1, 36, v[36:37]
	global_load_b32 v1, v[2:3], off offset:4
	s_wait_loadcnt 0x0
	ds_store_b32 v90, v1
.LBB231_15:                             ;   in Loop: Header=BB231_5 Depth=1
	s_or_b32 exec_lo, exec_lo, s16
	s_and_saveexec_b32 s16, s0
	s_cbranch_execz .LBB231_18
; %bb.16:                               ;   in Loop: Header=BB231_5 Depth=1
	v_or_b32_e32 v1, 4, v0
	s_delay_alu instid0(VALU_DEP_1) | instskip(SKIP_1) | instid1(SALU_CYCLE_1)
	v_cmp_gt_i32_e32 vcc_lo, s10, v1
	s_and_b32 s17, s1, vcc_lo
	s_and_b32 exec_lo, exec_lo, s17
	s_cbranch_execz .LBB231_18
; %bb.17:                               ;   in Loop: Header=BB231_5 Depth=1
	v_ashrrev_i32_e32 v1, 31, v0
	s_delay_alu instid0(VALU_DEP_1) | instskip(NEXT) | instid1(VALU_DEP_1)
	v_add_nc_u64_e32 v[0:1], v[30:31], v[0:1]
	v_mad_nc_u64_u32 v[2:3], v0, 36, s[2:3]
	s_delay_alu instid0(VALU_DEP_1)
	v_mad_i32_i24 v3, v1, 36, v3
	global_load_b32 v0, v[2:3], off offset:144
	s_wait_loadcnt 0x0
	ds_store_b32 v100, v0
.LBB231_18:                             ;   in Loop: Header=BB231_5 Depth=1
	s_or_b32 exec_lo, exec_lo, s16
	s_wait_dscnt 0x0
	s_barrier_signal -1
	s_barrier_wait -1
	ds_load_b32 v0, v94 offset:128
	ds_load_b32 v1, v93
	ds_load_b32 v2, v95 offset:256
	ds_load_b32 v3, v96 offset:384
	v_dual_mov_b32 v117, v89 :: v_dual_mov_b32 v118, v97
	v_mov_b32_e32 v121, v112
	s_mov_b32 s16, 16
	s_mov_b32 s17, 0
	s_wait_dscnt 0x2
	v_dual_lshrrev_b32 v4, 16, v0 :: v_dual_lshrrev_b32 v5, 16, v1
	v_cvt_f32_f16_e32 v67, v0
	v_cvt_f32_f16_e32 v66, v1
	s_wait_dscnt 0x0
	v_dual_lshrrev_b32 v0, 16, v2 :: v_dual_lshrrev_b32 v1, 16, v3
	v_cvt_f32_f16_e32 v119, v2
	v_cvt_f32_f16_e32 v68, v3
	;; [unrolled: 1-line block ×6, first 2 shown]
.LBB231_19:                             ;   Parent Loop BB231_5 Depth=1
                                        ; =>  This Inner Loop Header: Depth=2
	ds_load_2addr_b32 v[0:1], v121 offset1:1
	ds_load_2addr_b32 v[2:3], v121 offset0:2 offset1:3
	v_add_nc_u32_e32 v8, s17, v113
	ds_load_2addr_b32 v[78:79], v121 offset0:4 offset1:5
	v_add_nc_u32_e32 v4, 0x1090, v121
	v_add_nc_u32_e32 v6, 0x2118, v121
	s_lshr_b32 s21, s16, 2
	ds_load_2addr_b32 v[72:73], v121 offset0:6 offset1:7
	s_and_b32 s21, s21, 0x3ffffffc
	s_add_co_i32 s16, s16, 8
	s_add_co_i32 s17, s17, 2
	ds_load_2addr_b32 v[82:83], v4 offset1:1
	ds_load_2addr_b32 v[6:7], v6 offset1:1
	v_add_nc_u32_e32 v4, 0x1098, v121
	ds_load_2addr_b32 v[74:75], v4 offset1:1
	s_wait_dscnt 0x6
	v_and_b32_e32 v86, 15, v0
	v_bfe_u32 v87, v0, 8, 4
	v_bfe_u32 v207, v0, 16, 4
	;; [unrolled: 1-line block ×3, first 2 shown]
	v_dual_lshrrev_b32 v154, 28, v0 :: v_dual_bitop2_b32 v213, 15, v1 bitop3:0x40
	s_wait_dscnt 0x5
	v_dual_lshrrev_b32 v148, 28, v1 :: v_dual_bitop2_b32 v217, 15, v2 bitop3:0x40
	v_bfe_u32 v218, v2, 8, 4
	v_bfe_u32 v219, v2, 16, 4
	;; [unrolled: 1-line block ×3, first 2 shown]
	v_dual_lshrrev_b32 v143, 28, v2 :: v_dual_bitop2_b32 v199, 15, v3 bitop3:0x40
	v_bfe_u32 v151, v0, 20, 4
	v_bfe_u32 v153, v0, 4, 4
	;; [unrolled: 1-line block ×6, first 2 shown]
	v_add_nc_u32_e32 v0, 0x1080, v121
	v_add_nc_u32_e32 v2, 0x1088, v121
	v_bfe_u32 v214, v1, 8, 4
	v_bfe_u32 v215, v1, 16, 4
	;; [unrolled: 1-line block ×12, first 2 shown]
	ds_load_2addr_b32 v[0:1], v0 offset1:1
	v_lshrrev_b32_e32 v139, 28, v3
	ds_load_2addr_b32 v[2:3], v2 offset1:1
	s_wait_dscnt 0x6
	v_and_b32_e32 v129, 15, v79
	v_add3_u32 v9, v99, s21, v8
	v_add3_u32 v124, v115, s21, v8
	;; [unrolled: 1-line block ×3, first 2 shown]
	s_wait_dscnt 0x3
	s_set_vgpr_msb 64                       ;  msbs: dst=1 src0=0 src1=0 src2=0
	v_and_b32_e32 v13 /*v269*/, 15, v6
	v_bfe_u32 v14 /*v270*/, v6, 8, 4
	v_bfe_u32 v15 /*v271*/, v6, 16, 4
	v_bfe_u32 v16 /*v272*/, v6, 24, 4
	v_and_b32_e32 v17 /*v273*/, 15, v7
	v_bfe_u32 v18 /*v274*/, v7, 8, 4
	v_bfe_u32 v19 /*v275*/, v7, 16, 4
	;; [unrolled: 1-line block ×3, first 2 shown]
	s_set_vgpr_msb 0                        ;  msbs: dst=0 src0=0 src1=0 src2=0
	v_bfe_u32 v187, v6, 20, 4
	v_bfe_u32 v189, v6, 4, 4
	;; [unrolled: 1-line block ×3, first 2 shown]
	v_lshrrev_b32_e32 v188, 28, v6
	v_bfe_u32 v177, v7, 20, 4
	s_wait_dscnt 0x1
	v_and_b32_e32 v221, 15, v0
	v_bfe_u32 v222, v0, 8, 4
	v_bfe_u32 v223, v0, 16, 4
	;; [unrolled: 1-line block ×3, first 2 shown]
	s_wait_dscnt 0x0
	v_dual_lshrrev_b32 v166, 28, v2 :: v_dual_bitop2_b32 v229, 15, v2 bitop3:0x40
	v_bfe_u32 v230, v2, 8, 4
	v_bfe_u32 v231, v2, 16, 4
	;; [unrolled: 1-line block ×6, first 2 shown]
	v_lshrrev_b32_e32 v176, 28, v0
	v_bfe_u32 v165, v2, 20, 4
	v_bfe_u32 v167, v2, 4, 4
	;; [unrolled: 1-line block ×3, first 2 shown]
	v_add_nc_u32_e32 v0, 0x2100, v121
	v_add_nc_u32_e32 v2, 0x2108, v121
	v_dual_lshrrev_b32 v170, 28, v1 :: v_dual_bitop2_b32 v225, 15, v1 bitop3:0x40
	v_bfe_u32 v226, v1, 8, 4
	v_bfe_u32 v227, v1, 16, 4
	;; [unrolled: 1-line block ×3, first 2 shown]
	v_dual_lshrrev_b32 v159, 28, v3 :: v_dual_bitop2_b32 v233, 15, v3 bitop3:0x40
	v_bfe_u32 v234, v3, 8, 4
	v_bfe_u32 v235, v3, 16, 4
	;; [unrolled: 1-line block ×9, first 2 shown]
	ds_load_2addr_b32 v[0:1], v0 offset1:1
	ds_load_2addr_b32 v[2:3], v2 offset1:1
	v_add_nc_u32_e32 v4, 0x2110, v121
	v_and_b32_e32 v237, 15, v82
	v_bfe_u32 v180, v7, 4, 4
	v_bfe_u32 v181, v7, 12, 4
	v_lshrrev_b32_e32 v179, 28, v7
	ds_load_2addr_b32 v[4:5], v4 offset1:1
	ds_load_u16 v10, v9 offset:17920
	ds_load_u16 v9, v9 offset:17928
	v_and_b32_e32 v241, 15, v83
	v_and_b32_e32 v183, 15, v74
	s_set_vgpr_msb 64                       ;  msbs: dst=1 src0=0 src1=0 src2=0
	v_add3_u32 v34 /*v290*/, v98, s21, v8
	s_set_vgpr_msb 0                        ;  msbs: dst=0 src0=0 src1=0 src2=0
	v_dual_lshrrev_b32 v134, 4, v73 :: v_dual_bitop2_b32 v133, 15, v78 bitop3:0x40
	v_bfe_u32 v162, v78, 8, 4
	v_bfe_u32 v163, v78, 16, 4
	;; [unrolled: 1-line block ×6, first 2 shown]
	s_wait_dscnt 0x4
	v_and_b32_e32 v245, 15, v0
	v_bfe_u32 v246, v0, 8, 4
	v_bfe_u32 v247, v0, 16, 4
	;; [unrolled: 1-line block ×3, first 2 shown]
	s_wait_dscnt 0x3
	s_set_vgpr_msb 64                       ;  msbs: dst=1 src0=0 src1=0 src2=0
	v_dual_lshrrev_b32 v25 /*v281*/, 28, v0 :: v_dual_bitop2_b32 v1 /*v257*/, 15, v3 bitop3:0x40
	v_bfe_u32 v22 /*v278*/, v0, 20, 4
	v_bfe_u32 v23 /*v279*/, v0, 4, 4
	;; [unrolled: 1-line block ×3, first 2 shown]
	s_set_vgpr_msb 0                        ;  msbs: dst=0 src0=0 src1=0 src2=0
	v_add_nc_u32_e32 v0, 0x3180, v121
	s_wait_dscnt 0x1
	v_lshrrev_b16 v11, 8, v10
	v_and_b32_e32 v249, 15, v1
	v_bfe_u32 v250, v1, 8, 4
	v_bfe_u32 v251, v1, 16, 4
	ds_load_2addr_b32 v[84:85], v0 offset1:1
	v_bfe_u32 v252, v1, 24, 4
	v_and_b32_e32 v253, 15, v2
	v_bfe_u32 v254, v2, 8, 4
	v_bfe_u32 v255, v2, 16, 4
	s_set_vgpr_msb 64                       ;  msbs: dst=1 src0=0 src1=0 src2=0
	v_bfe_u32 v0 /*v256*/, v2, 24, 4
	v_bfe_u32 v2 /*v258*/, v3, 8, 4
	;; [unrolled: 1-line block ×4, first 2 shown]
	v_dual_lshrrev_b32 v29 /*v285*/, 28, v1 :: v_dual_bitop2_b32 v5 /*v261*/, 15, v4 bitop3:0x40
	v_bfe_u32 v6 /*v262*/, v4, 8, 4
	v_bfe_u32 v7 /*v263*/, v4, 16, 4
	;; [unrolled: 1-line block ×3, first 2 shown]
	v_dual_lshrrev_b32 v33 /*v289*/, 28, v2 :: v_dual_bitop2_b32 v9 /*v265*/, 15, v5 bitop3:0x40
	v_bfe_u32 v10 /*v266*/, v5, 8, 4
	v_bfe_u32 v11 /*v267*/, v5, 16, 4
	;; [unrolled: 1-line block ×3, first 2 shown]
	v_and_b32_e32 v21 /*v277*/, 0xff, v10
	s_wait_dscnt 0x0
	s_set_vgpr_msb 0                        ;  msbs: dst=0 src0=0 src1=0 src2=0
	v_and_b32_e32 v0, 0xf0f0f0f, v84
	v_cvt_f32_ubyte0_e32 v76, v9
	s_set_vgpr_msb 64                       ;  msbs: dst=1 src0=0 src1=0 src2=0
	v_bfe_u32 v26 /*v282*/, v1, 20, 4
	v_bfe_u32 v27 /*v283*/, v1, 4, 4
	;; [unrolled: 1-line block ×6, first 2 shown]
	s_set_vgpr_msb 0                        ;  msbs: dst=0 src0=0 src1=0 src2=0
	v_bfe_u32 v203, v3, 20, 4
	v_bfe_u32 v205, v3, 4, 4
	v_bfe_u32 v206, v3, 12, 4
	v_lshrrev_b32_e32 v204, 28, v3
	v_bfe_u32 v195, v4, 20, 4
	v_bfe_u32 v197, v4, 4, 4
	v_bfe_u32 v198, v4, 12, 4
	v_lshrrev_b32_e32 v196, 28, v4
	;; [unrolled: 4-line block ×3, first 2 shown]
	v_and_b32_e32 v178, 0xffff, v11
	v_cvt_f32_ubyte1_e32 v77, v9
	s_set_vgpr_msb 64                       ;  msbs: dst=1 src0=0 src1=0 src2=0
	v_lshrrev_b16 v36 /*v292*/, 8, v0
	s_set_vgpr_msb 0                        ;  msbs: dst=0 src0=0 src1=0 src2=0
	ds_load_b128 v[208:211], v117
	ds_load_b128 v[8:11], v117 offset:16
	ds_load_b128 v[4:7], v117 offset:32
	;; [unrolled: 1-line block ×3, first 2 shown]
	v_bfe_u32 v240, v82, 24, 4
	v_bfe_u32 v131, v79, 16, 4
	;; [unrolled: 1-line block ×6, first 2 shown]
	v_dual_lshrrev_b32 v146, 4, v75 :: v_dual_bitop2_b32 v81, 15, v72 bitop3:0x40
	v_bfe_u32 v126, v72, 8, 4
	v_bfe_u32 v127, v72, 16, 4
	;; [unrolled: 1-line block ×8, first 2 shown]
	s_wait_dscnt 0x3
	s_set_vgpr_msb 64                       ;  msbs: dst=1 src0=0 src1=0 src2=0
	v_lshrrev_b16 v37 /*v293*/, 8, v208
	v_ashrrev_i32_e32 v41 /*v297*/, 24, v208
	v_bfe_i32 v42 /*v298*/, v208, 16, 8
	s_set_vgpr_msb 0                        ;  msbs: dst=0 src0=0 src1=0 src2=0
	v_bfe_i32 v208, v208, 0, 8
	s_set_vgpr_msb 0x41                     ;  msbs: dst=1 src0=1 src1=0 src2=0
	v_lshrrev_b16 v38 /*v294*/, 8, v209
	v_bfe_i32 v37 /*v293*/, v37 /*v293*/, 0, 8
	s_set_vgpr_msb 1                        ;  msbs: dst=0 src0=1 src1=0 src2=0
	v_mul_i32_i24_e32 v212, v41 /*v297*/, v212
	v_mul_i32_i24_e32 v207, v42 /*v298*/, v207
	s_set_vgpr_msb 0                        ;  msbs: dst=0 src0=0 src1=0 src2=0
	v_mul_i32_i24_e32 v86, v208, v86
	s_set_vgpr_msb 64                       ;  msbs: dst=1 src0=0 src1=0 src2=0
	v_lshrrev_b16 v39 /*v295*/, 8, v210
	v_lshrrev_b16 v40 /*v296*/, 8, v211
	v_bfe_u32 v35 /*v291*/, v84, 24, 4
	s_set_vgpr_msb 0                        ;  msbs: dst=0 src0=0 src1=0 src2=0
	v_bfe_u32 v136, v78, 4, 4
	s_set_vgpr_msb 1                        ;  msbs: dst=0 src0=1 src1=0 src2=0
	v_mad_i32_i24 v86, v37 /*v293*/, v87, v86
	s_set_vgpr_msb 0                        ;  msbs: dst=0 src0=0 src1=0 src2=0
	v_mul_i32_i24_e32 v87, v208, v221
	s_set_vgpr_msb 1                        ;  msbs: dst=0 src0=1 src1=0 src2=0
	v_mul_i32_i24_e32 v221, v41 /*v297*/, v248
	s_set_vgpr_msb 0                        ;  msbs: dst=0 src0=0 src1=0 src2=0
	v_bfe_u32 v156, v82, 4, 4
	v_bfe_u32 v137, v78, 12, 4
	v_add3_u32 v86, v86, v207, v212
	s_set_vgpr_msb 1                        ;  msbs: dst=0 src0=1 src1=0 src2=0
	v_mul_i32_i24_e32 v207, v42 /*v298*/, v223
	v_mul_i32_i24_e32 v212, v41 /*v297*/, v224
	v_mad_i32_i24 v87, v37 /*v293*/, v222, v87
	v_and_b32_e32 v224, 0xf0f0f0f, v85
	s_set_vgpr_msb 4                        ;  msbs: dst=0 src0=0 src1=1 src2=0
	v_bfe_u32 v223, v85, 24, 4
	v_and_b32_e32 v222, 0xffff, v36 /*v292*/
	v_bfe_u32 v157, v82, 12, 4
	s_set_vgpr_msb 0                        ;  msbs: dst=0 src0=0 src1=0 src2=0
	v_add3_u32 v87, v87, v207, v212
	v_mul_i32_i24_e32 v207, v208, v245
	s_set_vgpr_msb 1                        ;  msbs: dst=0 src0=1 src1=0 src2=0
	v_mul_i32_i24_e32 v212, v42 /*v298*/, v247
	v_ashrrev_i32_e32 v245, 24, v209
	s_set_vgpr_msb 0                        ;  msbs: dst=0 src0=0 src1=0 src2=0
	v_bfe_i32 v247, v209, 16, 8
	v_bfe_i32 v209, v209, 0, 8
	s_set_vgpr_msb 1                        ;  msbs: dst=0 src0=1 src1=0 src2=0
	v_mad_i32_i24 v207, v37 /*v293*/, v246, v207
	v_bfe_i32 v246, v38 /*v294*/, 0, 8
	s_set_vgpr_msb 0                        ;  msbs: dst=0 src0=0 src1=0 src2=0
	v_mul_i32_i24_e32 v216, v245, v216
	v_mul_i32_i24_e32 v215, v247, v215
	;; [unrolled: 1-line block ×6, first 2 shown]
	v_add3_u32 v207, v207, v212, v221
	v_mul_i32_i24_e32 v227, v247, v227
	v_mul_i32_i24_e32 v228, v245, v228
	v_add3_u32 v86, v86, v214, v213
	v_mul_i32_i24_e32 v248, v209, v249
	v_mul_i32_i24_e32 v249, v246, v250
	;; [unrolled: 1-line block ×4, first 2 shown]
	v_add3_u32 v213, v86, v215, v216
	v_add3_u32 v86, v87, v226, v225
	v_lshrrev_b16 v224, 8, v224
	v_and_b32_e32 v215, 15, v85
	v_dual_ashrrev_i32 v226, 24, v210 :: v_dual_bitop2_b32 v221, 15, v84 bitop3:0x40
	s_delay_alu instid0(VALU_DEP_4)
	v_add3_u32 v214, v86, v227, v228
	v_add3_u32 v86, v207, v249, v248
	v_and_b32_e32 v87, 0xffff, v224
	v_mul_i32_i24_e32 v209, v215, v209
	s_set_vgpr_msb 1                        ;  msbs: dst=0 src0=1 src1=0 src2=0
	v_bfe_i32 v227, v39 /*v295*/, 0, 8
	s_set_vgpr_msb 0                        ;  msbs: dst=0 src0=0 src1=0 src2=0
	v_bfe_i32 v228, v210, 16, 8
	v_add3_u32 v207, v86, v250, v251
	v_bfe_u32 v86, v85, 16, 4
	v_mul_i32_i24_e32 v215, v87, v246
	v_bfe_i32 v210, v210, 0, 8
	v_mul_i32_i24_e32 v218, v227, v218
	v_mul_i32_i24_e32 v219, v228, v219
	;; [unrolled: 1-line block ×3, first 2 shown]
	v_add_nc_u32_e32 v86, 0x3188, v121
	v_mul_i32_i24_e32 v217, v210, v217
	v_mul_i32_i24_e32 v220, v226, v220
	;; [unrolled: 1-line block ×4, first 2 shown]
	ds_load_2addr_b32 v[86:87], v86 offset1:1
	v_add3_u32 v213, v213, v218, v217
	v_mul_i32_i24_e32 v223, v223, v245
	v_mul_i32_i24_e32 v231, v228, v231
	;; [unrolled: 1-line block ×4, first 2 shown]
	v_add3_u32 v213, v213, v219, v220
	v_mul_i32_i24_e32 v246, v227, v254
	s_set_vgpr_msb 4                        ;  msbs: dst=0 src0=0 src1=1 src2=0
	v_mul_i32_i24_e32 v248, v226, v0 /*v256*/
	s_set_vgpr_msb 0                        ;  msbs: dst=0 src0=0 src1=0 src2=0
	v_add3_u32 v214, v214, v230, v229
	v_mul_i32_i24_e32 v247, v228, v255
	v_bfe_u32 v212, v84, 16, 4
	v_add3_u32 v207, v207, v246, v245
	s_set_vgpr_msb 4                        ;  msbs: dst=0 src0=0 src1=1 src2=0
	v_mul_i32_i24_e32 v222, v222, v37 /*v293*/
	s_set_vgpr_msb 0                        ;  msbs: dst=0 src0=0 src1=0 src2=0
	v_add3_u32 v214, v214, v231, v232
	v_bfe_u32 v135, v78, 20, 4
	v_bfe_u32 v155, v82, 20, 4
	v_add3_u32 v207, v207, v247, v248
	v_lshrrev_b32_e32 v82, 28, v82
	v_lshrrev_b32_e32 v78, 28, v78
	s_wait_dscnt 0x0
	v_and_b32_e32 v225, 0xf0f0f0f, v86
	v_bfe_u32 v224, v86, 24, 4
	v_and_b32_e32 v219, 15, v86
	v_bfe_u32 v217, v86, 16, 4
	v_bfe_u32 v220, v87, 24, 4
	v_lshrrev_b16 v225, 8, v225
	v_bfe_u32 v122, v73, 16, 4
	v_mul_i32_i24_e32 v210, v219, v210
	v_mul_i32_i24_e32 v219, v224, v226
	s_set_vgpr_msb 1                        ;  msbs: dst=0 src0=1 src1=0 src2=0
	v_bfe_i32 v226, v40 /*v296*/, 0, 8
	v_and_b32_e32 v218, 0xffff, v225
	v_ashrrev_i32_e32 v225, 24, v211
	s_set_vgpr_msb 0                        ;  msbs: dst=0 src0=0 src1=0 src2=0
	v_mul_i32_i24_e32 v217, v217, v228
	v_and_b32_e32 v224, 0xf0f0f0f, v87
	v_mul_i32_i24_e32 v200, v226, v200
	v_mul_i32_i24_e32 v218, v218, v227
	v_bfe_i32 v227, v211, 16, 8
	v_bfe_i32 v211, v211, 0, 8
	v_mul_i32_i24_e32 v229, v226, v234
	v_mul_i32_i24_e32 v202, v225, v202
	;; [unrolled: 1-line block ×7, first 2 shown]
	s_set_vgpr_msb 4                        ;  msbs: dst=0 src0=0 src1=1 src2=0
	v_mul_i32_i24_e32 v232, v211, v1 /*v257*/
	v_mul_i32_i24_e32 v233, v226, v2 /*v258*/
	s_set_vgpr_msb 0                        ;  msbs: dst=0 src0=0 src1=0 src2=0
	v_add3_u32 v199, v213, v200, v199
	v_add3_u32 v200, v214, v229, v228
	s_set_vgpr_msb 4                        ;  msbs: dst=0 src0=0 src1=1 src2=0
	v_mul_i32_i24_e32 v234, v227, v3 /*v259*/
	v_mul_i32_i24_e32 v235, v225, v4 /*v260*/
	s_set_vgpr_msb 0                        ;  msbs: dst=0 src0=0 src1=0 src2=0
	v_lshrrev_b16 v224, 8, v224
	v_add3_u32 v199, v199, v201, v202
	v_add3_u32 v202, v200, v230, v231
	;; [unrolled: 1-line block ×3, first 2 shown]
	v_and_b32_e32 v213, 15, v87
	v_and_b32_e32 v201, 0xffff, v224
	v_mul_i32_i24_e32 v220, v220, v225
	v_ashrrev_i32_e32 v230, 24, v8
	v_add3_u32 v207, v200, v234, v235
	v_bfe_u32 v200, v87, 16, 4
	v_mul_i32_i24_e32 v211, v213, v211
	v_mul_i32_i24_e32 v213, v201, v226
	v_lshrrev_b16 v226, 8, v8
	v_bfe_i32 v231, v8, 16, 8
	v_mul_i32_i24_e32 v214, v200, v227
	v_add_nc_u32_e32 v200, 0x3190, v121
	v_bfe_i32 v8, v8, 0, 8
	v_bfe_i32 v226, v226, 0, 8
	v_lshrrev_b16 v227, 8, v9
	v_mul_i32_i24_e32 v163, v231, v163
	ds_load_2addr_b32 v[200:201], v200 offset1:1
	v_mul_i32_i24_e32 v133, v8, v133
	v_mul_i32_i24_e32 v162, v226, v162
	v_mul_i32_i24_e32 v164, v230, v164
	v_mul_i32_i24_e32 v232, v8, v237
	s_set_vgpr_msb 4                        ;  msbs: dst=0 src0=0 src1=1 src2=0
	v_mul_i32_i24_e32 v236, v8, v5 /*v261*/
	v_mul_i32_i24_e32 v237, v226, v6 /*v262*/
	s_set_vgpr_msb 0                        ;  msbs: dst=0 src0=0 src1=0 src2=0
	v_add3_u32 v133, v199, v162, v133
	v_mul_i32_i24_e32 v233, v226, v238
	v_mul_i32_i24_e32 v234, v231, v239
	;; [unrolled: 1-line block ×3, first 2 shown]
	s_set_vgpr_msb 4                        ;  msbs: dst=0 src0=0 src1=1 src2=0
	v_mul_i32_i24_e32 v238, v231, v7 /*v263*/
	s_set_vgpr_msb 0                        ;  msbs: dst=0 src0=0 src1=0 src2=0
	v_add3_u32 v133, v133, v163, v164
	v_add3_u32 v163, v207, v237, v236
	s_set_vgpr_msb 4                        ;  msbs: dst=0 src0=0 src1=1 src2=0
	v_mul_i32_i24_e32 v239, v230, v8 /*v264*/
	s_set_vgpr_msb 0                        ;  msbs: dst=0 src0=0 src1=0 src2=0
	v_add3_u32 v162, v202, v233, v232
	v_lshrrev_b16 v228, 8, v10
	v_lshrrev_b16 v229, 8, v11
	v_bfe_u32 v123, v75, 16, 4
	v_add3_u32 v163, v163, v238, v239
	s_wait_dscnt 0x0
	v_and_b32_e32 v225, 0xf0f0f0f, v200
	v_bfe_u32 v224, v200, 24, 4
	v_add3_u32 v162, v162, v234, v235
	v_bfe_u32 v164, v200, 16, 4
	v_and_b32_e32 v202, 15, v200
	v_lshrrev_b16 v225, 8, v225
	v_mul_i32_i24_e32 v207, v224, v230
	v_and_b32_e32 v224, 0xf0f0f0f, v201
	v_mul_i32_i24_e32 v164, v164, v231
	s_add_co_i32 s21, s20, 8
	v_and_b32_e32 v199, 0xffff, v225
	v_ashrrev_i32_e32 v225, 24, v9
	v_lshrrev_b16 v224, 8, v224
	s_add_co_i32 s20, s20, 16
	v_add_nc_u32_e32 v117, 64, v117
	v_mul_i32_i24_e32 v199, v199, v226
	v_bfe_i32 v226, v227, 0, 8
	v_bfe_i32 v227, v9, 16, 8
	v_bfe_i32 v9, v9, 0, 8
	v_mul_i32_i24_e32 v132, v225, v132
	v_mul_i32_i24_e32 v233, v225, v244
	;; [unrolled: 1-line block ×5, first 2 shown]
	s_set_vgpr_msb 4                        ;  msbs: dst=0 src0=0 src1=1 src2=0
	v_mul_i32_i24_e32 v234, v9, v9 /*v265*/
	v_mul_i32_i24_e32 v235, v226, v10 /*v266*/
	s_set_vgpr_msb 0                        ;  msbs: dst=0 src0=0 src1=0 src2=0
	v_mul_i32_i24_e32 v230, v9, v241
	v_mul_i32_i24_e32 v231, v226, v242
	v_add3_u32 v129, v133, v130, v129
	v_and_b32_e32 v133, 0xffff, v224
	s_set_vgpr_msb 4                        ;  msbs: dst=0 src0=0 src1=1 src2=0
	v_mul_i32_i24_e32 v237, v225, v12 /*v268*/
	s_set_vgpr_msb 0                        ;  msbs: dst=0 src0=0 src1=0 src2=0
	v_mul_i32_i24_e32 v232, v227, v243
	v_add3_u32 v130, v162, v231, v230
	v_add3_u32 v129, v129, v131, v132
	;; [unrolled: 1-line block ×3, first 2 shown]
	v_mul_i32_i24_e32 v163, v133, v226
	v_ashrrev_i32_e32 v226, 24, v10
	v_mul_i32_i24_e32 v202, v202, v8
	v_bfe_u32 v8, v201, 24, 4
	v_and_b32_e32 v162, 15, v201
	v_bfe_u32 v132, v201, 16, 4
	s_set_vgpr_msb 4                        ;  msbs: dst=0 src0=0 src1=1 src2=0
	v_mul_i32_i24_e32 v236, v227, v11 /*v267*/
	s_set_vgpr_msb 0                        ;  msbs: dst=0 src0=0 src1=0 src2=0
	v_add3_u32 v130, v130, v232, v233
	v_mul_i32_i24_e32 v225, v8, v225
	v_add_nc_u32_e32 v8, 0x3198, v121
	v_mul_i32_i24_e32 v162, v162, v9
	v_mul_i32_i24_e32 v224, v132, v227
	v_bfe_i32 v227, v228, 0, 8
	v_bfe_i32 v228, v10, 16, 8
	ds_load_2addr_b32 v[8:9], v8 offset1:1
	v_bfe_i32 v10, v10, 0, 8
	v_mul_i32_i24_e32 v128, v226, v128
	v_mul_i32_i24_e32 v126, v227, v126
	v_mul_i32_i24_e32 v127, v228, v127
	v_mul_i32_i24_e32 v184, v227, v184
	v_mul_i32_i24_e32 v81, v10, v81
	v_mul_i32_i24_e32 v183, v10, v183
	v_add3_u32 v131, v131, v236, v237
	v_mul_i32_i24_e32 v185, v228, v185
	v_mul_i32_i24_e32 v186, v226, v186
	v_add3_u32 v81, v129, v126, v81
	s_set_vgpr_msb 4                        ;  msbs: dst=0 src0=0 src1=1 src2=0
	v_mul_i32_i24_e32 v230, v10, v13 /*v269*/
	v_mul_i32_i24_e32 v231, v227, v14 /*v270*/
	;; [unrolled: 1-line block ×4, first 2 shown]
	s_set_vgpr_msb 0                        ;  msbs: dst=0 src0=0 src1=0 src2=0
	v_add3_u32 v126, v81, v127, v128
	v_add3_u32 v81, v130, v184, v183
	s_cmp_lt_u32 s20, 24
	s_mov_b32 s20, s21
	s_wait_dscnt 0x0
	v_and_b32_e32 v133, 0xf0f0f0f, v8
	v_bfe_u32 v128, v8, 16, 4
	v_bfe_u32 v132, v8, 24, 4
	v_add3_u32 v127, v81, v185, v186
	v_add3_u32 v81, v131, v231, v230
	v_lshrrev_b16 v133, 8, v133
	v_and_b32_e32 v130, 15, v8
	v_mul_i32_i24_e32 v184, v128, v228
	v_and_b32_e32 v128, 0xf0f0f0f, v9
	v_and_b32_e32 v131, 15, v75
	;; [unrolled: 1-line block ×3, first 2 shown]
	v_mul_i32_i24_e32 v10, v130, v10
	v_mul_i32_i24_e32 v185, v132, v226
	v_lshrrev_b16 v226, 8, v128
	v_ashrrev_i32_e32 v128, 24, v11
	v_mul_i32_i24_e32 v183, v129, v227
	v_bfe_i32 v227, v229, 0, 8
	v_bfe_i32 v130, v11, 16, 8
	;; [unrolled: 1-line block ×3, first 2 shown]
	v_add3_u32 v81, v81, v232, v233
	s_set_vgpr_msb 4                        ;  msbs: dst=0 src0=0 src1=1 src2=0
	v_mul_i32_i24_e32 v228, v128, v20 /*v276*/
	s_set_vgpr_msb 0                        ;  msbs: dst=0 src0=0 src1=0 src2=0
	v_mul_i32_i24_e32 v129, v227, v80
	v_and_b32_e32 v80, 15, v73
	s_set_vgpr_msb 4                        ;  msbs: dst=0 src0=0 src1=1 src2=0
	v_mul_i32_i24_e32 v133, v227, v18 /*v274*/
	v_bfe_u32 v186, v9, 24, 4
	s_set_vgpr_msb 0                        ;  msbs: dst=0 src0=0 src1=0 src2=0
	v_add_nc_u32_e32 v121, 32, v121
	v_perm_b32 v80, v131, v80, 0x5040100
	v_mul_i32_i24_e32 v131, v227, v182
	s_set_vgpr_msb 4                        ;  msbs: dst=0 src0=0 src1=1 src2=0
	v_mul_i32_i24_e32 v182, v130, v19 /*v275*/
	s_set_vgpr_msb 0                        ;  msbs: dst=0 src0=0 src1=0 src2=0
	v_pk_mul_lo_u16 v132, v80, v11 op_sel_hi:[1,0]
	s_set_vgpr_msb 4                        ;  msbs: dst=0 src0=0 src1=1 src2=0
	v_mul_i32_i24_e32 v80, v11, v17 /*v273*/
	s_set_vgpr_msb 0                        ;  msbs: dst=0 src0=0 src1=0 src2=0
	s_delay_alu instid0(VALU_DEP_1) | instskip(SKIP_1) | instid1(VALU_DEP_2)
	v_add3_u32 v80, v81, v133, v80
	v_and_b32_e32 v81, 0xffff, v226
	v_add3_u32 v80, v80, v182, v228
	v_and_b32_e32 v182, 15, v9
	s_delay_alu instid0(VALU_DEP_3) | instskip(SKIP_1) | instid1(VALU_DEP_3)
	v_mul_i32_i24_e32 v81, v81, v227
	s_set_vgpr_msb 4                        ;  msbs: dst=0 src0=0 src1=1 src2=0
	v_mul_lo_u32 v80, v80, v21 /*v277*/
	s_set_vgpr_msb 0                        ;  msbs: dst=0 src0=0 src1=0 src2=0
	v_mul_i32_i24_e32 v11, v182, v11
	v_mul_i32_i24_e32 v182, v186, v128
	v_mad_i32_i24 v186, v221, v208, v209
	s_set_vgpr_msb 5                        ;  msbs: dst=0 src0=1 src1=1 src2=0
	v_mad_i32_i24 v209, v35 /*v291*/, v41 /*v297*/, v223
	s_set_vgpr_msb 4                        ;  msbs: dst=0 src0=0 src1=1 src2=0
	v_mad_i32_i24 v208, v212, v42 /*v298*/, v216
	s_set_vgpr_msb 0                        ;  msbs: dst=0 src0=0 src1=0 src2=0
	v_add3_u32 v212, v222, v215, v218
	v_add3_u32 v186, v186, v210, v211
	;; [unrolled: 1-line block ×4, first 2 shown]
	v_cvt_f32_i32_e32 v133, v80
	v_bfe_u32 v80, v9, 16, 4
	v_add3_u32 v199, v212, v213, v199
	v_add3_u32 v207, v209, v207, v225
	v_add3_u32 v162, v186, v202, v162
	v_add3_u32 v164, v208, v164, v224
	v_mul_i32_i24_e32 v80, v80, v130
	v_add3_u32 v163, v199, v163, v183
	v_add3_u32 v182, v207, v185, v182
	;; [unrolled: 1-line block ×3, first 2 shown]
	v_ashrrev_i32_e32 v185, 24, v4
	v_add3_u32 v80, v164, v184, v80
	v_lshrrev_b16 v164, 8, v4
	v_add3_u32 v11, v163, v81, v182
	v_bfe_i32 v186, v4, 16, 8
	v_bfe_i32 v4, v4, 0, 8
	v_mul_i32_i24_e32 v154, v185, v154
	v_bfe_i32 v164, v164, 0, 8
	v_add3_u32 v10, v10, v80, v11
	s_set_vgpr_msb 1                        ;  msbs: dst=0 src0=1 src1=0 src2=0
	ds_load_u16 v11, v34 /*v290*/ offset:18432
	ds_load_u16 v162, v34 /*v290*/ offset:18440
	s_set_vgpr_msb 0                        ;  msbs: dst=0 src0=0 src1=0 src2=0
	v_mul_i32_i24_e32 v153, v4, v153
	v_mul_i32_i24_e32 v151, v186, v151
	v_lshrrev_b16 v182, 8, v5
	v_lshrrev_b16 v183, 8, v6
	;; [unrolled: 1-line block ×3, first 2 shown]
	v_mad_i32_i24 v152, v164, v152, v153
	v_mul_i32_i24_e32 v153, v186, v173
	s_set_vgpr_msb 4                        ;  msbs: dst=0 src0=0 src1=1 src2=0
	v_mul_i32_i24_e32 v173, v185, v25 /*v281*/
	s_set_vgpr_msb 0                        ;  msbs: dst=0 src0=0 src1=0 src2=0
	v_add3_u32 v151, v152, v151, v154
	v_mul_i32_i24_e32 v152, v4, v175
	v_mul_i32_i24_e32 v154, v185, v176
	v_bfe_i32 v175, v182, 0, 8
	v_bfe_i32 v176, v5, 16, 8
	s_delay_alu instid0(VALU_DEP_4)
	v_mad_i32_i24 v152, v164, v174, v152
	v_ashrrev_i32_e32 v174, 24, v5
	s_wait_dscnt 0x1
	v_lshrrev_b16 v163, 8, v11
	v_and_b32_e32 v11, 0xff, v11
	v_bfe_i32 v5, v5, 0, 8
	v_add3_u32 v152, v152, v153, v154
	s_set_vgpr_msb 4                        ;  msbs: dst=0 src0=0 src1=1 src2=0
	v_mul_i32_i24_e32 v153, v4, v23 /*v279*/
	v_mul_i32_i24_e32 v154, v186, v22 /*v278*/
	s_set_vgpr_msb 0                        ;  msbs: dst=0 src0=0 src1=0 src2=0
	v_mul_lo_u32 v10, v10, v11
	v_lshrrev_b32_e32 v11, 28, v84
	v_mul_i32_i24_e32 v149, v5, v149
	s_set_vgpr_msb 4                        ;  msbs: dst=0 src0=0 src1=1 src2=0
	v_mad_i32_i24 v153, v164, v24 /*v280*/, v153
	s_set_vgpr_msb 0                        ;  msbs: dst=0 src0=0 src1=0 src2=0
	v_mul_i32_i24_e32 v150, v175, v150
	v_mul_i32_i24_e32 v147, v176, v147
	;; [unrolled: 1-line block ×4, first 2 shown]
	v_add3_u32 v153, v153, v154, v173
	v_bfe_u32 v154, v84, 20, 4
	v_bfe_u32 v173, v84, 4, 4
	v_cvt_f32_i32_e32 v80, v10
	v_dual_lshrrev_b32 v10, 4, v84 :: v_dual_lshrrev_b32 v84, 4, v85
	v_mul_i32_i24_e32 v172, v175, v172
	v_add3_u32 v149, v151, v149, v150
	v_bfe_u32 v150, v85, 20, 4
	s_delay_alu instid0(VALU_DEP_4)
	v_lshrrev_b16 v10, 8, v10
	v_lshrrev_b16 v84, 8, v84
	v_mul_i32_i24_e32 v169, v176, v169
	v_mul_i32_i24_e32 v170, v174, v170
	s_set_vgpr_msb 4                        ;  msbs: dst=0 src0=0 src1=1 src2=0
	v_mul_i32_i24_e32 v182, v5, v27 /*v283*/
	s_set_vgpr_msb 0                        ;  msbs: dst=0 src0=0 src1=0 src2=0
	v_and_b32_e32 v10, 15, v10
	v_and_b32_e32 v84, 15, v84
	s_set_vgpr_msb 4                        ;  msbs: dst=0 src0=0 src1=1 src2=0
	v_mul_i32_i24_e32 v199, v175, v28 /*v284*/
	s_set_vgpr_msb 0                        ;  msbs: dst=0 src0=0 src1=0 src2=0
	v_add3_u32 v147, v149, v147, v148
	v_add3_u32 v148, v152, v171, v172
	v_and_b32_e32 v10, 0xffff, v10
	v_and_b32_e32 v84, 0xffff, v84
	v_add3_u32 v149, v153, v182, v199
	v_ashrrev_i32_e32 v153, 24, v6
	v_add3_u32 v148, v148, v169, v170
	v_mul_i32_i24_e32 v10, v10, v164
	v_lshrrev_b32_e32 v164, 28, v85
	v_bfe_u32 v85, v85, 4, 4
	v_mul_i32_i24_e32 v151, v84, v175
	v_lshrrev_b32_e32 v84, 4, v86
	v_bfe_i32 v169, v6, 16, 8
	v_mul_i32_i24_e32 v152, v164, v174
	v_mul_i32_i24_e32 v5, v85, v5
	v_lshrrev_b32_e32 v85, 28, v86
	v_lshrrev_b16 v84, 8, v84
	v_bfe_i32 v164, v183, 0, 8
	v_bfe_i32 v6, v6, 0, 8
	s_set_vgpr_msb 4                        ;  msbs: dst=0 src0=0 src1=1 src2=0
	v_mul_i32_i24_e32 v202, v176, v26 /*v282*/
	v_mul_i32_i24_e32 v207, v174, v29 /*v285*/
	s_set_vgpr_msb 0                        ;  msbs: dst=0 src0=0 src1=0 src2=0
	v_and_b32_e32 v84, 15, v84
	v_mul_i32_i24_e32 v145, v164, v145
	v_mul_i32_i24_e32 v144, v6, v144
	v_mul_i32_i24_e32 v167, v6, v167
	s_set_vgpr_msb 4                        ;  msbs: dst=0 src0=0 src1=1 src2=0
	v_mul_i32_i24_e32 v170, v6, v31 /*v287*/
	s_set_vgpr_msb 0                        ;  msbs: dst=0 src0=0 src1=0 src2=0
	v_and_b32_e32 v84, 0xffff, v84
	v_add3_u32 v149, v149, v202, v207
	v_add3_u32 v144, v147, v144, v145
	v_bfe_u32 v145, v86, 20, 4
	v_bfe_u32 v86, v86, 4, 4
	v_mul_i32_i24_e32 v142, v169, v142
	v_mul_i32_i24_e32 v143, v153, v143
	;; [unrolled: 1-line block ×3, first 2 shown]
	s_set_vgpr_msb 4                        ;  msbs: dst=0 src0=0 src1=1 src2=0
	v_mul_i32_i24_e32 v171, v164, v32 /*v288*/
	s_set_vgpr_msb 0                        ;  msbs: dst=0 src0=0 src1=0 src2=0
	v_mul_i32_i24_e32 v6, v86, v6
	v_mul_i32_i24_e32 v86, v84, v164
	v_lshrrev_b32_e32 v84, 4, v87
	v_mul_i32_i24_e32 v147, v85, v153
	v_lshrrev_b32_e32 v85, 28, v87
	v_mul_i32_i24_e32 v166, v153, v166
	s_set_vgpr_msb 4                        ;  msbs: dst=0 src0=0 src1=1 src2=0
	v_mul_i32_i24_e32 v174, v153, v33 /*v289*/
	s_set_vgpr_msb 0                        ;  msbs: dst=0 src0=0 src1=0 src2=0
	v_lshrrev_b16 v84, 8, v84
	v_add3_u32 v142, v144, v142, v143
	v_add3_u32 v143, v148, v167, v168
	;; [unrolled: 1-line block ×3, first 2 shown]
	s_delay_alu instid0(VALU_DEP_4)
	v_dual_ashrrev_i32 v148, 24, v7 :: v_dual_bitop2_b32 v84, 15, v84 bitop3:0x40
	v_bfe_i32 v149, v184, 0, 8
	v_bfe_i32 v153, v7, 16, 8
	v_bfe_i32 v7, v7, 0, 8
	v_mul_i32_i24_e32 v165, v169, v165
	s_set_vgpr_msb 4                        ;  msbs: dst=0 src0=0 src1=1 src2=0
	v_mul_i32_i24_e32 v172, v169, v30 /*v286*/
	s_set_vgpr_msb 0                        ;  msbs: dst=0 src0=0 src1=0 src2=0
	v_mul_i32_i24_e32 v141, v149, v141
	v_mul_i32_i24_e32 v138, v153, v138
	;; [unrolled: 1-line block ×3, first 2 shown]
	v_add3_u32 v143, v143, v165, v166
	v_mul_i32_i24_e32 v139, v148, v139
	v_mul_i32_i24_e32 v160, v7, v160
	;; [unrolled: 1-line block ×3, first 2 shown]
	v_add3_u32 v140, v142, v140, v141
	v_add3_u32 v144, v144, v172, v174
	v_mul_i32_i24_e32 v158, v153, v158
	v_mul_i32_i24_e32 v159, v148, v159
	;; [unrolled: 1-line block ×4, first 2 shown]
	v_add3_u32 v138, v140, v138, v139
	v_add3_u32 v139, v143, v160, v161
	v_bfe_u32 v141, v87, 20, 4
	v_and_b32_e32 v84, 0xffff, v84
	v_bfe_u32 v87, v87, 4, 4
	v_lshrrev_b16 v143, 8, v0
	v_mul_i32_i24_e32 v166, v153, v203
	v_mul_i32_i24_e32 v167, v148, v204
	v_add3_u32 v139, v139, v158, v159
	v_add3_u32 v140, v144, v164, v165
	v_mul_i32_i24_e32 v7, v87, v7
	v_mul_i32_i24_e32 v87, v84, v149
	;; [unrolled: 1-line block ×3, first 2 shown]
	v_lshrrev_b32_e32 v84, 4, v200
	v_ashrrev_i32_e32 v153, 24, v0
	v_bfe_i32 v143, v143, 0, 8
	v_bfe_i32 v158, v0, 16, 8
	v_bfe_i32 v0, v0, 0, 8
	v_add3_u32 v140, v140, v166, v167
	v_mul_i32_i24_e32 v142, v85, v148
	v_lshrrev_b32_e32 v85, 28, v200
	v_lshrrev_b16 v84, 8, v84
	v_mul_i32_i24_e32 v159, v0, v197
	v_mul_i32_i24_e32 v160, v143, v198
	;; [unrolled: 1-line block ×4, first 2 shown]
	v_and_b32_e32 v84, 15, v84
	v_mul_i32_i24_e32 v137, v143, v137
	v_add3_u32 v140, v140, v159, v160
	v_bfe_u32 v160, v200, 4, 4
	v_mul_i32_i24_e32 v157, v143, v157
	v_lshrrev_b16 v144, 8, v1
	v_mul_i32_i24_e32 v161, v158, v195
	v_mul_i32_i24_e32 v145, v145, v169
	v_mul_i32_i24_e32 v0, v160, v0
	v_mul_i32_i24_e32 v160, v85, v153
	v_lshrrev_b32_e32 v85, 28, v201
	v_and_b32_e32 v84, 0xffff, v84
	v_bfe_i32 v144, v144, 0, 8
	v_ashrrev_i32_e32 v169, 24, v2
	v_bfe_i32 v170, v2, 16, 8
	v_mul_i32_i24_e32 v150, v150, v176
	v_mul_i32_i24_e32 v143, v84, v143
	v_lshrrev_b32_e32 v84, 4, v201
	v_mul_i32_i24_e32 v164, v153, v196
	v_mul_i32_i24_e32 v166, v144, v194
	;; [unrolled: 1-line block ×4, first 2 shown]
	v_lshrrev_b16 v84, 8, v84
	v_add3_u32 v140, v140, v161, v164
	v_ashrrev_i32_e32 v161, 24, v1
	v_bfe_i32 v164, v1, 16, 8
	v_bfe_i32 v1, v1, 0, 8
	v_and_b32_e32 v84, 15, v84
	v_bfe_u32 v176, v83, 4, 4
	v_mul_i32_i24_e32 v168, v161, v192
	v_mul_i32_i24_e32 v167, v164, v191
	;; [unrolled: 1-line block ×3, first 2 shown]
	v_and_b32_e32 v84, 0xffff, v84
	v_bfe_u32 v182, v79, 4, 4
	v_bfe_u32 v183, v83, 12, 4
	v_lshrrev_b32_e32 v187, 28, v83
	v_add3_u32 v140, v140, v165, v166
	v_bfe_u32 v166, v201, 4, 4
	v_lshrrev_b32_e32 v188, 28, v79
	v_mul_i32_i24_e32 v135, v135, v158
	v_mul_i32_i24_e32 v155, v155, v158
	v_add3_u32 v140, v140, v167, v168
	v_mul_i32_i24_e32 v167, v84, v144
	v_lshrrev_b32_e32 v84, 4, v8
	v_mul_i32_i24_e32 v168, v85, v161
	v_lshrrev_b32_e32 v85, 28, v8
	v_mul_i32_i24_e32 v78, v153, v78
	v_mul_i32_i24_e32 v82, v153, v82
	v_lshrrev_b16 v84, 8, v84
	v_add3_u32 v136, v138, v136, v137
	v_add3_u32 v137, v139, v156, v157
	v_lshrrev_b16 v148, 8, v2
	v_mul_i32_i24_e32 v166, v166, v1
	v_and_b32_e32 v84, 15, v84
	v_bfe_i32 v2, v2, 0, 8
	v_bfe_u32 v184, v79, 12, 4
	v_bfe_u32 v83, v83, 20, 4
	v_add3_u32 v82, v137, v155, v82
	v_add3_u32 v78, v136, v135, v78
	v_mul_i32_i24_e32 v135, v1, v182
	v_mul_i32_i24_e32 v1, v1, v176
	;; [unrolled: 1-line block ×3, first 2 shown]
	v_bfe_i32 v148, v148, 0, 8
	v_mul_i32_i24_e32 v171, v2, v189
	v_bfe_u32 v79, v79, 20, 4
	v_bfe_u32 v189, v74, 4, 4
	;; [unrolled: 1-line block ×3, first 2 shown]
	v_mul_i32_i24_e32 v136, v144, v184
	v_mul_i32_i24_e32 v83, v164, v83
	;; [unrolled: 1-line block ×3, first 2 shown]
	v_add3_u32 v1, v82, v1, v137
	v_mul_i32_i24_e32 v172, v148, v190
	v_bfe_u32 v190, v72, 4, 4
	v_bfe_u32 v192, v72, 12, 4
	v_mul_i32_i24_e32 v79, v164, v79
	v_mul_i32_i24_e32 v138, v161, v188
	v_add3_u32 v78, v78, v135, v136
	v_add3_u32 v1, v1, v83, v139
	v_mul_i32_i24_e32 v82, v2, v189
	v_mul_i32_i24_e32 v135, v148, v191
	v_dual_lshrrev_b32 v193, 28, v74 :: v_dual_lshrrev_b32 v194, 28, v72
	v_bfe_u32 v74, v74, 20, 4
	v_bfe_u32 v72, v72, 20, 4
	v_add3_u32 v78, v78, v79, v138
	v_mul_i32_i24_e32 v79, v2, v190
	v_mul_i32_i24_e32 v83, v148, v192
	v_add3_u32 v1, v1, v82, v135
	v_dual_lshrrev_b32 v82, 4, v9 :: v_dual_lshrrev_b32 v135, 28, v9
	v_mul_i32_i24_e32 v136, v170, v72
	v_mul_i32_i24_e32 v72, v170, v74
	;; [unrolled: 1-line block ×4, first 2 shown]
	v_add3_u32 v78, v78, v79, v83
	v_lshrrev_b16 v82, 8, v82
	v_lshrrev_b16 v149, 8, v3
	v_and_b32_e32 v79, 0xffff, v84
	v_add3_u32 v72, v1, v72, v137
	v_add3_u32 v74, v78, v136, v74
	v_bfe_u32 v78, v8, 20, 4
	v_bfe_u32 v8, v8, 4, 4
	v_dual_ashrrev_i32 v82, 24, v3 :: v_dual_bitop2_b32 v136, 15, v82 bitop3:0x40
	v_bfe_i32 v84, v3, 16, 8
	v_bfe_i32 v137, v3, 0, 8
	v_and_b32_e32 v3, 15, v134
	v_and_b32_e32 v83, 15, v146
	v_add3_u32 v1, v140, v171, v172
	v_mul_i32_i24_e32 v2, v8, v2
	v_mul_i32_i24_e32 v8, v79, v148
	v_mul_i32_i24_e32 v79, v85, v169
	v_bfe_i32 v85, v149, 0, 8
	v_perm_b32 v3, v83, v3, 0x5040100
	v_add3_u32 v1, v1, v174, v175
	v_mul_i32_i24_e32 v138, v84, v177
	v_mul_i32_i24_e32 v139, v82, v179
	;; [unrolled: 1-line block ×3, first 2 shown]
	v_pk_mul_lo_u16 v83, v3, v137 op_sel_hi:[1,0]
	v_mul_i32_i24_e32 v3, v137, v180
	v_mad_i32_i24 v4, v173, v4, v5
	v_bfe_u32 v159, v200, 20, 4
	v_bfe_u32 v165, v201, 20, 4
	v_mad_i32_i24 v5, v154, v186, v150
	v_add3_u32 v1, v1, v3, v134
	v_add3_u32 v10, v10, v151, v86
	;; [unrolled: 1-line block ×3, first 2 shown]
	v_mul_i32_i24_e32 v159, v159, v158
	v_mul_i32_i24_e32 v165, v165, v164
	v_add3_u32 v1, v1, v138, v139
	v_mad_i32_i24 v11, v11, v185, v152
	v_add3_u32 v5, v5, v145, v141
	v_add3_u32 v6, v10, v87, v143
	;; [unrolled: 1-line block ×3, first 2 shown]
	v_mul_lo_u32 v1, v1, v178
	v_add3_u32 v11, v11, v147, v142
	v_add3_u32 v4, v5, v159, v165
	;; [unrolled: 1-line block ×3, first 2 shown]
	v_and_b32_e32 v134, 0xffff, v136
	v_mul_i32_i24_e32 v135, v135, v82
	v_add3_u32 v7, v11, v160, v168
	v_mul_i32_i24_e32 v78, v78, v170
	s_wait_dscnt 0x0
	v_cvt_f32_ubyte0_e32 v81, v162
	v_mul_i32_i24_e32 v134, v134, v85
	v_bfe_u32 v86, v75, 24, 4
	v_cvt_f32_i32_e32 v3, v1
	v_bfe_u32 v1, v9, 20, 4
	v_bfe_u32 v9, v9, 4, 4
	v_add3_u32 v6, v7, v79, v135
	v_bfe_u32 v87, v73, 24, 4
	v_mul_i32_i24_e32 v86, v128, v86
	v_mul_i32_i24_e32 v1, v1, v84
	;; [unrolled: 1-line block ×3, first 2 shown]
	v_bfe_u32 v135, v75, 20, 4
	v_mul_i32_i24_e32 v87, v128, v87
	v_bfe_i32 v128, v132, 0, 16
	v_add3_u32 v1, v4, v78, v1
	v_add3_u32 v0, v0, v2, v9
	ds_load_b64 v[8:9], v118
	v_add3_u32 v2, v5, v134, v6
	v_add3_u32 v126, v126, v129, v128
	v_lshrrev_b32_e32 v134, 28, v73
	v_bfe_u32 v136, v73, 20, 4
	v_bfe_u32 v73, v73, 12, 4
	v_add3_u32 v0, v0, v1, v2
	v_and_b32_e32 v1, 0xffff, v163
	v_add_nc_u32_e32 v118, 8, v118
	s_delay_alu instid0(VALU_DEP_4) | instskip(NEXT) | instid1(VALU_DEP_3)
	v_mul_i32_i24_e32 v73, v85, v73
	v_mul_lo_u32 v0, v0, v1
	v_cvt_f32_ubyte1_e32 v1, v162
	s_wait_dscnt 0x0
	v_lshrrev_b32_e32 v2, 16, v8
	v_cvt_f32_f16_e32 v10, v8
	v_fma_mix_f32 v8, v8, v133, 0 op_sel_hi:[1,0,0]
	v_lshrrev_b32_e32 v133, 28, v75
	v_bfe_u32 v75, v75, 12, 4
	v_cvt_f32_f16_e32 v11, v2
	v_lshrrev_b32_e32 v2, 16, v9
	v_cvt_f32_i32_e32 v0, v0
	v_cvt_f32_f16_e32 v4, v9
	v_mul_i32_i24_e32 v75, v85, v75
	v_mov_b32_e32 v6, v11
	v_cvt_f32_f16_e32 v5, v2
	v_mul_i32_i24_e32 v85, v84, v136
	v_mul_i32_i24_e32 v84, v84, v135
	v_fma_mix_f32 v3, v9, v3, v8 op_sel_hi:[1,0,0]
	s_delay_alu instid0(VALU_DEP_1) | instskip(NEXT) | instid1(VALU_DEP_1)
	v_dual_mov_b32 v7, v5 :: v_dual_mul_f32 v8, v3, v119
	v_pk_mul_f32 v[6:7], v[6:7], v[76:77]
	ds_load_u16 v76, v124
	ds_load_u16 v77, v124 offset:8
	v_add_f32_e32 v2, 0, v6
	s_delay_alu instid0(VALU_DEP_1)
	v_add_f32_e32 v2, v2, v7
	v_pk_fma_f32 v[6:7], v[80:81], v[10:11], 0 op_sel_hi:[1,1,0]
	ds_load_u16 v78, v125 offset:17408
	ds_load_u16 v81, v125 offset:17416
	v_mul_f32_e32 v2, v2, v120
	v_pk_fma_f32 v[0:1], v[0:1], v[4:5], v[6:7]
	s_wait_dscnt 0x3
	v_lshrrev_b16 v80, 8, v76
	v_and_b32_e32 v76, 0xff, v76
	s_delay_alu instid0(VALU_DEP_3) | instskip(NEXT) | instid1(VALU_DEP_3)
	v_pk_mul_f32 v[0:1], v[0:1], v[68:69]
	v_and_b32_e32 v137, 0xffff, v80
	s_wait_dscnt 0x2
	v_cvt_f32_ubyte1_e32 v80, v77
	s_delay_alu instid0(VALU_DEP_3)
	v_dual_mov_b32 v9, v0 :: v_dual_mov_b32 v3, v1
	s_wait_dscnt 0x1
	v_lshrrev_b16 v124, 8, v78
	v_and_b32_e32 v125, 0xff, v78
	v_cvt_f32_ubyte0_e32 v78, v77
	v_mul_i32_i24_e32 v77, v122, v130
	v_mul_i32_i24_e32 v122, v123, v130
	v_ashrrev_i32_e32 v123, 16, v132
	v_and_b32_e32 v124, 0xffff, v124
	s_wait_dscnt 0x0
	v_cvt_f32_ubyte0_e32 v79, v81
	v_add3_u32 v77, v126, v77, v87
	v_ashrrev_i32_e32 v87, 16, v83
	v_add3_u32 v123, v127, v131, v123
	v_bfe_i32 v83, v83, 0, 16
	v_cvt_f32_ubyte1_e32 v81, v81
	v_mul_lo_u32 v76, v77, v76
	v_add3_u32 v72, v72, v87, v75
	v_add3_u32 v86, v123, v122, v86
	;; [unrolled: 1-line block ×3, first 2 shown]
	v_pk_add_f32 v[2:3], v[8:9], v[2:3] neg_lo:[0,1] neg_hi:[0,1]
	s_delay_alu instid0(VALU_DEP_3) | instskip(SKIP_2) | instid1(VALU_DEP_4)
	v_mul_lo_u32 v77, v86, v125
	v_mul_i32_i24_e32 v86, v82, v134
	v_mul_i32_i24_e32 v82, v82, v133
	v_pk_add_f32 v[20:21], v[20:21], v[2:3]
	v_cvt_f32_i32_e32 v76, v76
	s_delay_alu instid0(VALU_DEP_4) | instskip(NEXT) | instid1(VALU_DEP_4)
	v_add3_u32 v73, v73, v85, v86
	v_add3_u32 v72, v72, v84, v82
	s_delay_alu instid0(VALU_DEP_2) | instskip(NEXT) | instid1(VALU_DEP_2)
	v_mul_lo_u32 v74, v73, v137
	v_mul_lo_u32 v72, v72, v124
	v_cvt_f32_i32_e32 v77, v77
	s_delay_alu instid0(VALU_DEP_2) | instskip(NEXT) | instid1(VALU_DEP_4)
	v_cvt_f32_i32_e32 v73, v72
	v_cvt_f32_i32_e32 v72, v74
	v_mov_b32_e32 v74, v11
	s_delay_alu instid0(VALU_DEP_4) | instskip(NEXT) | instid1(VALU_DEP_2)
	v_pk_fma_f32 v[10:11], v[10:11], v[76:77], 0 op_sel_hi:[0,1,0]
	v_pk_fma_f32 v[74:75], v[74:75], v[78:79], 0 op_sel_hi:[0,1,0]
	v_mov_b32_e32 v78, v5
	s_delay_alu instid0(VALU_DEP_3) | instskip(NEXT) | instid1(VALU_DEP_2)
	v_pk_fma_f32 v[10:11], v[4:5], v[72:73], v[10:11] op_sel_hi:[0,1,1]
	v_pk_fma_f32 v[74:75], v[78:79], v[80:81], v[74:75] op_sel_hi:[0,1,1]
	s_delay_alu instid0(VALU_DEP_1) | instskip(NEXT) | instid1(VALU_DEP_1)
	v_pk_mul_f32 v[74:75], v[74:75], v[70:71]
	v_pk_fma_f32 v[0:1], v[10:11], v[66:67], v[74:75] neg_lo:[0,0,1] neg_hi:[0,0,1]
	s_delay_alu instid0(VALU_DEP_1)
	v_pk_add_f32 v[22:23], v[22:23], v[0:1]
	s_cbranch_scc1 .LBB231_19
; %bb.20:                               ;   in Loop: Header=BB231_5 Depth=1
	s_barrier_signal -1
	s_barrier_wait -1
	s_branch .LBB231_4
.LBB231_21:
	v_mov_b32_e32 v22, 0
	s_delay_alu instid0(VALU_DEP_1)
	v_dual_mov_b32 v23, v22 :: v_dual_mov_b32 v20, v22
	v_mov_b32_e32 v21, v22
.LBB231_22:
	s_mul_i32 s0, s7, s4
	s_wait_loadcnt 0x0
	v_cmp_gt_i32_e32 vcc_lo, s0, v13
	s_wait_xcnt 0x0
	s_and_saveexec_b32 s0, vcc_lo
	s_cbranch_execz .LBB231_31
; %bb.23:
	v_mul_lo_u32 v0, v13, s6
	v_add_nc_u32_e32 v1, s18, v17
	s_mov_b32 s0, exec_lo
	s_delay_alu instid0(VALU_DEP_1)
	v_cmpx_gt_u32_e64 s6, v1
	s_cbranch_execz .LBB231_25
; %bb.24:
	v_bfe_u32 v2, v22, 16, 1
	v_cmp_o_f32_e32 vcc_lo, v22, v22
	v_add_nc_u32_e32 v3, v0, v1
	s_delay_alu instid0(VALU_DEP_3) | instskip(NEXT) | instid1(VALU_DEP_1)
	v_add3_u32 v2, v22, v2, 0x7fff
	v_lshrrev_b32_e32 v2, 16, v2
	s_delay_alu instid0(VALU_DEP_1)
	v_cndmask_b32_e32 v2, 0x7fc0, v2, vcc_lo
	global_store_b16 v3, v2, s[8:9] scale_offset
.LBB231_25:
	s_wait_xcnt 0x0
	s_or_b32 exec_lo, exec_lo, s0
	v_add_nc_u32_e32 v2, 32, v1
	s_mov_b32 s0, exec_lo
	s_delay_alu instid0(VALU_DEP_1)
	v_cmpx_gt_u32_e64 s6, v2
	s_cbranch_execz .LBB231_27
; %bb.26:
	v_bfe_u32 v3, v23, 16, 1
	v_cmp_o_f32_e32 vcc_lo, v23, v23
	v_add_nc_u32_e32 v2, v0, v2
	s_delay_alu instid0(VALU_DEP_3) | instskip(NEXT) | instid1(VALU_DEP_1)
	v_add3_u32 v3, v23, v3, 0x7fff
	v_lshrrev_b32_e32 v3, 16, v3
	s_delay_alu instid0(VALU_DEP_1)
	v_cndmask_b32_e32 v3, 0x7fc0, v3, vcc_lo
	global_store_b16 v2, v3, s[8:9] scale_offset
.LBB231_27:
	s_wait_xcnt 0x0
	s_or_b32 exec_lo, exec_lo, s0
	;; [unrolled: 18-line block ×3, first 2 shown]
	v_add_nc_u32_e32 v1, 0x60, v1
	s_delay_alu instid0(VALU_DEP_1)
	v_cmp_gt_u32_e32 vcc_lo, s6, v1
	s_and_b32 exec_lo, exec_lo, vcc_lo
	s_cbranch_execz .LBB231_31
; %bb.30:
	v_bfe_u32 v2, v21, 16, 1
	v_cmp_o_f32_e32 vcc_lo, v21, v21
	v_add_nc_u32_e32 v0, v0, v1
	s_delay_alu instid0(VALU_DEP_3) | instskip(NEXT) | instid1(VALU_DEP_1)
	v_add3_u32 v2, v21, v2, 0x7fff
	v_lshrrev_b32_e32 v2, 16, v2
	s_delay_alu instid0(VALU_DEP_1)
	v_cndmask_b32_e32 v2, 0x7fc0, v2, vcc_lo
	global_store_b16 v0, v2, s[8:9] scale_offset
.LBB231_31:
	s_sendmsg sendmsg(MSG_DEALLOC_VGPRS)
	s_endpgm
	.section	.rodata,"a",@progbits
	.p2align	6, 0x0
	.amdhsa_kernel _ZL8moe_q4_KIN3c108BFloat16ELb0EEvPKvS3_PT_PKiS7_S7_iiiiiii
		.amdhsa_group_segment_fixed_size 20688
		.amdhsa_private_segment_fixed_size 0
		.amdhsa_kernarg_size 76
		.amdhsa_user_sgpr_count 2
		.amdhsa_user_sgpr_dispatch_ptr 0
		.amdhsa_user_sgpr_queue_ptr 0
		.amdhsa_user_sgpr_kernarg_segment_ptr 1
		.amdhsa_user_sgpr_dispatch_id 0
		.amdhsa_user_sgpr_kernarg_preload_length 0
		.amdhsa_user_sgpr_kernarg_preload_offset 0
		.amdhsa_user_sgpr_private_segment_size 0
		.amdhsa_wavefront_size32 1
		.amdhsa_uses_dynamic_stack 0
		.amdhsa_enable_private_segment 0
		.amdhsa_system_sgpr_workgroup_id_x 1
		.amdhsa_system_sgpr_workgroup_id_y 1
		.amdhsa_system_sgpr_workgroup_id_z 0
		.amdhsa_system_sgpr_workgroup_info 0
		.amdhsa_system_vgpr_workitem_id 1
		.amdhsa_next_free_vgpr 299
		.amdhsa_next_free_sgpr 24
		.amdhsa_named_barrier_count 0
		.amdhsa_reserve_vcc 1
		.amdhsa_float_round_mode_32 0
		.amdhsa_float_round_mode_16_64 0
		.amdhsa_float_denorm_mode_32 3
		.amdhsa_float_denorm_mode_16_64 3
		.amdhsa_fp16_overflow 0
		.amdhsa_memory_ordered 1
		.amdhsa_forward_progress 1
		.amdhsa_inst_pref_size 122
		.amdhsa_round_robin_scheduling 0
		.amdhsa_exception_fp_ieee_invalid_op 0
		.amdhsa_exception_fp_denorm_src 0
		.amdhsa_exception_fp_ieee_div_zero 0
		.amdhsa_exception_fp_ieee_overflow 0
		.amdhsa_exception_fp_ieee_underflow 0
		.amdhsa_exception_fp_ieee_inexact 0
		.amdhsa_exception_int_div_zero 0
	.end_amdhsa_kernel
	.section	.text._ZL8moe_q4_KIN3c108BFloat16ELb0EEvPKvS3_PT_PKiS7_S7_iiiiiii,"axG",@progbits,_ZL8moe_q4_KIN3c108BFloat16ELb0EEvPKvS3_PT_PKiS7_S7_iiiiiii,comdat
.Lfunc_end231:
	.size	_ZL8moe_q4_KIN3c108BFloat16ELb0EEvPKvS3_PT_PKiS7_S7_iiiiiii, .Lfunc_end231-_ZL8moe_q4_KIN3c108BFloat16ELb0EEvPKvS3_PT_PKiS7_S7_iiiiiii
                                        ; -- End function
	.set _ZL8moe_q4_KIN3c108BFloat16ELb0EEvPKvS3_PT_PKiS7_S7_iiiiiii.num_vgpr, 299
	.set _ZL8moe_q4_KIN3c108BFloat16ELb0EEvPKvS3_PT_PKiS7_S7_iiiiiii.num_agpr, 0
	.set _ZL8moe_q4_KIN3c108BFloat16ELb0EEvPKvS3_PT_PKiS7_S7_iiiiiii.numbered_sgpr, 24
	.set _ZL8moe_q4_KIN3c108BFloat16ELb0EEvPKvS3_PT_PKiS7_S7_iiiiiii.num_named_barrier, 0
	.set _ZL8moe_q4_KIN3c108BFloat16ELb0EEvPKvS3_PT_PKiS7_S7_iiiiiii.private_seg_size, 0
	.set _ZL8moe_q4_KIN3c108BFloat16ELb0EEvPKvS3_PT_PKiS7_S7_iiiiiii.uses_vcc, 1
	.set _ZL8moe_q4_KIN3c108BFloat16ELb0EEvPKvS3_PT_PKiS7_S7_iiiiiii.uses_flat_scratch, 0
	.set _ZL8moe_q4_KIN3c108BFloat16ELb0EEvPKvS3_PT_PKiS7_S7_iiiiiii.has_dyn_sized_stack, 0
	.set _ZL8moe_q4_KIN3c108BFloat16ELb0EEvPKvS3_PT_PKiS7_S7_iiiiiii.has_recursion, 0
	.set _ZL8moe_q4_KIN3c108BFloat16ELb0EEvPKvS3_PT_PKiS7_S7_iiiiiii.has_indirect_call, 0
	.section	.AMDGPU.csdata,"",@progbits
; Kernel info:
; codeLenInByte = 15516
; TotalNumSgprs: 26
; NumVgprs: 299
; ScratchSize: 0
; MemoryBound: 0
; FloatMode: 240
; IeeeMode: 1
; LDSByteSize: 20688 bytes/workgroup (compile time only)
; SGPRBlocks: 0
; VGPRBlocks: 18
; NumSGPRsForWavesPerEU: 26
; NumVGPRsForWavesPerEU: 299
; NamedBarCnt: 0
; Occupancy: 3
; WaveLimiterHint : 1
; COMPUTE_PGM_RSRC2:SCRATCH_EN: 0
; COMPUTE_PGM_RSRC2:USER_SGPR: 2
; COMPUTE_PGM_RSRC2:TRAP_HANDLER: 0
; COMPUTE_PGM_RSRC2:TGID_X_EN: 1
; COMPUTE_PGM_RSRC2:TGID_Y_EN: 1
; COMPUTE_PGM_RSRC2:TGID_Z_EN: 0
; COMPUTE_PGM_RSRC2:TIDIG_COMP_CNT: 1
	.section	.text._ZL8moe_q4_KIN3c108BFloat16ELb1EEvPKvS3_PT_PKiS7_S7_iiiiiii,"axG",@progbits,_ZL8moe_q4_KIN3c108BFloat16ELb1EEvPKvS3_PT_PKiS7_S7_iiiiiii,comdat
	.globl	_ZL8moe_q4_KIN3c108BFloat16ELb1EEvPKvS3_PT_PKiS7_S7_iiiiiii ; -- Begin function _ZL8moe_q4_KIN3c108BFloat16ELb1EEvPKvS3_PT_PKiS7_S7_iiiiiii
	.p2align	8
	.type	_ZL8moe_q4_KIN3c108BFloat16ELb1EEvPKvS3_PT_PKiS7_S7_iiiiiii,@function
_ZL8moe_q4_KIN3c108BFloat16ELb1EEvPKvS3_PT_PKiS7_S7_iiiiiii: ; @_ZL8moe_q4_KIN3c108BFloat16ELb1EEvPKvS3_PT_PKiS7_S7_iiiiiii
; %bb.0:
	s_load_b128 s[4:7], s[0:1], 0x18
	s_bfe_u32 s2, ttmp6, 0x40010
	s_bfe_u32 s8, ttmp6, 0x40004
	s_add_co_i32 s2, s2, 1
	s_delay_alu instid0(SALU_CYCLE_1)
	s_mul_i32 s3, ttmp7, s2
	s_getreg_b32 s2, hwreg(HW_REG_IB_STS2, 6, 4)
	s_add_co_i32 s8, s8, s3
	s_cmp_eq_u32 s2, 0
	s_cselect_b32 s3, ttmp7, s8
	s_wait_kmcnt 0x0
	s_load_b32 s14, s[6:7], s3 offset:0x0 scale_offset
	s_wait_kmcnt 0x0
	s_cmp_gt_u32 s14, 0xff
	s_cbranch_scc1 .LBB232_31
; %bb.1:
	s_load_b64 s[6:7], s[0:1], 0x28
	s_lshl_b32 s3, s3, 3
	s_wait_kmcnt 0x0
	s_load_b32 s6, s[6:7], 0x0
	s_wait_kmcnt 0x0
	s_cmp_gt_u32 s3, s6
	s_cbranch_scc1 .LBB232_31
; %bb.2:
	v_bfe_u32 v1, v0, 10, 10
	s_and_b32 s11, ttmp6, 15
	v_and_b32_e32 v29, 0x3ff, v0
	s_mov_b32 s15, 0
	s_delay_alu instid0(VALU_DEP_2) | instskip(SKIP_1) | instid1(SALU_CYCLE_1)
	v_add_nc_u32_e32 v2, s3, v1
	s_bfe_u32 s3, ttmp6, 0x4000c
	s_add_co_i32 s3, s3, 1
	s_delay_alu instid0(SALU_CYCLE_1)
	s_mul_i32 s3, ttmp9, s3
	global_load_b32 v13, v2, s[4:5] scale_offset
	s_wait_xcnt 0x0
	s_clause 0x2
	s_load_b128 s[4:7], s[0:1], 0x30
	s_load_b64 s[12:13], s[0:1], 0x10
	s_load_b96 s[8:10], s[0:1], 0x40
	s_add_co_i32 s11, s11, s3
	s_cmp_eq_u32 s2, 0
	s_cselect_b32 s2, ttmp9, s11
	s_delay_alu instid0(SALU_CYCLE_1)
	s_lshl_b32 s11, s2, 7
	s_wait_kmcnt 0x0
	s_cmp_lt_i32 s5, 0x100
	s_cbranch_scc1 .LBB232_21
; %bb.3:
	s_load_b128 s[0:3], s[0:1], 0x0
	s_mul_i32 s18, s14, s4
	s_not_b32 s4, s11
	v_bfe_u32 v4, v0, 2, 8
	s_add_co_i32 s20, s6, s4
	s_delay_alu instid0(SALU_CYCLE_1) | instskip(SKIP_3) | instid1(VALU_DEP_3)
	v_dual_lshlrev_b32 v31, 5, v1 :: v_dual_min_i32 v5, s20, v1
	v_lshlrev_b32_e32 v3, 2, v29
	s_ashr_i32 s19, s18, 31
	v_lshl_add_u32 v4, v1, 3, v4
	v_add_nc_u32_e32 v2, v31, v29
	s_ashr_i32 s16, s5, 31
	s_ashr_i32 s17, s8, 31
	s_lshr_b32 s14, s16, 24
	v_and_b32_e32 v7, 0x7f, v4
	v_and_b32_e32 v2, 0x7f, v2
	v_mov_b32_e32 v15, 0
	v_bitop3_b32 v4, v4, 64, 0x7f bitop3:0x6c
	s_lshr_b32 s16, s17, 27
	v_lshl_add_u32 v41, v1, 7, 0x4a40
	v_min_i32_e32 v10, s20, v2
	s_wait_kmcnt 0x0
	s_add_nc_u64 s[18:19], s[0:1], s[18:19]
	s_abs_i32 s1, s10
	v_and_b32_e32 v16, 3, v0
	s_cvt_f32_u32 s0, s1
	v_ashrrev_i32_e32 v2, 31, v10
	s_add_co_i32 s6, s8, s16
	v_min_i32_e32 v62, s20, v7
	v_rcp_iflag_f32_e32 v6, s0
	v_cmp_gt_u32_e32 vcc_lo, 2, v16
	v_lshrrev_b32_e32 v2, 27, v2
	s_sub_co_i32 s8, 0, s1
	v_min_i32_e32 v64, s20, v4
	v_bfe_u32 v12, v0, 5, 5
	v_add_min_i32_e64 v8, v1, 8, s20
	v_add_nc_u32_e32 v2, v10, v2
	v_readfirstlane_b32 s0, v6
	v_add_nc_u32_e32 v6, 0xfe, v16
	v_add_min_i32_e64 v9, v1, 16, s20
	v_add_min_i32_e64 v11, v1, 24, s20
	v_ashrrev_i32_e32 v2, 5, v2
	s_mul_f32 s0, s0, 0x4f7ffffe
	v_and_b32_e32 v4, 0xff, v6
	s_wait_loadcnt 0x0
	v_dual_ashrrev_i32 v6, 31, v64 :: v_dual_sub_nc_u32 v7, 0, v13
	v_lshlrev_b32_e32 v2, 2, v2
	s_cvt_u32_f32 s0, s0
	v_lshlrev_b32_e32 v17, 2, v10
	s_delay_alu instid0(VALU_DEP_3) | instskip(NEXT) | instid1(SALU_CYCLE_1)
	v_dual_lshrrev_b32 v6, 29, v6 :: v_dual_max_i32 v7, v13, v7
	s_mul_i32 s8, s8, s0
	v_add_min_i32_e64 v36, v1, 32, s20
	s_mul_hi_u32 s8, s0, s8
	v_add3_u32 v35, v2, v17, 0x4e40
	v_ashrrev_i32_e32 v2, 31, v62
	s_add_co_i32 s0, s0, s8
	v_cndmask_b32_e32 v17, v4, v16, vcc_lo
	v_mul_hi_u32 v18, v7, s0
	s_delay_alu instid0(VALU_DEP_3)
	v_dual_lshrrev_b32 v2, 29, v2 :: v_dual_bitop2_b32 v4, 4, v3 bitop3:0x40
	v_cmp_ne_u32_e32 vcc_lo, 0, v16
	v_add_min_i32_e64 v38, v1, 40, s20
	v_lshlrev_b32_e32 v39, 1, v17
	v_add_min_i32_e64 v40, v1, 48, s20
	v_add_nc_u32_e32 v2, v62, v2
	v_add_min_i32_e64 v42, v1, 56, s20
	v_add_min_i32_e64 v44, v1, 64, s20
	v_and_b32_e32 v21, 31, v0
	v_mul_lo_u32 v20, v18, s1
	v_dual_ashrrev_i32 v19, 3, v2 :: v_dual_lshlrev_b32 v24, 4, v64
	v_add_co_ci_u32_e64 v2, null, 0, v17, vcc_lo
	v_cmp_lt_u32_e32 vcc_lo, 1, v16
	v_dual_lshlrev_b32 v16, 2, v16 :: v_dual_add_nc_u32 v6, v64, v6
	v_add_nc_u32_e32 v22, 1, v18
	v_lshl_add_u32 v43, v21, 2, v41
	v_cndmask_b32_e32 v37, 0, v4, vcc_lo
	s_delay_alu instid0(VALU_DEP_4) | instskip(SKIP_3) | instid1(VALU_DEP_4)
	v_dual_sub_nc_u32 v20, v7, v20 :: v_dual_ashrrev_i32 v6, 3, v6
	v_cndmask_b32_e64 v4, 0, 1, vcc_lo
	v_mov_b32_e32 v7, v15
	v_add_min_i32_e64 v46, 0x48, v1, s20
	v_subrev_nc_u32_e32 v23, s1, v20
	v_lshlrev_b32_e32 v6, 2, v6
	v_cmp_le_u32_e32 vcc_lo, s1, v20
	v_add_nc_u32_e32 v25, 0x5050, v3
	v_xor_b32_e32 v21, s10, v13
	v_add_min_i32_e64 v48, 0x50, v1, s20
	v_add_min_i32_e64 v50, 0x58, v1, s20
	v_dual_cndmask_b32 v18, v18, v22, vcc_lo :: v_dual_cndmask_b32 v20, v20, v23, vcc_lo
	v_add_min_i32_e64 v52, 0x60, v1, s20
	v_add_min_i32_e64 v54, 0x68, v1, s20
	;; [unrolled: 1-line block ×3, first 2 shown]
	s_delay_alu instid0(VALU_DEP_4)
	v_add_nc_u32_e32 v22, 1, v18
	v_cmp_le_u32_e32 vcc_lo, s1, v20
	v_add_min_i32_e64 v58, 0x78, v1, s20
	v_lshlrev_b32_e32 v1, 4, v1
	v_bfe_u32 v45, v0, 3, 7
	v_dual_ashrrev_i32 v0, 31, v21 :: v_dual_cndmask_b32 v18, v18, v22, vcc_lo
	v_dual_add_nc_u32 v20, 32, v29 :: v_dual_lshlrev_b32 v21, 2, v12
	v_add_nc_u32_e32 v22, 64, v29
	v_add_nc_u32_e32 v23, 0x60, v29
	s_delay_alu instid0(VALU_DEP_4) | instskip(NEXT) | instid1(VALU_DEP_4)
	v_xor_b32_e32 v18, v18, v0
	v_lshrrev_b32_e32 v47, 3, v20
	s_ashr_i32 s6, s6, 5
	v_dual_lshrrev_b32 v26, 3, v22 :: v_dual_lshlrev_b32 v19, 2, v19
	s_delay_alu instid0(VALU_DEP_2) | instskip(SKIP_2) | instid1(VALU_DEP_3)
	v_dual_sub_nc_u32 v0, v18, v0 :: v_dual_bitop2_b32 v18, 60, v47 bitop3:0x40
	v_add3_u32 v49, v21, v3, 0x4e40
	v_dual_lshlrev_b32 v28, 2, v20 :: v_dual_lshlrev_b32 v32, 2, v22
	v_mul_lo_u32 v20, v0, s6
	s_delay_alu instid0(VALU_DEP_4) | instskip(SKIP_4) | instid1(VALU_DEP_3)
	v_add3_u32 v51, v3, v18, 0x4e40
	v_dual_mov_b32 v18, v15 :: v_dual_lshrrev_b32 v27, 3, v23
	v_dual_lshlrev_b32 v34, 2, v23 :: v_dual_bitop2_b32 v21, 60, v26 bitop3:0x40
	s_add_co_i32 s14, s5, s14
	v_add3_u32 v17, v19, v16, 0x4200
	v_and_b32_e32 v30, 60, v27
	s_ashr_i32 s4, s14, 8
	v_lshlrev_b32_e32 v19, 4, v62
	v_add3_u32 v16, v6, v16, 0x4200
	v_and_b32_e32 v6, 28, v3
	v_mad_u32 v33, 0x84, v5, v3
	v_add3_u32 v55, v3, v30, 0x4e40
	v_mad_u32 v89, 0x84, v8, v3
	v_mad_u32 v90, 0x84, v9, v3
	v_mad_u32 v91, 0x84, v11, v3
	v_mad_u32 v92, 0x84, v36, v3
	v_mad_u32 v93, 0x84, v38, v3
	v_mad_u32 v94, 0x84, v40, v3
	v_mad_u32 v95, 0x84, v42, v3
	v_mad_u32 v96, 0x84, v44, v3
	v_mad_u32 v97, 0x84, v46, v3
	v_mad_u32 v98, 0x84, v48, v3
	v_mad_u32 v99, 0x84, v50, v3
	v_mad_u32 v100, 0x84, v52, v3
	v_mad_u32 v101, 0x84, v54, v3
	v_mad_u32 v102, 0x84, v56, v3
	v_mad_u32 v103, 0x84, v58, v3
	v_dual_lshlrev_b32 v104, 2, v3 :: v_dual_lshlrev_b32 v105, 2, v28
	v_dual_lshlrev_b32 v106, 2, v32 :: v_dual_lshlrev_b32 v107, 2, v34
	v_mul_lo_u32 v28, v5, s4
	v_mul_lo_u32 v30, v8, s4
	;; [unrolled: 1-line block ×19, first 2 shown]
	s_mul_i32 s16, s4, s11
	v_cmp_gt_u32_e64 s0, 4, v29
	v_cmp_gt_i32_e64 s1, s7, v0
	s_movk_i32 s8, 0x1080
	s_movk_i32 s14, 0x2100
	;; [unrolled: 1-line block ×3, first 2 shown]
	v_add_nc_u64_e32 v[22:23], s[2:3], v[6:7]
	s_ashr_i32 s17, s16, 31
	v_and_b32_e32 v14, 0x7c, v3
	v_add3_u32 v53, v3, v21, 0x4e40
	v_dual_ashrrev_i32 v21, 31, v20 :: v_dual_lshlrev_b32 v59, 2, v27
	v_add_nc_u32_e32 v57, 0x5050, v1
	v_dual_lshlrev_b32 v61, 2, v26 :: v_dual_add_nc_u32 v63, v17, v19
	v_dual_mov_b32 v19, v15 :: v_dual_add_nc_u32 v65, v16, v24
	v_dual_mov_b32 v17, v15 :: v_dual_add_nc_u32 v88, v25, v1
	v_dual_mov_b32 v16, v15 :: v_dual_lshlrev_b32 v24, 2, v2
	v_dual_mov_b32 v25, v15 :: v_dual_lshlrev_b32 v26, 2, v4
	v_mov_b32_e32 v27, v15
	v_mul_u32_u24_e32 v108, 0x84, v29
	v_mad_u32_u24 v109, 0x84, v29, s8
	v_mad_u32_u24 v110, 0x84, v29, s14
	;; [unrolled: 1-line block ×4, first 2 shown]
	v_dual_lshlrev_b32 v113, 4, v29 :: v_dual_lshlrev_b32 v114, 2, v47
	v_lshl_or_b32 v115, v45, 2, 0x4200
	v_lshlrev_b32_e32 v116, 2, v45
	s_mul_u64 s[16:17], s[16:17], 0x90
	s_and_b32 s8, s0, s1
	s_add_nc_u64 s[16:17], s[18:19], s[16:17]
	s_mov_b32 s14, s15
	s_branch .LBB232_5
.LBB232_4:                              ;   in Loop: Header=BB232_5 Depth=1
	s_add_co_i32 s14, s14, 1
	s_delay_alu instid0(SALU_CYCLE_1)
	s_cmp_eq_u32 s14, s4
	s_cbranch_scc1 .LBB232_22
.LBB232_5:                              ; =>This Loop Header: Depth=1
                                        ;     Child Loop BB232_11 Depth 2
                                        ;     Child Loop BB232_19 Depth 2
	s_mul_u64 s[18:19], s[14:15], 0x90
	s_delay_alu instid0(SALU_CYCLE_1) | instskip(NEXT) | instid1(SALU_CYCLE_1)
	s_add_nc_u64 s[18:19], s[16:17], s[18:19]
	v_mad_nc_u64_u32 v[0:1], 0x90, v12, s[18:19]
	v_mad_nc_i64_i32 v[2:3], 0x90, v62, s[18:19]
	v_mad_nc_i64_i32 v[4:5], 0x90, v64, s[18:19]
	s_delay_alu instid0(VALU_DEP_3)
	v_mad_nc_i64_i32 v[6:7], 0x90, v28, v[0:1]
	v_mad_nc_i64_i32 v[8:9], 0x90, v30, v[0:1]
	;; [unrolled: 1-line block ×4, first 2 shown]
	s_wait_xcnt 0x0
	v_mad_nc_i64_i32 v[68:69], 0x90, v36, v[0:1]
	v_add_nc_u64_e32 v[82:83], v[2:3], v[24:25]
	v_mad_nc_i64_i32 v[70:71], 0x90, v38, v[0:1]
	v_add_nc_u64_e32 v[84:85], v[4:5], v[24:25]
	v_mad_nc_i64_i32 v[72:73], 0x90, v40, v[0:1]
	v_mad_nc_i64_i32 v[76:77], 0x90, v44, v[0:1]
	v_add_nc_u64_e32 v[4:5], v[4:5], v[26:27]
	v_mad_nc_i64_i32 v[74:75], 0x90, v42, v[0:1]
	;; [unrolled: 3-line block ×3, first 2 shown]
	v_mad_nc_i64_i32 v[86:87], 0x90, v50, v[0:1]
	v_mad_nc_i64_i32 v[118:119], 0x90, v52, v[0:1]
	v_add_nc_u64_e32 v[6:7], v[6:7], v[14:15]
	s_clause 0x3
	global_load_b32 v117, v[82:83], off offset:4
	global_load_b32 v120, v[84:85], off offset:4
	;; [unrolled: 1-line block ×4, first 2 shown]
	s_wait_xcnt 0x0
	v_mad_nc_i64_i32 v[2:3], 0x90, v54, v[0:1]
	v_add_nc_u64_e32 v[8:9], v[8:9], v[14:15]
	v_mad_nc_i64_i32 v[4:5], 0x90, v56, v[0:1]
	v_add_nc_u64_e32 v[10:11], v[10:11], v[14:15]
	;; [unrolled: 2-line block ×3, first 2 shown]
	v_add_nc_u64_e32 v[68:69], v[68:69], v[14:15]
	v_add_nc_u64_e32 v[70:71], v[70:71], v[14:15]
	;; [unrolled: 1-line block ×5, first 2 shown]
	s_clause 0x7
	global_load_b32 v82, v[6:7], off offset:16
	global_load_b32 v83, v[8:9], off offset:16
	global_load_b32 v84, v[10:11], off offset:16
	global_load_b32 v85, v[66:67], off offset:16
	global_load_b32 v123, v[68:69], off offset:16
	global_load_b32 v124, v[70:71], off offset:16
	global_load_b32 v125, v[72:73], off offset:16
	global_load_b32 v126, v[74:75], off offset:16
	s_wait_xcnt 0x7
	v_add_nc_u64_e32 v[6:7], v[78:79], v[14:15]
	s_wait_xcnt 0x6
	v_add_nc_u64_e32 v[8:9], v[80:81], v[14:15]
	;; [unrolled: 2-line block ×4, first 2 shown]
	s_wait_xcnt 0x3
	v_mad_nc_i64_i32 v[68:69], 0x90, v60, s[18:19]
	v_add_nc_u64_e32 v[2:3], v[2:3], v[14:15]
	v_add_nc_u64_e32 v[4:5], v[4:5], v[14:15]
	;; [unrolled: 1-line block ×3, first 2 shown]
	s_clause 0x8
	global_load_b32 v70, v[76:77], off offset:16
	global_load_b32 v71, v[6:7], off offset:16
	;; [unrolled: 1-line block ×8, first 2 shown]
	global_load_b32 v80, v[68:69], off
	s_lshl_b32 s18, s14, 8
	s_delay_alu instid0(SALU_CYCLE_1)
	s_cmp_lt_i32 s18, s5
	s_wait_loadcnt 0x13
	s_wait_xcnt 0x1
	v_dual_ashrrev_i32 v0, v37, v117 :: v_dual_ashrrev_i32 v1, v37, v120
	s_wait_loadcnt 0x11
	v_dual_ashrrev_i32 v3, v39, v121 :: v_dual_ashrrev_i32 v2, v39, v122
	s_delay_alu instid0(VALU_DEP_2) | instskip(NEXT) | instid1(VALU_DEP_3)
	v_and_b32_e32 v0, 0xf0f0f0f, v0
	v_and_b32_e32 v1, 0xf0f0f0f, v1
	s_delay_alu instid0(VALU_DEP_2) | instskip(NEXT) | instid1(VALU_DEP_2)
	v_and_or_b32 v0, 0x30303030, v2, v0
	v_and_or_b32 v1, 0x30303030, v3, v1
	s_wait_loadcnt 0x10
	ds_store_b32 v33, v82
	s_wait_loadcnt 0xf
	ds_store_b32 v89, v83
	;; [unrolled: 2-line block ×17, first 2 shown]
	ds_store_b32 v63, v0
	ds_store_b32 v65, v1
	s_cbranch_scc0 .LBB232_4
; %bb.6:                                ;   in Loop: Header=BB232_5 Depth=1
	s_lshl_b32 s19, s14, 3
	s_delay_alu instid0(SALU_CYCLE_1) | instskip(NEXT) | instid1(VALU_DEP_1)
	v_add_nc_u32_e32 v0, s19, v45
	v_cmp_gt_i32_e32 vcc_lo, s6, v0
	s_and_b32 s21, s1, vcc_lo
	s_wait_xcnt 0x0
	s_and_saveexec_b32 s20, s21
	s_cbranch_execz .LBB232_8
; %bb.7:                                ;   in Loop: Header=BB232_5 Depth=1
	v_add_nc_u32_e32 v0, v20, v0
	s_delay_alu instid0(VALU_DEP_1)
	v_mad_nc_i64_i32 v[0:1], v0, 36, v[22:23]
	global_load_b32 v0, v[0:1], off offset:4
	s_wait_loadcnt 0x0
	ds_store_b32 v43, v0
.LBB232_8:                              ;   in Loop: Header=BB232_5 Depth=1
	s_or_b32 exec_lo, exec_lo, s20
	v_add_nc_u32_e32 v0, s19, v29
	s_delay_alu instid0(VALU_DEP_1) | instskip(SKIP_1) | instid1(SALU_CYCLE_1)
	v_cmp_gt_i32_e32 vcc_lo, s6, v0
	s_and_b32 s21, s8, vcc_lo
	s_and_saveexec_b32 s20, s21
	s_cbranch_execz .LBB232_10
; %bb.9:                                ;   in Loop: Header=BB232_5 Depth=1
	v_add_nc_u32_e32 v1, v20, v0
	s_delay_alu instid0(VALU_DEP_1)
	v_mad_nc_i64_i32 v[2:3], v1, 36, s[2:3]
	global_load_b32 v1, v[2:3], off
	s_wait_loadcnt 0x0
	ds_store_b32 v88, v1
.LBB232_10:                             ;   in Loop: Header=BB232_5 Depth=1
	s_or_b32 exec_lo, exec_lo, s20
	s_wait_dscnt 0x0
	s_barrier_signal -1
	s_barrier_wait -1
	ds_load_b32 v1, v51 offset:128
	ds_load_b32 v2, v49
	ds_load_b32 v4, v53 offset:256
	ds_load_b32 v6, v55 offset:384
	s_mov_b32 s21, 0
	s_mov_b32 s20, -1
	s_wait_dscnt 0x2
	v_dual_lshrrev_b32 v5, 16, v1 :: v_dual_lshrrev_b32 v7, 16, v2
	s_wait_dscnt 0x0
	v_dual_lshrrev_b32 v8, 16, v4 :: v_dual_lshrrev_b32 v9, 16, v6
	v_cvt_f32_f16_e32 v3, v1
	v_cvt_f32_f16_e32 v2, v2
	;; [unrolled: 1-line block ×8, first 2 shown]
.LBB232_11:                             ;   Parent Loop BB232_5 Depth=1
                                        ; =>  This Inner Loop Header: Depth=2
	s_lshr_b32 s23, s21, 2
	v_lshl_or_b32 v8, s21, 1, v31
	s_lshl_b32 s22, s21, 2
	s_add_co_i32 s21, s23, 0x4200
	v_dual_add_nc_u32 v80, s22, v108 :: v_dual_add_nc_u32 v141, s22, v109
	v_add3_u32 v81, s21, v114, v105
	v_dual_lshlrev_b32 v9, 2, v8 :: v_dual_lshrrev_b32 v8, 1, v8
	v_add3_u32 v10, s21, v116, v104
	ds_load_2addr_b32 v[72:73], v141 offset0:2 offset1:3
	ds_load_2addr_b32 v[70:71], v141 offset0:4 offset1:5
	ds_load_u16 v11, v81 offset:8
	ds_load_b128 v[66:69], v9 offset:19008
	ds_load_b128 v[74:77], v9 offset:19024
	;; [unrolled: 1-line block ×4, first 2 shown]
	ds_load_b64 v[8:9], v8 offset:20560
	ds_load_u16 v83, v10
	ds_load_u16 v10, v10 offset:8
	v_add3_u32 v186, s21, v59, v107
	v_add3_u32 v189, s21, v61, v106
	s_mov_b32 s21, 8
	s_and_b32 vcc_lo, exec_lo, s20
	s_mov_b32 s20, 0
	v_dual_add_nc_u32 v185, s22, v111 :: v_dual_add_nc_u32 v188, s22, v110
	s_wait_dscnt 0x7
	v_cvt_f32_ubyte0_e32 v79, v11
	v_cvt_f32_ubyte1_e32 v173, v11
	s_wait_dscnt 0x5
	v_lshrrev_b16 v162, 8, v74
	v_lshrrev_b16 v154, 8, v75
	v_dual_ashrrev_i32 v129, 24, v74 :: v_dual_ashrrev_i32 v117, 24, v75
	v_bfe_i32 v130, v74, 16, 8
	v_bfe_i32 v133, v74, 0, 8
	;; [unrolled: 1-line block ×4, first 2 shown]
	ds_load_2addr_b32 v[74:75], v80 offset1:1
	s_wait_dscnt 0x3
	v_lshrrev_b32_e32 v11, 16, v8
	v_lshrrev_b16 v167, 8, v67
	v_lshrrev_b16 v168, 8, v68
	v_dual_ashrrev_i32 v175, 24, v66 :: v_dual_ashrrev_i32 v159, 24, v67
	v_bfe_i32 v160, v67, 16, 8
	v_bfe_i32 v164, v67, 0, 8
	v_dual_ashrrev_i32 v142, 24, v68 :: v_dual_ashrrev_i32 v135, 24, v69
	v_bfe_i32 v143, v68, 16, 8
	v_bfe_i32 v149, v68, 0, 8
	v_lshrrev_b32_e32 v68, 16, v9
	v_cvt_f32_f16_e32 v67, v11
	v_lshrrev_b16 v177, 8, v120
	v_dual_ashrrev_i32 v169, 24, v120 :: v_dual_ashrrev_i32 v153, 24, v121
	v_bfe_i32 v171, v120, 16, 8
	v_bfe_i32 v174, v120, 0, 8
	v_ashrrev_i32_e32 v120, 24, v180
	s_wait_dscnt 0x1
	v_cvt_f32_ubyte0_e32 v78, v10
	v_cvt_f32_ubyte1_e32 v172, v10
	v_cvt_f32_f16_e32 v11, v68
	v_mov_b32_e32 v10, v67
	v_lshrrev_b16 v147, 8, v66
	v_lshrrev_b16 v161, 8, v69
	v_bfe_i32 v184, v66, 0, 8
	v_bfe_i32 v137, v69, 16, 8
	v_bfe_i32 v139, v69, 0, 8
	v_lshrrev_b16 v155, 8, v76
	v_dual_ashrrev_i32 v86, 24, v76 :: v_dual_ashrrev_i32 v84, 24, v77
	v_bfe_i32 v87, v76, 16, 8
	v_bfe_i32 v118, v76, 0, 8
	v_pk_fma_f32 v[68:69], v[10:11], v[78:79], 0 op_sel_hi:[0,1,0]
	s_wait_dscnt 0x0
	v_dual_mov_b32 v10, v11 :: v_dual_bitop2_b32 v76, 15, v74 bitop3:0x40
	v_bfe_i32 v176, v66, 16, 8
	v_lshrrev_b16 v148, 8, v77
	v_bfe_i32 v85, v77, 16, 8
	v_bfe_i32 v66, v77, 0, 8
	v_lshrrev_b16 v166, 8, v121
	v_bfe_i32 v158, v121, 16, 8
	v_bfe_i32 v165, v121, 0, 8
	v_ashrrev_i32_e32 v121, 24, v181
	v_pk_fma_f32 v[68:69], v[10:11], v[172:173], v[68:69] op_sel_hi:[0,1,1]
	v_bfe_i32 v173, v147, 0, 8
	v_mul_i32_i24_e32 v76, v184, v76
	v_bfe_u32 v77, v74, 8, 4
	v_bfe_u32 v78, v74, 24, 4
	v_lshrrev_b16 v163, 8, v122
	v_lshrrev_b16 v156, 8, v123
	v_dual_ashrrev_i32 v144, 24, v122 :: v_dual_ashrrev_i32 v136, 24, v123
	v_mad_i32_i24 v76, v173, v77, v76
	v_bfe_u32 v77, v74, 16, 4
	v_mul_i32_i24_e32 v78, v175, v78
	v_bfe_i32 v145, v122, 16, 8
	v_bfe_i32 v152, v122, 0, 8
	;; [unrolled: 1-line block ×3, first 2 shown]
	v_mul_i32_i24_e32 v77, v176, v77
	v_bfe_i32 v140, v123, 0, 8
	v_lshrrev_b16 v157, 8, v178
	v_lshrrev_b16 v150, 8, v179
	;; [unrolled: 1-line block ×3, first 2 shown]
	v_add3_u32 v170, v76, v77, v78
	ds_load_2addr_b32 v[76:77], v141 offset1:1
	v_lshrrev_b16 v146, 8, v181
	v_dual_ashrrev_i32 v131, 24, v178 :: v_dual_ashrrev_i32 v123, 24, v179
	v_bfe_i32 v132, v178, 16, 8
	v_bfe_i32 v134, v178, 0, 8
	;; [unrolled: 1-line block ×16, first 2 shown]
	s_wait_dscnt 0x0
	v_and_b32_e32 v78, 15, v76
	v_bfe_u32 v79, v76, 8, 4
	v_bfe_u32 v147, v76, 24, 4
	v_bfe_i32 v148, v148, 0, 8
	v_pk_mul_f32 v[68:69], v[68:69], v[4:5]
	v_mul_i32_i24_e32 v78, v184, v78
	s_delay_alu instid0(VALU_DEP_4) | instskip(NEXT) | instid1(VALU_DEP_2)
	v_mul_i32_i24_e32 v147, v175, v147
	v_mad_i32_i24 v78, v173, v79, v78
	v_bfe_u32 v79, v76, 16, 4
	s_delay_alu instid0(VALU_DEP_1) | instskip(NEXT) | instid1(VALU_DEP_1)
	v_mul_i32_i24_e32 v79, v176, v79
	v_add3_u32 v172, v78, v79, v147
	ds_load_2addr_b32 v[178:179], v185 offset0:2 offset1:3
	ds_load_2addr_b32 v[78:79], v185 offset0:4 offset1:5
	ds_load_u16 v147, v186 offset:8
	ds_load_2addr_b32 v[180:181], v185 offset1:1
	s_wait_dscnt 0x0
	v_and_b32_e32 v182, 15, v181
	v_and_b32_e32 v183, 15, v180
	v_bfe_u32 v192, v180, 16, 4
	v_bfe_u32 v193, v180, 24, 4
	v_lshrrev_b32_e32 v194, 28, v180
	v_mul_i32_i24_e32 v182, v182, v164
	s_delay_alu instid0(VALU_DEP_1) | instskip(SKIP_4) | instid1(VALU_DEP_1)
	v_mad_i32_i24 v187, v183, v184, v182
	ds_load_u16 v190, v189 offset:8
	ds_load_2addr_b32 v[182:183], v188 offset1:1
	s_wait_dscnt 0x0
	v_and_b32_e32 v191, 15, v182
	v_mul_i32_i24_e32 v184, v184, v191
	v_bfe_u32 v191, v181, 16, 4
	s_delay_alu instid0(VALU_DEP_1) | instskip(NEXT) | instid1(VALU_DEP_1)
	v_mul_i32_i24_e32 v191, v191, v160
	v_mad_i32_i24 v191, v192, v176, v191
	v_bfe_u32 v192, v182, 16, 4
	s_delay_alu instid0(VALU_DEP_1) | instskip(SKIP_1) | instid1(VALU_DEP_1)
	v_mul_i32_i24_e32 v176, v176, v192
	v_bfe_u32 v192, v181, 24, 4
	v_mul_i32_i24_e32 v192, v192, v159
	s_delay_alu instid0(VALU_DEP_1) | instskip(SKIP_1) | instid1(VALU_DEP_1)
	v_mad_i32_i24 v192, v193, v175, v192
	v_bfe_u32 v193, v182, 24, 4
	v_mul_i32_i24_e32 v175, v175, v193
	v_bfe_u32 v193, v182, 8, 4
	s_delay_alu instid0(VALU_DEP_1) | instskip(SKIP_2) | instid1(VALU_DEP_3)
	v_mad_i32_i24 v184, v173, v193, v184
	v_bfe_i32 v193, v177, 0, 8
	v_bfe_u32 v177, v180, 20, 4
	v_add3_u32 v184, v184, v176, v175
	v_bfe_u32 v175, v178, 16, 4
	v_bfe_u32 v176, v179, 16, 4
	s_delay_alu instid0(VALU_DEP_2) | instskip(NEXT) | instid1(VALU_DEP_2)
	v_mul_i32_i24_e32 v175, v175, v143
	v_mul_i32_i24_e32 v176, v176, v137
	s_delay_alu instid0(VALU_DEP_1) | instskip(SKIP_2) | instid1(VALU_DEP_2)
	v_add3_u32 v191, v191, v175, v176
	v_and_b32_e32 v175, 15, v178
	v_and_b32_e32 v176, 15, v179
	v_mul_i32_i24_e32 v175, v175, v149
	s_delay_alu instid0(VALU_DEP_2) | instskip(NEXT) | instid1(VALU_DEP_1)
	v_mul_i32_i24_e32 v176, v176, v139
	v_add3_u32 v187, v187, v175, v176
	v_bfe_u32 v175, v178, 24, 4
	v_bfe_u32 v176, v179, 24, 4
	s_delay_alu instid0(VALU_DEP_2) | instskip(NEXT) | instid1(VALU_DEP_2)
	v_mul_i32_i24_e32 v175, v175, v142
	v_mul_i32_i24_e32 v176, v176, v135
	s_delay_alu instid0(VALU_DEP_1) | instskip(SKIP_2) | instid1(VALU_DEP_2)
	v_add3_u32 v192, v192, v175, v176
	v_bfe_u32 v175, v74, 4, 4
	v_bfe_u32 v176, v74, 12, 4
	v_mul_i32_i24_e32 v175, v174, v175
	s_delay_alu instid0(VALU_DEP_1) | instskip(SKIP_2) | instid1(VALU_DEP_2)
	v_mad_i32_i24 v175, v193, v176, v175
	v_bfe_u32 v176, v74, 20, 4
	v_lshrrev_b32_e32 v74, 28, v74
	v_mul_i32_i24_e32 v176, v171, v176
	s_delay_alu instid0(VALU_DEP_2) | instskip(NEXT) | instid1(VALU_DEP_1)
	v_mul_i32_i24_e32 v74, v169, v74
	v_add3_u32 v74, v175, v176, v74
	v_bfe_u32 v175, v76, 4, 4
	v_bfe_u32 v176, v76, 12, 4
	s_delay_alu instid0(VALU_DEP_2) | instskip(NEXT) | instid1(VALU_DEP_1)
	v_mul_i32_i24_e32 v175, v174, v175
	v_mad_i32_i24 v175, v193, v176, v175
	v_bfe_u32 v176, v76, 20, 4
	v_lshrrev_b32_e32 v76, 28, v76
	s_delay_alu instid0(VALU_DEP_2) | instskip(NEXT) | instid1(VALU_DEP_2)
	v_mul_i32_i24_e32 v176, v171, v176
	v_mul_i32_i24_e32 v76, v169, v76
	s_delay_alu instid0(VALU_DEP_1) | instskip(SKIP_2) | instid1(VALU_DEP_2)
	v_add3_u32 v76, v175, v176, v76
	v_bfe_u32 v175, v181, 4, 4
	v_bfe_u32 v176, v180, 4, 4
	v_mul_i32_i24_e32 v175, v175, v165
	s_delay_alu instid0(VALU_DEP_1) | instskip(SKIP_1) | instid1(VALU_DEP_1)
	v_mad_i32_i24 v175, v176, v174, v175
	v_bfe_u32 v176, v182, 4, 4
	v_mul_i32_i24_e32 v174, v174, v176
	v_bfe_u32 v176, v181, 20, 4
	s_delay_alu instid0(VALU_DEP_1) | instskip(NEXT) | instid1(VALU_DEP_1)
	v_mul_i32_i24_e32 v176, v176, v158
	v_mad_i32_i24 v176, v177, v171, v176
	v_bfe_u32 v177, v182, 20, 4
	s_delay_alu instid0(VALU_DEP_1) | instskip(SKIP_1) | instid1(VALU_DEP_1)
	v_mul_i32_i24_e32 v171, v171, v177
	v_lshrrev_b32_e32 v177, 28, v181
	v_mul_i32_i24_e32 v177, v177, v153
	s_delay_alu instid0(VALU_DEP_1) | instskip(SKIP_2) | instid1(VALU_DEP_2)
	v_mad_i32_i24 v177, v194, v169, v177
	v_lshrrev_b32_e32 v194, 28, v182
	v_bfe_u32 v182, v182, 12, 4
	v_mul_i32_i24_e32 v169, v169, v194
	s_delay_alu instid0(VALU_DEP_2) | instskip(NEXT) | instid1(VALU_DEP_1)
	v_mad_i32_i24 v174, v193, v182, v174
	v_add3_u32 v169, v174, v171, v169
	v_bfe_u32 v171, v178, 20, 4
	v_bfe_u32 v174, v179, 20, 4
	s_delay_alu instid0(VALU_DEP_2) | instskip(NEXT) | instid1(VALU_DEP_2)
	v_mul_i32_i24_e32 v171, v171, v145
	v_mul_i32_i24_e32 v174, v174, v138
	s_delay_alu instid0(VALU_DEP_1) | instskip(SKIP_2) | instid1(VALU_DEP_2)
	v_add3_u32 v171, v176, v171, v174
	v_bfe_u32 v174, v178, 4, 4
	v_bfe_u32 v176, v179, 4, 4
	v_mul_i32_i24_e32 v174, v174, v152
	s_delay_alu instid0(VALU_DEP_2) | instskip(NEXT) | instid1(VALU_DEP_1)
	v_mul_i32_i24_e32 v176, v176, v140
	v_add3_u32 v182, v175, v174, v176
	v_dual_lshrrev_b32 v174, 28, v178 :: v_dual_lshrrev_b32 v175, 28, v179
	v_mov_b32_e32 v176, v67
	s_delay_alu instid0(VALU_DEP_2) | instskip(NEXT) | instid1(VALU_DEP_3)
	v_mul_i32_i24_e32 v174, v174, v144
	v_mul_i32_i24_e32 v175, v175, v136
	s_delay_alu instid0(VALU_DEP_1) | instskip(SKIP_4) | instid1(VALU_DEP_2)
	v_add3_u32 v194, v177, v174, v175
	v_cvt_f32_ubyte0_e32 v174, v190
	v_cvt_f32_ubyte1_e32 v175, v190
	v_mov_b32_e32 v177, v11
	v_bfe_i32 v190, v161, 0, 8
	v_pk_mul_f32 v[174:175], v[176:177], v[174:175]
	v_and_b32_e32 v176, 0xf0f0f0f, v180
	v_and_b32_e32 v177, 0xf0f0f0f, v178
	v_lshrrev_b32_e32 v178, 4, v178
	s_delay_alu instid0(VALU_DEP_3) | instskip(NEXT) | instid1(VALU_DEP_3)
	v_lshrrev_b16 v176, 8, v176
	v_lshrrev_b16 v177, 8, v177
	s_delay_alu instid0(VALU_DEP_3) | instskip(NEXT) | instid1(VALU_DEP_3)
	v_lshrrev_b16 v178, 8, v178
	v_and_b32_e32 v176, 0xffff, v176
	s_delay_alu instid0(VALU_DEP_3) | instskip(NEXT) | instid1(VALU_DEP_3)
	v_and_b32_e32 v177, 0xffff, v177
	v_and_b32_e32 v178, 15, v178
	s_delay_alu instid0(VALU_DEP_3) | instskip(SKIP_1) | instid1(VALU_DEP_4)
	v_mul_i32_i24_e32 v173, v176, v173
	v_and_b32_e32 v176, 0xf0f0f0f, v181
	v_mul_i32_i24_e32 v177, v177, v168
	s_delay_alu instid0(VALU_DEP_4) | instskip(NEXT) | instid1(VALU_DEP_3)
	v_and_b32_e32 v178, 0xffff, v178
	v_lshrrev_b16 v176, 8, v176
	s_delay_alu instid0(VALU_DEP_2) | instskip(NEXT) | instid1(VALU_DEP_2)
	v_mul_i32_i24_e32 v178, v178, v163
	v_and_b32_e32 v176, 0xffff, v176
	s_delay_alu instid0(VALU_DEP_1) | instskip(NEXT) | instid1(VALU_DEP_1)
	v_mul_i32_i24_e32 v176, v176, v167
	v_add3_u32 v173, v173, v176, v177
	v_and_b32_e32 v176, 15, v75
	v_bfe_u32 v177, v75, 8, 4
	s_delay_alu instid0(VALU_DEP_2) | instskip(NEXT) | instid1(VALU_DEP_2)
	v_mul_i32_i24_e32 v176, v164, v176
	v_mul_i32_i24_e32 v177, v167, v177
	s_delay_alu instid0(VALU_DEP_1) | instskip(SKIP_2) | instid1(VALU_DEP_2)
	v_add3_u32 v170, v170, v177, v176
	v_and_b32_e32 v176, 15, v77
	v_bfe_u32 v177, v77, 8, 4
	v_mul_i32_i24_e32 v176, v164, v176
	s_delay_alu instid0(VALU_DEP_2) | instskip(NEXT) | instid1(VALU_DEP_1)
	v_mul_i32_i24_e32 v177, v167, v177
	v_add3_u32 v172, v172, v177, v176
	v_and_b32_e32 v176, 15, v183
	v_and_b32_e32 v177, 15, v79
	s_delay_alu instid0(VALU_DEP_2) | instskip(SKIP_1) | instid1(VALU_DEP_3)
	v_mul_i32_i24_e32 v164, v164, v176
	v_bfe_u32 v176, v183, 8, 4
	v_mul_i32_i24_e32 v177, v177, v128
	s_delay_alu instid0(VALU_DEP_2) | instskip(SKIP_1) | instid1(VALU_DEP_2)
	v_mul_i32_i24_e32 v167, v167, v176
	v_bfe_u32 v176, v79, 24, 4
	v_add3_u32 v164, v184, v167, v164
	v_bfe_u32 v167, v78, 24, 4
	s_delay_alu instid0(VALU_DEP_3) | instskip(SKIP_1) | instid1(VALU_DEP_3)
	v_mul_i32_i24_e32 v176, v176, v117
	v_bfe_u32 v184, v79, 16, 4
	v_mul_i32_i24_e32 v167, v167, v129
	s_delay_alu instid0(VALU_DEP_2) | instskip(NEXT) | instid1(VALU_DEP_2)
	v_mul_i32_i24_e32 v184, v184, v119
	v_add3_u32 v167, v192, v167, v176
	v_and_b32_e32 v176, 15, v78
	s_delay_alu instid0(VALU_DEP_1) | instskip(NEXT) | instid1(VALU_DEP_1)
	v_mul_i32_i24_e32 v176, v176, v133
	v_add3_u32 v176, v187, v176, v177
	v_bfe_u32 v177, v78, 16, 4
	v_bfe_u32 v187, v75, 12, 4
	s_delay_alu instid0(VALU_DEP_2) | instskip(NEXT) | instid1(VALU_DEP_2)
	v_mul_i32_i24_e32 v177, v177, v130
	v_mul_i32_i24_e32 v187, v166, v187
	s_delay_alu instid0(VALU_DEP_2) | instskip(SKIP_1) | instid1(VALU_DEP_1)
	v_add3_u32 v177, v191, v177, v184
	v_bfe_u32 v184, v75, 4, 4
	v_mul_i32_i24_e32 v184, v165, v184
	s_delay_alu instid0(VALU_DEP_1) | instskip(SKIP_2) | instid1(VALU_DEP_2)
	v_add3_u32 v74, v74, v184, v187
	v_bfe_u32 v184, v77, 4, 4
	v_bfe_u32 v187, v77, 12, 4
	v_mul_i32_i24_e32 v184, v165, v184
	s_delay_alu instid0(VALU_DEP_2) | instskip(NEXT) | instid1(VALU_DEP_1)
	v_mul_i32_i24_e32 v187, v166, v187
	v_add3_u32 v76, v76, v184, v187
	v_bfe_u32 v184, v183, 4, 4
	v_bfe_u32 v187, v79, 4, 4
	s_delay_alu instid0(VALU_DEP_2) | instskip(SKIP_1) | instid1(VALU_DEP_3)
	v_mul_i32_i24_e32 v165, v165, v184
	v_bfe_u32 v184, v183, 12, 4
	v_mul_i32_i24_e32 v187, v187, v127
	s_delay_alu instid0(VALU_DEP_2) | instskip(NEXT) | instid1(VALU_DEP_1)
	v_mul_i32_i24_e32 v184, v166, v184
	v_add3_u32 v165, v169, v165, v184
	v_dual_lshrrev_b32 v169, 28, v78 :: v_dual_lshrrev_b32 v184, 28, v79
	s_delay_alu instid0(VALU_DEP_1) | instskip(NEXT) | instid1(VALU_DEP_2)
	v_mul_i32_i24_e32 v169, v169, v131
	v_mul_i32_i24_e32 v184, v184, v123
	s_delay_alu instid0(VALU_DEP_1) | instskip(SKIP_1) | instid1(VALU_DEP_1)
	v_add3_u32 v169, v194, v169, v184
	v_bfe_u32 v184, v78, 4, 4
	v_mul_i32_i24_e32 v184, v184, v134
	s_delay_alu instid0(VALU_DEP_1) | instskip(SKIP_2) | instid1(VALU_DEP_2)
	v_add3_u32 v182, v182, v184, v187
	v_bfe_u32 v184, v78, 20, 4
	v_bfe_u32 v187, v79, 20, 4
	v_mul_i32_i24_e32 v184, v184, v132
	s_delay_alu instid0(VALU_DEP_2) | instskip(NEXT) | instid1(VALU_DEP_1)
	v_mul_i32_i24_e32 v187, v187, v124
	v_add3_u32 v171, v171, v184, v187
	v_and_b32_e32 v184, 0xf0f0f0f, v179
	v_and_b32_e32 v187, 0xf0f0f0f, v78
	s_delay_alu instid0(VALU_DEP_2) | instskip(NEXT) | instid1(VALU_DEP_2)
	v_lshrrev_b16 v184, 8, v184
	v_lshrrev_b16 v187, 8, v187
	s_delay_alu instid0(VALU_DEP_2) | instskip(NEXT) | instid1(VALU_DEP_2)
	v_and_b32_e32 v161, 0xffff, v184
	v_and_b32_e32 v184, 0xffff, v187
	s_delay_alu instid0(VALU_DEP_2) | instskip(NEXT) | instid1(VALU_DEP_2)
	v_mul_i32_i24_e32 v161, v161, v190
	v_mul_i32_i24_e32 v184, v184, v162
	s_delay_alu instid0(VALU_DEP_1) | instskip(SKIP_1) | instid1(VALU_DEP_1)
	v_add3_u32 v173, v173, v161, v184
	v_dual_lshrrev_b32 v161, 4, v180 :: v_dual_lshrrev_b32 v180, 4, v181
	v_lshrrev_b16 v161, 8, v161
	s_delay_alu instid0(VALU_DEP_2) | instskip(NEXT) | instid1(VALU_DEP_2)
	v_lshrrev_b16 v180, 8, v180
	v_and_b32_e32 v161, 15, v161
	s_delay_alu instid0(VALU_DEP_2) | instskip(NEXT) | instid1(VALU_DEP_2)
	v_and_b32_e32 v180, 15, v180
	v_and_b32_e32 v161, 0xffff, v161
	s_delay_alu instid0(VALU_DEP_2) | instskip(NEXT) | instid1(VALU_DEP_2)
	v_and_b32_e32 v180, 0xffff, v180
	v_mul_i32_i24_e32 v161, v161, v193
	s_delay_alu instid0(VALU_DEP_2) | instskip(NEXT) | instid1(VALU_DEP_1)
	v_mul_i32_i24_e32 v166, v180, v166
	v_add3_u32 v166, v161, v166, v178
	v_bfe_u32 v161, v75, 16, 4
	v_bfe_u32 v178, v75, 24, 4
	s_delay_alu instid0(VALU_DEP_2) | instskip(NEXT) | instid1(VALU_DEP_2)
	v_mul_i32_i24_e32 v161, v160, v161
	v_mul_i32_i24_e32 v178, v159, v178
	s_delay_alu instid0(VALU_DEP_1) | instskip(SKIP_2) | instid1(VALU_DEP_2)
	v_add3_u32 v170, v170, v161, v178
	v_bfe_u32 v161, v77, 16, 4
	v_bfe_u32 v178, v77, 24, 4
	v_mul_i32_i24_e32 v161, v160, v161
	s_delay_alu instid0(VALU_DEP_2) | instskip(NEXT) | instid1(VALU_DEP_1)
	v_mul_i32_i24_e32 v178, v159, v178
	v_add3_u32 v172, v172, v161, v178
	v_bfe_u32 v161, v183, 16, 4
	s_delay_alu instid0(VALU_DEP_1) | instskip(SKIP_1) | instid1(VALU_DEP_1)
	v_mul_i32_i24_e32 v160, v160, v161
	v_bfe_u32 v161, v183, 24, 4
	v_mul_i32_i24_e32 v159, v159, v161
	s_delay_alu instid0(VALU_DEP_1) | instskip(SKIP_4) | instid1(VALU_DEP_2)
	v_add3_u32 v164, v164, v160, v159
	ds_load_2addr_b32 v[160:161], v185 offset0:6 offset1:7
	s_wait_dscnt 0x0
	v_bfe_u32 v159, v160, 16, 4
	v_bfe_u32 v178, v161, 16, 4
	v_mul_i32_i24_e32 v159, v159, v87
	s_delay_alu instid0(VALU_DEP_2) | instskip(NEXT) | instid1(VALU_DEP_1)
	v_mul_i32_i24_e32 v178, v178, v85
	v_add3_u32 v177, v177, v159, v178
	v_and_b32_e32 v159, 15, v160
	v_and_b32_e32 v178, 15, v161
	s_delay_alu instid0(VALU_DEP_2) | instskip(NEXT) | instid1(VALU_DEP_2)
	v_mul_i32_i24_e32 v159, v159, v118
	v_mul_i32_i24_e32 v178, v178, v66
	s_delay_alu instid0(VALU_DEP_1) | instskip(SKIP_2) | instid1(VALU_DEP_2)
	v_add3_u32 v176, v176, v159, v178
	v_bfe_u32 v159, v160, 24, 4
	v_bfe_u32 v178, v161, 24, 4
	v_mul_i32_i24_e32 v159, v159, v86
	s_delay_alu instid0(VALU_DEP_2) | instskip(NEXT) | instid1(VALU_DEP_1)
	v_mul_i32_i24_e32 v178, v178, v84
	v_add3_u32 v167, v167, v159, v178
	v_bfe_u32 v159, v75, 20, 4
	v_lshrrev_b32_e32 v75, 28, v75
	s_delay_alu instid0(VALU_DEP_2) | instskip(NEXT) | instid1(VALU_DEP_2)
	v_mul_i32_i24_e32 v159, v158, v159
	v_mul_i32_i24_e32 v75, v153, v75
	s_delay_alu instid0(VALU_DEP_1) | instskip(SKIP_2) | instid1(VALU_DEP_2)
	v_add3_u32 v178, v74, v159, v75
	v_bfe_u32 v74, v77, 20, 4
	v_lshrrev_b32_e32 v75, 28, v77
	v_mul_i32_i24_e32 v74, v158, v74
	s_delay_alu instid0(VALU_DEP_2) | instskip(NEXT) | instid1(VALU_DEP_1)
	v_mul_i32_i24_e32 v75, v153, v75
	v_add3_u32 v180, v76, v74, v75
	v_bfe_u32 v74, v183, 20, 4
	v_lshrrev_b32_e32 v75, 28, v183
	s_delay_alu instid0(VALU_DEP_2) | instskip(NEXT) | instid1(VALU_DEP_2)
	v_mul_i32_i24_e32 v74, v158, v74
	v_mul_i32_i24_e32 v75, v153, v75
	s_delay_alu instid0(VALU_DEP_1) | instskip(SKIP_2) | instid1(VALU_DEP_2)
	v_add3_u32 v165, v165, v74, v75
	v_bfe_u32 v74, v160, 20, 4
	v_bfe_u32 v75, v161, 20, 4
	v_mul_i32_i24_e32 v74, v74, v125
	s_delay_alu instid0(VALU_DEP_2) | instskip(NEXT) | instid1(VALU_DEP_1)
	v_mul_i32_i24_e32 v75, v75, v122
	v_add3_u32 v171, v171, v74, v75
	v_bfe_u32 v74, v160, 4, 4
	v_bfe_u32 v75, v161, 4, 4
	s_delay_alu instid0(VALU_DEP_2) | instskip(NEXT) | instid1(VALU_DEP_2)
	v_mul_i32_i24_e32 v74, v74, v126
	v_mul_i32_i24_e32 v75, v75, v10
	s_delay_alu instid0(VALU_DEP_1) | instskip(SKIP_2) | instid1(VALU_DEP_2)
	v_add3_u32 v181, v182, v74, v75
	v_dual_lshrrev_b32 v74, 28, v160 :: v_dual_lshrrev_b32 v75, 28, v161
	v_bfe_i32 v182, v157, 0, 8
	v_mul_i32_i24_e32 v74, v74, v120
	s_delay_alu instid0(VALU_DEP_3) | instskip(NEXT) | instid1(VALU_DEP_1)
	v_mul_i32_i24_e32 v75, v75, v121
	v_add3_u32 v169, v169, v74, v75
	v_add_f32_e32 v74, 0, v174
	v_and_b32_e32 v75, 0xf0f0f0f, v160
	v_bfe_i32 v174, v154, 0, 8
	s_delay_alu instid0(VALU_DEP_3) | instskip(SKIP_1) | instid1(VALU_DEP_4)
	v_add_f32_e32 v153, v74, v175
	v_and_b32_e32 v74, 0xf0f0f0f, v79
	v_lshrrev_b16 v75, 8, v75
	v_bfe_i32 v175, v155, 0, 8
	v_lshrrev_b32_e32 v79, 4, v79
	s_delay_alu instid0(VALU_DEP_4) | instskip(NEXT) | instid1(VALU_DEP_4)
	v_lshrrev_b16 v74, 8, v74
	v_and_b32_e32 v75, 0xffff, v75
	s_delay_alu instid0(VALU_DEP_3) | instskip(SKIP_1) | instid1(VALU_DEP_4)
	v_lshrrev_b16 v79, 8, v79
	v_lshrrev_b32_e32 v160, 4, v160
	v_and_b32_e32 v74, 0xffff, v74
	s_delay_alu instid0(VALU_DEP_4) | instskip(NEXT) | instid1(VALU_DEP_4)
	v_mul_i32_i24_e32 v75, v75, v175
	v_and_b32_e32 v79, 15, v79
	s_delay_alu instid0(VALU_DEP_4) | instskip(NEXT) | instid1(VALU_DEP_4)
	v_lshrrev_b16 v160, 8, v160
	v_mul_i32_i24_e32 v74, v74, v174
	s_delay_alu instid0(VALU_DEP_3) | instskip(NEXT) | instid1(VALU_DEP_3)
	v_and_b32_e32 v79, 0xffff, v79
	v_and_b32_e32 v160, 15, v160
	s_delay_alu instid0(VALU_DEP_3) | instskip(SKIP_2) | instid1(VALU_DEP_4)
	v_add3_u32 v173, v173, v74, v75
	v_dual_lshrrev_b32 v74, 4, v179 :: v_dual_lshrrev_b32 v75, 4, v78
	v_bfe_i32 v179, v156, 0, 8
	v_and_b32_e32 v160, 0xffff, v160
	v_mul_i32_i24_e32 v79, v79, v150
	s_delay_alu instid0(VALU_DEP_4) | instskip(SKIP_1) | instid1(VALU_DEP_4)
	v_lshrrev_b16 v74, 8, v74
	v_lshrrev_b16 v75, 8, v75
	v_mul_i32_i24_e32 v160, v160, v151
	s_delay_alu instid0(VALU_DEP_3) | instskip(NEXT) | instid1(VALU_DEP_3)
	v_and_b32_e32 v74, 15, v74
	v_and_b32_e32 v75, 15, v75
	s_delay_alu instid0(VALU_DEP_2) | instskip(NEXT) | instid1(VALU_DEP_2)
	v_and_b32_e32 v74, 0xffff, v74
	v_and_b32_e32 v75, 0xffff, v75
	s_delay_alu instid0(VALU_DEP_2) | instskip(NEXT) | instid1(VALU_DEP_2)
	v_mul_i32_i24_e32 v74, v74, v179
	v_mul_i32_i24_e32 v75, v75, v182
	s_delay_alu instid0(VALU_DEP_1)
	v_add3_u32 v166, v166, v74, v75
	ds_load_u16 v78, v81
	ds_load_2addr_b32 v[154:155], v80 offset0:2 offset1:3
	ds_load_2addr_b32 v[76:77], v80 offset0:4 offset1:5
	;; [unrolled: 1-line block ×3, first 2 shown]
	v_add3_u32 v79, v166, v79, v160
	v_bfe_u32 v166, v72, 24, 4
	s_delay_alu instid0(VALU_DEP_1)
	v_mul_i32_i24_e32 v166, v142, v166
	s_wait_dscnt 0x2
	v_and_b32_e32 v80, 15, v154
	v_bfe_u32 v81, v154, 8, 4
	v_bfe_u32 v160, v154, 16, 4
	s_wait_dscnt 0x0
	v_and_b32_e32 v185, 15, v75
	v_bfe_u32 v187, v74, 12, 4
	v_mul_i32_i24_e32 v80, v149, v80
	v_mul_i32_i24_e32 v81, v168, v81
	;; [unrolled: 1-line block ×3, first 2 shown]
	v_bfe_u32 v191, v75, 20, 4
	s_delay_alu instid0(VALU_DEP_3) | instskip(SKIP_2) | instid1(VALU_DEP_2)
	v_add3_u32 v170, v170, v81, v80
	v_and_b32_e32 v80, 15, v72
	v_bfe_u32 v81, v72, 8, 4
	v_mul_i32_i24_e32 v80, v149, v80
	s_delay_alu instid0(VALU_DEP_2) | instskip(NEXT) | instid1(VALU_DEP_1)
	v_mul_i32_i24_e32 v81, v168, v81
	v_add3_u32 v172, v172, v81, v80
	ds_load_u16 v183, v186
	ds_load_2addr_b32 v[156:157], v188 offset0:2 offset1:3
	ds_load_2addr_b32 v[158:159], v188 offset0:4 offset1:5
	;; [unrolled: 1-line block ×3, first 2 shown]
	v_bfe_u32 v186, v74, 4, 4
	s_wait_dscnt 0x2
	v_dual_lshrrev_b32 v188, 28, v74 :: v_dual_bitop2_b32 v184, 15, v156 bitop3:0x40
	s_delay_alu instid0(VALU_DEP_1) | instskip(SKIP_1) | instid1(VALU_DEP_1)
	v_mul_i32_i24_e32 v149, v149, v184
	v_bfe_u32 v184, v156, 8, 4
	v_mul_i32_i24_e32 v168, v168, v184
	v_lshrrev_b32_e32 v184, 4, v75
	s_delay_alu instid0(VALU_DEP_2) | instskip(SKIP_2) | instid1(VALU_DEP_2)
	v_add3_u32 v149, v164, v168, v149
	v_bfe_u32 v164, v154, 4, 4
	v_bfe_u32 v168, v154, 12, 4
	v_mul_i32_i24_e32 v164, v152, v164
	s_delay_alu instid0(VALU_DEP_2) | instskip(NEXT) | instid1(VALU_DEP_1)
	v_mul_i32_i24_e32 v168, v163, v168
	v_add3_u32 v164, v178, v164, v168
	v_bfe_u32 v168, v72, 4, 4
	v_bfe_u32 v178, v72, 12, 4
	s_delay_alu instid0(VALU_DEP_2) | instskip(NEXT) | instid1(VALU_DEP_2)
	v_mul_i32_i24_e32 v168, v152, v168
	v_mul_i32_i24_e32 v178, v163, v178
	s_delay_alu instid0(VALU_DEP_1) | instskip(SKIP_2) | instid1(VALU_DEP_2)
	v_add3_u32 v168, v180, v168, v178
	v_bfe_u32 v178, v156, 4, 4
	v_bfe_u32 v180, v74, 24, 4
	v_mul_i32_i24_e32 v152, v152, v178
	v_bfe_u32 v178, v156, 12, 4
	s_delay_alu instid0(VALU_DEP_1) | instskip(SKIP_1) | instid1(VALU_DEP_2)
	v_mul_i32_i24_e32 v163, v163, v178
	v_bfe_u32 v178, v74, 8, 4
	v_add3_u32 v152, v165, v152, v163
	v_bfe_u32 v165, v154, 24, 4
	v_and_b32_e32 v163, 0xf0f0f0f, v161
	s_delay_alu instid0(VALU_DEP_2) | instskip(NEXT) | instid1(VALU_DEP_2)
	v_mul_i32_i24_e32 v165, v142, v165
	v_lshrrev_b16 v163, 8, v163
	s_delay_alu instid0(VALU_DEP_2) | instskip(SKIP_1) | instid1(VALU_DEP_3)
	v_add3_u32 v160, v170, v160, v165
	v_bfe_u32 v165, v72, 16, 4
	v_and_b32_e32 v163, 0xffff, v163
	s_delay_alu instid0(VALU_DEP_2) | instskip(NEXT) | instid1(VALU_DEP_2)
	v_mul_i32_i24_e32 v165, v143, v165
	v_mul_i32_i24_e32 v163, v163, v148
	s_delay_alu instid0(VALU_DEP_2) | instskip(SKIP_1) | instid1(VALU_DEP_3)
	v_add3_u32 v165, v172, v165, v166
	v_bfe_u32 v166, v156, 16, 4
	v_add3_u32 v163, v173, v163, v167
	v_bfe_u32 v167, v157, 20, 4
	s_delay_alu instid0(VALU_DEP_3) | instskip(SKIP_1) | instid1(VALU_DEP_1)
	v_mul_i32_i24_e32 v143, v143, v166
	v_bfe_u32 v166, v156, 24, 4
	v_mul_i32_i24_e32 v142, v142, v166
	v_and_b32_e32 v166, 15, v77
	s_delay_alu instid0(VALU_DEP_2) | instskip(SKIP_2) | instid1(VALU_DEP_2)
	v_add3_u32 v149, v149, v143, v142
	v_bfe_u32 v142, v154, 20, 4
	v_lshrrev_b32_e32 v143, 28, v154
	v_mul_i32_i24_e32 v142, v145, v142
	s_delay_alu instid0(VALU_DEP_2) | instskip(NEXT) | instid1(VALU_DEP_1)
	v_mul_i32_i24_e32 v143, v144, v143
	v_add3_u32 v154, v164, v142, v143
	v_bfe_u32 v142, v72, 20, 4
	v_lshrrev_b32_e32 v72, 28, v72
	v_lshrrev_b32_e32 v143, 28, v156
	v_bfe_u32 v164, v73, 16, 4
	s_delay_alu instid0(VALU_DEP_4) | instskip(NEXT) | instid1(VALU_DEP_4)
	v_mul_i32_i24_e32 v142, v145, v142
	v_mul_i32_i24_e32 v72, v144, v72
	s_delay_alu instid0(VALU_DEP_4) | instskip(NEXT) | instid1(VALU_DEP_4)
	v_mul_i32_i24_e32 v143, v144, v143
	v_mul_i32_i24_e32 v164, v137, v164
	s_delay_alu instid0(VALU_DEP_3) | instskip(SKIP_2) | instid1(VALU_DEP_2)
	v_add3_u32 v72, v168, v142, v72
	v_bfe_u32 v142, v156, 20, 4
	v_bfe_u32 v168, v76, 12, 4
	v_mul_i32_i24_e32 v142, v145, v142
	v_add3_u32 v145, v176, v177, v163
	v_and_b32_e32 v163, 15, v76
	s_delay_alu instid0(VALU_DEP_4)
	v_mul_i32_i24_e32 v168, v182, v168
	v_and_b32_e32 v177, 15, v74
	v_add3_u32 v144, v152, v142, v143
	v_lshrrev_b32_e32 v142, 4, v161
	v_bfe_u32 v143, v155, 8, 4
	v_bfe_u32 v161, v155, 4, 4
	v_mul_i32_i24_e32 v163, v133, v163
	s_delay_alu instid0(VALU_DEP_4) | instskip(NEXT) | instid1(VALU_DEP_4)
	v_lshrrev_b16 v142, 8, v142
	v_mul_i32_i24_e32 v143, v190, v143
	s_delay_alu instid0(VALU_DEP_4) | instskip(NEXT) | instid1(VALU_DEP_3)
	v_mul_i32_i24_e32 v161, v140, v161
	v_and_b32_e32 v142, 15, v142
	s_delay_alu instid0(VALU_DEP_1) | instskip(NEXT) | instid1(VALU_DEP_1)
	v_and_b32_e32 v142, 0xffff, v142
	v_mul_i32_i24_e32 v142, v142, v146
	s_delay_alu instid0(VALU_DEP_1) | instskip(SKIP_3) | instid1(VALU_DEP_3)
	v_add3_u32 v79, v79, v142, v169
	v_and_b32_e32 v142, 15, v155
	s_wait_dscnt 0x1
	v_bfe_u32 v169, v158, 16, 4
	v_add3_u32 v79, v181, v171, v79
	s_delay_alu instid0(VALU_DEP_3) | instskip(SKIP_1) | instid1(VALU_DEP_2)
	v_mul_i32_i24_e32 v142, v139, v142
	v_bfe_u32 v181, v75, 8, 4
	v_add3_u32 v152, v160, v143, v142
	v_and_b32_e32 v142, 15, v73
	v_and_b32_e32 v160, 15, v157
	v_bfe_u32 v143, v73, 8, 4
	s_delay_alu instid0(VALU_DEP_3) | instskip(NEXT) | instid1(VALU_DEP_3)
	v_mul_i32_i24_e32 v142, v139, v142
	v_mul_i32_i24_e32 v139, v139, v160
	v_bfe_u32 v160, v157, 8, 4
	s_delay_alu instid0(VALU_DEP_4) | instskip(NEXT) | instid1(VALU_DEP_2)
	v_mul_i32_i24_e32 v143, v190, v143
	v_mul_i32_i24_e32 v160, v190, v160
	s_delay_alu instid0(VALU_DEP_2)
	v_add3_u32 v156, v165, v143, v142
	v_bfe_u32 v165, v73, 24, 4
	ds_load_2addr_b32 v[142:143], v141 offset0:6 offset1:7
	ds_load_u16 v141, v189
	v_bfe_u32 v189, v75, 24, 4
	v_add3_u32 v139, v149, v160, v139
	v_bfe_u32 v149, v155, 12, 4
	v_bfe_u32 v160, v73, 4, 4
	v_mul_i32_i24_e32 v165, v135, v165
	v_lshrrev_b32_e32 v190, 28, v75
	s_delay_alu instid0(VALU_DEP_4) | instskip(NEXT) | instid1(VALU_DEP_4)
	v_mul_i32_i24_e32 v149, v179, v149
	v_mul_i32_i24_e32 v160, v140, v160
	s_delay_alu instid0(VALU_DEP_4)
	v_add3_u32 v156, v156, v164, v165
	v_bfe_u32 v164, v155, 20, 4
	v_bfe_u32 v165, v157, 24, 4
	v_add3_u32 v149, v154, v161, v149
	v_bfe_u32 v154, v73, 12, 4
	v_bfe_u32 v161, v157, 4, 4
	v_mul_i32_i24_e32 v164, v138, v164
	s_delay_alu instid0(VALU_DEP_3) | instskip(NEXT) | instid1(VALU_DEP_3)
	v_mul_i32_i24_e32 v154, v179, v154
	v_mul_i32_i24_e32 v140, v140, v161
	v_bfe_u32 v161, v155, 24, 4
	s_wait_dscnt 0x1
	v_lshrrev_b32_e32 v172, 28, v142
	v_bfe_u32 v170, v142, 4, 4
	v_add3_u32 v72, v72, v160, v154
	v_bfe_u32 v154, v157, 12, 4
	v_bfe_u32 v160, v155, 16, 4
	v_lshrrev_b32_e32 v155, 28, v155
	v_mul_i32_i24_e32 v161, v135, v161
	v_mul_i32_i24_e32 v135, v135, v165
	;; [unrolled: 1-line block ×5, first 2 shown]
	v_bfe_u32 v165, v77, 16, 4
	v_bfe_u32 v179, v74, 16, 4
	v_add3_u32 v140, v144, v140, v154
	v_bfe_u32 v144, v76, 8, 4
	v_add3_u32 v149, v149, v164, v155
	v_bfe_u32 v164, v73, 20, 4
	v_lshrrev_b32_e32 v73, 28, v73
	v_add3_u32 v152, v152, v160, v161
	v_bfe_u32 v161, v157, 16, 4
	v_mul_i32_i24_e32 v144, v162, v144
	v_mul_i32_i24_e32 v164, v138, v164
	;; [unrolled: 1-line block ×3, first 2 shown]
	v_lshrrev_b32_e32 v157, 28, v157
	v_mul_i32_i24_e32 v137, v137, v161
	v_add3_u32 v144, v152, v144, v163
	v_and_b32_e32 v152, 15, v158
	v_add3_u32 v72, v72, v164, v73
	v_and_b32_e32 v73, 15, v70
	v_bfe_u32 v164, v70, 8, 4
	v_bfe_u32 v163, v158, 8, 4
	;; [unrolled: 1-line block ×4, first 2 shown]
	v_add3_u32 v135, v139, v137, v135
	v_bfe_u32 v139, v76, 20, 4
	v_bfe_u32 v155, v76, 4, 4
	v_mul_i32_i24_e32 v138, v138, v167
	v_mul_i32_i24_e32 v136, v136, v157
	;; [unrolled: 1-line block ×4, first 2 shown]
	v_bfe_u32 v163, v158, 12, 4
	v_lshrrev_b32_e32 v76, 28, v76
	v_mul_i32_i24_e32 v73, v133, v73
	v_mul_i32_i24_e32 v133, v133, v152
	v_bfe_u32 v152, v158, 4, 4
	v_add3_u32 v136, v140, v138, v136
	v_mul_i32_i24_e32 v163, v182, v163
	v_mul_i32_i24_e32 v155, v134, v155
	v_bfe_u32 v167, v70, 16, 4
	v_mul_i32_i24_e32 v152, v134, v152
	v_bfe_u32 v157, v70, 24, 4
	v_add3_u32 v133, v135, v162, v133
	v_mul_i32_i24_e32 v154, v130, v154
	v_mul_i32_i24_e32 v160, v129, v160
	v_add3_u32 v136, v136, v152, v163
	v_bfe_u32 v152, v70, 4, 4
	v_bfe_u32 v163, v70, 12, 4
	v_mul_i32_i24_e32 v167, v130, v167
	v_mul_i32_i24_e32 v157, v129, v157
	;; [unrolled: 1-line block ×5, first 2 shown]
	v_bfe_u32 v169, v158, 20, 4
	v_bfe_u32 v161, v77, 8, 4
	v_and_b32_e32 v138, 15, v71
	v_bfe_u32 v152, v70, 20, 4
	v_add3_u32 v72, v72, v134, v163
	v_bfe_u32 v134, v158, 24, 4
	v_and_b32_e32 v163, 15, v159
	v_add3_u32 v144, v144, v154, v160
	v_bfe_u32 v154, v159, 8, 4
	v_lshrrev_b32_e32 v70, 28, v70
	v_mul_i32_i24_e32 v129, v129, v134
	v_lshrrev_b32_e32 v134, 28, v158
	v_mul_i32_i24_e32 v158, v174, v161
	v_mul_i32_i24_e32 v138, v128, v138
	v_mul_i32_i24_e32 v154, v174, v154
	v_add3_u32 v129, v133, v130, v129
	v_mul_i32_i24_e32 v133, v132, v169
	v_mul_i32_i24_e32 v134, v131, v134
	v_lshrrev_b32_e32 v169, 28, v77
	v_add3_u32 v149, v149, v155, v168
	v_mul_i32_i24_e32 v76, v131, v76
	v_mul_i32_i24_e32 v70, v131, v70
	v_add3_u32 v133, v136, v133, v134
	v_mul_i32_i24_e32 v136, v152, v132
	v_mul_i32_i24_e32 v152, v128, v166
	;; [unrolled: 1-line block ×4, first 2 shown]
	v_bfe_u32 v140, v71, 8, 4
	v_add3_u32 v70, v72, v136, v70
	v_add3_u32 v144, v144, v158, v152
	v_bfe_u32 v152, v159, 4, 4
	v_bfe_u32 v158, v159, 12, 4
	v_add3_u32 v128, v129, v154, v128
	v_bfe_u32 v129, v77, 4, 4
	v_bfe_u32 v154, v77, 12, 4
	v_add3_u32 v76, v149, v132, v76
	v_mul_i32_i24_e32 v152, v127, v152
	v_mul_i32_i24_e32 v158, v150, v158
	;; [unrolled: 1-line block ×4, first 2 shown]
	v_add3_u32 v73, v156, v164, v73
	v_bfe_u32 v137, v77, 24, 4
	v_add3_u32 v133, v133, v152, v158
	v_bfe_u32 v158, v71, 4, 4
	;; [unrolled: 2-line block ×3, first 2 shown]
	v_bfe_u32 v156, v71, 16, 4
	v_bfe_u32 v164, v71, 24, 4
	v_mul_i32_i24_e32 v127, v127, v158
	v_and_b32_e32 v135, 15, v142
	v_mul_i32_i24_e32 v150, v150, v154
	v_bfe_u32 v155, v142, 16, 4
	v_bfe_u32 v168, v142, 24, 4
	;; [unrolled: 1-line block ×3, first 2 shown]
	v_add3_u32 v73, v73, v167, v157
	v_add3_u32 v127, v70, v127, v150
	v_and_b32_e32 v70, 15, v143
	v_bfe_u32 v157, v159, 24, 4
	v_dual_lshrrev_b32 v154, 4, v143 :: v_dual_bitop2_b32 v167, 15, v80 bitop3:0x40
	v_bfe_u32 v134, v80, 16, 4
	v_bfe_u32 v72, v80, 24, 4
	v_dual_lshrrev_b32 v150, 28, v71 :: v_dual_bitop2_b32 v136, 15, v81 bitop3:0x40
	v_mul_i32_i24_e32 v140, v174, v140
	v_lshrrev_b32_e32 v174, 28, v143
	v_perm_b32 v70, v70, v185, 0x5040100
	v_bfe_u32 v139, v81, 8, 4
	v_bfe_u32 v131, v81, 16, 4
	;; [unrolled: 1-line block ×4, first 2 shown]
	v_lshrrev_b32_e32 v159, 28, v159
	v_add3_u32 v138, v73, v140, v138
	v_bfe_u32 v73, v80, 4, 4
	v_bfe_u32 v140, v80, 12, 4
	;; [unrolled: 1-line block ×5, first 2 shown]
	v_lshrrev_b32_e32 v81, 28, v81
	v_bfe_u32 v166, v143, 8, 4
	v_bfe_u32 v158, v143, 16, 4
	;; [unrolled: 1-line block ×8, first 2 shown]
	v_mul_i32_i24_e32 v165, v119, v165
	v_mul_i32_i24_e32 v156, v119, v156
	;; [unrolled: 1-line block ×16, first 2 shown]
	v_pk_mul_lo_u16 v72, v70, v66 op_sel_hi:[1,0]
	v_and_b32_e32 v66, 15, v184
	v_and_b32_e32 v70, 15, v154
	v_mul_i32_i24_e32 v159, v123, v159
	v_mul_i32_i24_e32 v168, v123, v169
	v_mul_i32_i24_e32 v123, v123, v150
	v_mul_i32_i24_e32 v150, v126, v73
	v_mul_i32_i24_e32 v169, v126, v186
	v_mul_i32_i24_e32 v126, v126, v170
	v_mul_i32_i24_e32 v131, v85, v131
	v_mul_i32_i24_e32 v170, v182, v85
	v_mul_i32_i24_e32 v85, v158, v85
	v_mul_i32_i24_e32 v132, v84, v132
	v_mul_i32_i24_e32 v158, v84, v189
	v_mul_i32_i24_e32 v84, v84, v173
	v_mul_i32_i24_e32 v81, v121, v81
	v_mul_i32_i24_e32 v173, v121, v190
	v_mul_i32_i24_e32 v121, v121, v174
	v_perm_b32 v66, v70, v66, 0x5040100
	v_mul_i32_i24_e32 v174, v148, v181
	v_mul_i32_i24_e32 v166, v148, v166
	;; [unrolled: 1-line block ×9, first 2 shown]
	v_lshrrev_b16 v146, 8, v183
	v_and_b32_e32 v171, 0xff, v183
	v_add3_u32 v137, v144, v165, v137
	v_mul_i32_i24_e32 v144, v10, v152
	v_pk_mul_lo_u16 v152, v66, v10 op_sel_hi:[1,0]
	v_and_b32_e32 v10, 0xffff, v146
	v_mul_lo_u32 v145, v145, v171
	v_bfe_u32 v130, v80, 8, 4
	v_bfe_u32 v77, v77, 20, 4
	;; [unrolled: 1-line block ×3, first 2 shown]
	v_mul_lo_u32 v79, v79, v10
	v_bfe_u32 v71, v71, 20, 4
	v_mul_i32_i24_e32 v149, v124, v149
	v_mul_i32_i24_e32 v77, v124, v77
	v_mul_i32_i24_e32 v130, v175, v130
	s_wait_dscnt 0x0
	v_lshrrev_b16 v70, 8, v141
	v_add3_u32 v117, v128, v119, v117
	v_bfe_u32 v161, v80, 20, 4
	v_lshrrev_b32_e32 v80, 28, v80
	v_bfe_u32 v142, v142, 20, 4
	v_bfe_u32 v74, v74, 20, 4
	v_mul_i32_i24_e32 v124, v124, v71
	v_mul_i32_i24_e32 v154, v175, v178
	;; [unrolled: 1-line block ×3, first 2 shown]
	v_cvt_f32_ubyte0_e32 v71, v147
	v_cvt_f32_f16_e32 v66, v8
	v_and_b32_e32 v165, 0xffff, v70
	v_cvt_f32_i32_e32 v70, v145
	v_add3_u32 v138, v138, v156, v160
	v_add3_u32 v119, v133, v149, v159
	;; [unrolled: 1-line block ×4, first 2 shown]
	v_mul_i32_i24_e32 v161, v125, v161
	v_mul_i32_i24_e32 v74, v125, v74
	;; [unrolled: 1-line block ×5, first 2 shown]
	v_cvt_f32_ubyte1_e32 v73, v147
	v_cvt_f32_f16_e32 v10, v9
	v_ashrrev_i32_e32 v145, 16, v72
	v_bfe_i32 v171, v72, 0, 16
	v_cvt_f32_i32_e32 v72, v79
	v_add3_u32 v123, v127, v124, v123
	v_add3_u32 v77, v137, v154, v157
	;; [unrolled: 1-line block ×6, first 2 shown]
	v_pk_fma_f32 v[70:71], v[70:71], v[66:67], 0 op_sel_hi:[1,1,0]
	v_mul_i32_i24_e32 v120, v120, v172
	v_add3_u32 v119, v123, v126, v151
	v_add3_u32 v77, v77, v164, v134
	;; [unrolled: 1-line block ×6, first 2 shown]
	v_pk_fma_f32 v[70:71], v[72:73], v[10:11], v[70:71]
	v_mul_i32_i24_e32 v163, v122, v163
	v_and_b32_e32 v141, 0xff, v141
	v_add3_u32 v117, v119, v125, v120
	v_add3_u32 v80, v80, v144, v129
	;; [unrolled: 1-line block ×5, first 2 shown]
	v_pk_mul_f32 v[70:71], v[70:71], v[6:7]
	v_ashrrev_i32_e32 v79, 16, v152
	v_bfe_i32 v152, v152, 0, 16
	v_mul_i32_i24_e32 v172, v122, v191
	v_mul_i32_i24_e32 v122, v122, v176
	v_lshrrev_b16 v147, 8, v78
	v_and_b32_e32 v78, 0xff, v78
	v_lshrrev_b16 v146, 8, v83
	v_and_b32_e32 v83, 0xff, v83
	v_add3_u32 v74, v74, v152, v75
	v_add3_u32 v75, v117, v79, v143
	;; [unrolled: 1-line block ×5, first 2 shown]
	v_mul_lo_u32 v76, v76, v141
	v_and_b32_e32 v147, 0xffff, v147
	v_and_b32_e32 v146, 0xffff, v146
	v_add3_u32 v75, v75, v122, v121
	v_add3_u32 v74, v74, v172, v173
	v_mul_lo_u32 v79, v79, v165
	v_mul_lo_u32 v78, v80, v78
	;; [unrolled: 1-line block ×5, first 2 shown]
	v_cvt_f32_i32_e32 v75, v76
	v_cvt_f32_i32_e32 v76, v79
	;; [unrolled: 1-line block ×4, first 2 shown]
	s_delay_alu instid0(VALU_DEP_4) | instskip(SKIP_2) | instid1(VALU_DEP_4)
	v_fma_mix_f32 v8, v8, v75, 0 op_sel_hi:[1,0,0]
	v_cvt_f32_i32_e32 v75, v67
	v_cvt_f32_i32_e32 v74, v74
	v_pk_fma_f32 v[66:67], v[66:67], v[72:73], 0 op_sel_hi:[0,1,0]
	s_delay_alu instid0(VALU_DEP_4) | instskip(SKIP_2) | instid1(VALU_DEP_4)
	v_fma_mix_f32 v72, v9, v76, v8 op_sel_hi:[1,0,0]
	v_dual_mul_f32 v8, v153, v82 :: v_dual_mov_b32 v73, v70
	v_mov_b32_e32 v9, v71
	v_pk_fma_f32 v[10:11], v[10:11], v[74:75], v[66:67] op_sel_hi:[0,1,1]
	s_delay_alu instid0(VALU_DEP_4) | instskip(NEXT) | instid1(VALU_DEP_2)
	v_mul_f32_e32 v72, v72, v1
	v_pk_fma_f32 v[10:11], v[10:11], v[2:3], v[68:69] neg_lo:[0,0,1] neg_hi:[0,0,1]
	s_delay_alu instid0(VALU_DEP_2) | instskip(NEXT) | instid1(VALU_DEP_2)
	v_pk_add_f32 v[8:9], v[72:73], v[8:9] neg_lo:[0,1] neg_hi:[0,1]
	v_pk_add_f32 v[18:19], v[18:19], v[10:11]
	s_delay_alu instid0(VALU_DEP_2)
	v_pk_add_f32 v[16:17], v[16:17], v[8:9]
	s_cbranch_vccnz .LBB232_11
; %bb.12:                               ;   in Loop: Header=BB232_5 Depth=1
	s_bitset1_b32 s18, 7
	s_delay_alu instid0(SALU_CYCLE_1)
	s_cmp_ge_i32 s18, s5
	s_barrier_signal -1
	s_barrier_wait -1
	s_cbranch_scc1 .LBB232_4
; %bb.13:                               ;   in Loop: Header=BB232_5 Depth=1
	v_add_nc_u32_e32 v1, s19, v47
	s_delay_alu instid0(VALU_DEP_1) | instskip(SKIP_1) | instid1(SALU_CYCLE_1)
	v_cmp_gt_i32_e32 vcc_lo, s6, v1
	s_and_b32 s19, s1, vcc_lo
	s_and_saveexec_b32 s18, s19
	s_cbranch_execz .LBB232_15
; %bb.14:                               ;   in Loop: Header=BB232_5 Depth=1
	v_add_nc_u32_e32 v1, v20, v1
	s_delay_alu instid0(VALU_DEP_1)
	v_mad_nc_i64_i32 v[2:3], v1, 36, v[22:23]
	global_load_b32 v1, v[2:3], off offset:4
	s_wait_loadcnt 0x0
	ds_store_b32 v43, v1
.LBB232_15:                             ;   in Loop: Header=BB232_5 Depth=1
	s_or_b32 exec_lo, exec_lo, s18
	s_and_saveexec_b32 s18, s0
	s_cbranch_execz .LBB232_18
; %bb.16:                               ;   in Loop: Header=BB232_5 Depth=1
	v_or_b32_e32 v1, 4, v0
	s_delay_alu instid0(VALU_DEP_1) | instskip(SKIP_1) | instid1(SALU_CYCLE_1)
	v_cmp_gt_i32_e32 vcc_lo, s6, v1
	s_and_b32 s19, s1, vcc_lo
	s_and_b32 exec_lo, exec_lo, s19
	s_cbranch_execz .LBB232_18
; %bb.17:                               ;   in Loop: Header=BB232_5 Depth=1
	v_ashrrev_i32_e32 v1, 31, v0
	s_delay_alu instid0(VALU_DEP_1) | instskip(NEXT) | instid1(VALU_DEP_1)
	v_add_nc_u64_e32 v[0:1], v[20:21], v[0:1]
	v_mad_nc_u64_u32 v[2:3], v0, 36, s[2:3]
	s_delay_alu instid0(VALU_DEP_1)
	v_mad_i32_i24 v3, v1, 36, v3
	global_load_b32 v0, v[2:3], off offset:144
	s_wait_loadcnt 0x0
	ds_store_b32 v88, v0
.LBB232_18:                             ;   in Loop: Header=BB232_5 Depth=1
	s_or_b32 exec_lo, exec_lo, s18
	s_wait_dscnt 0x0
	s_barrier_signal -1
	s_barrier_wait -1
	ds_load_b32 v0, v51 offset:128
	ds_load_b32 v1, v49
	ds_load_b32 v2, v53 offset:256
	ds_load_b32 v3, v55 offset:384
	v_dual_mov_b32 v117, v41 :: v_dual_mov_b32 v118, v57
	v_mov_b32_e32 v121, v112
	s_mov_b32 s18, 16
	s_mov_b32 s19, 0
	s_wait_dscnt 0x2
	v_dual_lshrrev_b32 v4, 16, v0 :: v_dual_lshrrev_b32 v5, 16, v1
	v_cvt_f32_f16_e32 v67, v0
	v_cvt_f32_f16_e32 v66, v1
	s_wait_dscnt 0x0
	v_dual_lshrrev_b32 v0, 16, v2 :: v_dual_lshrrev_b32 v1, 16, v3
	v_cvt_f32_f16_e32 v119, v2
	v_cvt_f32_f16_e32 v68, v3
	;; [unrolled: 1-line block ×6, first 2 shown]
.LBB232_19:                             ;   Parent Loop BB232_5 Depth=1
                                        ; =>  This Inner Loop Header: Depth=2
	ds_load_2addr_b32 v[0:1], v121 offset1:1
	ds_load_2addr_b32 v[2:3], v121 offset0:2 offset1:3
	v_add_nc_u32_e32 v8, s19, v113
	ds_load_2addr_b32 v[78:79], v121 offset0:4 offset1:5
	v_add_nc_u32_e32 v4, 0x1090, v121
	v_add_nc_u32_e32 v6, 0x2118, v121
	s_lshr_b32 s21, s18, 2
	ds_load_2addr_b32 v[72:73], v121 offset0:6 offset1:7
	s_and_b32 s21, s21, 0x3ffffffc
	s_add_co_i32 s18, s18, 8
	s_add_co_i32 s19, s19, 2
	ds_load_2addr_b32 v[82:83], v4 offset1:1
	ds_load_2addr_b32 v[6:7], v6 offset1:1
	v_add_nc_u32_e32 v4, 0x1098, v121
	ds_load_2addr_b32 v[74:75], v4 offset1:1
	s_wait_dscnt 0x6
	v_and_b32_e32 v86, 15, v0
	v_bfe_u32 v87, v0, 8, 4
	v_bfe_u32 v207, v0, 16, 4
	;; [unrolled: 1-line block ×3, first 2 shown]
	v_dual_lshrrev_b32 v154, 28, v0 :: v_dual_bitop2_b32 v213, 15, v1 bitop3:0x40
	s_wait_dscnt 0x5
	v_dual_lshrrev_b32 v148, 28, v1 :: v_dual_bitop2_b32 v217, 15, v2 bitop3:0x40
	v_bfe_u32 v218, v2, 8, 4
	v_bfe_u32 v219, v2, 16, 4
	;; [unrolled: 1-line block ×3, first 2 shown]
	v_dual_lshrrev_b32 v143, 28, v2 :: v_dual_bitop2_b32 v199, 15, v3 bitop3:0x40
	v_bfe_u32 v151, v0, 20, 4
	v_bfe_u32 v153, v0, 4, 4
	;; [unrolled: 1-line block ×6, first 2 shown]
	v_add_nc_u32_e32 v0, 0x1080, v121
	v_add_nc_u32_e32 v2, 0x1088, v121
	v_bfe_u32 v214, v1, 8, 4
	v_bfe_u32 v215, v1, 16, 4
	;; [unrolled: 1-line block ×12, first 2 shown]
	ds_load_2addr_b32 v[0:1], v0 offset1:1
	v_lshrrev_b32_e32 v139, 28, v3
	ds_load_2addr_b32 v[2:3], v2 offset1:1
	s_wait_dscnt 0x6
	v_and_b32_e32 v129, 15, v79
	v_add3_u32 v9, v61, s21, v8
	v_add3_u32 v124, v115, s21, v8
	;; [unrolled: 1-line block ×3, first 2 shown]
	s_wait_dscnt 0x3
	s_set_vgpr_msb 64                       ;  msbs: dst=1 src0=0 src1=0 src2=0
	v_and_b32_e32 v13 /*v269*/, 15, v6
	v_bfe_u32 v14 /*v270*/, v6, 8, 4
	v_bfe_u32 v15 /*v271*/, v6, 16, 4
	;; [unrolled: 1-line block ×3, first 2 shown]
	v_and_b32_e32 v17 /*v273*/, 15, v7
	v_bfe_u32 v18 /*v274*/, v7, 8, 4
	v_bfe_u32 v19 /*v275*/, v7, 16, 4
	;; [unrolled: 1-line block ×3, first 2 shown]
	s_set_vgpr_msb 0                        ;  msbs: dst=0 src0=0 src1=0 src2=0
	v_bfe_u32 v187, v6, 20, 4
	v_bfe_u32 v189, v6, 4, 4
	;; [unrolled: 1-line block ×3, first 2 shown]
	v_lshrrev_b32_e32 v188, 28, v6
	v_bfe_u32 v177, v7, 20, 4
	s_wait_dscnt 0x1
	v_and_b32_e32 v221, 15, v0
	v_bfe_u32 v222, v0, 8, 4
	v_bfe_u32 v223, v0, 16, 4
	;; [unrolled: 1-line block ×3, first 2 shown]
	s_wait_dscnt 0x0
	v_dual_lshrrev_b32 v166, 28, v2 :: v_dual_bitop2_b32 v229, 15, v2 bitop3:0x40
	v_bfe_u32 v230, v2, 8, 4
	v_bfe_u32 v231, v2, 16, 4
	;; [unrolled: 1-line block ×6, first 2 shown]
	v_lshrrev_b32_e32 v176, 28, v0
	v_bfe_u32 v165, v2, 20, 4
	v_bfe_u32 v167, v2, 4, 4
	;; [unrolled: 1-line block ×3, first 2 shown]
	v_add_nc_u32_e32 v0, 0x2100, v121
	v_add_nc_u32_e32 v2, 0x2108, v121
	v_dual_lshrrev_b32 v170, 28, v1 :: v_dual_bitop2_b32 v225, 15, v1 bitop3:0x40
	v_bfe_u32 v226, v1, 8, 4
	v_bfe_u32 v227, v1, 16, 4
	;; [unrolled: 1-line block ×3, first 2 shown]
	v_dual_lshrrev_b32 v159, 28, v3 :: v_dual_bitop2_b32 v233, 15, v3 bitop3:0x40
	v_bfe_u32 v234, v3, 8, 4
	v_bfe_u32 v235, v3, 16, 4
	;; [unrolled: 1-line block ×9, first 2 shown]
	ds_load_2addr_b32 v[0:1], v0 offset1:1
	ds_load_2addr_b32 v[2:3], v2 offset1:1
	v_add_nc_u32_e32 v4, 0x2110, v121
	v_and_b32_e32 v237, 15, v82
	v_bfe_u32 v180, v7, 4, 4
	v_bfe_u32 v181, v7, 12, 4
	v_lshrrev_b32_e32 v179, 28, v7
	ds_load_2addr_b32 v[4:5], v4 offset1:1
	ds_load_u16 v10, v9 offset:17920
	ds_load_u16 v9, v9 offset:17928
	v_and_b32_e32 v241, 15, v83
	v_and_b32_e32 v183, 15, v74
	s_set_vgpr_msb 64                       ;  msbs: dst=1 src0=0 src1=0 src2=0
	v_add3_u32 v34 /*v290*/, v59, s21, v8
	s_set_vgpr_msb 0                        ;  msbs: dst=0 src0=0 src1=0 src2=0
	v_dual_lshrrev_b32 v134, 4, v73 :: v_dual_bitop2_b32 v133, 15, v78 bitop3:0x40
	v_bfe_u32 v162, v78, 8, 4
	v_bfe_u32 v163, v78, 16, 4
	;; [unrolled: 1-line block ×6, first 2 shown]
	s_wait_dscnt 0x4
	v_and_b32_e32 v245, 15, v0
	v_bfe_u32 v246, v0, 8, 4
	v_bfe_u32 v247, v0, 16, 4
	;; [unrolled: 1-line block ×3, first 2 shown]
	s_wait_dscnt 0x3
	s_set_vgpr_msb 64                       ;  msbs: dst=1 src0=0 src1=0 src2=0
	v_dual_lshrrev_b32 v25 /*v281*/, 28, v0 :: v_dual_bitop2_b32 v1 /*v257*/, 15, v3 bitop3:0x40
	v_bfe_u32 v22 /*v278*/, v0, 20, 4
	v_bfe_u32 v23 /*v279*/, v0, 4, 4
	;; [unrolled: 1-line block ×3, first 2 shown]
	s_set_vgpr_msb 0                        ;  msbs: dst=0 src0=0 src1=0 src2=0
	v_add_nc_u32_e32 v0, 0x3180, v121
	s_wait_dscnt 0x1
	v_lshrrev_b16 v11, 8, v10
	v_and_b32_e32 v249, 15, v1
	v_bfe_u32 v250, v1, 8, 4
	v_bfe_u32 v251, v1, 16, 4
	ds_load_2addr_b32 v[84:85], v0 offset1:1
	v_bfe_u32 v252, v1, 24, 4
	v_and_b32_e32 v253, 15, v2
	v_bfe_u32 v254, v2, 8, 4
	v_bfe_u32 v255, v2, 16, 4
	s_set_vgpr_msb 64                       ;  msbs: dst=1 src0=0 src1=0 src2=0
	v_bfe_u32 v0 /*v256*/, v2, 24, 4
	v_bfe_u32 v2 /*v258*/, v3, 8, 4
	;; [unrolled: 1-line block ×4, first 2 shown]
	v_dual_lshrrev_b32 v29 /*v285*/, 28, v1 :: v_dual_bitop2_b32 v5 /*v261*/, 15, v4 bitop3:0x40
	v_bfe_u32 v6 /*v262*/, v4, 8, 4
	v_bfe_u32 v7 /*v263*/, v4, 16, 4
	v_bfe_u32 v8 /*v264*/, v4, 24, 4
	v_dual_lshrrev_b32 v33 /*v289*/, 28, v2 :: v_dual_bitop2_b32 v9 /*v265*/, 15, v5 bitop3:0x40
	v_bfe_u32 v10 /*v266*/, v5, 8, 4
	v_bfe_u32 v11 /*v267*/, v5, 16, 4
	;; [unrolled: 1-line block ×3, first 2 shown]
	v_and_b32_e32 v21 /*v277*/, 0xff, v10
	s_wait_dscnt 0x0
	s_set_vgpr_msb 0                        ;  msbs: dst=0 src0=0 src1=0 src2=0
	v_and_b32_e32 v0, 0xf0f0f0f, v84
	v_cvt_f32_ubyte0_e32 v76, v9
	s_set_vgpr_msb 64                       ;  msbs: dst=1 src0=0 src1=0 src2=0
	v_bfe_u32 v26 /*v282*/, v1, 20, 4
	v_bfe_u32 v27 /*v283*/, v1, 4, 4
	;; [unrolled: 1-line block ×6, first 2 shown]
	s_set_vgpr_msb 0                        ;  msbs: dst=0 src0=0 src1=0 src2=0
	v_bfe_u32 v203, v3, 20, 4
	v_bfe_u32 v205, v3, 4, 4
	v_bfe_u32 v206, v3, 12, 4
	v_lshrrev_b32_e32 v204, 28, v3
	v_bfe_u32 v195, v4, 20, 4
	v_bfe_u32 v197, v4, 4, 4
	v_bfe_u32 v198, v4, 12, 4
	v_lshrrev_b32_e32 v196, 28, v4
	;; [unrolled: 4-line block ×3, first 2 shown]
	v_and_b32_e32 v178, 0xffff, v11
	v_cvt_f32_ubyte1_e32 v77, v9
	s_set_vgpr_msb 64                       ;  msbs: dst=1 src0=0 src1=0 src2=0
	v_lshrrev_b16 v36 /*v292*/, 8, v0
	s_set_vgpr_msb 0                        ;  msbs: dst=0 src0=0 src1=0 src2=0
	ds_load_b128 v[208:211], v117
	ds_load_b128 v[8:11], v117 offset:16
	ds_load_b128 v[4:7], v117 offset:32
	;; [unrolled: 1-line block ×3, first 2 shown]
	v_bfe_u32 v240, v82, 24, 4
	v_bfe_u32 v131, v79, 16, 4
	;; [unrolled: 1-line block ×6, first 2 shown]
	v_dual_lshrrev_b32 v146, 4, v75 :: v_dual_bitop2_b32 v81, 15, v72 bitop3:0x40
	v_bfe_u32 v126, v72, 8, 4
	v_bfe_u32 v127, v72, 16, 4
	;; [unrolled: 1-line block ×8, first 2 shown]
	s_wait_dscnt 0x3
	s_set_vgpr_msb 64                       ;  msbs: dst=1 src0=0 src1=0 src2=0
	v_lshrrev_b16 v37 /*v293*/, 8, v208
	v_ashrrev_i32_e32 v41 /*v297*/, 24, v208
	v_bfe_i32 v42 /*v298*/, v208, 16, 8
	s_set_vgpr_msb 0                        ;  msbs: dst=0 src0=0 src1=0 src2=0
	v_bfe_i32 v208, v208, 0, 8
	s_set_vgpr_msb 0x41                     ;  msbs: dst=1 src0=1 src1=0 src2=0
	v_lshrrev_b16 v38 /*v294*/, 8, v209
	v_bfe_i32 v37 /*v293*/, v37 /*v293*/, 0, 8
	s_set_vgpr_msb 1                        ;  msbs: dst=0 src0=1 src1=0 src2=0
	v_mul_i32_i24_e32 v212, v41 /*v297*/, v212
	v_mul_i32_i24_e32 v207, v42 /*v298*/, v207
	s_set_vgpr_msb 0                        ;  msbs: dst=0 src0=0 src1=0 src2=0
	v_mul_i32_i24_e32 v86, v208, v86
	s_set_vgpr_msb 64                       ;  msbs: dst=1 src0=0 src1=0 src2=0
	v_lshrrev_b16 v39 /*v295*/, 8, v210
	v_lshrrev_b16 v40 /*v296*/, 8, v211
	v_bfe_u32 v35 /*v291*/, v84, 24, 4
	s_set_vgpr_msb 0                        ;  msbs: dst=0 src0=0 src1=0 src2=0
	v_bfe_u32 v136, v78, 4, 4
	s_set_vgpr_msb 1                        ;  msbs: dst=0 src0=1 src1=0 src2=0
	v_mad_i32_i24 v86, v37 /*v293*/, v87, v86
	s_set_vgpr_msb 0                        ;  msbs: dst=0 src0=0 src1=0 src2=0
	v_mul_i32_i24_e32 v87, v208, v221
	s_set_vgpr_msb 1                        ;  msbs: dst=0 src0=1 src1=0 src2=0
	v_mul_i32_i24_e32 v221, v41 /*v297*/, v248
	s_set_vgpr_msb 0                        ;  msbs: dst=0 src0=0 src1=0 src2=0
	v_bfe_u32 v156, v82, 4, 4
	v_bfe_u32 v137, v78, 12, 4
	v_add3_u32 v86, v86, v207, v212
	s_set_vgpr_msb 1                        ;  msbs: dst=0 src0=1 src1=0 src2=0
	v_mul_i32_i24_e32 v207, v42 /*v298*/, v223
	v_mul_i32_i24_e32 v212, v41 /*v297*/, v224
	v_mad_i32_i24 v87, v37 /*v293*/, v222, v87
	v_and_b32_e32 v224, 0xf0f0f0f, v85
	s_set_vgpr_msb 4                        ;  msbs: dst=0 src0=0 src1=1 src2=0
	v_bfe_u32 v223, v85, 24, 4
	v_and_b32_e32 v222, 0xffff, v36 /*v292*/
	v_bfe_u32 v157, v82, 12, 4
	s_set_vgpr_msb 0                        ;  msbs: dst=0 src0=0 src1=0 src2=0
	v_add3_u32 v87, v87, v207, v212
	v_mul_i32_i24_e32 v207, v208, v245
	s_set_vgpr_msb 1                        ;  msbs: dst=0 src0=1 src1=0 src2=0
	v_mul_i32_i24_e32 v212, v42 /*v298*/, v247
	v_ashrrev_i32_e32 v245, 24, v209
	s_set_vgpr_msb 0                        ;  msbs: dst=0 src0=0 src1=0 src2=0
	v_bfe_i32 v247, v209, 16, 8
	v_bfe_i32 v209, v209, 0, 8
	s_set_vgpr_msb 1                        ;  msbs: dst=0 src0=1 src1=0 src2=0
	v_mad_i32_i24 v207, v37 /*v293*/, v246, v207
	v_bfe_i32 v246, v38 /*v294*/, 0, 8
	s_set_vgpr_msb 0                        ;  msbs: dst=0 src0=0 src1=0 src2=0
	v_mul_i32_i24_e32 v216, v245, v216
	v_mul_i32_i24_e32 v215, v247, v215
	v_mul_i32_i24_e32 v213, v209, v213
	v_mul_i32_i24_e32 v225, v209, v225
	v_mul_i32_i24_e32 v214, v246, v214
	v_mul_i32_i24_e32 v226, v246, v226
	v_add3_u32 v207, v207, v212, v221
	v_mul_i32_i24_e32 v227, v247, v227
	v_mul_i32_i24_e32 v228, v245, v228
	v_add3_u32 v86, v86, v214, v213
	v_mul_i32_i24_e32 v248, v209, v249
	v_mul_i32_i24_e32 v249, v246, v250
	;; [unrolled: 1-line block ×4, first 2 shown]
	v_add3_u32 v213, v86, v215, v216
	v_add3_u32 v86, v87, v226, v225
	v_lshrrev_b16 v224, 8, v224
	v_and_b32_e32 v215, 15, v85
	v_dual_ashrrev_i32 v226, 24, v210 :: v_dual_bitop2_b32 v221, 15, v84 bitop3:0x40
	s_delay_alu instid0(VALU_DEP_4)
	v_add3_u32 v214, v86, v227, v228
	v_add3_u32 v86, v207, v249, v248
	v_and_b32_e32 v87, 0xffff, v224
	v_mul_i32_i24_e32 v209, v215, v209
	s_set_vgpr_msb 1                        ;  msbs: dst=0 src0=1 src1=0 src2=0
	v_bfe_i32 v227, v39 /*v295*/, 0, 8
	s_set_vgpr_msb 0                        ;  msbs: dst=0 src0=0 src1=0 src2=0
	v_bfe_i32 v228, v210, 16, 8
	v_add3_u32 v207, v86, v250, v251
	v_bfe_u32 v86, v85, 16, 4
	v_mul_i32_i24_e32 v215, v87, v246
	v_bfe_i32 v210, v210, 0, 8
	v_mul_i32_i24_e32 v218, v227, v218
	v_mul_i32_i24_e32 v219, v228, v219
	;; [unrolled: 1-line block ×3, first 2 shown]
	v_add_nc_u32_e32 v86, 0x3188, v121
	v_mul_i32_i24_e32 v217, v210, v217
	v_mul_i32_i24_e32 v220, v226, v220
	;; [unrolled: 1-line block ×4, first 2 shown]
	ds_load_2addr_b32 v[86:87], v86 offset1:1
	v_add3_u32 v213, v213, v218, v217
	v_mul_i32_i24_e32 v223, v223, v245
	v_mul_i32_i24_e32 v231, v228, v231
	;; [unrolled: 1-line block ×4, first 2 shown]
	v_add3_u32 v213, v213, v219, v220
	v_mul_i32_i24_e32 v246, v227, v254
	s_set_vgpr_msb 4                        ;  msbs: dst=0 src0=0 src1=1 src2=0
	v_mul_i32_i24_e32 v248, v226, v0 /*v256*/
	s_set_vgpr_msb 0                        ;  msbs: dst=0 src0=0 src1=0 src2=0
	v_add3_u32 v214, v214, v230, v229
	v_mul_i32_i24_e32 v247, v228, v255
	v_bfe_u32 v212, v84, 16, 4
	v_add3_u32 v207, v207, v246, v245
	s_set_vgpr_msb 4                        ;  msbs: dst=0 src0=0 src1=1 src2=0
	v_mul_i32_i24_e32 v222, v222, v37 /*v293*/
	s_set_vgpr_msb 0                        ;  msbs: dst=0 src0=0 src1=0 src2=0
	v_add3_u32 v214, v214, v231, v232
	v_bfe_u32 v135, v78, 20, 4
	v_bfe_u32 v155, v82, 20, 4
	v_add3_u32 v207, v207, v247, v248
	v_lshrrev_b32_e32 v82, 28, v82
	v_lshrrev_b32_e32 v78, 28, v78
	s_wait_dscnt 0x0
	v_and_b32_e32 v225, 0xf0f0f0f, v86
	v_bfe_u32 v224, v86, 24, 4
	v_and_b32_e32 v219, 15, v86
	v_bfe_u32 v217, v86, 16, 4
	v_bfe_u32 v220, v87, 24, 4
	v_lshrrev_b16 v225, 8, v225
	v_bfe_u32 v122, v73, 16, 4
	v_mul_i32_i24_e32 v210, v219, v210
	v_mul_i32_i24_e32 v219, v224, v226
	s_set_vgpr_msb 1                        ;  msbs: dst=0 src0=1 src1=0 src2=0
	v_bfe_i32 v226, v40 /*v296*/, 0, 8
	v_and_b32_e32 v218, 0xffff, v225
	v_ashrrev_i32_e32 v225, 24, v211
	s_set_vgpr_msb 0                        ;  msbs: dst=0 src0=0 src1=0 src2=0
	v_mul_i32_i24_e32 v217, v217, v228
	v_and_b32_e32 v224, 0xf0f0f0f, v87
	v_mul_i32_i24_e32 v200, v226, v200
	v_mul_i32_i24_e32 v218, v218, v227
	v_bfe_i32 v227, v211, 16, 8
	v_bfe_i32 v211, v211, 0, 8
	v_mul_i32_i24_e32 v229, v226, v234
	v_mul_i32_i24_e32 v202, v225, v202
	;; [unrolled: 1-line block ×7, first 2 shown]
	s_set_vgpr_msb 4                        ;  msbs: dst=0 src0=0 src1=1 src2=0
	v_mul_i32_i24_e32 v232, v211, v1 /*v257*/
	v_mul_i32_i24_e32 v233, v226, v2 /*v258*/
	s_set_vgpr_msb 0                        ;  msbs: dst=0 src0=0 src1=0 src2=0
	v_add3_u32 v199, v213, v200, v199
	v_add3_u32 v200, v214, v229, v228
	s_set_vgpr_msb 4                        ;  msbs: dst=0 src0=0 src1=1 src2=0
	v_mul_i32_i24_e32 v234, v227, v3 /*v259*/
	v_mul_i32_i24_e32 v235, v225, v4 /*v260*/
	s_set_vgpr_msb 0                        ;  msbs: dst=0 src0=0 src1=0 src2=0
	v_lshrrev_b16 v224, 8, v224
	v_add3_u32 v199, v199, v201, v202
	v_add3_u32 v202, v200, v230, v231
	;; [unrolled: 1-line block ×3, first 2 shown]
	v_and_b32_e32 v213, 15, v87
	v_and_b32_e32 v201, 0xffff, v224
	v_mul_i32_i24_e32 v220, v220, v225
	v_ashrrev_i32_e32 v230, 24, v8
	v_add3_u32 v207, v200, v234, v235
	v_bfe_u32 v200, v87, 16, 4
	v_mul_i32_i24_e32 v211, v213, v211
	v_mul_i32_i24_e32 v213, v201, v226
	v_lshrrev_b16 v226, 8, v8
	v_bfe_i32 v231, v8, 16, 8
	v_mul_i32_i24_e32 v214, v200, v227
	v_add_nc_u32_e32 v200, 0x3190, v121
	v_bfe_i32 v8, v8, 0, 8
	v_bfe_i32 v226, v226, 0, 8
	v_lshrrev_b16 v227, 8, v9
	v_mul_i32_i24_e32 v163, v231, v163
	ds_load_2addr_b32 v[200:201], v200 offset1:1
	v_mul_i32_i24_e32 v133, v8, v133
	v_mul_i32_i24_e32 v162, v226, v162
	;; [unrolled: 1-line block ×4, first 2 shown]
	s_set_vgpr_msb 4                        ;  msbs: dst=0 src0=0 src1=1 src2=0
	v_mul_i32_i24_e32 v236, v8, v5 /*v261*/
	v_mul_i32_i24_e32 v237, v226, v6 /*v262*/
	s_set_vgpr_msb 0                        ;  msbs: dst=0 src0=0 src1=0 src2=0
	v_add3_u32 v133, v199, v162, v133
	v_mul_i32_i24_e32 v233, v226, v238
	v_mul_i32_i24_e32 v234, v231, v239
	;; [unrolled: 1-line block ×3, first 2 shown]
	s_set_vgpr_msb 4                        ;  msbs: dst=0 src0=0 src1=1 src2=0
	v_mul_i32_i24_e32 v238, v231, v7 /*v263*/
	s_set_vgpr_msb 0                        ;  msbs: dst=0 src0=0 src1=0 src2=0
	v_add3_u32 v133, v133, v163, v164
	v_add3_u32 v163, v207, v237, v236
	s_set_vgpr_msb 4                        ;  msbs: dst=0 src0=0 src1=1 src2=0
	v_mul_i32_i24_e32 v239, v230, v8 /*v264*/
	s_set_vgpr_msb 0                        ;  msbs: dst=0 src0=0 src1=0 src2=0
	v_add3_u32 v162, v202, v233, v232
	v_lshrrev_b16 v228, 8, v10
	v_lshrrev_b16 v229, 8, v11
	v_bfe_u32 v123, v75, 16, 4
	v_add3_u32 v163, v163, v238, v239
	s_wait_dscnt 0x0
	v_and_b32_e32 v225, 0xf0f0f0f, v200
	v_bfe_u32 v224, v200, 24, 4
	v_add3_u32 v162, v162, v234, v235
	v_bfe_u32 v164, v200, 16, 4
	v_and_b32_e32 v202, 15, v200
	v_lshrrev_b16 v225, 8, v225
	v_mul_i32_i24_e32 v207, v224, v230
	v_and_b32_e32 v224, 0xf0f0f0f, v201
	v_mul_i32_i24_e32 v164, v164, v231
	s_add_co_i32 s21, s20, 8
	v_and_b32_e32 v199, 0xffff, v225
	v_ashrrev_i32_e32 v225, 24, v9
	v_lshrrev_b16 v224, 8, v224
	s_add_co_i32 s20, s20, 16
	v_add_nc_u32_e32 v117, 64, v117
	v_mul_i32_i24_e32 v199, v199, v226
	v_bfe_i32 v226, v227, 0, 8
	v_bfe_i32 v227, v9, 16, 8
	;; [unrolled: 1-line block ×3, first 2 shown]
	v_mul_i32_i24_e32 v132, v225, v132
	v_mul_i32_i24_e32 v233, v225, v244
	;; [unrolled: 1-line block ×5, first 2 shown]
	s_set_vgpr_msb 4                        ;  msbs: dst=0 src0=0 src1=1 src2=0
	v_mul_i32_i24_e32 v234, v9, v9 /*v265*/
	v_mul_i32_i24_e32 v235, v226, v10 /*v266*/
	s_set_vgpr_msb 0                        ;  msbs: dst=0 src0=0 src1=0 src2=0
	v_mul_i32_i24_e32 v230, v9, v241
	v_mul_i32_i24_e32 v231, v226, v242
	v_add3_u32 v129, v133, v130, v129
	v_and_b32_e32 v133, 0xffff, v224
	s_set_vgpr_msb 4                        ;  msbs: dst=0 src0=0 src1=1 src2=0
	v_mul_i32_i24_e32 v237, v225, v12 /*v268*/
	s_set_vgpr_msb 0                        ;  msbs: dst=0 src0=0 src1=0 src2=0
	v_mul_i32_i24_e32 v232, v227, v243
	v_add3_u32 v130, v162, v231, v230
	v_add3_u32 v129, v129, v131, v132
	;; [unrolled: 1-line block ×3, first 2 shown]
	v_mul_i32_i24_e32 v163, v133, v226
	v_ashrrev_i32_e32 v226, 24, v10
	v_mul_i32_i24_e32 v202, v202, v8
	v_bfe_u32 v8, v201, 24, 4
	v_and_b32_e32 v162, 15, v201
	v_bfe_u32 v132, v201, 16, 4
	s_set_vgpr_msb 4                        ;  msbs: dst=0 src0=0 src1=1 src2=0
	v_mul_i32_i24_e32 v236, v227, v11 /*v267*/
	s_set_vgpr_msb 0                        ;  msbs: dst=0 src0=0 src1=0 src2=0
	v_add3_u32 v130, v130, v232, v233
	v_mul_i32_i24_e32 v225, v8, v225
	v_add_nc_u32_e32 v8, 0x3198, v121
	v_mul_i32_i24_e32 v162, v162, v9
	v_mul_i32_i24_e32 v224, v132, v227
	v_bfe_i32 v227, v228, 0, 8
	v_bfe_i32 v228, v10, 16, 8
	ds_load_2addr_b32 v[8:9], v8 offset1:1
	v_bfe_i32 v10, v10, 0, 8
	v_mul_i32_i24_e32 v128, v226, v128
	v_mul_i32_i24_e32 v126, v227, v126
	;; [unrolled: 1-line block ×6, first 2 shown]
	v_add3_u32 v131, v131, v236, v237
	v_mul_i32_i24_e32 v185, v228, v185
	v_mul_i32_i24_e32 v186, v226, v186
	v_add3_u32 v81, v129, v126, v81
	s_set_vgpr_msb 4                        ;  msbs: dst=0 src0=0 src1=1 src2=0
	v_mul_i32_i24_e32 v230, v10, v13 /*v269*/
	v_mul_i32_i24_e32 v231, v227, v14 /*v270*/
	;; [unrolled: 1-line block ×4, first 2 shown]
	s_set_vgpr_msb 0                        ;  msbs: dst=0 src0=0 src1=0 src2=0
	v_add3_u32 v126, v81, v127, v128
	v_add3_u32 v81, v130, v184, v183
	s_cmp_lt_u32 s20, 24
	s_mov_b32 s20, s21
	s_wait_dscnt 0x0
	v_and_b32_e32 v133, 0xf0f0f0f, v8
	v_bfe_u32 v128, v8, 16, 4
	v_bfe_u32 v132, v8, 24, 4
	v_add3_u32 v127, v81, v185, v186
	v_add3_u32 v81, v131, v231, v230
	v_lshrrev_b16 v133, 8, v133
	v_and_b32_e32 v130, 15, v8
	v_mul_i32_i24_e32 v184, v128, v228
	v_and_b32_e32 v128, 0xf0f0f0f, v9
	v_and_b32_e32 v131, 15, v75
	v_and_b32_e32 v129, 0xffff, v133
	v_mul_i32_i24_e32 v10, v130, v10
	v_mul_i32_i24_e32 v185, v132, v226
	v_lshrrev_b16 v226, 8, v128
	v_ashrrev_i32_e32 v128, 24, v11
	v_mul_i32_i24_e32 v183, v129, v227
	v_bfe_i32 v227, v229, 0, 8
	v_bfe_i32 v130, v11, 16, 8
	;; [unrolled: 1-line block ×3, first 2 shown]
	v_add3_u32 v81, v81, v232, v233
	s_set_vgpr_msb 4                        ;  msbs: dst=0 src0=0 src1=1 src2=0
	v_mul_i32_i24_e32 v228, v128, v20 /*v276*/
	s_set_vgpr_msb 0                        ;  msbs: dst=0 src0=0 src1=0 src2=0
	v_mul_i32_i24_e32 v129, v227, v80
	v_and_b32_e32 v80, 15, v73
	s_set_vgpr_msb 4                        ;  msbs: dst=0 src0=0 src1=1 src2=0
	v_mul_i32_i24_e32 v133, v227, v18 /*v274*/
	v_bfe_u32 v186, v9, 24, 4
	s_set_vgpr_msb 0                        ;  msbs: dst=0 src0=0 src1=0 src2=0
	v_add_nc_u32_e32 v121, 32, v121
	v_perm_b32 v80, v131, v80, 0x5040100
	v_mul_i32_i24_e32 v131, v227, v182
	s_set_vgpr_msb 4                        ;  msbs: dst=0 src0=0 src1=1 src2=0
	v_mul_i32_i24_e32 v182, v130, v19 /*v275*/
	s_set_vgpr_msb 0                        ;  msbs: dst=0 src0=0 src1=0 src2=0
	v_pk_mul_lo_u16 v132, v80, v11 op_sel_hi:[1,0]
	s_set_vgpr_msb 4                        ;  msbs: dst=0 src0=0 src1=1 src2=0
	v_mul_i32_i24_e32 v80, v11, v17 /*v273*/
	s_set_vgpr_msb 0                        ;  msbs: dst=0 src0=0 src1=0 src2=0
	s_delay_alu instid0(VALU_DEP_1) | instskip(SKIP_1) | instid1(VALU_DEP_2)
	v_add3_u32 v80, v81, v133, v80
	v_and_b32_e32 v81, 0xffff, v226
	v_add3_u32 v80, v80, v182, v228
	v_and_b32_e32 v182, 15, v9
	s_delay_alu instid0(VALU_DEP_3) | instskip(SKIP_1) | instid1(VALU_DEP_3)
	v_mul_i32_i24_e32 v81, v81, v227
	s_set_vgpr_msb 4                        ;  msbs: dst=0 src0=0 src1=1 src2=0
	v_mul_lo_u32 v80, v80, v21 /*v277*/
	s_set_vgpr_msb 0                        ;  msbs: dst=0 src0=0 src1=0 src2=0
	v_mul_i32_i24_e32 v11, v182, v11
	v_mul_i32_i24_e32 v182, v186, v128
	v_mad_i32_i24 v186, v221, v208, v209
	s_set_vgpr_msb 5                        ;  msbs: dst=0 src0=1 src1=1 src2=0
	v_mad_i32_i24 v209, v35 /*v291*/, v41 /*v297*/, v223
	s_set_vgpr_msb 4                        ;  msbs: dst=0 src0=0 src1=1 src2=0
	v_mad_i32_i24 v208, v212, v42 /*v298*/, v216
	s_set_vgpr_msb 0                        ;  msbs: dst=0 src0=0 src1=0 src2=0
	v_add3_u32 v212, v222, v215, v218
	v_add3_u32 v186, v186, v210, v211
	;; [unrolled: 1-line block ×4, first 2 shown]
	v_cvt_f32_i32_e32 v133, v80
	v_bfe_u32 v80, v9, 16, 4
	v_add3_u32 v199, v212, v213, v199
	v_add3_u32 v207, v209, v207, v225
	;; [unrolled: 1-line block ×4, first 2 shown]
	v_mul_i32_i24_e32 v80, v80, v130
	v_add3_u32 v163, v199, v163, v183
	v_add3_u32 v182, v207, v185, v182
	;; [unrolled: 1-line block ×3, first 2 shown]
	v_ashrrev_i32_e32 v185, 24, v4
	v_add3_u32 v80, v164, v184, v80
	v_lshrrev_b16 v164, 8, v4
	v_add3_u32 v11, v163, v81, v182
	v_bfe_i32 v186, v4, 16, 8
	v_bfe_i32 v4, v4, 0, 8
	v_mul_i32_i24_e32 v154, v185, v154
	v_bfe_i32 v164, v164, 0, 8
	v_add3_u32 v10, v10, v80, v11
	s_set_vgpr_msb 1                        ;  msbs: dst=0 src0=1 src1=0 src2=0
	ds_load_u16 v11, v34 /*v290*/ offset:18432
	ds_load_u16 v162, v34 /*v290*/ offset:18440
	s_set_vgpr_msb 0                        ;  msbs: dst=0 src0=0 src1=0 src2=0
	v_mul_i32_i24_e32 v153, v4, v153
	v_mul_i32_i24_e32 v151, v186, v151
	v_lshrrev_b16 v182, 8, v5
	v_lshrrev_b16 v183, 8, v6
	;; [unrolled: 1-line block ×3, first 2 shown]
	v_mad_i32_i24 v152, v164, v152, v153
	v_mul_i32_i24_e32 v153, v186, v173
	s_set_vgpr_msb 4                        ;  msbs: dst=0 src0=0 src1=1 src2=0
	v_mul_i32_i24_e32 v173, v185, v25 /*v281*/
	s_set_vgpr_msb 0                        ;  msbs: dst=0 src0=0 src1=0 src2=0
	v_add3_u32 v151, v152, v151, v154
	v_mul_i32_i24_e32 v152, v4, v175
	v_mul_i32_i24_e32 v154, v185, v176
	v_bfe_i32 v175, v182, 0, 8
	v_bfe_i32 v176, v5, 16, 8
	s_delay_alu instid0(VALU_DEP_4)
	v_mad_i32_i24 v152, v164, v174, v152
	v_ashrrev_i32_e32 v174, 24, v5
	s_wait_dscnt 0x1
	v_lshrrev_b16 v163, 8, v11
	v_and_b32_e32 v11, 0xff, v11
	v_bfe_i32 v5, v5, 0, 8
	v_add3_u32 v152, v152, v153, v154
	s_set_vgpr_msb 4                        ;  msbs: dst=0 src0=0 src1=1 src2=0
	v_mul_i32_i24_e32 v153, v4, v23 /*v279*/
	v_mul_i32_i24_e32 v154, v186, v22 /*v278*/
	s_set_vgpr_msb 0                        ;  msbs: dst=0 src0=0 src1=0 src2=0
	v_mul_lo_u32 v10, v10, v11
	v_lshrrev_b32_e32 v11, 28, v84
	v_mul_i32_i24_e32 v149, v5, v149
	s_set_vgpr_msb 4                        ;  msbs: dst=0 src0=0 src1=1 src2=0
	v_mad_i32_i24 v153, v164, v24 /*v280*/, v153
	s_set_vgpr_msb 0                        ;  msbs: dst=0 src0=0 src1=0 src2=0
	v_mul_i32_i24_e32 v150, v175, v150
	v_mul_i32_i24_e32 v147, v176, v147
	;; [unrolled: 1-line block ×4, first 2 shown]
	v_add3_u32 v153, v153, v154, v173
	v_bfe_u32 v154, v84, 20, 4
	v_bfe_u32 v173, v84, 4, 4
	v_cvt_f32_i32_e32 v80, v10
	v_dual_lshrrev_b32 v10, 4, v84 :: v_dual_lshrrev_b32 v84, 4, v85
	v_mul_i32_i24_e32 v172, v175, v172
	v_add3_u32 v149, v151, v149, v150
	v_bfe_u32 v150, v85, 20, 4
	s_delay_alu instid0(VALU_DEP_4)
	v_lshrrev_b16 v10, 8, v10
	v_lshrrev_b16 v84, 8, v84
	v_mul_i32_i24_e32 v169, v176, v169
	v_mul_i32_i24_e32 v170, v174, v170
	s_set_vgpr_msb 4                        ;  msbs: dst=0 src0=0 src1=1 src2=0
	v_mul_i32_i24_e32 v182, v5, v27 /*v283*/
	s_set_vgpr_msb 0                        ;  msbs: dst=0 src0=0 src1=0 src2=0
	v_and_b32_e32 v10, 15, v10
	v_and_b32_e32 v84, 15, v84
	s_set_vgpr_msb 4                        ;  msbs: dst=0 src0=0 src1=1 src2=0
	v_mul_i32_i24_e32 v199, v175, v28 /*v284*/
	s_set_vgpr_msb 0                        ;  msbs: dst=0 src0=0 src1=0 src2=0
	v_add3_u32 v147, v149, v147, v148
	v_add3_u32 v148, v152, v171, v172
	v_and_b32_e32 v10, 0xffff, v10
	v_and_b32_e32 v84, 0xffff, v84
	v_add3_u32 v149, v153, v182, v199
	v_ashrrev_i32_e32 v153, 24, v6
	v_add3_u32 v148, v148, v169, v170
	v_mul_i32_i24_e32 v10, v10, v164
	v_lshrrev_b32_e32 v164, 28, v85
	v_bfe_u32 v85, v85, 4, 4
	v_mul_i32_i24_e32 v151, v84, v175
	v_lshrrev_b32_e32 v84, 4, v86
	v_bfe_i32 v169, v6, 16, 8
	v_mul_i32_i24_e32 v152, v164, v174
	v_mul_i32_i24_e32 v5, v85, v5
	v_lshrrev_b32_e32 v85, 28, v86
	v_lshrrev_b16 v84, 8, v84
	v_bfe_i32 v164, v183, 0, 8
	v_bfe_i32 v6, v6, 0, 8
	s_set_vgpr_msb 4                        ;  msbs: dst=0 src0=0 src1=1 src2=0
	v_mul_i32_i24_e32 v202, v176, v26 /*v282*/
	v_mul_i32_i24_e32 v207, v174, v29 /*v285*/
	s_set_vgpr_msb 0                        ;  msbs: dst=0 src0=0 src1=0 src2=0
	v_and_b32_e32 v84, 15, v84
	v_mul_i32_i24_e32 v145, v164, v145
	v_mul_i32_i24_e32 v144, v6, v144
	;; [unrolled: 1-line block ×3, first 2 shown]
	s_set_vgpr_msb 4                        ;  msbs: dst=0 src0=0 src1=1 src2=0
	v_mul_i32_i24_e32 v170, v6, v31 /*v287*/
	s_set_vgpr_msb 0                        ;  msbs: dst=0 src0=0 src1=0 src2=0
	v_and_b32_e32 v84, 0xffff, v84
	v_add3_u32 v149, v149, v202, v207
	v_add3_u32 v144, v147, v144, v145
	v_bfe_u32 v145, v86, 20, 4
	v_bfe_u32 v86, v86, 4, 4
	v_mul_i32_i24_e32 v142, v169, v142
	v_mul_i32_i24_e32 v143, v153, v143
	;; [unrolled: 1-line block ×3, first 2 shown]
	s_set_vgpr_msb 4                        ;  msbs: dst=0 src0=0 src1=1 src2=0
	v_mul_i32_i24_e32 v171, v164, v32 /*v288*/
	s_set_vgpr_msb 0                        ;  msbs: dst=0 src0=0 src1=0 src2=0
	v_mul_i32_i24_e32 v6, v86, v6
	v_mul_i32_i24_e32 v86, v84, v164
	v_lshrrev_b32_e32 v84, 4, v87
	v_mul_i32_i24_e32 v147, v85, v153
	v_lshrrev_b32_e32 v85, 28, v87
	v_mul_i32_i24_e32 v166, v153, v166
	s_set_vgpr_msb 4                        ;  msbs: dst=0 src0=0 src1=1 src2=0
	v_mul_i32_i24_e32 v174, v153, v33 /*v289*/
	s_set_vgpr_msb 0                        ;  msbs: dst=0 src0=0 src1=0 src2=0
	v_lshrrev_b16 v84, 8, v84
	v_add3_u32 v142, v144, v142, v143
	v_add3_u32 v143, v148, v167, v168
	;; [unrolled: 1-line block ×3, first 2 shown]
	s_delay_alu instid0(VALU_DEP_4)
	v_dual_ashrrev_i32 v148, 24, v7 :: v_dual_bitop2_b32 v84, 15, v84 bitop3:0x40
	v_bfe_i32 v149, v184, 0, 8
	v_bfe_i32 v153, v7, 16, 8
	;; [unrolled: 1-line block ×3, first 2 shown]
	v_mul_i32_i24_e32 v165, v169, v165
	s_set_vgpr_msb 4                        ;  msbs: dst=0 src0=0 src1=1 src2=0
	v_mul_i32_i24_e32 v172, v169, v30 /*v286*/
	s_set_vgpr_msb 0                        ;  msbs: dst=0 src0=0 src1=0 src2=0
	v_mul_i32_i24_e32 v141, v149, v141
	v_mul_i32_i24_e32 v138, v153, v138
	;; [unrolled: 1-line block ×3, first 2 shown]
	v_add3_u32 v143, v143, v165, v166
	v_mul_i32_i24_e32 v139, v148, v139
	v_mul_i32_i24_e32 v160, v7, v160
	;; [unrolled: 1-line block ×3, first 2 shown]
	v_add3_u32 v140, v142, v140, v141
	v_add3_u32 v144, v144, v172, v174
	v_mul_i32_i24_e32 v158, v153, v158
	v_mul_i32_i24_e32 v159, v148, v159
	v_mul_i32_i24_e32 v164, v7, v205
	v_mul_i32_i24_e32 v165, v149, v206
	v_add3_u32 v138, v140, v138, v139
	v_add3_u32 v139, v143, v160, v161
	v_bfe_u32 v141, v87, 20, 4
	v_and_b32_e32 v84, 0xffff, v84
	v_bfe_u32 v87, v87, 4, 4
	v_lshrrev_b16 v143, 8, v0
	v_mul_i32_i24_e32 v166, v153, v203
	v_mul_i32_i24_e32 v167, v148, v204
	v_add3_u32 v139, v139, v158, v159
	v_add3_u32 v140, v144, v164, v165
	v_mul_i32_i24_e32 v7, v87, v7
	v_mul_i32_i24_e32 v87, v84, v149
	v_mul_i32_i24_e32 v141, v141, v153
	v_lshrrev_b32_e32 v84, 4, v200
	v_ashrrev_i32_e32 v153, 24, v0
	v_bfe_i32 v143, v143, 0, 8
	v_bfe_i32 v158, v0, 16, 8
	;; [unrolled: 1-line block ×3, first 2 shown]
	v_add3_u32 v140, v140, v166, v167
	v_mul_i32_i24_e32 v142, v85, v148
	v_lshrrev_b32_e32 v85, 28, v200
	v_lshrrev_b16 v84, 8, v84
	v_mul_i32_i24_e32 v159, v0, v197
	v_mul_i32_i24_e32 v160, v143, v198
	;; [unrolled: 1-line block ×4, first 2 shown]
	v_and_b32_e32 v84, 15, v84
	v_mul_i32_i24_e32 v137, v143, v137
	v_add3_u32 v140, v140, v159, v160
	v_bfe_u32 v160, v200, 4, 4
	v_mul_i32_i24_e32 v157, v143, v157
	v_lshrrev_b16 v144, 8, v1
	v_mul_i32_i24_e32 v161, v158, v195
	v_mul_i32_i24_e32 v145, v145, v169
	;; [unrolled: 1-line block ×4, first 2 shown]
	v_lshrrev_b32_e32 v85, 28, v201
	v_and_b32_e32 v84, 0xffff, v84
	v_bfe_i32 v144, v144, 0, 8
	v_ashrrev_i32_e32 v169, 24, v2
	v_bfe_i32 v170, v2, 16, 8
	v_mul_i32_i24_e32 v150, v150, v176
	v_mul_i32_i24_e32 v143, v84, v143
	v_lshrrev_b32_e32 v84, 4, v201
	v_mul_i32_i24_e32 v164, v153, v196
	v_mul_i32_i24_e32 v166, v144, v194
	;; [unrolled: 1-line block ×4, first 2 shown]
	v_lshrrev_b16 v84, 8, v84
	v_add3_u32 v140, v140, v161, v164
	v_ashrrev_i32_e32 v161, 24, v1
	v_bfe_i32 v164, v1, 16, 8
	v_bfe_i32 v1, v1, 0, 8
	v_and_b32_e32 v84, 15, v84
	v_bfe_u32 v176, v83, 4, 4
	v_mul_i32_i24_e32 v168, v161, v192
	v_mul_i32_i24_e32 v167, v164, v191
	;; [unrolled: 1-line block ×3, first 2 shown]
	v_and_b32_e32 v84, 0xffff, v84
	v_bfe_u32 v182, v79, 4, 4
	v_bfe_u32 v183, v83, 12, 4
	v_lshrrev_b32_e32 v187, 28, v83
	v_add3_u32 v140, v140, v165, v166
	v_bfe_u32 v166, v201, 4, 4
	v_lshrrev_b32_e32 v188, 28, v79
	v_mul_i32_i24_e32 v135, v135, v158
	v_mul_i32_i24_e32 v155, v155, v158
	v_add3_u32 v140, v140, v167, v168
	v_mul_i32_i24_e32 v167, v84, v144
	v_lshrrev_b32_e32 v84, 4, v8
	v_mul_i32_i24_e32 v168, v85, v161
	v_lshrrev_b32_e32 v85, 28, v8
	v_mul_i32_i24_e32 v78, v153, v78
	v_mul_i32_i24_e32 v82, v153, v82
	v_lshrrev_b16 v84, 8, v84
	v_add3_u32 v136, v138, v136, v137
	v_add3_u32 v137, v139, v156, v157
	v_lshrrev_b16 v148, 8, v2
	v_mul_i32_i24_e32 v166, v166, v1
	v_and_b32_e32 v84, 15, v84
	v_bfe_i32 v2, v2, 0, 8
	v_bfe_u32 v184, v79, 12, 4
	v_bfe_u32 v83, v83, 20, 4
	v_add3_u32 v82, v137, v155, v82
	v_add3_u32 v78, v136, v135, v78
	v_mul_i32_i24_e32 v135, v1, v182
	v_mul_i32_i24_e32 v1, v1, v176
	v_mul_i32_i24_e32 v137, v144, v183
	v_bfe_i32 v148, v148, 0, 8
	v_mul_i32_i24_e32 v171, v2, v189
	v_bfe_u32 v79, v79, 20, 4
	v_bfe_u32 v189, v74, 4, 4
	;; [unrolled: 1-line block ×3, first 2 shown]
	v_mul_i32_i24_e32 v136, v144, v184
	v_mul_i32_i24_e32 v83, v164, v83
	;; [unrolled: 1-line block ×3, first 2 shown]
	v_add3_u32 v1, v82, v1, v137
	v_mul_i32_i24_e32 v172, v148, v190
	v_bfe_u32 v190, v72, 4, 4
	v_bfe_u32 v192, v72, 12, 4
	v_mul_i32_i24_e32 v79, v164, v79
	v_mul_i32_i24_e32 v138, v161, v188
	v_add3_u32 v78, v78, v135, v136
	v_add3_u32 v1, v1, v83, v139
	v_mul_i32_i24_e32 v82, v2, v189
	v_mul_i32_i24_e32 v135, v148, v191
	v_dual_lshrrev_b32 v193, 28, v74 :: v_dual_lshrrev_b32 v194, 28, v72
	v_bfe_u32 v74, v74, 20, 4
	v_bfe_u32 v72, v72, 20, 4
	v_add3_u32 v78, v78, v79, v138
	v_mul_i32_i24_e32 v79, v2, v190
	v_mul_i32_i24_e32 v83, v148, v192
	v_add3_u32 v1, v1, v82, v135
	v_dual_lshrrev_b32 v82, 4, v9 :: v_dual_lshrrev_b32 v135, 28, v9
	v_mul_i32_i24_e32 v136, v170, v72
	v_mul_i32_i24_e32 v72, v170, v74
	;; [unrolled: 1-line block ×4, first 2 shown]
	v_add3_u32 v78, v78, v79, v83
	v_lshrrev_b16 v82, 8, v82
	v_lshrrev_b16 v149, 8, v3
	v_and_b32_e32 v79, 0xffff, v84
	v_add3_u32 v72, v1, v72, v137
	v_add3_u32 v74, v78, v136, v74
	v_bfe_u32 v78, v8, 20, 4
	v_bfe_u32 v8, v8, 4, 4
	v_dual_ashrrev_i32 v82, 24, v3 :: v_dual_bitop2_b32 v136, 15, v82 bitop3:0x40
	v_bfe_i32 v84, v3, 16, 8
	v_bfe_i32 v137, v3, 0, 8
	v_and_b32_e32 v3, 15, v134
	v_and_b32_e32 v83, 15, v146
	v_add3_u32 v1, v140, v171, v172
	v_mul_i32_i24_e32 v2, v8, v2
	v_mul_i32_i24_e32 v8, v79, v148
	;; [unrolled: 1-line block ×3, first 2 shown]
	v_bfe_i32 v85, v149, 0, 8
	v_perm_b32 v3, v83, v3, 0x5040100
	v_add3_u32 v1, v1, v174, v175
	v_mul_i32_i24_e32 v138, v84, v177
	v_mul_i32_i24_e32 v139, v82, v179
	;; [unrolled: 1-line block ×3, first 2 shown]
	v_pk_mul_lo_u16 v83, v3, v137 op_sel_hi:[1,0]
	v_mul_i32_i24_e32 v3, v137, v180
	v_mad_i32_i24 v4, v173, v4, v5
	v_bfe_u32 v159, v200, 20, 4
	v_bfe_u32 v165, v201, 20, 4
	v_mad_i32_i24 v5, v154, v186, v150
	v_add3_u32 v1, v1, v3, v134
	v_add3_u32 v10, v10, v151, v86
	;; [unrolled: 1-line block ×3, first 2 shown]
	v_mul_i32_i24_e32 v159, v159, v158
	v_mul_i32_i24_e32 v165, v165, v164
	v_add3_u32 v1, v1, v138, v139
	v_mad_i32_i24 v11, v11, v185, v152
	v_add3_u32 v5, v5, v145, v141
	v_add3_u32 v6, v10, v87, v143
	;; [unrolled: 1-line block ×3, first 2 shown]
	v_mul_lo_u32 v1, v1, v178
	v_add3_u32 v11, v11, v147, v142
	v_add3_u32 v4, v5, v159, v165
	v_add3_u32 v5, v6, v167, v8
	v_and_b32_e32 v134, 0xffff, v136
	v_mul_i32_i24_e32 v135, v135, v82
	v_add3_u32 v7, v11, v160, v168
	v_mul_i32_i24_e32 v78, v78, v170
	s_wait_dscnt 0x0
	v_cvt_f32_ubyte0_e32 v81, v162
	v_mul_i32_i24_e32 v134, v134, v85
	v_bfe_u32 v86, v75, 24, 4
	v_cvt_f32_i32_e32 v3, v1
	v_bfe_u32 v1, v9, 20, 4
	v_bfe_u32 v9, v9, 4, 4
	v_add3_u32 v6, v7, v79, v135
	v_bfe_u32 v87, v73, 24, 4
	v_mul_i32_i24_e32 v86, v128, v86
	v_mul_i32_i24_e32 v1, v1, v84
	;; [unrolled: 1-line block ×3, first 2 shown]
	v_bfe_u32 v135, v75, 20, 4
	v_mul_i32_i24_e32 v87, v128, v87
	v_bfe_i32 v128, v132, 0, 16
	v_add3_u32 v1, v4, v78, v1
	v_add3_u32 v0, v0, v2, v9
	ds_load_b64 v[8:9], v118
	v_add3_u32 v2, v5, v134, v6
	v_add3_u32 v126, v126, v129, v128
	v_lshrrev_b32_e32 v134, 28, v73
	v_bfe_u32 v136, v73, 20, 4
	v_bfe_u32 v73, v73, 12, 4
	v_add3_u32 v0, v0, v1, v2
	v_and_b32_e32 v1, 0xffff, v163
	v_add_nc_u32_e32 v118, 8, v118
	s_delay_alu instid0(VALU_DEP_4) | instskip(NEXT) | instid1(VALU_DEP_3)
	v_mul_i32_i24_e32 v73, v85, v73
	v_mul_lo_u32 v0, v0, v1
	v_cvt_f32_ubyte1_e32 v1, v162
	s_wait_dscnt 0x0
	v_lshrrev_b32_e32 v2, 16, v8
	v_cvt_f32_f16_e32 v10, v8
	v_fma_mix_f32 v8, v8, v133, 0 op_sel_hi:[1,0,0]
	v_lshrrev_b32_e32 v133, 28, v75
	v_bfe_u32 v75, v75, 12, 4
	v_cvt_f32_f16_e32 v11, v2
	v_lshrrev_b32_e32 v2, 16, v9
	v_cvt_f32_i32_e32 v0, v0
	v_cvt_f32_f16_e32 v4, v9
	v_mul_i32_i24_e32 v75, v85, v75
	v_mov_b32_e32 v6, v11
	v_cvt_f32_f16_e32 v5, v2
	v_mul_i32_i24_e32 v85, v84, v136
	v_mul_i32_i24_e32 v84, v84, v135
	v_fma_mix_f32 v3, v9, v3, v8 op_sel_hi:[1,0,0]
	s_delay_alu instid0(VALU_DEP_1) | instskip(NEXT) | instid1(VALU_DEP_1)
	v_dual_mov_b32 v7, v5 :: v_dual_mul_f32 v8, v3, v119
	v_pk_mul_f32 v[6:7], v[6:7], v[76:77]
	ds_load_u16 v76, v124
	ds_load_u16 v77, v124 offset:8
	v_add_f32_e32 v2, 0, v6
	s_delay_alu instid0(VALU_DEP_1)
	v_add_f32_e32 v2, v2, v7
	v_pk_fma_f32 v[6:7], v[80:81], v[10:11], 0 op_sel_hi:[1,1,0]
	ds_load_u16 v78, v125 offset:17408
	ds_load_u16 v81, v125 offset:17416
	v_mul_f32_e32 v2, v2, v120
	v_pk_fma_f32 v[0:1], v[0:1], v[4:5], v[6:7]
	s_wait_dscnt 0x3
	v_lshrrev_b16 v80, 8, v76
	v_and_b32_e32 v76, 0xff, v76
	s_delay_alu instid0(VALU_DEP_3) | instskip(NEXT) | instid1(VALU_DEP_3)
	v_pk_mul_f32 v[0:1], v[0:1], v[68:69]
	v_and_b32_e32 v137, 0xffff, v80
	s_wait_dscnt 0x2
	v_cvt_f32_ubyte1_e32 v80, v77
	s_delay_alu instid0(VALU_DEP_3)
	v_dual_mov_b32 v9, v0 :: v_dual_mov_b32 v3, v1
	s_wait_dscnt 0x1
	v_lshrrev_b16 v124, 8, v78
	v_and_b32_e32 v125, 0xff, v78
	v_cvt_f32_ubyte0_e32 v78, v77
	v_mul_i32_i24_e32 v77, v122, v130
	v_mul_i32_i24_e32 v122, v123, v130
	v_ashrrev_i32_e32 v123, 16, v132
	v_and_b32_e32 v124, 0xffff, v124
	s_wait_dscnt 0x0
	v_cvt_f32_ubyte0_e32 v79, v81
	v_add3_u32 v77, v126, v77, v87
	v_ashrrev_i32_e32 v87, 16, v83
	v_add3_u32 v123, v127, v131, v123
	v_bfe_i32 v83, v83, 0, 16
	v_cvt_f32_ubyte1_e32 v81, v81
	v_mul_lo_u32 v76, v77, v76
	v_add3_u32 v72, v72, v87, v75
	v_add3_u32 v86, v123, v122, v86
	v_add3_u32 v73, v74, v83, v73
	v_pk_add_f32 v[2:3], v[8:9], v[2:3] neg_lo:[0,1] neg_hi:[0,1]
	s_delay_alu instid0(VALU_DEP_3) | instskip(SKIP_2) | instid1(VALU_DEP_4)
	v_mul_lo_u32 v77, v86, v125
	v_mul_i32_i24_e32 v86, v82, v134
	v_mul_i32_i24_e32 v82, v82, v133
	v_pk_add_f32 v[16:17], v[16:17], v[2:3]
	v_cvt_f32_i32_e32 v76, v76
	s_delay_alu instid0(VALU_DEP_4) | instskip(NEXT) | instid1(VALU_DEP_4)
	v_add3_u32 v73, v73, v85, v86
	v_add3_u32 v72, v72, v84, v82
	s_delay_alu instid0(VALU_DEP_2) | instskip(NEXT) | instid1(VALU_DEP_2)
	v_mul_lo_u32 v74, v73, v137
	v_mul_lo_u32 v72, v72, v124
	v_cvt_f32_i32_e32 v77, v77
	s_delay_alu instid0(VALU_DEP_2) | instskip(NEXT) | instid1(VALU_DEP_4)
	v_cvt_f32_i32_e32 v73, v72
	v_cvt_f32_i32_e32 v72, v74
	v_mov_b32_e32 v74, v11
	s_delay_alu instid0(VALU_DEP_4) | instskip(NEXT) | instid1(VALU_DEP_2)
	v_pk_fma_f32 v[10:11], v[10:11], v[76:77], 0 op_sel_hi:[0,1,0]
	v_pk_fma_f32 v[74:75], v[74:75], v[78:79], 0 op_sel_hi:[0,1,0]
	v_mov_b32_e32 v78, v5
	s_delay_alu instid0(VALU_DEP_3) | instskip(NEXT) | instid1(VALU_DEP_2)
	v_pk_fma_f32 v[10:11], v[4:5], v[72:73], v[10:11] op_sel_hi:[0,1,1]
	v_pk_fma_f32 v[74:75], v[78:79], v[80:81], v[74:75] op_sel_hi:[0,1,1]
	s_delay_alu instid0(VALU_DEP_1) | instskip(NEXT) | instid1(VALU_DEP_1)
	v_pk_mul_f32 v[74:75], v[74:75], v[70:71]
	v_pk_fma_f32 v[0:1], v[10:11], v[66:67], v[74:75] neg_lo:[0,0,1] neg_hi:[0,0,1]
	s_delay_alu instid0(VALU_DEP_1)
	v_pk_add_f32 v[18:19], v[18:19], v[0:1]
	s_cbranch_scc1 .LBB232_19
; %bb.20:                               ;   in Loop: Header=BB232_5 Depth=1
	s_barrier_signal -1
	s_barrier_wait -1
	s_branch .LBB232_4
.LBB232_21:
	v_mov_b32_e32 v18, 0
	s_delay_alu instid0(VALU_DEP_1)
	v_dual_mov_b32 v19, v18 :: v_dual_mov_b32 v16, v18
	v_mov_b32_e32 v17, v18
.LBB232_22:
	s_mul_i32 s0, s10, s7
	s_wait_loadcnt 0x0
	v_cmp_gt_i32_e32 vcc_lo, s0, v13
	s_wait_xcnt 0x0
	s_and_saveexec_b32 s0, vcc_lo
	s_cbranch_execz .LBB232_31
; %bb.23:
	v_mul_lo_u32 v0, v13, s9
	v_add_nc_u32_e32 v1, s11, v29
	s_mov_b32 s0, exec_lo
	s_delay_alu instid0(VALU_DEP_1)
	v_cmpx_gt_u32_e64 s9, v1
	s_cbranch_execz .LBB232_25
; %bb.24:
	v_bfe_u32 v2, v18, 16, 1
	v_cmp_o_f32_e32 vcc_lo, v18, v18
	v_add_nc_u32_e32 v3, v0, v1
	s_delay_alu instid0(VALU_DEP_3) | instskip(NEXT) | instid1(VALU_DEP_1)
	v_add3_u32 v2, v18, v2, 0x7fff
	v_lshrrev_b32_e32 v2, 16, v2
	s_delay_alu instid0(VALU_DEP_1)
	v_cndmask_b32_e32 v2, 0x7fc0, v2, vcc_lo
	global_store_b16 v3, v2, s[12:13] scale_offset
.LBB232_25:
	s_wait_xcnt 0x0
	s_or_b32 exec_lo, exec_lo, s0
	v_add_nc_u32_e32 v2, 32, v1
	s_mov_b32 s0, exec_lo
	s_delay_alu instid0(VALU_DEP_1)
	v_cmpx_gt_u32_e64 s9, v2
	s_cbranch_execz .LBB232_27
; %bb.26:
	v_bfe_u32 v3, v19, 16, 1
	v_cmp_o_f32_e32 vcc_lo, v19, v19
	v_add_nc_u32_e32 v2, v0, v2
	s_delay_alu instid0(VALU_DEP_3) | instskip(NEXT) | instid1(VALU_DEP_1)
	v_add3_u32 v3, v19, v3, 0x7fff
	v_lshrrev_b32_e32 v3, 16, v3
	s_delay_alu instid0(VALU_DEP_1)
	v_cndmask_b32_e32 v3, 0x7fc0, v3, vcc_lo
	global_store_b16 v2, v3, s[12:13] scale_offset
.LBB232_27:
	s_wait_xcnt 0x0
	s_or_b32 exec_lo, exec_lo, s0
	;; [unrolled: 18-line block ×3, first 2 shown]
	v_add_nc_u32_e32 v1, 0x60, v1
	s_delay_alu instid0(VALU_DEP_1)
	v_cmp_gt_u32_e32 vcc_lo, s9, v1
	s_and_b32 exec_lo, exec_lo, vcc_lo
	s_cbranch_execz .LBB232_31
; %bb.30:
	v_bfe_u32 v2, v17, 16, 1
	v_cmp_o_f32_e32 vcc_lo, v17, v17
	v_add_nc_u32_e32 v0, v0, v1
	s_delay_alu instid0(VALU_DEP_3) | instskip(NEXT) | instid1(VALU_DEP_1)
	v_add3_u32 v2, v17, v2, 0x7fff
	v_lshrrev_b32_e32 v2, 16, v2
	s_delay_alu instid0(VALU_DEP_1)
	v_cndmask_b32_e32 v2, 0x7fc0, v2, vcc_lo
	global_store_b16 v0, v2, s[12:13] scale_offset
.LBB232_31:
	s_sendmsg sendmsg(MSG_DEALLOC_VGPRS)
	s_endpgm
	.section	.rodata,"a",@progbits
	.p2align	6, 0x0
	.amdhsa_kernel _ZL8moe_q4_KIN3c108BFloat16ELb1EEvPKvS3_PT_PKiS7_S7_iiiiiii
		.amdhsa_group_segment_fixed_size 20688
		.amdhsa_private_segment_fixed_size 0
		.amdhsa_kernarg_size 76
		.amdhsa_user_sgpr_count 2
		.amdhsa_user_sgpr_dispatch_ptr 0
		.amdhsa_user_sgpr_queue_ptr 0
		.amdhsa_user_sgpr_kernarg_segment_ptr 1
		.amdhsa_user_sgpr_dispatch_id 0
		.amdhsa_user_sgpr_kernarg_preload_length 0
		.amdhsa_user_sgpr_kernarg_preload_offset 0
		.amdhsa_user_sgpr_private_segment_size 0
		.amdhsa_wavefront_size32 1
		.amdhsa_uses_dynamic_stack 0
		.amdhsa_enable_private_segment 0
		.amdhsa_system_sgpr_workgroup_id_x 1
		.amdhsa_system_sgpr_workgroup_id_y 1
		.amdhsa_system_sgpr_workgroup_id_z 0
		.amdhsa_system_sgpr_workgroup_info 0
		.amdhsa_system_vgpr_workitem_id 1
		.amdhsa_next_free_vgpr 299
		.amdhsa_next_free_sgpr 24
		.amdhsa_named_barrier_count 0
		.amdhsa_reserve_vcc 1
		.amdhsa_float_round_mode_32 0
		.amdhsa_float_round_mode_16_64 0
		.amdhsa_float_denorm_mode_32 3
		.amdhsa_float_denorm_mode_16_64 3
		.amdhsa_fp16_overflow 0
		.amdhsa_memory_ordered 1
		.amdhsa_forward_progress 1
		.amdhsa_inst_pref_size 124
		.amdhsa_round_robin_scheduling 0
		.amdhsa_exception_fp_ieee_invalid_op 0
		.amdhsa_exception_fp_denorm_src 0
		.amdhsa_exception_fp_ieee_div_zero 0
		.amdhsa_exception_fp_ieee_overflow 0
		.amdhsa_exception_fp_ieee_underflow 0
		.amdhsa_exception_fp_ieee_inexact 0
		.amdhsa_exception_int_div_zero 0
	.end_amdhsa_kernel
	.section	.text._ZL8moe_q4_KIN3c108BFloat16ELb1EEvPKvS3_PT_PKiS7_S7_iiiiiii,"axG",@progbits,_ZL8moe_q4_KIN3c108BFloat16ELb1EEvPKvS3_PT_PKiS7_S7_iiiiiii,comdat
.Lfunc_end232:
	.size	_ZL8moe_q4_KIN3c108BFloat16ELb1EEvPKvS3_PT_PKiS7_S7_iiiiiii, .Lfunc_end232-_ZL8moe_q4_KIN3c108BFloat16ELb1EEvPKvS3_PT_PKiS7_S7_iiiiiii
                                        ; -- End function
	.set _ZL8moe_q4_KIN3c108BFloat16ELb1EEvPKvS3_PT_PKiS7_S7_iiiiiii.num_vgpr, 299
	.set _ZL8moe_q4_KIN3c108BFloat16ELb1EEvPKvS3_PT_PKiS7_S7_iiiiiii.num_agpr, 0
	.set _ZL8moe_q4_KIN3c108BFloat16ELb1EEvPKvS3_PT_PKiS7_S7_iiiiiii.numbered_sgpr, 24
	.set _ZL8moe_q4_KIN3c108BFloat16ELb1EEvPKvS3_PT_PKiS7_S7_iiiiiii.num_named_barrier, 0
	.set _ZL8moe_q4_KIN3c108BFloat16ELb1EEvPKvS3_PT_PKiS7_S7_iiiiiii.private_seg_size, 0
	.set _ZL8moe_q4_KIN3c108BFloat16ELb1EEvPKvS3_PT_PKiS7_S7_iiiiiii.uses_vcc, 1
	.set _ZL8moe_q4_KIN3c108BFloat16ELb1EEvPKvS3_PT_PKiS7_S7_iiiiiii.uses_flat_scratch, 0
	.set _ZL8moe_q4_KIN3c108BFloat16ELb1EEvPKvS3_PT_PKiS7_S7_iiiiiii.has_dyn_sized_stack, 0
	.set _ZL8moe_q4_KIN3c108BFloat16ELb1EEvPKvS3_PT_PKiS7_S7_iiiiiii.has_recursion, 0
	.set _ZL8moe_q4_KIN3c108BFloat16ELb1EEvPKvS3_PT_PKiS7_S7_iiiiiii.has_indirect_call, 0
	.section	.AMDGPU.csdata,"",@progbits
; Kernel info:
; codeLenInByte = 15844
; TotalNumSgprs: 26
; NumVgprs: 299
; ScratchSize: 0
; MemoryBound: 0
; FloatMode: 240
; IeeeMode: 1
; LDSByteSize: 20688 bytes/workgroup (compile time only)
; SGPRBlocks: 0
; VGPRBlocks: 18
; NumSGPRsForWavesPerEU: 26
; NumVGPRsForWavesPerEU: 299
; NamedBarCnt: 0
; Occupancy: 3
; WaveLimiterHint : 1
; COMPUTE_PGM_RSRC2:SCRATCH_EN: 0
; COMPUTE_PGM_RSRC2:USER_SGPR: 2
; COMPUTE_PGM_RSRC2:TRAP_HANDLER: 0
; COMPUTE_PGM_RSRC2:TGID_X_EN: 1
; COMPUTE_PGM_RSRC2:TGID_Y_EN: 1
; COMPUTE_PGM_RSRC2:TGID_Z_EN: 0
; COMPUTE_PGM_RSRC2:TIDIG_COMP_CNT: 1
	.section	.text._ZL8moe_q5_KIN3c108BFloat16ELb0EEvPKvS3_PT_PKiS7_S7_iiiiiii,"axG",@progbits,_ZL8moe_q5_KIN3c108BFloat16ELb0EEvPKvS3_PT_PKiS7_S7_iiiiiii,comdat
	.globl	_ZL8moe_q5_KIN3c108BFloat16ELb0EEvPKvS3_PT_PKiS7_S7_iiiiiii ; -- Begin function _ZL8moe_q5_KIN3c108BFloat16ELb0EEvPKvS3_PT_PKiS7_S7_iiiiiii
	.p2align	8
	.type	_ZL8moe_q5_KIN3c108BFloat16ELb0EEvPKvS3_PT_PKiS7_S7_iiiiiii,@function
_ZL8moe_q5_KIN3c108BFloat16ELb0EEvPKvS3_PT_PKiS7_S7_iiiiiii: ; @_ZL8moe_q5_KIN3c108BFloat16ELb0EEvPKvS3_PT_PKiS7_S7_iiiiiii
; %bb.0:
	s_load_b128 s[4:7], s[0:1], 0x18
	s_bfe_u32 s2, ttmp6, 0x40010
	s_bfe_u32 s8, ttmp6, 0x40004
	s_add_co_i32 s2, s2, 1
	s_delay_alu instid0(SALU_CYCLE_1)
	s_mul_i32 s3, ttmp7, s2
	s_getreg_b32 s2, hwreg(HW_REG_IB_STS2, 6, 4)
	s_add_co_i32 s8, s8, s3
	s_cmp_eq_u32 s2, 0
	s_cselect_b32 s3, ttmp7, s8
	s_wait_kmcnt 0x0
	s_load_b32 s12, s[6:7], s3 offset:0x0 scale_offset
	s_wait_kmcnt 0x0
	s_cmp_gt_u32 s12, 0xff
	s_cbranch_scc1 .LBB233_30
; %bb.1:
	s_load_b64 s[6:7], s[0:1], 0x28
	s_lshl_b32 s3, s3, 3
	s_wait_kmcnt 0x0
	s_load_b32 s6, s[6:7], 0x0
	s_wait_kmcnt 0x0
	s_cmp_gt_u32 s3, s6
	s_cbranch_scc1 .LBB233_30
; %bb.2:
	v_bfe_u32 v20, v0, 10, 10
	s_and_b32 s13, ttmp6, 15
	v_and_b32_e32 v3, 0x3ff, v0
	v_dual_mov_b32 v45, 0 :: v_dual_mov_b32 v19, 0
	s_delay_alu instid0(VALU_DEP_3) | instskip(SKIP_1) | instid1(SALU_CYCLE_1)
	v_dual_add_nc_u32 v1, s3, v20 :: v_dual_mov_b32 v43, 0
	s_bfe_u32 s3, ttmp6, 0x4000c
	s_add_co_i32 s3, s3, 1
	global_load_b32 v1, v1, s[4:5] scale_offset
	s_clause 0x2
	s_load_b64 s[10:11], s[0:1], 0x30
	s_load_b64 s[8:9], s[0:1], 0x10
	s_load_b128 s[4:7], s[0:1], 0x3c
	s_mul_i32 s3, ttmp9, s3
	v_mov_b32_e32 v18, v43
	s_add_co_i32 s13, s13, s3
	s_cmp_eq_u32 s2, 0
	s_cselect_b32 s2, ttmp9, s13
	s_mov_b32 s13, 0
	s_lshl_b32 s18, s2, 7
	s_wait_kmcnt 0x0
	s_cmp_lt_i32 s11, 0x100
	s_cbranch_scc1 .LBB233_21
; %bb.3:
	s_load_b128 s[0:3], s[0:1], 0x0
	v_dual_lshlrev_b32 v7, 3, v3 :: v_dual_bitop2_b32 v4, 7, v0 bitop3:0x40
	s_mul_i32 s16, s12, s10
	v_dual_mov_b32 v5, 0 :: v_dual_lshlrev_b32 v19, 2, v3
	v_bfe_u32 v14, v0, 2, 8
	s_delay_alu instid0(VALU_DEP_3)
	v_lshlrev_b32_e32 v8, 2, v4
	s_ashr_i32 s17, s16, 31
	v_mul_u32_u24_e32 v10, 0x41, v20
	v_and_b32_e32 v6, 28, v19
	v_dual_lshlrev_b32 v11, 5, v20 :: v_dual_bitop2_b32 v9, 6, v14 bitop3:0x40
	v_and_or_b32 v12, 0xc0, v7, v8
	v_dual_lshlrev_b32 v24, 3, v20 :: v_dual_bitop2_b32 v25, 4, v19 bitop3:0x40
	v_and_b32_e32 v16, 3, v0
	s_ashr_i32 s14, s11, 31
	s_delay_alu instid0(VALU_DEP_3)
	v_lshl_add_u32 v15, v10, 2, v12
	v_add_nc_u32_e32 v10, v11, v3
	s_wait_kmcnt 0x0
	s_add_nc_u64 s[16:17], s[0:1], s[16:17]
	s_abs_i32 s1, s7
	v_add_nc_u32_e32 v18, 0xfe, v16
	s_cvt_f32_u32 s0, s1
	v_and_b32_e32 v17, 0x7f, v10
	v_lshrrev_b32_e32 v12, 3, v10
	s_lshr_b32 s10, s14, 24
	v_rcp_iflag_f32_e32 v21, s0
	v_and_b32_e32 v18, 0xff, v18
	s_delay_alu instid0(VALU_DEP_2) | instskip(SKIP_3) | instid1(TRANS32_DEP_1)
	v_dual_lshlrev_b32 v23, 2, v17 :: v_dual_bitop2_b32 v22, 12, v12 bitop3:0x40
	v_cmp_gt_u32_e32 vcc_lo, 2, v16
	s_add_co_i32 s10, s11, s10
	s_sub_co_i32 s19, 0, s1
	v_readfirstlane_b32 s0, v21
	s_ashr_i32 s10, s10, 8
	s_wait_loadcnt 0x0
	v_sub_nc_u32_e32 v21, 0, v1
	v_mul_i32_i24_e32 v12, s10, v17
	v_add3_u32 v17, v23, v22, 0x8e40
	s_mul_f32 s0, s0, 0x4f7ffffe
	s_delay_alu instid0(VALU_DEP_3) | instskip(SKIP_1) | instid1(SALU_CYCLE_1)
	v_dual_cndmask_b32 v22, v18, v16, vcc_lo :: v_dual_max_i32 v26, v1, v21
	v_cmp_ne_u32_e32 vcc_lo, 0, v16
	s_cvt_u32_f32 s0, s0
	v_add_nc_u32_e32 v23, v14, v24
	v_add_nc_u16 v14, v14, v24
	s_ashr_i32 s15, s5, 31
	s_mul_i32 s19, s19, s0
	v_add_co_ci_u32_e64 v18, null, 0, v22, vcc_lo
	v_cmp_lt_u32_e32 vcc_lo, 1, v16
	s_mul_hi_u32 s19, s0, s19
	v_bitop3_b32 v24, v23, 64, 0x7f bitop3:0x6c
	s_add_co_i32 s0, s0, s19
	v_dual_cndmask_b32 v21, 0, v25 :: v_dual_lshlrev_b32 v16, 2, v16
	v_mul_hi_u32 v25, v26, s0
	v_lshrrev_b16 v14, 1, v14
	v_lshrrev_b32_e32 v29, 1, v24
	v_and_b32_e32 v27, 0x7f, v23
	v_lshlrev_b32_e32 v23, 1, v22
	v_lshl_or_b32 v32, v24, 4, v16
	v_and_b32_e32 v31, 60, v14
	v_bfe_u32 v2, v0, 5, 5
	v_lshl_or_b32 v22, v27, 4, v16
	v_mul_i32_i24_e32 v14, s10, v27
	v_mul_i32_i24_e32 v16, s10, v24
	v_mul_lo_u32 v30, v25, s1
	v_dual_add_nc_u32 v24, 1, v25 :: v_dual_bitop2_b32 v28, 31, v0 bitop3:0x40
	v_add3_u32 v27, v22, v31, 0x8200
	v_cndmask_b32_e64 v34, 0, 1, vcc_lo
	v_bfe_u32 v37, v0, 3, 7
	s_lshr_b32 s12, s15, 27
	v_mul_i32_i24_e32 v8, s10, v20
	s_add_co_i32 s5, s5, s12
	s_lshl_b32 s12, s10, 3
	v_dual_sub_nc_u32 v22, v26, v30 :: v_dual_bitop2_b32 v29, 60, v29 bitop3:0x40
	v_lshlrev_b32_e32 v28, 2, v28
	v_mad_i32_i24 v10, s10, v20, s12
	v_lshlrev_b32_e32 v38, 4, v20
	s_ashr_i32 s5, s5, 5
	v_subrev_nc_u32_e32 v0, s1, v22
	v_cmp_le_u32_e32 vcc_lo, s1, v22
	v_lshl_or_b32 v28, v20, 7, v28
	v_xor_b32_e32 v26, s7, v1
	v_add3_u32 v29, v32, v29, 0x8200
	v_dual_mov_b32 v31, v5 :: v_dual_add_nc_u32 v36, 0x9050, v19
	v_dual_cndmask_b32 v20, v25, v24 :: v_dual_lshlrev_b32 v25, 2, v2
	v_dual_cndmask_b32 v0, v22, v0, vcc_lo :: v_dual_add_nc_u32 v24, 32, v3
	s_delay_alu instid0(VALU_DEP_2) | instskip(NEXT) | instid1(VALU_DEP_3)
	v_dual_ashrrev_i32 v26, 31, v26 :: v_dual_add_nc_u32 v22, 1, v20
	v_add3_u32 v41, v25, v19, 0x8e40
	s_delay_alu instid0(VALU_DEP_3) | instskip(SKIP_4) | instid1(VALU_DEP_3)
	v_cmp_le_u32_e32 vcc_lo, s1, v0
	v_add_nc_u32_e32 v33, 0x8a40, v28
	v_dual_lshrrev_b32 v39, 3, v24 :: v_dual_add_nc_u32 v28, 64, v3
	v_dual_cndmask_b32 v0, v20, v22 :: v_dual_lshlrev_b32 v43, 2, v24
	v_dual_mov_b32 v35, v5 :: v_dual_add_nc_u32 v22, 0x60, v3
	v_dual_lshrrev_b32 v40, 3, v28 :: v_dual_bitop2_b32 v20, 60, v39 bitop3:0x40
	s_delay_alu instid0(VALU_DEP_3) | instskip(SKIP_1) | instid1(VALU_DEP_3)
	v_xor_b32_e32 v25, v0, v26
	v_dual_add_nc_u32 v0, s12, v10 :: v_dual_lshlrev_b32 v44, 2, v28
	v_dual_lshrrev_b32 v42, 3, v22 :: v_dual_bitop2_b32 v24, 60, v40 bitop3:0x40
	s_delay_alu instid0(VALU_DEP_4) | instskip(NEXT) | instid1(VALU_DEP_3)
	v_add3_u32 v47, v19, v20, 0x8e40
	v_dual_sub_nc_u32 v25, v25, v26 :: v_dual_add_nc_u32 v20, s12, v0
	s_delay_alu instid0(VALU_DEP_3) | instskip(SKIP_2) | instid1(VALU_DEP_4)
	v_and_b32_e32 v26, 60, v42
	v_lshlrev_b32_e32 v45, 2, v22
	v_add3_u32 v49, v19, v24, 0x8e40
	v_mul_lo_u32 v24, v25, s5
	v_add_nc_u32_e32 v22, s12, v20
	v_add3_u32 v53, v19, v26, 0x8e40
	s_movk_i32 s1, 0x2080
	v_dual_add_nc_u32 v90, v36, v38 :: v_dual_lshlrev_b32 v91, 2, v37
	s_delay_alu instid0(VALU_DEP_3) | instskip(SKIP_3) | instid1(VALU_DEP_4)
	v_add_nc_u32_e32 v26, s12, v22
	v_mad_u32_u24 v87, 0x104, v3, s1
	v_cmp_gt_i32_e64 s1, s4, v25
	v_dual_lshlrev_b32 v93, 2, v39 :: v_dual_lshlrev_b32 v95, 2, v40
	v_dual_add_nc_u32 v28, s12, v26 :: v_dual_ashrrev_i32 v25, 31, v24
	v_lshlrev_b32_e32 v30, 2, v18
	v_dual_lshlrev_b32 v97, 2, v42 :: v_dual_lshlrev_b32 v98, 2, v45
	s_delay_alu instid0(VALU_DEP_3) | instskip(SKIP_2) | instid1(VALU_DEP_3)
	v_dual_add_nc_u32 v32, s12, v28 :: v_dual_lshlrev_b32 v34, 2, v34
	v_dual_lshlrev_b32 v94, 2, v43 :: v_dual_lshlrev_b32 v96, 2, v44
	v_dual_mov_b32 v7, v5 :: v_dual_bitop2_b32 v13, 1, v9 bitop3:0x54
	v_dual_add_nc_u32 v36, s12, v32 :: v_dual_lshlrev_b32 v92, 2, v19
	v_mov_b32_e32 v18, v5
	s_mul_i32 s14, s10, s18
	v_cmp_gt_u32_e64 s0, 4, v3
	s_delay_alu instid0(VALU_DEP_3)
	v_add_nc_u32_e32 v38, s12, v36
	s_movk_i32 s19, 0x4100
	s_movk_i32 s20, 0x6180
	v_add_nc_u64_e32 v[50:51], s[2:3], v[6:7]
	s_ashr_i32 s15, s14, 31
	v_add_nc_u32_e32 v40, s12, v38
	v_and_b32_e32 v4, 0x7c, v19
	v_mul_u32_u24_e32 v86, 0x104, v3
	v_mad_u32_u24 v88, 0x104, v3, s19
	v_mad_u32_u24 v89, 0x104, v3, s20
	v_add_nc_u32_e32 v42, s12, v40
	v_add_nc_u32_e32 v99, 0x800, v15
	v_dual_mov_b32 v19, v5 :: v_dual_add_nc_u32 v100, 0x1000, v15
	v_add_nc_u32_e32 v101, 0x1800, v15
	s_delay_alu instid0(VALU_DEP_4) | instskip(SKIP_3) | instid1(VALU_DEP_4)
	v_add_nc_u32_e32 v44, s12, v42
	v_dual_mov_b32 v45, v5 :: v_dual_add_nc_u32 v102, 0x2000, v15
	v_add_nc_u32_e32 v103, 0x2800, v15
	v_dual_mov_b32 v43, v5 :: v_dual_add_nc_u32 v104, 0x3000, v15
	v_add_nc_u32_e32 v46, s12, v44
	v_add_nc_u32_e32 v105, 0x3800, v15
	;; [unrolled: 1-line block ×12, first 2 shown]
	s_mul_u64 s[14:15], s[14:15], 0xb0
	s_and_b32 s19, s0, s1
	s_add_nc_u64 s[14:15], s[16:17], s[14:15]
	s_mov_b32 s12, s13
	s_branch .LBB233_5
.LBB233_4:                              ;   in Loop: Header=BB233_5 Depth=1
	s_add_co_i32 s12, s12, 1
	s_delay_alu instid0(SALU_CYCLE_1)
	s_cmp_eq_u32 s12, s10
	s_cbranch_scc1 .LBB233_21
.LBB233_5:                              ; =>This Loop Header: Depth=1
                                        ;     Child Loop BB233_11 Depth 2
                                        ;     Child Loop BB233_19 Depth 2
	s_mul_u64 s[16:17], s[12:13], 0xb0
	s_delay_alu instid0(SALU_CYCLE_1) | instskip(NEXT) | instid1(SALU_CYCLE_1)
	s_add_nc_u64 s[16:17], s[14:15], s[16:17]
	v_mad_nc_u64_u32 v[54:55], 0xb0, v2, s[16:17]
	v_mad_nc_u64_u32 v[56:57], 0xb0, v14, s[16:17]
	;; [unrolled: 1-line block ×3, first 2 shown]
	s_delay_alu instid0(VALU_DEP_3)
	v_mad_nc_u64_u32 v[60:61], 0xb0, v8, v[54:55]
	v_mad_nc_u64_u32 v[62:63], 0xb0, v10, v[54:55]
	;; [unrolled: 1-line block ×4, first 2 shown]
	v_add_nc_u64_e32 v[70:71], v[56:57], v[30:31]
	v_add_nc_u64_e32 v[56:57], v[56:57], v[34:35]
	;; [unrolled: 1-line block ×3, first 2 shown]
	v_mad_nc_u64_u32 v[68:69], 0xb0, v22, v[54:55]
	v_add_nc_u64_e32 v[58:59], v[58:59], v[34:35]
	v_mad_nc_u64_u32 v[74:75], 0xb0, v26, v[54:55]
	v_mad_nc_u64_u32 v[76:77], 0xb0, v28, v[54:55]
	;; [unrolled: 1-line block ×3, first 2 shown]
	s_clause 0x3
	global_load_b32 v80, v[70:71], off offset:4
	global_load_b32 v81, v[56:57], off offset:4
	;; [unrolled: 1-line block ×4, first 2 shown]
	s_wait_xcnt 0x2
	v_add_nc_u64_e32 v[56:57], v[60:61], v[6:7]
	s_wait_xcnt 0x0
	v_add_nc_u64_e32 v[58:59], v[60:61], v[4:5]
	v_add_nc_u64_e32 v[60:61], v[62:63], v[6:7]
	;; [unrolled: 1-line block ×7, first 2 shown]
	s_clause 0x7
	global_load_b32 v84, v[56:57], off offset:16
	global_load_b32 v85, v[60:61], off offset:16
	;; [unrolled: 1-line block ×8, first 2 shown]
	s_wait_xcnt 0x7
	v_add_nc_u64_e32 v[56:57], v[68:69], v[6:7]
	s_wait_xcnt 0x5
	v_mad_nc_u64_u32 v[70:71], 0xb0, v36, v[54:55]
	v_add_nc_u64_e32 v[60:61], v[74:75], v[6:7]
	s_wait_xcnt 0x1
	v_add_nc_u64_e32 v[62:63], v[74:75], v[4:5]
	v_add_nc_u64_e32 v[64:65], v[76:77], v[6:7]
	v_mad_nc_u64_u32 v[74:75], 0xb0, v38, v[54:55]
	v_add_nc_u64_e32 v[66:67], v[78:79], v[4:5]
	s_wait_xcnt 0x0
	v_add_nc_u64_e32 v[58:59], v[68:69], v[4:5]
	v_add_nc_u64_e32 v[68:69], v[78:79], v[6:7]
	;; [unrolled: 1-line block ×3, first 2 shown]
	s_clause 0x7
	global_load_b32 v78, v[56:57], off offset:16
	global_load_b32 v79, v[60:61], off offset:16
	global_load_b32 v120, v[64:65], off offset:16
	global_load_b32 v121, v[66:67], off offset:48
	global_load_b32 v122, v[68:69], off offset:16
	global_load_b32 v123, v[72:73], off offset:48
	global_load_b32 v124, v[62:63], off offset:48
	global_load_b32 v125, v[58:59], off offset:48
	s_wait_xcnt 0x1
	v_mad_nc_u64_u32 v[62:63], 0xb0, v40, v[54:55]
	v_mad_nc_u64_u32 v[66:67], 0xb0, v42, v[54:55]
	v_add_nc_u64_e32 v[56:57], v[70:71], v[4:5]
	v_mad_nc_u64_u32 v[68:69], 0xb0, v44, v[54:55]
	s_wait_xcnt 0x0
	v_add_nc_u64_e32 v[58:59], v[70:71], v[6:7]
	v_mad_nc_u64_u32 v[70:71], 0xb0, v46, v[54:55]
	v_add_nc_u64_e32 v[60:61], v[74:75], v[4:5]
	v_add_nc_u64_e32 v[64:65], v[74:75], v[6:7]
	v_mad_nc_u64_u32 v[72:73], 0xb0, v48, v[54:55]
	v_mad_nc_u64_u32 v[54:55], 0xb0, v52, v[54:55]
	s_clause 0x3
	global_load_b32 v126, v[56:57], off offset:48
	global_load_b32 v127, v[58:59], off offset:16
	;; [unrolled: 1-line block ×4, first 2 shown]
	s_wait_xcnt 0x3
	v_add_nc_u64_e32 v[56:57], v[62:63], v[4:5]
	s_wait_xcnt 0x2
	v_add_nc_u64_e32 v[58:59], v[62:63], v[6:7]
	;; [unrolled: 2-line block ×3, first 2 shown]
	v_add_nc_u64_e32 v[62:63], v[66:67], v[6:7]
	s_wait_xcnt 0x0
	v_add_nc_u64_e32 v[64:65], v[68:69], v[6:7]
	v_add_nc_u64_e32 v[66:67], v[68:69], v[4:5]
	;; [unrolled: 1-line block ×6, first 2 shown]
	s_clause 0x9
	global_load_b32 v130, v[56:57], off offset:48
	global_load_b32 v131, v[58:59], off offset:16
	;; [unrolled: 1-line block ×10, first 2 shown]
	s_wait_xcnt 0x9
	v_add_nc_u64_e32 v[56:57], v[72:73], v[6:7]
	v_add_nc_u64_e32 v[54:55], v[54:55], v[6:7]
	s_clause 0x1
	global_load_b32 v58, v[56:57], off offset:16
	global_load_b32 v59, v[54:55], off offset:16
	s_wait_xcnt 0x0
	v_mad_nc_u64_u32 v[54:55], 0xb0, v12, s[16:17]
	s_lshl_b32 s16, s12, 8
	s_delay_alu instid0(SALU_CYCLE_1)
	s_cmp_lt_i32 s16, s11
	global_load_b32 v54, v[54:55], off
	s_wait_loadcnt 0x23
	s_wait_xcnt 0x0
	v_dual_ashrrev_i32 v55, v21, v80 :: v_dual_ashrrev_i32 v57, v23, v81
	s_wait_loadcnt 0x21
	v_dual_ashrrev_i32 v56, v21, v82 :: v_dual_ashrrev_i32 v60, v23, v83
	s_delay_alu instid0(VALU_DEP_2) | instskip(SKIP_2) | instid1(VALU_DEP_3)
	v_and_b32_e32 v55, 0xf0f0f0f, v55
	s_wait_loadcnt 0x20
	v_ashrrev_i32_e32 v62, v13, v84
	v_and_b32_e32 v56, 0xf0f0f0f, v56
	s_wait_loadcnt 0x1e
	v_dual_ashrrev_i32 v63, v9, v85 :: v_dual_ashrrev_i32 v67, v9, v114
	v_and_or_b32 v55, 0x30303030, v57, v55
	s_wait_loadcnt 0x19
	v_dual_ashrrev_i32 v57, v9, v84 :: v_dual_lshrrev_b32 v61, 4, v119
	v_dual_lshrrev_b32 v65, 4, v118 :: v_dual_ashrrev_i32 v66, v13, v85
	v_dual_ashrrev_i32 v70, v13, v114 :: v_dual_lshrrev_b32 v69, 4, v117
	v_dual_ashrrev_i32 v71, v9, v115 :: v_dual_lshrrev_b32 v73, 4, v116
	v_ashrrev_i32_e32 v74, v13, v115
	s_wait_loadcnt 0x18
	v_ashrrev_i32_e32 v75, v9, v78
	v_ashrrev_i32_e32 v78, v13, v78
	v_and_or_b32 v56, 0x30303030, v60, v56
	v_and_b32_e32 v60, 0xf0f0f0f, v119
	s_wait_loadcnt 0x11
	v_lshrrev_b32_e32 v77, 4, v125
	v_and_b32_e32 v64, 0xf0f0f0f, v118
	v_and_b32_e32 v68, 0xf0f0f0f, v117
	v_and_b32_e32 v72, 0xf0f0f0f, v116
	v_and_b32_e32 v76, 0xf0f0f0f, v125
	v_dual_ashrrev_i32 v80, v9, v79 :: v_dual_ashrrev_i32 v83, v9, v120
	v_and_b32_e32 v81, 0xf0f0f0f, v124
	v_dual_lshrrev_b32 v82, 4, v124 :: v_dual_ashrrev_i32 v79, v13, v79
	v_ashrrev_i32_e32 v114, v13, v120
	v_and_b32_e32 v84, 0xf0f0f0f, v123
	v_dual_lshrrev_b32 v85, 4, v123 :: v_dual_ashrrev_i32 v115, v9, v122
	v_and_b32_e32 v116, 0xf0f0f0f, v121
	v_dual_lshrrev_b32 v117, 4, v121 :: v_dual_ashrrev_i32 v118, v13, v122
	s_wait_loadcnt 0xf
	v_dual_ashrrev_i32 v119, v9, v127 :: v_dual_lshrrev_b32 v121, 4, v126
	v_and_b32_e32 v120, 0xf0f0f0f, v126
	s_wait_loadcnt 0xe
	v_dual_ashrrev_i32 v122, v13, v127 :: v_dual_lshrrev_b32 v125, 4, v128
	s_wait_loadcnt 0xb
	v_dual_ashrrev_i32 v123, v9, v129 :: v_dual_ashrrev_i32 v127, v9, v131
	v_and_b32_e32 v124, 0xf0f0f0f, v128
	v_dual_ashrrev_i32 v126, v13, v129 :: v_dual_lshrrev_b32 v129, 4, v130
	v_and_b32_e32 v128, 0xf0f0f0f, v130
	v_ashrrev_i32_e32 v130, v13, v131
	s_wait_loadcnt 0x8
	v_dual_ashrrev_i32 v131, v9, v133 :: v_dual_ashrrev_i32 v141, v9, v134
	v_and_b32_e32 v140, 0xf0f0f0f, v132
	v_dual_lshrrev_b32 v132, 4, v132 :: v_dual_ashrrev_i32 v133, v13, v133
	s_wait_loadcnt 0x3
	v_and_b32_e32 v142, 0xf0f0f0f, v139
	v_dual_lshrrev_b32 v139, 4, v139 :: v_dual_ashrrev_i32 v134, v13, v134
	s_wait_loadcnt 0x2
	v_dual_ashrrev_i32 v143, v9, v136 :: v_dual_ashrrev_i32 v145, v9, v58
	v_and_b32_e32 v144, 0xf0f0f0f, v135
	v_dual_lshrrev_b32 v135, 4, v135 :: v_dual_ashrrev_i32 v136, v13, v136
	v_and_b32_e32 v146, 0xf0f0f0f, v138
	v_lshrrev_b32_e32 v138, 4, v138
	v_ashrrev_i32_e32 v58, v13, v58
	s_wait_loadcnt 0x1
	v_dual_ashrrev_i32 v147, v9, v59 :: v_dual_lshlrev_b32 v57, 4, v57
	v_and_b32_e32 v148, 0xf0f0f0f, v137
	v_dual_lshrrev_b32 v137, 4, v137 :: v_dual_ashrrev_i32 v59, v13, v59
	v_lshlrev_b32_e32 v62, 4, v62
	v_and_b32_e32 v61, 0xf0f0f0f, v61
	v_dual_lshlrev_b32 v63, 4, v63 :: v_dual_lshlrev_b32 v66, 4, v66
	v_and_b32_e32 v65, 0xf0f0f0f, v65
	v_dual_lshlrev_b32 v67, 4, v67 :: v_dual_lshlrev_b32 v70, 4, v70
	;; [unrolled: 2-line block ×14, first 2 shown]
	v_and_b32_e32 v138, 0xf0f0f0f, v138
	v_lshlrev_b32_e32 v147, 4, v147
	v_and_b32_e32 v137, 0xf0f0f0f, v137
	v_lshlrev_b32_e32 v59, 4, v59
	v_and_or_b32 v57, 0x10101010, v57, v60
	v_and_or_b32 v60, 0x10101010, v62, v61
	;; [unrolled: 1-line block ×32, first 2 shown]
	ds_store_2addr_b32 v15, v57, v60 offset1:8
	ds_store_2addr_b32 v99, v61, v62 offset0:8 offset1:16
	ds_store_2addr_b32 v100, v63, v64 offset0:16 offset1:24
	;; [unrolled: 1-line block ×15, first 2 shown]
	s_wait_loadcnt 0x0
	ds_store_b32 v17, v54
	ds_store_b32 v27, v55
	;; [unrolled: 1-line block ×3, first 2 shown]
	s_cbranch_scc0 .LBB233_4
; %bb.6:                                ;   in Loop: Header=BB233_5 Depth=1
	s_lshl_b32 s17, s12, 3
	s_delay_alu instid0(SALU_CYCLE_1) | instskip(NEXT) | instid1(VALU_DEP_1)
	v_add_nc_u32_e32 v54, s17, v37
	v_cmp_gt_i32_e32 vcc_lo, s5, v54
	s_and_b32 s21, s1, vcc_lo
	s_delay_alu instid0(SALU_CYCLE_1)
	s_and_saveexec_b32 s20, s21
	s_cbranch_execz .LBB233_8
; %bb.7:                                ;   in Loop: Header=BB233_5 Depth=1
	v_add_nc_u32_e32 v54, v24, v54
	s_delay_alu instid0(VALU_DEP_1)
	v_mad_nc_i64_i32 v[54:55], v54, 36, v[50:51]
	global_load_b32 v54, v[54:55], off offset:4
	s_wait_loadcnt 0x0
	ds_store_b32 v33, v54
.LBB233_8:                              ;   in Loop: Header=BB233_5 Depth=1
	s_or_b32 exec_lo, exec_lo, s20
	v_add_nc_u32_e32 v54, s17, v3
	s_delay_alu instid0(VALU_DEP_1) | instskip(SKIP_1) | instid1(SALU_CYCLE_1)
	v_cmp_gt_i32_e32 vcc_lo, s5, v54
	s_and_b32 s21, s19, vcc_lo
	s_and_saveexec_b32 s20, s21
	s_cbranch_execz .LBB233_10
; %bb.9:                                ;   in Loop: Header=BB233_5 Depth=1
	v_add_nc_u32_e32 v55, v24, v54
	s_delay_alu instid0(VALU_DEP_1)
	v_mad_nc_i64_i32 v[56:57], v55, 36, s[2:3]
	global_load_b32 v55, v[56:57], off
	s_wait_loadcnt 0x0
	ds_store_b32 v90, v55
.LBB233_10:                             ;   in Loop: Header=BB233_5 Depth=1
	s_or_b32 exec_lo, exec_lo, s20
	s_wait_dscnt 0x0
	s_barrier_signal -1
	s_barrier_wait -1
	ds_load_b32 v55, v47 offset:128
	ds_load_b32 v56, v41
	ds_load_b32 v58, v49 offset:256
	ds_load_b32 v62, v53 offset:384
	s_mov_b32 s21, 0
	s_mov_b32 s20, -1
	s_wait_dscnt 0x2
	v_dual_lshrrev_b32 v59, 16, v55 :: v_dual_lshrrev_b32 v60, 16, v56
	v_cvt_f32_f16_e32 v57, v55
	s_wait_dscnt 0x1
	v_lshrrev_b32_e32 v55, 16, v58
	s_wait_dscnt 0x0
	v_lshrrev_b32_e32 v63, 16, v62
	v_cvt_f32_f16_e32 v56, v56
	v_cvt_f32_f16_e32 v58, v58
	;; [unrolled: 1-line block ×7, first 2 shown]
.LBB233_11:                             ;   Parent Loop BB233_5 Depth=1
                                        ; =>  This Inner Loop Header: Depth=2
	s_lshr_b32 s22, s21, 2
	v_lshl_or_b32 v55, s21, 1, v11
	s_lshl_b32 s21, s21, 3
	s_add_co_i32 s22, s22, 0x8200
	v_dual_add_nc_u32 v114, s21, v86 :: v_dual_add_nc_u32 v115, s21, v87
	v_dual_add_nc_u32 v116, s21, v88 :: v_dual_add_nc_u32 v117, s21, v89
	v_add3_u32 v122, s22, v91, v92
	v_add3_u32 v118, s22, v93, v94
	;; [unrolled: 1-line block ×4, first 2 shown]
	v_dual_lshlrev_b32 v126, 2, v55 :: v_dual_lshrrev_b32 v55, 1, v55
	ds_load_2addr_b32 v[74:75], v114 offset1:1
	ds_load_2addr_b32 v[70:71], v114 offset0:2 offset1:3
	ds_load_2addr_b32 v[66:67], v114 offset0:4 offset1:5
	;; [unrolled: 1-line block ×4, first 2 shown]
	ds_load_2addr_b32 v[78:79], v115 offset1:1
	ds_load_2addr_b32 v[72:73], v115 offset0:2 offset1:3
	ds_load_2addr_b32 v[68:69], v115 offset0:4 offset1:5
	;; [unrolled: 1-line block ×9, first 2 shown]
	ds_load_2addr_b32 v[138:139], v117 offset1:1
	ds_load_2addr_b32 v[140:141], v117 offset0:2 offset1:3
	ds_load_2addr_b32 v[142:143], v117 offset0:4 offset1:5
	;; [unrolled: 1-line block ×7, first 2 shown]
	ds_load_2addr_b32 v[154:155], v116 offset1:1
	ds_load_2addr_b32 v[156:157], v115 offset0:14 offset1:15
	ds_load_2addr_b32 v[158:159], v115 offset0:8 offset1:9
	ds_load_2addr_b32 v[160:161], v115 offset0:10 offset1:11
	ds_load_2addr_b32 v[162:163], v115 offset0:12 offset1:13
	ds_load_2addr_b32 v[164:165], v115 offset0:6 offset1:7
	ds_load_2addr_b32 v[166:167], v114 offset0:10 offset1:11
	ds_load_2addr_b32 v[168:169], v114 offset0:12 offset1:13
	ds_load_2addr_b32 v[170:171], v114 offset0:14 offset1:15
	ds_load_u16 v174, v118
	ds_load_u16 v175, v118 offset:8
	ds_load_u16 v176, v120
	ds_load_u16 v177, v120 offset:8
	ds_load_u16 v178, v119 offset:8
	ds_load_u16 v179, v119
	ds_load_b128 v[114:117], v126 offset:35392
	ds_load_b128 v[118:121], v126 offset:35408
	ds_load_b64 v[172:173], v55 offset:36944
	ds_load_u16 v55, v122
	ds_load_u16 v180, v122 offset:8
	ds_load_b128 v[122:125], v126 offset:35424
	ds_load_b128 v[126:129], v126 offset:35440
	s_wait_dscnt 0x1b
	v_perm_b32 v189, v143, v142, 0xc0c0602
	s_wait_dscnt 0x1a
	v_perm_b32 v190, v145, v144, 0x6020c0c
	v_perm_b32 v191, v143, v142, 0xc0c0400
	;; [unrolled: 1-line block ×9, first 2 shown]
	s_wait_dscnt 0x9
	v_cvt_f32_ubyte0_e32 v143, v177
	v_cvt_f32_ubyte1_e32 v145, v177
	v_perm_b32 v195, v146, v147, 0xc0c0501
	s_wait_dscnt 0x6
	v_dot4_i32_iu8 v177, v114, v74, 0 neg_lo:[1,1,0]
	v_dot4_i32_iu8 v78, v114, v78, 0 neg_lo:[1,1,0]
	;; [unrolled: 1-line block ×3, first 2 shown]
	v_perm_b32 v206, v114, v115, 0xc0c0501
	v_perm_b32 v208, v114, v115, 0xc0c0703
	s_wait_dscnt 0x1
	v_dot4_i32_iu8 v213, v122, v76, 0 neg_lo:[1,1,0]
	v_perm_b32 v210, v114, v115, 0xc0c0400
	v_perm_b32 v114, v114, v115, 0xc0c0602
	v_dual_lshrrev_b32 v221, 16, v172 :: v_dual_lshrrev_b32 v225, 16, v173
	v_dot4_i32_iu8 v177, v115, v75, v177 neg_lo:[1,1,0]
	v_dot4_i32_iu8 v78, v115, v79, v78 neg_lo:[1,1,0]
	;; [unrolled: 1-line block ×4, first 2 shown]
	v_perm_b32 v196, v146, v147, 0xc0c0703
	v_perm_b32 v197, v146, v147, 0xc0c0400
	;; [unrolled: 1-line block ×7, first 2 shown]
	v_dot4_i32_iu8 v158, v122, v158, 0 neg_lo:[1,1,0]
	v_dot4_i32_iu8 v132, v122, v132, 0 neg_lo:[1,1,0]
	v_perm_b32 v214, v122, v123, 0xc0c0501
	v_perm_b32 v216, v122, v123, 0xc0c0703
	v_perm_b32 v218, v122, v123, 0xc0c0400
	v_perm_b32 v122, v122, v123, 0xc0c0602
	v_perm_b32 v220, v125, v124, 0x6020c0c
	v_cvt_f32_f16_e64 v75, v221
	v_dot4_i32_iu8 v78, v116, v72, v78 neg_lo:[1,1,0]
	v_dot4_i32_iu8 v79, v116, v130, v79 neg_lo:[1,1,0]
	v_dot4_i32_iu8 v115, v124, v166, v115 neg_lo:[1,1,0]
	v_perm_b32 v181, v138, v139, 0xc0c0501
	v_perm_b32 v182, v141, v140, 0x5010c0c
	;; [unrolled: 1-line block ×6, first 2 shown]
	v_cvt_f32_ubyte0_e32 v139, v175
	v_perm_b32 v207, v117, v116, 0x5010c0c
	v_perm_b32 v209, v117, v116, 0x7030c0c
	;; [unrolled: 1-line block ×3, first 2 shown]
	v_cvt_f32_ubyte0_e32 v138, v180
	v_or_b32_e32 v186, v188, v186
	v_or_b32_e32 v146, v148, v146
	v_dot4_i32_iu8 v154, v123, v159, v158 neg_lo:[1,1,0]
	v_dot4_i32_iu8 v123, v123, v133, v132 neg_lo:[1,1,0]
	v_cvt_f32_f16_e64 v77, v225
	v_or_b32_e32 v122, v220, v122
	v_dot4_i32_iu8 v177, v116, v70, v177 neg_lo:[1,1,0]
	v_mov_b32_e32 v70, v75
	v_dot4_i32_iu8 v73, v117, v73, v78 neg_lo:[1,1,0]
	v_dot4_i32_iu8 v78, v117, v131, v79 neg_lo:[1,1,0]
	;; [unrolled: 1-line block ×3, first 2 shown]
	v_cvt_f32_ubyte1_e32 v141, v175
	v_perm_b32 v212, v117, v116, 0x6020c0c
	v_perm_b32 v215, v125, v124, 0x5010c0c
	v_perm_b32 v217, v125, v124, 0x7030c0c
	v_cvt_f32_ubyte1_e32 v140, v180
	v_perm_b32 v180, v119, v118, 0xc0c0400
	v_perm_b32 v224, v121, v120, 0x4000c0c
	v_cvt_f32_f16_e64 v74, v172
	v_cvt_f32_f16_e64 v76, v173
	v_perm_b32 v172, v119, v118, 0xc0c0703
	v_perm_b32 v173, v121, v120, 0x7030c0c
	;; [unrolled: 1-line block ×4, first 2 shown]
	v_dual_mov_b32 v72, v77 :: v_dual_bitop2_b32 v188, v190, v189 bitop3:0x54
	v_or_b32_e32 v181, v182, v181
	v_or_b32_e32 v182, v184, v183
	;; [unrolled: 1-line block ×6, first 2 shown]
	v_dot4_i32_iu8 v116, v124, v160, v154 neg_lo:[1,1,0]
	v_dot4_i32_iu8 v123, v124, v134, v123 neg_lo:[1,1,0]
	;; [unrolled: 1-line block ×4, first 2 shown]
	v_pk_fma_f32 v[70:71], v[70:71], v[138:139], 0 op_sel_hi:[0,1,0]
	v_dot4_i32_iu8 v68, v118, v68, v73 neg_lo:[1,1,0]
	s_wait_dscnt 0x0
	v_dot4_i32_iu8 v73, v126, v168, v79 neg_lo:[1,1,0]
	v_perm_b32 v149, v151, v150, 0xc0c0602
	v_perm_b32 v200, v151, v150, 0xc0c0400
	;; [unrolled: 1-line block ×18, first 2 shown]
	v_or_b32_e32 v184, v193, v191
	v_or_b32_e32 v185, v194, v192
	v_or_b32_e32 v142, v144, v142
	v_or_b32_e32 v144, v147, v195
	v_or_b32_e32 v147, v198, v196
	v_or_b32_e32 v114, v212, v114
	v_or_b32_e32 v155, v224, v180
	v_or_b32_e32 v172, v173, v172
	v_or_b32_e32 v173, v227, v226
	v_or_b32_e32 v180, v215, v214
	v_or_b32_e32 v189, v217, v216
	v_dot4_i32_iu8 v124, v183, v133, 0 neg_lo:[1,1,0]
	v_dot4_i32_iu8 v130, v182, v159, 0 neg_lo:[1,1,0]
	;; [unrolled: 1-line block ×6, first 2 shown]
	v_pk_fma_f32 v[70:71], v[72:73], v[140:141], v[70:71] op_sel_hi:[0,1,1]
	v_dot4_i32_iu8 v72, v118, v82, v78 neg_lo:[1,1,0]
	v_perm_b32 v204, v137, v137, 0x7060100
	v_perm_b32 v228, v127, v126, 0xc0c0602
	;; [unrolled: 1-line block ×5, first 2 shown]
	v_or_b32_e32 v187, v199, v197
	v_or_b32_e32 v148, v151, v149
	;; [unrolled: 1-line block ×8, first 2 shown]
	v_dot4_i32_iu8 v114, v186, v114, 0 neg_lo:[1,1,0]
	v_dot4_i32_iu8 v134, v147, v189, 0 neg_lo:[1,1,0]
	;; [unrolled: 1-line block ×11, first 2 shown]
	v_or_b32_e32 v149, v202, v200
	v_or_b32_e32 v191, v229, v228
	;; [unrolled: 1-line block ×3, first 2 shown]
	v_dot4_i32_iu8 v147, v187, v190, 0 neg_lo:[1,1,0]
	v_dot4_i32_iu8 v114, v188, v132, v114 neg_lo:[1,1,0]
	;; [unrolled: 1-line block ×5, first 2 shown]
	v_add_nc_u32_e32 v82, v124, v123
	v_dot4_i32_iu8 v73, v127, v204, v78 neg_lo:[1,1,0]
	v_dot4_i32_iu8 v64, v120, v64, v66 neg_lo:[1,1,0]
	;; [unrolled: 1-line block ×5, first 2 shown]
	v_lshrrev_b16 v175, 8, v174
	v_lshrrev_b16 v205, 8, v179
	v_and_b32_e32 v179, 0xff, v179
	v_cvt_f32_ubyte0_e32 v83, v178
	v_cvt_f32_ubyte1_e32 v137, v178
	v_lshrrev_b16 v178, 8, v176
	v_and_b32_e32 v176, 0xff, v176
	v_dot4_i32_iu8 v122, v148, v191, v122 neg_lo:[1,1,0]
	v_dot4_i32_iu8 v125, v149, v192, v147 neg_lo:[1,1,0]
	v_add_nc_u32_e32 v115, v131, v130
	v_dot4_i32_iu8 v69, v127, v163, v79 neg_lo:[1,1,0]
	v_add3_u32 v78, v117, v114, v82
	v_dot4_i32_iu8 v72, v128, v84, v73 neg_lo:[1,1,0]
	v_dot4_i32_iu8 v68, v121, v81, v68 neg_lo:[1,1,0]
	v_and_b32_e32 v174, 0xff, v174
	v_lshrrev_b16 v236, 8, v55
	v_and_b32_e32 v55, 0xff, v55
	v_and_b32_e32 v152, 0xffff, v175
	v_and_b32_e32 v175, 0xffff, v205
	v_and_b32_e32 v178, 0xffff, v178
	v_add3_u32 v79, v125, v122, v115
	v_dot4_i32_iu8 v69, v128, v156, v69 neg_lo:[1,1,0]
	v_mul_lo_u32 v73, v78, v176
	v_dot4_i32_iu8 v66, v121, v165, v66 neg_lo:[1,1,0]
	v_dot4_i32_iu8 v64, v121, v65, v64 neg_lo:[1,1,0]
	;; [unrolled: 1-line block ×4, first 2 shown]
	v_mul_lo_u32 v68, v68, v179
	v_and_b32_e32 v195, 0xffff, v236
	v_mul_lo_u32 v78, v79, v178
	v_dot4_i32_iu8 v69, v129, v153, v69 neg_lo:[1,1,0]
	v_mul_lo_u32 v66, v66, v174
	v_mul_lo_u32 v55, v64, v55
	;; [unrolled: 1-line block ×5, first 2 shown]
	v_cvt_f32_i32_e32 v142, v73
	v_pk_mul_f32 v[70:71], v[70:71], v[60:61]
	v_cvt_f32_i32_e32 v82, v68
	s_mov_b32 s21, 8
	v_cvt_f32_i32_e32 v144, v78
	v_pk_fma_f32 v[64:65], v[142:143], v[74:75], 0 op_sel_hi:[1,1,0]
	v_cvt_f32_i32_e32 v67, v66
	v_cvt_f32_i32_e32 v66, v55
	v_cvt_f32_i32_e32 v136, v72
	v_pk_fma_f32 v[68:69], v[82:83], v[74:75], 0 op_sel_hi:[1,1,0]
	v_cvt_f32_i32_e32 v73, v80
	v_cvt_f32_i32_e32 v72, v79
	v_pk_fma_f32 v[64:65], v[144:145], v[76:77], v[64:65]
	v_pk_fma_f32 v[66:67], v[74:75], v[66:67], 0 op_sel_hi:[0,1,0]
	v_pk_fma_f32 v[68:69], v[136:137], v[76:77], v[68:69]
	s_and_b32 vcc_lo, exec_lo, s20
	s_mov_b32 s20, 0
	v_pk_mul_f32 v[64:65], v[64:65], v[62:63]
	v_pk_fma_f32 v[66:67], v[76:77], v[72:73], v[66:67] op_sel_hi:[0,1,1]
	v_pk_mul_f32 v[68:69], v[68:69], v[58:59]
	s_delay_alu instid0(VALU_DEP_3) | instskip(NEXT) | instid1(VALU_DEP_3)
	v_sub_f32_e32 v55, v64, v65
	v_pk_fma_f32 v[64:65], v[66:67], v[56:57], v[70:71] neg_lo:[0,0,1] neg_hi:[0,0,1]
	s_delay_alu instid0(VALU_DEP_2) | instskip(NEXT) | instid1(VALU_DEP_2)
	v_dual_sub_f32 v66, v68, v69 :: v_dual_add_f32 v43, v43, v55
	v_pk_add_f32 v[18:19], v[18:19], v[64:65]
	s_delay_alu instid0(VALU_DEP_2)
	v_add_f32_e32 v45, v45, v66
	s_cbranch_vccnz .LBB233_11
; %bb.12:                               ;   in Loop: Header=BB233_5 Depth=1
	s_bitset1_b32 s16, 7
	s_delay_alu instid0(SALU_CYCLE_1)
	s_cmp_ge_i32 s16, s11
	s_barrier_signal -1
	s_barrier_wait -1
	s_cbranch_scc1 .LBB233_4
; %bb.13:                               ;   in Loop: Header=BB233_5 Depth=1
	v_add_nc_u32_e32 v55, s17, v39
	s_delay_alu instid0(VALU_DEP_1) | instskip(SKIP_1) | instid1(SALU_CYCLE_1)
	v_cmp_gt_i32_e32 vcc_lo, s5, v55
	s_and_b32 s17, s1, vcc_lo
	s_and_saveexec_b32 s16, s17
	s_cbranch_execz .LBB233_15
; %bb.14:                               ;   in Loop: Header=BB233_5 Depth=1
	v_add_nc_u32_e32 v55, v24, v55
	s_delay_alu instid0(VALU_DEP_1)
	v_mad_nc_i64_i32 v[56:57], v55, 36, v[50:51]
	global_load_b32 v55, v[56:57], off offset:4
	s_wait_loadcnt 0x0
	ds_store_b32 v33, v55
.LBB233_15:                             ;   in Loop: Header=BB233_5 Depth=1
	s_or_b32 exec_lo, exec_lo, s16
	s_and_saveexec_b32 s16, s0
	s_cbranch_execz .LBB233_18
; %bb.16:                               ;   in Loop: Header=BB233_5 Depth=1
	v_or_b32_e32 v55, 4, v54
	s_delay_alu instid0(VALU_DEP_1) | instskip(SKIP_1) | instid1(SALU_CYCLE_1)
	v_cmp_gt_i32_e32 vcc_lo, s5, v55
	s_and_b32 s17, s1, vcc_lo
	s_and_b32 exec_lo, exec_lo, s17
	s_cbranch_execz .LBB233_18
; %bb.17:                               ;   in Loop: Header=BB233_5 Depth=1
	v_ashrrev_i32_e32 v55, 31, v54
	s_delay_alu instid0(VALU_DEP_1) | instskip(NEXT) | instid1(VALU_DEP_1)
	v_add_nc_u64_e32 v[54:55], v[24:25], v[54:55]
	v_mad_nc_u64_u32 v[56:57], v54, 36, s[2:3]
	s_delay_alu instid0(VALU_DEP_1)
	v_mad_i32_i24 v57, v55, 36, v57
	global_load_b32 v54, v[56:57], off offset:144
	s_wait_loadcnt 0x0
	ds_store_b32 v90, v54
.LBB233_18:                             ;   in Loop: Header=BB233_5 Depth=1
	s_or_b32 exec_lo, exec_lo, s16
	s_wait_dscnt 0x0
	s_barrier_signal -1
	s_barrier_wait -1
	ds_load_b32 v54, v47 offset:128
	ds_load_b32 v56, v41
	ds_load_b32 v57, v49 offset:256
	ds_load_b32 v60, v53 offset:384
	s_mov_b32 s16, 16
	s_wait_dscnt 0x2
	v_dual_lshrrev_b32 v58, 16, v54 :: v_dual_lshrrev_b32 v61, 16, v56
	s_wait_dscnt 0x0
	v_dual_lshrrev_b32 v62, 16, v57 :: v_dual_lshrrev_b32 v63, 16, v60
	v_cvt_f32_f16_e32 v55, v54
	v_cvt_f32_f16_e32 v54, v56
	;; [unrolled: 1-line block ×8, first 2 shown]
.LBB233_19:                             ;   Parent Loop BB233_5 Depth=1
                                        ; =>  This Inner Loop Header: Depth=2
	s_lshl_b32 s20, s16, 1
	s_lshr_b32 s17, s16, 2
	s_lshl_b32 s21, s16, 3
	v_and_or_b32 v62, s20, 16, v11
	s_and_b32 s17, s17, 0x3ffffffe
	v_dual_add_nc_u32 v63, s21, v86 :: v_dual_add_nc_u32 v64, s21, v87
	s_add_co_i32 s17, s17, 0x8200
	v_dual_add_nc_u32 v65, s21, v88 :: v_dual_add_nc_u32 v66, s21, v89
	v_add3_u32 v67, s17, v91, v92
	v_add3_u32 v68, s17, v93, v94
	;; [unrolled: 1-line block ×4, first 2 shown]
	v_dual_lshlrev_b32 v74, 2, v62 :: v_dual_lshrrev_b32 v170, 1, v62
	ds_load_2addr_b32 v[78:79], v63 offset1:1
	ds_load_2addr_b32 v[80:81], v63 offset0:2 offset1:3
	ds_load_2addr_b32 v[82:83], v63 offset0:4 offset1:5
	ds_load_2addr_b32 v[84:85], v63 offset0:6 offset1:7
	ds_load_2addr_b32 v[114:115], v63 offset0:8 offset1:9
	ds_load_2addr_b32 v[116:117], v63 offset0:14 offset1:15
	ds_load_2addr_b32 v[118:119], v64 offset1:1
	ds_load_2addr_b32 v[120:121], v64 offset0:2 offset1:3
	ds_load_2addr_b32 v[122:123], v64 offset0:4 offset1:5
	ds_load_2addr_b32 v[124:125], v64 offset0:6 offset1:7
	ds_load_2addr_b32 v[126:127], v64 offset0:8 offset1:9
	ds_load_2addr_b32 v[128:129], v64 offset0:10 offset1:11
	ds_load_2addr_b32 v[130:131], v64 offset0:12 offset1:13
	ds_load_2addr_b32 v[132:133], v64 offset0:14 offset1:15
	ds_load_2addr_b32 v[134:135], v65 offset1:1
	ds_load_2addr_b32 v[136:137], v65 offset0:2 offset1:3
	ds_load_2addr_b32 v[138:139], v65 offset0:4 offset1:5
	;; [unrolled: 8-line block ×3, first 2 shown]
	ds_load_2addr_b32 v[156:157], v66 offset0:6 offset1:7
	ds_load_2addr_b32 v[158:159], v66 offset0:8 offset1:9
	;; [unrolled: 1-line block ×7, first 2 shown]
	ds_load_u16 v172, v68
	ds_load_u16 v173, v68 offset:8
	ds_load_u16 v174, v69
	ds_load_u16 v175, v69 offset:8
	;; [unrolled: 2-line block ×4, first 2 shown]
	ds_load_b128 v[62:65], v74 offset:35392
	ds_load_b128 v[66:69], v74 offset:35408
	;; [unrolled: 1-line block ×4, first 2 shown]
	ds_load_b64 v[170:171], v170 offset:36944
	s_wait_dscnt 0x1f
	v_perm_b32 v180, v133, v133, 0x7060100
	v_perm_b32 v181, v117, v117, 0x7060100
	s_wait_dscnt 0x1c
	v_perm_b32 v182, v139, v139, 0x7060100
	s_wait_dscnt 0x18
	;; [unrolled: 2-line block ×4, first 2 shown]
	v_perm_b32 v185, v153, v152, 0x5010c0c
	v_perm_b32 v186, v150, v151, 0xc0c0703
	v_perm_b32 v187, v153, v152, 0x7030c0c
	v_perm_b32 v188, v150, v151, 0xc0c0400
	v_perm_b32 v189, v153, v152, 0x4000c0c
	v_perm_b32 v190, v150, v151, 0xc0c0602
	v_perm_b32 v191, v153, v152, 0x6020c0c
	s_wait_dscnt 0x14
	v_perm_b32 v192, v155, v154, 0xc0c0602
	s_wait_dscnt 0x13
	v_perm_b32 v193, v157, v156, 0x6020c0c
	v_perm_b32 v194, v155, v154, 0xc0c0400
	v_perm_b32 v195, v157, v156, 0x4000c0c
	v_perm_b32 v196, v155, v154, 0xc0c0703
	v_perm_b32 v197, v157, v156, 0x7030c0c
	v_perm_b32 v154, v155, v154, 0xc0c0501
	v_perm_b32 v155, v157, v156, 0x5010c0c
	s_wait_dscnt 0x12
	v_perm_b32 v156, v158, v159, 0xc0c0501
	s_wait_dscnt 0x11
	;; [unrolled: 10-line block ×3, first 2 shown]
	v_perm_b32 v161, v165, v164, 0x6020c0c
	v_perm_b32 v202, v163, v162, 0xc0c0400
	;; [unrolled: 1-line block ×7, first 2 shown]
	s_wait_dscnt 0xc
	v_lshrrev_b16 v164, 8, v172
	v_and_b32_e32 v165, 0xff, v172
	s_wait_dscnt 0xb
	v_cvt_f32_ubyte0_e32 v151, v173
	v_cvt_f32_ubyte1_e32 v153, v173
	s_wait_dscnt 0xa
	v_lshrrev_b16 v172, 8, v174
	v_and_b32_e32 v173, 0xff, v174
	s_wait_dscnt 0x9
	v_cvt_f32_ubyte0_e32 v117, v175
	v_cvt_f32_ubyte1_e32 v133, v175
	;; [unrolled: 6-line block ×4, first 2 shown]
	s_wait_dscnt 0x4
	v_dot4_i32_iu8 v178, v62, v78, 0 neg_lo:[1,1,0]
	v_dot4_i32_iu8 v118, v62, v118, 0 neg_lo:[1,1,0]
	s_wait_dscnt 0x2
	v_dot4_i32_iu8 v179, v70, v114, 0 neg_lo:[1,1,0]
	s_wait_dscnt 0x0
	v_cvt_f32_f16_e64 v78, v170
	v_lshrrev_b32_e32 v170, 16, v170
	v_cvt_f32_f16_e64 v114, v171
	v_lshrrev_b32_e32 v171, 16, v171
	v_dot4_i32_iu8 v134, v62, v134, 0 neg_lo:[1,1,0]
	v_dot4_i32_iu8 v126, v70, v126, 0 neg_lo:[1,1,0]
	;; [unrolled: 1-line block ×3, first 2 shown]
	v_or_b32_e32 v186, v187, v186
	v_perm_b32 v187, v62, v63, 0xc0c0703
	v_dot4_i32_iu8 v178, v63, v79, v178 neg_lo:[1,1,0]
	v_dot4_i32_iu8 v118, v63, v119, v118 neg_lo:[1,1,0]
	;; [unrolled: 1-line block ×3, first 2 shown]
	v_cvt_f32_f16_e64 v79, v170
	v_or_b32_e32 v184, v185, v184
	v_perm_b32 v185, v62, v63, 0xc0c0501
	v_cvt_f32_f16_e64 v115, v171
	v_or_b32_e32 v188, v189, v188
	v_perm_b32 v189, v62, v63, 0xc0c0400
	v_perm_b32 v62, v62, v63, 0xc0c0602
	v_dot4_i32_iu8 v63, v63, v135, v134 neg_lo:[1,1,0]
	v_perm_b32 v206, v65, v64, 0x5010c0c
	v_perm_b32 v207, v65, v64, 0x7030c0c
	;; [unrolled: 1-line block ×3, first 2 shown]
	v_or_b32_e32 v190, v191, v190
	v_perm_b32 v191, v65, v64, 0x6020c0c
	v_or_b32_e32 v156, v157, v156
	v_perm_b32 v157, v70, v71, 0xc0c0501
	v_perm_b32 v213, v73, v72, 0x5010c0c
	v_or_b32_e32 v198, v199, v198
	v_perm_b32 v199, v70, v71, 0xc0c0703
	v_perm_b32 v214, v73, v72, 0x7030c0c
	v_or_b32_e32 v200, v201, v200
	v_perm_b32 v201, v70, v71, 0xc0c0400
	v_perm_b32 v70, v70, v71, 0xc0c0602
	v_dot4_i32_iu8 v126, v71, v127, v126 neg_lo:[1,1,0]
	v_dot4_i32_iu8 v71, v71, v143, v142 neg_lo:[1,1,0]
	;; [unrolled: 1-line block ×5, first 2 shown]
	v_or_b32_e32 v192, v193, v192
	v_perm_b32 v193, v67, v66, 0xc0c0602
	v_perm_b32 v209, v69, v68, 0x6020c0c
	v_or_b32_e32 v194, v195, v194
	v_perm_b32 v195, v67, v66, 0xc0c0400
	v_perm_b32 v210, v69, v68, 0x4000c0c
	;; [unrolled: 3-line block ×4, first 2 shown]
	v_perm_b32 v215, v73, v72, 0x4000c0c
	v_or_b32_e32 v158, v159, v158
	v_perm_b32 v159, v73, v72, 0x6020c0c
	v_or_b32_e32 v204, v205, v204
	v_perm_b32 v205, v75, v74, 0xc0c0703
	v_perm_b32 v218, v77, v76, 0x7030c0c
	v_or_b32_e32 v162, v163, v162
	v_perm_b32 v163, v75, v74, 0xc0c0501
	v_perm_b32 v219, v77, v76, 0x5010c0c
	v_or_b32_e32 v127, v206, v185
	v_or_b32_e32 v134, v207, v187
	;; [unrolled: 1-line block ×6, first 2 shown]
	v_dot4_i32_iu8 v71, v72, v144, v71 neg_lo:[1,1,0]
	v_dot4_i32_iu8 v64, v65, v137, v64 neg_lo:[1,1,0]
	v_or_b32_e32 v160, v161, v160
	v_perm_b32 v161, v75, v74, 0xc0c0602
	v_perm_b32 v216, v77, v76, 0x6020c0c
	v_or_b32_e32 v202, v203, v202
	v_perm_b32 v203, v75, v74, 0xc0c0400
	v_perm_b32 v217, v77, v76, 0x4000c0c
	v_or_b32_e32 v143, v209, v193
	v_or_b32_e32 v170, v210, v195
	;; [unrolled: 1-line block ×8, first 2 shown]
	v_dot4_i32_iu8 v119, v72, v166, v119 neg_lo:[1,1,0]
	v_dot4_i32_iu8 v120, v72, v128, v126 neg_lo:[1,1,0]
	v_dual_mov_b32 v62, v79 :: v_dual_mov_b32 v70, v115
	v_dot4_i32_iu8 v72, v184, v127, 0 neg_lo:[1,1,0]
	v_dot4_i32_iu8 v126, v186, v134, 0 neg_lo:[1,1,0]
	;; [unrolled: 1-line block ×10, first 2 shown]
	v_or_b32_e32 v161, v216, v161
	v_or_b32_e32 v187, v217, v203
	v_dot4_i32_iu8 v136, v200, v185, 0 neg_lo:[1,1,0]
	v_dot4_i32_iu8 v142, v158, v159, 0 neg_lo:[1,1,0]
	;; [unrolled: 1-line block ×4, first 2 shown]
	v_pk_fma_f32 v[62:63], v[62:63], v[150:151], 0 op_sel_hi:[0,1,0]
	v_dot4_i32_iu8 v71, v192, v143, v128 neg_lo:[1,1,0]
	v_dot4_i32_iu8 v73, v194, v170, v127 neg_lo:[1,1,0]
	;; [unrolled: 1-line block ×14, first 2 shown]
	v_pk_fma_f32 v[62:63], v[70:71], v[152:153], v[62:63] op_sel_hi:[0,1,1]
	v_add_nc_u32_e32 v66, v72, v120
	v_add_nc_u32_e32 v70, v128, v127
	v_dot4_i32_iu8 v72, v67, v83, v80 neg_lo:[1,1,0]
	v_dot4_i32_iu8 v74, v67, v123, v81 neg_lo:[1,1,0]
	;; [unrolled: 1-line block ×6, first 2 shown]
	v_add3_u32 v66, v73, v71, v66
	v_add3_u32 v67, v126, v121, v70
	v_dot4_i32_iu8 v70, v68, v84, v72 neg_lo:[1,1,0]
	v_dot4_i32_iu8 v71, v68, v124, v74 neg_lo:[1,1,0]
	;; [unrolled: 1-line block ×4, first 2 shown]
	v_and_b32_e32 v172, 0xffff, v172
	v_and_b32_e32 v174, 0xffff, v174
	v_dot4_i32_iu8 v72, v76, v116, v80 neg_lo:[1,1,0]
	v_dot4_i32_iu8 v68, v76, v132, v81 neg_lo:[1,1,0]
	v_mul_lo_u32 v66, v66, v175
	v_dot4_i32_iu8 v71, v69, v125, v71 neg_lo:[1,1,0]
	v_dot4_i32_iu8 v69, v69, v85, v70 neg_lo:[1,1,0]
	v_dot4_i32_iu8 v65, v77, v149, v65 neg_lo:[1,1,0]
	v_mul_lo_u32 v64, v64, v173
	v_and_b32_e32 v164, 0xffff, v164
	v_and_b32_e32 v176, 0xffff, v176
	v_mul_lo_u32 v67, v67, v174
	v_dot4_i32_iu8 v70, v77, v181, v72 neg_lo:[1,1,0]
	v_dot4_i32_iu8 v68, v77, v180, v68 neg_lo:[1,1,0]
	v_mul_lo_u32 v71, v71, v165
	v_mul_lo_u32 v69, v69, v177
	;; [unrolled: 1-line block ×5, first 2 shown]
	v_cvt_f32_i32_e32 v138, v66
	v_cvt_f32_i32_e32 v116, v64
	v_pk_mul_f32 v[62:63], v[62:63], v[58:59]
	v_cvt_f32_i32_e32 v146, v67
	s_add_co_i32 s17, s16, 8
	v_pk_fma_f32 v[64:65], v[138:139], v[78:79], 0 op_sel_hi:[1,1,0]
	v_cvt_f32_i32_e32 v67, v71
	v_cvt_f32_i32_e32 v66, v69
	;; [unrolled: 1-line block ×3, first 2 shown]
	v_pk_fma_f32 v[68:69], v[116:117], v[78:79], 0 op_sel_hi:[1,1,0]
	v_cvt_f32_i32_e32 v71, v73
	v_cvt_f32_i32_e32 v70, v70
	v_pk_fma_f32 v[64:65], v[146:147], v[114:115], v[64:65]
	v_pk_fma_f32 v[66:67], v[78:79], v[66:67], 0 op_sel_hi:[0,1,0]
	v_pk_fma_f32 v[68:69], v[132:133], v[114:115], v[68:69]
	s_cmp_lt_u32 s16, 24
	s_mov_b32 s16, s17
	v_pk_mul_f32 v[64:65], v[64:65], v[60:61]
	v_pk_fma_f32 v[66:67], v[114:115], v[70:71], v[66:67] op_sel_hi:[0,1,1]
	v_pk_mul_f32 v[68:69], v[68:69], v[56:57]
	s_delay_alu instid0(VALU_DEP_3) | instskip(NEXT) | instid1(VALU_DEP_3)
	v_sub_f32_e32 v64, v64, v65
	v_pk_fma_f32 v[62:63], v[66:67], v[54:55], v[62:63] neg_lo:[0,0,1] neg_hi:[0,0,1]
	s_delay_alu instid0(VALU_DEP_2) | instskip(NEXT) | instid1(VALU_DEP_2)
	v_dual_sub_f32 v65, v68, v69 :: v_dual_add_f32 v43, v43, v64
	v_pk_add_f32 v[18:19], v[18:19], v[62:63]
	s_delay_alu instid0(VALU_DEP_2)
	v_add_f32_e32 v45, v45, v65
	s_cbranch_scc1 .LBB233_19
; %bb.20:                               ;   in Loop: Header=BB233_5 Depth=1
	s_barrier_signal -1
	s_barrier_wait -1
	s_branch .LBB233_4
.LBB233_21:
	s_mul_i32 s0, s7, s4
	s_wait_loadcnt 0x0
	v_cmp_gt_i32_e32 vcc_lo, s0, v1
	s_and_saveexec_b32 s0, vcc_lo
	s_cbranch_execz .LBB233_30
; %bb.22:
	v_mul_lo_u32 v0, v1, s6
	v_add_nc_u32_e32 v1, s18, v3
	s_mov_b32 s0, exec_lo
	s_delay_alu instid0(VALU_DEP_1)
	v_cmpx_gt_u32_e64 s6, v1
	s_cbranch_execz .LBB233_24
; %bb.23:
	v_bfe_u32 v2, v18, 16, 1
	v_cmp_o_f32_e32 vcc_lo, v18, v18
	v_add_nc_u32_e32 v3, v0, v1
	s_delay_alu instid0(VALU_DEP_3) | instskip(NEXT) | instid1(VALU_DEP_1)
	v_add3_u32 v2, v18, v2, 0x7fff
	v_lshrrev_b32_e32 v2, 16, v2
	s_delay_alu instid0(VALU_DEP_1)
	v_cndmask_b32_e32 v2, 0x7fc0, v2, vcc_lo
	global_store_b16 v3, v2, s[8:9] scale_offset
.LBB233_24:
	s_wait_xcnt 0x0
	s_or_b32 exec_lo, exec_lo, s0
	v_add_nc_u32_e32 v2, 32, v1
	s_mov_b32 s0, exec_lo
	s_delay_alu instid0(VALU_DEP_1)
	v_cmpx_gt_u32_e64 s6, v2
	s_cbranch_execz .LBB233_26
; %bb.25:
	v_bfe_u32 v3, v19, 16, 1
	v_cmp_o_f32_e32 vcc_lo, v19, v19
	v_add_nc_u32_e32 v2, v0, v2
	s_delay_alu instid0(VALU_DEP_3) | instskip(NEXT) | instid1(VALU_DEP_1)
	v_add3_u32 v3, v19, v3, 0x7fff
	v_lshrrev_b32_e32 v3, 16, v3
	s_delay_alu instid0(VALU_DEP_1)
	v_cndmask_b32_e32 v3, 0x7fc0, v3, vcc_lo
	global_store_b16 v2, v3, s[8:9] scale_offset
.LBB233_26:
	s_wait_xcnt 0x0
	s_or_b32 exec_lo, exec_lo, s0
	;; [unrolled: 18-line block ×3, first 2 shown]
	v_add_nc_u32_e32 v1, 0x60, v1
	s_delay_alu instid0(VALU_DEP_1)
	v_cmp_gt_u32_e32 vcc_lo, s6, v1
	s_and_b32 exec_lo, exec_lo, vcc_lo
	s_cbranch_execz .LBB233_30
; %bb.29:
	v_bfe_u32 v2, v43, 16, 1
	v_cmp_o_f32_e32 vcc_lo, v43, v43
	v_add_nc_u32_e32 v0, v0, v1
	s_delay_alu instid0(VALU_DEP_3) | instskip(NEXT) | instid1(VALU_DEP_1)
	v_add3_u32 v2, v43, v2, 0x7fff
	v_lshrrev_b32_e32 v2, 16, v2
	s_delay_alu instid0(VALU_DEP_1)
	v_cndmask_b32_e32 v2, 0x7fc0, v2, vcc_lo
	global_store_b16 v0, v2, s[8:9] scale_offset
.LBB233_30:
	s_sendmsg sendmsg(MSG_DEALLOC_VGPRS)
	s_endpgm
	.section	.rodata,"a",@progbits
	.p2align	6, 0x0
	.amdhsa_kernel _ZL8moe_q5_KIN3c108BFloat16ELb0EEvPKvS3_PT_PKiS7_S7_iiiiiii
		.amdhsa_group_segment_fixed_size 37072
		.amdhsa_private_segment_fixed_size 0
		.amdhsa_kernarg_size 76
		.amdhsa_user_sgpr_count 2
		.amdhsa_user_sgpr_dispatch_ptr 0
		.amdhsa_user_sgpr_queue_ptr 0
		.amdhsa_user_sgpr_kernarg_segment_ptr 1
		.amdhsa_user_sgpr_dispatch_id 0
		.amdhsa_user_sgpr_kernarg_preload_length 0
		.amdhsa_user_sgpr_kernarg_preload_offset 0
		.amdhsa_user_sgpr_private_segment_size 0
		.amdhsa_wavefront_size32 1
		.amdhsa_uses_dynamic_stack 0
		.amdhsa_enable_private_segment 0
		.amdhsa_system_sgpr_workgroup_id_x 1
		.amdhsa_system_sgpr_workgroup_id_y 1
		.amdhsa_system_sgpr_workgroup_id_z 0
		.amdhsa_system_sgpr_workgroup_info 0
		.amdhsa_system_vgpr_workitem_id 1
		.amdhsa_next_free_vgpr 237
		.amdhsa_next_free_sgpr 23
		.amdhsa_named_barrier_count 0
		.amdhsa_reserve_vcc 1
		.amdhsa_float_round_mode_32 0
		.amdhsa_float_round_mode_16_64 0
		.amdhsa_float_denorm_mode_32 3
		.amdhsa_float_denorm_mode_16_64 3
		.amdhsa_fp16_overflow 0
		.amdhsa_memory_ordered 1
		.amdhsa_forward_progress 1
		.amdhsa_inst_pref_size 75
		.amdhsa_round_robin_scheduling 0
		.amdhsa_exception_fp_ieee_invalid_op 0
		.amdhsa_exception_fp_denorm_src 0
		.amdhsa_exception_fp_ieee_div_zero 0
		.amdhsa_exception_fp_ieee_overflow 0
		.amdhsa_exception_fp_ieee_underflow 0
		.amdhsa_exception_fp_ieee_inexact 0
		.amdhsa_exception_int_div_zero 0
	.end_amdhsa_kernel
	.section	.text._ZL8moe_q5_KIN3c108BFloat16ELb0EEvPKvS3_PT_PKiS7_S7_iiiiiii,"axG",@progbits,_ZL8moe_q5_KIN3c108BFloat16ELb0EEvPKvS3_PT_PKiS7_S7_iiiiiii,comdat
.Lfunc_end233:
	.size	_ZL8moe_q5_KIN3c108BFloat16ELb0EEvPKvS3_PT_PKiS7_S7_iiiiiii, .Lfunc_end233-_ZL8moe_q5_KIN3c108BFloat16ELb0EEvPKvS3_PT_PKiS7_S7_iiiiiii
                                        ; -- End function
	.set _ZL8moe_q5_KIN3c108BFloat16ELb0EEvPKvS3_PT_PKiS7_S7_iiiiiii.num_vgpr, 237
	.set _ZL8moe_q5_KIN3c108BFloat16ELb0EEvPKvS3_PT_PKiS7_S7_iiiiiii.num_agpr, 0
	.set _ZL8moe_q5_KIN3c108BFloat16ELb0EEvPKvS3_PT_PKiS7_S7_iiiiiii.numbered_sgpr, 23
	.set _ZL8moe_q5_KIN3c108BFloat16ELb0EEvPKvS3_PT_PKiS7_S7_iiiiiii.num_named_barrier, 0
	.set _ZL8moe_q5_KIN3c108BFloat16ELb0EEvPKvS3_PT_PKiS7_S7_iiiiiii.private_seg_size, 0
	.set _ZL8moe_q5_KIN3c108BFloat16ELb0EEvPKvS3_PT_PKiS7_S7_iiiiiii.uses_vcc, 1
	.set _ZL8moe_q5_KIN3c108BFloat16ELb0EEvPKvS3_PT_PKiS7_S7_iiiiiii.uses_flat_scratch, 0
	.set _ZL8moe_q5_KIN3c108BFloat16ELb0EEvPKvS3_PT_PKiS7_S7_iiiiiii.has_dyn_sized_stack, 0
	.set _ZL8moe_q5_KIN3c108BFloat16ELb0EEvPKvS3_PT_PKiS7_S7_iiiiiii.has_recursion, 0
	.set _ZL8moe_q5_KIN3c108BFloat16ELb0EEvPKvS3_PT_PKiS7_S7_iiiiiii.has_indirect_call, 0
	.section	.AMDGPU.csdata,"",@progbits
; Kernel info:
; codeLenInByte = 9564
; TotalNumSgprs: 25
; NumVgprs: 237
; ScratchSize: 0
; MemoryBound: 0
; FloatMode: 240
; IeeeMode: 1
; LDSByteSize: 37072 bytes/workgroup (compile time only)
; SGPRBlocks: 0
; VGPRBlocks: 14
; NumSGPRsForWavesPerEU: 25
; NumVGPRsForWavesPerEU: 237
; NamedBarCnt: 0
; Occupancy: 4
; WaveLimiterHint : 1
; COMPUTE_PGM_RSRC2:SCRATCH_EN: 0
; COMPUTE_PGM_RSRC2:USER_SGPR: 2
; COMPUTE_PGM_RSRC2:TRAP_HANDLER: 0
; COMPUTE_PGM_RSRC2:TGID_X_EN: 1
; COMPUTE_PGM_RSRC2:TGID_Y_EN: 1
; COMPUTE_PGM_RSRC2:TGID_Z_EN: 0
; COMPUTE_PGM_RSRC2:TIDIG_COMP_CNT: 1
	.section	.text._ZL8moe_q5_KIN3c108BFloat16ELb1EEvPKvS3_PT_PKiS7_S7_iiiiiii,"axG",@progbits,_ZL8moe_q5_KIN3c108BFloat16ELb1EEvPKvS3_PT_PKiS7_S7_iiiiiii,comdat
	.globl	_ZL8moe_q5_KIN3c108BFloat16ELb1EEvPKvS3_PT_PKiS7_S7_iiiiiii ; -- Begin function _ZL8moe_q5_KIN3c108BFloat16ELb1EEvPKvS3_PT_PKiS7_S7_iiiiiii
	.p2align	8
	.type	_ZL8moe_q5_KIN3c108BFloat16ELb1EEvPKvS3_PT_PKiS7_S7_iiiiiii,@function
_ZL8moe_q5_KIN3c108BFloat16ELb1EEvPKvS3_PT_PKiS7_S7_iiiiiii: ; @_ZL8moe_q5_KIN3c108BFloat16ELb1EEvPKvS3_PT_PKiS7_S7_iiiiiii
; %bb.0:
	s_load_b128 s[4:7], s[0:1], 0x18
	s_bfe_u32 s2, ttmp6, 0x40010
	s_bfe_u32 s8, ttmp6, 0x40004
	s_add_co_i32 s2, s2, 1
	s_getreg_b32 s3, hwreg(HW_REG_IB_STS2, 6, 4)
	s_mul_i32 s2, ttmp7, s2
	s_delay_alu instid0(SALU_CYCLE_1)
	s_add_co_i32 s8, s8, s2
	s_cmp_eq_u32 s3, 0
	s_cselect_b32 s8, ttmp7, s8
	s_wait_kmcnt 0x0
	s_load_b32 s2, s[6:7], s8 offset:0x0 scale_offset
	s_wait_kmcnt 0x0
	s_cmp_gt_u32 s2, 0xff
	s_cbranch_scc1 .LBB234_30
; %bb.1:
	s_load_b64 s[6:7], s[0:1], 0x28
	s_wait_kmcnt 0x0
	s_load_b32 s7, s[6:7], 0x0
	s_wait_xcnt 0x0
	s_lshl_b32 s6, s8, 3
	s_wait_kmcnt 0x0
	s_cmp_gt_u32 s6, s7
	s_cbranch_scc1 .LBB234_30
; %bb.2:
	v_bfe_u32 v1, v0, 10, 10
	s_bfe_u32 s8, ttmp6, 0x4000c
	s_and_b32 s9, ttmp6, 15
	s_add_co_i32 s8, s8, 1
	v_and_b32_e32 v15, 0x3ff, v0
	v_dual_add_nc_u32 v2, s6, v1 :: v_dual_mov_b32 v90, 0
	s_mul_i32 s8, ttmp9, s8
	v_dual_mov_b32 v94, 0 :: v_dual_mov_b32 v9, 0
	global_load_b32 v3, v2, s[4:5] scale_offset
	s_wait_xcnt 0x0
	s_clause 0x2
	s_load_b128 s[4:7], s[0:1], 0x30
	s_load_b64 s[16:17], s[0:1], 0x10
	s_load_b96 s[12:14], s[0:1], 0x40
	s_add_co_i32 s9, s9, s8
	s_cmp_eq_u32 s3, 0
	v_mov_b32_e32 v8, v90
	s_cselect_b32 s3, ttmp9, s9
	s_delay_alu instid0(SALU_CYCLE_1)
	s_lshl_b32 s15, s3, 7
	s_mov_b32 s3, 0
	s_wait_kmcnt 0x0
	s_cmp_lt_i32 s5, 0x100
	s_cbranch_scc1 .LBB234_21
; %bb.3:
	s_load_b128 s[8:11], s[0:1], 0x0
	s_wait_xcnt 0x0
	s_ashr_i32 s0, s5, 31
	s_ashr_i32 s1, s12, 31
	s_lshr_b32 s0, s0, 24
	s_lshr_b32 s1, s1, 27
	s_mul_i32 s20, s2, s4
	s_not_b32 s2, s15
	s_add_co_i32 s0, s5, s0
	s_add_co_i32 s1, s12, s1
	s_ashr_i32 s4, s0, 8
	s_add_co_i32 s0, s6, s2
	s_ashr_i32 s6, s1, 5
	s_abs_i32 s1, s14
	v_bfe_u32 v8, v0, 2, 8
	s_cvt_f32_u32 s2, s1
	v_dual_lshlrev_b32 v31, 5, v1 :: v_dual_lshlrev_b32 v4, 1, v0
	v_lshlrev_b32_e32 v9, 2, v15
	s_delay_alu instid0(SALU_CYCLE_1)
	v_rcp_iflag_f32_e32 v12, s2
	v_and_b32_e32 v17, 6, v8
	v_lshl_add_u32 v8, v1, 3, v8
	v_and_b32_e32 v5, 7, v0
	s_sub_co_i32 s12, 0, s1
	v_min_i32_e32 v14, s0, v1
	v_add_min_i32_e64 v16, v1, 8, s0
	v_readfirstlane_b32 s2, v12
	v_and_b32_e32 v12, 0x7f, v8
	v_add_nc_u32_e32 v11, v31, v15
	v_and_or_b32 v6, v4, 48, v5
	v_mov_b32_e32 v5, 0
	s_mul_f32 s2, s2, 0x4f7ffffe
	v_min_i32_e32 v48, s0, v12
	v_and_b32_e32 v11, 0x7f, v11
	s_wait_loadcnt 0x0
	v_dual_lshlrev_b32 v10, 2, v6 :: v_dual_sub_nc_u32 v13, 0, v3
	s_cvt_u32_f32 s2, s2
	v_add_min_i32_e64 v18, v1, 16, s0
	v_min_i32_e32 v46, s0, v11
	v_add_min_i32_e64 v20, v1, 24, s0
	s_mul_i32 s12, s12, s2
	v_add_min_i32_e64 v22, v1, 32, s0
	s_mul_hi_u32 s12, s2, s12
	v_ashrrev_i32_e32 v11, 31, v46
	s_add_co_i32 s2, s2, s12
	v_add_min_i32_e64 v24, v1, 40, s0
	v_add_min_i32_e64 v26, v1, 48, s0
	;; [unrolled: 1-line block ×3, first 2 shown]
	v_dual_lshrrev_b32 v11, 27, v11 :: v_dual_max_i32 v12, v3, v13
	v_add_min_i32_e64 v30, v1, 64, s0
	v_add_min_i32_e64 v32, 0x48, v1, s0
	;; [unrolled: 1-line block ×3, first 2 shown]
	s_delay_alu instid0(VALU_DEP_4)
	v_add_nc_u32_e32 v11, v46, v11
	v_mul_hi_u32 v50, v12, s2
	v_add_min_i32_e64 v36, 0x58, v1, s0
	v_add_min_i32_e64 v38, 0x60, v1, s0
	;; [unrolled: 1-line block ×5, first 2 shown]
	v_dual_ashrrev_i32 v13, 31, v48 :: v_dual_ashrrev_i32 v11, 5, v11
	v_mad_u32 v19, 0x104, v14, v10
	v_mad_u32 v21, 0x104, v16, v10
	v_mad_u32 v23, 0x104, v18, v10
	v_mad_u32 v25, 0x104, v20, v10
	v_mad_u32 v27, 0x104, v22, v10
	v_mad_u32 v29, 0x104, v24, v10
	v_mad_u32 v33, 0x104, v26, v10
	v_mad_u32 v35, 0x104, v28, v10
	v_mad_u32 v37, 0x104, v30, v10
	v_mad_u32 v39, 0x104, v32, v10
	v_mad_u32 v41, 0x104, v34, v10
	v_mad_u32 v43, 0x104, v36, v10
	v_mad_u32 v45, 0x104, v38, v10
	v_mad_u32 v47, 0x104, v40, v10
	v_mad_u32 v49, 0x104, v42, v10
	v_and_b32_e32 v52, 3, v0
	v_mad_u32 v51, 0x104, v44, v10
	v_lshrrev_b32_e32 v10, 29, v13
	v_bitop3_b32 v8, v8, 64, 0x7f bitop3:0x6c
	v_dual_lshlrev_b32 v11, 2, v11 :: v_dual_lshlrev_b32 v53, 2, v46
	v_add_nc_u32_e32 v13, 0xfe, v52
	s_delay_alu instid0(VALU_DEP_3) | instskip(SKIP_1) | instid1(VALU_DEP_4)
	v_dual_add_nc_u32 v10, v48, v10 :: v_dual_min_i32 v54, s0, v8
	v_mul_lo_u32 v8, v50, s1
	v_add3_u32 v86, v11, v53, 0x8e40
	s_delay_alu instid0(VALU_DEP_4) | instskip(SKIP_3) | instid1(VALU_DEP_2)
	v_and_b32_e32 v13, 0xff, v13
	v_cmp_gt_u32_e32 vcc_lo, 2, v52
	v_dual_ashrrev_i32 v11, 31, v54 :: v_dual_bitop2_b32 v53, 4, v9 bitop3:0x40
	v_dual_ashrrev_i32 v10, 3, v10 :: v_dual_lshlrev_b32 v55, 2, v52
	v_dual_cndmask_b32 v13, v13, v52, vcc_lo :: v_dual_lshrrev_b32 v11, 29, v11
	v_cmp_lt_u32_e32 vcc_lo, 1, v52
	v_dual_sub_nc_u32 v8, v12, v8 :: v_dual_add_nc_u32 v12, 1, v50
	s_delay_alu instid0(VALU_DEP_3) | instskip(SKIP_1) | instid1(VALU_DEP_3)
	v_dual_lshlrev_b32 v10, 2, v10 :: v_dual_add_nc_u32 v11, v54, v11
	v_cndmask_b32_e32 v87, 0, v53, vcc_lo
	v_subrev_nc_u32_e32 v53, s1, v8
	v_cmp_le_u32_e64 s0, s1, v8
	v_xor_b32_e32 v56, s14, v3
	v_add3_u32 v10, v10, v55, 0x8200
	v_bfe_u32 v2, v0, 5, 5
	v_bfe_u32 v95, v0, 3, 7
	v_dual_cndmask_b32 v12, v50, v12, s0 :: v_dual_cndmask_b32 v8, v8, v53, s0
	v_dual_ashrrev_i32 v11, 3, v11 :: v_dual_bitop2_b32 v50, 31, v0 bitop3:0x40
	v_ashrrev_i32_e32 v56, 31, v56
	s_delay_alu instid0(VALU_DEP_3) | instskip(NEXT) | instid1(VALU_DEP_4)
	v_add_nc_u32_e32 v53, 1, v12
	v_cmp_le_u32_e64 s0, s1, v8
	s_delay_alu instid0(VALU_DEP_4) | instskip(SKIP_1) | instid1(VALU_DEP_3)
	v_dual_lshlrev_b32 v50, 2, v50 :: v_dual_lshlrev_b32 v11, 2, v11
	v_dual_mov_b32 v94, v5 :: v_dual_add_nc_u32 v57, 0x9050, v9
	v_dual_cndmask_b32 v8, v12, v53, s0 :: v_dual_lshlrev_b32 v12, 4, v48
	s_delay_alu instid0(VALU_DEP_3) | instskip(SKIP_2) | instid1(VALU_DEP_4)
	v_add3_u32 v11, v11, v55, 0x8200
	v_lshlrev_b32_e32 v53, 4, v54
	v_lshl_or_b32 v50, v1, 7, v50
	v_dual_add_nc_u32 v55, 32, v15 :: v_dual_bitop2_b32 v8, v8, v56 bitop3:0x14
	v_dual_add_nc_u32 v91, v10, v12 :: v_dual_add_nc_u32 v10, 64, v15
	s_delay_alu instid0(VALU_DEP_2) | instskip(NEXT) | instid1(VALU_DEP_3)
	v_dual_lshlrev_b32 v1, 4, v1 :: v_dual_sub_nc_u32 v8, v8, v56
	v_dual_lshrrev_b32 v89, 3, v55 :: v_dual_lshlrev_b32 v12, 2, v2
	s_delay_alu instid0(VALU_DEP_3) | instskip(SKIP_1) | instid1(VALU_DEP_3)
	v_dual_add_nc_u32 v92, v11, v53 :: v_dual_lshrrev_b32 v53, 3, v10
	v_add_nc_u32_e32 v88, 0x8a40, v50
	v_and_b32_e32 v11, 60, v89
	v_add_nc_u32_e32 v50, 0x60, v15
	v_cmp_ne_u32_e64 s2, 0, v52
	v_dual_lshlrev_b32 v55, 2, v55 :: v_dual_bitop2_b32 v0, 60, v53 bitop3:0x40
	v_cmp_gt_i32_e64 s1, s7, v8
	v_dual_mov_b32 v7, v5 :: v_dual_bitop2_b32 v6, 28, v9 bitop3:0x40
	s_delay_alu instid0(VALU_DEP_3)
	v_add3_u32 v98, v9, v0, 0x8e40
	v_mul_lo_u32 v0, v8, s6
	v_add_co_ci_u32_e64 v8, null, 0, v13, s2
	v_dual_mov_b32 v13, v5 :: v_dual_lshlrev_b32 v100, 1, v13
	v_dual_add_nc_u32 v93, v57, v1 :: v_dual_lshrrev_b32 v56, 3, v50
	v_lshlrev_b32_e32 v57, 2, v10
	v_lshlrev_b32_e32 v50, 2, v50
	v_mul_lo_u32 v14, v14, s4
	v_mul_lo_u32 v16, v16, s4
	v_and_b32_e32 v1, 60, v56
	v_mul_lo_u32 v18, v18, s4
	v_mul_lo_u32 v20, v20, s4
	v_mul_lo_u32 v22, v22, s4
	v_mul_lo_u32 v24, v24, s4
	v_add3_u32 v99, v9, v1, 0x8e40
	v_dual_ashrrev_i32 v1, 31, v0 :: v_dual_lshlrev_b32 v106, 2, v50
	v_mul_lo_u32 v26, v26, s4
	v_mul_lo_u32 v28, v28, s4
	;; [unrolled: 1-line block ×13, first 2 shown]
	v_add3_u32 v96, v12, v9, 0x8e40
	v_cndmask_b32_e64 v12, 0, 1, vcc_lo
	s_ashr_i32 s21, s20, 31
	s_mul_i32 s18, s4, s15
	s_wait_kmcnt 0x0
	s_add_nc_u64 s[8:9], s[8:9], s[20:21]
	v_cmp_gt_u32_e64 s0, 4, v15
	s_movk_i32 s12, 0x2080
	s_movk_i32 s20, 0x4100
	;; [unrolled: 1-line block ×3, first 2 shown]
	v_dual_lshlrev_b32 v102, 2, v55 :: v_dual_lshlrev_b32 v103, 2, v53
	v_add_nc_u64_e32 v[52:53], s[10:11], v[6:7]
	s_ashr_i32 s19, s18, 31
	v_and_b32_e32 v4, 0x7c, v9
	v_add3_u32 v97, v9, v11, 0x8e40
	v_dual_mov_b32 v11, v5 :: v_dual_lshlrev_b32 v10, 2, v8
	v_dual_lshlrev_b32 v12, 2, v12 :: v_dual_lshlrev_b32 v101, 2, v9
	v_dual_lshlrev_b32 v104, 2, v57 :: v_dual_lshlrev_b32 v105, 2, v56
	v_dual_mov_b32 v8, v5 :: v_dual_mov_b32 v9, v5
	v_dual_lshlrev_b32 v112, 2, v95 :: v_dual_bitop2_b32 v107, 1, v17 bitop3:0x54
	v_mul_u32_u24_e32 v108, 0x104, v15
	v_mad_u32_u24 v109, 0x104, v15, s12
	v_mad_u32_u24 v110, 0x104, v15, s20
	;; [unrolled: 1-line block ×3, first 2 shown]
	v_dual_mov_b32 v90, v5 :: v_dual_lshlrev_b32 v113, 2, v89
	s_mul_u64 s[18:19], s[18:19], 0xb0
	s_and_b32 s12, s0, s1
	s_add_nc_u64 s[8:9], s[8:9], s[18:19]
	s_mov_b32 s2, s3
	s_branch .LBB234_5
.LBB234_4:                              ;   in Loop: Header=BB234_5 Depth=1
	s_add_co_i32 s2, s2, 1
	s_delay_alu instid0(SALU_CYCLE_1)
	s_cmp_eq_u32 s2, s4
	s_cbranch_scc1 .LBB234_21
.LBB234_5:                              ; =>This Loop Header: Depth=1
                                        ;     Child Loop BB234_11 Depth 2
                                        ;     Child Loop BB234_19 Depth 2
	s_mul_u64 s[18:19], s[2:3], 0xb0
	s_delay_alu instid0(SALU_CYCLE_1) | instskip(NEXT) | instid1(SALU_CYCLE_1)
	s_add_nc_u64 s[18:19], s[8:9], s[18:19]
	v_mad_nc_u64_u32 v[54:55], 0xb0, v2, s[18:19]
	v_mad_nc_i64_i32 v[56:57], 0xb0, v48, s[18:19]
	v_mad_nc_i64_i32 v[58:59], 0xb0, v50, s[18:19]
	s_delay_alu instid0(VALU_DEP_3)
	v_mad_nc_i64_i32 v[60:61], 0xb0, v14, v[54:55]
	v_mad_nc_i64_i32 v[62:63], 0xb0, v16, v[54:55]
	;; [unrolled: 1-line block ×4, first 2 shown]
	v_add_nc_u64_e32 v[70:71], v[56:57], v[10:11]
	v_add_nc_u64_e32 v[56:57], v[56:57], v[12:13]
	v_add_nc_u64_e32 v[72:73], v[58:59], v[10:11]
	v_mad_nc_i64_i32 v[68:69], 0xb0, v22, v[54:55]
	v_add_nc_u64_e32 v[58:59], v[58:59], v[12:13]
	v_mad_nc_i64_i32 v[74:75], 0xb0, v24, v[54:55]
	v_mad_nc_i64_i32 v[76:77], 0xb0, v26, v[54:55]
	;; [unrolled: 1-line block ×3, first 2 shown]
	s_clause 0x3
	global_load_b32 v80, v[70:71], off offset:4
	global_load_b32 v81, v[56:57], off offset:4
	;; [unrolled: 1-line block ×4, first 2 shown]
	s_wait_xcnt 0x2
	v_add_nc_u64_e32 v[56:57], v[60:61], v[6:7]
	s_wait_xcnt 0x0
	v_add_nc_u64_e32 v[58:59], v[60:61], v[4:5]
	v_add_nc_u64_e32 v[60:61], v[62:63], v[6:7]
	;; [unrolled: 1-line block ×7, first 2 shown]
	s_clause 0x7
	global_load_b32 v84, v[56:57], off offset:16
	global_load_b32 v85, v[60:61], off offset:16
	;; [unrolled: 1-line block ×8, first 2 shown]
	s_wait_xcnt 0x7
	v_add_nc_u64_e32 v[56:57], v[68:69], v[6:7]
	s_wait_xcnt 0x5
	v_mad_nc_i64_i32 v[70:71], 0xb0, v30, v[54:55]
	v_add_nc_u64_e32 v[60:61], v[74:75], v[6:7]
	s_wait_xcnt 0x1
	v_add_nc_u64_e32 v[62:63], v[74:75], v[4:5]
	v_add_nc_u64_e32 v[64:65], v[76:77], v[6:7]
	v_mad_nc_i64_i32 v[74:75], 0xb0, v32, v[54:55]
	v_add_nc_u64_e32 v[66:67], v[78:79], v[4:5]
	s_wait_xcnt 0x0
	v_add_nc_u64_e32 v[58:59], v[68:69], v[4:5]
	v_add_nc_u64_e32 v[68:69], v[78:79], v[6:7]
	;; [unrolled: 1-line block ×3, first 2 shown]
	s_clause 0x7
	global_load_b32 v78, v[56:57], off offset:16
	global_load_b32 v79, v[60:61], off offset:16
	;; [unrolled: 1-line block ×8, first 2 shown]
	s_wait_xcnt 0x1
	v_mad_nc_i64_i32 v[62:63], 0xb0, v34, v[54:55]
	v_mad_nc_i64_i32 v[66:67], 0xb0, v36, v[54:55]
	v_add_nc_u64_e32 v[56:57], v[70:71], v[4:5]
	v_mad_nc_i64_i32 v[68:69], 0xb0, v38, v[54:55]
	s_wait_xcnt 0x0
	v_add_nc_u64_e32 v[58:59], v[70:71], v[6:7]
	v_mad_nc_i64_i32 v[70:71], 0xb0, v40, v[54:55]
	v_add_nc_u64_e32 v[60:61], v[74:75], v[4:5]
	v_add_nc_u64_e32 v[64:65], v[74:75], v[6:7]
	v_mad_nc_i64_i32 v[72:73], 0xb0, v42, v[54:55]
	v_mad_nc_i64_i32 v[54:55], 0xb0, v44, v[54:55]
	s_clause 0x3
	global_load_b32 v126, v[56:57], off offset:48
	global_load_b32 v127, v[58:59], off offset:16
	global_load_b32 v128, v[60:61], off offset:48
	global_load_b32 v129, v[64:65], off offset:16
	s_wait_xcnt 0x3
	v_add_nc_u64_e32 v[56:57], v[62:63], v[4:5]
	s_wait_xcnt 0x2
	v_add_nc_u64_e32 v[58:59], v[62:63], v[6:7]
	;; [unrolled: 2-line block ×3, first 2 shown]
	v_add_nc_u64_e32 v[62:63], v[66:67], v[6:7]
	s_wait_xcnt 0x0
	v_add_nc_u64_e32 v[64:65], v[68:69], v[6:7]
	v_add_nc_u64_e32 v[66:67], v[68:69], v[4:5]
	;; [unrolled: 1-line block ×6, first 2 shown]
	s_clause 0x9
	global_load_b32 v130, v[56:57], off offset:48
	global_load_b32 v131, v[58:59], off offset:16
	;; [unrolled: 1-line block ×10, first 2 shown]
	s_wait_xcnt 0x9
	v_add_nc_u64_e32 v[56:57], v[72:73], v[6:7]
	v_add_nc_u64_e32 v[54:55], v[54:55], v[6:7]
	s_clause 0x1
	global_load_b32 v58, v[56:57], off offset:16
	global_load_b32 v59, v[54:55], off offset:16
	s_wait_xcnt 0x0
	v_mad_nc_i64_i32 v[54:55], 0xb0, v46, s[18:19]
	s_lshl_b32 s18, s2, 8
	s_delay_alu instid0(SALU_CYCLE_1)
	s_cmp_lt_i32 s18, s5
	global_load_b32 v54, v[54:55], off
	s_wait_loadcnt 0x23
	s_wait_xcnt 0x0
	v_dual_ashrrev_i32 v55, v87, v80 :: v_dual_ashrrev_i32 v57, v100, v81
	s_wait_loadcnt 0x21
	v_dual_ashrrev_i32 v56, v87, v82 :: v_dual_ashrrev_i32 v60, v100, v83
	s_delay_alu instid0(VALU_DEP_2) | instskip(SKIP_2) | instid1(VALU_DEP_3)
	v_and_b32_e32 v55, 0xf0f0f0f, v55
	s_wait_loadcnt 0x1f
	v_dual_ashrrev_i32 v62, v107, v84 :: v_dual_ashrrev_i32 v63, v17, v85
	v_and_b32_e32 v56, 0xf0f0f0f, v56
	v_ashrrev_i32_e32 v66, v107, v85
	v_and_or_b32 v55, 0x30303030, v57, v55
	s_wait_loadcnt 0x19
	v_dual_ashrrev_i32 v57, v17, v84 :: v_dual_lshrrev_b32 v61, 4, v119
	v_lshrrev_b32_e32 v65, 4, v118
	v_dual_ashrrev_i32 v67, v17, v114 :: v_dual_lshrrev_b32 v69, 4, v117
	v_dual_ashrrev_i32 v70, v107, v114 :: v_dual_ashrrev_i32 v71, v17, v115
	v_dual_lshrrev_b32 v73, 4, v116 :: v_dual_ashrrev_i32 v74, v107, v115
	s_wait_loadcnt 0x18
	v_dual_ashrrev_i32 v75, v17, v78 :: v_dual_ashrrev_i32 v78, v107, v78
	s_wait_loadcnt 0x17
	v_ashrrev_i32_e32 v80, v17, v79
	v_and_or_b32 v56, 0x30303030, v60, v56
	s_wait_loadcnt 0x11
	v_lshrrev_b32_e32 v77, 4, v125
	v_and_b32_e32 v60, 0xf0f0f0f, v119
	v_and_b32_e32 v64, 0xf0f0f0f, v118
	;; [unrolled: 1-line block ×6, first 2 shown]
	v_dual_lshrrev_b32 v82, 4, v124 :: v_dual_ashrrev_i32 v79, v107, v79
	v_dual_ashrrev_i32 v83, v17, v120 :: v_dual_lshrrev_b32 v85, 4, v123
	v_and_b32_e32 v84, 0xf0f0f0f, v123
	v_dual_ashrrev_i32 v114, v107, v120 :: v_dual_ashrrev_i32 v115, v17, v122
	v_and_b32_e32 v116, 0xf0f0f0f, v121
	v_dual_lshrrev_b32 v117, 4, v121 :: v_dual_ashrrev_i32 v118, v107, v122
	s_wait_loadcnt 0xf
	v_dual_ashrrev_i32 v119, v17, v127 :: v_dual_lshrrev_b32 v121, 4, v126
	v_and_b32_e32 v120, 0xf0f0f0f, v126
	s_wait_loadcnt 0xd
	v_dual_ashrrev_i32 v122, v107, v127 :: v_dual_ashrrev_i32 v123, v17, v129
	v_and_b32_e32 v124, 0xf0f0f0f, v128
	v_dual_lshrrev_b32 v125, 4, v128 :: v_dual_ashrrev_i32 v126, v107, v129
	s_wait_loadcnt 0xb
	v_dual_ashrrev_i32 v127, v17, v131 :: v_dual_lshrrev_b32 v129, 4, v130
	v_and_b32_e32 v128, 0xf0f0f0f, v130
	s_wait_loadcnt 0x9
	v_dual_ashrrev_i32 v130, v107, v131 :: v_dual_ashrrev_i32 v131, v17, v133
	v_and_b32_e32 v140, 0xf0f0f0f, v132
	v_dual_lshrrev_b32 v132, 4, v132 :: v_dual_ashrrev_i32 v133, v107, v133
	s_wait_loadcnt 0x8
	v_ashrrev_i32_e32 v141, v17, v134
	s_wait_loadcnt 0x3
	v_and_b32_e32 v142, 0xf0f0f0f, v139
	v_dual_lshrrev_b32 v139, 4, v139 :: v_dual_ashrrev_i32 v134, v107, v134
	v_ashrrev_i32_e32 v143, v17, v136
	v_and_b32_e32 v144, 0xf0f0f0f, v135
	v_dual_lshrrev_b32 v135, 4, v135 :: v_dual_ashrrev_i32 v136, v107, v136
	s_wait_loadcnt 0x2
	v_dual_ashrrev_i32 v145, v17, v58 :: v_dual_ashrrev_i32 v58, v107, v58
	v_and_b32_e32 v146, 0xf0f0f0f, v138
	s_wait_loadcnt 0x1
	v_dual_lshrrev_b32 v138, 4, v138 :: v_dual_ashrrev_i32 v147, v17, v59
	v_and_b32_e32 v148, 0xf0f0f0f, v137
	v_dual_lshrrev_b32 v137, 4, v137 :: v_dual_ashrrev_i32 v59, v107, v59
	v_dual_lshlrev_b32 v57, 4, v57 :: v_dual_lshlrev_b32 v62, 4, v62
	v_and_b32_e32 v61, 0xf0f0f0f, v61
	v_dual_lshlrev_b32 v63, 4, v63 :: v_dual_lshlrev_b32 v66, 4, v66
	v_and_b32_e32 v65, 0xf0f0f0f, v65
	;; [unrolled: 2-line block ×15, first 2 shown]
	v_lshlrev_b32_e32 v147, 4, v147
	v_and_b32_e32 v137, 0xf0f0f0f, v137
	v_lshlrev_b32_e32 v59, 4, v59
	v_and_or_b32 v57, 0x10101010, v57, v60
	v_and_or_b32 v60, 0x10101010, v62, v61
	;; [unrolled: 1-line block ×32, first 2 shown]
	ds_store_2addr_b32 v19, v57, v60 offset1:8
	ds_store_2addr_b32 v21, v61, v62 offset1:8
	;; [unrolled: 1-line block ×16, first 2 shown]
	s_wait_loadcnt 0x0
	ds_store_b32 v86, v54
	ds_store_b32 v91, v55
	;; [unrolled: 1-line block ×3, first 2 shown]
	s_cbranch_scc0 .LBB234_4
; %bb.6:                                ;   in Loop: Header=BB234_5 Depth=1
	s_lshl_b32 s19, s2, 3
	s_delay_alu instid0(SALU_CYCLE_1) | instskip(NEXT) | instid1(VALU_DEP_1)
	v_add_nc_u32_e32 v54, s19, v95
	v_cmp_gt_i32_e32 vcc_lo, s6, v54
	s_and_b32 s21, s1, vcc_lo
	s_delay_alu instid0(SALU_CYCLE_1)
	s_and_saveexec_b32 s20, s21
	s_cbranch_execz .LBB234_8
; %bb.7:                                ;   in Loop: Header=BB234_5 Depth=1
	v_add_nc_u32_e32 v54, v0, v54
	s_delay_alu instid0(VALU_DEP_1)
	v_mad_nc_i64_i32 v[54:55], v54, 36, v[52:53]
	global_load_b32 v54, v[54:55], off offset:4
	s_wait_loadcnt 0x0
	ds_store_b32 v88, v54
.LBB234_8:                              ;   in Loop: Header=BB234_5 Depth=1
	s_or_b32 exec_lo, exec_lo, s20
	v_add_nc_u32_e32 v54, s19, v15
	s_delay_alu instid0(VALU_DEP_1) | instskip(SKIP_1) | instid1(SALU_CYCLE_1)
	v_cmp_gt_i32_e32 vcc_lo, s6, v54
	s_and_b32 s21, s12, vcc_lo
	s_and_saveexec_b32 s20, s21
	s_cbranch_execz .LBB234_10
; %bb.9:                                ;   in Loop: Header=BB234_5 Depth=1
	v_add_nc_u32_e32 v55, v0, v54
	s_delay_alu instid0(VALU_DEP_1)
	v_mad_nc_i64_i32 v[56:57], v55, 36, s[10:11]
	global_load_b32 v55, v[56:57], off
	s_wait_loadcnt 0x0
	ds_store_b32 v93, v55
.LBB234_10:                             ;   in Loop: Header=BB234_5 Depth=1
	s_or_b32 exec_lo, exec_lo, s20
	s_wait_dscnt 0x0
	s_barrier_signal -1
	s_barrier_wait -1
	ds_load_b32 v55, v97 offset:128
	ds_load_b32 v56, v96
	ds_load_b32 v58, v98 offset:256
	ds_load_b32 v62, v99 offset:384
	s_mov_b32 s21, 0
	s_mov_b32 s20, -1
	s_wait_dscnt 0x2
	v_dual_lshrrev_b32 v59, 16, v55 :: v_dual_lshrrev_b32 v60, 16, v56
	v_cvt_f32_f16_e32 v57, v55
	s_wait_dscnt 0x1
	v_lshrrev_b32_e32 v55, 16, v58
	s_wait_dscnt 0x0
	v_lshrrev_b32_e32 v63, 16, v62
	v_cvt_f32_f16_e32 v56, v56
	v_cvt_f32_f16_e32 v58, v58
	;; [unrolled: 1-line block ×7, first 2 shown]
.LBB234_11:                             ;   Parent Loop BB234_5 Depth=1
                                        ; =>  This Inner Loop Header: Depth=2
	s_lshr_b32 s22, s21, 2
	v_lshl_or_b32 v55, s21, 1, v31
	s_lshl_b32 s21, s21, 3
	s_add_co_i32 s22, s22, 0x8200
	v_dual_add_nc_u32 v114, s21, v108 :: v_dual_add_nc_u32 v115, s21, v109
	v_dual_add_nc_u32 v116, s21, v110 :: v_dual_add_nc_u32 v117, s21, v111
	v_add3_u32 v122, s22, v112, v101
	v_add3_u32 v118, s22, v113, v102
	;; [unrolled: 1-line block ×4, first 2 shown]
	v_dual_lshlrev_b32 v126, 2, v55 :: v_dual_lshrrev_b32 v55, 1, v55
	ds_load_2addr_b32 v[74:75], v114 offset1:1
	ds_load_2addr_b32 v[70:71], v114 offset0:2 offset1:3
	ds_load_2addr_b32 v[66:67], v114 offset0:4 offset1:5
	;; [unrolled: 1-line block ×4, first 2 shown]
	ds_load_2addr_b32 v[78:79], v115 offset1:1
	ds_load_2addr_b32 v[72:73], v115 offset0:2 offset1:3
	ds_load_2addr_b32 v[68:69], v115 offset0:4 offset1:5
	;; [unrolled: 1-line block ×9, first 2 shown]
	ds_load_2addr_b32 v[138:139], v117 offset1:1
	ds_load_2addr_b32 v[140:141], v117 offset0:2 offset1:3
	ds_load_2addr_b32 v[142:143], v117 offset0:4 offset1:5
	;; [unrolled: 1-line block ×7, first 2 shown]
	ds_load_2addr_b32 v[154:155], v116 offset1:1
	ds_load_2addr_b32 v[156:157], v115 offset0:14 offset1:15
	ds_load_2addr_b32 v[158:159], v115 offset0:8 offset1:9
	ds_load_2addr_b32 v[160:161], v115 offset0:10 offset1:11
	ds_load_2addr_b32 v[162:163], v115 offset0:12 offset1:13
	ds_load_2addr_b32 v[164:165], v115 offset0:6 offset1:7
	ds_load_2addr_b32 v[166:167], v114 offset0:10 offset1:11
	ds_load_2addr_b32 v[168:169], v114 offset0:12 offset1:13
	ds_load_2addr_b32 v[170:171], v114 offset0:14 offset1:15
	ds_load_u16 v174, v118
	ds_load_u16 v175, v118 offset:8
	ds_load_u16 v176, v120
	ds_load_u16 v177, v120 offset:8
	ds_load_u16 v178, v119 offset:8
	ds_load_u16 v179, v119
	ds_load_b128 v[114:117], v126 offset:35392
	ds_load_b128 v[118:121], v126 offset:35408
	ds_load_b64 v[172:173], v55 offset:36944
	ds_load_u16 v55, v122
	ds_load_u16 v180, v122 offset:8
	ds_load_b128 v[122:125], v126 offset:35424
	ds_load_b128 v[126:129], v126 offset:35440
	s_wait_dscnt 0x1b
	v_perm_b32 v189, v143, v142, 0xc0c0602
	s_wait_dscnt 0x1a
	v_perm_b32 v190, v145, v144, 0x6020c0c
	v_perm_b32 v191, v143, v142, 0xc0c0400
	;; [unrolled: 1-line block ×9, first 2 shown]
	s_wait_dscnt 0x9
	v_cvt_f32_ubyte0_e32 v143, v177
	v_cvt_f32_ubyte1_e32 v145, v177
	v_perm_b32 v195, v146, v147, 0xc0c0501
	s_wait_dscnt 0x6
	v_dot4_i32_iu8 v177, v114, v74, 0 neg_lo:[1,1,0]
	v_dot4_i32_iu8 v78, v114, v78, 0 neg_lo:[1,1,0]
	;; [unrolled: 1-line block ×3, first 2 shown]
	v_perm_b32 v206, v114, v115, 0xc0c0501
	v_perm_b32 v208, v114, v115, 0xc0c0703
	s_wait_dscnt 0x1
	v_dot4_i32_iu8 v213, v122, v76, 0 neg_lo:[1,1,0]
	v_perm_b32 v210, v114, v115, 0xc0c0400
	v_perm_b32 v114, v114, v115, 0xc0c0602
	v_dual_lshrrev_b32 v221, 16, v172 :: v_dual_lshrrev_b32 v225, 16, v173
	v_dot4_i32_iu8 v177, v115, v75, v177 neg_lo:[1,1,0]
	v_dot4_i32_iu8 v78, v115, v79, v78 neg_lo:[1,1,0]
	v_dot4_i32_iu8 v79, v115, v155, v154 neg_lo:[1,1,0]
	v_dot4_i32_iu8 v115, v123, v77, v213 neg_lo:[1,1,0]
	v_perm_b32 v196, v146, v147, 0xc0c0703
	v_perm_b32 v197, v146, v147, 0xc0c0400
	;; [unrolled: 1-line block ×7, first 2 shown]
	v_dot4_i32_iu8 v158, v122, v158, 0 neg_lo:[1,1,0]
	v_dot4_i32_iu8 v132, v122, v132, 0 neg_lo:[1,1,0]
	v_perm_b32 v214, v122, v123, 0xc0c0501
	v_perm_b32 v216, v122, v123, 0xc0c0703
	;; [unrolled: 1-line block ×5, first 2 shown]
	v_cvt_f32_f16_e64 v75, v221
	v_dot4_i32_iu8 v78, v116, v72, v78 neg_lo:[1,1,0]
	v_dot4_i32_iu8 v79, v116, v130, v79 neg_lo:[1,1,0]
	;; [unrolled: 1-line block ×3, first 2 shown]
	v_perm_b32 v181, v138, v139, 0xc0c0501
	v_perm_b32 v182, v141, v140, 0x5010c0c
	;; [unrolled: 1-line block ×6, first 2 shown]
	v_cvt_f32_ubyte0_e32 v139, v175
	v_perm_b32 v207, v117, v116, 0x5010c0c
	v_perm_b32 v209, v117, v116, 0x7030c0c
	;; [unrolled: 1-line block ×3, first 2 shown]
	v_cvt_f32_ubyte0_e32 v138, v180
	v_or_b32_e32 v186, v188, v186
	v_or_b32_e32 v146, v148, v146
	v_dot4_i32_iu8 v154, v123, v159, v158 neg_lo:[1,1,0]
	v_dot4_i32_iu8 v123, v123, v133, v132 neg_lo:[1,1,0]
	v_cvt_f32_f16_e64 v77, v225
	v_or_b32_e32 v122, v220, v122
	v_dot4_i32_iu8 v177, v116, v70, v177 neg_lo:[1,1,0]
	v_mov_b32_e32 v70, v75
	v_dot4_i32_iu8 v73, v117, v73, v78 neg_lo:[1,1,0]
	v_dot4_i32_iu8 v78, v117, v131, v79 neg_lo:[1,1,0]
	v_dot4_i32_iu8 v79, v125, v167, v115 neg_lo:[1,1,0]
	v_cvt_f32_ubyte1_e32 v141, v175
	v_perm_b32 v212, v117, v116, 0x6020c0c
	v_perm_b32 v215, v125, v124, 0x5010c0c
	;; [unrolled: 1-line block ×3, first 2 shown]
	v_cvt_f32_ubyte1_e32 v140, v180
	v_perm_b32 v180, v119, v118, 0xc0c0400
	v_perm_b32 v224, v121, v120, 0x4000c0c
	v_cvt_f32_f16_e64 v74, v172
	v_cvt_f32_f16_e64 v76, v173
	v_perm_b32 v172, v119, v118, 0xc0c0703
	v_perm_b32 v173, v121, v120, 0x7030c0c
	;; [unrolled: 1-line block ×4, first 2 shown]
	v_dual_mov_b32 v72, v77 :: v_dual_bitop2_b32 v188, v190, v189 bitop3:0x54
	v_or_b32_e32 v181, v182, v181
	v_or_b32_e32 v182, v184, v183
	;; [unrolled: 1-line block ×6, first 2 shown]
	v_dot4_i32_iu8 v116, v124, v160, v154 neg_lo:[1,1,0]
	v_dot4_i32_iu8 v123, v124, v134, v123 neg_lo:[1,1,0]
	;; [unrolled: 1-line block ×4, first 2 shown]
	v_pk_fma_f32 v[70:71], v[70:71], v[138:139], 0 op_sel_hi:[0,1,0]
	v_dot4_i32_iu8 v68, v118, v68, v73 neg_lo:[1,1,0]
	s_wait_dscnt 0x0
	v_dot4_i32_iu8 v73, v126, v168, v79 neg_lo:[1,1,0]
	v_perm_b32 v149, v151, v150, 0xc0c0602
	v_perm_b32 v200, v151, v150, 0xc0c0400
	;; [unrolled: 1-line block ×18, first 2 shown]
	v_or_b32_e32 v184, v193, v191
	v_or_b32_e32 v185, v194, v192
	;; [unrolled: 1-line block ×11, first 2 shown]
	v_dot4_i32_iu8 v124, v183, v133, 0 neg_lo:[1,1,0]
	v_dot4_i32_iu8 v130, v182, v159, 0 neg_lo:[1,1,0]
	v_dot4_i32_iu8 v133, v181, v158, 0 neg_lo:[1,1,0]
	v_dot4_i32_iu8 v115, v125, v161, v116 neg_lo:[1,1,0]
	v_dot4_i32_iu8 v116, v125, v135, v123 neg_lo:[1,1,0]
	v_dot4_i32_iu8 v66, v118, v66, v146 neg_lo:[1,1,0]
	v_pk_fma_f32 v[70:71], v[72:73], v[140:141], v[70:71] op_sel_hi:[0,1,1]
	v_dot4_i32_iu8 v72, v118, v82, v78 neg_lo:[1,1,0]
	v_perm_b32 v204, v137, v137, 0x7060100
	v_perm_b32 v228, v127, v126, 0xc0c0602
	;; [unrolled: 1-line block ×5, first 2 shown]
	v_or_b32_e32 v187, v199, v197
	v_or_b32_e32 v148, v151, v149
	v_or_b32_e32 v151, v203, v201
	v_or_b32_e32 v150, v152, v150
	v_or_b32_e32 v132, v223, v222
	v_or_b32_e32 v190, v219, v218
	v_or_b32_e32 v193, v233, v232
	v_or_b32_e32 v194, v235, v234
	v_dot4_i32_iu8 v114, v186, v114, 0 neg_lo:[1,1,0]
	v_dot4_i32_iu8 v134, v147, v189, 0 neg_lo:[1,1,0]
	;; [unrolled: 1-line block ×11, first 2 shown]
	v_or_b32_e32 v149, v202, v200
	v_or_b32_e32 v191, v229, v228
	;; [unrolled: 1-line block ×3, first 2 shown]
	v_dot4_i32_iu8 v147, v187, v190, 0 neg_lo:[1,1,0]
	v_dot4_i32_iu8 v114, v188, v132, v114 neg_lo:[1,1,0]
	;; [unrolled: 1-line block ×5, first 2 shown]
	v_add_nc_u32_e32 v82, v124, v123
	v_dot4_i32_iu8 v73, v127, v204, v78 neg_lo:[1,1,0]
	v_dot4_i32_iu8 v64, v120, v64, v66 neg_lo:[1,1,0]
	;; [unrolled: 1-line block ×5, first 2 shown]
	v_lshrrev_b16 v175, 8, v174
	v_lshrrev_b16 v205, 8, v179
	v_and_b32_e32 v179, 0xff, v179
	v_cvt_f32_ubyte0_e32 v83, v178
	v_cvt_f32_ubyte1_e32 v137, v178
	v_lshrrev_b16 v178, 8, v176
	v_and_b32_e32 v176, 0xff, v176
	v_dot4_i32_iu8 v122, v148, v191, v122 neg_lo:[1,1,0]
	v_dot4_i32_iu8 v125, v149, v192, v147 neg_lo:[1,1,0]
	v_add_nc_u32_e32 v115, v131, v130
	v_dot4_i32_iu8 v69, v127, v163, v79 neg_lo:[1,1,0]
	v_add3_u32 v78, v117, v114, v82
	v_dot4_i32_iu8 v72, v128, v84, v73 neg_lo:[1,1,0]
	v_dot4_i32_iu8 v68, v121, v81, v68 neg_lo:[1,1,0]
	v_and_b32_e32 v174, 0xff, v174
	v_lshrrev_b16 v236, 8, v55
	v_and_b32_e32 v55, 0xff, v55
	v_and_b32_e32 v152, 0xffff, v175
	;; [unrolled: 1-line block ×4, first 2 shown]
	v_add3_u32 v79, v125, v122, v115
	v_dot4_i32_iu8 v69, v128, v156, v69 neg_lo:[1,1,0]
	v_mul_lo_u32 v73, v78, v176
	v_dot4_i32_iu8 v66, v121, v165, v66 neg_lo:[1,1,0]
	v_dot4_i32_iu8 v64, v121, v65, v64 neg_lo:[1,1,0]
	;; [unrolled: 1-line block ×4, first 2 shown]
	v_mul_lo_u32 v68, v68, v179
	v_and_b32_e32 v195, 0xffff, v236
	v_mul_lo_u32 v78, v79, v178
	v_dot4_i32_iu8 v69, v129, v153, v69 neg_lo:[1,1,0]
	v_mul_lo_u32 v66, v66, v174
	v_mul_lo_u32 v55, v64, v55
	;; [unrolled: 1-line block ×5, first 2 shown]
	v_cvt_f32_i32_e32 v142, v73
	v_pk_mul_f32 v[70:71], v[70:71], v[60:61]
	v_cvt_f32_i32_e32 v82, v68
	s_mov_b32 s21, 8
	v_cvt_f32_i32_e32 v144, v78
	v_pk_fma_f32 v[64:65], v[142:143], v[74:75], 0 op_sel_hi:[1,1,0]
	v_cvt_f32_i32_e32 v67, v66
	v_cvt_f32_i32_e32 v66, v55
	;; [unrolled: 1-line block ×3, first 2 shown]
	v_pk_fma_f32 v[68:69], v[82:83], v[74:75], 0 op_sel_hi:[1,1,0]
	v_cvt_f32_i32_e32 v73, v80
	v_cvt_f32_i32_e32 v72, v79
	v_pk_fma_f32 v[64:65], v[144:145], v[76:77], v[64:65]
	v_pk_fma_f32 v[66:67], v[74:75], v[66:67], 0 op_sel_hi:[0,1,0]
	v_pk_fma_f32 v[68:69], v[136:137], v[76:77], v[68:69]
	s_and_b32 vcc_lo, exec_lo, s20
	s_mov_b32 s20, 0
	v_pk_mul_f32 v[64:65], v[64:65], v[62:63]
	v_pk_fma_f32 v[66:67], v[76:77], v[72:73], v[66:67] op_sel_hi:[0,1,1]
	v_pk_mul_f32 v[68:69], v[68:69], v[58:59]
	s_delay_alu instid0(VALU_DEP_3) | instskip(NEXT) | instid1(VALU_DEP_3)
	v_sub_f32_e32 v55, v64, v65
	v_pk_fma_f32 v[64:65], v[66:67], v[56:57], v[70:71] neg_lo:[0,0,1] neg_hi:[0,0,1]
	s_delay_alu instid0(VALU_DEP_2) | instskip(NEXT) | instid1(VALU_DEP_2)
	v_dual_sub_f32 v66, v68, v69 :: v_dual_add_f32 v90, v90, v55
	v_pk_add_f32 v[8:9], v[8:9], v[64:65]
	s_delay_alu instid0(VALU_DEP_2)
	v_add_f32_e32 v94, v94, v66
	s_cbranch_vccnz .LBB234_11
; %bb.12:                               ;   in Loop: Header=BB234_5 Depth=1
	s_bitset1_b32 s18, 7
	s_delay_alu instid0(SALU_CYCLE_1)
	s_cmp_ge_i32 s18, s5
	s_barrier_signal -1
	s_barrier_wait -1
	s_cbranch_scc1 .LBB234_4
; %bb.13:                               ;   in Loop: Header=BB234_5 Depth=1
	v_add_nc_u32_e32 v55, s19, v89
	s_delay_alu instid0(VALU_DEP_1) | instskip(SKIP_1) | instid1(SALU_CYCLE_1)
	v_cmp_gt_i32_e32 vcc_lo, s6, v55
	s_and_b32 s19, s1, vcc_lo
	s_and_saveexec_b32 s18, s19
	s_cbranch_execz .LBB234_15
; %bb.14:                               ;   in Loop: Header=BB234_5 Depth=1
	v_add_nc_u32_e32 v55, v0, v55
	s_delay_alu instid0(VALU_DEP_1)
	v_mad_nc_i64_i32 v[56:57], v55, 36, v[52:53]
	global_load_b32 v55, v[56:57], off offset:4
	s_wait_loadcnt 0x0
	ds_store_b32 v88, v55
.LBB234_15:                             ;   in Loop: Header=BB234_5 Depth=1
	s_or_b32 exec_lo, exec_lo, s18
	s_and_saveexec_b32 s18, s0
	s_cbranch_execz .LBB234_18
; %bb.16:                               ;   in Loop: Header=BB234_5 Depth=1
	v_or_b32_e32 v55, 4, v54
	s_delay_alu instid0(VALU_DEP_1) | instskip(SKIP_1) | instid1(SALU_CYCLE_1)
	v_cmp_gt_i32_e32 vcc_lo, s6, v55
	s_and_b32 s19, s1, vcc_lo
	s_and_b32 exec_lo, exec_lo, s19
	s_cbranch_execz .LBB234_18
; %bb.17:                               ;   in Loop: Header=BB234_5 Depth=1
	v_ashrrev_i32_e32 v55, 31, v54
	s_delay_alu instid0(VALU_DEP_1) | instskip(NEXT) | instid1(VALU_DEP_1)
	v_add_nc_u64_e32 v[54:55], v[0:1], v[54:55]
	v_mad_nc_u64_u32 v[56:57], v54, 36, s[10:11]
	s_delay_alu instid0(VALU_DEP_1)
	v_mad_i32_i24 v57, v55, 36, v57
	global_load_b32 v54, v[56:57], off offset:144
	s_wait_loadcnt 0x0
	ds_store_b32 v93, v54
.LBB234_18:                             ;   in Loop: Header=BB234_5 Depth=1
	s_or_b32 exec_lo, exec_lo, s18
	s_wait_dscnt 0x0
	s_barrier_signal -1
	s_barrier_wait -1
	ds_load_b32 v54, v97 offset:128
	ds_load_b32 v56, v96
	ds_load_b32 v57, v98 offset:256
	ds_load_b32 v60, v99 offset:384
	s_mov_b32 s18, 16
	s_wait_dscnt 0x2
	v_dual_lshrrev_b32 v58, 16, v54 :: v_dual_lshrrev_b32 v61, 16, v56
	s_wait_dscnt 0x0
	v_dual_lshrrev_b32 v62, 16, v57 :: v_dual_lshrrev_b32 v63, 16, v60
	v_cvt_f32_f16_e32 v55, v54
	v_cvt_f32_f16_e32 v54, v56
	;; [unrolled: 1-line block ×8, first 2 shown]
.LBB234_19:                             ;   Parent Loop BB234_5 Depth=1
                                        ; =>  This Inner Loop Header: Depth=2
	s_lshl_b32 s20, s18, 1
	s_lshr_b32 s19, s18, 2
	s_lshl_b32 s21, s18, 3
	v_and_or_b32 v62, s20, 16, v31
	s_and_b32 s19, s19, 0x3ffffffe
	v_dual_add_nc_u32 v63, s21, v108 :: v_dual_add_nc_u32 v64, s21, v109
	s_add_co_i32 s19, s19, 0x8200
	v_dual_add_nc_u32 v65, s21, v110 :: v_dual_add_nc_u32 v66, s21, v111
	v_add3_u32 v67, s19, v112, v101
	v_add3_u32 v68, s19, v113, v102
	v_add3_u32 v69, s19, v103, v104
	v_add3_u32 v70, s19, v105, v106
	v_dual_lshlrev_b32 v74, 2, v62 :: v_dual_lshrrev_b32 v170, 1, v62
	ds_load_2addr_b32 v[78:79], v63 offset1:1
	ds_load_2addr_b32 v[80:81], v63 offset0:2 offset1:3
	ds_load_2addr_b32 v[82:83], v63 offset0:4 offset1:5
	ds_load_2addr_b32 v[84:85], v63 offset0:6 offset1:7
	ds_load_2addr_b32 v[114:115], v63 offset0:8 offset1:9
	ds_load_2addr_b32 v[116:117], v63 offset0:14 offset1:15
	ds_load_2addr_b32 v[118:119], v64 offset1:1
	ds_load_2addr_b32 v[120:121], v64 offset0:2 offset1:3
	ds_load_2addr_b32 v[122:123], v64 offset0:4 offset1:5
	ds_load_2addr_b32 v[124:125], v64 offset0:6 offset1:7
	ds_load_2addr_b32 v[126:127], v64 offset0:8 offset1:9
	ds_load_2addr_b32 v[128:129], v64 offset0:10 offset1:11
	ds_load_2addr_b32 v[130:131], v64 offset0:12 offset1:13
	ds_load_2addr_b32 v[132:133], v64 offset0:14 offset1:15
	ds_load_2addr_b32 v[134:135], v65 offset1:1
	ds_load_2addr_b32 v[136:137], v65 offset0:2 offset1:3
	ds_load_2addr_b32 v[138:139], v65 offset0:4 offset1:5
	;; [unrolled: 8-line block ×3, first 2 shown]
	ds_load_2addr_b32 v[156:157], v66 offset0:6 offset1:7
	ds_load_2addr_b32 v[158:159], v66 offset0:8 offset1:9
	;; [unrolled: 1-line block ×7, first 2 shown]
	ds_load_u16 v172, v68
	ds_load_u16 v173, v68 offset:8
	ds_load_u16 v174, v69
	ds_load_u16 v175, v69 offset:8
	;; [unrolled: 2-line block ×4, first 2 shown]
	ds_load_b128 v[62:65], v74 offset:35392
	ds_load_b128 v[66:69], v74 offset:35408
	;; [unrolled: 1-line block ×4, first 2 shown]
	ds_load_b64 v[170:171], v170 offset:36944
	s_wait_dscnt 0x1f
	v_perm_b32 v180, v133, v133, 0x7060100
	v_perm_b32 v181, v117, v117, 0x7060100
	s_wait_dscnt 0x1c
	v_perm_b32 v182, v139, v139, 0x7060100
	s_wait_dscnt 0x18
	v_perm_b32 v183, v147, v147, 0x7060100
	s_wait_dscnt 0x16
	v_perm_b32 v184, v150, v151, 0xc0c0501
	s_wait_dscnt 0x15
	v_perm_b32 v185, v153, v152, 0x5010c0c
	v_perm_b32 v186, v150, v151, 0xc0c0703
	v_perm_b32 v187, v153, v152, 0x7030c0c
	v_perm_b32 v188, v150, v151, 0xc0c0400
	v_perm_b32 v189, v153, v152, 0x4000c0c
	v_perm_b32 v190, v150, v151, 0xc0c0602
	v_perm_b32 v191, v153, v152, 0x6020c0c
	s_wait_dscnt 0x14
	v_perm_b32 v192, v155, v154, 0xc0c0602
	s_wait_dscnt 0x13
	v_perm_b32 v193, v157, v156, 0x6020c0c
	v_perm_b32 v194, v155, v154, 0xc0c0400
	v_perm_b32 v195, v157, v156, 0x4000c0c
	v_perm_b32 v196, v155, v154, 0xc0c0703
	v_perm_b32 v197, v157, v156, 0x7030c0c
	v_perm_b32 v154, v155, v154, 0xc0c0501
	v_perm_b32 v155, v157, v156, 0x5010c0c
	s_wait_dscnt 0x12
	v_perm_b32 v156, v158, v159, 0xc0c0501
	s_wait_dscnt 0x11
	;; [unrolled: 10-line block ×3, first 2 shown]
	v_perm_b32 v161, v165, v164, 0x6020c0c
	v_perm_b32 v202, v163, v162, 0xc0c0400
	;; [unrolled: 1-line block ×7, first 2 shown]
	s_wait_dscnt 0xc
	v_lshrrev_b16 v164, 8, v172
	v_and_b32_e32 v165, 0xff, v172
	s_wait_dscnt 0xb
	v_cvt_f32_ubyte0_e32 v151, v173
	v_cvt_f32_ubyte1_e32 v153, v173
	s_wait_dscnt 0xa
	v_lshrrev_b16 v172, 8, v174
	v_and_b32_e32 v173, 0xff, v174
	s_wait_dscnt 0x9
	v_cvt_f32_ubyte0_e32 v117, v175
	v_cvt_f32_ubyte1_e32 v133, v175
	;; [unrolled: 6-line block ×4, first 2 shown]
	s_wait_dscnt 0x4
	v_dot4_i32_iu8 v178, v62, v78, 0 neg_lo:[1,1,0]
	v_dot4_i32_iu8 v118, v62, v118, 0 neg_lo:[1,1,0]
	s_wait_dscnt 0x2
	v_dot4_i32_iu8 v179, v70, v114, 0 neg_lo:[1,1,0]
	s_wait_dscnt 0x0
	v_cvt_f32_f16_e64 v78, v170
	v_lshrrev_b32_e32 v170, 16, v170
	v_cvt_f32_f16_e64 v114, v171
	v_lshrrev_b32_e32 v171, 16, v171
	v_dot4_i32_iu8 v134, v62, v134, 0 neg_lo:[1,1,0]
	v_dot4_i32_iu8 v126, v70, v126, 0 neg_lo:[1,1,0]
	;; [unrolled: 1-line block ×3, first 2 shown]
	v_or_b32_e32 v186, v187, v186
	v_perm_b32 v187, v62, v63, 0xc0c0703
	v_dot4_i32_iu8 v178, v63, v79, v178 neg_lo:[1,1,0]
	v_dot4_i32_iu8 v118, v63, v119, v118 neg_lo:[1,1,0]
	;; [unrolled: 1-line block ×3, first 2 shown]
	v_cvt_f32_f16_e64 v79, v170
	v_or_b32_e32 v184, v185, v184
	v_perm_b32 v185, v62, v63, 0xc0c0501
	v_cvt_f32_f16_e64 v115, v171
	v_or_b32_e32 v188, v189, v188
	v_perm_b32 v189, v62, v63, 0xc0c0400
	v_perm_b32 v62, v62, v63, 0xc0c0602
	v_dot4_i32_iu8 v63, v63, v135, v134 neg_lo:[1,1,0]
	v_perm_b32 v206, v65, v64, 0x5010c0c
	v_perm_b32 v207, v65, v64, 0x7030c0c
	;; [unrolled: 1-line block ×3, first 2 shown]
	v_or_b32_e32 v190, v191, v190
	v_perm_b32 v191, v65, v64, 0x6020c0c
	v_or_b32_e32 v156, v157, v156
	v_perm_b32 v157, v70, v71, 0xc0c0501
	v_perm_b32 v213, v73, v72, 0x5010c0c
	v_or_b32_e32 v198, v199, v198
	v_perm_b32 v199, v70, v71, 0xc0c0703
	;; [unrolled: 3-line block ×3, first 2 shown]
	v_perm_b32 v70, v70, v71, 0xc0c0602
	v_dot4_i32_iu8 v126, v71, v127, v126 neg_lo:[1,1,0]
	v_dot4_i32_iu8 v71, v71, v143, v142 neg_lo:[1,1,0]
	;; [unrolled: 1-line block ×5, first 2 shown]
	v_or_b32_e32 v192, v193, v192
	v_perm_b32 v193, v67, v66, 0xc0c0602
	v_perm_b32 v209, v69, v68, 0x6020c0c
	v_or_b32_e32 v194, v195, v194
	v_perm_b32 v195, v67, v66, 0xc0c0400
	v_perm_b32 v210, v69, v68, 0x4000c0c
	;; [unrolled: 3-line block ×4, first 2 shown]
	v_perm_b32 v215, v73, v72, 0x4000c0c
	v_or_b32_e32 v158, v159, v158
	v_perm_b32 v159, v73, v72, 0x6020c0c
	v_or_b32_e32 v204, v205, v204
	v_perm_b32 v205, v75, v74, 0xc0c0703
	v_perm_b32 v218, v77, v76, 0x7030c0c
	v_or_b32_e32 v162, v163, v162
	v_perm_b32 v163, v75, v74, 0xc0c0501
	v_perm_b32 v219, v77, v76, 0x5010c0c
	v_or_b32_e32 v127, v206, v185
	v_or_b32_e32 v134, v207, v187
	;; [unrolled: 1-line block ×6, first 2 shown]
	v_dot4_i32_iu8 v71, v72, v144, v71 neg_lo:[1,1,0]
	v_dot4_i32_iu8 v64, v65, v137, v64 neg_lo:[1,1,0]
	v_or_b32_e32 v160, v161, v160
	v_perm_b32 v161, v75, v74, 0xc0c0602
	v_perm_b32 v216, v77, v76, 0x6020c0c
	v_or_b32_e32 v202, v203, v202
	v_perm_b32 v203, v75, v74, 0xc0c0400
	v_perm_b32 v217, v77, v76, 0x4000c0c
	v_or_b32_e32 v143, v209, v193
	v_or_b32_e32 v170, v210, v195
	;; [unrolled: 1-line block ×8, first 2 shown]
	v_dot4_i32_iu8 v119, v72, v166, v119 neg_lo:[1,1,0]
	v_dot4_i32_iu8 v120, v72, v128, v126 neg_lo:[1,1,0]
	v_dual_mov_b32 v62, v79 :: v_dual_mov_b32 v70, v115
	v_dot4_i32_iu8 v72, v184, v127, 0 neg_lo:[1,1,0]
	v_dot4_i32_iu8 v126, v186, v134, 0 neg_lo:[1,1,0]
	;; [unrolled: 1-line block ×10, first 2 shown]
	v_or_b32_e32 v161, v216, v161
	v_or_b32_e32 v187, v217, v203
	v_dot4_i32_iu8 v136, v200, v185, 0 neg_lo:[1,1,0]
	v_dot4_i32_iu8 v142, v158, v159, 0 neg_lo:[1,1,0]
	;; [unrolled: 1-line block ×4, first 2 shown]
	v_pk_fma_f32 v[62:63], v[62:63], v[150:151], 0 op_sel_hi:[0,1,0]
	v_dot4_i32_iu8 v71, v192, v143, v128 neg_lo:[1,1,0]
	v_dot4_i32_iu8 v73, v194, v170, v127 neg_lo:[1,1,0]
	;; [unrolled: 1-line block ×14, first 2 shown]
	v_pk_fma_f32 v[62:63], v[70:71], v[152:153], v[62:63] op_sel_hi:[0,1,1]
	v_add_nc_u32_e32 v66, v72, v120
	v_add_nc_u32_e32 v70, v128, v127
	v_dot4_i32_iu8 v72, v67, v83, v80 neg_lo:[1,1,0]
	v_dot4_i32_iu8 v74, v67, v123, v81 neg_lo:[1,1,0]
	;; [unrolled: 1-line block ×6, first 2 shown]
	v_add3_u32 v66, v73, v71, v66
	v_add3_u32 v67, v126, v121, v70
	v_dot4_i32_iu8 v70, v68, v84, v72 neg_lo:[1,1,0]
	v_dot4_i32_iu8 v71, v68, v124, v74 neg_lo:[1,1,0]
	;; [unrolled: 1-line block ×4, first 2 shown]
	v_and_b32_e32 v172, 0xffff, v172
	v_and_b32_e32 v174, 0xffff, v174
	v_dot4_i32_iu8 v72, v76, v116, v80 neg_lo:[1,1,0]
	v_dot4_i32_iu8 v68, v76, v132, v81 neg_lo:[1,1,0]
	v_mul_lo_u32 v66, v66, v175
	v_dot4_i32_iu8 v71, v69, v125, v71 neg_lo:[1,1,0]
	v_dot4_i32_iu8 v69, v69, v85, v70 neg_lo:[1,1,0]
	;; [unrolled: 1-line block ×3, first 2 shown]
	v_mul_lo_u32 v64, v64, v173
	v_and_b32_e32 v164, 0xffff, v164
	v_and_b32_e32 v176, 0xffff, v176
	v_mul_lo_u32 v67, v67, v174
	v_dot4_i32_iu8 v70, v77, v181, v72 neg_lo:[1,1,0]
	v_dot4_i32_iu8 v68, v77, v180, v68 neg_lo:[1,1,0]
	v_mul_lo_u32 v71, v71, v165
	v_mul_lo_u32 v69, v69, v177
	;; [unrolled: 1-line block ×5, first 2 shown]
	v_cvt_f32_i32_e32 v138, v66
	v_cvt_f32_i32_e32 v116, v64
	v_pk_mul_f32 v[62:63], v[62:63], v[58:59]
	v_cvt_f32_i32_e32 v146, v67
	s_add_co_i32 s19, s18, 8
	v_pk_fma_f32 v[64:65], v[138:139], v[78:79], 0 op_sel_hi:[1,1,0]
	v_cvt_f32_i32_e32 v67, v71
	v_cvt_f32_i32_e32 v66, v69
	;; [unrolled: 1-line block ×3, first 2 shown]
	v_pk_fma_f32 v[68:69], v[116:117], v[78:79], 0 op_sel_hi:[1,1,0]
	v_cvt_f32_i32_e32 v71, v73
	v_cvt_f32_i32_e32 v70, v70
	v_pk_fma_f32 v[64:65], v[146:147], v[114:115], v[64:65]
	v_pk_fma_f32 v[66:67], v[78:79], v[66:67], 0 op_sel_hi:[0,1,0]
	v_pk_fma_f32 v[68:69], v[132:133], v[114:115], v[68:69]
	s_cmp_lt_u32 s18, 24
	s_mov_b32 s18, s19
	v_pk_mul_f32 v[64:65], v[64:65], v[60:61]
	v_pk_fma_f32 v[66:67], v[114:115], v[70:71], v[66:67] op_sel_hi:[0,1,1]
	v_pk_mul_f32 v[68:69], v[68:69], v[56:57]
	s_delay_alu instid0(VALU_DEP_3) | instskip(NEXT) | instid1(VALU_DEP_3)
	v_sub_f32_e32 v64, v64, v65
	v_pk_fma_f32 v[62:63], v[66:67], v[54:55], v[62:63] neg_lo:[0,0,1] neg_hi:[0,0,1]
	s_delay_alu instid0(VALU_DEP_2) | instskip(NEXT) | instid1(VALU_DEP_2)
	v_dual_sub_f32 v65, v68, v69 :: v_dual_add_f32 v90, v90, v64
	v_pk_add_f32 v[8:9], v[8:9], v[62:63]
	s_delay_alu instid0(VALU_DEP_2)
	v_add_f32_e32 v94, v94, v65
	s_cbranch_scc1 .LBB234_19
; %bb.20:                               ;   in Loop: Header=BB234_5 Depth=1
	s_barrier_signal -1
	s_barrier_wait -1
	s_branch .LBB234_4
.LBB234_21:
	s_mul_i32 s0, s14, s7
	s_wait_loadcnt 0x0
	v_cmp_gt_i32_e32 vcc_lo, s0, v3
	s_and_saveexec_b32 s0, vcc_lo
	s_cbranch_execz .LBB234_30
; %bb.22:
	v_mul_lo_u32 v0, v3, s13
	v_add_nc_u32_e32 v1, s15, v15
	s_mov_b32 s0, exec_lo
	s_delay_alu instid0(VALU_DEP_1)
	v_cmpx_gt_u32_e64 s13, v1
	s_cbranch_execz .LBB234_24
; %bb.23:
	v_bfe_u32 v2, v8, 16, 1
	v_cmp_o_f32_e32 vcc_lo, v8, v8
	v_add_nc_u32_e32 v3, v0, v1
	s_delay_alu instid0(VALU_DEP_3) | instskip(NEXT) | instid1(VALU_DEP_1)
	v_add3_u32 v2, v8, v2, 0x7fff
	v_lshrrev_b32_e32 v2, 16, v2
	s_delay_alu instid0(VALU_DEP_1)
	v_cndmask_b32_e32 v2, 0x7fc0, v2, vcc_lo
	global_store_b16 v3, v2, s[16:17] scale_offset
.LBB234_24:
	s_wait_xcnt 0x0
	s_or_b32 exec_lo, exec_lo, s0
	v_add_nc_u32_e32 v2, 32, v1
	s_mov_b32 s0, exec_lo
	s_delay_alu instid0(VALU_DEP_1)
	v_cmpx_gt_u32_e64 s13, v2
	s_cbranch_execz .LBB234_26
; %bb.25:
	v_bfe_u32 v3, v9, 16, 1
	v_cmp_o_f32_e32 vcc_lo, v9, v9
	v_add_nc_u32_e32 v2, v0, v2
	s_delay_alu instid0(VALU_DEP_3) | instskip(NEXT) | instid1(VALU_DEP_1)
	v_add3_u32 v3, v9, v3, 0x7fff
	v_lshrrev_b32_e32 v3, 16, v3
	s_delay_alu instid0(VALU_DEP_1)
	v_cndmask_b32_e32 v3, 0x7fc0, v3, vcc_lo
	global_store_b16 v2, v3, s[16:17] scale_offset
.LBB234_26:
	s_wait_xcnt 0x0
	s_or_b32 exec_lo, exec_lo, s0
	v_add_nc_u32_e32 v2, 64, v1
	s_mov_b32 s0, exec_lo
	s_delay_alu instid0(VALU_DEP_1)
	v_cmpx_gt_u32_e64 s13, v2
	s_cbranch_execz .LBB234_28
; %bb.27:
	v_bfe_u32 v3, v94, 16, 1
	v_cmp_o_f32_e32 vcc_lo, v94, v94
	v_add_nc_u32_e32 v2, v0, v2
	s_delay_alu instid0(VALU_DEP_3) | instskip(NEXT) | instid1(VALU_DEP_1)
	v_add3_u32 v3, v94, v3, 0x7fff
	v_lshrrev_b32_e32 v3, 16, v3
	s_delay_alu instid0(VALU_DEP_1)
	v_cndmask_b32_e32 v3, 0x7fc0, v3, vcc_lo
	global_store_b16 v2, v3, s[16:17] scale_offset
.LBB234_28:
	s_wait_xcnt 0x0
	s_or_b32 exec_lo, exec_lo, s0
	v_add_nc_u32_e32 v1, 0x60, v1
	s_delay_alu instid0(VALU_DEP_1)
	v_cmp_gt_u32_e32 vcc_lo, s13, v1
	s_and_b32 exec_lo, exec_lo, vcc_lo
	s_cbranch_execz .LBB234_30
; %bb.29:
	v_bfe_u32 v2, v90, 16, 1
	v_cmp_o_f32_e32 vcc_lo, v90, v90
	v_add_nc_u32_e32 v0, v0, v1
	s_delay_alu instid0(VALU_DEP_3) | instskip(NEXT) | instid1(VALU_DEP_1)
	v_add3_u32 v2, v90, v2, 0x7fff
	v_lshrrev_b32_e32 v2, 16, v2
	s_delay_alu instid0(VALU_DEP_1)
	v_cndmask_b32_e32 v2, 0x7fc0, v2, vcc_lo
	global_store_b16 v0, v2, s[16:17] scale_offset
.LBB234_30:
	s_sendmsg sendmsg(MSG_DEALLOC_VGPRS)
	s_endpgm
	.section	.rodata,"a",@progbits
	.p2align	6, 0x0
	.amdhsa_kernel _ZL8moe_q5_KIN3c108BFloat16ELb1EEvPKvS3_PT_PKiS7_S7_iiiiiii
		.amdhsa_group_segment_fixed_size 37072
		.amdhsa_private_segment_fixed_size 0
		.amdhsa_kernarg_size 76
		.amdhsa_user_sgpr_count 2
		.amdhsa_user_sgpr_dispatch_ptr 0
		.amdhsa_user_sgpr_queue_ptr 0
		.amdhsa_user_sgpr_kernarg_segment_ptr 1
		.amdhsa_user_sgpr_dispatch_id 0
		.amdhsa_user_sgpr_kernarg_preload_length 0
		.amdhsa_user_sgpr_kernarg_preload_offset 0
		.amdhsa_user_sgpr_private_segment_size 0
		.amdhsa_wavefront_size32 1
		.amdhsa_uses_dynamic_stack 0
		.amdhsa_enable_private_segment 0
		.amdhsa_system_sgpr_workgroup_id_x 1
		.amdhsa_system_sgpr_workgroup_id_y 1
		.amdhsa_system_sgpr_workgroup_id_z 0
		.amdhsa_system_sgpr_workgroup_info 0
		.amdhsa_system_vgpr_workitem_id 1
		.amdhsa_next_free_vgpr 237
		.amdhsa_next_free_sgpr 23
		.amdhsa_named_barrier_count 0
		.amdhsa_reserve_vcc 1
		.amdhsa_float_round_mode_32 0
		.amdhsa_float_round_mode_16_64 0
		.amdhsa_float_denorm_mode_32 3
		.amdhsa_float_denorm_mode_16_64 3
		.amdhsa_fp16_overflow 0
		.amdhsa_memory_ordered 1
		.amdhsa_forward_progress 1
		.amdhsa_inst_pref_size 78
		.amdhsa_round_robin_scheduling 0
		.amdhsa_exception_fp_ieee_invalid_op 0
		.amdhsa_exception_fp_denorm_src 0
		.amdhsa_exception_fp_ieee_div_zero 0
		.amdhsa_exception_fp_ieee_overflow 0
		.amdhsa_exception_fp_ieee_underflow 0
		.amdhsa_exception_fp_ieee_inexact 0
		.amdhsa_exception_int_div_zero 0
	.end_amdhsa_kernel
	.section	.text._ZL8moe_q5_KIN3c108BFloat16ELb1EEvPKvS3_PT_PKiS7_S7_iiiiiii,"axG",@progbits,_ZL8moe_q5_KIN3c108BFloat16ELb1EEvPKvS3_PT_PKiS7_S7_iiiiiii,comdat
.Lfunc_end234:
	.size	_ZL8moe_q5_KIN3c108BFloat16ELb1EEvPKvS3_PT_PKiS7_S7_iiiiiii, .Lfunc_end234-_ZL8moe_q5_KIN3c108BFloat16ELb1EEvPKvS3_PT_PKiS7_S7_iiiiiii
                                        ; -- End function
	.set _ZL8moe_q5_KIN3c108BFloat16ELb1EEvPKvS3_PT_PKiS7_S7_iiiiiii.num_vgpr, 237
	.set _ZL8moe_q5_KIN3c108BFloat16ELb1EEvPKvS3_PT_PKiS7_S7_iiiiiii.num_agpr, 0
	.set _ZL8moe_q5_KIN3c108BFloat16ELb1EEvPKvS3_PT_PKiS7_S7_iiiiiii.numbered_sgpr, 23
	.set _ZL8moe_q5_KIN3c108BFloat16ELb1EEvPKvS3_PT_PKiS7_S7_iiiiiii.num_named_barrier, 0
	.set _ZL8moe_q5_KIN3c108BFloat16ELb1EEvPKvS3_PT_PKiS7_S7_iiiiiii.private_seg_size, 0
	.set _ZL8moe_q5_KIN3c108BFloat16ELb1EEvPKvS3_PT_PKiS7_S7_iiiiiii.uses_vcc, 1
	.set _ZL8moe_q5_KIN3c108BFloat16ELb1EEvPKvS3_PT_PKiS7_S7_iiiiiii.uses_flat_scratch, 0
	.set _ZL8moe_q5_KIN3c108BFloat16ELb1EEvPKvS3_PT_PKiS7_S7_iiiiiii.has_dyn_sized_stack, 0
	.set _ZL8moe_q5_KIN3c108BFloat16ELb1EEvPKvS3_PT_PKiS7_S7_iiiiiii.has_recursion, 0
	.set _ZL8moe_q5_KIN3c108BFloat16ELb1EEvPKvS3_PT_PKiS7_S7_iiiiiii.has_indirect_call, 0
	.section	.AMDGPU.csdata,"",@progbits
; Kernel info:
; codeLenInByte = 9924
; TotalNumSgprs: 25
; NumVgprs: 237
; ScratchSize: 0
; MemoryBound: 0
; FloatMode: 240
; IeeeMode: 1
; LDSByteSize: 37072 bytes/workgroup (compile time only)
; SGPRBlocks: 0
; VGPRBlocks: 14
; NumSGPRsForWavesPerEU: 25
; NumVGPRsForWavesPerEU: 237
; NamedBarCnt: 0
; Occupancy: 4
; WaveLimiterHint : 1
; COMPUTE_PGM_RSRC2:SCRATCH_EN: 0
; COMPUTE_PGM_RSRC2:USER_SGPR: 2
; COMPUTE_PGM_RSRC2:TRAP_HANDLER: 0
; COMPUTE_PGM_RSRC2:TGID_X_EN: 1
; COMPUTE_PGM_RSRC2:TGID_Y_EN: 1
; COMPUTE_PGM_RSRC2:TGID_Z_EN: 0
; COMPUTE_PGM_RSRC2:TIDIG_COMP_CNT: 1
	.section	.text._ZL8moe_q6_KIN3c108BFloat16ELb0EEvPKvS3_PT_PKiS7_S7_iiiiiii,"axG",@progbits,_ZL8moe_q6_KIN3c108BFloat16ELb0EEvPKvS3_PT_PKiS7_S7_iiiiiii,comdat
	.globl	_ZL8moe_q6_KIN3c108BFloat16ELb0EEvPKvS3_PT_PKiS7_S7_iiiiiii ; -- Begin function _ZL8moe_q6_KIN3c108BFloat16ELb0EEvPKvS3_PT_PKiS7_S7_iiiiiii
	.p2align	8
	.type	_ZL8moe_q6_KIN3c108BFloat16ELb0EEvPKvS3_PT_PKiS7_S7_iiiiiii,@function
_ZL8moe_q6_KIN3c108BFloat16ELb0EEvPKvS3_PT_PKiS7_S7_iiiiiii: ; @_ZL8moe_q6_KIN3c108BFloat16ELb0EEvPKvS3_PT_PKiS7_S7_iiiiiii
; %bb.0:
	s_load_b128 s[4:7], s[0:1], 0x18
	s_bfe_u32 s2, ttmp6, 0x40010
	s_bfe_u32 s8, ttmp6, 0x40004
	s_add_co_i32 s2, s2, 1
	s_delay_alu instid0(SALU_CYCLE_1)
	s_mul_i32 s3, ttmp7, s2
	s_getreg_b32 s2, hwreg(HW_REG_IB_STS2, 6, 4)
	s_add_co_i32 s8, s8, s3
	s_cmp_eq_u32 s2, 0
	s_cselect_b32 s3, ttmp7, s8
	s_wait_kmcnt 0x0
	s_load_b32 s12, s[6:7], s3 offset:0x0 scale_offset
	s_wait_kmcnt 0x0
	s_cmp_gt_u32 s12, 0xff
	s_cbranch_scc1 .LBB235_30
; %bb.1:
	s_load_b64 s[6:7], s[0:1], 0x28
	s_lshl_b32 s3, s3, 3
	s_wait_kmcnt 0x0
	s_load_b32 s6, s[6:7], 0x0
	s_wait_kmcnt 0x0
	s_cmp_gt_u32 s3, s6
	s_cbranch_scc1 .LBB235_30
; %bb.2:
	v_bfe_u32 v1, v0, 10, 10
	s_and_b32 s13, ttmp6, 15
	v_and_b32_e32 v23, 0x3ff, v0
	v_dual_mov_b32 v65, 0 :: v_dual_mov_b32 v106, 0
	s_delay_alu instid0(VALU_DEP_3)
	v_dual_mov_b32 v63, 0 :: v_dual_add_nc_u32 v2, s3, v1
	s_bfe_u32 s3, ttmp6, 0x4000c
	v_mov_b32_e32 v109, 0
	s_add_co_i32 s3, s3, 1
	global_load_b32 v17, v2, s[4:5] scale_offset
	s_clause 0x2
	s_load_b64 s[10:11], s[0:1], 0x30
	s_load_b64 s[8:9], s[0:1], 0x10
	s_load_b128 s[4:7], s[0:1], 0x3c
	s_mul_i32 s3, ttmp9, s3
	s_delay_alu instid0(SALU_CYCLE_1)
	s_add_co_i32 s13, s13, s3
	s_cmp_eq_u32 s2, 0
	s_cselect_b32 s2, ttmp9, s13
	s_mov_b32 s13, 0
	s_lshl_b32 s18, s2, 7
	s_wait_kmcnt 0x0
	s_cmp_lt_i32 s11, 0x100
	s_cbranch_scc1 .LBB235_21
; %bb.3:
	v_and_b32_e32 v2, 31, v0
	s_load_b128 s[0:3], s[0:1], 0x0
	s_mul_i32 s16, s12, s10
	v_dual_lshrrev_b32 v6, 1, v0 :: v_dual_bitop2_b32 v7, 7, v0 bitop3:0x40
	s_delay_alu instid0(VALU_DEP_2) | instskip(SKIP_4) | instid1(VALU_DEP_3)
	v_cmp_gt_u32_e32 vcc_lo, 16, v2
	v_dual_lshlrev_b32 v3, 1, v2 :: v_dual_mov_b32 v19, 0
	v_mul_u32_u24_e32 v8, 0x41, v1
	s_ashr_i32 s17, s16, 31
	v_and_or_b32 v6, v6, 8, v7
	v_dual_mov_b32 v106, v19 :: v_dual_add_nc_u32 v5, 0xe0, v3
	s_ashr_i32 s14, s11, 31
	s_ashr_i32 s15, s5, 31
	s_lshr_b32 s10, s14, 24
	s_delay_alu instid0(VALU_DEP_1)
	v_cndmask_b32_e32 v5, v5, v3, vcc_lo
	v_add_nc_u16 v4, v2, -16
	s_add_co_i32 s10, s11, s10
	s_lshr_b32 s12, s15, 27
	s_ashr_i32 s10, s10, 8
	v_and_b32_e32 v5, 0xfe, v5
	v_cndmask_b32_e32 v4, v4, v2, vcc_lo
	s_wait_kmcnt 0x0
	s_add_nc_u64 s[16:17], s[0:1], s[16:17]
	s_abs_i32 s1, s7
	v_dual_lshlrev_b32 v18, 2, v2 :: v_dual_sub_nc_u32 v3, v3, v5
	v_dual_mov_b32 v21, v19 :: v_dual_bitop2_b32 v5, 15, v0 bitop3:0x40
	v_lshlrev_b32_e32 v31, 5, v1
	s_cvt_f32_u32 s0, s1
	s_delay_alu instid0(VALU_DEP_2) | instskip(SKIP_4) | instid1(VALU_DEP_3)
	v_dual_lshlrev_b32 v2, 2, v3 :: v_dual_lshlrev_b32 v3, 2, v5
	v_dual_lshlrev_b32 v5, 2, v8 :: v_dual_lshlrev_b32 v20, 2, v6
	v_cmp_lt_u16_e32 vcc_lo, 7, v4
	s_sub_co_i32 s19, 0, s1
	v_bfe_u32 v6, v0, 2, 8
	v_add3_u32 v27, v2, v3, v5
	v_rcp_iflag_f32_e32 v3, s0
	v_dual_add_nc_u32 v2, v31, v23 :: v_dual_lshlrev_b32 v5, 3, v1
	s_add_co_i32 s5, s5, s12
	s_lshl_b32 s12, s10, 3
	v_cndmask_b32_e64 v25, 0, 2, vcc_lo
	s_delay_alu instid0(VALU_DEP_2) | instskip(NEXT) | instid1(TRANS32_DEP_1)
	v_lshrrev_b32_e32 v4, 3, v2
	v_readfirstlane_b32 s0, v3
	v_mul_i32_i24_e32 v22, s10, v1
	v_mad_i32_i24 v24, s10, v1, s12
	v_bfe_u32 v16, v0, 5, 5
	v_and_b32_e32 v3, 12, v4
	v_and_b32_e32 v2, 0x7f, v2
	s_mul_f32 s0, s0, 0x4f7ffffe
	v_bfe_u32 v59, v0, 3, 7
	s_ashr_i32 s5, s5, 5
	s_delay_alu instid0(VALU_DEP_2)
	v_dual_mov_b32 v29, v19 :: v_dual_lshlrev_b32 v4, 2, v2
	v_mul_i32_i24_e32 v26, s10, v2
	s_wait_loadcnt 0x0
	v_sub_nc_u32_e32 v2, 0, v17
	s_cvt_u32_f32 s0, s0
	v_add_nc_u32_e32 v33, 0x30c0, v27
	v_add3_u32 v49, v4, v3, 0x8e40
	v_dual_add_nc_u32 v3, v6, v5 :: v_dual_lshlrev_b32 v4, 2, v0
	s_mul_i32 s19, s19, s0
	v_max_i32_e32 v7, v17, v2
	s_mul_hi_u32 s19, s0, s19
	v_add_nc_u16 v2, v6, v5
	s_add_co_i32 s0, s0, s19
	v_bitop3_b32 v5, v3, 64, 0x7f bitop3:0x6c
	v_mul_hi_u32 v6, v7, s0
	v_and_b32_e32 v3, 0x7f, v3
	v_and_b32_e32 v28, 12, v4
	v_lshrrev_b16 v2, 1, v2
	v_dual_lshrrev_b32 v4, 1, v5 :: v_dual_lshlrev_b32 v10, 2, v23
	s_delay_alu instid0(VALU_DEP_4) | instskip(NEXT) | instid1(VALU_DEP_4)
	v_mul_i32_i24_e32 v30, s10, v3
	v_lshl_or_b32 v3, v3, 4, v28
	s_delay_alu instid0(VALU_DEP_4)
	v_and_b32_e32 v2, 60, v2
	v_lshl_or_b32 v8, v5, 4, v28
	v_mul_i32_i24_e32 v32, s10, v5
	v_mul_lo_u32 v9, v6, s1
	v_lshl_or_b32 v5, v1, 7, v18
	v_and_b32_e32 v4, 60, v4
	v_add3_u32 v51, v3, v2, 0x8200
	v_dual_mov_b32 v3, v19 :: v_dual_bitop2_b32 v2, 28, v10 bitop3:0x40
	s_delay_alu instid0(VALU_DEP_4) | instskip(NEXT) | instid1(VALU_DEP_4)
	v_add_nc_u32_e32 v57, 0x8a40, v5
	v_add3_u32 v55, v8, v4, 0x8200
	v_dual_lshlrev_b32 v1, 4, v1 :: v_dual_add_nc_u32 v0, 32, v23
	s_mul_i32 s14, s10, s18
	v_dual_sub_nc_u32 v5, v7, v9 :: v_dual_add_nc_u32 v7, 1, v6
	v_dual_add_nc_u32 v11, 64, v23 :: v_dual_bitop2_b32 v9, s7, v17 bitop3:0x14
	v_cmp_gt_u32_e64 s0, 4, v23
	s_delay_alu instid0(VALU_DEP_3)
	v_subrev_nc_u32_e32 v8, s1, v5
	v_cmp_le_u32_e32 vcc_lo, s1, v5
	v_add_nc_u32_e32 v4, 0x9050, v10
	v_ashrrev_i32_e32 v9, 31, v9
	s_movk_i32 s19, 0x104
	s_movk_i32 s20, 0x2080
	v_dual_cndmask_b32 v6, v6, v7 :: v_dual_cndmask_b32 v5, v5, v8
	v_lshlrev_b32_e32 v7, 2, v16
	v_lshrrev_b32_e32 v61, 3, v0
	s_delay_alu instid0(VALU_DEP_3) | instskip(NEXT) | instid1(VALU_DEP_4)
	v_dual_add_nc_u32 v34, s12, v24 :: v_dual_add_nc_u32 v8, 1, v6
	v_cmp_le_u32_e32 vcc_lo, s1, v5
	v_add_nc_u32_e32 v12, 0x60, v23
	v_add3_u32 v107, v7, v10, 0x8e40
	s_delay_alu instid0(VALU_DEP_4) | instskip(SKIP_1) | instid1(VALU_DEP_4)
	v_dual_add_nc_u32 v36, s12, v34 :: v_dual_bitop2_b32 v7, 60, v61 bitop3:0x40
	v_dual_cndmask_b32 v5, v6, v8 :: v_dual_lshrrev_b32 v6, 3, v11
	v_lshrrev_b32_e32 v8, 3, v12
	s_delay_alu instid0(VALU_DEP_3) | instskip(NEXT) | instid1(VALU_DEP_3)
	v_add_nc_u32_e32 v38, s12, v36
	v_dual_lshlrev_b32 v0, 2, v0 :: v_dual_bitop2_b32 v5, v5, v9 bitop3:0x14
	s_delay_alu instid0(VALU_DEP_4) | instskip(SKIP_1) | instid1(VALU_DEP_4)
	v_and_b32_e32 v13, 60, v6
	v_add3_u32 v108, v10, v7, 0x8e40
	v_dual_add_nc_u32 v40, s12, v38 :: v_dual_bitop2_b32 v7, 60, v8 bitop3:0x40
	s_delay_alu instid0(VALU_DEP_4) | instskip(SKIP_3) | instid1(VALU_DEP_2)
	v_dual_sub_nc_u32 v5, v5, v9 :: v_dual_lshlrev_b32 v9, 2, v11
	s_movk_i32 s21, 0x4100
	v_add_nc_u64_e32 v[52:53], s[2:3], v[2:3]
	s_ashr_i32 s15, s14, 31
	v_mul_lo_u32 v46, v5, s5
	v_add_nc_u32_e32 v42, s12, v40
	v_cmp_gt_i32_e64 s1, s4, v5
	v_add_nc_u32_e32 v35, 0x5140, v27
	v_add_nc_u32_e32 v37, 0x5960, v27
	;; [unrolled: 1-line block ×7, first 2 shown]
	v_dual_lshlrev_b32 v117, 2, v59 :: v_dual_ashrrev_i32 v47, 31, v46
	v_dual_lshlrev_b32 v11, 2, v12 :: v_dual_add_nc_u32 v44, s12, v42
	v_add3_u32 v110, v10, v13, 0x8e40
	v_lshlrev_b32_e32 v119, 2, v61
	v_add3_u32 v111, v10, v7, 0x8e40
	v_mul_u32_u24_e32 v112, 0x104, v23
	v_add_nc_u32_e32 v48, s12, v44
	v_mad_u32_u24 v113, 0x104, v23, s20
	v_lshlrev_b32_e32 v122, 2, v9
	v_mad_u32_u24 v114, 0x104, v23, s21
	v_mad_u32_u24 v115, v23, s19, 0x6180
	v_dual_add_nc_u32 v50, s12, v48 :: v_dual_lshlrev_b32 v118, 2, v10
	v_dual_lshlrev_b32 v120, 2, v0 :: v_dual_lshlrev_b32 v121, 2, v6
	s_delay_alu instid0(VALU_DEP_2) | instskip(SKIP_2) | instid1(VALU_DEP_3)
	v_dual_lshlrev_b32 v123, 2, v8 :: v_dual_add_nc_u32 v54, s12, v50
	v_add_nc_u32_e32 v125, 0x800, v27
	v_dual_mov_b32 v63, v19 :: v_dual_add_nc_u32 v126, 0x1000, v27
	v_dual_mov_b32 v109, v19 :: v_dual_add_nc_u32 v56, s12, v54
	v_lshlrev_b32_e32 v124, 2, v11
	v_add_nc_u32_e32 v127, 0x1800, v27
	v_dual_mov_b32 v65, v19 :: v_dual_add_nc_u32 v128, 0x2000, v27
	s_delay_alu instid0(VALU_DEP_4)
	v_add_nc_u32_e32 v58, s12, v56
	v_add_nc_u32_e32 v129, 0x2800, v27
	;; [unrolled: 1-line block ×6, first 2 shown]
	s_mul_u64 s[14:15], s[14:15], 0xd2
	s_and_b32 s19, s0, s1
	s_add_nc_u64 s[14:15], s[16:17], s[14:15]
	s_delay_alu instid0(VALU_DEP_1) | instskip(NEXT) | instid1(VALU_DEP_1)
	v_add_nc_u32_e32 v62, s12, v60
	v_add_nc_u32_e32 v64, s12, v62
	s_mov_b32 s12, s13
	s_branch .LBB235_5
.LBB235_4:                              ;   in Loop: Header=BB235_5 Depth=1
	s_add_co_i32 s12, s12, 1
	s_delay_alu instid0(SALU_CYCLE_1)
	s_cmp_eq_u32 s12, s10
	s_cbranch_scc1 .LBB235_21
.LBB235_5:                              ; =>This Loop Header: Depth=1
                                        ;     Child Loop BB235_11 Depth 2
                                        ;     Child Loop BB235_19 Depth 2
	s_mul_u64 s[16:17], s[12:13], 0xd2
	s_delay_alu instid0(SALU_CYCLE_1) | instskip(NEXT) | instid1(SALU_CYCLE_1)
	s_add_nc_u64 s[16:17], s[14:15], s[16:17]
	v_mad_nc_u64_u32 v[0:1], 0xd2, v16, s[16:17]
	s_delay_alu instid0(VALU_DEP_1)
	v_mad_nc_u64_u32 v[2:3], 0xd2, v22, v[0:1]
	v_mad_nc_u64_u32 v[4:5], 0xd2, v24, v[0:1]
	v_mad_nc_u64_u32 v[6:7], 0xd2, v34, v[0:1]
	v_mad_nc_u64_u32 v[8:9], 0xd2, v36, v[0:1]
	v_mad_nc_u64_u32 v[10:11], 0xd2, v38, v[0:1]
	v_mad_nc_u64_u32 v[12:13], 0xd2, v40, v[0:1]
	v_mad_nc_u64_u32 v[14:15], 0xd2, v42, v[0:1]
	v_mad_nc_u64_u32 v[66:67], 0xd2, v44, v[0:1]
	v_mad_nc_u64_u32 v[68:69], 0xd2, v48, v[0:1]
	v_add_nc_u64_e32 v[70:71], v[2:3], v[20:21]
	v_add_nc_u64_e32 v[72:73], v[4:5], v[20:21]
	v_add_nc_u64_e32 v[74:75], v[6:7], v[18:19]
	v_add_nc_u64_e32 v[6:7], v[6:7], v[20:21]
	v_add_nc_u64_e32 v[76:77], v[8:9], v[18:19]
	v_add_nc_u64_e32 v[8:9], v[8:9], v[20:21]
	v_add_nc_u64_e32 v[2:3], v[2:3], v[18:19]
	v_add_nc_u64_e32 v[4:5], v[4:5], v[18:19]
	s_clause 0x7
	global_load_b32 v78, v[70:71], off offset:128
	global_load_b32 v79, v[72:73], off offset:128
	global_load_b32 v80, v[74:75], off
	global_load_b32 v81, v[6:7], off offset:128
	global_load_b32 v82, v[76:77], off
	;; [unrolled: 2-line block ×3, first 2 shown]
	global_load_b32 v85, v[2:3], off
	s_wait_xcnt 0x0
	v_mad_nc_u64_u32 v[2:3], 0xd2, v50, v[0:1]
	v_add_nc_u64_e32 v[4:5], v[10:11], v[18:19]
	v_add_nc_u64_e32 v[6:7], v[10:11], v[20:21]
	;; [unrolled: 1-line block ×8, first 2 shown]
	s_clause 0x1
	global_load_b32 v74, v[4:5], off
	global_load_b32 v75, v[6:7], off offset:128
	s_wait_xcnt 0x0
	v_add_nc_u64_e32 v[6:7], v[68:69], v[20:21]
	v_add_nc_u64_e32 v[4:5], v[68:69], v[18:19]
	s_clause 0x3
	global_load_b32 v76, v[10:11], off offset:128
	global_load_b32 v77, v[8:9], off
	global_load_b32 v86, v[12:13], off
	global_load_b32 v87, v[14:15], off offset:128
	s_wait_xcnt 0x2
	v_add_nc_u64_e32 v[8:9], v[2:3], v[18:19]
	v_add_nc_u64_e32 v[2:3], v[2:3], v[20:21]
	s_clause 0x5
	global_load_b32 v88, v[66:67], off offset:128
	global_load_b32 v89, v[70:71], off
	global_load_b32 v90, v[6:7], off offset:128
	global_load_b32 v91, v[4:5], off
	;; [unrolled: 2-line block ×3, first 2 shown]
	s_wait_xcnt 0x1
	v_mad_nc_u64_u32 v[2:3], 0xd2, v30, s[16:17]
	v_mad_nc_u64_u32 v[4:5], 0xd2, v32, s[16:17]
	;; [unrolled: 1-line block ×3, first 2 shown]
	s_wait_xcnt 0x0
	v_mad_nc_u64_u32 v[8:9], 0xd2, v54, v[0:1]
	v_mad_nc_u64_u32 v[10:11], 0xd2, v56, v[0:1]
	;; [unrolled: 1-line block ×6, first 2 shown]
	s_lshl_b32 s16, s12, 8
	v_add_nc_u64_e32 v[2:3], v[2:3], v[28:29]
	v_add_nc_u64_e32 v[4:5], v[4:5], v[28:29]
	s_clause 0x2
	global_load_u16 v94, v[6:7], off offset:208
	global_load_b32 v95, v[2:3], off offset:192
	global_load_b32 v96, v[4:5], off offset:192
	s_wait_xcnt 0x1
	v_add_nc_u64_e32 v[2:3], v[8:9], v[18:19]
	s_wait_xcnt 0x0
	v_add_nc_u64_e32 v[4:5], v[8:9], v[20:21]
	v_add_nc_u64_e32 v[6:7], v[10:11], v[18:19]
	;; [unrolled: 1-line block ×11, first 2 shown]
	s_clause 0xb
	global_load_b32 v97, v[2:3], off
	global_load_b32 v98, v[4:5], off offset:128
	global_load_b32 v99, v[6:7], off
	global_load_b32 v100, v[8:9], off offset:128
	;; [unrolled: 2-line block ×6, first 2 shown]
	s_cmp_lt_i32 s16, s11
	s_wait_loadcnt 0x21
	s_wait_xcnt 0x0
	v_dual_ashrrev_i32 v0, v25, v78 :: v_dual_ashrrev_i32 v3, v25, v79
	s_wait_loadcnt 0x1f
	v_dual_lshrrev_b32 v8, 4, v80 :: v_dual_ashrrev_i32 v6, v25, v81
	s_wait_loadcnt 0x1d
	v_dual_lshrrev_b32 v11, 4, v82 :: v_dual_ashrrev_i32 v9, v25, v83
	s_wait_loadcnt 0x1b
	v_dual_lshrrev_b32 v5, 4, v84 :: v_dual_lshrrev_b32 v2, 4, v85
	v_and_b32_e32 v1, 0xf0f0f0f, v85
	v_and_b32_e32 v7, 0xf0f0f0f, v80
	v_dual_lshlrev_b32 v80, 4, v0 :: v_dual_lshlrev_b32 v81, 4, v3
	s_delay_alu instid0(VALU_DEP_4)
	v_and_b32_e32 v2, 0xf0f0f0f, v2
	v_and_b32_e32 v4, 0xf0f0f0f, v84
	v_and_b32_e32 v5, 0xf0f0f0f, v5
	v_and_b32_e32 v10, 0xf0f0f0f, v82
	s_wait_loadcnt 0x19
	v_dual_lshrrev_b32 v14, 4, v74 :: v_dual_ashrrev_i32 v12, v25, v75
	s_wait_loadcnt 0x17
	v_dual_ashrrev_i32 v15, v25, v76 :: v_dual_lshrrev_b32 v67, 4, v77
	s_wait_loadcnt 0x15
	v_dual_ashrrev_i32 v68, v25, v87 :: v_dual_lshrrev_b32 v70, 4, v86
	;; [unrolled: 2-line block ×3, first 2 shown]
	v_and_b32_e32 v13, 0xf0f0f0f, v74
	s_wait_loadcnt 0x11
	v_dual_ashrrev_i32 v74, v25, v90 :: v_dual_lshrrev_b32 v76, 4, v91
	v_dual_lshlrev_b32 v82, 4, v6 :: v_dual_lshlrev_b32 v83, 4, v9
	v_and_b32_e32 v8, 0xf0f0f0f, v8
	v_and_b32_e32 v11, 0xf0f0f0f, v11
	v_dual_lshlrev_b32 v84, 4, v12 :: v_dual_lshlrev_b32 v85, 4, v15
	v_and_b32_e32 v14, 0xf0f0f0f, v14
	v_and_b32_e32 v66, 0xf0f0f0f, v77
	;; [unrolled: 1-line block ×5, first 2 shown]
	v_dual_lshlrev_b32 v86, 4, v68 :: v_dual_lshlrev_b32 v87, 4, v71
	v_and_b32_e32 v70, 0xf0f0f0f, v70
	v_and_b32_e32 v73, 0xf0f0f0f, v73
	v_and_or_b32 v1, 0x30303030, v80, v1
	v_and_or_b32 v0, 0x30303030, v0, v2
	v_and_b32_e32 v75, 0xf0f0f0f, v91
	s_wait_loadcnt 0xf
	v_dual_ashrrev_i32 v77, v25, v92 :: v_dual_lshrrev_b32 v79, 4, v93
	v_lshlrev_b32_e32 v88, 4, v74
	v_and_b32_e32 v76, 0xf0f0f0f, v76
	v_and_or_b32 v2, 0x30303030, v81, v4
	v_and_or_b32 v3, 0x30303030, v3, v5
	;; [unrolled: 1-line block ×14, first 2 shown]
	v_lshlrev_b16 v68, 8, v1
	v_dual_lshrrev_b32 v69, 16, v1 :: v_dual_lshrrev_b32 v71, 16, v0
	v_lshlrev_b16 v70, 8, v0
	v_lshlrev_b32_e32 v89, 4, v77
	v_and_or_b32 v66, 0x30303030, v88, v75
	v_and_or_b32 v67, 0x30303030, v74, v76
	v_lshlrev_b16 v72, 8, v2
	v_dual_lshrrev_b32 v73, 16, v2 :: v_dual_lshrrev_b32 v75, 16, v3
	v_lshlrev_b16 v74, 8, v3
	v_lshlrev_b16 v76, 8, v4
	v_dual_lshrrev_b32 v80, 16, v4 :: v_dual_lshrrev_b32 v82, 16, v5
	v_lshlrev_b16 v81, 8, v5
	;; [unrolled: 3-line block ×4, first 2 shown]
	v_and_b32_e32 v78, 0xf0f0f0f, v93
	v_lshlrev_b16 v92, 8, v10
	v_dual_lshrrev_b32 v93, 16, v10 :: v_dual_lshrrev_b32 v137, 16, v11
	v_lshlrev_b16 v136, 8, v11
	v_lshlrev_b16 v138, 8, v12
	v_dual_lshrrev_b32 v139, 16, v12 :: v_dual_lshrrev_b32 v141, 16, v13
	v_lshlrev_b16 v140, 8, v13
	;; [unrolled: 3-line block ×3, first 2 shown]
	v_add_nc_u16 v68, 0xe000, v68
	v_lshlrev_b16 v150, 8, v69
	v_add_nc_u16 v70, 0xe000, v70
	v_lshlrev_b16 v151, 8, v71
	;; [unrolled: 2-line block ×16, first 2 shown]
	v_lshrrev_b16 v68, 8, v68
	v_add_nc_u16 v150, 0xe000, v150
	v_lshrrev_b16 v70, 8, v70
	v_add_nc_u16 v151, 0xe000, v151
	;; [unrolled: 2-line block ×16, first 2 shown]
	v_bitop3_b16 v1, v1, v68, 0x3f00 bitop3:0xec
	v_lshrrev_b16 v68, 8, v150
	v_bitop3_b16 v0, v0, v70, 0x3f00 bitop3:0xec
	v_lshrrev_b16 v70, 8, v151
	;; [unrolled: 2-line block ×10, first 2 shown]
	v_lshlrev_b16 v146, 8, v66
	v_dual_lshrrev_b32 v147, 16, v66 :: v_dual_lshrrev_b32 v149, 16, v67
	v_lshlrev_b16 v148, 8, v67
	v_bitop3_b16 v10, v10, v92, 0x3f00 bitop3:0xec
	v_lshrrev_b16 v92, 8, v160
	v_bitop3_b16 v11, v11, v136, 0x3f00 bitop3:0xec
	v_lshrrev_b16 v136, 8, v161
	v_bitop3_b16 v12, v12, v138, 0x3f00 bitop3:0xec
	v_lshrrev_b16 v138, 8, v162
	v_bitop3_b16 v13, v13, v140, 0x3f00 bitop3:0xec
	v_lshrrev_b16 v140, 8, v163
	v_bitop3_b16 v14, v14, v142, 0x3f00 bitop3:0xec
	v_lshrrev_b16 v142, 8, v164
	v_bitop3_b16 v15, v15, v144, 0x3f00 bitop3:0xec
	v_lshrrev_b16 v144, 8, v165
	v_bitop3_b16 v68, v69, v68, 0x3f00 bitop3:0xec
	v_bitop3_b16 v69, v71, v70, 0x3f00 bitop3:0xec
	;; [unrolled: 1-line block ×10, first 2 shown]
	v_add_nc_u16 v146, 0xe000, v146
	v_lshlrev_b16 v166, 8, v147
	v_add_nc_u16 v148, 0xe000, v148
	v_lshlrev_b16 v167, 8, v149
	v_add_nc_u16 v1, 0xe000, v1
	v_add_nc_u16 v0, 0xe000, v0
	v_bitop3_b16 v81, v93, v92, 0x3f00 bitop3:0xec
	v_bitop3_b16 v82, v137, v136, 0x3f00 bitop3:0xec
	;; [unrolled: 1-line block ×6, first 2 shown]
	v_add_nc_u16 v68, 0xe000, v68
	v_add_nc_u16 v69, 0xe000, v69
	v_add_nc_u16 v2, 0xe000, v2
	v_add_nc_u16 v3, 0xe000, v3
	v_add_nc_u16 v70, 0xe000, v70
	v_add_nc_u16 v71, 0xe000, v71
	v_add_nc_u16 v4, 0xe000, v4
	v_add_nc_u16 v5, 0xe000, v5
	v_add_nc_u16 v72, 0xe000, v72
	v_add_nc_u16 v73, 0xe000, v73
	v_add_nc_u16 v6, 0xe000, v6
	v_add_nc_u16 v7, 0xe000, v7
	v_add_nc_u16 v74, 0xe000, v74
	v_add_nc_u16 v75, 0xe000, v75
	v_add_nc_u16 v8, 0xe000, v8
	v_add_nc_u16 v9, 0xe000, v9
	v_add_nc_u16 v76, 0xe000, v76
	v_add_nc_u16 v80, 0xe000, v80
	v_lshrrev_b16 v146, 8, v146
	v_add_nc_u16 v166, 0xe000, v166
	v_lshrrev_b16 v148, 8, v148
	v_add_nc_u16 v167, 0xe000, v167
	v_add_nc_u16 v10, 0xe000, v10
	;; [unrolled: 1-line block ×7, first 2 shown]
	v_and_b32_e32 v1, 0xffff, v1
	v_and_b32_e32 v0, 0xffff, v0
	v_add_nc_u16 v81, 0xe000, v81
	v_add_nc_u16 v82, 0xe000, v82
	;; [unrolled: 1-line block ×6, first 2 shown]
	v_dual_lshlrev_b32 v68, 16, v68 :: v_dual_lshlrev_b32 v69, 16, v69
	v_and_b32_e32 v2, 0xffff, v2
	v_and_b32_e32 v3, 0xffff, v3
	v_dual_lshlrev_b32 v70, 16, v70 :: v_dual_lshlrev_b32 v71, 16, v71
	v_and_b32_e32 v4, 0xffff, v4
	v_and_b32_e32 v5, 0xffff, v5
	;; [unrolled: 3-line block ×4, first 2 shown]
	v_dual_lshlrev_b32 v76, 16, v76 :: v_dual_lshlrev_b32 v81, 16, v81
	v_dual_lshlrev_b32 v80, 16, v80 :: v_dual_lshlrev_b32 v82, 16, v82
	v_bitop3_b16 v66, v66, v146, 0x3f00 bitop3:0xec
	v_lshrrev_b16 v146, 8, v166
	v_bitop3_b16 v67, v67, v148, 0x3f00 bitop3:0xec
	v_lshrrev_b16 v148, 8, v167
	v_and_b32_e32 v10, 0xffff, v10
	v_and_b32_e32 v11, 0xffff, v11
	;; [unrolled: 1-line block ×6, first 2 shown]
	v_dual_lshlrev_b32 v83, 16, v83 :: v_dual_lshlrev_b32 v84, 16, v84
	v_dual_lshlrev_b32 v85, 16, v85 :: v_dual_lshlrev_b32 v86, 16, v86
	v_or_b32_e32 v1, v1, v68
	v_or_b32_e32 v0, v0, v69
	;; [unrolled: 1-line block ×10, first 2 shown]
	v_bitop3_b16 v87, v147, v146, 0x3f00 bitop3:0xec
	v_bitop3_b16 v88, v149, v148, 0x3f00 bitop3:0xec
	v_or_b32_e32 v10, v10, v81
	v_or_b32_e32 v11, v11, v82
	;; [unrolled: 1-line block ×6, first 2 shown]
	ds_store_2addr_b32 v27, v1, v0 offset1:16
	ds_store_2addr_b32 v125, v2, v3 offset0:8 offset1:24
	ds_store_2addr_b32 v126, v4, v5 offset0:16 offset1:32
	ds_store_2addr_b32 v127, v6, v7 offset0:24 offset1:40
	ds_store_2addr_b32 v128, v8, v9 offset0:32 offset1:48
	ds_store_2addr_b32 v129, v10, v11 offset0:40 offset1:56
	ds_store_2addr_b32 v33, v12, v13 offset1:16
	ds_store_2addr_b32 v130, v14, v15 offset0:8 offset1:24
	v_and_or_b32 v4, 0x30303030, v89, v78
	v_add_nc_u16 v66, 0xe000, v66
	v_add_nc_u16 v0, 0xe000, v87
	;; [unrolled: 1-line block ×3, first 2 shown]
	v_and_b32_e32 v3, 0xf0f0f0f, v79
	v_add_nc_u16 v5, 0xe000, v88
	v_lshlrev_b16 v6, 8, v4
	v_and_b32_e32 v1, 0xffff, v66
	v_lshlrev_b32_e32 v0, 16, v0
	v_and_b32_e32 v2, 0xffff, v2
	v_and_or_b32 v3, 0x30303030, v77, v3
	v_lshlrev_b32_e32 v5, 16, v5
	v_add_nc_u16 v6, 0xe000, v6
	v_lshrrev_b32_e32 v7, 16, v4
	s_delay_alu instid0(VALU_DEP_4) | instskip(NEXT) | instid1(VALU_DEP_4)
	v_dual_lshrrev_b32 v1, 16, v3 :: v_dual_bitop2_b32 v0, v1, v0 bitop3:0x54
	v_or_b32_e32 v2, v2, v5
	v_lshlrev_b16 v8, 8, v3
	v_lshrrev_b16 v6, 8, v6
	v_lshlrev_b16 v5, 8, v7
	v_lshlrev_b16 v9, 8, v1
	ds_store_2addr_b32 v131, v0, v2 offset0:16 offset1:32
	v_add_nc_u16 v2, 0xe000, v8
	v_bitop3_b16 v4, v4, v6, 0x3f00 bitop3:0xec
	s_wait_loadcnt 0xa
	v_ashrrev_i32_e32 v6, v25, v98
	v_add_nc_u16 v0, 0xe000, v5
	v_add_nc_u16 v5, 0xe000, v9
	v_lshrrev_b16 v2, 8, v2
	v_and_b32_e32 v8, 0xf0f0f0f, v97
	v_lshlrev_b32_e32 v9, 4, v6
	v_lshrrev_b16 v0, 8, v0
	v_lshrrev_b16 v5, 8, v5
	v_bitop3_b16 v2, v3, v2, 0x3f00 bitop3:0xec
	v_add_nc_u16 v3, 0xe000, v4
	v_and_or_b32 v4, 0x30303030, v9, v8
	v_bitop3_b16 v0, v7, v0, 0x3f00 bitop3:0xec
	v_bitop3_b16 v1, v1, v5, 0x3f00 bitop3:0xec
	v_lshrrev_b32_e32 v5, 4, v97
	v_add_nc_u16 v2, 0xe000, v2
	v_lshrrev_b32_e32 v7, 16, v4
	v_add_nc_u16 v0, 0xe000, v0
	v_add_nc_u16 v1, 0xe000, v1
	v_and_b32_e32 v5, 0xf0f0f0f, v5
	v_lshlrev_b16 v8, 8, v4
	v_lshlrev_b16 v9, 8, v7
	v_and_b32_e32 v3, 0xffff, v3
	v_lshlrev_b32_e32 v0, 16, v0
	v_and_b32_e32 v2, 0xffff, v2
	v_lshlrev_b32_e32 v1, 16, v1
	v_and_or_b32 v5, 0x30303030, v6, v5
	v_add_nc_u16 v6, 0xe000, v8
	v_add_nc_u16 v8, 0xe000, v9
	v_or_b32_e32 v0, v3, v0
	v_or_b32_e32 v1, v2, v1
	v_lshrrev_b32_e32 v2, 16, v5
	v_lshrrev_b16 v3, 8, v6
	v_lshrrev_b16 v6, 8, v8
	v_lshlrev_b16 v8, 8, v5
	ds_store_2addr_b32 v132, v0, v1 offset0:24 offset1:40
	v_lshlrev_b16 v0, 8, v2
	v_bitop3_b16 v1, v4, v3, 0x3f00 bitop3:0xec
	v_bitop3_b16 v3, v7, v6, 0x3f00 bitop3:0xec
	s_wait_loadcnt 0x8
	v_ashrrev_i32_e32 v6, v25, v100
	v_add_nc_u16 v4, 0xe000, v8
	v_add_nc_u16 v0, 0xe000, v0
	;; [unrolled: 1-line block ×4, first 2 shown]
	v_and_b32_e32 v7, 0xf0f0f0f, v99
	v_lshlrev_b32_e32 v8, 4, v6
	v_lshrrev_b16 v4, 8, v4
	v_lshrrev_b16 v0, 8, v0
	v_and_b32_e32 v1, 0xffff, v1
	v_lshlrev_b32_e32 v3, 16, v3
	v_and_or_b32 v7, 0x30303030, v8, v7
	v_lshrrev_b32_e32 v8, 4, v99
	v_bitop3_b16 v4, v5, v4, 0x3f00 bitop3:0xec
	v_bitop3_b16 v0, v2, v0, 0x3f00 bitop3:0xec
	v_or_b32_e32 v1, v1, v3
	v_lshrrev_b32_e32 v2, 16, v7
	v_and_b32_e32 v3, 0xf0f0f0f, v8
	v_add_nc_u16 v4, 0xe000, v4
	v_add_nc_u16 v0, 0xe000, v0
	v_lshlrev_b16 v5, 8, v7
	v_lshlrev_b16 v8, 8, v2
	v_and_or_b32 v3, 0x30303030, v6, v3
	v_and_b32_e32 v4, 0xffff, v4
	v_lshlrev_b32_e32 v0, 16, v0
	v_add_nc_u16 v5, 0xe000, v5
	v_add_nc_u16 v6, 0xe000, v8
	v_lshlrev_b16 v8, 8, v3
	s_delay_alu instid0(VALU_DEP_4) | instskip(NEXT) | instid1(VALU_DEP_4)
	v_dual_lshrrev_b32 v9, 16, v3 :: v_dual_bitop2_b32 v0, v4, v0 bitop3:0x54
	v_lshrrev_b16 v4, 8, v5
	s_delay_alu instid0(VALU_DEP_4) | instskip(NEXT) | instid1(VALU_DEP_4)
	v_lshrrev_b16 v5, 8, v6
	v_add_nc_u16 v6, 0xe000, v8
	s_delay_alu instid0(VALU_DEP_4)
	v_lshlrev_b16 v8, 8, v9
	ds_store_2addr_b32 v35, v1, v0 offset1:16
	v_bitop3_b16 v0, v7, v4, 0x3f00 bitop3:0xec
	v_bitop3_b16 v1, v2, v5, 0x3f00 bitop3:0xec
	v_lshrrev_b16 v2, 8, v6
	v_add_nc_u16 v4, 0xe000, v8
	s_wait_loadcnt 0x6
	v_ashrrev_i32_e32 v5, v25, v102
	v_add_nc_u16 v0, 0xe000, v0
	v_add_nc_u16 v1, 0xe000, v1
	v_and_b32_e32 v6, 0xf0f0f0f, v101
	v_lshrrev_b16 v4, 8, v4
	v_lshrrev_b32_e32 v7, 4, v101
	v_lshlrev_b32_e32 v8, 4, v5
	v_bitop3_b16 v2, v3, v2, 0x3f00 bitop3:0xec
	v_and_b32_e32 v0, 0xffff, v0
	v_bitop3_b16 v3, v9, v4, 0x3f00 bitop3:0xec
	v_and_b32_e32 v7, 0xf0f0f0f, v7
	v_and_or_b32 v6, 0x30303030, v8, v6
	v_add_nc_u16 v2, 0xe000, v2
	s_wait_loadcnt 0x1
	v_lshrrev_b32_e32 v11, 4, v134
	v_add_nc_u16 v3, 0xe000, v3
	v_dual_lshlrev_b32 v1, 16, v1 :: v_dual_lshrrev_b32 v4, 16, v6
	v_and_b32_e32 v2, 0xffff, v2
	v_and_b32_e32 v12, 0xf0f0f0f, v134
	s_delay_alu instid0(VALU_DEP_3) | instskip(SKIP_3) | instid1(VALU_DEP_4)
	v_dual_lshlrev_b32 v3, 16, v3 :: v_dual_bitop2_b32 v0, v0, v1 bitop3:0x54
	v_and_or_b32 v1, 0x30303030, v5, v7
	v_lshlrev_b16 v5, 8, v6
	v_lshlrev_b16 v8, 8, v4
	v_or_b32_e32 v2, v2, v3
	v_and_b32_e32 v11, 0xf0f0f0f, v11
	v_lshrrev_b32_e32 v7, 16, v1
	v_lshlrev_b16 v9, 8, v1
	v_add_nc_u16 v5, 0xe000, v5
	v_add_nc_u16 v8, 0xe000, v8
	s_delay_alu instid0(VALU_DEP_4) | instskip(NEXT) | instid1(VALU_DEP_4)
	v_lshlrev_b16 v10, 8, v7
	v_add_nc_u16 v9, 0xe000, v9
	s_delay_alu instid0(VALU_DEP_4) | instskip(NEXT) | instid1(VALU_DEP_4)
	v_lshrrev_b16 v5, 8, v5
	v_lshrrev_b16 v8, 8, v8
	s_delay_alu instid0(VALU_DEP_4) | instskip(NEXT) | instid1(VALU_DEP_4)
	v_add_nc_u16 v10, 0xe000, v10
	v_lshrrev_b16 v3, 8, v9
	s_delay_alu instid0(VALU_DEP_4) | instskip(NEXT) | instid1(VALU_DEP_4)
	v_bitop3_b16 v5, v6, v5, 0x3f00 bitop3:0xec
	v_bitop3_b16 v4, v4, v8, 0x3f00 bitop3:0xec
	v_ashrrev_i32_e32 v8, v25, v104
	v_lshrrev_b16 v6, 8, v10
	v_bitop3_b16 v1, v1, v3, 0x3f00 bitop3:0xec
	v_add_nc_u16 v3, 0xe000, v5
	v_add_nc_u16 v4, 0xe000, v4
	v_lshrrev_b32_e32 v9, 4, v103
	v_bitop3_b16 v5, v7, v6, 0x3f00 bitop3:0xec
	v_and_b32_e32 v6, 0xf0f0f0f, v103
	v_lshlrev_b32_e32 v7, 4, v8
	v_and_b32_e32 v3, 0xffff, v3
	v_add_nc_u16 v1, 0xe000, v1
	v_add_nc_u16 v5, 0xe000, v5
	ds_store_2addr_b32 v37, v0, v2 offset1:16
	v_and_or_b32 v6, 0x30303030, v7, v6
	v_lshlrev_b32_e32 v4, 16, v4
	v_and_b32_e32 v7, 0xf0f0f0f, v9
	v_and_b32_e32 v1, 0xffff, v1
	s_delay_alu instid0(VALU_DEP_4) | instskip(NEXT) | instid1(VALU_DEP_4)
	v_dual_lshrrev_b32 v9, 16, v6 :: v_dual_lshlrev_b32 v5, 16, v5
	v_or_b32_e32 v3, v3, v4
	s_delay_alu instid0(VALU_DEP_4) | instskip(SKIP_1) | instid1(VALU_DEP_4)
	v_and_or_b32 v4, 0x30303030, v8, v7
	v_lshlrev_b16 v10, 8, v6
	v_lshlrev_b16 v7, 8, v9
	v_or_b32_e32 v1, v1, v5
	s_delay_alu instid0(VALU_DEP_4) | instskip(NEXT) | instid1(VALU_DEP_4)
	v_lshlrev_b16 v0, 8, v4
	v_add_nc_u16 v5, 0xe000, v10
	s_delay_alu instid0(VALU_DEP_4)
	v_add_nc_u16 v2, 0xe000, v7
	v_lshrrev_b32_e32 v7, 16, v4
	ds_store_2addr_b32 v39, v3, v1 offset1:16
	v_add_nc_u16 v0, 0xe000, v0
	v_lshrrev_b16 v5, 8, v5
	v_lshrrev_b16 v1, 8, v2
	v_lshlrev_b16 v2, 8, v7
	s_wait_loadcnt 0x0
	v_ashrrev_i32_e32 v10, v25, v135
	v_lshrrev_b16 v0, 8, v0
	v_bitop3_b16 v3, v6, v5, 0x3f00 bitop3:0xec
	v_ashrrev_i32_e32 v5, v25, v133
	v_add_nc_u16 v2, 0xe000, v2
	v_bitop3_b16 v1, v9, v1, 0x3f00 bitop3:0xec
	v_and_b32_e32 v6, 0xf0f0f0f, v105
	v_bitop3_b16 v0, v4, v0, 0x3f00 bitop3:0xec
	v_lshlrev_b32_e32 v8, 4, v5
	v_lshrrev_b16 v2, 8, v2
	v_add_nc_u16 v3, 0xe000, v3
	v_add_nc_u16 v1, 0xe000, v1
	v_lshlrev_b32_e32 v13, 4, v10
	v_and_or_b32 v4, 0x30303030, v8, v6
	v_bitop3_b16 v2, v7, v2, 0x3f00 bitop3:0xec
	v_and_b32_e32 v3, 0xffff, v3
	v_lshlrev_b32_e32 v1, 16, v1
	v_add_nc_u16 v0, 0xe000, v0
	v_lshlrev_b16 v7, 8, v4
	v_add_nc_u16 v2, 0xe000, v2
	v_dual_lshrrev_b32 v6, 4, v105 :: v_dual_lshrrev_b32 v8, 16, v4
	v_or_b32_e32 v1, v3, v1
	s_delay_alu instid0(VALU_DEP_4) | instskip(NEXT) | instid1(VALU_DEP_4)
	v_add_nc_u16 v3, 0xe000, v7
	v_lshlrev_b32_e32 v2, 16, v2
	s_delay_alu instid0(VALU_DEP_4) | instskip(SKIP_1) | instid1(VALU_DEP_4)
	v_and_b32_e32 v6, 0xf0f0f0f, v6
	v_and_b32_e32 v0, 0xffff, v0
	v_lshrrev_b16 v3, 8, v3
	s_delay_alu instid0(VALU_DEP_3) | instskip(SKIP_1) | instid1(VALU_DEP_4)
	v_and_or_b32 v5, 0x30303030, v5, v6
	v_lshlrev_b16 v6, 8, v8
	v_or_b32_e32 v0, v0, v2
	s_delay_alu instid0(VALU_DEP_4) | instskip(NEXT) | instid1(VALU_DEP_4)
	v_bitop3_b16 v3, v4, v3, 0x3f00 bitop3:0xec
	v_lshrrev_b32_e32 v7, 16, v5
	v_lshlrev_b16 v9, 8, v5
	v_add_nc_u16 v6, 0xe000, v6
	s_delay_alu instid0(VALU_DEP_4)
	v_add_nc_u16 v3, 0xe000, v3
	ds_store_2addr_b32 v41, v1, v0 offset1:16
	v_lshlrev_b16 v4, 8, v7
	v_add_nc_u16 v9, 0xe000, v9
	v_lshrrev_b16 v6, 8, v6
	v_and_b32_e32 v3, 0xffff, v3
	v_cvt_f32_f16_e32 v0, v94
	v_add_nc_u16 v4, 0xe000, v4
	v_lshrrev_b16 v9, 8, v9
	v_bitop3_b16 v6, v8, v6, 0x3f00 bitop3:0xec
	v_and_or_b32 v8, 0x30303030, v13, v12
	s_delay_alu instid0(VALU_DEP_4) | instskip(NEXT) | instid1(VALU_DEP_4)
	v_lshrrev_b16 v4, 8, v4
	v_bitop3_b16 v5, v5, v9, 0x3f00 bitop3:0xec
	v_and_or_b32 v9, 0x30303030, v10, v11
	v_add_nc_u16 v6, 0xe000, v6
	v_lshlrev_b16 v11, 8, v8
	v_bitop3_b16 v4, v7, v4, 0x3f00 bitop3:0xec
	s_delay_alu instid0(VALU_DEP_4) | instskip(NEXT) | instid1(VALU_DEP_4)
	v_dual_lshrrev_b32 v7, 16, v8 :: v_dual_lshrrev_b32 v10, 16, v9
	v_lshlrev_b32_e32 v6, 16, v6
	v_lshlrev_b16 v13, 8, v9
	v_add_nc_u16 v11, 0xe000, v11
	s_delay_alu instid0(VALU_DEP_4)
	v_lshlrev_b16 v12, 8, v7
	v_lshlrev_b16 v14, 8, v10
	v_add_nc_u16 v5, 0xe000, v5
	v_add_nc_u16 v13, 0xe000, v13
	v_lshrrev_b16 v11, 8, v11
	v_add_nc_u16 v12, 0xe000, v12
	v_add_nc_u16 v14, 0xe000, v14
	;; [unrolled: 1-line block ×3, first 2 shown]
	v_lshrrev_b16 v13, 8, v13
	v_bitop3_b16 v8, v8, v11, 0x3f00 bitop3:0xec
	v_lshrrev_b16 v12, 8, v12
	v_lshrrev_b16 v14, 8, v14
	v_and_b32_e32 v5, 0xffff, v5
	v_bitop3_b16 v9, v9, v13, 0x3f00 bitop3:0xec
	v_add_nc_u16 v8, 0xe000, v8
	v_bitop3_b16 v7, v7, v12, 0x3f00 bitop3:0xec
	v_bitop3_b16 v10, v10, v14, 0x3f00 bitop3:0xec
	v_or_b32_e32 v2, v3, v6
	v_add_nc_u16 v9, 0xe000, v9
	v_and_b32_e32 v8, 0xffff, v8
	v_add_nc_u16 v7, 0xe000, v7
	v_add_nc_u16 v10, 0xe000, v10
	v_lshlrev_b32_e32 v4, 16, v4
	v_and_b32_e32 v9, 0xffff, v9
	s_delay_alu instid0(VALU_DEP_3) | instskip(NEXT) | instid1(VALU_DEP_3)
	v_dual_lshlrev_b32 v7, 16, v7 :: v_dual_lshlrev_b32 v10, 16, v10
	v_or_b32_e32 v3, v5, v4
	s_delay_alu instid0(VALU_DEP_2) | instskip(NEXT) | instid1(VALU_DEP_3)
	v_or_b32_e32 v4, v8, v7
	v_or_b32_e32 v5, v9, v10
	ds_store_2addr_b32 v43, v2, v3 offset1:16
	ds_store_2addr_b32 v45, v4, v5 offset1:16
	ds_store_b32 v49, v0
	ds_store_b32 v51, v95
	;; [unrolled: 1-line block ×3, first 2 shown]
	s_cbranch_scc0 .LBB235_4
; %bb.6:                                ;   in Loop: Header=BB235_5 Depth=1
	s_lshl_b32 s17, s12, 3
	s_delay_alu instid0(SALU_CYCLE_1) | instskip(NEXT) | instid1(VALU_DEP_1)
	v_add_nc_u32_e32 v0, s17, v59
	v_cmp_gt_i32_e32 vcc_lo, s5, v0
	s_and_b32 s21, s1, vcc_lo
	s_delay_alu instid0(SALU_CYCLE_1)
	s_and_saveexec_b32 s20, s21
	s_cbranch_execz .LBB235_8
; %bb.7:                                ;   in Loop: Header=BB235_5 Depth=1
	v_add_nc_u32_e32 v0, v46, v0
	s_delay_alu instid0(VALU_DEP_1)
	v_mad_nc_i64_i32 v[0:1], v0, 36, v[52:53]
	global_load_b32 v0, v[0:1], off offset:4
	s_wait_loadcnt 0x0
	ds_store_b32 v57, v0
.LBB235_8:                              ;   in Loop: Header=BB235_5 Depth=1
	s_or_b32 exec_lo, exec_lo, s20
	v_add_nc_u32_e32 v8, s17, v23
	s_delay_alu instid0(VALU_DEP_1) | instskip(SKIP_1) | instid1(SALU_CYCLE_1)
	v_cmp_gt_i32_e32 vcc_lo, s5, v8
	s_and_b32 s21, s19, vcc_lo
	s_and_saveexec_b32 s20, s21
	s_cbranch_execz .LBB235_10
; %bb.9:                                ;   in Loop: Header=BB235_5 Depth=1
	v_add_nc_u32_e32 v0, v46, v8
	s_delay_alu instid0(VALU_DEP_1)
	v_mad_nc_i64_i32 v[0:1], v0, 36, s[2:3]
	global_load_b32 v0, v[0:1], off
	s_wait_loadcnt 0x0
	v_cvt_f32_f16_e32 v0, v0
	ds_store_b32 v116, v0
.LBB235_10:                             ;   in Loop: Header=BB235_5 Depth=1
	s_or_b32 exec_lo, exec_lo, s20
	s_wait_dscnt 0x0
	s_barrier_signal -1
	s_barrier_wait -1
	ds_load_b32 v9, v107
	ds_load_b32 v88, v108 offset:128
	ds_load_b32 v89, v110 offset:256
	;; [unrolled: 1-line block ×3, first 2 shown]
	s_mov_b32 s21, 0
	s_mov_b32 s20, -1
.LBB235_11:                             ;   Parent Loop BB235_5 Depth=1
                                        ; =>  This Inner Loop Header: Depth=2
	s_lshl_b32 s23, s21, 3
	v_lshl_or_b32 v133, s21, 1, v31
	s_lshr_b32 s22, s21, 1
	v_dual_add_nc_u32 v136, s23, v112 :: v_dual_add_nc_u32 v137, s23, v113
	s_add_co_i32 s21, s22, 0x8200
	v_dual_add_nc_u32 v138, s23, v114 :: v_dual_add_nc_u32 v139, s23, v115
	v_add3_u32 v4, s21, v119, v120
	v_add3_u32 v5, s21, v121, v122
	;; [unrolled: 1-line block ×3, first 2 shown]
	v_lshlrev_b32_e32 v140, 2, v133
	ds_load_2addr_b32 v[10:11], v136 offset0:6 offset1:7
	ds_load_2addr_b32 v[66:67], v136 offset0:10 offset1:11
	;; [unrolled: 1-line block ×9, first 2 shown]
	ds_load_u16 v141, v139 offset:32
	ds_load_b128 v[0:3], v139 offset:34
	ds_load_2addr_b32 v[84:85], v137 offset0:14 offset1:15
	ds_load_2addr_b32 v[68:69], v138 offset0:6 offset1:7
	;; [unrolled: 1-line block ×4, first 2 shown]
	ds_load_b32 v142, v4
	ds_load_2addr_b32 v[94:95], v136 offset0:12 offset1:13
	ds_load_b32 v103, v5
	ds_load_2addr_b32 v[96:97], v137 offset0:12 offset1:13
	ds_load_2addr_b32 v[98:99], v137 offset0:10 offset1:11
	ds_load_b32 v100, v6
	ds_load_2addr_b32 v[104:105], v138 offset0:11 offset1:12
	ds_load_2addr_b32 v[134:135], v138 offset0:9 offset1:10
	ds_load_b128 v[4:7], v140 offset:35440
	ds_load_b128 v[80:83], v140 offset:35424
	s_and_b32 vcc_lo, exec_lo, s20
	s_mov_b32 s20, 0
	s_wait_dscnt 0x10
	v_perm_b32 v143, v79, v79, 0x706000c
	v_perm_b32 v91, v78, v78, 0xc0c0c03
	s_wait_dscnt 0xe
	v_bfe_i32 v146, v2, 8, 8
	v_bfe_i32 v147, v2, 0, 8
	v_perm_b32 v149, v3, v0, 0xc0c0402
	v_perm_b32 v150, v2, v0, 0xc0c0600
	;; [unrolled: 1-line block ×4, first 2 shown]
	s_wait_dscnt 0x8
	v_perm_b32 v0, v92, v95, 0x7060403
	v_ashrrev_i32_e32 v102, 24, v3
	v_bfe_i32 v144, v3, 16, 8
	v_ashrrev_i32_e32 v145, 24, v1
	v_bfe_i32 v101, v1, 0, 8
	v_bfe_i32 v148, v1, 16, 8
	;; [unrolled: 1-line block ×3, first 2 shown]
	s_wait_dscnt 0x1
	v_perm_b32 v2, v94, v6, 0x6040501
	v_perm_b32 v92, v4, v92, 0x6040501
	v_perm_b32 v3, v5, v94, 0x6040503
	v_perm_b32 v94, v95, v4, 0x6040503
	v_perm_b32 v95, v97, v4, 0x6040503
	v_perm_b32 v79, v4, v79, 0x6040501
	v_dot4_i32_iu8 v2, v92, v2, 0 neg_lo:[1,1,0]
	v_perm_b32 v92, v84, v97, 0x7060403
	v_perm_b32 v84, v4, v84, 0x6040501
	;; [unrolled: 1-line block ×3, first 2 shown]
	v_bfe_i32 v97, v6, 8, 8
	v_dot4_i32_iu8 v2, v94, v3, v2 neg_lo:[1,1,0]
	v_perm_b32 v3, v96, v6, 0x6040501
	v_perm_b32 v94, v5, v96, 0x6040503
	v_bfe_i32 v153, v5, 16, 8
	v_ashrrev_i32_e32 v154, 24, v6
	v_perm_b32 v156, v7, v5, 0xc0c0701
	v_dot4_i32_iu8 v3, v84, v3, 0 neg_lo:[1,1,0]
	v_perm_b32 v84, v105, v6, 0x6040501
	v_perm_b32 v155, v7, v4, 0xc0c0503
	s_wait_dscnt 0x0
	v_bfe_i32 v159, v81, 16, 8
	v_bfe_i32 v160, v80, 8, 8
	v_dot4_i32_iu8 v3, v95, v94, v3 neg_lo:[1,1,0]
	v_perm_b32 v94, v5, v105, 0x6040503
	v_dot4_i32_iu8 v79, v79, v84, 0 neg_lo:[1,1,0]
	v_perm_b32 v84, v6, v5, 0x7060403
	v_bfe_i32 v105, v6, 16, 8
	v_mul_i32_i24_e32 v101, v101, v159
	s_delay_alu instid0(VALU_DEP_4)
	v_dot4_i32_iu8 v78, v78, v94, v79 neg_lo:[1,1,0]
	v_or_b32_e32 v79, v143, v91
	v_dot4_i32_iu8 v0, v84, v0, v2 neg_lo:[1,1,0]
	v_dot4_i32_iu8 v3, v84, v92, v3 neg_lo:[1,1,0]
	v_bfe_i32 v2, v6, 0, 8
	v_ashrrev_i32_e32 v6, 24, v5
	v_dot4_i32_iu8 v78, v84, v79, v78 neg_lo:[1,1,0]
	v_dot4_i32_iu8 v91, v7, v93, v0 neg_lo:[1,1,0]
	v_perm_b32 v0, v70, v82, 0x6040501
	v_dot4_i32_iu8 v93, v7, v85, v3 neg_lo:[1,1,0]
	v_perm_b32 v3, v7, v5, 0xc0c0600
	v_perm_b32 v5, v80, v66, 0x6040501
	v_bfe_i32 v143, v4, 8, 8
	v_bfe_i32 v84, v4, 0, 8
	v_dot4_i32_iu8 v92, v7, v87, v78 neg_lo:[1,1,0]
	v_perm_b32 v4, v7, v4, 0xc0c0402
	v_perm_b32 v7, v81, v70, 0x6040503
	;; [unrolled: 1-line block ×3, first 2 shown]
	v_dot4_i32_iu8 v0, v5, v0, 0 neg_lo:[1,1,0]
	v_perm_b32 v5, v76, v82, 0x6040501
	v_perm_b32 v78, v134, v80, 0x6040503
	;; [unrolled: 1-line block ×4, first 2 shown]
	v_dot4_i32_iu8 v0, v70, v7, v0 neg_lo:[1,1,0]
	v_perm_b32 v7, v80, v98, 0x6040501
	v_perm_b32 v70, v81, v76, 0x6040503
	;; [unrolled: 1-line block ×3, first 2 shown]
	v_bfe_i32 v85, v82, 8, 8
	v_mul_i32_i24_e32 v102, v102, v143
	v_dot4_i32_iu8 v5, v7, v5, 0 neg_lo:[1,1,0]
	v_perm_b32 v7, v77, v80, 0x6040503
	s_delay_alu instid0(VALU_DEP_1) | instskip(SKIP_2) | instid1(VALU_DEP_1)
	v_dot4_i32_iu8 v5, v7, v70, v5 neg_lo:[1,1,0]
	v_perm_b32 v7, v86, v82, 0x6040501
	v_perm_b32 v70, v80, v135, 0x6040501
	v_dot4_i32_iu8 v7, v70, v7, 0 neg_lo:[1,1,0]
	v_perm_b32 v70, v134, v134, 0xc0c0c03
	v_perm_b32 v134, v83, v80, 0xc0c0503
	s_delay_alu instid0(VALU_DEP_3)
	v_dot4_i32_iu8 v7, v78, v76, v7 neg_lo:[1,1,0]
	ds_load_b64 v[78:79], v139 offset:50
	ds_load_u16 v157, v139 offset:58
	ds_load_b32 v158, v139 offset:60
	v_perm_b32 v76, v98, v77, 0x7060403
	v_perm_b32 v77, v82, v81, 0x7060403
	v_or_b32_e32 v70, v71, v70
	ds_load_2addr_b32 v[86:87], v138 offset0:4 offset1:5
	v_dot4_i32_iu8 v0, v77, v66, v0 neg_lo:[1,1,0]
	v_dot4_i32_iu8 v5, v77, v76, v5 neg_lo:[1,1,0]
	v_ashrrev_i32_e32 v76, 24, v82
	s_delay_alu instid0(VALU_DEP_3)
	v_dot4_i32_iu8 v94, v83, v67, v0 neg_lo:[1,1,0]
	v_ashrrev_i32_e32 v0, 24, v81
	v_dot4_i32_iu8 v7, v77, v70, v7 neg_lo:[1,1,0]
	v_dot4_i32_iu8 v95, v83, v99, v5 neg_lo:[1,1,0]
	v_bfe_i32 v5, v80, 0, 8
	v_perm_b32 v99, v83, v81, 0xc0c0600
	s_wait_dscnt 0x3
	v_bfe_i32 v66, v79, 16, 8
	v_dot4_i32_iu8 v96, v83, v104, v7 neg_lo:[1,1,0]
	v_perm_b32 v7, v83, v80, 0xc0c0402
	v_perm_b32 v104, v83, v81, 0xc0c0701
	ds_load_2addr_b32 v[80:81], v139 offset0:6 offset1:7
	v_mul_i32_i24_e32 v2, v66, v2
	s_wait_dscnt 0x2
	v_perm_b32 v66, v158, v78, 0xc0c0501
	v_bfe_i32 v70, v82, 16, 8
	v_perm_b32 v67, v158, v78, 0xc0c0602
	v_mul_i32_i24_e32 v0, v1, v0
	v_perm_b32 v1, v158, v78, 0xc0c0400
	v_dot4_i32_iu8 v98, v66, v155, v2 neg_lo:[1,1,0]
	v_bfe_i32 v66, v79, 8, 8
	v_mul_i32_i24_e32 v2, v144, v84
	v_bfe_i32 v77, v82, 0, 8
	ds_load_2addr_b32 v[82:83], v139 offset0:4 offset1:5
	v_perm_b32 v78, v158, v78, 0xc0c0703
	v_mul_i32_i24_e32 v6, v66, v6
	v_bfe_i32 v66, v157, 0, 8
	v_lshrrev_b16 v157, 8, v157
	s_delay_alu instid0(VALU_DEP_3) | instskip(NEXT) | instid1(VALU_DEP_3)
	v_dot4_i32_iu8 v155, v1, v4, v6 neg_lo:[1,1,0]
	v_mul_i32_i24_e32 v66, v66, v105
	v_mul_i32_i24_e32 v1, v147, v70
	v_bfe_i32 v6, v141, 0, 8
	s_wait_dscnt 0x1
	v_bfe_i32 v84, v81, 0, 8
	ds_load_2addr_b32 v[70:71], v139 offset0:2 offset1:3
	v_dot4_i32_iu8 v144, v67, v3, v66 neg_lo:[1,1,0]
	v_ashrrev_i32_e32 v3, 24, v79
	v_dot4_i32_iu8 v147, v149, v99, v1 neg_lo:[1,1,0]
	v_dot4_i32_iu8 v149, v150, v7, v0 neg_lo:[1,1,0]
	v_mul_i32_i24_e32 v5, v6, v5
	v_mul_i32_i24_e32 v4, v146, v76
	v_mad_i32_i24 v97, v3, v97, v2
	ds_load_b128 v[0:3], v140 offset:35408
	v_mul_i32_i24_e32 v76, v148, v77
	v_mad_i32_i24 v99, v145, v85, v5
	s_wait_dscnt 0x2
	v_bfe_i32 v77, v83, 16, 8
	v_bfe_i32 v6, v80, 16, 8
	;; [unrolled: 1-line block ×3, first 2 shown]
	v_dot4_i32_iu8 v148, v152, v134, v76 neg_lo:[1,1,0]
	v_bfe_i32 v76, v81, 8, 8
	v_dot4_i32_iu8 v146, v151, v104, v4 neg_lo:[1,1,0]
	v_ashrrev_i32_e32 v4, 24, v83
	v_perm_b32 v5, v72, v10, 0x6050401
	ds_load_2addr_b32 v[66:67], v138 offset0:2 offset1:3
	v_bfe_i32 v157, v157, 0, 8
	v_perm_b32 v10, v10, v73, 0x7060403
	v_lshrrev_b16 v83, 8, v83
	s_delay_alu instid0(VALU_DEP_3) | instskip(NEXT) | instid1(VALU_DEP_2)
	v_mul_i32_i24_e32 v154, v157, v154
	v_bfe_i32 v83, v83, 0, 8
	s_wait_dscnt 0x1
	v_bfe_i32 v85, v3, 0, 8
	s_delay_alu instid0(VALU_DEP_3) | instskip(SKIP_1) | instid1(VALU_DEP_3)
	v_dot4_i32_iu8 v78, v78, v156, v154 neg_lo:[1,1,0]
	v_ashrrev_i32_e32 v154, 24, v2
	v_mul_i32_i24_e32 v84, v84, v85
	v_bfe_i32 v85, v1, 16, 8
	s_delay_alu instid0(VALU_DEP_1) | instskip(SKIP_3) | instid1(VALU_DEP_3)
	v_mad_i32_i24 v145, v77, v85, v84
	v_bfe_i32 v84, v2, 16, 8
	v_perm_b32 v77, v74, v14, 0x6050401
	v_perm_b32 v14, v14, v75, 0x7060403
	v_mul_i32_i24_e32 v6, v6, v84
	v_bfe_i32 v84, v1, 0, 8
	s_delay_alu instid0(VALU_DEP_1) | instskip(SKIP_2) | instid1(VALU_DEP_2)
	v_mad_i32_i24 v150, v7, v84, v6
	v_bfe_i32 v6, v3, 8, 8
	v_ashrrev_i32_e32 v7, 24, v1
	v_mul_i32_i24_e32 v6, v76, v6
	v_perm_b32 v76, v0, v2, 0x6050401
	s_delay_alu instid0(VALU_DEP_2) | instskip(SKIP_2) | instid1(VALU_DEP_4)
	v_mad_i32_i24 v151, v4, v7, v6
	v_perm_b32 v4, v73, v0, 0x6040503
	v_perm_b32 v6, v1, v72, 0x6040503
	v_dot4_i32_iu8 v5, v5, v76, 0 neg_lo:[1,1,0]
	v_ashrrev_i32_e32 v73, 24, v0
	s_delay_alu instid0(VALU_DEP_2)
	v_dot4_i32_iu8 v152, v6, v4, v5 neg_lo:[1,1,0]
	v_perm_b32 v4, v75, v0, 0x6040503
	v_perm_b32 v5, v1, v74, 0x6040503
	v_dot4_i32_iu8 v6, v77, v76, 0 neg_lo:[1,1,0]
	v_bfe_i32 v74, v71, 0, 8
	v_bfe_i32 v75, v82, 0, 8
	s_delay_alu instid0(VALU_DEP_3)
	v_dot4_i32_iu8 v161, v5, v4, v6 neg_lo:[1,1,0]
	v_perm_b32 v4, v86, v68, 0x6050401
	v_perm_b32 v5, v87, v0, 0x6040503
	;; [unrolled: 1-line block ×4, first 2 shown]
	v_ashrrev_i32_e32 v87, 24, v142
	v_dot4_i32_iu8 v4, v4, v76, 0 neg_lo:[1,1,0]
	ds_load_2addr_b32 v[76:77], v139 offset1:1
	v_dot4_i32_iu8 v162, v6, v5, v4 neg_lo:[1,1,0]
	v_bfe_i32 v4, v82, 8, 8
	v_bfe_i32 v5, v0, 8, 8
	;; [unrolled: 1-line block ×3, first 2 shown]
	s_delay_alu instid0(VALU_DEP_2) | instskip(SKIP_1) | instid1(VALU_DEP_1)
	v_mul_i32_i24_e32 v4, v4, v5
	v_bfe_i32 v5, v80, 8, 8
	v_mad_i32_i24 v72, v5, v6, v4
	v_bfe_i32 v4, v81, 16, 8
	v_bfe_i32 v5, v3, 16, 8
	;; [unrolled: 1-line block ×3, first 2 shown]
	s_delay_alu instid0(VALU_DEP_2) | instskip(SKIP_2) | instid1(VALU_DEP_2)
	v_mul_i32_i24_e32 v4, v4, v5
	v_bfe_i32 v5, v80, 0, 8
	v_ashrrev_i32_e32 v80, 24, v80
	v_mad_i32_i24 v163, v5, v6, v4
	ds_load_b128 v[4:7], v140 offset:35392
	v_mul_i32_i24_e32 v80, v80, v154
	v_lshrrev_b16 v154, 8, v1
	v_perm_b32 v1, v2, v1, 0x7060403
	s_delay_alu instid0(VALU_DEP_2) | instskip(NEXT) | instid1(VALU_DEP_2)
	v_bfe_i32 v154, v154, 0, 8
	v_dot4_i32_iu8 v2, v1, v10, v152 neg_lo:[1,1,0]
	v_dot4_i32_iu8 v10, v1, v14, v161 neg_lo:[1,1,0]
	;; [unrolled: 1-line block ×3, first 2 shown]
	v_bfe_i32 v14, v82, 16, 8
	v_bfe_i32 v68, v0, 16, 8
	v_dot4_i32_iu8 v2, v11, v3, v2 neg_lo:[1,1,0]
	v_mul_i32_i24_e32 v83, v83, v154
	v_bfe_i32 v0, v0, 0, 8
	s_delay_alu instid0(VALU_DEP_4)
	v_mul_i32_i24_e32 v14, v14, v68
	v_ashrrev_i32_e32 v68, 24, v82
	v_lshrrev_b16 v82, 8, v141
	s_wait_dscnt 0x0
	v_bfe_i32 v84, v7, 0, 8
	v_bfe_i32 v85, v5, 16, 8
	;; [unrolled: 1-line block ×3, first 2 shown]
	v_ashrrev_i32_e32 v104, 24, v5
	v_perm_b32 v164, v4, v6, 0x6050401
	v_mul_i32_i24_e32 v74, v74, v84
	v_bfe_i32 v84, v77, 16, 8
	v_bfe_i32 v165, v6, 8, 8
	v_mul_i32_i24_e32 v68, v68, v73
	v_lshrrev_b16 v73, 8, v5
	v_bfe_i32 v166, v6, 0, 8
	v_mad_i32_i24 v74, v84, v85, v74
	v_bfe_i32 v84, v70, 16, 8
	v_bfe_i32 v85, v6, 16, 8
	v_add3_u32 v14, v14, v68, v163
	v_ashrrev_i32_e32 v68, 24, v70
	v_bfe_i32 v73, v73, 0, 8
	v_perm_b32 v141, v3, v3, 0x3020001
	v_mul_i32_i24_e32 v84, v84, v85
	v_bfe_i32 v85, v77, 0, 8
	v_add3_u32 v80, v83, v80, v151
	v_bfe_i32 v83, v142, 0, 8
	v_bfe_i32 v82, v82, 0, 8
	v_mul_i32_i24_e32 v0, v75, v0
	v_mad_i32_i24 v86, v85, v86, v84
	v_bfe_i32 v84, v71, 8, 8
	v_bfe_i32 v85, v7, 8, 8
	v_add3_u32 v80, v150, v145, v80
	v_mul_i32_i24_e32 v82, v82, v160
	s_delay_alu instid0(VALU_DEP_3) | instskip(SKIP_1) | instid1(VALU_DEP_4)
	v_mul_i32_i24_e32 v84, v84, v85
	v_ashrrev_i32_e32 v85, 24, v77
	v_add3_u32 v0, v80, v0, v72
	s_delay_alu instid0(VALU_DEP_2)
	v_mad_i32_i24 v139, v85, v104, v84
	v_add3_u32 v84, s21, v117, v118
	ds_load_b32 v140, v84
	ds_load_2addr_b32 v[84:85], v136 offset0:2 offset1:3
	ds_load_2addr_b32 v[104:105], v136 offset1:1
	s_mov_b32 s21, 8
	s_wait_dscnt 0x2
	v_bfe_i32 v75, v140, 8, 8
	s_wait_dscnt 0x0
	v_perm_b32 v134, v104, v84, 0x6050401
	v_perm_b32 v135, v105, v4, 0x6040503
	v_perm_b32 v104, v5, v104, 0x6040503
	v_mul_lo_u32 v2, v2, v75
	s_delay_alu instid0(VALU_DEP_4) | instskip(NEXT) | instid1(VALU_DEP_1)
	v_dot4_i32_iu8 v134, v134, v164, 0 neg_lo:[1,1,0]
	v_dot4_i32_iu8 v104, v104, v135, v134 neg_lo:[1,1,0]
	ds_load_2addr_b32 v[134:135], v137 offset1:1
	s_wait_dscnt 0x0
	v_perm_b32 v136, v134, v12, 0x6050401
	v_perm_b32 v137, v135, v4, 0x6040503
	;; [unrolled: 1-line block ×4, first 2 shown]
	v_bfe_i32 v135, v100, 0, 8
	v_dot4_i32_iu8 v136, v136, v164, 0 neg_lo:[1,1,0]
	s_delay_alu instid0(VALU_DEP_1)
	v_dot4_i32_iu8 v134, v134, v137, v136 neg_lo:[1,1,0]
	ds_load_2addr_b32 v[136:137], v138 offset1:1
	s_wait_dscnt 0x0
	v_perm_b32 v138, v136, v66, 0x6050401
	v_perm_b32 v136, v5, v136, 0x6040503
	;; [unrolled: 1-line block ×4, first 2 shown]
	s_delay_alu instid0(VALU_DEP_4) | instskip(SKIP_2) | instid1(VALU_DEP_4)
	v_dot4_i32_iu8 v138, v138, v164, 0 neg_lo:[1,1,0]
	v_perm_b32 v164, v137, v4, 0x6040503
	v_ashrrev_i32_e32 v137, 24, v3
	v_dot4_i32_iu8 v12, v5, v12, v134 neg_lo:[1,1,0]
	v_dot4_i32_iu8 v3, v15, v3, v10 neg_lo:[1,1,0]
	v_bfe_i32 v134, v103, 0, 8
	v_dot4_i32_iu8 v136, v136, v164, v138 neg_lo:[1,1,0]
	v_bfe_i32 v138, v76, 8, 8
	v_bfe_i32 v164, v4, 8, 8
	v_dot4_i32_iu8 v11, v13, v7, v12 neg_lo:[1,1,0]
	s_delay_alu instid0(VALU_DEP_2) | instskip(SKIP_1) | instid1(VALU_DEP_1)
	v_mul_i32_i24_e32 v138, v138, v164
	v_bfe_i32 v164, v70, 8, 8
	v_mad_i32_i24 v138, v164, v165, v138
	v_bfe_i32 v164, v71, 16, 8
	v_bfe_i32 v165, v7, 16, 8
	v_ashrrev_i32_e32 v71, 24, v71
	s_delay_alu instid0(VALU_DEP_2) | instskip(SKIP_2) | instid1(VALU_DEP_2)
	v_mul_i32_i24_e32 v164, v164, v165
	v_bfe_i32 v165, v70, 0, 8
	v_ashrrev_i32_e32 v70, 24, v6
	v_mad_i32_i24 v164, v165, v166, v164
	s_delay_alu instid0(VALU_DEP_2) | instskip(SKIP_3) | instid1(VALU_DEP_3)
	v_mul_i32_i24_e32 v68, v68, v70
	v_lshrrev_b16 v70, 8, v77
	v_perm_b32 v77, v69, v69, 0x7060001
	v_bfe_i32 v69, v76, 16, 8
	v_bfe_i32 v70, v70, 0, 8
	s_delay_alu instid0(VALU_DEP_3) | instskip(NEXT) | instid1(VALU_DEP_2)
	v_dot4_i32_iu8 v1, v77, v141, v1 neg_lo:[1,1,0]
	v_mul_i32_i24_e32 v70, v70, v73
	v_ashrrev_i32_e32 v73, 24, v81
	v_bfe_i32 v81, v4, 16, 8
	s_delay_alu instid0(VALU_DEP_3) | instskip(SKIP_1) | instid1(VALU_DEP_3)
	v_add3_u32 v70, v70, v68, v139
	v_perm_b32 v68, v84, v105, 0x7060403
	v_mul_i32_i24_e32 v81, v69, v81
	v_dual_ashrrev_i32 v69, 24, v4 :: v_dual_ashrrev_i32 v139, 24, v7
	v_bfe_i32 v4, v4, 0, 8
	s_delay_alu instid0(VALU_DEP_4)
	v_dot4_i32_iu8 v6, v5, v68, v104 neg_lo:[1,1,0]
	v_dot4_i32_iu8 v5, v5, v66, v136 neg_lo:[1,1,0]
	v_bfe_i32 v66, v79, 0, 8
	v_dual_ashrrev_i32 v79, 24, v76 :: v_dual_lshrrev_b32 v68, 1, v133
	v_bfe_i32 v76, v76, 0, 8
	v_dual_add_nc_u32 v104, v148, v146 :: v_dual_add_nc_u32 v133, v149, v147
	s_delay_alu instid0(VALU_DEP_3)
	v_mul_i32_i24_e32 v79, v79, v69
	ds_load_b64 v[68:69], v68 offset:36944
	v_mul_i32_i24_e32 v71, v71, v139
	v_add_nc_u32_e32 v139, v155, v144
	v_mul_i32_i24_e32 v73, v73, v137
	v_add3_u32 v79, v81, v79, v164
	v_bfe_i32 v81, v142, 8, 8
	v_bfe_i32 v105, v103, 8, 8
	v_add3_u32 v82, v133, v104, v82
	v_bfe_i32 v133, v100, 8, 8
	v_mul_i32_i24_e32 v4, v76, v4
	v_mul_lo_u32 v3, v3, v81
	v_add3_u32 v10, v86, v74, v70
	v_add3_u32 v0, v0, v14, v73
	v_bfe_i32 v84, v142, 16, 8
	v_dual_ashrrev_i32 v104, 24, v103 :: v_dual_ashrrev_i32 v136, 24, v100
	v_bfe_i32 v103, v103, 16, 8
	v_bfe_i32 v100, v100, 16, 8
	;; [unrolled: 1-line block ×3, first 2 shown]
	v_mul_lo_u32 v1, v1, v105
	v_add3_u32 v4, v10, v4, v138
	v_mad_u32 v3, v11, v83, v3
	v_add3_u32 v10, v82, v99, v101
	v_mul_lo_u32 v0, v0, v133
	v_mul_lo_u32 v12, v94, v76
	;; [unrolled: 1-line block ×5, first 2 shown]
	v_mul_i32_i24_e32 v66, v66, v153
	v_bfe_i32 v137, v140, 0, 8
	v_dot4_i32_iu8 v6, v85, v7, v6 neg_lo:[1,1,0]
	v_dot4_i32_iu8 v5, v67, v7, v5 neg_lo:[1,1,0]
	v_cvt_f32_i32_e32 v3, v3
	v_add3_u32 v4, v4, v79, v71
	v_ashrrev_i32_e32 v140, 24, v140
	v_mad_u32 v2, v6, v137, v2
	v_mad_u32 v1, v5, v134, v1
	s_wait_dscnt 0x0
	v_fma_f32 v3, v68, v3, 0
	v_add_nc_u32_e32 v78, v98, v78
	v_mad_u32 v0, v4, v135, v0
	v_mad_u32 v12, v91, v140, v12
	;; [unrolled: 1-line block ×4, first 2 shown]
	v_add3_u32 v7, v139, v78, v102
	v_cvt_f32_i32_e32 v2, v2
	v_cvt_f32_i32_e32 v1, v1
	s_delay_alu instid0(VALU_DEP_3) | instskip(SKIP_3) | instid1(VALU_DEP_4)
	v_add3_u32 v7, v7, v97, v66
	v_cvt_f32_i32_e32 v0, v0
	v_cvt_f32_i32_e32 v6, v12
	v_fma_f32 v2, v68, v2, 0
	v_mad_u32 v5, v7, v136, v10
	v_cvt_f32_i32_e32 v7, v13
	v_cvt_f32_i32_e32 v4, v4
	v_fma_f32 v1, v68, v1, 0
	v_fma_f32 v0, v68, v0, 0
	s_delay_alu instid0(VALU_DEP_4) | instskip(NEXT) | instid1(VALU_DEP_3)
	v_dual_fmac_f32 v2, v69, v6 :: v_dual_fmac_f32 v3, v69, v7
	v_fmac_f32_e32 v1, v69, v4
	v_cvt_f32_i32_e32 v5, v5
	s_delay_alu instid0(VALU_DEP_2) | instskip(NEXT) | instid1(VALU_DEP_2)
	v_dual_fmac_f32 v106, v88, v3 :: v_dual_fmac_f32 v65, v89, v1
	v_fmac_f32_e32 v0, v69, v5
	s_delay_alu instid0(VALU_DEP_1)
	v_dual_fmac_f32 v109, v9, v2 :: v_dual_fmac_f32 v63, v90, v0
	s_cbranch_vccnz .LBB235_11
; %bb.12:                               ;   in Loop: Header=BB235_5 Depth=1
	s_bitset1_b32 s16, 7
	s_delay_alu instid0(SALU_CYCLE_1)
	s_cmp_ge_i32 s16, s11
	s_barrier_signal -1
	s_barrier_wait -1
	s_cbranch_scc1 .LBB235_4
; %bb.13:                               ;   in Loop: Header=BB235_5 Depth=1
	v_add_nc_u32_e32 v0, s17, v61
	s_delay_alu instid0(VALU_DEP_1) | instskip(SKIP_1) | instid1(SALU_CYCLE_1)
	v_cmp_gt_i32_e32 vcc_lo, s5, v0
	s_and_b32 s17, s1, vcc_lo
	s_and_saveexec_b32 s16, s17
	s_cbranch_execz .LBB235_15
; %bb.14:                               ;   in Loop: Header=BB235_5 Depth=1
	v_add_nc_u32_e32 v0, v46, v0
	s_delay_alu instid0(VALU_DEP_1)
	v_mad_nc_i64_i32 v[0:1], v0, 36, v[52:53]
	global_load_b32 v0, v[0:1], off offset:4
	s_wait_loadcnt 0x0
	ds_store_b32 v57, v0
.LBB235_15:                             ;   in Loop: Header=BB235_5 Depth=1
	s_or_b32 exec_lo, exec_lo, s16
	s_and_saveexec_b32 s16, s0
	s_cbranch_execz .LBB235_18
; %bb.16:                               ;   in Loop: Header=BB235_5 Depth=1
	v_or_b32_e32 v0, 4, v8
	s_delay_alu instid0(VALU_DEP_1) | instskip(SKIP_1) | instid1(SALU_CYCLE_1)
	v_cmp_gt_i32_e32 vcc_lo, s5, v0
	s_and_b32 s17, s1, vcc_lo
	s_and_b32 exec_lo, exec_lo, s17
	s_cbranch_execz .LBB235_18
; %bb.17:                               ;   in Loop: Header=BB235_5 Depth=1
	v_ashrrev_i32_e32 v9, 31, v8
	s_delay_alu instid0(VALU_DEP_1) | instskip(NEXT) | instid1(VALU_DEP_1)
	v_add_nc_u64_e32 v[0:1], v[46:47], v[8:9]
	v_mad_nc_u64_u32 v[2:3], v0, 36, s[2:3]
	s_delay_alu instid0(VALU_DEP_1)
	v_mad_i32_i24 v3, v1, 36, v3
	global_load_b32 v0, v[2:3], off offset:144
	s_wait_loadcnt 0x0
	v_cvt_f32_f16_e32 v0, v0
	ds_store_b32 v116, v0
.LBB235_18:                             ;   in Loop: Header=BB235_5 Depth=1
	s_or_b32 exec_lo, exec_lo, s16
	s_wait_dscnt 0x0
	s_barrier_signal -1
	s_barrier_wait -1
	ds_load_b32 v133, v107
	ds_load_b32 v134, v108 offset:128
	ds_load_b32 v135, v110 offset:256
	;; [unrolled: 1-line block ×3, first 2 shown]
	s_mov_b32 s16, 16
.LBB235_19:                             ;   Parent Loop BB235_5 Depth=1
                                        ; =>  This Inner Loop Header: Depth=2
	s_delay_alu instid0(SALU_CYCLE_1)
	s_lshl_b32 s17, s16, 1
	s_lshl_b32 s21, s16, 3
	v_and_or_b32 v0, s17, 16, v31
	s_lshr_b32 s20, s16, 1
	v_dual_add_nc_u32 v1, s21, v112 :: v_dual_add_nc_u32 v2, s21, v113
	s_add_co_i32 s20, s20, 0x8200
	v_dual_add_nc_u32 v3, s21, v114 :: v_dual_add_nc_u32 v4, s21, v115
	v_add3_u32 v5, s20, v117, v118
	v_add3_u32 v6, s20, v119, v120
	;; [unrolled: 1-line block ×4, first 2 shown]
	v_dual_lshlrev_b32 v12, 2, v0 :: v_dual_lshrrev_b32 v82, 1, v0
	ds_load_2addr_b32 v[66:67], v1 offset0:6 offset1:7
	ds_load_2addr_b32 v[74:75], v1 offset0:10 offset1:11
	;; [unrolled: 1-line block ×5, first 2 shown]
	ds_load_2addr_b32 v[90:91], v1 offset1:1
	ds_load_2addr_b32 v[72:73], v2 offset0:6 offset1:7
	ds_load_2addr_b32 v[102:103], v2 offset0:8 offset1:9
	;; [unrolled: 1-line block ×8, first 2 shown]
	ds_load_2addr_b32 v[98:99], v3 offset1:1
	ds_load_2addr_b32 v[144:145], v3 offset0:13 offset1:14
	ds_load_2addr_b32 v[80:81], v3 offset0:8 offset1:15
	;; [unrolled: 1-line block ×5, first 2 shown]
	ds_load_2addr_b32 v[152:153], v4 offset1:1
	ds_load_u16 v137, v4 offset:32
	ds_load_b128 v[138:141], v4 offset:34
	ds_load_b64 v[154:155], v4 offset:50
	ds_load_u16 v162, v4 offset:58
	ds_load_b32 v163, v4 offset:60
	ds_load_2addr_b32 v[84:85], v1 offset0:14 offset1:15
	ds_load_2addr_b32 v[100:101], v2 offset1:1
	ds_load_2addr_b32 v[156:157], v1 offset0:12 offset1:13
	ds_load_2addr_b32 v[158:159], v2 offset0:12 offset1:13
	;; [unrolled: 1-line block ×5, first 2 shown]
	ds_load_b32 v164, v6
	ds_load_b32 v165, v7
	;; [unrolled: 1-line block ×4, first 2 shown]
	ds_load_b128 v[0:3], v12 offset:35392
	ds_load_b128 v[4:7], v12 offset:35408
	;; [unrolled: 1-line block ×4, first 2 shown]
	ds_load_b64 v[82:83], v82 offset:36944
	s_wait_dscnt 0x27
	v_perm_b32 v168, v74, v105, 0x7060403
	s_wait_dscnt 0x1a
	v_perm_b32 v170, v145, v145, 0x706000c
	v_perm_b32 v169, v144, v144, 0xc0c0c03
	s_wait_dscnt 0x11
	v_lshrrev_b16 v177, 8, v162
	v_bfe_i32 v162, v162, 0, 8
	v_dual_ashrrev_i32 v173, 24, v155 :: v_dual_ashrrev_i32 v174, 24, v141
	s_wait_dscnt 0xd
	v_perm_b32 v216, v84, v157, 0x7060403
	s_wait_dscnt 0xc
	v_perm_b32 v217, v76, v159, 0x7060403
	;; [unrolled: 2-line block ×3, first 2 shown]
	v_bfe_i32 v176, v155, 0, 8
	v_bfe_i32 v178, v155, 16, 8
	;; [unrolled: 1-line block ×3, first 2 shown]
	v_perm_b32 v179, v163, v154, 0xc0c0602
	s_wait_dscnt 0x5
	v_bfe_i32 v230, v167, 8, 8
	v_bfe_i32 v231, v167, 0, 8
	;; [unrolled: 1-line block ×3, first 2 shown]
	s_wait_dscnt 0x2
	v_perm_b32 v74, v8, v74, 0x6040501
	s_wait_dscnt 0x1
	v_perm_b32 v233, v156, v14, 0x6040501
	v_perm_b32 v84, v12, v84, 0x6040501
	;; [unrolled: 1-line block ×6, first 2 shown]
	v_dot4_i32_iu8 v84, v84, v233, 0 neg_lo:[1,1,0]
	v_perm_b32 v105, v105, v8, 0x6040503
	v_perm_b32 v88, v8, v88, 0x6040501
	;; [unrolled: 1-line block ×3, first 2 shown]
	v_dot4_i32_iu8 v76, v76, v234, 0 neg_lo:[1,1,0]
	v_dot4_i32_iu8 v84, v157, v156, v84 neg_lo:[1,1,0]
	v_perm_b32 v157, v13, v158, 0x6040503
	v_perm_b32 v158, v159, v12, 0x6040503
	;; [unrolled: 1-line block ×5, first 2 shown]
	v_ashrrev_i32_e32 v167, 24, v167
	v_dot4_i32_iu8 v76, v158, v157, v76 neg_lo:[1,1,0]
	v_perm_b32 v158, v102, v10, 0x6040501
	v_dot4_i32_iu8 v74, v74, v159, 0 neg_lo:[1,1,0]
	v_perm_b32 v102, v9, v102, 0x6040503
	v_ashrrev_i32_e32 v159, 24, v13
	v_perm_b32 v180, v163, v154, 0xc0c0400
	v_dot4_i32_iu8 v88, v88, v158, 0 neg_lo:[1,1,0]
	v_dot4_i32_iu8 v74, v105, v104, v74 neg_lo:[1,1,0]
	v_perm_b32 v105, v87, v14, 0x6040501
	v_perm_b32 v87, v13, v87, 0x6040503
	v_perm_b32 v158, v160, v8, 0x6040503
	v_dot4_i32_iu8 v88, v103, v102, v88 neg_lo:[1,1,0]
	v_perm_b32 v103, v144, v12, 0x6040503
	v_perm_b32 v144, v80, v10, 0x6040501
	v_dot4_i32_iu8 v105, v145, v105, 0 neg_lo:[1,1,0]
	v_perm_b32 v145, v8, v161, 0x6040501
	v_perm_b32 v80, v9, v80, 0x6040503
	;; [unrolled: 1-line block ×4, first 2 shown]
	v_dot4_i32_iu8 v87, v103, v87, v105 neg_lo:[1,1,0]
	v_bfe_i32 v105, v14, 16, 8
	v_dot4_i32_iu8 v144, v145, v144, 0 neg_lo:[1,1,0]
	v_bfe_i32 v160, v177, 0, 8
	v_perm_b32 v161, v15, v12, 0xc0c0402
	v_mul_i32_i24_e32 v155, v155, v159
	v_mul_i32_i24_e32 v105, v162, v105
	v_dot4_i32_iu8 v80, v158, v80, v144 neg_lo:[1,1,0]
	v_perm_b32 v158, v15, v13, 0xc0c0600
	v_perm_b32 v181, v163, v154, 0xc0c0703
	v_dot4_i32_iu8 v155, v180, v161, v155 neg_lo:[1,1,0]
	v_bfe_i32 v161, v14, 0, 8
	v_perm_b32 v162, v15, v13, 0xc0c0701
	v_dot4_i32_iu8 v105, v179, v158, v105 neg_lo:[1,1,0]
	v_ashrrev_i32_e32 v158, 24, v14
	v_perm_b32 v154, v163, v154, 0xc0c0501
	v_mul_i32_i24_e32 v161, v178, v161
	v_bfe_i32 v185, v140, 0, 8
	v_lshrrev_b16 v182, 8, v137
	v_mul_i32_i24_e32 v158, v160, v158
	v_bfe_i32 v137, v137, 0, 8
	v_bfe_i32 v175, v141, 16, 8
	;; [unrolled: 1-line block ×4, first 2 shown]
	v_dot4_i32_iu8 v158, v181, v162, v158 neg_lo:[1,1,0]
	v_perm_b32 v162, v15, v12, 0xc0c0503
	v_bfe_i32 v184, v140, 8, 8
	v_perm_b32 v187, v141, v138, 0xc0c0402
	v_perm_b32 v188, v140, v138, 0xc0c0600
	v_perm_b32 v141, v141, v138, 0xc0c0503
	v_dot4_i32_iu8 v154, v154, v162, v161 neg_lo:[1,1,0]
	v_bfe_i32 v162, v10, 16, 8
	v_perm_b32 v138, v140, v138, 0xc0c0701
	v_bfe_i32 v140, v146, 8, 8
	v_dual_ashrrev_i32 v191, 24, v149 :: v_dual_ashrrev_i32 v196, 24, v146
	s_delay_alu instid0(VALU_DEP_4)
	v_mul_i32_i24_e32 v162, v185, v162
	v_bfe_i32 v185, v8, 0, 8
	v_bfe_i32 v193, v146, 0, 8
	;; [unrolled: 1-line block ×4, first 2 shown]
	v_mul_i32_i24_e32 v175, v175, v177
	v_mul_i32_i24_e32 v137, v137, v185
	v_bfe_i32 v185, v10, 0, 8
	v_dual_ashrrev_i32 v163, 24, v139 :: v_dual_ashrrev_i32 v190, 24, v148
	v_bfe_i32 v183, v139, 0, 8
	v_bfe_i32 v139, v139, 8, 8
	s_delay_alu instid0(VALU_DEP_4)
	v_mul_i32_i24_e32 v185, v186, v185
	v_bfe_i32 v186, v6, 16, 8
	v_bfe_i32 v194, v147, 8, 8
	v_ashrrev_i32_e32 v177, 24, v7
	v_mad_i32_i24 v104, v173, v104, v175
	v_ashrrev_i32_e32 v173, 24, v9
	v_perm_b32 v175, v11, v9, 0xc0c0600
	v_mul_i32_i24_e32 v146, v146, v186
	v_bfe_i32 v186, v7, 8, 8
	v_bfe_i32 v195, v147, 0, 8
	;; [unrolled: 1-line block ×3, first 2 shown]
	v_dual_ashrrev_i32 v147, 24, v147 :: v_dual_ashrrev_i32 v204, 24, v152
	v_perm_b32 v198, v92, v66, 0x6050401
	v_dot4_i32_iu8 v162, v187, v175, v162 neg_lo:[1,1,0]
	v_ashrrev_i32_e32 v175, 24, v10
	v_perm_b32 v180, v11, v8, 0xc0c0402
	v_mul_i32_i24_e32 v139, v139, v173
	v_bfe_i32 v12, v12, 8, 8
	v_mul_i32_i24_e32 v186, v194, v186
	v_perm_b32 v194, v4, v6, 0x6050401
	v_lshrrev_b16 v171, 8, v149
	v_bfe_i32 v189, v148, 16, 8
	v_perm_b32 v199, v94, v72, 0x6050401
	v_bfe_i32 v202, v150, 8, 8
	v_dual_ashrrev_i32 v205, 24, v153 :: v_dual_ashrrev_i32 v210, 24, v150
	v_bfe_i32 v207, v150, 0, 8
	v_bfe_i32 v150, v150, 16, 8
	v_lshrrev_b16 v156, 8, v5
	v_bfe_i32 v102, v13, 16, 8
	v_bfe_i32 v145, v9, 16, 8
	;; [unrolled: 1-line block ×3, first 2 shown]
	v_ashrrev_i32_e32 v160, 24, v4
	v_dot4_i32_iu8 v139, v188, v180, v139 neg_lo:[1,1,0]
	v_ashrrev_i32_e32 v180, 24, v0
	v_perm_b32 v181, v11, v9, 0xc0c0701
	v_mul_i32_i24_e32 v175, v184, v175
	v_mul_i32_i24_e32 v12, v174, v12
	v_bfe_i32 v174, v8, 8, 8
	v_bfe_i32 v182, v182, 0, 8
	v_ashrrev_i32_e32 v187, 24, v6
	v_mul_i32_i24_e32 v147, v147, v177
	v_dot4_i32_iu8 v177, v198, v194, 0 neg_lo:[1,1,0]
	v_bfe_i32 v198, v2, 16, 8
	v_bfe_i32 v188, v7, 0, 8
	;; [unrolled: 1-line block ×3, first 2 shown]
	v_perm_b32 v212, v90, v68, 0x6050401
	v_perm_b32 v213, v100, v70, 0x6050401
	;; [unrolled: 1-line block ×3, first 2 shown]
	v_lshrrev_b16 v157, 8, v1
	v_bfe_i32 v161, v7, 16, 8
	v_bfe_i32 v179, v2, 8, 8
	;; [unrolled: 1-line block ×3, first 2 shown]
	v_dot4_i32_iu8 v141, v141, v181, v175 neg_lo:[1,1,0]
	v_perm_b32 v90, v1, v90, 0x6040503
	v_perm_b32 v100, v1, v100, 0x6040503
	;; [unrolled: 1-line block ×3, first 2 shown]
	v_or_b32_e32 v181, v220, v219
	v_mul_i32_i24_e32 v102, v176, v102
	v_ashrrev_i32_e32 v176, 24, v1
	v_mul_i32_i24_e32 v174, v182, v174
	v_bfe_i32 v182, v1, 0, 8
	v_mul_i32_i24_e32 v145, v183, v145
	v_bfe_i32 v183, v1, 16, 8
	v_mul_i32_i24_e32 v159, v189, v159
	v_mul_i32_i24_e32 v160, v190, v160
	v_ashrrev_i32_e32 v189, 24, v5
	v_mul_i32_i24_e32 v187, v196, v187
	v_bfe_i32 v190, v5, 0, 8
	v_dot4_i32_iu8 v196, v199, v194, 0 neg_lo:[1,1,0]
	v_ashrrev_i32_e32 v199, 24, v2
	v_mul_i32_i24_e32 v150, v150, v198
	v_perm_b32 v8, v11, v8, 0xc0c0503
	v_bfe_i32 v171, v171, 0, 8
	v_perm_b32 v198, v0, v2, 0x6050401
	v_perm_b32 v1, v2, v1, 0x7060403
	v_bfe_i32 v2, v156, 0, 8
	v_perm_b32 v200, v96, v142, 0x6050401
	v_bfe_i32 v201, v148, 8, 8
	v_bfe_i32 v148, v148, 0, 8
	v_perm_b32 v66, v66, v93, 0x7060403
	v_perm_b32 v72, v72, v95, 0x7060403
	;; [unrolled: 1-line block ×6, first 2 shown]
	v_mul_i32_i24_e32 v188, v195, v188
	v_bfe_i32 v195, v4, 8, 8
	v_bfe_i32 v4, v4, 0, 8
	;; [unrolled: 1-line block ×4, first 2 shown]
	v_perm_b32 v92, v5, v92, 0x6040503
	v_perm_b32 v94, v5, v94, 0x6040503
	v_mul_i32_i24_e32 v161, v197, v161
	v_bfe_i32 v197, v5, 16, 8
	v_dot4_i32_iu8 v8, v138, v8, v185 neg_lo:[1,1,0]
	v_mul_i32_i24_e32 v2, v171, v2
	v_mad_i32_i24 v138, v192, v190, v146
	v_mad_i32_i24 v146, v191, v189, v186
	v_lshrrev_b16 v172, 8, v153
	v_bfe_i32 v208, v151, 8, 8
	v_mul_i32_i24_e32 v4, v148, v4
	v_bfe_i32 v148, v3, 8, 8
	v_bfe_i32 v144, v6, 8, 8
	;; [unrolled: 1-line block ×3, first 2 shown]
	v_dual_ashrrev_i32 v170, 24, v3 :: v_dual_bitop2_b32 v169, v170, v169 bitop3:0x54
	v_perm_b32 v96, v5, v96, 0x6040503
	v_dot4_i32_iu8 v194, v200, v194, 0 neg_lo:[1,1,0]
	v_mul_i32_i24_e32 v195, v201, v195
	v_perm_b32 v13, v14, v13, 0x7060403
	v_perm_b32 v9, v10, v9, 0x7060403
	;; [unrolled: 1-line block ×3, first 2 shown]
	v_mad_i32_i24 v103, v163, v103, v137
	v_mad_i32_i24 v137, v149, v197, v188
	v_dot4_i32_iu8 v92, v92, v93, v177 neg_lo:[1,1,0]
	v_dot4_i32_iu8 v93, v94, v95, v196 neg_lo:[1,1,0]
	v_add3_u32 v2, v2, v187, v146
	v_bfe_i32 v209, v151, 0, 8
	v_bfe_i32 v211, v151, 16, 8
	v_ashrrev_i32_e32 v151, 24, v151
	v_bfe_i32 v200, v3, 0, 8
	v_mul_i32_i24_e32 v148, v208, v148
	v_bfe_i32 v172, v172, 0, 8
	v_bfe_i32 v156, v157, 0, 8
	;; [unrolled: 1-line block ×5, first 2 shown]
	v_dot4_i32_iu8 v94, v96, v97, v194 neg_lo:[1,1,0]
	v_mad_i32_i24 v95, v140, v144, v195
	v_mad_i32_i24 v96, v193, v178, v161
	v_dot4_i32_iu8 v84, v13, v216, v84 neg_lo:[1,1,0]
	v_dot4_i32_iu8 v76, v13, v217, v76 neg_lo:[1,1,0]
	v_dot4_i32_iu8 v74, v9, v168, v74 neg_lo:[1,1,0]
	v_dot4_i32_iu8 v88, v9, v218, v88 neg_lo:[1,1,0]
	v_dot4_i32_iu8 v13, v13, v169, v87 neg_lo:[1,1,0]
	v_dot4_i32_iu8 v9, v9, v181, v80 neg_lo:[1,1,0]
	v_dual_add_nc_u32 v80, v154, v158 :: v_dual_add_nc_u32 v8, v8, v141
	v_add_nc_u32_e32 v87, v155, v105
	v_mul_i32_i24_e32 v14, v210, v199
	v_bfe_i32 v199, v0, 0, 8
	v_dot4_i32_iu8 v66, v5, v66, v92 neg_lo:[1,1,0]
	v_dot4_i32_iu8 v72, v5, v72, v93 neg_lo:[1,1,0]
	v_add3_u32 v2, v138, v137, v2
	v_bfe_i32 v206, v153, 0, 8
	v_bfe_i32 v153, v153, 16, 8
	v_perm_b32 v68, v68, v91, 0x7060403
	v_perm_b32 v70, v70, v101, 0x7060403
	;; [unrolled: 1-line block ×3, first 2 shown]
	v_bfe_i32 v221, v164, 8, 8
	v_bfe_i32 v222, v164, 0, 8
	;; [unrolled: 1-line block ×3, first 2 shown]
	v_ashrrev_i32_e32 v164, 24, v164
	v_bfe_i32 v173, v0, 16, 8
	v_bfe_i32 v175, v3, 16, 8
	v_perm_b32 v91, v91, v0, 0x6040503
	v_perm_b32 v101, v101, v0, 0x6040503
	;; [unrolled: 1-line block ×3, first 2 shown]
	v_mul_i32_i24_e32 v10, v209, v200
	v_mul_i32_i24_e32 v151, v151, v170
	v_bfe_i32 v0, v0, 8, 8
	v_dot4_i32_iu8 v170, v212, v198, 0 neg_lo:[1,1,0]
	v_dot4_i32_iu8 v200, v213, v198, 0 neg_lo:[1,1,0]
	v_mul_i32_i24_e32 v97, v172, v156
	v_mad_i32_i24 v144, v205, v176, v148
	v_mul_i32_i24_e32 v6, v152, v199
	v_perm_b32 v152, v7, v7, 0x3020001
	v_add3_u32 v92, v159, v160, v96
	v_dot4_i32_iu8 v74, v11, v75, v74 neg_lo:[1,1,0]
	v_dot4_i32_iu8 v75, v11, v89, v88 neg_lo:[1,1,0]
	;; [unrolled: 1-line block ×3, first 2 shown]
	v_add3_u32 v11, v87, v80, v12
	v_dot4_i32_iu8 v12, v67, v7, v66 neg_lo:[1,1,0]
	v_dot4_i32_iu8 v7, v73, v7, v72 neg_lo:[1,1,0]
	v_add3_u32 v2, v2, v4, v95
	v_mul_i32_i24_e32 v175, v211, v175
	v_dot4_i32_iu8 v198, v214, v198, 0 neg_lo:[1,1,0]
	v_mul_i32_i24_e32 v0, v215, v0
	v_mad_i32_i24 v10, v153, v183, v10
	v_mad_i32_i24 v140, v206, v182, v150
	v_dot4_i32_iu8 v90, v90, v91, v170 neg_lo:[1,1,0]
	v_dot4_i32_iu8 v91, v100, v101, v200 neg_lo:[1,1,0]
	v_add3_u32 v14, v97, v14, v144
	v_bfe_i32 v227, v166, 8, 8
	v_mul_lo_u32 v7, v7, v221
	v_add3_u32 v2, v2, v92, v147
	v_mul_i32_i24_e32 v173, v203, v173
	v_mul_i32_i24_e32 v180, v204, v180
	v_dot4_i32_iu8 v98, v98, v99, v198 neg_lo:[1,1,0]
	v_mad_i32_i24 v0, v202, v179, v0
	v_mad_i32_i24 v99, v207, v184, v175
	v_dot4_i32_iu8 v70, v1, v70, v91 neg_lo:[1,1,0]
	v_add3_u32 v10, v140, v10, v14
	v_mul_lo_u32 v66, v75, v223
	v_mul_lo_u32 v2, v2, v227
	v_perm_b32 v143, v143, v143, 0x7060001
	v_dot4_i32_iu8 v5, v5, v142, v94 neg_lo:[1,1,0]
	v_dot4_i32_iu8 v68, v1, v68, v90 neg_lo:[1,1,0]
	;; [unrolled: 1-line block ×3, first 2 shown]
	v_add3_u32 v78, v173, v180, v99
	v_dot4_i32_iu8 v84, v15, v85, v84 neg_lo:[1,1,0]
	v_dot4_i32_iu8 v76, v15, v77, v76 neg_lo:[1,1,0]
	;; [unrolled: 1-line block ×4, first 2 shown]
	v_add3_u32 v0, v10, v6, v0
	v_bfe_i32 v224, v165, 8, 8
	v_bfe_i32 v228, v166, 0, 8
	v_dot4_i32_iu8 v5, v143, v152, v5 neg_lo:[1,1,0]
	v_mad_u32 v7, v15, v222, v7
	v_add3_u32 v0, v0, v78, v151
	v_mad_u32 v10, v76, v164, v66
	v_bfe_i32 v225, v165, 0, 8
	v_mul_lo_u32 v5, v5, v224
	v_dot4_i32_iu8 v1, v79, v3, v1 neg_lo:[1,1,0]
	v_mad_u32 v0, v0, v228, v2
	v_dual_ashrrev_i32 v226, 24, v165 :: v_dual_ashrrev_i32 v229, 24, v166
	v_bfe_i32 v165, v165, 16, 8
	v_bfe_i32 v166, v166, 16, 8
	v_cvt_f32_i32_e32 v7, v7
	v_dot4_i32_iu8 v14, v69, v3, v68 neg_lo:[1,1,0]
	v_mul_lo_u32 v3, v74, v232
	v_mul_lo_u32 v4, v9, v165
	v_mad_u32 v1, v1, v225, v5
	v_cvt_f32_i32_e32 v5, v10
	v_cvt_f32_i32_e32 v0, v0
	s_wait_dscnt 0x0
	v_fma_f32 v7, v82, v7, 0
	v_mul_lo_u32 v9, v12, v230
	s_add_co_i32 s17, s16, 8
	s_cmp_lt_u32 s16, 24
	v_fma_f32 v0, v82, v0, 0
	v_fmac_f32_e32 v7, v83, v5
	v_add_nc_u32_e32 v100, v139, v162
	v_mad_u32 v3, v84, v167, v3
	v_mad_u32 v2, v13, v226, v4
	v_cvt_f32_i32_e32 v1, v1
	v_fmac_f32_e32 v106, v134, v7
	v_add3_u32 v8, v100, v8, v174
	v_mad_u32 v9, v14, v231, v9
	s_mov_b32 s16, s17
	v_fma_f32 v1, v82, v1, 0
	s_delay_alu instid0(VALU_DEP_3) | instskip(SKIP_3) | instid1(VALU_DEP_4)
	v_add3_u32 v6, v8, v103, v145
	v_add3_u32 v8, v11, v104, v102
	v_cvt_f32_i32_e32 v3, v3
	v_cvt_f32_i32_e32 v2, v2
	v_mul_lo_u32 v6, v6, v166
	s_delay_alu instid0(VALU_DEP_2) | instskip(NEXT) | instid1(VALU_DEP_1)
	v_fmac_f32_e32 v1, v83, v2
	v_fmac_f32_e32 v65, v135, v1
	s_delay_alu instid0(VALU_DEP_3) | instskip(SKIP_1) | instid1(VALU_DEP_1)
	v_mad_u32 v4, v8, v229, v6
	v_cvt_f32_i32_e32 v6, v9
	v_fma_f32 v6, v82, v6, 0
	s_delay_alu instid0(VALU_DEP_3) | instskip(NEXT) | instid1(VALU_DEP_1)
	v_cvt_f32_i32_e32 v4, v4
	v_dual_fmac_f32 v6, v83, v3 :: v_dual_fmac_f32 v0, v83, v4
	s_delay_alu instid0(VALU_DEP_1)
	v_dual_fmac_f32 v109, v133, v6 :: v_dual_fmac_f32 v63, v136, v0
	s_cbranch_scc1 .LBB235_19
; %bb.20:                               ;   in Loop: Header=BB235_5 Depth=1
	s_barrier_signal -1
	s_barrier_wait -1
	s_branch .LBB235_4
.LBB235_21:
	s_mul_i32 s0, s7, s4
	s_wait_loadcnt 0x0
	v_cmp_gt_i32_e32 vcc_lo, s0, v17
	s_and_saveexec_b32 s0, vcc_lo
	s_cbranch_execz .LBB235_30
; %bb.22:
	v_mul_lo_u32 v0, v17, s6
	v_add_nc_u32_e32 v1, s18, v23
	s_mov_b32 s0, exec_lo
	s_delay_alu instid0(VALU_DEP_1)
	v_cmpx_gt_u32_e64 s6, v1
	s_cbranch_execz .LBB235_24
; %bb.23:
	v_bfe_u32 v2, v109, 16, 1
	v_cmp_o_f32_e32 vcc_lo, v109, v109
	v_add_nc_u32_e32 v3, v0, v1
	s_delay_alu instid0(VALU_DEP_3) | instskip(NEXT) | instid1(VALU_DEP_1)
	v_add3_u32 v2, v109, v2, 0x7fff
	v_lshrrev_b32_e32 v2, 16, v2
	s_delay_alu instid0(VALU_DEP_1)
	v_cndmask_b32_e32 v2, 0x7fc0, v2, vcc_lo
	global_store_b16 v3, v2, s[8:9] scale_offset
.LBB235_24:
	s_wait_xcnt 0x0
	s_or_b32 exec_lo, exec_lo, s0
	v_add_nc_u32_e32 v2, 32, v1
	s_mov_b32 s0, exec_lo
	s_delay_alu instid0(VALU_DEP_1)
	v_cmpx_gt_u32_e64 s6, v2
	s_cbranch_execz .LBB235_26
; %bb.25:
	v_bfe_u32 v3, v106, 16, 1
	v_cmp_o_f32_e32 vcc_lo, v106, v106
	v_add_nc_u32_e32 v2, v0, v2
	s_delay_alu instid0(VALU_DEP_3) | instskip(NEXT) | instid1(VALU_DEP_1)
	v_add3_u32 v3, v106, v3, 0x7fff
	v_lshrrev_b32_e32 v3, 16, v3
	s_delay_alu instid0(VALU_DEP_1)
	v_cndmask_b32_e32 v3, 0x7fc0, v3, vcc_lo
	global_store_b16 v2, v3, s[8:9] scale_offset
.LBB235_26:
	s_wait_xcnt 0x0
	s_or_b32 exec_lo, exec_lo, s0
	;; [unrolled: 18-line block ×3, first 2 shown]
	v_add_nc_u32_e32 v1, 0x60, v1
	s_delay_alu instid0(VALU_DEP_1)
	v_cmp_gt_u32_e32 vcc_lo, s6, v1
	s_and_b32 exec_lo, exec_lo, vcc_lo
	s_cbranch_execz .LBB235_30
; %bb.29:
	v_bfe_u32 v2, v63, 16, 1
	v_cmp_o_f32_e32 vcc_lo, v63, v63
	v_add_nc_u32_e32 v0, v0, v1
	s_delay_alu instid0(VALU_DEP_3) | instskip(NEXT) | instid1(VALU_DEP_1)
	v_add3_u32 v2, v63, v2, 0x7fff
	v_lshrrev_b32_e32 v2, 16, v2
	s_delay_alu instid0(VALU_DEP_1)
	v_cndmask_b32_e32 v2, 0x7fc0, v2, vcc_lo
	global_store_b16 v0, v2, s[8:9] scale_offset
.LBB235_30:
	s_sendmsg sendmsg(MSG_DEALLOC_VGPRS)
	s_endpgm
	.section	.rodata,"a",@progbits
	.p2align	6, 0x0
	.amdhsa_kernel _ZL8moe_q6_KIN3c108BFloat16ELb0EEvPKvS3_PT_PKiS7_S7_iiiiiii
		.amdhsa_group_segment_fixed_size 37072
		.amdhsa_private_segment_fixed_size 0
		.amdhsa_kernarg_size 76
		.amdhsa_user_sgpr_count 2
		.amdhsa_user_sgpr_dispatch_ptr 0
		.amdhsa_user_sgpr_queue_ptr 0
		.amdhsa_user_sgpr_kernarg_segment_ptr 1
		.amdhsa_user_sgpr_dispatch_id 0
		.amdhsa_user_sgpr_kernarg_preload_length 0
		.amdhsa_user_sgpr_kernarg_preload_offset 0
		.amdhsa_user_sgpr_private_segment_size 0
		.amdhsa_wavefront_size32 1
		.amdhsa_uses_dynamic_stack 0
		.amdhsa_enable_private_segment 0
		.amdhsa_system_sgpr_workgroup_id_x 1
		.amdhsa_system_sgpr_workgroup_id_y 1
		.amdhsa_system_sgpr_workgroup_id_z 0
		.amdhsa_system_sgpr_workgroup_info 0
		.amdhsa_system_vgpr_workitem_id 1
		.amdhsa_next_free_vgpr 235
		.amdhsa_next_free_sgpr 24
		.amdhsa_named_barrier_count 0
		.amdhsa_reserve_vcc 1
		.amdhsa_float_round_mode_32 0
		.amdhsa_float_round_mode_16_64 0
		.amdhsa_float_denorm_mode_32 3
		.amdhsa_float_denorm_mode_16_64 3
		.amdhsa_fp16_overflow 0
		.amdhsa_memory_ordered 1
		.amdhsa_forward_progress 1
		.amdhsa_inst_pref_size 120
		.amdhsa_round_robin_scheduling 0
		.amdhsa_exception_fp_ieee_invalid_op 0
		.amdhsa_exception_fp_denorm_src 0
		.amdhsa_exception_fp_ieee_div_zero 0
		.amdhsa_exception_fp_ieee_overflow 0
		.amdhsa_exception_fp_ieee_underflow 0
		.amdhsa_exception_fp_ieee_inexact 0
		.amdhsa_exception_int_div_zero 0
	.end_amdhsa_kernel
	.section	.text._ZL8moe_q6_KIN3c108BFloat16ELb0EEvPKvS3_PT_PKiS7_S7_iiiiiii,"axG",@progbits,_ZL8moe_q6_KIN3c108BFloat16ELb0EEvPKvS3_PT_PKiS7_S7_iiiiiii,comdat
.Lfunc_end235:
	.size	_ZL8moe_q6_KIN3c108BFloat16ELb0EEvPKvS3_PT_PKiS7_S7_iiiiiii, .Lfunc_end235-_ZL8moe_q6_KIN3c108BFloat16ELb0EEvPKvS3_PT_PKiS7_S7_iiiiiii
                                        ; -- End function
	.set _ZL8moe_q6_KIN3c108BFloat16ELb0EEvPKvS3_PT_PKiS7_S7_iiiiiii.num_vgpr, 235
	.set _ZL8moe_q6_KIN3c108BFloat16ELb0EEvPKvS3_PT_PKiS7_S7_iiiiiii.num_agpr, 0
	.set _ZL8moe_q6_KIN3c108BFloat16ELb0EEvPKvS3_PT_PKiS7_S7_iiiiiii.numbered_sgpr, 24
	.set _ZL8moe_q6_KIN3c108BFloat16ELb0EEvPKvS3_PT_PKiS7_S7_iiiiiii.num_named_barrier, 0
	.set _ZL8moe_q6_KIN3c108BFloat16ELb0EEvPKvS3_PT_PKiS7_S7_iiiiiii.private_seg_size, 0
	.set _ZL8moe_q6_KIN3c108BFloat16ELb0EEvPKvS3_PT_PKiS7_S7_iiiiiii.uses_vcc, 1
	.set _ZL8moe_q6_KIN3c108BFloat16ELb0EEvPKvS3_PT_PKiS7_S7_iiiiiii.uses_flat_scratch, 0
	.set _ZL8moe_q6_KIN3c108BFloat16ELb0EEvPKvS3_PT_PKiS7_S7_iiiiiii.has_dyn_sized_stack, 0
	.set _ZL8moe_q6_KIN3c108BFloat16ELb0EEvPKvS3_PT_PKiS7_S7_iiiiiii.has_recursion, 0
	.set _ZL8moe_q6_KIN3c108BFloat16ELb0EEvPKvS3_PT_PKiS7_S7_iiiiiii.has_indirect_call, 0
	.section	.AMDGPU.csdata,"",@progbits
; Kernel info:
; codeLenInByte = 15324
; TotalNumSgprs: 26
; NumVgprs: 235
; ScratchSize: 0
; MemoryBound: 0
; FloatMode: 240
; IeeeMode: 1
; LDSByteSize: 37072 bytes/workgroup (compile time only)
; SGPRBlocks: 0
; VGPRBlocks: 14
; NumSGPRsForWavesPerEU: 26
; NumVGPRsForWavesPerEU: 235
; NamedBarCnt: 0
; Occupancy: 4
; WaveLimiterHint : 1
; COMPUTE_PGM_RSRC2:SCRATCH_EN: 0
; COMPUTE_PGM_RSRC2:USER_SGPR: 2
; COMPUTE_PGM_RSRC2:TRAP_HANDLER: 0
; COMPUTE_PGM_RSRC2:TGID_X_EN: 1
; COMPUTE_PGM_RSRC2:TGID_Y_EN: 1
; COMPUTE_PGM_RSRC2:TGID_Z_EN: 0
; COMPUTE_PGM_RSRC2:TIDIG_COMP_CNT: 1
	.section	.text._ZL8moe_q6_KIN3c108BFloat16ELb1EEvPKvS3_PT_PKiS7_S7_iiiiiii,"axG",@progbits,_ZL8moe_q6_KIN3c108BFloat16ELb1EEvPKvS3_PT_PKiS7_S7_iiiiiii,comdat
	.globl	_ZL8moe_q6_KIN3c108BFloat16ELb1EEvPKvS3_PT_PKiS7_S7_iiiiiii ; -- Begin function _ZL8moe_q6_KIN3c108BFloat16ELb1EEvPKvS3_PT_PKiS7_S7_iiiiiii
	.p2align	8
	.type	_ZL8moe_q6_KIN3c108BFloat16ELb1EEvPKvS3_PT_PKiS7_S7_iiiiiii,@function
_ZL8moe_q6_KIN3c108BFloat16ELb1EEvPKvS3_PT_PKiS7_S7_iiiiiii: ; @_ZL8moe_q6_KIN3c108BFloat16ELb1EEvPKvS3_PT_PKiS7_S7_iiiiiii
; %bb.0:
	s_load_b128 s[4:7], s[0:1], 0x18
	s_bfe_u32 s2, ttmp6, 0x40010
	s_bfe_u32 s8, ttmp6, 0x40004
	s_add_co_i32 s2, s2, 1
	s_delay_alu instid0(SALU_CYCLE_1)
	s_mul_i32 s3, ttmp7, s2
	s_getreg_b32 s2, hwreg(HW_REG_IB_STS2, 6, 4)
	s_add_co_i32 s8, s8, s3
	s_cmp_eq_u32 s2, 0
	s_cselect_b32 s3, ttmp7, s8
	s_wait_kmcnt 0x0
	s_load_b32 s14, s[6:7], s3 offset:0x0 scale_offset
	s_wait_kmcnt 0x0
	s_cmp_gt_u32 s14, 0xff
	s_cbranch_scc1 .LBB236_30
; %bb.1:
	s_load_b64 s[6:7], s[0:1], 0x28
	s_lshl_b32 s3, s3, 3
	s_wait_kmcnt 0x0
	s_load_b32 s6, s[6:7], 0x0
	s_wait_kmcnt 0x0
	s_cmp_gt_u32 s3, s6
	s_cbranch_scc1 .LBB236_30
; %bb.2:
	v_bfe_u32 v1, v0, 10, 10
	s_and_b32 s11, ttmp6, 15
	v_and_b32_e32 v29, 0x3ff, v0
	v_dual_mov_b32 v111, 0 :: v_dual_mov_b32 v115, 0
	s_delay_alu instid0(VALU_DEP_3)
	v_dual_add_nc_u32 v2, s3, v1 :: v_dual_mov_b32 v106, 0
	s_bfe_u32 s3, ttmp6, 0x4000c
	v_mov_b32_e32 v119, 0
	s_add_co_i32 s3, s3, 1
	global_load_b32 v17, v2, s[4:5] scale_offset
	s_wait_xcnt 0x0
	s_clause 0x2
	s_load_b128 s[4:7], s[0:1], 0x30
	s_load_b64 s[12:13], s[0:1], 0x10
	s_load_b96 s[8:10], s[0:1], 0x40
	s_mul_i32 s3, ttmp9, s3
	s_mov_b32 s15, 0
	s_add_co_i32 s11, s11, s3
	s_cmp_eq_u32 s2, 0
	s_cselect_b32 s2, ttmp9, s11
	s_delay_alu instid0(SALU_CYCLE_1)
	s_lshl_b32 s11, s2, 7
	s_wait_kmcnt 0x0
	s_cmp_lt_i32 s5, 0x100
	s_cbranch_scc1 .LBB236_21
; %bb.3:
	s_load_b128 s[0:3], s[0:1], 0x0
	v_and_b32_e32 v2, 31, v0
	s_mul_i32 s18, s14, s4
	v_dual_lshrrev_b32 v6, 1, v0 :: v_dual_bitop2_b32 v7, 7, v0 bitop3:0x40
	s_ashr_i32 s19, s18, 31
	s_delay_alu instid0(VALU_DEP_2)
	v_cmp_gt_u32_e32 vcc_lo, 16, v2
	v_lshlrev_b32_e32 v3, 1, v2
	s_ashr_i32 s17, s8, 31
	v_and_or_b32 v6, v6, 8, v7
	v_lshlrev_b32_e32 v45, 5, v1
	s_lshr_b32 s14, s17, 27
	v_add_nc_u32_e32 v5, 0xe0, v3
	s_add_co_i32 s8, s8, s14
	s_delay_alu instid0(VALU_DEP_2) | instskip(SKIP_1) | instid1(VALU_DEP_3)
	v_dual_lshlrev_b32 v20, 2, v6 :: v_dual_add_nc_u32 v15, v45, v29
	v_bfe_u32 v23, v0, 2, 8
	v_cndmask_b32_e32 v5, v5, v3, vcc_lo
	v_add_nc_u16 v4, v2, -16
	v_bfe_u32 v16, v0, 5, 5
	s_wait_kmcnt 0x0
	s_add_nc_u64 s[18:19], s[0:1], s[18:19]
	s_not_b32 s0, s11
	s_abs_i32 s1, s10
	s_add_co_i32 s0, s6, s0
	s_cvt_f32_u32 s6, s1
	v_dual_cndmask_b32 v4, v4, v2 :: v_dual_mov_b32 v19, 0
	v_dual_lshlrev_b32 v18, 2, v2 :: v_dual_min_i32 v7, s0, v1
	s_delay_alu instid0(SALU_CYCLE_1)
	v_rcp_iflag_f32_e32 v2, s6
	v_and_b32_e32 v15, 0x7f, v15
	s_sub_co_i32 s14, 0, s1
	v_lshl_add_u32 v23, v1, 3, v23
	v_and_b32_e32 v5, 0xfe, v5
	v_add_min_i32_e64 v6, v1, 16, s0
	v_min_i32_e32 v15, s0, v15
	v_readfirstlane_b32 s6, v2
	s_wait_loadcnt 0x0
	v_sub_nc_u32_e32 v2, 0, v17
	v_and_b32_e32 v25, 0x7f, v23
	v_bitop3_b32 v23, v23, 64, 0x7f bitop3:0x6c
	v_ashrrev_i32_e32 v22, 31, v15
	s_mul_f32 s6, s6, 0x4f7ffffe
	v_max_i32_e32 v2, v17, v2
	v_min_i32_e32 v62, s0, v25
	v_dual_sub_nc_u32 v3, v3, v5 :: v_dual_bitop2_b32 v5, 15, v0 bitop3:0x40
	s_cvt_u32_f32 s6, s6
	v_dual_lshrrev_b32 v22, 27, v22 :: v_dual_min_i32 v64, s0, v23
	v_add_min_i32_e64 v8, v1, 24, s0
	s_delay_alu instid0(SALU_CYCLE_1)
	s_mul_i32 s14, s14, s6
	v_add_lshl_u32 v3, v3, v5, 2
	s_mul_hi_u32 s14, s6, s14
	v_add_nc_u32_e32 v22, v15, v22
	s_add_co_i32 s6, s6, s14
	v_add_min_i32_e64 v5, v1, 8, s0
	v_mul_hi_u32 v24, v2, s6
	v_add_min_i32_e64 v9, v1, 32, s0
	v_ashrrev_i32_e32 v22, 5, v22
	v_add_min_i32_e64 v10, v1, 40, s0
	v_add_min_i32_e64 v11, v1, 48, s0
	;; [unrolled: 1-line block ×8, first 2 shown]
	v_mul_lo_u32 v23, v24, s1
	v_add_min_i32_e64 v54, 0x68, v1, s0
	v_add_min_i32_e64 v56, 0x70, v1, s0
	;; [unrolled: 1-line block ×3, first 2 shown]
	v_dual_lshlrev_b32 v22, 2, v22 :: v_dual_lshlrev_b32 v25, 2, v15
	v_dual_lshlrev_b32 v26, 2, v0 :: v_dual_ashrrev_i32 v27, 31, v62
	v_ashrrev_i32_e32 v28, 31, v64
	v_mad_u32 v31, 0x104, v7, v3
	v_mad_u32 v33, 0x104, v5, v3
	;; [unrolled: 1-line block ×16, first 2 shown]
	v_add3_u32 v65, v22, v25, 0x8e40
	v_dual_lshrrev_b32 v3, 29, v27 :: v_dual_bitop2_b32 v22, 12, v26 bitop3:0x40
	v_dual_lshrrev_b32 v25, 29, v28 :: v_dual_sub_nc_u32 v2, v2, v23
	v_dual_mov_b32 v23, v19 :: v_dual_add_nc_u32 v26, 1, v24
	s_delay_alu instid0(VALU_DEP_2) | instskip(NEXT) | instid1(VALU_DEP_3)
	v_dual_add_nc_u32 v3, v62, v3 :: v_dual_add_nc_u32 v25, v64, v25
	v_subrev_nc_u32_e32 v27, s1, v2
	v_cmp_le_u32_e32 vcc_lo, s1, v2
	s_delay_alu instid0(VALU_DEP_3) | instskip(NEXT) | instid1(VALU_DEP_4)
	v_dual_lshlrev_b32 v28, 2, v29 :: v_dual_ashrrev_i32 v3, 3, v3
	v_dual_ashrrev_i32 v25, 3, v25 :: v_dual_lshlrev_b32 v30, 4, v64
	s_delay_alu instid0(VALU_DEP_4) | instskip(NEXT) | instid1(VALU_DEP_3)
	v_dual_cndmask_b32 v24, v24, v26, vcc_lo :: v_dual_cndmask_b32 v2, v2, v27, vcc_lo
	v_dual_lshlrev_b32 v3, 2, v3 :: v_dual_bitop2_b32 v26, s10, v17 bitop3:0x14
	s_delay_alu instid0(VALU_DEP_2) | instskip(NEXT) | instid1(VALU_DEP_3)
	v_dual_lshlrev_b32 v25, 2, v25 :: v_dual_add_nc_u32 v27, 1, v24
	v_cmp_le_u32_e32 vcc_lo, s1, v2
	s_delay_alu instid0(VALU_DEP_3) | instskip(NEXT) | instid1(VALU_DEP_3)
	v_dual_ashrrev_i32 v26, 31, v26 :: v_dual_add_nc_u32 v34, 32, v29
	v_add3_u32 v25, v25, v22, 0x8200
	s_delay_alu instid0(VALU_DEP_4)
	v_dual_mov_b32 v21, v19 :: v_dual_cndmask_b32 v2, v24, v27
	v_add3_u32 v24, v3, v22, 0x8200
	v_lshlrev_b32_e32 v27, 4, v62
	v_add_nc_u32_e32 v32, 0x9050, v28
	v_lshl_or_b32 v36, v1, 7, v18
	v_xor_b32_e32 v3, v2, v26
	v_dual_lshlrev_b32 v1, 4, v1 :: v_dual_bitop2_b32 v2, 28, v28 bitop3:0x40
	v_dual_add_nc_u32 v107, v24, v27 :: v_dual_lshrrev_b32 v108, 3, v34
	s_delay_alu instid0(VALU_DEP_3) | instskip(SKIP_4) | instid1(VALU_DEP_3)
	v_sub_nc_u32_e32 v26, v3, v26
	v_dual_add_nc_u32 v110, v25, v30 :: v_dual_lshlrev_b32 v24, 2, v16
	v_dual_add_nc_u32 v25, 64, v29 :: v_dual_mov_b32 v3, v19
	v_add_nc_u32_e32 v27, 0x60, v29
	v_dual_add_nc_u32 v112, v32, v1 :: v_dual_bitop2_b32 v1, 60, v108 bitop3:0x40
	v_lshrrev_b32_e32 v30, 3, v25
	s_ashr_i32 s8, s8, 5
	v_add3_u32 v114, v24, v28, 0x8e40
	v_mul_lo_u32 v24, v26, s8
	v_lshrrev_b32_e32 v32, 3, v27
	v_bfe_u32 v113, v0, 3, 7
	v_lshlrev_b32_e32 v0, 2, v34
	v_and_b32_e32 v34, 60, v30
	s_ashr_i32 s16, s5, 31
	v_dual_mov_b32 v106, v19 :: v_dual_add_nc_u32 v109, 0x8a40, v36
	s_lshr_b32 s4, s16, 24
	v_and_b32_e32 v36, 60, v32
	v_add3_u32 v116, v28, v1, 0x8e40
	v_lshlrev_b32_e32 v1, 2, v25
	v_add3_u32 v117, v28, v34, 0x8e40
	v_lshlrev_b32_e32 v34, 2, v27
	s_add_co_i32 s4, s5, s4
	v_add3_u32 v118, v28, v36, 0x8e40
	s_ashr_i32 s4, s4, 8
	v_dual_ashrrev_i32 v25, 31, v24 :: v_dual_lshlrev_b32 v122, 2, v30
	v_dual_lshlrev_b32 v120, 2, v28 :: v_dual_lshlrev_b32 v123, 2, v1
	v_dual_lshlrev_b32 v121, 2, v0 :: v_dual_lshlrev_b32 v125, 2, v34
	;; [unrolled: 1-line block ×3, first 2 shown]
	v_mul_lo_u32 v28, v7, s4
	v_mul_lo_u32 v30, v5, s4
	;; [unrolled: 1-line block ×19, first 2 shown]
	v_cmp_lt_u16_e32 vcc_lo, 7, v4
	s_mul_i32 s16, s4, s11
	v_cmp_gt_u32_e64 s0, 4, v29
	v_cmp_gt_i32_e64 s1, s7, v26
	s_movk_i32 s6, 0x2080
	s_movk_i32 s14, 0x4100
	;; [unrolled: 1-line block ×3, first 2 shown]
	v_add_nc_u64_e32 v[26:27], s[2:3], v[2:3]
	s_ashr_i32 s17, s16, 31
	v_cndmask_b32_e64 v126, 0, 2, vcc_lo
	v_mul_u32_u24_e32 v127, 0x104, v29
	v_mad_u32_u24 v128, 0x104, v29, s6
	v_mad_u32_u24 v129, 0x104, v29, s14
	;; [unrolled: 1-line block ×3, first 2 shown]
	v_dual_mov_b32 v119, v19 :: v_dual_lshlrev_b32 v132, 2, v108
	v_dual_mov_b32 v115, v19 :: v_dual_mov_b32 v111, v19
	s_mul_u64 s[16:17], s[16:17], 0xd2
	s_and_b32 s6, s0, s1
	s_add_nc_u64 s[16:17], s[18:19], s[16:17]
	s_mov_b32 s14, s15
	s_branch .LBB236_5
.LBB236_4:                              ;   in Loop: Header=BB236_5 Depth=1
	s_add_co_i32 s14, s14, 1
	s_delay_alu instid0(SALU_CYCLE_1)
	s_cmp_eq_u32 s14, s4
	s_cbranch_scc1 .LBB236_21
.LBB236_5:                              ; =>This Loop Header: Depth=1
                                        ;     Child Loop BB236_11 Depth 2
                                        ;     Child Loop BB236_19 Depth 2
	s_mul_u64 s[18:19], s[14:15], 0xd2
	s_delay_alu instid0(SALU_CYCLE_1) | instskip(NEXT) | instid1(SALU_CYCLE_1)
	s_add_nc_u64 s[18:19], s[16:17], s[18:19]
	v_mad_nc_u64_u32 v[0:1], 0xd2, v16, s[18:19]
	s_delay_alu instid0(VALU_DEP_1)
	v_mad_nc_i64_i32 v[2:3], 0xd2, v28, v[0:1]
	v_mad_nc_i64_i32 v[4:5], 0xd2, v30, v[0:1]
	;; [unrolled: 1-line block ×9, first 2 shown]
	v_add_nc_u64_e32 v[70:71], v[2:3], v[20:21]
	v_add_nc_u64_e32 v[72:73], v[4:5], v[20:21]
	;; [unrolled: 1-line block ×8, first 2 shown]
	s_clause 0x7
	global_load_b32 v78, v[70:71], off offset:128
	global_load_b32 v79, v[72:73], off offset:128
	global_load_b32 v80, v[74:75], off
	global_load_b32 v81, v[6:7], off offset:128
	global_load_b32 v82, v[76:77], off
	;; [unrolled: 2-line block ×3, first 2 shown]
	global_load_b32 v85, v[2:3], off
	s_wait_xcnt 0x0
	v_mad_nc_i64_i32 v[2:3], 0xd2, v46, v[0:1]
	v_add_nc_u64_e32 v[4:5], v[10:11], v[18:19]
	v_add_nc_u64_e32 v[6:7], v[10:11], v[20:21]
	;; [unrolled: 1-line block ×8, first 2 shown]
	s_clause 0x1
	global_load_b32 v74, v[4:5], off
	global_load_b32 v75, v[6:7], off offset:128
	s_wait_xcnt 0x0
	v_add_nc_u64_e32 v[6:7], v[68:69], v[20:21]
	v_add_nc_u64_e32 v[4:5], v[68:69], v[18:19]
	s_clause 0x3
	global_load_b32 v76, v[10:11], off offset:128
	global_load_b32 v77, v[8:9], off
	global_load_b32 v86, v[12:13], off
	global_load_b32 v87, v[14:15], off offset:128
	s_wait_xcnt 0x2
	v_add_nc_u64_e32 v[8:9], v[2:3], v[18:19]
	v_add_nc_u64_e32 v[2:3], v[2:3], v[20:21]
	s_clause 0x5
	global_load_b32 v88, v[66:67], off offset:128
	global_load_b32 v89, v[70:71], off
	global_load_b32 v90, v[6:7], off offset:128
	global_load_b32 v91, v[4:5], off
	global_load_b32 v92, v[2:3], off offset:128
	global_load_b32 v93, v[8:9], off
	s_wait_xcnt 0x1
	v_mad_nc_i64_i32 v[2:3], 0xd2, v62, s[18:19]
	v_mad_nc_i64_i32 v[4:5], 0xd2, v64, s[18:19]
	;; [unrolled: 1-line block ×3, first 2 shown]
	s_wait_xcnt 0x0
	v_mad_nc_i64_i32 v[8:9], 0xd2, v48, v[0:1]
	v_mad_nc_i64_i32 v[10:11], 0xd2, v50, v[0:1]
	;; [unrolled: 1-line block ×6, first 2 shown]
	s_lshl_b32 s18, s14, 8
	v_add_nc_u64_e32 v[2:3], v[2:3], v[22:23]
	v_add_nc_u64_e32 v[4:5], v[4:5], v[22:23]
	s_clause 0x2
	global_load_u16 v94, v[6:7], off offset:208
	global_load_b32 v95, v[2:3], off offset:192
	global_load_b32 v96, v[4:5], off offset:192
	s_wait_xcnt 0x1
	v_add_nc_u64_e32 v[2:3], v[8:9], v[18:19]
	s_wait_xcnt 0x0
	v_add_nc_u64_e32 v[4:5], v[8:9], v[20:21]
	v_add_nc_u64_e32 v[6:7], v[10:11], v[18:19]
	;; [unrolled: 1-line block ×11, first 2 shown]
	s_clause 0xb
	global_load_b32 v97, v[2:3], off
	global_load_b32 v98, v[4:5], off offset:128
	global_load_b32 v99, v[6:7], off
	global_load_b32 v100, v[8:9], off offset:128
	;; [unrolled: 2-line block ×6, first 2 shown]
	s_cmp_lt_i32 s18, s5
	s_wait_loadcnt 0x21
	s_wait_xcnt 0x0
	v_dual_ashrrev_i32 v0, v126, v78 :: v_dual_ashrrev_i32 v3, v126, v79
	s_wait_loadcnt 0x1f
	v_dual_lshrrev_b32 v8, 4, v80 :: v_dual_ashrrev_i32 v6, v126, v81
	s_wait_loadcnt 0x1d
	v_dual_lshrrev_b32 v11, 4, v82 :: v_dual_ashrrev_i32 v9, v126, v83
	s_wait_loadcnt 0x1b
	v_dual_lshrrev_b32 v5, 4, v84 :: v_dual_lshrrev_b32 v2, 4, v85
	v_and_b32_e32 v1, 0xf0f0f0f, v85
	v_and_b32_e32 v7, 0xf0f0f0f, v80
	v_dual_lshlrev_b32 v80, 4, v0 :: v_dual_lshlrev_b32 v81, 4, v3
	s_delay_alu instid0(VALU_DEP_4)
	v_and_b32_e32 v2, 0xf0f0f0f, v2
	v_and_b32_e32 v4, 0xf0f0f0f, v84
	;; [unrolled: 1-line block ×4, first 2 shown]
	s_wait_loadcnt 0x19
	v_dual_lshrrev_b32 v14, 4, v74 :: v_dual_ashrrev_i32 v12, v126, v75
	s_wait_loadcnt 0x17
	v_dual_ashrrev_i32 v15, v126, v76 :: v_dual_lshrrev_b32 v67, 4, v77
	s_wait_loadcnt 0x15
	v_dual_ashrrev_i32 v68, v126, v87 :: v_dual_lshrrev_b32 v70, 4, v86
	;; [unrolled: 2-line block ×3, first 2 shown]
	v_and_b32_e32 v13, 0xf0f0f0f, v74
	s_wait_loadcnt 0x11
	v_dual_ashrrev_i32 v74, v126, v90 :: v_dual_lshrrev_b32 v76, 4, v91
	v_dual_lshlrev_b32 v82, 4, v6 :: v_dual_lshlrev_b32 v83, 4, v9
	v_and_b32_e32 v8, 0xf0f0f0f, v8
	v_and_b32_e32 v11, 0xf0f0f0f, v11
	v_dual_lshlrev_b32 v84, 4, v12 :: v_dual_lshlrev_b32 v85, 4, v15
	v_and_b32_e32 v14, 0xf0f0f0f, v14
	v_and_b32_e32 v66, 0xf0f0f0f, v77
	v_and_b32_e32 v69, 0xf0f0f0f, v86
	v_and_b32_e32 v72, 0xf0f0f0f, v89
	v_and_b32_e32 v67, 0xf0f0f0f, v67
	v_dual_lshlrev_b32 v86, 4, v68 :: v_dual_lshlrev_b32 v87, 4, v71
	v_and_b32_e32 v70, 0xf0f0f0f, v70
	v_and_b32_e32 v73, 0xf0f0f0f, v73
	v_and_or_b32 v1, 0x30303030, v80, v1
	v_and_or_b32 v0, 0x30303030, v0, v2
	v_and_b32_e32 v75, 0xf0f0f0f, v91
	s_wait_loadcnt 0xf
	v_dual_ashrrev_i32 v77, v126, v92 :: v_dual_lshrrev_b32 v79, 4, v93
	v_lshlrev_b32_e32 v88, 4, v74
	v_and_b32_e32 v76, 0xf0f0f0f, v76
	v_and_or_b32 v2, 0x30303030, v81, v4
	v_and_or_b32 v3, 0x30303030, v3, v5
	;; [unrolled: 1-line block ×14, first 2 shown]
	v_lshlrev_b16 v68, 8, v1
	v_dual_lshrrev_b32 v69, 16, v1 :: v_dual_lshrrev_b32 v71, 16, v0
	v_lshlrev_b16 v70, 8, v0
	v_lshlrev_b32_e32 v89, 4, v77
	v_and_or_b32 v66, 0x30303030, v88, v75
	v_and_or_b32 v67, 0x30303030, v74, v76
	v_lshlrev_b16 v72, 8, v2
	v_dual_lshrrev_b32 v73, 16, v2 :: v_dual_lshrrev_b32 v75, 16, v3
	v_lshlrev_b16 v74, 8, v3
	v_lshlrev_b16 v76, 8, v4
	v_dual_lshrrev_b32 v80, 16, v4 :: v_dual_lshrrev_b32 v82, 16, v5
	v_lshlrev_b16 v81, 8, v5
	;; [unrolled: 3-line block ×4, first 2 shown]
	v_and_b32_e32 v78, 0xf0f0f0f, v93
	v_lshlrev_b16 v92, 8, v10
	v_dual_lshrrev_b32 v93, 16, v10 :: v_dual_lshrrev_b32 v137, 16, v11
	v_lshlrev_b16 v136, 8, v11
	v_lshlrev_b16 v138, 8, v12
	v_dual_lshrrev_b32 v139, 16, v12 :: v_dual_lshrrev_b32 v141, 16, v13
	v_lshlrev_b16 v140, 8, v13
	;; [unrolled: 3-line block ×3, first 2 shown]
	v_add_nc_u16 v68, 0xe000, v68
	v_lshlrev_b16 v150, 8, v69
	v_add_nc_u16 v70, 0xe000, v70
	v_lshlrev_b16 v151, 8, v71
	;; [unrolled: 2-line block ×16, first 2 shown]
	v_lshrrev_b16 v68, 8, v68
	v_add_nc_u16 v150, 0xe000, v150
	v_lshrrev_b16 v70, 8, v70
	v_add_nc_u16 v151, 0xe000, v151
	;; [unrolled: 2-line block ×16, first 2 shown]
	v_bitop3_b16 v1, v1, v68, 0x3f00 bitop3:0xec
	v_lshrrev_b16 v68, 8, v150
	v_bitop3_b16 v0, v0, v70, 0x3f00 bitop3:0xec
	v_lshrrev_b16 v70, 8, v151
	;; [unrolled: 2-line block ×10, first 2 shown]
	v_lshlrev_b16 v146, 8, v66
	v_dual_lshrrev_b32 v147, 16, v66 :: v_dual_lshrrev_b32 v149, 16, v67
	v_lshlrev_b16 v148, 8, v67
	v_bitop3_b16 v10, v10, v92, 0x3f00 bitop3:0xec
	v_lshrrev_b16 v92, 8, v160
	v_bitop3_b16 v11, v11, v136, 0x3f00 bitop3:0xec
	v_lshrrev_b16 v136, 8, v161
	;; [unrolled: 2-line block ×6, first 2 shown]
	v_bitop3_b16 v68, v69, v68, 0x3f00 bitop3:0xec
	v_bitop3_b16 v69, v71, v70, 0x3f00 bitop3:0xec
	;; [unrolled: 1-line block ×10, first 2 shown]
	v_add_nc_u16 v146, 0xe000, v146
	v_lshlrev_b16 v166, 8, v147
	v_add_nc_u16 v148, 0xe000, v148
	v_lshlrev_b16 v167, 8, v149
	v_add_nc_u16 v1, 0xe000, v1
	v_add_nc_u16 v0, 0xe000, v0
	v_bitop3_b16 v81, v93, v92, 0x3f00 bitop3:0xec
	v_bitop3_b16 v82, v137, v136, 0x3f00 bitop3:0xec
	;; [unrolled: 1-line block ×6, first 2 shown]
	v_add_nc_u16 v68, 0xe000, v68
	v_add_nc_u16 v69, 0xe000, v69
	;; [unrolled: 1-line block ×18, first 2 shown]
	v_lshrrev_b16 v146, 8, v146
	v_add_nc_u16 v166, 0xe000, v166
	v_lshrrev_b16 v148, 8, v148
	v_add_nc_u16 v167, 0xe000, v167
	v_add_nc_u16 v10, 0xe000, v10
	v_add_nc_u16 v11, 0xe000, v11
	v_add_nc_u16 v12, 0xe000, v12
	v_add_nc_u16 v13, 0xe000, v13
	v_add_nc_u16 v14, 0xe000, v14
	v_add_nc_u16 v15, 0xe000, v15
	v_and_b32_e32 v1, 0xffff, v1
	v_and_b32_e32 v0, 0xffff, v0
	v_add_nc_u16 v81, 0xe000, v81
	v_add_nc_u16 v82, 0xe000, v82
	;; [unrolled: 1-line block ×6, first 2 shown]
	v_dual_lshlrev_b32 v68, 16, v68 :: v_dual_lshlrev_b32 v69, 16, v69
	v_and_b32_e32 v2, 0xffff, v2
	v_and_b32_e32 v3, 0xffff, v3
	v_dual_lshlrev_b32 v70, 16, v70 :: v_dual_lshlrev_b32 v71, 16, v71
	v_and_b32_e32 v4, 0xffff, v4
	v_and_b32_e32 v5, 0xffff, v5
	;; [unrolled: 3-line block ×4, first 2 shown]
	v_dual_lshlrev_b32 v76, 16, v76 :: v_dual_lshlrev_b32 v81, 16, v81
	v_dual_lshlrev_b32 v80, 16, v80 :: v_dual_lshlrev_b32 v82, 16, v82
	v_bitop3_b16 v66, v66, v146, 0x3f00 bitop3:0xec
	v_lshrrev_b16 v146, 8, v166
	v_bitop3_b16 v67, v67, v148, 0x3f00 bitop3:0xec
	v_lshrrev_b16 v148, 8, v167
	v_and_b32_e32 v10, 0xffff, v10
	v_and_b32_e32 v11, 0xffff, v11
	;; [unrolled: 1-line block ×6, first 2 shown]
	v_dual_lshlrev_b32 v83, 16, v83 :: v_dual_lshlrev_b32 v84, 16, v84
	v_dual_lshlrev_b32 v85, 16, v85 :: v_dual_lshlrev_b32 v86, 16, v86
	v_or_b32_e32 v1, v1, v68
	v_or_b32_e32 v0, v0, v69
	;; [unrolled: 1-line block ×10, first 2 shown]
	v_bitop3_b16 v87, v147, v146, 0x3f00 bitop3:0xec
	v_bitop3_b16 v88, v149, v148, 0x3f00 bitop3:0xec
	v_or_b32_e32 v10, v10, v81
	v_or_b32_e32 v11, v11, v82
	;; [unrolled: 1-line block ×6, first 2 shown]
	ds_store_2addr_b32 v31, v1, v0 offset1:16
	ds_store_2addr_b32 v33, v2, v3 offset1:16
	;; [unrolled: 1-line block ×8, first 2 shown]
	v_and_or_b32 v4, 0x30303030, v89, v78
	v_add_nc_u16 v66, 0xe000, v66
	v_add_nc_u16 v0, 0xe000, v87
	;; [unrolled: 1-line block ×3, first 2 shown]
	v_and_b32_e32 v3, 0xf0f0f0f, v79
	v_add_nc_u16 v5, 0xe000, v88
	v_lshlrev_b16 v6, 8, v4
	v_and_b32_e32 v1, 0xffff, v66
	v_lshlrev_b32_e32 v0, 16, v0
	v_and_b32_e32 v2, 0xffff, v2
	v_and_or_b32 v3, 0x30303030, v77, v3
	v_lshlrev_b32_e32 v5, 16, v5
	v_add_nc_u16 v6, 0xe000, v6
	v_lshrrev_b32_e32 v7, 16, v4
	s_delay_alu instid0(VALU_DEP_4) | instskip(NEXT) | instid1(VALU_DEP_4)
	v_dual_lshrrev_b32 v1, 16, v3 :: v_dual_bitop2_b32 v0, v1, v0 bitop3:0x54
	v_or_b32_e32 v2, v2, v5
	v_lshlrev_b16 v8, 8, v3
	v_lshrrev_b16 v6, 8, v6
	v_lshlrev_b16 v5, 8, v7
	v_lshlrev_b16 v9, 8, v1
	ds_store_2addr_b32 v49, v0, v2 offset1:16
	v_add_nc_u16 v2, 0xe000, v8
	v_bitop3_b16 v4, v4, v6, 0x3f00 bitop3:0xec
	s_wait_loadcnt 0xa
	v_ashrrev_i32_e32 v6, v126, v98
	v_add_nc_u16 v0, 0xe000, v5
	v_add_nc_u16 v5, 0xe000, v9
	v_lshrrev_b16 v2, 8, v2
	v_and_b32_e32 v8, 0xf0f0f0f, v97
	v_lshlrev_b32_e32 v9, 4, v6
	v_lshrrev_b16 v0, 8, v0
	v_lshrrev_b16 v5, 8, v5
	v_bitop3_b16 v2, v3, v2, 0x3f00 bitop3:0xec
	v_add_nc_u16 v3, 0xe000, v4
	v_and_or_b32 v4, 0x30303030, v9, v8
	v_bitop3_b16 v0, v7, v0, 0x3f00 bitop3:0xec
	v_bitop3_b16 v1, v1, v5, 0x3f00 bitop3:0xec
	v_lshrrev_b32_e32 v5, 4, v97
	v_add_nc_u16 v2, 0xe000, v2
	v_lshrrev_b32_e32 v7, 16, v4
	v_add_nc_u16 v0, 0xe000, v0
	v_add_nc_u16 v1, 0xe000, v1
	v_and_b32_e32 v5, 0xf0f0f0f, v5
	v_lshlrev_b16 v8, 8, v4
	v_lshlrev_b16 v9, 8, v7
	v_and_b32_e32 v3, 0xffff, v3
	v_lshlrev_b32_e32 v0, 16, v0
	v_and_b32_e32 v2, 0xffff, v2
	v_lshlrev_b32_e32 v1, 16, v1
	v_and_or_b32 v5, 0x30303030, v6, v5
	v_add_nc_u16 v6, 0xe000, v8
	v_add_nc_u16 v8, 0xe000, v9
	v_or_b32_e32 v0, v3, v0
	v_or_b32_e32 v1, v2, v1
	v_lshrrev_b32_e32 v2, 16, v5
	v_lshrrev_b16 v3, 8, v6
	v_lshrrev_b16 v6, 8, v8
	v_lshlrev_b16 v8, 8, v5
	ds_store_2addr_b32 v51, v0, v1 offset1:16
	v_lshlrev_b16 v0, 8, v2
	v_bitop3_b16 v1, v4, v3, 0x3f00 bitop3:0xec
	v_bitop3_b16 v3, v7, v6, 0x3f00 bitop3:0xec
	s_wait_loadcnt 0x8
	v_ashrrev_i32_e32 v6, v126, v100
	v_add_nc_u16 v4, 0xe000, v8
	v_add_nc_u16 v0, 0xe000, v0
	;; [unrolled: 1-line block ×4, first 2 shown]
	v_and_b32_e32 v7, 0xf0f0f0f, v99
	v_lshlrev_b32_e32 v8, 4, v6
	v_lshrrev_b16 v4, 8, v4
	v_lshrrev_b16 v0, 8, v0
	v_and_b32_e32 v1, 0xffff, v1
	v_lshlrev_b32_e32 v3, 16, v3
	v_and_or_b32 v7, 0x30303030, v8, v7
	v_lshrrev_b32_e32 v8, 4, v99
	v_bitop3_b16 v4, v5, v4, 0x3f00 bitop3:0xec
	v_bitop3_b16 v0, v2, v0, 0x3f00 bitop3:0xec
	v_or_b32_e32 v1, v1, v3
	v_lshrrev_b32_e32 v2, 16, v7
	v_and_b32_e32 v3, 0xf0f0f0f, v8
	v_add_nc_u16 v4, 0xe000, v4
	v_add_nc_u16 v0, 0xe000, v0
	v_lshlrev_b16 v5, 8, v7
	v_lshlrev_b16 v8, 8, v2
	v_and_or_b32 v3, 0x30303030, v6, v3
	v_and_b32_e32 v4, 0xffff, v4
	v_lshlrev_b32_e32 v0, 16, v0
	v_add_nc_u16 v5, 0xe000, v5
	v_add_nc_u16 v6, 0xe000, v8
	v_lshlrev_b16 v8, 8, v3
	s_delay_alu instid0(VALU_DEP_4) | instskip(NEXT) | instid1(VALU_DEP_4)
	v_dual_lshrrev_b32 v9, 16, v3 :: v_dual_bitop2_b32 v0, v4, v0 bitop3:0x54
	v_lshrrev_b16 v4, 8, v5
	s_delay_alu instid0(VALU_DEP_4) | instskip(NEXT) | instid1(VALU_DEP_4)
	v_lshrrev_b16 v5, 8, v6
	v_add_nc_u16 v6, 0xe000, v8
	s_delay_alu instid0(VALU_DEP_4)
	v_lshlrev_b16 v8, 8, v9
	ds_store_2addr_b32 v53, v1, v0 offset1:16
	v_bitop3_b16 v0, v7, v4, 0x3f00 bitop3:0xec
	v_bitop3_b16 v1, v2, v5, 0x3f00 bitop3:0xec
	v_lshrrev_b16 v2, 8, v6
	v_add_nc_u16 v4, 0xe000, v8
	s_wait_loadcnt 0x6
	v_ashrrev_i32_e32 v5, v126, v102
	v_add_nc_u16 v0, 0xe000, v0
	v_add_nc_u16 v1, 0xe000, v1
	v_and_b32_e32 v6, 0xf0f0f0f, v101
	v_lshrrev_b16 v4, 8, v4
	v_lshrrev_b32_e32 v7, 4, v101
	v_lshlrev_b32_e32 v8, 4, v5
	v_bitop3_b16 v2, v3, v2, 0x3f00 bitop3:0xec
	v_and_b32_e32 v0, 0xffff, v0
	v_bitop3_b16 v3, v9, v4, 0x3f00 bitop3:0xec
	v_and_b32_e32 v7, 0xf0f0f0f, v7
	v_and_or_b32 v6, 0x30303030, v8, v6
	v_add_nc_u16 v2, 0xe000, v2
	s_wait_loadcnt 0x1
	v_lshrrev_b32_e32 v11, 4, v134
	v_add_nc_u16 v3, 0xe000, v3
	v_dual_lshlrev_b32 v1, 16, v1 :: v_dual_lshrrev_b32 v4, 16, v6
	v_and_b32_e32 v2, 0xffff, v2
	v_and_b32_e32 v12, 0xf0f0f0f, v134
	s_delay_alu instid0(VALU_DEP_3) | instskip(SKIP_4) | instid1(VALU_DEP_4)
	v_dual_lshlrev_b32 v3, 16, v3 :: v_dual_bitop2_b32 v0, v0, v1 bitop3:0x54
	v_and_or_b32 v1, 0x30303030, v5, v7
	v_lshlrev_b16 v5, 8, v6
	v_lshlrev_b16 v8, 8, v4
	v_and_b32_e32 v11, 0xf0f0f0f, v11
	v_lshrrev_b32_e32 v7, 16, v1
	v_lshlrev_b16 v9, 8, v1
	v_add_nc_u16 v5, 0xe000, v5
	v_add_nc_u16 v8, 0xe000, v8
	s_delay_alu instid0(VALU_DEP_4) | instskip(NEXT) | instid1(VALU_DEP_4)
	v_lshlrev_b16 v10, 8, v7
	v_add_nc_u16 v9, 0xe000, v9
	s_delay_alu instid0(VALU_DEP_4) | instskip(NEXT) | instid1(VALU_DEP_4)
	v_lshrrev_b16 v5, 8, v5
	v_lshrrev_b16 v8, 8, v8
	s_delay_alu instid0(VALU_DEP_4) | instskip(NEXT) | instid1(VALU_DEP_3)
	v_add_nc_u16 v10, 0xe000, v10
	v_bitop3_b16 v5, v6, v5, 0x3f00 bitop3:0xec
	s_delay_alu instid0(VALU_DEP_3)
	v_bitop3_b16 v4, v4, v8, 0x3f00 bitop3:0xec
	v_ashrrev_i32_e32 v8, v126, v104
	v_or_b32_e32 v2, v2, v3
	v_lshrrev_b16 v3, 8, v9
	v_lshrrev_b16 v6, 8, v10
	v_lshrrev_b32_e32 v9, 4, v103
	v_add_nc_u16 v4, 0xe000, v4
	s_delay_alu instid0(VALU_DEP_4)
	v_bitop3_b16 v1, v1, v3, 0x3f00 bitop3:0xec
	v_add_nc_u16 v3, 0xe000, v5
	v_bitop3_b16 v5, v7, v6, 0x3f00 bitop3:0xec
	v_and_b32_e32 v6, 0xf0f0f0f, v103
	v_lshlrev_b32_e32 v7, 4, v8
	v_add_nc_u16 v1, 0xe000, v1
	v_and_b32_e32 v3, 0xffff, v3
	v_add_nc_u16 v5, 0xe000, v5
	ds_store_2addr_b32 v55, v0, v2 offset1:16
	v_and_or_b32 v6, 0x30303030, v7, v6
	v_lshlrev_b32_e32 v4, 16, v4
	v_and_b32_e32 v7, 0xf0f0f0f, v9
	v_and_b32_e32 v1, 0xffff, v1
	s_delay_alu instid0(VALU_DEP_4) | instskip(NEXT) | instid1(VALU_DEP_4)
	v_dual_lshrrev_b32 v9, 16, v6 :: v_dual_lshlrev_b32 v5, 16, v5
	v_or_b32_e32 v3, v3, v4
	s_delay_alu instid0(VALU_DEP_4) | instskip(SKIP_1) | instid1(VALU_DEP_4)
	v_and_or_b32 v4, 0x30303030, v8, v7
	v_lshlrev_b16 v10, 8, v6
	v_lshlrev_b16 v7, 8, v9
	v_or_b32_e32 v1, v1, v5
	s_delay_alu instid0(VALU_DEP_4) | instskip(NEXT) | instid1(VALU_DEP_4)
	v_lshlrev_b16 v0, 8, v4
	v_add_nc_u16 v5, 0xe000, v10
	s_delay_alu instid0(VALU_DEP_4)
	v_add_nc_u16 v2, 0xe000, v7
	v_lshrrev_b32_e32 v7, 16, v4
	ds_store_2addr_b32 v57, v3, v1 offset1:16
	v_add_nc_u16 v0, 0xe000, v0
	v_lshrrev_b16 v5, 8, v5
	v_lshrrev_b16 v1, 8, v2
	v_lshlrev_b16 v2, 8, v7
	s_wait_loadcnt 0x0
	v_ashrrev_i32_e32 v10, v126, v135
	v_lshrrev_b16 v0, 8, v0
	v_bitop3_b16 v3, v6, v5, 0x3f00 bitop3:0xec
	v_ashrrev_i32_e32 v5, v126, v133
	v_add_nc_u16 v2, 0xe000, v2
	v_bitop3_b16 v1, v9, v1, 0x3f00 bitop3:0xec
	v_and_b32_e32 v6, 0xf0f0f0f, v105
	v_bitop3_b16 v0, v4, v0, 0x3f00 bitop3:0xec
	v_lshlrev_b32_e32 v8, 4, v5
	v_lshrrev_b16 v2, 8, v2
	v_add_nc_u16 v3, 0xe000, v3
	v_add_nc_u16 v1, 0xe000, v1
	v_lshlrev_b32_e32 v13, 4, v10
	v_and_or_b32 v4, 0x30303030, v8, v6
	v_bitop3_b16 v2, v7, v2, 0x3f00 bitop3:0xec
	v_and_b32_e32 v3, 0xffff, v3
	v_lshlrev_b32_e32 v1, 16, v1
	v_add_nc_u16 v0, 0xe000, v0
	v_lshlrev_b16 v7, 8, v4
	v_add_nc_u16 v2, 0xe000, v2
	v_dual_lshrrev_b32 v6, 4, v105 :: v_dual_lshrrev_b32 v8, 16, v4
	v_or_b32_e32 v1, v3, v1
	s_delay_alu instid0(VALU_DEP_4) | instskip(NEXT) | instid1(VALU_DEP_4)
	v_add_nc_u16 v3, 0xe000, v7
	v_lshlrev_b32_e32 v2, 16, v2
	s_delay_alu instid0(VALU_DEP_4) | instskip(SKIP_1) | instid1(VALU_DEP_4)
	v_and_b32_e32 v6, 0xf0f0f0f, v6
	v_and_b32_e32 v0, 0xffff, v0
	v_lshrrev_b16 v3, 8, v3
	s_delay_alu instid0(VALU_DEP_3) | instskip(SKIP_1) | instid1(VALU_DEP_4)
	v_and_or_b32 v5, 0x30303030, v5, v6
	v_lshlrev_b16 v6, 8, v8
	v_or_b32_e32 v0, v0, v2
	s_delay_alu instid0(VALU_DEP_4) | instskip(NEXT) | instid1(VALU_DEP_4)
	v_bitop3_b16 v3, v4, v3, 0x3f00 bitop3:0xec
	v_lshrrev_b32_e32 v7, 16, v5
	v_lshlrev_b16 v9, 8, v5
	v_add_nc_u16 v6, 0xe000, v6
	s_delay_alu instid0(VALU_DEP_4)
	v_add_nc_u16 v3, 0xe000, v3
	ds_store_2addr_b32 v59, v1, v0 offset1:16
	v_lshlrev_b16 v4, 8, v7
	v_add_nc_u16 v9, 0xe000, v9
	v_lshrrev_b16 v6, 8, v6
	v_and_b32_e32 v3, 0xffff, v3
	v_cvt_f32_f16_e32 v0, v94
	v_add_nc_u16 v4, 0xe000, v4
	v_lshrrev_b16 v9, 8, v9
	v_bitop3_b16 v6, v8, v6, 0x3f00 bitop3:0xec
	v_and_or_b32 v8, 0x30303030, v13, v12
	s_delay_alu instid0(VALU_DEP_4) | instskip(NEXT) | instid1(VALU_DEP_4)
	v_lshrrev_b16 v4, 8, v4
	v_bitop3_b16 v5, v5, v9, 0x3f00 bitop3:0xec
	v_and_or_b32 v9, 0x30303030, v10, v11
	v_add_nc_u16 v6, 0xe000, v6
	v_lshlrev_b16 v11, 8, v8
	v_bitop3_b16 v4, v7, v4, 0x3f00 bitop3:0xec
	s_delay_alu instid0(VALU_DEP_4) | instskip(NEXT) | instid1(VALU_DEP_4)
	v_dual_lshrrev_b32 v7, 16, v8 :: v_dual_lshrrev_b32 v10, 16, v9
	v_lshlrev_b32_e32 v6, 16, v6
	v_lshlrev_b16 v13, 8, v9
	v_add_nc_u16 v11, 0xe000, v11
	s_delay_alu instid0(VALU_DEP_4)
	v_lshlrev_b16 v12, 8, v7
	v_lshlrev_b16 v14, 8, v10
	v_add_nc_u16 v5, 0xe000, v5
	v_add_nc_u16 v13, 0xe000, v13
	v_lshrrev_b16 v11, 8, v11
	v_add_nc_u16 v12, 0xe000, v12
	v_add_nc_u16 v14, 0xe000, v14
	;; [unrolled: 1-line block ×3, first 2 shown]
	v_lshrrev_b16 v13, 8, v13
	v_bitop3_b16 v8, v8, v11, 0x3f00 bitop3:0xec
	v_lshrrev_b16 v12, 8, v12
	v_lshrrev_b16 v14, 8, v14
	v_and_b32_e32 v5, 0xffff, v5
	v_bitop3_b16 v9, v9, v13, 0x3f00 bitop3:0xec
	v_add_nc_u16 v8, 0xe000, v8
	v_bitop3_b16 v7, v7, v12, 0x3f00 bitop3:0xec
	v_bitop3_b16 v10, v10, v14, 0x3f00 bitop3:0xec
	v_or_b32_e32 v2, v3, v6
	v_add_nc_u16 v9, 0xe000, v9
	v_and_b32_e32 v8, 0xffff, v8
	v_add_nc_u16 v7, 0xe000, v7
	v_add_nc_u16 v10, 0xe000, v10
	v_lshlrev_b32_e32 v4, 16, v4
	v_and_b32_e32 v9, 0xffff, v9
	s_delay_alu instid0(VALU_DEP_3) | instskip(NEXT) | instid1(VALU_DEP_3)
	v_dual_lshlrev_b32 v7, 16, v7 :: v_dual_lshlrev_b32 v10, 16, v10
	v_or_b32_e32 v3, v5, v4
	s_delay_alu instid0(VALU_DEP_2) | instskip(NEXT) | instid1(VALU_DEP_3)
	v_or_b32_e32 v4, v8, v7
	v_or_b32_e32 v5, v9, v10
	ds_store_2addr_b32 v61, v2, v3 offset1:16
	ds_store_2addr_b32 v63, v4, v5 offset1:16
	ds_store_b32 v65, v0
	ds_store_b32 v107, v95
	;; [unrolled: 1-line block ×3, first 2 shown]
	s_cbranch_scc0 .LBB236_4
; %bb.6:                                ;   in Loop: Header=BB236_5 Depth=1
	s_lshl_b32 s19, s14, 3
	s_delay_alu instid0(SALU_CYCLE_1) | instskip(NEXT) | instid1(VALU_DEP_1)
	v_add_nc_u32_e32 v0, s19, v113
	v_cmp_gt_i32_e32 vcc_lo, s8, v0
	s_and_b32 s21, s1, vcc_lo
	s_delay_alu instid0(SALU_CYCLE_1)
	s_and_saveexec_b32 s20, s21
	s_cbranch_execz .LBB236_8
; %bb.7:                                ;   in Loop: Header=BB236_5 Depth=1
	v_add_nc_u32_e32 v0, v24, v0
	s_delay_alu instid0(VALU_DEP_1)
	v_mad_nc_i64_i32 v[0:1], v0, 36, v[26:27]
	global_load_b32 v0, v[0:1], off offset:4
	s_wait_loadcnt 0x0
	ds_store_b32 v109, v0
.LBB236_8:                              ;   in Loop: Header=BB236_5 Depth=1
	s_or_b32 exec_lo, exec_lo, s20
	v_add_nc_u32_e32 v8, s19, v29
	s_delay_alu instid0(VALU_DEP_1) | instskip(SKIP_1) | instid1(SALU_CYCLE_1)
	v_cmp_gt_i32_e32 vcc_lo, s8, v8
	s_and_b32 s21, s6, vcc_lo
	s_and_saveexec_b32 s20, s21
	s_cbranch_execz .LBB236_10
; %bb.9:                                ;   in Loop: Header=BB236_5 Depth=1
	v_add_nc_u32_e32 v0, v24, v8
	s_delay_alu instid0(VALU_DEP_1)
	v_mad_nc_i64_i32 v[0:1], v0, 36, s[2:3]
	global_load_b32 v0, v[0:1], off
	s_wait_loadcnt 0x0
	v_cvt_f32_f16_e32 v0, v0
	ds_store_b32 v112, v0
.LBB236_10:                             ;   in Loop: Header=BB236_5 Depth=1
	s_or_b32 exec_lo, exec_lo, s20
	s_wait_dscnt 0x0
	s_barrier_signal -1
	s_barrier_wait -1
	ds_load_b32 v9, v114
	ds_load_b32 v88, v116 offset:128
	ds_load_b32 v89, v117 offset:256
	;; [unrolled: 1-line block ×3, first 2 shown]
	s_mov_b32 s21, 0
	s_mov_b32 s20, -1
.LBB236_11:                             ;   Parent Loop BB236_5 Depth=1
                                        ; =>  This Inner Loop Header: Depth=2
	s_lshl_b32 s23, s21, 3
	v_lshl_or_b32 v133, s21, 1, v45
	s_lshr_b32 s22, s21, 1
	v_dual_add_nc_u32 v136, s23, v127 :: v_dual_add_nc_u32 v137, s23, v128
	s_add_co_i32 s21, s22, 0x8200
	v_dual_add_nc_u32 v138, s23, v129 :: v_dual_add_nc_u32 v139, s23, v130
	v_add3_u32 v4, s21, v132, v121
	v_add3_u32 v5, s21, v122, v123
	;; [unrolled: 1-line block ×3, first 2 shown]
	v_lshlrev_b32_e32 v140, 2, v133
	ds_load_2addr_b32 v[10:11], v136 offset0:6 offset1:7
	ds_load_2addr_b32 v[66:67], v136 offset0:10 offset1:11
	;; [unrolled: 1-line block ×9, first 2 shown]
	ds_load_u16 v141, v139 offset:32
	ds_load_b128 v[0:3], v139 offset:34
	ds_load_2addr_b32 v[84:85], v137 offset0:14 offset1:15
	ds_load_2addr_b32 v[68:69], v138 offset0:6 offset1:7
	;; [unrolled: 1-line block ×4, first 2 shown]
	ds_load_b32 v142, v4
	ds_load_2addr_b32 v[94:95], v136 offset0:12 offset1:13
	ds_load_b32 v103, v5
	ds_load_2addr_b32 v[96:97], v137 offset0:12 offset1:13
	ds_load_2addr_b32 v[98:99], v137 offset0:10 offset1:11
	ds_load_b32 v100, v6
	ds_load_2addr_b32 v[104:105], v138 offset0:11 offset1:12
	ds_load_2addr_b32 v[134:135], v138 offset0:9 offset1:10
	ds_load_b128 v[4:7], v140 offset:35440
	ds_load_b128 v[80:83], v140 offset:35424
	s_and_b32 vcc_lo, exec_lo, s20
	s_mov_b32 s20, 0
	s_wait_dscnt 0x10
	v_perm_b32 v143, v79, v79, 0x706000c
	v_perm_b32 v91, v78, v78, 0xc0c0c03
	s_wait_dscnt 0xe
	v_bfe_i32 v146, v2, 8, 8
	v_bfe_i32 v147, v2, 0, 8
	v_perm_b32 v149, v3, v0, 0xc0c0402
	v_perm_b32 v150, v2, v0, 0xc0c0600
	;; [unrolled: 1-line block ×4, first 2 shown]
	s_wait_dscnt 0x8
	v_perm_b32 v0, v92, v95, 0x7060403
	v_ashrrev_i32_e32 v102, 24, v3
	v_bfe_i32 v144, v3, 16, 8
	v_ashrrev_i32_e32 v145, 24, v1
	v_bfe_i32 v101, v1, 0, 8
	v_bfe_i32 v148, v1, 16, 8
	;; [unrolled: 1-line block ×3, first 2 shown]
	s_wait_dscnt 0x1
	v_perm_b32 v2, v94, v6, 0x6040501
	v_perm_b32 v92, v4, v92, 0x6040501
	;; [unrolled: 1-line block ×6, first 2 shown]
	v_dot4_i32_iu8 v2, v92, v2, 0 neg_lo:[1,1,0]
	v_perm_b32 v92, v84, v97, 0x7060403
	v_perm_b32 v84, v4, v84, 0x6040501
	;; [unrolled: 1-line block ×3, first 2 shown]
	v_bfe_i32 v97, v6, 8, 8
	v_dot4_i32_iu8 v2, v94, v3, v2 neg_lo:[1,1,0]
	v_perm_b32 v3, v96, v6, 0x6040501
	v_perm_b32 v94, v5, v96, 0x6040503
	v_bfe_i32 v153, v5, 16, 8
	v_ashrrev_i32_e32 v154, 24, v6
	v_perm_b32 v156, v7, v5, 0xc0c0701
	v_dot4_i32_iu8 v3, v84, v3, 0 neg_lo:[1,1,0]
	v_perm_b32 v84, v105, v6, 0x6040501
	v_perm_b32 v155, v7, v4, 0xc0c0503
	s_wait_dscnt 0x0
	v_bfe_i32 v159, v81, 16, 8
	v_bfe_i32 v160, v80, 8, 8
	v_dot4_i32_iu8 v3, v95, v94, v3 neg_lo:[1,1,0]
	v_perm_b32 v94, v5, v105, 0x6040503
	v_dot4_i32_iu8 v79, v79, v84, 0 neg_lo:[1,1,0]
	v_perm_b32 v84, v6, v5, 0x7060403
	v_bfe_i32 v105, v6, 16, 8
	v_mul_i32_i24_e32 v101, v101, v159
	s_delay_alu instid0(VALU_DEP_4)
	v_dot4_i32_iu8 v78, v78, v94, v79 neg_lo:[1,1,0]
	v_or_b32_e32 v79, v143, v91
	v_dot4_i32_iu8 v0, v84, v0, v2 neg_lo:[1,1,0]
	v_dot4_i32_iu8 v3, v84, v92, v3 neg_lo:[1,1,0]
	v_bfe_i32 v2, v6, 0, 8
	v_ashrrev_i32_e32 v6, 24, v5
	v_dot4_i32_iu8 v78, v84, v79, v78 neg_lo:[1,1,0]
	v_dot4_i32_iu8 v91, v7, v93, v0 neg_lo:[1,1,0]
	v_perm_b32 v0, v70, v82, 0x6040501
	v_dot4_i32_iu8 v93, v7, v85, v3 neg_lo:[1,1,0]
	v_perm_b32 v3, v7, v5, 0xc0c0600
	v_perm_b32 v5, v80, v66, 0x6040501
	v_bfe_i32 v143, v4, 8, 8
	v_bfe_i32 v84, v4, 0, 8
	v_dot4_i32_iu8 v92, v7, v87, v78 neg_lo:[1,1,0]
	v_perm_b32 v4, v7, v4, 0xc0c0402
	v_perm_b32 v7, v81, v70, 0x6040503
	v_perm_b32 v70, v71, v80, 0x6040503
	v_dot4_i32_iu8 v0, v5, v0, 0 neg_lo:[1,1,0]
	v_perm_b32 v5, v76, v82, 0x6040501
	v_perm_b32 v78, v134, v80, 0x6040503
	;; [unrolled: 1-line block ×4, first 2 shown]
	v_dot4_i32_iu8 v0, v70, v7, v0 neg_lo:[1,1,0]
	v_perm_b32 v7, v80, v98, 0x6040501
	v_perm_b32 v70, v81, v76, 0x6040503
	;; [unrolled: 1-line block ×3, first 2 shown]
	v_bfe_i32 v85, v82, 8, 8
	v_mul_i32_i24_e32 v102, v102, v143
	v_dot4_i32_iu8 v5, v7, v5, 0 neg_lo:[1,1,0]
	v_perm_b32 v7, v77, v80, 0x6040503
	s_delay_alu instid0(VALU_DEP_1) | instskip(SKIP_2) | instid1(VALU_DEP_1)
	v_dot4_i32_iu8 v5, v7, v70, v5 neg_lo:[1,1,0]
	v_perm_b32 v7, v86, v82, 0x6040501
	v_perm_b32 v70, v80, v135, 0x6040501
	v_dot4_i32_iu8 v7, v70, v7, 0 neg_lo:[1,1,0]
	v_perm_b32 v70, v134, v134, 0xc0c0c03
	v_perm_b32 v134, v83, v80, 0xc0c0503
	s_delay_alu instid0(VALU_DEP_3)
	v_dot4_i32_iu8 v7, v78, v76, v7 neg_lo:[1,1,0]
	ds_load_b64 v[78:79], v139 offset:50
	ds_load_u16 v157, v139 offset:58
	ds_load_b32 v158, v139 offset:60
	v_perm_b32 v76, v98, v77, 0x7060403
	v_perm_b32 v77, v82, v81, 0x7060403
	v_or_b32_e32 v70, v71, v70
	ds_load_2addr_b32 v[86:87], v138 offset0:4 offset1:5
	v_dot4_i32_iu8 v0, v77, v66, v0 neg_lo:[1,1,0]
	v_dot4_i32_iu8 v5, v77, v76, v5 neg_lo:[1,1,0]
	v_ashrrev_i32_e32 v76, 24, v82
	s_delay_alu instid0(VALU_DEP_3)
	v_dot4_i32_iu8 v94, v83, v67, v0 neg_lo:[1,1,0]
	v_ashrrev_i32_e32 v0, 24, v81
	v_dot4_i32_iu8 v7, v77, v70, v7 neg_lo:[1,1,0]
	v_dot4_i32_iu8 v95, v83, v99, v5 neg_lo:[1,1,0]
	v_bfe_i32 v5, v80, 0, 8
	v_perm_b32 v99, v83, v81, 0xc0c0600
	s_wait_dscnt 0x3
	v_bfe_i32 v66, v79, 16, 8
	v_dot4_i32_iu8 v96, v83, v104, v7 neg_lo:[1,1,0]
	v_perm_b32 v7, v83, v80, 0xc0c0402
	v_perm_b32 v104, v83, v81, 0xc0c0701
	ds_load_2addr_b32 v[80:81], v139 offset0:6 offset1:7
	v_mul_i32_i24_e32 v2, v66, v2
	s_wait_dscnt 0x2
	v_perm_b32 v66, v158, v78, 0xc0c0501
	v_bfe_i32 v70, v82, 16, 8
	v_perm_b32 v67, v158, v78, 0xc0c0602
	v_mul_i32_i24_e32 v0, v1, v0
	v_perm_b32 v1, v158, v78, 0xc0c0400
	v_dot4_i32_iu8 v98, v66, v155, v2 neg_lo:[1,1,0]
	v_bfe_i32 v66, v79, 8, 8
	v_mul_i32_i24_e32 v2, v144, v84
	v_bfe_i32 v77, v82, 0, 8
	ds_load_2addr_b32 v[82:83], v139 offset0:4 offset1:5
	v_perm_b32 v78, v158, v78, 0xc0c0703
	v_mul_i32_i24_e32 v6, v66, v6
	v_bfe_i32 v66, v157, 0, 8
	v_lshrrev_b16 v157, 8, v157
	s_delay_alu instid0(VALU_DEP_3) | instskip(NEXT) | instid1(VALU_DEP_3)
	v_dot4_i32_iu8 v155, v1, v4, v6 neg_lo:[1,1,0]
	v_mul_i32_i24_e32 v66, v66, v105
	v_mul_i32_i24_e32 v1, v147, v70
	v_bfe_i32 v6, v141, 0, 8
	s_wait_dscnt 0x1
	v_bfe_i32 v84, v81, 0, 8
	ds_load_2addr_b32 v[70:71], v139 offset0:2 offset1:3
	v_dot4_i32_iu8 v144, v67, v3, v66 neg_lo:[1,1,0]
	v_ashrrev_i32_e32 v3, 24, v79
	v_dot4_i32_iu8 v147, v149, v99, v1 neg_lo:[1,1,0]
	v_dot4_i32_iu8 v149, v150, v7, v0 neg_lo:[1,1,0]
	v_mul_i32_i24_e32 v5, v6, v5
	v_mul_i32_i24_e32 v4, v146, v76
	v_mad_i32_i24 v97, v3, v97, v2
	ds_load_b128 v[0:3], v140 offset:35408
	v_mul_i32_i24_e32 v76, v148, v77
	v_mad_i32_i24 v99, v145, v85, v5
	s_wait_dscnt 0x2
	v_bfe_i32 v77, v83, 16, 8
	v_bfe_i32 v6, v80, 16, 8
	;; [unrolled: 1-line block ×3, first 2 shown]
	v_dot4_i32_iu8 v148, v152, v134, v76 neg_lo:[1,1,0]
	v_bfe_i32 v76, v81, 8, 8
	v_dot4_i32_iu8 v146, v151, v104, v4 neg_lo:[1,1,0]
	v_ashrrev_i32_e32 v4, 24, v83
	v_perm_b32 v5, v72, v10, 0x6050401
	ds_load_2addr_b32 v[66:67], v138 offset0:2 offset1:3
	v_bfe_i32 v157, v157, 0, 8
	v_perm_b32 v10, v10, v73, 0x7060403
	v_lshrrev_b16 v83, 8, v83
	s_delay_alu instid0(VALU_DEP_3) | instskip(NEXT) | instid1(VALU_DEP_2)
	v_mul_i32_i24_e32 v154, v157, v154
	v_bfe_i32 v83, v83, 0, 8
	s_wait_dscnt 0x1
	v_bfe_i32 v85, v3, 0, 8
	s_delay_alu instid0(VALU_DEP_3) | instskip(SKIP_1) | instid1(VALU_DEP_3)
	v_dot4_i32_iu8 v78, v78, v156, v154 neg_lo:[1,1,0]
	v_ashrrev_i32_e32 v154, 24, v2
	v_mul_i32_i24_e32 v84, v84, v85
	v_bfe_i32 v85, v1, 16, 8
	s_delay_alu instid0(VALU_DEP_1) | instskip(SKIP_3) | instid1(VALU_DEP_3)
	v_mad_i32_i24 v145, v77, v85, v84
	v_bfe_i32 v84, v2, 16, 8
	v_perm_b32 v77, v74, v14, 0x6050401
	v_perm_b32 v14, v14, v75, 0x7060403
	v_mul_i32_i24_e32 v6, v6, v84
	v_bfe_i32 v84, v1, 0, 8
	s_delay_alu instid0(VALU_DEP_1) | instskip(SKIP_2) | instid1(VALU_DEP_2)
	v_mad_i32_i24 v150, v7, v84, v6
	v_bfe_i32 v6, v3, 8, 8
	v_ashrrev_i32_e32 v7, 24, v1
	v_mul_i32_i24_e32 v6, v76, v6
	v_perm_b32 v76, v0, v2, 0x6050401
	s_delay_alu instid0(VALU_DEP_2) | instskip(SKIP_2) | instid1(VALU_DEP_4)
	v_mad_i32_i24 v151, v4, v7, v6
	v_perm_b32 v4, v73, v0, 0x6040503
	v_perm_b32 v6, v1, v72, 0x6040503
	v_dot4_i32_iu8 v5, v5, v76, 0 neg_lo:[1,1,0]
	v_ashrrev_i32_e32 v73, 24, v0
	s_delay_alu instid0(VALU_DEP_2)
	v_dot4_i32_iu8 v152, v6, v4, v5 neg_lo:[1,1,0]
	v_perm_b32 v4, v75, v0, 0x6040503
	v_perm_b32 v5, v1, v74, 0x6040503
	v_dot4_i32_iu8 v6, v77, v76, 0 neg_lo:[1,1,0]
	v_bfe_i32 v74, v71, 0, 8
	v_bfe_i32 v75, v82, 0, 8
	s_delay_alu instid0(VALU_DEP_3)
	v_dot4_i32_iu8 v161, v5, v4, v6 neg_lo:[1,1,0]
	v_perm_b32 v4, v86, v68, 0x6050401
	v_perm_b32 v5, v87, v0, 0x6040503
	;; [unrolled: 1-line block ×4, first 2 shown]
	v_ashrrev_i32_e32 v87, 24, v142
	v_dot4_i32_iu8 v4, v4, v76, 0 neg_lo:[1,1,0]
	ds_load_2addr_b32 v[76:77], v139 offset1:1
	v_dot4_i32_iu8 v162, v6, v5, v4 neg_lo:[1,1,0]
	v_bfe_i32 v4, v82, 8, 8
	v_bfe_i32 v5, v0, 8, 8
	;; [unrolled: 1-line block ×3, first 2 shown]
	s_delay_alu instid0(VALU_DEP_2) | instskip(SKIP_1) | instid1(VALU_DEP_1)
	v_mul_i32_i24_e32 v4, v4, v5
	v_bfe_i32 v5, v80, 8, 8
	v_mad_i32_i24 v72, v5, v6, v4
	v_bfe_i32 v4, v81, 16, 8
	v_bfe_i32 v5, v3, 16, 8
	;; [unrolled: 1-line block ×3, first 2 shown]
	s_delay_alu instid0(VALU_DEP_2) | instskip(SKIP_2) | instid1(VALU_DEP_2)
	v_mul_i32_i24_e32 v4, v4, v5
	v_bfe_i32 v5, v80, 0, 8
	v_ashrrev_i32_e32 v80, 24, v80
	v_mad_i32_i24 v163, v5, v6, v4
	ds_load_b128 v[4:7], v140 offset:35392
	v_mul_i32_i24_e32 v80, v80, v154
	v_lshrrev_b16 v154, 8, v1
	v_perm_b32 v1, v2, v1, 0x7060403
	s_delay_alu instid0(VALU_DEP_2) | instskip(NEXT) | instid1(VALU_DEP_2)
	v_bfe_i32 v154, v154, 0, 8
	v_dot4_i32_iu8 v2, v1, v10, v152 neg_lo:[1,1,0]
	v_dot4_i32_iu8 v10, v1, v14, v161 neg_lo:[1,1,0]
	;; [unrolled: 1-line block ×3, first 2 shown]
	v_bfe_i32 v14, v82, 16, 8
	v_bfe_i32 v68, v0, 16, 8
	v_dot4_i32_iu8 v2, v11, v3, v2 neg_lo:[1,1,0]
	v_mul_i32_i24_e32 v83, v83, v154
	v_bfe_i32 v0, v0, 0, 8
	s_delay_alu instid0(VALU_DEP_4)
	v_mul_i32_i24_e32 v14, v14, v68
	v_ashrrev_i32_e32 v68, 24, v82
	v_lshrrev_b16 v82, 8, v141
	s_wait_dscnt 0x0
	v_bfe_i32 v84, v7, 0, 8
	v_bfe_i32 v85, v5, 16, 8
	;; [unrolled: 1-line block ×3, first 2 shown]
	v_ashrrev_i32_e32 v104, 24, v5
	v_perm_b32 v164, v4, v6, 0x6050401
	v_mul_i32_i24_e32 v74, v74, v84
	v_bfe_i32 v84, v77, 16, 8
	v_bfe_i32 v165, v6, 8, 8
	v_mul_i32_i24_e32 v68, v68, v73
	v_lshrrev_b16 v73, 8, v5
	v_bfe_i32 v166, v6, 0, 8
	v_mad_i32_i24 v74, v84, v85, v74
	v_bfe_i32 v84, v70, 16, 8
	v_bfe_i32 v85, v6, 16, 8
	v_add3_u32 v14, v14, v68, v163
	v_ashrrev_i32_e32 v68, 24, v70
	v_bfe_i32 v73, v73, 0, 8
	v_perm_b32 v141, v3, v3, 0x3020001
	v_mul_i32_i24_e32 v84, v84, v85
	v_bfe_i32 v85, v77, 0, 8
	v_add3_u32 v80, v83, v80, v151
	v_bfe_i32 v83, v142, 0, 8
	v_bfe_i32 v82, v82, 0, 8
	v_mul_i32_i24_e32 v0, v75, v0
	v_mad_i32_i24 v86, v85, v86, v84
	v_bfe_i32 v84, v71, 8, 8
	v_bfe_i32 v85, v7, 8, 8
	v_add3_u32 v80, v150, v145, v80
	v_mul_i32_i24_e32 v82, v82, v160
	s_delay_alu instid0(VALU_DEP_3) | instskip(SKIP_1) | instid1(VALU_DEP_4)
	v_mul_i32_i24_e32 v84, v84, v85
	v_ashrrev_i32_e32 v85, 24, v77
	v_add3_u32 v0, v80, v0, v72
	s_delay_alu instid0(VALU_DEP_2)
	v_mad_i32_i24 v139, v85, v104, v84
	v_add3_u32 v84, s21, v131, v120
	ds_load_b32 v140, v84
	ds_load_2addr_b32 v[84:85], v136 offset0:2 offset1:3
	ds_load_2addr_b32 v[104:105], v136 offset1:1
	s_mov_b32 s21, 8
	s_wait_dscnt 0x2
	v_bfe_i32 v75, v140, 8, 8
	s_wait_dscnt 0x0
	v_perm_b32 v134, v104, v84, 0x6050401
	v_perm_b32 v135, v105, v4, 0x6040503
	;; [unrolled: 1-line block ×3, first 2 shown]
	v_mul_lo_u32 v2, v2, v75
	s_delay_alu instid0(VALU_DEP_4) | instskip(NEXT) | instid1(VALU_DEP_1)
	v_dot4_i32_iu8 v134, v134, v164, 0 neg_lo:[1,1,0]
	v_dot4_i32_iu8 v104, v104, v135, v134 neg_lo:[1,1,0]
	ds_load_2addr_b32 v[134:135], v137 offset1:1
	s_wait_dscnt 0x0
	v_perm_b32 v136, v134, v12, 0x6050401
	v_perm_b32 v137, v135, v4, 0x6040503
	;; [unrolled: 1-line block ×4, first 2 shown]
	v_bfe_i32 v135, v100, 0, 8
	v_dot4_i32_iu8 v136, v136, v164, 0 neg_lo:[1,1,0]
	s_delay_alu instid0(VALU_DEP_1)
	v_dot4_i32_iu8 v134, v134, v137, v136 neg_lo:[1,1,0]
	ds_load_2addr_b32 v[136:137], v138 offset1:1
	s_wait_dscnt 0x0
	v_perm_b32 v138, v136, v66, 0x6050401
	v_perm_b32 v136, v5, v136, 0x6040503
	;; [unrolled: 1-line block ×4, first 2 shown]
	s_delay_alu instid0(VALU_DEP_4) | instskip(SKIP_2) | instid1(VALU_DEP_4)
	v_dot4_i32_iu8 v138, v138, v164, 0 neg_lo:[1,1,0]
	v_perm_b32 v164, v137, v4, 0x6040503
	v_ashrrev_i32_e32 v137, 24, v3
	v_dot4_i32_iu8 v12, v5, v12, v134 neg_lo:[1,1,0]
	v_dot4_i32_iu8 v3, v15, v3, v10 neg_lo:[1,1,0]
	v_bfe_i32 v134, v103, 0, 8
	v_dot4_i32_iu8 v136, v136, v164, v138 neg_lo:[1,1,0]
	v_bfe_i32 v138, v76, 8, 8
	v_bfe_i32 v164, v4, 8, 8
	v_dot4_i32_iu8 v11, v13, v7, v12 neg_lo:[1,1,0]
	s_delay_alu instid0(VALU_DEP_2) | instskip(SKIP_1) | instid1(VALU_DEP_1)
	v_mul_i32_i24_e32 v138, v138, v164
	v_bfe_i32 v164, v70, 8, 8
	v_mad_i32_i24 v138, v164, v165, v138
	v_bfe_i32 v164, v71, 16, 8
	v_bfe_i32 v165, v7, 16, 8
	v_ashrrev_i32_e32 v71, 24, v71
	s_delay_alu instid0(VALU_DEP_2) | instskip(SKIP_2) | instid1(VALU_DEP_2)
	v_mul_i32_i24_e32 v164, v164, v165
	v_bfe_i32 v165, v70, 0, 8
	v_ashrrev_i32_e32 v70, 24, v6
	v_mad_i32_i24 v164, v165, v166, v164
	s_delay_alu instid0(VALU_DEP_2) | instskip(SKIP_3) | instid1(VALU_DEP_3)
	v_mul_i32_i24_e32 v68, v68, v70
	v_lshrrev_b16 v70, 8, v77
	v_perm_b32 v77, v69, v69, 0x7060001
	v_bfe_i32 v69, v76, 16, 8
	v_bfe_i32 v70, v70, 0, 8
	s_delay_alu instid0(VALU_DEP_3) | instskip(NEXT) | instid1(VALU_DEP_2)
	v_dot4_i32_iu8 v1, v77, v141, v1 neg_lo:[1,1,0]
	v_mul_i32_i24_e32 v70, v70, v73
	v_ashrrev_i32_e32 v73, 24, v81
	v_bfe_i32 v81, v4, 16, 8
	s_delay_alu instid0(VALU_DEP_3) | instskip(SKIP_1) | instid1(VALU_DEP_3)
	v_add3_u32 v70, v70, v68, v139
	v_perm_b32 v68, v84, v105, 0x7060403
	v_mul_i32_i24_e32 v81, v69, v81
	v_dual_ashrrev_i32 v69, 24, v4 :: v_dual_ashrrev_i32 v139, 24, v7
	v_bfe_i32 v4, v4, 0, 8
	s_delay_alu instid0(VALU_DEP_4)
	v_dot4_i32_iu8 v6, v5, v68, v104 neg_lo:[1,1,0]
	v_dot4_i32_iu8 v5, v5, v66, v136 neg_lo:[1,1,0]
	v_bfe_i32 v66, v79, 0, 8
	v_dual_ashrrev_i32 v79, 24, v76 :: v_dual_lshrrev_b32 v68, 1, v133
	v_bfe_i32 v76, v76, 0, 8
	v_dual_add_nc_u32 v104, v148, v146 :: v_dual_add_nc_u32 v133, v149, v147
	s_delay_alu instid0(VALU_DEP_3)
	v_mul_i32_i24_e32 v79, v79, v69
	ds_load_b64 v[68:69], v68 offset:36944
	v_mul_i32_i24_e32 v71, v71, v139
	v_add_nc_u32_e32 v139, v155, v144
	v_mul_i32_i24_e32 v73, v73, v137
	v_add3_u32 v79, v81, v79, v164
	v_bfe_i32 v81, v142, 8, 8
	v_bfe_i32 v105, v103, 8, 8
	v_add3_u32 v82, v133, v104, v82
	v_bfe_i32 v133, v100, 8, 8
	v_mul_i32_i24_e32 v4, v76, v4
	v_mul_lo_u32 v3, v3, v81
	v_add3_u32 v10, v86, v74, v70
	v_add3_u32 v0, v0, v14, v73
	v_bfe_i32 v84, v142, 16, 8
	v_dual_ashrrev_i32 v104, 24, v103 :: v_dual_ashrrev_i32 v136, 24, v100
	v_bfe_i32 v103, v103, 16, 8
	v_bfe_i32 v100, v100, 16, 8
	;; [unrolled: 1-line block ×3, first 2 shown]
	v_mul_lo_u32 v1, v1, v105
	v_add3_u32 v4, v10, v4, v138
	v_mad_u32 v3, v11, v83, v3
	v_add3_u32 v10, v82, v99, v101
	v_mul_lo_u32 v0, v0, v133
	v_mul_lo_u32 v12, v94, v76
	v_mul_lo_u32 v13, v95, v84
	v_mul_lo_u32 v15, v96, v103
	v_mul_lo_u32 v10, v10, v100
	v_mul_i32_i24_e32 v66, v66, v153
	v_bfe_i32 v137, v140, 0, 8
	v_dot4_i32_iu8 v6, v85, v7, v6 neg_lo:[1,1,0]
	v_dot4_i32_iu8 v5, v67, v7, v5 neg_lo:[1,1,0]
	v_cvt_f32_i32_e32 v3, v3
	v_add3_u32 v4, v4, v79, v71
	v_ashrrev_i32_e32 v140, 24, v140
	v_mad_u32 v2, v6, v137, v2
	v_mad_u32 v1, v5, v134, v1
	s_wait_dscnt 0x0
	v_fma_f32 v3, v68, v3, 0
	v_add_nc_u32_e32 v78, v98, v78
	v_mad_u32 v0, v4, v135, v0
	v_mad_u32 v12, v91, v140, v12
	;; [unrolled: 1-line block ×4, first 2 shown]
	v_add3_u32 v7, v139, v78, v102
	v_cvt_f32_i32_e32 v2, v2
	v_cvt_f32_i32_e32 v1, v1
	s_delay_alu instid0(VALU_DEP_3) | instskip(SKIP_3) | instid1(VALU_DEP_4)
	v_add3_u32 v7, v7, v97, v66
	v_cvt_f32_i32_e32 v0, v0
	v_cvt_f32_i32_e32 v6, v12
	v_fma_f32 v2, v68, v2, 0
	v_mad_u32 v5, v7, v136, v10
	v_cvt_f32_i32_e32 v7, v13
	v_cvt_f32_i32_e32 v4, v4
	v_fma_f32 v1, v68, v1, 0
	v_fma_f32 v0, v68, v0, 0
	s_delay_alu instid0(VALU_DEP_4) | instskip(NEXT) | instid1(VALU_DEP_3)
	v_dual_fmac_f32 v2, v69, v6 :: v_dual_fmac_f32 v3, v69, v7
	v_fmac_f32_e32 v1, v69, v4
	v_cvt_f32_i32_e32 v5, v5
	s_delay_alu instid0(VALU_DEP_3) | instskip(NEXT) | instid1(VALU_DEP_3)
	v_fmac_f32_e32 v115, v88, v3
	v_fmac_f32_e32 v111, v89, v1
	s_delay_alu instid0(VALU_DEP_3) | instskip(NEXT) | instid1(VALU_DEP_1)
	v_fmac_f32_e32 v0, v69, v5
	v_dual_fmac_f32 v119, v9, v2 :: v_dual_fmac_f32 v106, v90, v0
	s_cbranch_vccnz .LBB236_11
; %bb.12:                               ;   in Loop: Header=BB236_5 Depth=1
	s_bitset1_b32 s18, 7
	s_delay_alu instid0(SALU_CYCLE_1)
	s_cmp_ge_i32 s18, s5
	s_barrier_signal -1
	s_barrier_wait -1
	s_cbranch_scc1 .LBB236_4
; %bb.13:                               ;   in Loop: Header=BB236_5 Depth=1
	v_add_nc_u32_e32 v0, s19, v108
	s_delay_alu instid0(VALU_DEP_1) | instskip(SKIP_1) | instid1(SALU_CYCLE_1)
	v_cmp_gt_i32_e32 vcc_lo, s8, v0
	s_and_b32 s19, s1, vcc_lo
	s_and_saveexec_b32 s18, s19
	s_cbranch_execz .LBB236_15
; %bb.14:                               ;   in Loop: Header=BB236_5 Depth=1
	v_add_nc_u32_e32 v0, v24, v0
	s_delay_alu instid0(VALU_DEP_1)
	v_mad_nc_i64_i32 v[0:1], v0, 36, v[26:27]
	global_load_b32 v0, v[0:1], off offset:4
	s_wait_loadcnt 0x0
	ds_store_b32 v109, v0
.LBB236_15:                             ;   in Loop: Header=BB236_5 Depth=1
	s_or_b32 exec_lo, exec_lo, s18
	s_and_saveexec_b32 s18, s0
	s_cbranch_execz .LBB236_18
; %bb.16:                               ;   in Loop: Header=BB236_5 Depth=1
	v_or_b32_e32 v0, 4, v8
	s_delay_alu instid0(VALU_DEP_1) | instskip(SKIP_1) | instid1(SALU_CYCLE_1)
	v_cmp_gt_i32_e32 vcc_lo, s8, v0
	s_and_b32 s19, s1, vcc_lo
	s_and_b32 exec_lo, exec_lo, s19
	s_cbranch_execz .LBB236_18
; %bb.17:                               ;   in Loop: Header=BB236_5 Depth=1
	v_ashrrev_i32_e32 v9, 31, v8
	s_delay_alu instid0(VALU_DEP_1) | instskip(NEXT) | instid1(VALU_DEP_1)
	v_add_nc_u64_e32 v[0:1], v[24:25], v[8:9]
	v_mad_nc_u64_u32 v[2:3], v0, 36, s[2:3]
	s_delay_alu instid0(VALU_DEP_1)
	v_mad_i32_i24 v3, v1, 36, v3
	global_load_b32 v0, v[2:3], off offset:144
	s_wait_loadcnt 0x0
	v_cvt_f32_f16_e32 v0, v0
	ds_store_b32 v112, v0
.LBB236_18:                             ;   in Loop: Header=BB236_5 Depth=1
	s_or_b32 exec_lo, exec_lo, s18
	s_wait_dscnt 0x0
	s_barrier_signal -1
	s_barrier_wait -1
	ds_load_b32 v133, v114
	ds_load_b32 v134, v116 offset:128
	ds_load_b32 v135, v117 offset:256
	;; [unrolled: 1-line block ×3, first 2 shown]
	s_mov_b32 s18, 16
.LBB236_19:                             ;   Parent Loop BB236_5 Depth=1
                                        ; =>  This Inner Loop Header: Depth=2
	s_delay_alu instid0(SALU_CYCLE_1)
	s_lshl_b32 s19, s18, 1
	s_lshl_b32 s21, s18, 3
	v_and_or_b32 v0, s19, 16, v45
	s_lshr_b32 s20, s18, 1
	v_dual_add_nc_u32 v1, s21, v127 :: v_dual_add_nc_u32 v2, s21, v128
	s_add_co_i32 s20, s20, 0x8200
	v_dual_add_nc_u32 v3, s21, v129 :: v_dual_add_nc_u32 v4, s21, v130
	v_add3_u32 v5, s20, v131, v120
	v_add3_u32 v6, s20, v132, v121
	;; [unrolled: 1-line block ×4, first 2 shown]
	v_dual_lshlrev_b32 v12, 2, v0 :: v_dual_lshrrev_b32 v82, 1, v0
	ds_load_2addr_b32 v[66:67], v1 offset0:6 offset1:7
	ds_load_2addr_b32 v[74:75], v1 offset0:10 offset1:11
	;; [unrolled: 1-line block ×5, first 2 shown]
	ds_load_2addr_b32 v[90:91], v1 offset1:1
	ds_load_2addr_b32 v[72:73], v2 offset0:6 offset1:7
	ds_load_2addr_b32 v[102:103], v2 offset0:8 offset1:9
	;; [unrolled: 1-line block ×8, first 2 shown]
	ds_load_2addr_b32 v[98:99], v3 offset1:1
	ds_load_2addr_b32 v[144:145], v3 offset0:13 offset1:14
	ds_load_2addr_b32 v[80:81], v3 offset0:8 offset1:15
	;; [unrolled: 1-line block ×5, first 2 shown]
	ds_load_2addr_b32 v[152:153], v4 offset1:1
	ds_load_u16 v137, v4 offset:32
	ds_load_b128 v[138:141], v4 offset:34
	ds_load_b64 v[154:155], v4 offset:50
	ds_load_u16 v162, v4 offset:58
	ds_load_b32 v163, v4 offset:60
	ds_load_2addr_b32 v[84:85], v1 offset0:14 offset1:15
	ds_load_2addr_b32 v[100:101], v2 offset1:1
	ds_load_2addr_b32 v[156:157], v1 offset0:12 offset1:13
	ds_load_2addr_b32 v[158:159], v2 offset0:12 offset1:13
	;; [unrolled: 1-line block ×5, first 2 shown]
	ds_load_b32 v164, v6
	ds_load_b32 v165, v7
	;; [unrolled: 1-line block ×4, first 2 shown]
	ds_load_b128 v[0:3], v12 offset:35392
	ds_load_b128 v[4:7], v12 offset:35408
	ds_load_b128 v[8:11], v12 offset:35424
	ds_load_b128 v[12:15], v12 offset:35440
	ds_load_b64 v[82:83], v82 offset:36944
	s_wait_dscnt 0x27
	v_perm_b32 v168, v74, v105, 0x7060403
	s_wait_dscnt 0x1a
	v_perm_b32 v170, v145, v145, 0x706000c
	v_perm_b32 v169, v144, v144, 0xc0c0c03
	s_wait_dscnt 0x11
	v_lshrrev_b16 v177, 8, v162
	v_bfe_i32 v162, v162, 0, 8
	v_dual_ashrrev_i32 v173, 24, v155 :: v_dual_ashrrev_i32 v174, 24, v141
	s_wait_dscnt 0xd
	v_perm_b32 v216, v84, v157, 0x7060403
	s_wait_dscnt 0xc
	v_perm_b32 v217, v76, v159, 0x7060403
	s_wait_dscnt 0xb
	v_perm_b32 v218, v88, v103, 0x7060403
	v_bfe_i32 v176, v155, 0, 8
	v_bfe_i32 v178, v155, 16, 8
	;; [unrolled: 1-line block ×3, first 2 shown]
	v_perm_b32 v179, v163, v154, 0xc0c0602
	s_wait_dscnt 0x5
	v_bfe_i32 v230, v167, 8, 8
	v_bfe_i32 v231, v167, 0, 8
	;; [unrolled: 1-line block ×3, first 2 shown]
	s_wait_dscnt 0x2
	v_perm_b32 v74, v8, v74, 0x6040501
	s_wait_dscnt 0x1
	v_perm_b32 v233, v156, v14, 0x6040501
	v_perm_b32 v84, v12, v84, 0x6040501
	;; [unrolled: 1-line block ×6, first 2 shown]
	v_dot4_i32_iu8 v84, v84, v233, 0 neg_lo:[1,1,0]
	v_perm_b32 v105, v105, v8, 0x6040503
	v_perm_b32 v88, v8, v88, 0x6040501
	;; [unrolled: 1-line block ×3, first 2 shown]
	v_dot4_i32_iu8 v76, v76, v234, 0 neg_lo:[1,1,0]
	v_dot4_i32_iu8 v84, v157, v156, v84 neg_lo:[1,1,0]
	v_perm_b32 v157, v13, v158, 0x6040503
	v_perm_b32 v158, v159, v12, 0x6040503
	;; [unrolled: 1-line block ×5, first 2 shown]
	v_ashrrev_i32_e32 v167, 24, v167
	v_dot4_i32_iu8 v76, v158, v157, v76 neg_lo:[1,1,0]
	v_perm_b32 v158, v102, v10, 0x6040501
	v_dot4_i32_iu8 v74, v74, v159, 0 neg_lo:[1,1,0]
	v_perm_b32 v102, v9, v102, 0x6040503
	v_ashrrev_i32_e32 v159, 24, v13
	v_perm_b32 v180, v163, v154, 0xc0c0400
	v_dot4_i32_iu8 v88, v88, v158, 0 neg_lo:[1,1,0]
	v_dot4_i32_iu8 v74, v105, v104, v74 neg_lo:[1,1,0]
	v_perm_b32 v105, v87, v14, 0x6040501
	v_perm_b32 v87, v13, v87, 0x6040503
	;; [unrolled: 1-line block ×3, first 2 shown]
	v_dot4_i32_iu8 v88, v103, v102, v88 neg_lo:[1,1,0]
	v_perm_b32 v103, v144, v12, 0x6040503
	v_perm_b32 v144, v80, v10, 0x6040501
	v_dot4_i32_iu8 v105, v145, v105, 0 neg_lo:[1,1,0]
	v_perm_b32 v145, v8, v161, 0x6040501
	v_perm_b32 v80, v9, v80, 0x6040503
	;; [unrolled: 1-line block ×4, first 2 shown]
	v_dot4_i32_iu8 v87, v103, v87, v105 neg_lo:[1,1,0]
	v_bfe_i32 v105, v14, 16, 8
	v_dot4_i32_iu8 v144, v145, v144, 0 neg_lo:[1,1,0]
	v_bfe_i32 v160, v177, 0, 8
	v_perm_b32 v161, v15, v12, 0xc0c0402
	v_mul_i32_i24_e32 v155, v155, v159
	v_mul_i32_i24_e32 v105, v162, v105
	v_dot4_i32_iu8 v80, v158, v80, v144 neg_lo:[1,1,0]
	v_perm_b32 v158, v15, v13, 0xc0c0600
	v_perm_b32 v181, v163, v154, 0xc0c0703
	v_dot4_i32_iu8 v155, v180, v161, v155 neg_lo:[1,1,0]
	v_bfe_i32 v161, v14, 0, 8
	v_perm_b32 v162, v15, v13, 0xc0c0701
	v_dot4_i32_iu8 v105, v179, v158, v105 neg_lo:[1,1,0]
	v_ashrrev_i32_e32 v158, 24, v14
	v_perm_b32 v154, v163, v154, 0xc0c0501
	v_mul_i32_i24_e32 v161, v178, v161
	v_bfe_i32 v185, v140, 0, 8
	v_lshrrev_b16 v182, 8, v137
	v_mul_i32_i24_e32 v158, v160, v158
	v_bfe_i32 v137, v137, 0, 8
	v_bfe_i32 v175, v141, 16, 8
	;; [unrolled: 1-line block ×4, first 2 shown]
	v_dot4_i32_iu8 v158, v181, v162, v158 neg_lo:[1,1,0]
	v_perm_b32 v162, v15, v12, 0xc0c0503
	v_bfe_i32 v184, v140, 8, 8
	v_perm_b32 v187, v141, v138, 0xc0c0402
	v_perm_b32 v188, v140, v138, 0xc0c0600
	;; [unrolled: 1-line block ×3, first 2 shown]
	v_dot4_i32_iu8 v154, v154, v162, v161 neg_lo:[1,1,0]
	v_bfe_i32 v162, v10, 16, 8
	v_perm_b32 v138, v140, v138, 0xc0c0701
	v_bfe_i32 v140, v146, 8, 8
	v_dual_ashrrev_i32 v191, 24, v149 :: v_dual_ashrrev_i32 v196, 24, v146
	s_delay_alu instid0(VALU_DEP_4)
	v_mul_i32_i24_e32 v162, v185, v162
	v_bfe_i32 v185, v8, 0, 8
	v_bfe_i32 v193, v146, 0, 8
	;; [unrolled: 1-line block ×4, first 2 shown]
	v_mul_i32_i24_e32 v175, v175, v177
	v_mul_i32_i24_e32 v137, v137, v185
	v_bfe_i32 v185, v10, 0, 8
	v_dual_ashrrev_i32 v163, 24, v139 :: v_dual_ashrrev_i32 v190, 24, v148
	v_bfe_i32 v183, v139, 0, 8
	v_bfe_i32 v139, v139, 8, 8
	s_delay_alu instid0(VALU_DEP_4)
	v_mul_i32_i24_e32 v185, v186, v185
	v_bfe_i32 v186, v6, 16, 8
	v_bfe_i32 v194, v147, 8, 8
	v_ashrrev_i32_e32 v177, 24, v7
	v_mad_i32_i24 v104, v173, v104, v175
	v_ashrrev_i32_e32 v173, 24, v9
	v_perm_b32 v175, v11, v9, 0xc0c0600
	v_mul_i32_i24_e32 v146, v146, v186
	v_bfe_i32 v186, v7, 8, 8
	v_bfe_i32 v195, v147, 0, 8
	v_bfe_i32 v197, v147, 16, 8
	v_dual_ashrrev_i32 v147, 24, v147 :: v_dual_ashrrev_i32 v204, 24, v152
	v_perm_b32 v198, v92, v66, 0x6050401
	v_dot4_i32_iu8 v162, v187, v175, v162 neg_lo:[1,1,0]
	v_ashrrev_i32_e32 v175, 24, v10
	v_perm_b32 v180, v11, v8, 0xc0c0402
	v_mul_i32_i24_e32 v139, v139, v173
	v_bfe_i32 v12, v12, 8, 8
	v_mul_i32_i24_e32 v186, v194, v186
	v_perm_b32 v194, v4, v6, 0x6050401
	v_lshrrev_b16 v171, 8, v149
	v_bfe_i32 v189, v148, 16, 8
	v_perm_b32 v199, v94, v72, 0x6050401
	v_bfe_i32 v202, v150, 8, 8
	v_dual_ashrrev_i32 v205, 24, v153 :: v_dual_ashrrev_i32 v210, 24, v150
	v_bfe_i32 v207, v150, 0, 8
	v_bfe_i32 v150, v150, 16, 8
	v_lshrrev_b16 v156, 8, v5
	v_bfe_i32 v102, v13, 16, 8
	v_bfe_i32 v145, v9, 16, 8
	;; [unrolled: 1-line block ×3, first 2 shown]
	v_ashrrev_i32_e32 v160, 24, v4
	v_dot4_i32_iu8 v139, v188, v180, v139 neg_lo:[1,1,0]
	v_ashrrev_i32_e32 v180, 24, v0
	v_perm_b32 v181, v11, v9, 0xc0c0701
	v_mul_i32_i24_e32 v175, v184, v175
	v_mul_i32_i24_e32 v12, v174, v12
	v_bfe_i32 v174, v8, 8, 8
	v_bfe_i32 v182, v182, 0, 8
	v_ashrrev_i32_e32 v187, 24, v6
	v_mul_i32_i24_e32 v147, v147, v177
	v_dot4_i32_iu8 v177, v198, v194, 0 neg_lo:[1,1,0]
	v_bfe_i32 v198, v2, 16, 8
	v_bfe_i32 v188, v7, 0, 8
	;; [unrolled: 1-line block ×3, first 2 shown]
	v_perm_b32 v212, v90, v68, 0x6050401
	v_perm_b32 v213, v100, v70, 0x6050401
	v_perm_b32 v214, v98, v78, 0x6050401
	v_lshrrev_b16 v157, 8, v1
	v_bfe_i32 v161, v7, 16, 8
	v_bfe_i32 v179, v2, 8, 8
	v_bfe_i32 v184, v2, 0, 8
	v_dot4_i32_iu8 v141, v141, v181, v175 neg_lo:[1,1,0]
	v_perm_b32 v90, v1, v90, 0x6040503
	v_perm_b32 v100, v1, v100, 0x6040503
	;; [unrolled: 1-line block ×3, first 2 shown]
	v_or_b32_e32 v181, v220, v219
	v_mul_i32_i24_e32 v102, v176, v102
	v_ashrrev_i32_e32 v176, 24, v1
	v_mul_i32_i24_e32 v174, v182, v174
	v_bfe_i32 v182, v1, 0, 8
	v_mul_i32_i24_e32 v145, v183, v145
	v_bfe_i32 v183, v1, 16, 8
	v_mul_i32_i24_e32 v159, v189, v159
	v_mul_i32_i24_e32 v160, v190, v160
	v_ashrrev_i32_e32 v189, 24, v5
	v_mul_i32_i24_e32 v187, v196, v187
	v_bfe_i32 v190, v5, 0, 8
	v_dot4_i32_iu8 v196, v199, v194, 0 neg_lo:[1,1,0]
	v_ashrrev_i32_e32 v199, 24, v2
	v_mul_i32_i24_e32 v150, v150, v198
	v_perm_b32 v8, v11, v8, 0xc0c0503
	v_bfe_i32 v171, v171, 0, 8
	v_perm_b32 v198, v0, v2, 0x6050401
	v_perm_b32 v1, v2, v1, 0x7060403
	v_bfe_i32 v2, v156, 0, 8
	v_perm_b32 v200, v96, v142, 0x6050401
	v_bfe_i32 v201, v148, 8, 8
	v_bfe_i32 v148, v148, 0, 8
	v_perm_b32 v66, v66, v93, 0x7060403
	v_perm_b32 v72, v72, v95, 0x7060403
	;; [unrolled: 1-line block ×6, first 2 shown]
	v_mul_i32_i24_e32 v188, v195, v188
	v_bfe_i32 v195, v4, 8, 8
	v_bfe_i32 v4, v4, 0, 8
	;; [unrolled: 1-line block ×4, first 2 shown]
	v_perm_b32 v92, v5, v92, 0x6040503
	v_perm_b32 v94, v5, v94, 0x6040503
	v_mul_i32_i24_e32 v161, v197, v161
	v_bfe_i32 v197, v5, 16, 8
	v_dot4_i32_iu8 v8, v138, v8, v185 neg_lo:[1,1,0]
	v_mul_i32_i24_e32 v2, v171, v2
	v_mad_i32_i24 v138, v192, v190, v146
	v_mad_i32_i24 v146, v191, v189, v186
	v_lshrrev_b16 v172, 8, v153
	v_bfe_i32 v208, v151, 8, 8
	v_mul_i32_i24_e32 v4, v148, v4
	v_bfe_i32 v148, v3, 8, 8
	v_bfe_i32 v144, v6, 8, 8
	;; [unrolled: 1-line block ×3, first 2 shown]
	v_dual_ashrrev_i32 v170, 24, v3 :: v_dual_bitop2_b32 v169, v170, v169 bitop3:0x54
	v_perm_b32 v96, v5, v96, 0x6040503
	v_dot4_i32_iu8 v194, v200, v194, 0 neg_lo:[1,1,0]
	v_mul_i32_i24_e32 v195, v201, v195
	v_perm_b32 v13, v14, v13, 0x7060403
	v_perm_b32 v9, v10, v9, 0x7060403
	;; [unrolled: 1-line block ×3, first 2 shown]
	v_mad_i32_i24 v103, v163, v103, v137
	v_mad_i32_i24 v137, v149, v197, v188
	v_dot4_i32_iu8 v92, v92, v93, v177 neg_lo:[1,1,0]
	v_dot4_i32_iu8 v93, v94, v95, v196 neg_lo:[1,1,0]
	v_add3_u32 v2, v2, v187, v146
	v_bfe_i32 v209, v151, 0, 8
	v_bfe_i32 v211, v151, 16, 8
	v_ashrrev_i32_e32 v151, 24, v151
	v_bfe_i32 v200, v3, 0, 8
	v_mul_i32_i24_e32 v148, v208, v148
	v_bfe_i32 v172, v172, 0, 8
	v_bfe_i32 v156, v157, 0, 8
	;; [unrolled: 1-line block ×5, first 2 shown]
	v_dot4_i32_iu8 v94, v96, v97, v194 neg_lo:[1,1,0]
	v_mad_i32_i24 v95, v140, v144, v195
	v_mad_i32_i24 v96, v193, v178, v161
	v_dot4_i32_iu8 v84, v13, v216, v84 neg_lo:[1,1,0]
	v_dot4_i32_iu8 v76, v13, v217, v76 neg_lo:[1,1,0]
	;; [unrolled: 1-line block ×6, first 2 shown]
	v_dual_add_nc_u32 v80, v154, v158 :: v_dual_add_nc_u32 v8, v8, v141
	v_add_nc_u32_e32 v87, v155, v105
	v_mul_i32_i24_e32 v14, v210, v199
	v_bfe_i32 v199, v0, 0, 8
	v_dot4_i32_iu8 v66, v5, v66, v92 neg_lo:[1,1,0]
	v_dot4_i32_iu8 v72, v5, v72, v93 neg_lo:[1,1,0]
	v_add3_u32 v2, v138, v137, v2
	v_bfe_i32 v206, v153, 0, 8
	v_bfe_i32 v153, v153, 16, 8
	v_perm_b32 v68, v68, v91, 0x7060403
	v_perm_b32 v70, v70, v101, 0x7060403
	;; [unrolled: 1-line block ×3, first 2 shown]
	v_bfe_i32 v221, v164, 8, 8
	v_bfe_i32 v222, v164, 0, 8
	;; [unrolled: 1-line block ×3, first 2 shown]
	v_ashrrev_i32_e32 v164, 24, v164
	v_bfe_i32 v173, v0, 16, 8
	v_bfe_i32 v175, v3, 16, 8
	v_perm_b32 v91, v91, v0, 0x6040503
	v_perm_b32 v101, v101, v0, 0x6040503
	;; [unrolled: 1-line block ×3, first 2 shown]
	v_mul_i32_i24_e32 v10, v209, v200
	v_mul_i32_i24_e32 v151, v151, v170
	v_bfe_i32 v0, v0, 8, 8
	v_dot4_i32_iu8 v170, v212, v198, 0 neg_lo:[1,1,0]
	v_dot4_i32_iu8 v200, v213, v198, 0 neg_lo:[1,1,0]
	v_mul_i32_i24_e32 v97, v172, v156
	v_mad_i32_i24 v144, v205, v176, v148
	v_mul_i32_i24_e32 v6, v152, v199
	v_perm_b32 v152, v7, v7, 0x3020001
	v_add3_u32 v92, v159, v160, v96
	v_dot4_i32_iu8 v74, v11, v75, v74 neg_lo:[1,1,0]
	v_dot4_i32_iu8 v75, v11, v89, v88 neg_lo:[1,1,0]
	;; [unrolled: 1-line block ×3, first 2 shown]
	v_add3_u32 v11, v87, v80, v12
	v_dot4_i32_iu8 v12, v67, v7, v66 neg_lo:[1,1,0]
	v_dot4_i32_iu8 v7, v73, v7, v72 neg_lo:[1,1,0]
	v_add3_u32 v2, v2, v4, v95
	v_mul_i32_i24_e32 v175, v211, v175
	v_dot4_i32_iu8 v198, v214, v198, 0 neg_lo:[1,1,0]
	v_mul_i32_i24_e32 v0, v215, v0
	v_mad_i32_i24 v10, v153, v183, v10
	v_mad_i32_i24 v140, v206, v182, v150
	v_dot4_i32_iu8 v90, v90, v91, v170 neg_lo:[1,1,0]
	v_dot4_i32_iu8 v91, v100, v101, v200 neg_lo:[1,1,0]
	v_add3_u32 v14, v97, v14, v144
	v_bfe_i32 v227, v166, 8, 8
	v_mul_lo_u32 v7, v7, v221
	v_add3_u32 v2, v2, v92, v147
	v_mul_i32_i24_e32 v173, v203, v173
	v_mul_i32_i24_e32 v180, v204, v180
	v_dot4_i32_iu8 v98, v98, v99, v198 neg_lo:[1,1,0]
	v_mad_i32_i24 v0, v202, v179, v0
	v_mad_i32_i24 v99, v207, v184, v175
	v_dot4_i32_iu8 v70, v1, v70, v91 neg_lo:[1,1,0]
	v_add3_u32 v10, v140, v10, v14
	v_mul_lo_u32 v66, v75, v223
	v_mul_lo_u32 v2, v2, v227
	v_perm_b32 v143, v143, v143, 0x7060001
	v_dot4_i32_iu8 v5, v5, v142, v94 neg_lo:[1,1,0]
	v_dot4_i32_iu8 v68, v1, v68, v90 neg_lo:[1,1,0]
	;; [unrolled: 1-line block ×3, first 2 shown]
	v_add3_u32 v78, v173, v180, v99
	v_dot4_i32_iu8 v84, v15, v85, v84 neg_lo:[1,1,0]
	v_dot4_i32_iu8 v76, v15, v77, v76 neg_lo:[1,1,0]
	;; [unrolled: 1-line block ×4, first 2 shown]
	v_add3_u32 v0, v10, v6, v0
	v_bfe_i32 v224, v165, 8, 8
	v_bfe_i32 v228, v166, 0, 8
	v_dot4_i32_iu8 v5, v143, v152, v5 neg_lo:[1,1,0]
	v_mad_u32 v7, v15, v222, v7
	v_add3_u32 v0, v0, v78, v151
	v_mad_u32 v10, v76, v164, v66
	v_bfe_i32 v225, v165, 0, 8
	v_mul_lo_u32 v5, v5, v224
	v_dot4_i32_iu8 v1, v79, v3, v1 neg_lo:[1,1,0]
	v_mad_u32 v0, v0, v228, v2
	v_dual_ashrrev_i32 v226, 24, v165 :: v_dual_ashrrev_i32 v229, 24, v166
	v_bfe_i32 v165, v165, 16, 8
	v_bfe_i32 v166, v166, 16, 8
	v_cvt_f32_i32_e32 v7, v7
	v_dot4_i32_iu8 v14, v69, v3, v68 neg_lo:[1,1,0]
	v_mul_lo_u32 v3, v74, v232
	v_mul_lo_u32 v4, v9, v165
	v_mad_u32 v1, v1, v225, v5
	v_cvt_f32_i32_e32 v5, v10
	v_cvt_f32_i32_e32 v0, v0
	s_wait_dscnt 0x0
	v_fma_f32 v7, v82, v7, 0
	v_mul_lo_u32 v9, v12, v230
	s_add_co_i32 s19, s18, 8
	s_cmp_lt_u32 s18, 24
	v_fma_f32 v0, v82, v0, 0
	v_fmac_f32_e32 v7, v83, v5
	v_add_nc_u32_e32 v100, v139, v162
	v_mad_u32 v3, v84, v167, v3
	v_mad_u32 v2, v13, v226, v4
	v_cvt_f32_i32_e32 v1, v1
	v_fmac_f32_e32 v115, v134, v7
	v_add3_u32 v8, v100, v8, v174
	v_mad_u32 v9, v14, v231, v9
	s_mov_b32 s18, s19
	v_fma_f32 v1, v82, v1, 0
	s_delay_alu instid0(VALU_DEP_3) | instskip(SKIP_3) | instid1(VALU_DEP_4)
	v_add3_u32 v6, v8, v103, v145
	v_add3_u32 v8, v11, v104, v102
	v_cvt_f32_i32_e32 v3, v3
	v_cvt_f32_i32_e32 v2, v2
	v_mul_lo_u32 v6, v6, v166
	s_delay_alu instid0(VALU_DEP_2) | instskip(NEXT) | instid1(VALU_DEP_1)
	v_fmac_f32_e32 v1, v83, v2
	v_fmac_f32_e32 v111, v135, v1
	s_delay_alu instid0(VALU_DEP_3) | instskip(SKIP_1) | instid1(VALU_DEP_1)
	v_mad_u32 v4, v8, v229, v6
	v_cvt_f32_i32_e32 v6, v9
	v_fma_f32 v6, v82, v6, 0
	s_delay_alu instid0(VALU_DEP_3) | instskip(NEXT) | instid1(VALU_DEP_1)
	v_cvt_f32_i32_e32 v4, v4
	v_dual_fmac_f32 v6, v83, v3 :: v_dual_fmac_f32 v0, v83, v4
	s_delay_alu instid0(VALU_DEP_1)
	v_dual_fmac_f32 v119, v133, v6 :: v_dual_fmac_f32 v106, v136, v0
	s_cbranch_scc1 .LBB236_19
; %bb.20:                               ;   in Loop: Header=BB236_5 Depth=1
	s_barrier_signal -1
	s_barrier_wait -1
	s_branch .LBB236_4
.LBB236_21:
	s_mul_i32 s0, s10, s7
	s_wait_loadcnt 0x0
	v_cmp_gt_i32_e32 vcc_lo, s0, v17
	s_and_saveexec_b32 s0, vcc_lo
	s_cbranch_execz .LBB236_30
; %bb.22:
	v_mul_lo_u32 v0, v17, s9
	v_add_nc_u32_e32 v1, s11, v29
	s_mov_b32 s0, exec_lo
	s_delay_alu instid0(VALU_DEP_1)
	v_cmpx_gt_u32_e64 s9, v1
	s_cbranch_execz .LBB236_24
; %bb.23:
	v_bfe_u32 v2, v119, 16, 1
	v_cmp_o_f32_e32 vcc_lo, v119, v119
	v_add_nc_u32_e32 v3, v0, v1
	s_delay_alu instid0(VALU_DEP_3) | instskip(NEXT) | instid1(VALU_DEP_1)
	v_add3_u32 v2, v119, v2, 0x7fff
	v_lshrrev_b32_e32 v2, 16, v2
	s_delay_alu instid0(VALU_DEP_1)
	v_cndmask_b32_e32 v2, 0x7fc0, v2, vcc_lo
	global_store_b16 v3, v2, s[12:13] scale_offset
.LBB236_24:
	s_wait_xcnt 0x0
	s_or_b32 exec_lo, exec_lo, s0
	v_add_nc_u32_e32 v2, 32, v1
	s_mov_b32 s0, exec_lo
	s_delay_alu instid0(VALU_DEP_1)
	v_cmpx_gt_u32_e64 s9, v2
	s_cbranch_execz .LBB236_26
; %bb.25:
	v_bfe_u32 v3, v115, 16, 1
	v_cmp_o_f32_e32 vcc_lo, v115, v115
	v_add_nc_u32_e32 v2, v0, v2
	s_delay_alu instid0(VALU_DEP_3) | instskip(NEXT) | instid1(VALU_DEP_1)
	v_add3_u32 v3, v115, v3, 0x7fff
	v_lshrrev_b32_e32 v3, 16, v3
	s_delay_alu instid0(VALU_DEP_1)
	v_cndmask_b32_e32 v3, 0x7fc0, v3, vcc_lo
	global_store_b16 v2, v3, s[12:13] scale_offset
.LBB236_26:
	s_wait_xcnt 0x0
	s_or_b32 exec_lo, exec_lo, s0
	;; [unrolled: 18-line block ×3, first 2 shown]
	v_add_nc_u32_e32 v1, 0x60, v1
	s_delay_alu instid0(VALU_DEP_1)
	v_cmp_gt_u32_e32 vcc_lo, s9, v1
	s_and_b32 exec_lo, exec_lo, vcc_lo
	s_cbranch_execz .LBB236_30
; %bb.29:
	v_bfe_u32 v2, v106, 16, 1
	v_cmp_o_f32_e32 vcc_lo, v106, v106
	v_add_nc_u32_e32 v0, v0, v1
	s_delay_alu instid0(VALU_DEP_3) | instskip(NEXT) | instid1(VALU_DEP_1)
	v_add3_u32 v2, v106, v2, 0x7fff
	v_lshrrev_b32_e32 v2, 16, v2
	s_delay_alu instid0(VALU_DEP_1)
	v_cndmask_b32_e32 v2, 0x7fc0, v2, vcc_lo
	global_store_b16 v0, v2, s[12:13] scale_offset
.LBB236_30:
	s_sendmsg sendmsg(MSG_DEALLOC_VGPRS)
	s_endpgm
	.section	.rodata,"a",@progbits
	.p2align	6, 0x0
	.amdhsa_kernel _ZL8moe_q6_KIN3c108BFloat16ELb1EEvPKvS3_PT_PKiS7_S7_iiiiiii
		.amdhsa_group_segment_fixed_size 37072
		.amdhsa_private_segment_fixed_size 0
		.amdhsa_kernarg_size 76
		.amdhsa_user_sgpr_count 2
		.amdhsa_user_sgpr_dispatch_ptr 0
		.amdhsa_user_sgpr_queue_ptr 0
		.amdhsa_user_sgpr_kernarg_segment_ptr 1
		.amdhsa_user_sgpr_dispatch_id 0
		.amdhsa_user_sgpr_kernarg_preload_length 0
		.amdhsa_user_sgpr_kernarg_preload_offset 0
		.amdhsa_user_sgpr_private_segment_size 0
		.amdhsa_wavefront_size32 1
		.amdhsa_uses_dynamic_stack 0
		.amdhsa_enable_private_segment 0
		.amdhsa_system_sgpr_workgroup_id_x 1
		.amdhsa_system_sgpr_workgroup_id_y 1
		.amdhsa_system_sgpr_workgroup_id_z 0
		.amdhsa_system_sgpr_workgroup_info 0
		.amdhsa_system_vgpr_workitem_id 1
		.amdhsa_next_free_vgpr 235
		.amdhsa_next_free_sgpr 24
		.amdhsa_named_barrier_count 0
		.amdhsa_reserve_vcc 1
		.amdhsa_float_round_mode_32 0
		.amdhsa_float_round_mode_16_64 0
		.amdhsa_float_denorm_mode_32 3
		.amdhsa_float_denorm_mode_16_64 3
		.amdhsa_fp16_overflow 0
		.amdhsa_memory_ordered 1
		.amdhsa_forward_progress 1
		.amdhsa_inst_pref_size 123
		.amdhsa_round_robin_scheduling 0
		.amdhsa_exception_fp_ieee_invalid_op 0
		.amdhsa_exception_fp_denorm_src 0
		.amdhsa_exception_fp_ieee_div_zero 0
		.amdhsa_exception_fp_ieee_overflow 0
		.amdhsa_exception_fp_ieee_underflow 0
		.amdhsa_exception_fp_ieee_inexact 0
		.amdhsa_exception_int_div_zero 0
	.end_amdhsa_kernel
	.section	.text._ZL8moe_q6_KIN3c108BFloat16ELb1EEvPKvS3_PT_PKiS7_S7_iiiiiii,"axG",@progbits,_ZL8moe_q6_KIN3c108BFloat16ELb1EEvPKvS3_PT_PKiS7_S7_iiiiiii,comdat
.Lfunc_end236:
	.size	_ZL8moe_q6_KIN3c108BFloat16ELb1EEvPKvS3_PT_PKiS7_S7_iiiiiii, .Lfunc_end236-_ZL8moe_q6_KIN3c108BFloat16ELb1EEvPKvS3_PT_PKiS7_S7_iiiiiii
                                        ; -- End function
	.set _ZL8moe_q6_KIN3c108BFloat16ELb1EEvPKvS3_PT_PKiS7_S7_iiiiiii.num_vgpr, 235
	.set _ZL8moe_q6_KIN3c108BFloat16ELb1EEvPKvS3_PT_PKiS7_S7_iiiiiii.num_agpr, 0
	.set _ZL8moe_q6_KIN3c108BFloat16ELb1EEvPKvS3_PT_PKiS7_S7_iiiiiii.numbered_sgpr, 24
	.set _ZL8moe_q6_KIN3c108BFloat16ELb1EEvPKvS3_PT_PKiS7_S7_iiiiiii.num_named_barrier, 0
	.set _ZL8moe_q6_KIN3c108BFloat16ELb1EEvPKvS3_PT_PKiS7_S7_iiiiiii.private_seg_size, 0
	.set _ZL8moe_q6_KIN3c108BFloat16ELb1EEvPKvS3_PT_PKiS7_S7_iiiiiii.uses_vcc, 1
	.set _ZL8moe_q6_KIN3c108BFloat16ELb1EEvPKvS3_PT_PKiS7_S7_iiiiiii.uses_flat_scratch, 0
	.set _ZL8moe_q6_KIN3c108BFloat16ELb1EEvPKvS3_PT_PKiS7_S7_iiiiiii.has_dyn_sized_stack, 0
	.set _ZL8moe_q6_KIN3c108BFloat16ELb1EEvPKvS3_PT_PKiS7_S7_iiiiiii.has_recursion, 0
	.set _ZL8moe_q6_KIN3c108BFloat16ELb1EEvPKvS3_PT_PKiS7_S7_iiiiiii.has_indirect_call, 0
	.section	.AMDGPU.csdata,"",@progbits
; Kernel info:
; codeLenInByte = 15636
; TotalNumSgprs: 26
; NumVgprs: 235
; ScratchSize: 0
; MemoryBound: 0
; FloatMode: 240
; IeeeMode: 1
; LDSByteSize: 37072 bytes/workgroup (compile time only)
; SGPRBlocks: 0
; VGPRBlocks: 14
; NumSGPRsForWavesPerEU: 26
; NumVGPRsForWavesPerEU: 235
; NamedBarCnt: 0
; Occupancy: 4
; WaveLimiterHint : 1
; COMPUTE_PGM_RSRC2:SCRATCH_EN: 0
; COMPUTE_PGM_RSRC2:USER_SGPR: 2
; COMPUTE_PGM_RSRC2:TRAP_HANDLER: 0
; COMPUTE_PGM_RSRC2:TGID_X_EN: 1
; COMPUTE_PGM_RSRC2:TGID_Y_EN: 1
; COMPUTE_PGM_RSRC2:TGID_Z_EN: 0
; COMPUTE_PGM_RSRC2:TIDIG_COMP_CNT: 1
	.section	.text._ZL9moe_vec_qIfLi32ELi4E10block_q4_0Li2EXadL_ZL17vec_dot_q4_0_q8_1PKvPK10block_q8_1RKiEEEvS2_S2_PT_PS6_iiii,"axG",@progbits,_ZL9moe_vec_qIfLi32ELi4E10block_q4_0Li2EXadL_ZL17vec_dot_q4_0_q8_1PKvPK10block_q8_1RKiEEEvS2_S2_PT_PS6_iiii,comdat
	.globl	_ZL9moe_vec_qIfLi32ELi4E10block_q4_0Li2EXadL_ZL17vec_dot_q4_0_q8_1PKvPK10block_q8_1RKiEEEvS2_S2_PT_PS6_iiii ; -- Begin function _ZL9moe_vec_qIfLi32ELi4E10block_q4_0Li2EXadL_ZL17vec_dot_q4_0_q8_1PKvPK10block_q8_1RKiEEEvS2_S2_PT_PS6_iiii
	.p2align	8
	.type	_ZL9moe_vec_qIfLi32ELi4E10block_q4_0Li2EXadL_ZL17vec_dot_q4_0_q8_1PKvPK10block_q8_1RKiEEEvS2_S2_PT_PS6_iiii,@function
_ZL9moe_vec_qIfLi32ELi4E10block_q4_0Li2EXadL_ZL17vec_dot_q4_0_q8_1PKvPK10block_q8_1RKiEEEvS2_S2_PT_PS6_iiii: ; @_ZL9moe_vec_qIfLi32ELi4E10block_q4_0Li2EXadL_ZL17vec_dot_q4_0_q8_1PKvPK10block_q8_1RKiEEEvS2_S2_PT_PS6_iiii
; %bb.0:
	s_clause 0x1
	s_load_u16 s3, s[0:1], 0x3e
	s_load_b128 s[4:7], s[0:1], 0x20
	s_bfe_u32 s2, ttmp6, 0x4000c
	s_and_b32 s8, ttmp6, 15
	s_add_co_i32 s2, s2, 1
	v_bfe_u32 v1, v0, 10, 10
	s_mul_i32 s2, ttmp9, s2
	s_mov_b32 s9, 0
	s_add_co_i32 s8, s8, s2
	s_getreg_b32 s2, hwreg(HW_REG_IB_STS2, 6, 4)
	s_delay_alu instid0(SALU_CYCLE_1) | instskip(SKIP_4) | instid1(VALU_DEP_1)
	s_cmp_eq_u32 s2, 0
	s_cselect_b32 s8, ttmp9, s8
	s_wait_kmcnt 0x0
	v_mad_u32 v4, s8, s3, v1
	s_mov_b32 s3, exec_lo
	v_cmpx_gt_u32_e64 s6, v4
	s_cbranch_execz .LBB237_7
; %bb.1:
	s_load_b64 s[10:11], s[0:1], 0x10
	s_bfe_u32 s3, ttmp6, 0x40014
	s_lshr_b32 s8, ttmp7, 16
	s_add_co_i32 s3, s3, 1
	s_cvt_f32_u32 s13, s4
	s_mul_i32 s3, s8, s3
	s_bfe_u32 s12, ttmp6, 0x40008
	v_bfe_u32 v6, v0, 1, 9
	s_add_co_i32 s12, s12, s3
	v_rcp_iflag_f32_e32 v1, s13
	s_cmp_eq_u32 s2, 0
	v_and_b32_e32 v5, 0x3ff, v0
	s_cselect_b32 s8, s8, s12
	s_ashr_i32 s2, s5, 31
	v_mov_b32_e32 v7, 0
	s_lshr_b32 s2, s2, 27
	s_mov_b32 s12, exec_lo
	s_add_co_i32 s3, s5, s2
	v_readfirstlane_b32 s2, v1
	s_ashr_i32 s13, s3, 5
	s_delay_alu instid0(SALU_CYCLE_1)
	v_cmpx_gt_u32_e64 s13, v6
	s_cbranch_execz .LBB237_5
; %bb.2:
	s_load_b64 s[14:15], s[0:1], 0x18
	s_mul_f32 s5, s2, 0x4f7ffffe
	s_sub_co_i32 s16, 0, s4
	s_mov_b32 s17, s9
	s_wait_xcnt 0x0
	s_load_b128 s[0:3], s[0:1], 0x0
	s_cvt_u32_f32 s18, s5
	v_mul_lo_u32 v8, v4, s13
	s_mul_i32 s19, s13, s6
	v_dual_mov_b32 v1, 0 :: v_dual_lshlrev_b32 v0, 3, v5
	s_mul_i32 s16, s16, s18
	s_mov_b32 s5, 0
	s_delay_alu instid0(VALU_DEP_1) | instskip(NEXT) | instid1(VALU_DEP_2)
	v_dual_mov_b32 v3, 4.0 :: v_dual_bitop2_b32 v0, 8, v0 bitop3:0x40
	v_mov_b32_e32 v7, v1
	s_wait_kmcnt 0x0
	s_load_b32 s20, s[14:15], s8 offset:0x0 scale_offset
	s_wait_xcnt 0x0
	s_mul_hi_u32 s14, s18, s16
	s_delay_alu instid0(SALU_CYCLE_1) | instskip(NEXT) | instid1(SALU_CYCLE_1)
	s_add_co_i32 s16, s18, s14
	s_mul_u64 s[14:15], s[8:9], s[16:17]
	s_delay_alu instid0(SALU_CYCLE_1) | instskip(SKIP_2) | instid1(SALU_CYCLE_1)
	s_mul_i32 s9, s15, s4
	s_add_co_i32 s14, s15, 1
	s_sub_co_i32 s9, s8, s9
	s_sub_co_i32 s16, s9, s4
	s_cmp_ge_u32 s9, s4
	s_cselect_b32 s15, s14, s15
	s_cselect_b32 s9, s16, s9
	s_add_co_i32 s16, s15, 1
	s_cmp_ge_u32 s9, s4
	s_cselect_b32 s4, s16, s15
	s_wait_kmcnt 0x0
	s_mul_i32 s14, s19, s20
	s_mul_i32 s4, s4, s7
	s_ashr_i32 s15, s14, 31
	s_lshl_b64 s[16:17], s[4:5], 2
	s_mul_u64 s[14:15], s[14:15], 18
	s_add_nc_u64 s[2:3], s[2:3], s[16:17]
	s_add_nc_u64 s[0:1], s[0:1], s[14:15]
.LBB237_3:                              ; =>This Inner Loop Header: Depth=1
	v_add_nc_u32_e32 v2, v8, v6
	v_mad_nc_i64_i32 v[10:11], v6, 36, s[2:3]
	v_add_nc_u32_e32 v6, 16, v6
	s_delay_alu instid0(VALU_DEP_3) | instskip(NEXT) | instid1(VALU_DEP_2)
	v_mad_nc_i64_i32 v[12:13], v2, 18, s[0:1]
	v_cmp_le_u32_e32 vcc_lo, s13, v6
	s_delay_alu instid0(VALU_DEP_4) | instskip(SKIP_1) | instid1(VALU_DEP_3)
	v_add_nc_u64_e32 v[14:15], v[10:11], v[0:1]
	s_or_b32 s5, vcc_lo, s5
	v_add_nc_u64_e32 v[16:17], v[12:13], v[0:1]
	global_load_b64 v[18:19], v[14:15], off offset:4
	global_load_b64 v[20:21], v[16:17], off offset:2
	s_clause 0x1
	global_load_b64 v[22:23], v[14:15], off offset:20
	global_load_b32 v2, v[10:11], off
	global_load_u16 v9, v[12:13], off
	s_wait_loadcnt 0x3
	s_wait_xcnt 0x2
	v_dual_ashrrev_i32 v14, 24, v18 :: v_dual_lshrrev_b32 v30, 4, v20
	s_wait_loadcnt 0x2
	v_ashrrev_i32_e32 v15, 24, v22
	v_bfe_i32 v17, v22, 0, 8
	v_ashrrev_i32_e32 v25, 24, v23
	v_bfe_i32 v26, v23, 16, 8
	v_bfe_i32 v27, v23, 8, 8
	;; [unrolled: 1-line block ×3, first 2 shown]
	v_bfe_u32 v28, v20, 24, 4
	v_and_b32_e32 v29, 0xf0f0f0f, v20
	v_dual_lshrrev_b32 v31, 28, v20 :: v_dual_bitop2_b32 v33, 15, v20 bitop3:0x40
	v_bfe_u32 v32, v20, 16, 4
	v_bfe_u32 v34, v20, 20, 4
	;; [unrolled: 1-line block ×4, first 2 shown]
	v_and_b32_e32 v36, 0xf0f0f0f, v21
	v_dual_lshrrev_b32 v37, 4, v21 :: v_dual_lshrrev_b32 v38, 28, v21
	v_bfe_u32 v39, v21, 16, 4
	v_and_b32_e32 v40, 15, v21
	v_bfe_u32 v41, v21, 20, 4
	v_bfe_u32 v21, v21, 4, 4
	v_lshrrev_b16 v30, 8, v30
	s_wait_xcnt 0x1
	v_lshrrev_b16 v10, 8, v18
	v_lshrrev_b16 v11, 8, v22
	;; [unrolled: 1-line block ×3, first 2 shown]
	v_mul_i32_i24_e32 v17, v20, v17
	v_mul_i32_i24_e32 v15, v31, v15
	v_lshrrev_b16 v20, 8, v36
	v_lshrrev_b16 v31, 8, v37
	v_mul_i32_i24_e32 v21, v23, v21
	v_mul_i32_i24_e32 v23, v26, v41
	v_and_b32_e32 v26, 15, v30
	s_wait_xcnt 0x0
	v_bfe_i32 v12, v18, 16, 8
	v_bfe_i32 v13, v18, 0, 8
	v_bfe_i32 v16, v22, 16, 8
	v_ashrrev_i32_e32 v18, 24, v19
	v_bfe_i32 v24, v19, 8, 8
	v_bfe_i32 v10, v10, 0, 8
	;; [unrolled: 1-line block ×3, first 2 shown]
	v_and_b32_e32 v29, 0xffff, v29
	v_and_b32_e32 v20, 0xffff, v20
	;; [unrolled: 1-line block ×4, first 2 shown]
	v_bfe_i32 v22, v19, 16, 8
	v_bfe_i32 v19, v19, 0, 8
	v_mul_i32_i24_e32 v16, v34, v16
	v_mul_i32_i24_e32 v18, v18, v35
	;; [unrolled: 1-line block ×3, first 2 shown]
	v_mad_i32_i24 v14, v28, v14, v15
	v_mul_i32_i24_e32 v10, v29, v10
	v_mul_i32_i24_e32 v15, v24, v20
	v_and_b32_e32 v20, 0xffff, v30
	v_mul_i32_i24_e32 v11, v26, v11
	v_mul_i32_i24_e32 v19, v19, v40
	;; [unrolled: 1-line block ×3, first 2 shown]
	v_mad_i32_i24 v13, v33, v13, v17
	v_mad_i32_i24 v12, v32, v12, v16
	v_add3_u32 v14, v14, v18, v25
	v_mul_i32_i24_e32 v16, v27, v20
	v_add3_u32 v10, v10, v11, v15
	s_delay_alu instid0(VALU_DEP_4) | instskip(SKIP_4) | instid1(VALU_DEP_1)
	v_add3_u32 v11, v12, v22, v23
	v_add3_u32 v12, v13, v19, v21
	s_wait_loadcnt 0x1
	v_lshrrev_b32_e32 v13, 16, v2
	v_add3_u32 v10, v10, v16, v14
	v_add3_u32 v12, v12, v11, v10
	v_cvt_f32_f16_e32 v10, v2
	s_delay_alu instid0(VALU_DEP_4) | instskip(NEXT) | instid1(VALU_DEP_3)
	v_cvt_f32_f16_e32 v11, v13
	v_cvt_f32_i32_e32 v2, v12
	s_delay_alu instid0(VALU_DEP_1) | instskip(NEXT) | instid1(VALU_DEP_1)
	v_pk_mul_f32 v[10:11], v[2:3], v[10:11]
	v_sub_f32_e32 v2, v10, v11
	s_wait_loadcnt 0x0
	s_delay_alu instid0(VALU_DEP_1)
	v_fma_mix_f32 v7, v2, v9, v7 op_sel_hi:[0,1,0]
	s_and_not1_b32 exec_lo, exec_lo, s5
	s_cbranch_execnz .LBB237_3
; %bb.4:
	s_or_b32 exec_lo, exec_lo, s5
.LBB237_5:
	s_delay_alu instid0(SALU_CYCLE_1) | instskip(SKIP_1) | instid1(VALU_DEP_1)
	s_or_b32 exec_lo, exec_lo, s12
	v_mbcnt_lo_u32_b32 v0, -1, 0
	v_xor_b32_e32 v2, 8, v0
	v_xor_b32_e32 v1, 16, v0
	;; [unrolled: 1-line block ×3, first 2 shown]
	s_delay_alu instid0(VALU_DEP_2) | instskip(SKIP_4) | instid1(VALU_DEP_2)
	v_cmp_gt_i32_e32 vcc_lo, 32, v1
	v_cndmask_b32_e32 v1, v0, v1, vcc_lo
	v_cmp_gt_i32_e32 vcc_lo, 32, v2
	v_cndmask_b32_e32 v2, v0, v2, vcc_lo
	v_cmp_gt_i32_e32 vcc_lo, 32, v3
	v_dual_lshlrev_b32 v2, 2, v2 :: v_dual_lshlrev_b32 v1, 2, v1
	ds_bpermute_b32 v1, v1, v7
	s_wait_dscnt 0x0
	v_add_f32_e32 v1, v7, v1
	ds_bpermute_b32 v2, v2, v1
	s_wait_dscnt 0x0
	v_dual_cndmask_b32 v3, v0, v3, vcc_lo :: v_dual_add_f32 v1, v1, v2
	s_delay_alu instid0(VALU_DEP_1) | instskip(SKIP_3) | instid1(VALU_DEP_1)
	v_lshlrev_b32_e32 v3, 2, v3
	ds_bpermute_b32 v2, v3, v1
	s_wait_dscnt 0x0
	v_dual_add_f32 v1, v1, v2 :: v_dual_bitop2_b32 v3, 2, v0 bitop3:0x14
	v_cmp_gt_i32_e32 vcc_lo, 32, v3
	v_cndmask_b32_e32 v3, v0, v3, vcc_lo
	s_delay_alu instid0(VALU_DEP_1) | instskip(SKIP_2) | instid1(VALU_DEP_1)
	v_lshlrev_b32_e32 v3, 2, v3
	ds_bpermute_b32 v2, v3, v1
	v_xor_b32_e32 v3, 1, v0
	v_cmp_gt_i32_e32 vcc_lo, 32, v3
	v_cndmask_b32_e32 v3, v0, v3, vcc_lo
	v_cmp_eq_u32_e32 vcc_lo, 0, v5
	s_wait_dscnt 0x0
	s_delay_alu instid0(VALU_DEP_2)
	v_dual_add_f32 v0, v1, v2 :: v_dual_lshlrev_b32 v1, 2, v3
	ds_bpermute_b32 v1, v1, v0
	s_and_b32 exec_lo, exec_lo, vcc_lo
	s_cbranch_execz .LBB237_7
; %bb.6:
	v_mad_u32 v2, s6, s8, v4
	s_wait_dscnt 0x0
	v_add_f32_e32 v0, v0, v1
	s_wait_kmcnt 0x0
	global_store_b32 v2, v0, s[10:11] scale_offset
.LBB237_7:
	s_endpgm
	.section	.rodata,"a",@progbits
	.p2align	6, 0x0
	.amdhsa_kernel _ZL9moe_vec_qIfLi32ELi4E10block_q4_0Li2EXadL_ZL17vec_dot_q4_0_q8_1PKvPK10block_q8_1RKiEEEvS2_S2_PT_PS6_iiii
		.amdhsa_group_segment_fixed_size 0
		.amdhsa_private_segment_fixed_size 0
		.amdhsa_kernarg_size 304
		.amdhsa_user_sgpr_count 2
		.amdhsa_user_sgpr_dispatch_ptr 0
		.amdhsa_user_sgpr_queue_ptr 0
		.amdhsa_user_sgpr_kernarg_segment_ptr 1
		.amdhsa_user_sgpr_dispatch_id 0
		.amdhsa_user_sgpr_kernarg_preload_length 0
		.amdhsa_user_sgpr_kernarg_preload_offset 0
		.amdhsa_user_sgpr_private_segment_size 0
		.amdhsa_wavefront_size32 1
		.amdhsa_uses_dynamic_stack 0
		.amdhsa_enable_private_segment 0
		.amdhsa_system_sgpr_workgroup_id_x 1
		.amdhsa_system_sgpr_workgroup_id_y 0
		.amdhsa_system_sgpr_workgroup_id_z 1
		.amdhsa_system_sgpr_workgroup_info 0
		.amdhsa_system_vgpr_workitem_id 1
		.amdhsa_next_free_vgpr 42
		.amdhsa_next_free_sgpr 21
		.amdhsa_named_barrier_count 0
		.amdhsa_reserve_vcc 1
		.amdhsa_float_round_mode_32 0
		.amdhsa_float_round_mode_16_64 0
		.amdhsa_float_denorm_mode_32 3
		.amdhsa_float_denorm_mode_16_64 3
		.amdhsa_fp16_overflow 0
		.amdhsa_memory_ordered 1
		.amdhsa_forward_progress 1
		.amdhsa_inst_pref_size 11
		.amdhsa_round_robin_scheduling 0
		.amdhsa_exception_fp_ieee_invalid_op 0
		.amdhsa_exception_fp_denorm_src 0
		.amdhsa_exception_fp_ieee_div_zero 0
		.amdhsa_exception_fp_ieee_overflow 0
		.amdhsa_exception_fp_ieee_underflow 0
		.amdhsa_exception_fp_ieee_inexact 0
		.amdhsa_exception_int_div_zero 0
	.end_amdhsa_kernel
	.section	.text._ZL9moe_vec_qIfLi32ELi4E10block_q4_0Li2EXadL_ZL17vec_dot_q4_0_q8_1PKvPK10block_q8_1RKiEEEvS2_S2_PT_PS6_iiii,"axG",@progbits,_ZL9moe_vec_qIfLi32ELi4E10block_q4_0Li2EXadL_ZL17vec_dot_q4_0_q8_1PKvPK10block_q8_1RKiEEEvS2_S2_PT_PS6_iiii,comdat
.Lfunc_end237:
	.size	_ZL9moe_vec_qIfLi32ELi4E10block_q4_0Li2EXadL_ZL17vec_dot_q4_0_q8_1PKvPK10block_q8_1RKiEEEvS2_S2_PT_PS6_iiii, .Lfunc_end237-_ZL9moe_vec_qIfLi32ELi4E10block_q4_0Li2EXadL_ZL17vec_dot_q4_0_q8_1PKvPK10block_q8_1RKiEEEvS2_S2_PT_PS6_iiii
                                        ; -- End function
	.set _ZL9moe_vec_qIfLi32ELi4E10block_q4_0Li2EXadL_ZL17vec_dot_q4_0_q8_1PKvPK10block_q8_1RKiEEEvS2_S2_PT_PS6_iiii.num_vgpr, 42
	.set _ZL9moe_vec_qIfLi32ELi4E10block_q4_0Li2EXadL_ZL17vec_dot_q4_0_q8_1PKvPK10block_q8_1RKiEEEvS2_S2_PT_PS6_iiii.num_agpr, 0
	.set _ZL9moe_vec_qIfLi32ELi4E10block_q4_0Li2EXadL_ZL17vec_dot_q4_0_q8_1PKvPK10block_q8_1RKiEEEvS2_S2_PT_PS6_iiii.numbered_sgpr, 21
	.set _ZL9moe_vec_qIfLi32ELi4E10block_q4_0Li2EXadL_ZL17vec_dot_q4_0_q8_1PKvPK10block_q8_1RKiEEEvS2_S2_PT_PS6_iiii.num_named_barrier, 0
	.set _ZL9moe_vec_qIfLi32ELi4E10block_q4_0Li2EXadL_ZL17vec_dot_q4_0_q8_1PKvPK10block_q8_1RKiEEEvS2_S2_PT_PS6_iiii.private_seg_size, 0
	.set _ZL9moe_vec_qIfLi32ELi4E10block_q4_0Li2EXadL_ZL17vec_dot_q4_0_q8_1PKvPK10block_q8_1RKiEEEvS2_S2_PT_PS6_iiii.uses_vcc, 1
	.set _ZL9moe_vec_qIfLi32ELi4E10block_q4_0Li2EXadL_ZL17vec_dot_q4_0_q8_1PKvPK10block_q8_1RKiEEEvS2_S2_PT_PS6_iiii.uses_flat_scratch, 0
	.set _ZL9moe_vec_qIfLi32ELi4E10block_q4_0Li2EXadL_ZL17vec_dot_q4_0_q8_1PKvPK10block_q8_1RKiEEEvS2_S2_PT_PS6_iiii.has_dyn_sized_stack, 0
	.set _ZL9moe_vec_qIfLi32ELi4E10block_q4_0Li2EXadL_ZL17vec_dot_q4_0_q8_1PKvPK10block_q8_1RKiEEEvS2_S2_PT_PS6_iiii.has_recursion, 0
	.set _ZL9moe_vec_qIfLi32ELi4E10block_q4_0Li2EXadL_ZL17vec_dot_q4_0_q8_1PKvPK10block_q8_1RKiEEEvS2_S2_PT_PS6_iiii.has_indirect_call, 0
	.section	.AMDGPU.csdata,"",@progbits
; Kernel info:
; codeLenInByte = 1300
; TotalNumSgprs: 23
; NumVgprs: 42
; ScratchSize: 0
; MemoryBound: 0
; FloatMode: 240
; IeeeMode: 1
; LDSByteSize: 0 bytes/workgroup (compile time only)
; SGPRBlocks: 0
; VGPRBlocks: 2
; NumSGPRsForWavesPerEU: 23
; NumVGPRsForWavesPerEU: 42
; NamedBarCnt: 0
; Occupancy: 16
; WaveLimiterHint : 1
; COMPUTE_PGM_RSRC2:SCRATCH_EN: 0
; COMPUTE_PGM_RSRC2:USER_SGPR: 2
; COMPUTE_PGM_RSRC2:TRAP_HANDLER: 0
; COMPUTE_PGM_RSRC2:TGID_X_EN: 1
; COMPUTE_PGM_RSRC2:TGID_Y_EN: 0
; COMPUTE_PGM_RSRC2:TGID_Z_EN: 1
; COMPUTE_PGM_RSRC2:TIDIG_COMP_CNT: 1
	.section	.text._ZL9moe_vec_qIfLi32ELi4E10block_q4_1Li2EXadL_ZL17vec_dot_q4_1_q8_1PKvPK10block_q8_1RKiEEEvS2_S2_PT_PS6_iiii,"axG",@progbits,_ZL9moe_vec_qIfLi32ELi4E10block_q4_1Li2EXadL_ZL17vec_dot_q4_1_q8_1PKvPK10block_q8_1RKiEEEvS2_S2_PT_PS6_iiii,comdat
	.globl	_ZL9moe_vec_qIfLi32ELi4E10block_q4_1Li2EXadL_ZL17vec_dot_q4_1_q8_1PKvPK10block_q8_1RKiEEEvS2_S2_PT_PS6_iiii ; -- Begin function _ZL9moe_vec_qIfLi32ELi4E10block_q4_1Li2EXadL_ZL17vec_dot_q4_1_q8_1PKvPK10block_q8_1RKiEEEvS2_S2_PT_PS6_iiii
	.p2align	8
	.type	_ZL9moe_vec_qIfLi32ELi4E10block_q4_1Li2EXadL_ZL17vec_dot_q4_1_q8_1PKvPK10block_q8_1RKiEEEvS2_S2_PT_PS6_iiii,@function
_ZL9moe_vec_qIfLi32ELi4E10block_q4_1Li2EXadL_ZL17vec_dot_q4_1_q8_1PKvPK10block_q8_1RKiEEEvS2_S2_PT_PS6_iiii: ; @_ZL9moe_vec_qIfLi32ELi4E10block_q4_1Li2EXadL_ZL17vec_dot_q4_1_q8_1PKvPK10block_q8_1RKiEEEvS2_S2_PT_PS6_iiii
; %bb.0:
	s_clause 0x1
	s_load_u16 s3, s[0:1], 0x3e
	s_load_b128 s[4:7], s[0:1], 0x20
	s_bfe_u32 s2, ttmp6, 0x4000c
	s_and_b32 s8, ttmp6, 15
	s_add_co_i32 s2, s2, 1
	v_bfe_u32 v1, v0, 10, 10
	s_mul_i32 s2, ttmp9, s2
	s_mov_b32 s9, 0
	s_add_co_i32 s8, s8, s2
	s_getreg_b32 s2, hwreg(HW_REG_IB_STS2, 6, 4)
	s_delay_alu instid0(SALU_CYCLE_1) | instskip(SKIP_4) | instid1(VALU_DEP_1)
	s_cmp_eq_u32 s2, 0
	s_cselect_b32 s8, ttmp9, s8
	s_wait_kmcnt 0x0
	v_mad_u32 v4, s8, s3, v1
	s_mov_b32 s3, exec_lo
	v_cmpx_gt_u32_e64 s6, v4
	s_cbranch_execz .LBB238_7
; %bb.1:
	s_load_b64 s[10:11], s[0:1], 0x10
	s_bfe_u32 s3, ttmp6, 0x40014
	s_lshr_b32 s8, ttmp7, 16
	s_add_co_i32 s3, s3, 1
	s_cvt_f32_u32 s13, s4
	s_mul_i32 s3, s8, s3
	s_bfe_u32 s12, ttmp6, 0x40008
	v_bfe_u32 v6, v0, 1, 9
	s_add_co_i32 s12, s12, s3
	v_rcp_iflag_f32_e32 v1, s13
	s_cmp_eq_u32 s2, 0
	v_and_b32_e32 v5, 0x3ff, v0
	s_cselect_b32 s8, s8, s12
	s_ashr_i32 s2, s5, 31
	v_mov_b32_e32 v7, 0
	s_lshr_b32 s2, s2, 27
	s_mov_b32 s12, exec_lo
	s_add_co_i32 s3, s5, s2
	v_readfirstlane_b32 s2, v1
	s_ashr_i32 s13, s3, 5
	s_delay_alu instid0(SALU_CYCLE_1)
	v_cmpx_gt_u32_e64 s13, v6
	s_cbranch_execz .LBB238_5
; %bb.2:
	s_load_b64 s[14:15], s[0:1], 0x18
	s_mul_f32 s5, s2, 0x4f7ffffe
	s_sub_co_i32 s16, 0, s4
	s_mov_b32 s17, s9
	s_wait_xcnt 0x0
	s_load_b128 s[0:3], s[0:1], 0x0
	s_cvt_u32_f32 s18, s5
	v_mul_lo_u32 v8, v4, s13
	s_mul_i32 s19, s13, s6
	v_dual_mov_b32 v1, 0 :: v_dual_lshlrev_b32 v0, 3, v5
	s_mul_i32 s16, s16, s18
	s_mov_b32 s5, 0
	s_delay_alu instid0(VALU_DEP_1) | instskip(NEXT) | instid1(VALU_DEP_2)
	v_dual_mov_b32 v3, 0.5 :: v_dual_bitop2_b32 v0, 8, v0 bitop3:0x40
	v_mov_b32_e32 v7, v1
	s_wait_kmcnt 0x0
	s_load_b32 s20, s[14:15], s8 offset:0x0 scale_offset
	s_wait_xcnt 0x0
	s_mul_hi_u32 s14, s18, s16
	s_delay_alu instid0(SALU_CYCLE_1) | instskip(NEXT) | instid1(SALU_CYCLE_1)
	s_add_co_i32 s16, s18, s14
	s_mul_u64 s[14:15], s[8:9], s[16:17]
	s_delay_alu instid0(SALU_CYCLE_1) | instskip(SKIP_2) | instid1(SALU_CYCLE_1)
	s_mul_i32 s9, s15, s4
	s_add_co_i32 s14, s15, 1
	s_sub_co_i32 s9, s8, s9
	s_sub_co_i32 s16, s9, s4
	s_cmp_ge_u32 s9, s4
	s_cselect_b32 s15, s14, s15
	s_cselect_b32 s9, s16, s9
	s_add_co_i32 s16, s15, 1
	s_cmp_ge_u32 s9, s4
	s_cselect_b32 s4, s16, s15
	s_wait_kmcnt 0x0
	s_mul_i32 s14, s19, s20
	s_mul_i32 s4, s4, s7
	s_ashr_i32 s15, s14, 31
	s_lshl_b64 s[16:17], s[4:5], 2
	s_mul_u64 s[14:15], s[14:15], 20
	s_add_nc_u64 s[2:3], s[2:3], s[16:17]
	s_add_nc_u64 s[0:1], s[0:1], s[14:15]
.LBB238_3:                              ; =>This Inner Loop Header: Depth=1
	v_add_nc_u32_e32 v2, v8, v6
	v_mad_nc_i64_i32 v[10:11], v6, 36, s[2:3]
	v_add_nc_u32_e32 v6, 16, v6
	s_delay_alu instid0(VALU_DEP_3) | instskip(NEXT) | instid1(VALU_DEP_2)
	v_mad_nc_i64_i32 v[12:13], v2, 20, s[0:1]
	v_cmp_le_u32_e32 vcc_lo, s13, v6
	s_delay_alu instid0(VALU_DEP_4) | instskip(SKIP_1) | instid1(VALU_DEP_3)
	v_add_nc_u64_e32 v[14:15], v[10:11], v[0:1]
	s_or_b32 s5, vcc_lo, s5
	v_add_nc_u64_e32 v[16:17], v[12:13], v[0:1]
	global_load_b64 v[18:19], v[14:15], off offset:4
	global_load_b64 v[20:21], v[16:17], off offset:4
	s_clause 0x1
	global_load_b64 v[22:23], v[14:15], off offset:20
	global_load_b32 v2, v[10:11], off
	global_load_b32 v9, v[12:13], off
	s_wait_loadcnt 0x3
	s_wait_xcnt 0x2
	v_dual_ashrrev_i32 v14, 24, v18 :: v_dual_lshrrev_b32 v30, 4, v20
	s_wait_loadcnt 0x2
	v_ashrrev_i32_e32 v15, 24, v22
	v_bfe_i32 v17, v22, 0, 8
	v_ashrrev_i32_e32 v25, 24, v23
	v_bfe_i32 v26, v23, 16, 8
	v_bfe_i32 v27, v23, 8, 8
	;; [unrolled: 1-line block ×3, first 2 shown]
	v_bfe_u32 v28, v20, 24, 4
	v_and_b32_e32 v29, 0xf0f0f0f, v20
	v_dual_lshrrev_b32 v31, 28, v20 :: v_dual_bitop2_b32 v33, 15, v20 bitop3:0x40
	v_bfe_u32 v32, v20, 16, 4
	v_bfe_u32 v34, v20, 20, 4
	;; [unrolled: 1-line block ×4, first 2 shown]
	v_and_b32_e32 v36, 0xf0f0f0f, v21
	v_dual_lshrrev_b32 v37, 4, v21 :: v_dual_lshrrev_b32 v38, 28, v21
	v_bfe_u32 v39, v21, 16, 4
	v_bfe_u32 v41, v21, 20, 4
	v_lshrrev_b16 v30, 8, v30
	s_wait_loadcnt 0x0
	v_pk_mul_f16 v2, v9, v2
	v_and_b32_e32 v40, 15, v21
	v_bfe_u32 v21, v21, 4, 4
	v_lshrrev_b16 v10, 8, v18
	v_lshrrev_b16 v11, 8, v22
	v_bfe_i32 v16, v22, 16, 8
	v_lshrrev_b16 v29, 8, v29
	v_mul_i32_i24_e32 v17, v20, v17
	v_mul_i32_i24_e32 v15, v31, v15
	v_lshrrev_b16 v20, 8, v36
	v_lshrrev_b16 v31, 8, v37
	v_mul_i32_i24_e32 v21, v23, v21
	v_mul_i32_i24_e32 v23, v26, v41
	v_and_b32_e32 v26, 15, v30
	v_bfe_i32 v12, v18, 16, 8
	v_bfe_i32 v13, v18, 0, 8
	v_ashrrev_i32_e32 v18, 24, v19
	v_bfe_i32 v22, v19, 16, 8
	v_bfe_i32 v24, v19, 8, 8
	;; [unrolled: 1-line block ×4, first 2 shown]
	v_mul_i32_i24_e32 v16, v34, v16
	v_and_b32_e32 v29, 0xffff, v29
	v_and_b32_e32 v20, 0xffff, v20
	;; [unrolled: 1-line block ×4, first 2 shown]
	v_bfe_i32 v19, v19, 0, 8
	v_mul_i32_i24_e32 v22, v22, v39
	v_mul_i32_i24_e32 v18, v18, v35
	v_mul_i32_i24_e32 v25, v25, v38
	v_mad_i32_i24 v14, v28, v14, v15
	v_mul_i32_i24_e32 v10, v29, v10
	v_mul_i32_i24_e32 v15, v24, v20
	v_and_b32_e32 v20, 0xffff, v30
	v_mul_i32_i24_e32 v11, v26, v11
	v_mad_i32_i24 v12, v32, v12, v16
	v_mad_i32_i24 v13, v33, v13, v17
	v_add3_u32 v14, v14, v18, v25
	v_mul_i32_i24_e32 v16, v27, v20
	v_add3_u32 v10, v10, v11, v15
	v_add3_u32 v9, v12, v22, v23
	v_lshrrev_b32_e32 v12, 16, v2
	v_mul_i32_i24_e32 v19, v19, v40
	s_delay_alu instid0(VALU_DEP_4) | instskip(NEXT) | instid1(VALU_DEP_2)
	v_add3_u32 v10, v10, v16, v14
	v_add3_u32 v11, v13, v19, v21
	s_delay_alu instid0(VALU_DEP_1) | instskip(SKIP_2) | instid1(VALU_DEP_3)
	v_add3_u32 v9, v11, v9, v10
	v_cvt_f32_f16_e32 v10, v2
	v_cvt_f32_f16_e32 v11, v12
	v_cvt_f32_i32_e32 v2, v9
	s_delay_alu instid0(VALU_DEP_1) | instskip(NEXT) | instid1(VALU_DEP_1)
	v_pk_mul_f32 v[10:11], v[2:3], v[10:11]
	v_add_f32_e32 v2, v11, v10
	s_delay_alu instid0(VALU_DEP_1)
	v_add_f32_e32 v7, v7, v2
	s_and_not1_b32 exec_lo, exec_lo, s5
	s_cbranch_execnz .LBB238_3
; %bb.4:
	s_or_b32 exec_lo, exec_lo, s5
.LBB238_5:
	s_delay_alu instid0(SALU_CYCLE_1) | instskip(SKIP_1) | instid1(VALU_DEP_1)
	s_or_b32 exec_lo, exec_lo, s12
	v_mbcnt_lo_u32_b32 v0, -1, 0
	v_xor_b32_e32 v2, 8, v0
	v_xor_b32_e32 v1, 16, v0
	;; [unrolled: 1-line block ×3, first 2 shown]
	s_delay_alu instid0(VALU_DEP_2) | instskip(SKIP_4) | instid1(VALU_DEP_2)
	v_cmp_gt_i32_e32 vcc_lo, 32, v1
	v_cndmask_b32_e32 v1, v0, v1, vcc_lo
	v_cmp_gt_i32_e32 vcc_lo, 32, v2
	v_cndmask_b32_e32 v2, v0, v2, vcc_lo
	v_cmp_gt_i32_e32 vcc_lo, 32, v3
	v_dual_lshlrev_b32 v2, 2, v2 :: v_dual_lshlrev_b32 v1, 2, v1
	ds_bpermute_b32 v1, v1, v7
	s_wait_dscnt 0x0
	v_add_f32_e32 v1, v7, v1
	ds_bpermute_b32 v2, v2, v1
	s_wait_dscnt 0x0
	v_dual_cndmask_b32 v3, v0, v3, vcc_lo :: v_dual_add_f32 v1, v1, v2
	s_delay_alu instid0(VALU_DEP_1) | instskip(SKIP_3) | instid1(VALU_DEP_1)
	v_lshlrev_b32_e32 v3, 2, v3
	ds_bpermute_b32 v2, v3, v1
	s_wait_dscnt 0x0
	v_dual_add_f32 v1, v1, v2 :: v_dual_bitop2_b32 v3, 2, v0 bitop3:0x14
	v_cmp_gt_i32_e32 vcc_lo, 32, v3
	v_cndmask_b32_e32 v3, v0, v3, vcc_lo
	s_delay_alu instid0(VALU_DEP_1) | instskip(SKIP_2) | instid1(VALU_DEP_1)
	v_lshlrev_b32_e32 v3, 2, v3
	ds_bpermute_b32 v2, v3, v1
	v_xor_b32_e32 v3, 1, v0
	v_cmp_gt_i32_e32 vcc_lo, 32, v3
	v_cndmask_b32_e32 v3, v0, v3, vcc_lo
	v_cmp_eq_u32_e32 vcc_lo, 0, v5
	s_wait_dscnt 0x0
	s_delay_alu instid0(VALU_DEP_2)
	v_dual_add_f32 v0, v1, v2 :: v_dual_lshlrev_b32 v1, 2, v3
	ds_bpermute_b32 v1, v1, v0
	s_and_b32 exec_lo, exec_lo, vcc_lo
	s_cbranch_execz .LBB238_7
; %bb.6:
	v_mad_u32 v2, s6, s8, v4
	s_wait_dscnt 0x0
	v_add_f32_e32 v0, v0, v1
	s_wait_kmcnt 0x0
	global_store_b32 v2, v0, s[10:11] scale_offset
.LBB238_7:
	s_endpgm
	.section	.rodata,"a",@progbits
	.p2align	6, 0x0
	.amdhsa_kernel _ZL9moe_vec_qIfLi32ELi4E10block_q4_1Li2EXadL_ZL17vec_dot_q4_1_q8_1PKvPK10block_q8_1RKiEEEvS2_S2_PT_PS6_iiii
		.amdhsa_group_segment_fixed_size 0
		.amdhsa_private_segment_fixed_size 0
		.amdhsa_kernarg_size 304
		.amdhsa_user_sgpr_count 2
		.amdhsa_user_sgpr_dispatch_ptr 0
		.amdhsa_user_sgpr_queue_ptr 0
		.amdhsa_user_sgpr_kernarg_segment_ptr 1
		.amdhsa_user_sgpr_dispatch_id 0
		.amdhsa_user_sgpr_kernarg_preload_length 0
		.amdhsa_user_sgpr_kernarg_preload_offset 0
		.amdhsa_user_sgpr_private_segment_size 0
		.amdhsa_wavefront_size32 1
		.amdhsa_uses_dynamic_stack 0
		.amdhsa_enable_private_segment 0
		.amdhsa_system_sgpr_workgroup_id_x 1
		.amdhsa_system_sgpr_workgroup_id_y 0
		.amdhsa_system_sgpr_workgroup_id_z 1
		.amdhsa_system_sgpr_workgroup_info 0
		.amdhsa_system_vgpr_workitem_id 1
		.amdhsa_next_free_vgpr 42
		.amdhsa_next_free_sgpr 21
		.amdhsa_named_barrier_count 0
		.amdhsa_reserve_vcc 1
		.amdhsa_float_round_mode_32 0
		.amdhsa_float_round_mode_16_64 0
		.amdhsa_float_denorm_mode_32 3
		.amdhsa_float_denorm_mode_16_64 3
		.amdhsa_fp16_overflow 0
		.amdhsa_memory_ordered 1
		.amdhsa_forward_progress 1
		.amdhsa_inst_pref_size 11
		.amdhsa_round_robin_scheduling 0
		.amdhsa_exception_fp_ieee_invalid_op 0
		.amdhsa_exception_fp_denorm_src 0
		.amdhsa_exception_fp_ieee_div_zero 0
		.amdhsa_exception_fp_ieee_overflow 0
		.amdhsa_exception_fp_ieee_underflow 0
		.amdhsa_exception_fp_ieee_inexact 0
		.amdhsa_exception_int_div_zero 0
	.end_amdhsa_kernel
	.section	.text._ZL9moe_vec_qIfLi32ELi4E10block_q4_1Li2EXadL_ZL17vec_dot_q4_1_q8_1PKvPK10block_q8_1RKiEEEvS2_S2_PT_PS6_iiii,"axG",@progbits,_ZL9moe_vec_qIfLi32ELi4E10block_q4_1Li2EXadL_ZL17vec_dot_q4_1_q8_1PKvPK10block_q8_1RKiEEEvS2_S2_PT_PS6_iiii,comdat
.Lfunc_end238:
	.size	_ZL9moe_vec_qIfLi32ELi4E10block_q4_1Li2EXadL_ZL17vec_dot_q4_1_q8_1PKvPK10block_q8_1RKiEEEvS2_S2_PT_PS6_iiii, .Lfunc_end238-_ZL9moe_vec_qIfLi32ELi4E10block_q4_1Li2EXadL_ZL17vec_dot_q4_1_q8_1PKvPK10block_q8_1RKiEEEvS2_S2_PT_PS6_iiii
                                        ; -- End function
	.set _ZL9moe_vec_qIfLi32ELi4E10block_q4_1Li2EXadL_ZL17vec_dot_q4_1_q8_1PKvPK10block_q8_1RKiEEEvS2_S2_PT_PS6_iiii.num_vgpr, 42
	.set _ZL9moe_vec_qIfLi32ELi4E10block_q4_1Li2EXadL_ZL17vec_dot_q4_1_q8_1PKvPK10block_q8_1RKiEEEvS2_S2_PT_PS6_iiii.num_agpr, 0
	.set _ZL9moe_vec_qIfLi32ELi4E10block_q4_1Li2EXadL_ZL17vec_dot_q4_1_q8_1PKvPK10block_q8_1RKiEEEvS2_S2_PT_PS6_iiii.numbered_sgpr, 21
	.set _ZL9moe_vec_qIfLi32ELi4E10block_q4_1Li2EXadL_ZL17vec_dot_q4_1_q8_1PKvPK10block_q8_1RKiEEEvS2_S2_PT_PS6_iiii.num_named_barrier, 0
	.set _ZL9moe_vec_qIfLi32ELi4E10block_q4_1Li2EXadL_ZL17vec_dot_q4_1_q8_1PKvPK10block_q8_1RKiEEEvS2_S2_PT_PS6_iiii.private_seg_size, 0
	.set _ZL9moe_vec_qIfLi32ELi4E10block_q4_1Li2EXadL_ZL17vec_dot_q4_1_q8_1PKvPK10block_q8_1RKiEEEvS2_S2_PT_PS6_iiii.uses_vcc, 1
	.set _ZL9moe_vec_qIfLi32ELi4E10block_q4_1Li2EXadL_ZL17vec_dot_q4_1_q8_1PKvPK10block_q8_1RKiEEEvS2_S2_PT_PS6_iiii.uses_flat_scratch, 0
	.set _ZL9moe_vec_qIfLi32ELi4E10block_q4_1Li2EXadL_ZL17vec_dot_q4_1_q8_1PKvPK10block_q8_1RKiEEEvS2_S2_PT_PS6_iiii.has_dyn_sized_stack, 0
	.set _ZL9moe_vec_qIfLi32ELi4E10block_q4_1Li2EXadL_ZL17vec_dot_q4_1_q8_1PKvPK10block_q8_1RKiEEEvS2_S2_PT_PS6_iiii.has_recursion, 0
	.set _ZL9moe_vec_qIfLi32ELi4E10block_q4_1Li2EXadL_ZL17vec_dot_q4_1_q8_1PKvPK10block_q8_1RKiEEEvS2_S2_PT_PS6_iiii.has_indirect_call, 0
	.section	.AMDGPU.csdata,"",@progbits
; Kernel info:
; codeLenInByte = 1292
; TotalNumSgprs: 23
; NumVgprs: 42
; ScratchSize: 0
; MemoryBound: 0
; FloatMode: 240
; IeeeMode: 1
; LDSByteSize: 0 bytes/workgroup (compile time only)
; SGPRBlocks: 0
; VGPRBlocks: 2
; NumSGPRsForWavesPerEU: 23
; NumVGPRsForWavesPerEU: 42
; NamedBarCnt: 0
; Occupancy: 16
; WaveLimiterHint : 1
; COMPUTE_PGM_RSRC2:SCRATCH_EN: 0
; COMPUTE_PGM_RSRC2:USER_SGPR: 2
; COMPUTE_PGM_RSRC2:TRAP_HANDLER: 0
; COMPUTE_PGM_RSRC2:TGID_X_EN: 1
; COMPUTE_PGM_RSRC2:TGID_Y_EN: 0
; COMPUTE_PGM_RSRC2:TGID_Z_EN: 1
; COMPUTE_PGM_RSRC2:TIDIG_COMP_CNT: 1
	.section	.text._ZL9moe_vec_qIfLi32ELi4E10block_q5_0Li2EXadL_ZL17vec_dot_q5_0_q8_1PKvPK10block_q8_1RKiEEEvS2_S2_PT_PS6_iiii,"axG",@progbits,_ZL9moe_vec_qIfLi32ELi4E10block_q5_0Li2EXadL_ZL17vec_dot_q5_0_q8_1PKvPK10block_q8_1RKiEEEvS2_S2_PT_PS6_iiii,comdat
	.globl	_ZL9moe_vec_qIfLi32ELi4E10block_q5_0Li2EXadL_ZL17vec_dot_q5_0_q8_1PKvPK10block_q8_1RKiEEEvS2_S2_PT_PS6_iiii ; -- Begin function _ZL9moe_vec_qIfLi32ELi4E10block_q5_0Li2EXadL_ZL17vec_dot_q5_0_q8_1PKvPK10block_q8_1RKiEEEvS2_S2_PT_PS6_iiii
	.p2align	8
	.type	_ZL9moe_vec_qIfLi32ELi4E10block_q5_0Li2EXadL_ZL17vec_dot_q5_0_q8_1PKvPK10block_q8_1RKiEEEvS2_S2_PT_PS6_iiii,@function
_ZL9moe_vec_qIfLi32ELi4E10block_q5_0Li2EXadL_ZL17vec_dot_q5_0_q8_1PKvPK10block_q8_1RKiEEEvS2_S2_PT_PS6_iiii: ; @_ZL9moe_vec_qIfLi32ELi4E10block_q5_0Li2EXadL_ZL17vec_dot_q5_0_q8_1PKvPK10block_q8_1RKiEEEvS2_S2_PT_PS6_iiii
; %bb.0:
	s_clause 0x1
	s_load_u16 s3, s[0:1], 0x3e
	s_load_b128 s[4:7], s[0:1], 0x20
	s_bfe_u32 s2, ttmp6, 0x4000c
	s_and_b32 s8, ttmp6, 15
	s_add_co_i32 s2, s2, 1
	v_bfe_u32 v1, v0, 10, 10
	s_mul_i32 s2, ttmp9, s2
	s_delay_alu instid0(SALU_CYCLE_1) | instskip(SKIP_1) | instid1(SALU_CYCLE_1)
	s_add_co_i32 s8, s8, s2
	s_getreg_b32 s2, hwreg(HW_REG_IB_STS2, 6, 4)
	s_cmp_eq_u32 s2, 0
	s_cselect_b32 s8, ttmp9, s8
	s_wait_kmcnt 0x0
	v_mad_u32 v4, s8, s3, v1
	s_mov_b32 s3, 0
	s_mov_b32 s8, exec_lo
	s_delay_alu instid0(VALU_DEP_1)
	v_cmpx_gt_u32_e64 s6, v4
	s_cbranch_execz .LBB239_7
; %bb.1:
	s_load_b64 s[12:13], s[0:1], 0x10
	s_bfe_u32 s8, ttmp6, 0x40014
	s_lshr_b32 s9, ttmp7, 16
	s_add_co_i32 s8, s8, 1
	s_cvt_f32_u32 s11, s4
	s_mul_i32 s8, s9, s8
	s_bfe_u32 s10, ttmp6, 0x40008
	v_bfe_u32 v6, v0, 1, 9
	s_add_co_i32 s10, s10, s8
	v_rcp_iflag_f32_e32 v1, s11
	s_cmp_eq_u32 s2, 0
	v_and_b32_e32 v5, 0x3ff, v0
	s_cselect_b32 s2, s9, s10
	s_ashr_i32 s8, s5, 31
	v_mov_b32_e32 v7, 0
	s_lshr_b32 s8, s8, 27
	s_mov_b32 s14, exec_lo
	s_add_co_i32 s8, s5, s8
	v_readfirstlane_b32 s5, v1
	s_ashr_i32 s15, s8, 5
	s_delay_alu instid0(SALU_CYCLE_1)
	v_cmpx_gt_u32_e64 s15, v6
	s_cbranch_execz .LBB239_5
; %bb.2:
	s_clause 0x1
	s_load_b64 s[16:17], s[0:1], 0x18
	s_load_b128 s[8:11], s[0:1], 0x0
	s_wait_xcnt 0x0
	s_mul_f32 s0, s5, 0x4f7ffffe
	s_sub_co_i32 s5, 0, s4
	s_mov_b32 s19, s3
	v_dual_mov_b32 v1, 0 :: v_dual_lshlrev_b32 v0, 3, v5
	s_cvt_u32_f32 s0, s0
	v_mul_lo_u32 v8, v4, s15
	s_mul_i32 s20, s15, s6
	s_delay_alu instid0(VALU_DEP_2)
	v_dual_mov_b32 v7, v1 :: v_dual_bitop2_b32 v0, 8, v0 bitop3:0x40
	s_mul_i32 s5, s5, s0
	s_mov_b32 s1, 0
	s_mul_hi_u32 s5, s0, s5
	v_mov_b32_e32 v3, 0x41000000
	s_add_co_i32 s18, s0, s5
	v_or_b32_e32 v9, 4, v0
	s_wait_kmcnt 0x0
	s_load_b32 s21, s[16:17], s2 offset:0x0 scale_offset
	s_wait_xcnt 0x0
	s_mul_u64 s[16:17], s[2:3], s[18:19]
	s_delay_alu instid0(SALU_CYCLE_1) | instskip(SKIP_2) | instid1(SALU_CYCLE_1)
	s_mul_i32 s0, s17, s4
	s_add_co_i32 s3, s17, 1
	s_sub_co_i32 s0, s2, s0
	s_sub_co_i32 s5, s0, s4
	s_cmp_ge_u32 s0, s4
	s_cselect_b32 s3, s3, s17
	s_cselect_b32 s0, s5, s0
	s_add_co_i32 s5, s3, 1
	s_cmp_ge_u32 s0, s4
	s_cselect_b32 s0, s5, s3
	s_delay_alu instid0(SALU_CYCLE_1) | instskip(NEXT) | instid1(SALU_CYCLE_1)
	s_mul_i32 s0, s0, s7
	s_lshl_b64 s[16:17], s[0:1], 2
	s_wait_kmcnt 0x0
	s_mul_i32 s4, s20, s21
	s_delay_alu instid0(SALU_CYCLE_1) | instskip(NEXT) | instid1(SALU_CYCLE_1)
	s_ashr_i32 s5, s4, 31
	s_mul_u64 s[4:5], s[4:5], 22
	s_delay_alu instid0(SALU_CYCLE_1)
	s_add_nc_u64 s[4:5], s[8:9], s[4:5]
	s_add_nc_u64 s[8:9], s[10:11], s[16:17]
.LBB239_3:                              ; =>This Inner Loop Header: Depth=1
	v_add_nc_u32_e32 v2, v8, v6
	v_mad_nc_i64_i32 v[10:11], v6, 36, s[8:9]
	v_add_nc_u32_e32 v6, 16, v6
	s_delay_alu instid0(VALU_DEP_3) | instskip(NEXT) | instid1(VALU_DEP_2)
	v_mad_nc_i64_i32 v[12:13], v2, 22, s[4:5]
	v_cmp_le_u32_e32 vcc_lo, s15, v6
	s_delay_alu instid0(VALU_DEP_4) | instskip(SKIP_1) | instid1(VALU_DEP_3)
	v_add_nc_u64_e32 v[14:15], v[10:11], v[0:1]
	s_or_b32 s1, vcc_lo, s1
	v_add_nc_u64_e32 v[16:17], v[12:13], v[0:1]
	global_load_b32 v2, v[12:13], off offset:2
	global_load_b64 v[18:19], v[14:15], off offset:4
	global_load_b64 v[20:21], v[16:17], off offset:6
	s_clause 0x1
	global_load_b64 v[22:23], v[14:15], off offset:20
	global_load_b32 v24, v[10:11], off
	global_load_u16 v25, v[12:13], off
	s_wait_loadcnt 0x5
	s_wait_xcnt 0x1
	v_dual_ashrrev_i32 v10, v0, v2 :: v_dual_ashrrev_i32 v2, v9, v2
	s_wait_loadcnt 0x3
	v_and_b32_e32 v45, 0xf0f0f0f, v20
	v_and_b32_e32 v46, 0xf0f0f0f, v21
	s_wait_loadcnt 0x2
	v_dual_ashrrev_i32 v16, 24, v22 :: v_dual_lshrrev_b32 v20, 4, v20
	v_dual_lshlrev_b32 v31, 4, v10 :: v_dual_lshlrev_b32 v32, 11, v10
	v_dual_lshlrev_b32 v33, 18, v10 :: v_dual_lshlrev_b32 v34, 25, v10
	v_dual_lshrrev_b32 v35, 12, v10 :: v_dual_lshrrev_b32 v36, 5, v10
	v_dual_lshrrev_b32 v42, 12, v2 :: v_dual_lshrrev_b32 v43, 5, v2
	v_dual_lshlrev_b32 v37, 2, v10 :: v_dual_lshlrev_b32 v10, 9, v10
	v_dual_lshlrev_b32 v38, 4, v2 :: v_dual_lshlrev_b32 v39, 11, v2
	;; [unrolled: 1-line block ×4, first 2 shown]
	v_dual_lshrrev_b32 v21, 4, v21 :: v_dual_bitop2_b32 v31, 16, v31 bitop3:0x40
	v_and_b32_e32 v32, 0x1000, v32
	v_and_b32_e32 v42, 16, v42
	v_and_or_b32 v34, 0x10000000, v34, v45
	v_and_b32_e32 v35, 16, v35
	v_and_b32_e32 v37, 0x100000, v37
	;; [unrolled: 1-line block ×5, first 2 shown]
	v_or3_b32 v31, v31, v45, v32
	v_lshrrev_b32_e32 v34, 24, v34
	v_and_or_b32 v32, 0x1000, v36, v35
	v_and_or_b32 v36, 0x1000, v43, v42
	v_and_b32_e32 v20, 0xf0f0f0f, v20
	v_and_b32_e32 v21, 0xf0f0f0f, v21
	;; [unrolled: 1-line block ×3, first 2 shown]
	v_or3_b32 v10, v32, v37, v10
	v_or3_b32 v2, v36, v44, v2
	v_and_b32_e32 v41, 0x10000000, v41
	v_lshrrev_b16 v11, 8, v18
	v_and_b32_e32 v33, 0x100000, v33
	s_wait_xcnt 0x0
	v_lshrrev_b16 v12, 8, v22
	v_or_b32_e32 v37, v2, v21
	v_or_b32_e32 v36, v10, v20
	v_and_b32_e32 v38, 16, v38
	v_bitop3_b32 v2, v2, 31, v21 bitop3:0xc8
	v_dual_ashrrev_i32 v13, 24, v18 :: v_dual_ashrrev_i32 v28, 24, v23
	s_delay_alu instid0(VALU_DEP_4) | instskip(NEXT) | instid1(VALU_DEP_4)
	v_lshrrev_b32_e32 v21, 24, v36
	v_and_or_b32 v35, 0x1000, v39, v38
	v_lshrrev_b16 v39, 8, v31
	v_bfe_i32 v14, v18, 0, 8
	v_bfe_i32 v15, v18, 16, 8
	;; [unrolled: 1-line block ×3, first 2 shown]
	v_or3_b32 v32, v35, v40, v41
	v_bfe_i32 v18, v22, 0, 8
	v_ashrrev_i32_e32 v22, 24, v19
	v_bfe_i32 v26, v19, 16, 8
	v_bfe_i32 v27, v19, 8, 8
	;; [unrolled: 1-line block ×4, first 2 shown]
	v_or_b32_e32 v38, v31, v33
	v_and_b32_e32 v35, 0xffff, v39
	v_bitop3_b32 v10, v10, 31, v20 bitop3:0xc8
	v_or_b32_e32 v20, v32, v46
	v_bitop3_b32 v32, v32, 31, v46 bitop3:0xc8
	v_bfe_i32 v29, v23, 16, 8
	v_bfe_i32 v30, v23, 8, 8
	;; [unrolled: 1-line block ×3, first 2 shown]
	v_bitop3_b32 v31, v31, 31, v33 bitop3:0xc8
	v_bfe_u32 v33, v38, 16, 5
	v_mul_i32_i24_e32 v11, v35, v11
	v_mul_i32_i24_e32 v10, v10, v18
	v_lshrrev_b32_e32 v18, 24, v20
	v_lshrrev_b16 v38, 8, v20
	v_bfe_u32 v20, v20, 16, 5
	v_mul_i32_i24_e32 v19, v19, v32
	v_lshrrev_b32_e32 v32, 24, v37
	v_lshrrev_b16 v35, 8, v36
	v_lshrrev_b16 v39, 8, v37
	v_bfe_i32 v12, v12, 0, 8
	v_bfe_u32 v36, v36, 16, 5
	v_mul_i32_i24_e32 v2, v23, v2
	v_and_b32_e32 v23, 0xffff, v35
	v_mul_i32_i24_e32 v16, v21, v16
	v_mul_i32_i24_e32 v20, v26, v20
	v_and_b32_e32 v26, 0xffff, v39
	v_bfe_u32 v37, v37, 16, 5
	v_mul_i32_i24_e32 v17, v36, v17
	v_and_b32_e32 v21, 0xffff, v38
	v_mul_i32_i24_e32 v18, v22, v18
	v_mul_i32_i24_e32 v28, v28, v32
	;; [unrolled: 1-line block ×4, first 2 shown]
	v_mad_i32_i24 v13, v34, v13, v16
	v_mul_i32_i24_e32 v22, v29, v37
	v_mad_i32_i24 v10, v31, v14, v10
	v_mul_i32_i24_e32 v14, v27, v21
	v_mad_i32_i24 v15, v33, v15, v17
	v_add3_u32 v11, v11, v12, v23
	v_add3_u32 v12, v13, v28, v18
	;; [unrolled: 1-line block ×3, first 2 shown]
	s_delay_alu instid0(VALU_DEP_4) | instskip(NEXT) | instid1(VALU_DEP_3)
	v_add3_u32 v10, v15, v22, v20
	v_add3_u32 v11, v11, v14, v12
	s_wait_loadcnt 0x1
	v_lshrrev_b32_e32 v12, 16, v24
	s_delay_alu instid0(VALU_DEP_2) | instskip(SKIP_1) | instid1(VALU_DEP_3)
	v_add3_u32 v2, v2, v10, v11
	v_cvt_f32_f16_e32 v10, v24
	v_cvt_f32_f16_e32 v11, v12
	s_delay_alu instid0(VALU_DEP_3) | instskip(NEXT) | instid1(VALU_DEP_1)
	v_cvt_f32_i32_e32 v2, v2
	v_pk_mul_f32 v[10:11], v[2:3], v[10:11]
	s_delay_alu instid0(VALU_DEP_1) | instskip(SKIP_1) | instid1(VALU_DEP_1)
	v_sub_f32_e32 v2, v10, v11
	s_wait_loadcnt 0x0
	v_fma_mix_f32 v7, v2, v25, v7 op_sel_hi:[0,1,0]
	s_and_not1_b32 exec_lo, exec_lo, s1
	s_cbranch_execnz .LBB239_3
; %bb.4:
	s_or_b32 exec_lo, exec_lo, s1
.LBB239_5:
	s_delay_alu instid0(SALU_CYCLE_1) | instskip(SKIP_1) | instid1(VALU_DEP_1)
	s_or_b32 exec_lo, exec_lo, s14
	v_mbcnt_lo_u32_b32 v0, -1, 0
	v_xor_b32_e32 v2, 8, v0
	v_xor_b32_e32 v1, 16, v0
	v_xor_b32_e32 v3, 4, v0
	s_delay_alu instid0(VALU_DEP_2) | instskip(SKIP_4) | instid1(VALU_DEP_2)
	v_cmp_gt_i32_e32 vcc_lo, 32, v1
	v_cndmask_b32_e32 v1, v0, v1, vcc_lo
	v_cmp_gt_i32_e32 vcc_lo, 32, v2
	v_cndmask_b32_e32 v2, v0, v2, vcc_lo
	v_cmp_gt_i32_e32 vcc_lo, 32, v3
	v_dual_lshlrev_b32 v2, 2, v2 :: v_dual_lshlrev_b32 v1, 2, v1
	ds_bpermute_b32 v1, v1, v7
	s_wait_dscnt 0x0
	v_add_f32_e32 v1, v7, v1
	ds_bpermute_b32 v2, v2, v1
	s_wait_dscnt 0x0
	v_dual_cndmask_b32 v3, v0, v3, vcc_lo :: v_dual_add_f32 v1, v1, v2
	s_delay_alu instid0(VALU_DEP_1) | instskip(SKIP_3) | instid1(VALU_DEP_1)
	v_lshlrev_b32_e32 v3, 2, v3
	ds_bpermute_b32 v2, v3, v1
	s_wait_dscnt 0x0
	v_dual_add_f32 v1, v1, v2 :: v_dual_bitop2_b32 v3, 2, v0 bitop3:0x14
	v_cmp_gt_i32_e32 vcc_lo, 32, v3
	v_cndmask_b32_e32 v3, v0, v3, vcc_lo
	s_delay_alu instid0(VALU_DEP_1) | instskip(SKIP_2) | instid1(VALU_DEP_1)
	v_lshlrev_b32_e32 v3, 2, v3
	ds_bpermute_b32 v2, v3, v1
	v_xor_b32_e32 v3, 1, v0
	v_cmp_gt_i32_e32 vcc_lo, 32, v3
	v_cndmask_b32_e32 v3, v0, v3, vcc_lo
	v_cmp_eq_u32_e32 vcc_lo, 0, v5
	s_wait_dscnt 0x0
	s_delay_alu instid0(VALU_DEP_2)
	v_dual_add_f32 v0, v1, v2 :: v_dual_lshlrev_b32 v1, 2, v3
	ds_bpermute_b32 v1, v1, v0
	s_and_b32 exec_lo, exec_lo, vcc_lo
	s_cbranch_execz .LBB239_7
; %bb.6:
	v_mad_u32 v2, s6, s2, v4
	s_wait_dscnt 0x0
	v_add_f32_e32 v0, v0, v1
	s_wait_kmcnt 0x0
	global_store_b32 v2, v0, s[12:13] scale_offset
.LBB239_7:
	s_endpgm
	.section	.rodata,"a",@progbits
	.p2align	6, 0x0
	.amdhsa_kernel _ZL9moe_vec_qIfLi32ELi4E10block_q5_0Li2EXadL_ZL17vec_dot_q5_0_q8_1PKvPK10block_q8_1RKiEEEvS2_S2_PT_PS6_iiii
		.amdhsa_group_segment_fixed_size 0
		.amdhsa_private_segment_fixed_size 0
		.amdhsa_kernarg_size 304
		.amdhsa_user_sgpr_count 2
		.amdhsa_user_sgpr_dispatch_ptr 0
		.amdhsa_user_sgpr_queue_ptr 0
		.amdhsa_user_sgpr_kernarg_segment_ptr 1
		.amdhsa_user_sgpr_dispatch_id 0
		.amdhsa_user_sgpr_kernarg_preload_length 0
		.amdhsa_user_sgpr_kernarg_preload_offset 0
		.amdhsa_user_sgpr_private_segment_size 0
		.amdhsa_wavefront_size32 1
		.amdhsa_uses_dynamic_stack 0
		.amdhsa_enable_private_segment 0
		.amdhsa_system_sgpr_workgroup_id_x 1
		.amdhsa_system_sgpr_workgroup_id_y 0
		.amdhsa_system_sgpr_workgroup_id_z 1
		.amdhsa_system_sgpr_workgroup_info 0
		.amdhsa_system_vgpr_workitem_id 1
		.amdhsa_next_free_vgpr 47
		.amdhsa_next_free_sgpr 22
		.amdhsa_named_barrier_count 0
		.amdhsa_reserve_vcc 1
		.amdhsa_float_round_mode_32 0
		.amdhsa_float_round_mode_16_64 0
		.amdhsa_float_denorm_mode_32 3
		.amdhsa_float_denorm_mode_16_64 3
		.amdhsa_fp16_overflow 0
		.amdhsa_memory_ordered 1
		.amdhsa_forward_progress 1
		.amdhsa_inst_pref_size 13
		.amdhsa_round_robin_scheduling 0
		.amdhsa_exception_fp_ieee_invalid_op 0
		.amdhsa_exception_fp_denorm_src 0
		.amdhsa_exception_fp_ieee_div_zero 0
		.amdhsa_exception_fp_ieee_overflow 0
		.amdhsa_exception_fp_ieee_underflow 0
		.amdhsa_exception_fp_ieee_inexact 0
		.amdhsa_exception_int_div_zero 0
	.end_amdhsa_kernel
	.section	.text._ZL9moe_vec_qIfLi32ELi4E10block_q5_0Li2EXadL_ZL17vec_dot_q5_0_q8_1PKvPK10block_q8_1RKiEEEvS2_S2_PT_PS6_iiii,"axG",@progbits,_ZL9moe_vec_qIfLi32ELi4E10block_q5_0Li2EXadL_ZL17vec_dot_q5_0_q8_1PKvPK10block_q8_1RKiEEEvS2_S2_PT_PS6_iiii,comdat
.Lfunc_end239:
	.size	_ZL9moe_vec_qIfLi32ELi4E10block_q5_0Li2EXadL_ZL17vec_dot_q5_0_q8_1PKvPK10block_q8_1RKiEEEvS2_S2_PT_PS6_iiii, .Lfunc_end239-_ZL9moe_vec_qIfLi32ELi4E10block_q5_0Li2EXadL_ZL17vec_dot_q5_0_q8_1PKvPK10block_q8_1RKiEEEvS2_S2_PT_PS6_iiii
                                        ; -- End function
	.set _ZL9moe_vec_qIfLi32ELi4E10block_q5_0Li2EXadL_ZL17vec_dot_q5_0_q8_1PKvPK10block_q8_1RKiEEEvS2_S2_PT_PS6_iiii.num_vgpr, 47
	.set _ZL9moe_vec_qIfLi32ELi4E10block_q5_0Li2EXadL_ZL17vec_dot_q5_0_q8_1PKvPK10block_q8_1RKiEEEvS2_S2_PT_PS6_iiii.num_agpr, 0
	.set _ZL9moe_vec_qIfLi32ELi4E10block_q5_0Li2EXadL_ZL17vec_dot_q5_0_q8_1PKvPK10block_q8_1RKiEEEvS2_S2_PT_PS6_iiii.numbered_sgpr, 22
	.set _ZL9moe_vec_qIfLi32ELi4E10block_q5_0Li2EXadL_ZL17vec_dot_q5_0_q8_1PKvPK10block_q8_1RKiEEEvS2_S2_PT_PS6_iiii.num_named_barrier, 0
	.set _ZL9moe_vec_qIfLi32ELi4E10block_q5_0Li2EXadL_ZL17vec_dot_q5_0_q8_1PKvPK10block_q8_1RKiEEEvS2_S2_PT_PS6_iiii.private_seg_size, 0
	.set _ZL9moe_vec_qIfLi32ELi4E10block_q5_0Li2EXadL_ZL17vec_dot_q5_0_q8_1PKvPK10block_q8_1RKiEEEvS2_S2_PT_PS6_iiii.uses_vcc, 1
	.set _ZL9moe_vec_qIfLi32ELi4E10block_q5_0Li2EXadL_ZL17vec_dot_q5_0_q8_1PKvPK10block_q8_1RKiEEEvS2_S2_PT_PS6_iiii.uses_flat_scratch, 0
	.set _ZL9moe_vec_qIfLi32ELi4E10block_q5_0Li2EXadL_ZL17vec_dot_q5_0_q8_1PKvPK10block_q8_1RKiEEEvS2_S2_PT_PS6_iiii.has_dyn_sized_stack, 0
	.set _ZL9moe_vec_qIfLi32ELi4E10block_q5_0Li2EXadL_ZL17vec_dot_q5_0_q8_1PKvPK10block_q8_1RKiEEEvS2_S2_PT_PS6_iiii.has_recursion, 0
	.set _ZL9moe_vec_qIfLi32ELi4E10block_q5_0Li2EXadL_ZL17vec_dot_q5_0_q8_1PKvPK10block_q8_1RKiEEEvS2_S2_PT_PS6_iiii.has_indirect_call, 0
	.section	.AMDGPU.csdata,"",@progbits
; Kernel info:
; codeLenInByte = 1632
; TotalNumSgprs: 24
; NumVgprs: 47
; ScratchSize: 0
; MemoryBound: 0
; FloatMode: 240
; IeeeMode: 1
; LDSByteSize: 0 bytes/workgroup (compile time only)
; SGPRBlocks: 0
; VGPRBlocks: 2
; NumSGPRsForWavesPerEU: 24
; NumVGPRsForWavesPerEU: 47
; NamedBarCnt: 0
; Occupancy: 16
; WaveLimiterHint : 1
; COMPUTE_PGM_RSRC2:SCRATCH_EN: 0
; COMPUTE_PGM_RSRC2:USER_SGPR: 2
; COMPUTE_PGM_RSRC2:TRAP_HANDLER: 0
; COMPUTE_PGM_RSRC2:TGID_X_EN: 1
; COMPUTE_PGM_RSRC2:TGID_Y_EN: 0
; COMPUTE_PGM_RSRC2:TGID_Z_EN: 1
; COMPUTE_PGM_RSRC2:TIDIG_COMP_CNT: 1
	.section	.text._ZL9moe_vec_qIfLi32ELi4E10block_q5_1Li2EXadL_ZL17vec_dot_q5_1_q8_1PKvPK10block_q8_1RKiEEEvS2_S2_PT_PS6_iiii,"axG",@progbits,_ZL9moe_vec_qIfLi32ELi4E10block_q5_1Li2EXadL_ZL17vec_dot_q5_1_q8_1PKvPK10block_q8_1RKiEEEvS2_S2_PT_PS6_iiii,comdat
	.globl	_ZL9moe_vec_qIfLi32ELi4E10block_q5_1Li2EXadL_ZL17vec_dot_q5_1_q8_1PKvPK10block_q8_1RKiEEEvS2_S2_PT_PS6_iiii ; -- Begin function _ZL9moe_vec_qIfLi32ELi4E10block_q5_1Li2EXadL_ZL17vec_dot_q5_1_q8_1PKvPK10block_q8_1RKiEEEvS2_S2_PT_PS6_iiii
	.p2align	8
	.type	_ZL9moe_vec_qIfLi32ELi4E10block_q5_1Li2EXadL_ZL17vec_dot_q5_1_q8_1PKvPK10block_q8_1RKiEEEvS2_S2_PT_PS6_iiii,@function
_ZL9moe_vec_qIfLi32ELi4E10block_q5_1Li2EXadL_ZL17vec_dot_q5_1_q8_1PKvPK10block_q8_1RKiEEEvS2_S2_PT_PS6_iiii: ; @_ZL9moe_vec_qIfLi32ELi4E10block_q5_1Li2EXadL_ZL17vec_dot_q5_1_q8_1PKvPK10block_q8_1RKiEEEvS2_S2_PT_PS6_iiii
; %bb.0:
	s_clause 0x1
	s_load_u16 s3, s[0:1], 0x3e
	s_load_b128 s[4:7], s[0:1], 0x20
	s_bfe_u32 s2, ttmp6, 0x4000c
	s_and_b32 s8, ttmp6, 15
	s_add_co_i32 s2, s2, 1
	v_bfe_u32 v1, v0, 10, 10
	s_mul_i32 s2, ttmp9, s2
	s_delay_alu instid0(SALU_CYCLE_1) | instskip(SKIP_1) | instid1(SALU_CYCLE_1)
	s_add_co_i32 s8, s8, s2
	s_getreg_b32 s2, hwreg(HW_REG_IB_STS2, 6, 4)
	s_cmp_eq_u32 s2, 0
	s_cselect_b32 s8, ttmp9, s8
	s_wait_kmcnt 0x0
	v_mad_u32 v6, s8, s3, v1
	s_mov_b32 s3, 0
	s_mov_b32 s8, exec_lo
	s_delay_alu instid0(VALU_DEP_1)
	v_cmpx_gt_u32_e64 s6, v6
	s_cbranch_execz .LBB240_7
; %bb.1:
	s_load_b64 s[12:13], s[0:1], 0x10
	s_bfe_u32 s8, ttmp6, 0x40014
	s_lshr_b32 s9, ttmp7, 16
	s_add_co_i32 s8, s8, 1
	s_cvt_f32_u32 s11, s4
	s_mul_i32 s8, s9, s8
	s_bfe_u32 s10, ttmp6, 0x40008
	v_bfe_u32 v8, v0, 1, 9
	s_add_co_i32 s10, s10, s8
	v_rcp_iflag_f32_e32 v1, s11
	s_cmp_eq_u32 s2, 0
	v_and_b32_e32 v7, 0x3ff, v0
	s_cselect_b32 s2, s9, s10
	s_ashr_i32 s8, s5, 31
	v_mov_b32_e32 v9, 0
	s_lshr_b32 s8, s8, 27
	s_mov_b32 s14, exec_lo
	s_add_co_i32 s8, s5, s8
	v_readfirstlane_b32 s5, v1
	s_ashr_i32 s15, s8, 5
	s_delay_alu instid0(SALU_CYCLE_1)
	v_cmpx_gt_u32_e64 s15, v8
	s_cbranch_execz .LBB240_5
; %bb.2:
	s_clause 0x1
	s_load_b64 s[16:17], s[0:1], 0x18
	s_load_b128 s[8:11], s[0:1], 0x0
	s_wait_xcnt 0x0
	s_mul_f32 s0, s5, 0x4f7ffffe
	s_sub_co_i32 s5, 0, s4
	s_mov_b32 s19, s3
	v_dual_mov_b32 v1, 0 :: v_dual_lshlrev_b32 v0, 3, v7
	s_cvt_u32_f32 s0, s0
	v_mul_lo_u32 v10, v6, s15
	s_mul_i32 s20, s15, s6
	s_delay_alu instid0(VALU_DEP_2) | instskip(SKIP_3) | instid1(VALU_DEP_1)
	v_dual_mov_b32 v3, 0.5 :: v_dual_bitop2_b32 v0, 8, v0 bitop3:0x40
	s_mul_i32 s5, s5, s0
	s_mov_b32 s1, 0
	s_mul_hi_u32 s5, s0, s5
	v_dual_mov_b32 v9, v1 :: v_dual_bitop2_b32 v11, 4, v0 bitop3:0x54
	s_add_co_i32 s18, s0, s5
	s_wait_kmcnt 0x0
	s_load_b32 s21, s[16:17], s2 offset:0x0 scale_offset
	s_wait_xcnt 0x0
	s_mul_u64 s[16:17], s[2:3], s[18:19]
	s_delay_alu instid0(SALU_CYCLE_1) | instskip(SKIP_2) | instid1(SALU_CYCLE_1)
	s_mul_i32 s0, s17, s4
	s_add_co_i32 s3, s17, 1
	s_sub_co_i32 s0, s2, s0
	s_sub_co_i32 s5, s0, s4
	s_cmp_ge_u32 s0, s4
	s_cselect_b32 s3, s3, s17
	s_cselect_b32 s0, s5, s0
	s_add_co_i32 s5, s3, 1
	s_cmp_ge_u32 s0, s4
	s_cselect_b32 s0, s5, s3
	s_delay_alu instid0(SALU_CYCLE_1) | instskip(NEXT) | instid1(SALU_CYCLE_1)
	s_mul_i32 s0, s0, s7
	s_lshl_b64 s[16:17], s[0:1], 2
	s_wait_kmcnt 0x0
	s_mul_i32 s4, s20, s21
	s_delay_alu instid0(SALU_CYCLE_1) | instskip(NEXT) | instid1(SALU_CYCLE_1)
	s_ashr_i32 s5, s4, 31
	s_mul_u64 s[4:5], s[4:5], 24
	s_delay_alu instid0(SALU_CYCLE_1)
	s_add_nc_u64 s[4:5], s[8:9], s[4:5]
	s_add_nc_u64 s[8:9], s[10:11], s[16:17]
.LBB240_3:                              ; =>This Inner Loop Header: Depth=1
	v_add_nc_u32_e32 v2, v10, v8
	v_mad_nc_i64_i32 v[12:13], v8, 36, s[8:9]
	v_add_nc_u32_e32 v8, 16, v8
	s_delay_alu instid0(VALU_DEP_3) | instskip(NEXT) | instid1(VALU_DEP_2)
	v_mad_nc_i64_i32 v[14:15], v2, 24, s[4:5]
	v_cmp_le_u32_e32 vcc_lo, s15, v8
	s_delay_alu instid0(VALU_DEP_4) | instskip(SKIP_1) | instid1(VALU_DEP_3)
	v_add_nc_u64_e32 v[16:17], v[12:13], v[0:1]
	s_or_b32 s1, vcc_lo, s1
	v_add_nc_u64_e32 v[18:19], v[14:15], v[0:1]
	global_load_b64 v[4:5], v[14:15], off
	global_load_b64 v[20:21], v[16:17], off offset:4
	global_load_b64 v[22:23], v[18:19], off offset:8
	s_clause 0x1
	global_load_b64 v[24:25], v[16:17], off offset:20
	global_load_b32 v2, v[12:13], off
	s_wait_loadcnt 0x4
	s_wait_xcnt 0x0
	v_dual_ashrrev_i32 v12, v0, v5 :: v_dual_ashrrev_i32 v5, v11, v5
	s_wait_loadcnt 0x1
	v_dual_ashrrev_i32 v15, 24, v20 :: v_dual_ashrrev_i32 v28, 24, v25
	v_and_b32_e32 v45, 0xf0f0f0f, v22
	s_delay_alu instid0(VALU_DEP_3)
	v_dual_lshlrev_b32 v31, 4, v12 :: v_dual_lshlrev_b32 v32, 11, v12
	v_dual_lshlrev_b32 v33, 18, v12 :: v_dual_lshlrev_b32 v34, 25, v12
	v_dual_lshrrev_b32 v35, 12, v12 :: v_dual_lshrrev_b32 v36, 5, v12
	v_dual_lshlrev_b32 v37, 2, v12 :: v_dual_lshlrev_b32 v12, 9, v12
	v_dual_lshlrev_b32 v38, 4, v5 :: v_dual_lshlrev_b32 v41, 25, v5
	v_dual_lshrrev_b32 v42, 12, v5 :: v_dual_lshlrev_b32 v39, 11, v5
	v_dual_lshlrev_b32 v40, 18, v5 :: v_dual_lshrrev_b32 v43, 5, v5
	v_dual_lshlrev_b32 v44, 2, v5 :: v_dual_lshlrev_b32 v5, 9, v5
	v_lshrrev_b32_e32 v22, 4, v22
	v_and_b32_e32 v46, 0xf0f0f0f, v23
	v_dual_lshrrev_b32 v23, 4, v23 :: v_dual_bitop2_b32 v38, 16, v38 bitop3:0x40
	v_and_b32_e32 v32, 0x1000, v32
	v_and_b32_e32 v35, 16, v35
	;; [unrolled: 1-line block ×3, first 2 shown]
	v_and_or_b32 v34, 0x10000000, v34, v45
	v_and_b32_e32 v31, 16, v31
	v_and_b32_e32 v37, 0x100000, v37
	;; [unrolled: 1-line block ×7, first 2 shown]
	v_lshrrev_b32_e32 v34, 24, v34
	v_or3_b32 v31, v31, v45, v32
	v_and_or_b32 v32, 0x1000, v36, v35
	v_and_or_b32 v35, 0x1000, v39, v38
	;; [unrolled: 1-line block ×3, first 2 shown]
	v_lshrrev_b16 v13, 8, v20
	v_and_b32_e32 v33, 0x100000, v33
	v_and_b32_e32 v22, 0xf0f0f0f, v22
	;; [unrolled: 1-line block ×3, first 2 shown]
	v_lshrrev_b16 v39, 8, v31
	v_or3_b32 v12, v32, v37, v12
	v_or3_b32 v32, v35, v40, v41
	;; [unrolled: 1-line block ×3, first 2 shown]
	v_bfe_i32 v16, v20, 0, 8
	v_bfe_i32 v17, v20, 16, 8
	;; [unrolled: 1-line block ×4, first 2 shown]
	v_and_b32_e32 v35, 0xffff, v39
	v_or_b32_e32 v36, v12, v22
	v_bitop3_b32 v12, v12, 31, v22 bitop3:0xc8
	v_or_b32_e32 v22, v32, v46
	v_or_b32_e32 v38, v31, v33
	s_wait_loadcnt 0x0
	v_pk_mul_f16 v2, v4, v2
	v_or_b32_e32 v37, v5, v23
	v_lshrrev_b16 v14, 8, v24
	v_ashrrev_i32_e32 v18, 24, v24
	v_bfe_i32 v19, v24, 16, 8
	v_ashrrev_i32_e32 v24, 24, v21
	v_bfe_i32 v26, v21, 16, 8
	v_bfe_i32 v27, v21, 8, 8
	;; [unrolled: 1-line block ×6, first 2 shown]
	v_bitop3_b32 v31, v31, 31, v33 bitop3:0xc8
	v_bitop3_b32 v32, v32, 31, v46 bitop3:0xc8
	;; [unrolled: 1-line block ×3, first 2 shown]
	v_mul_i32_i24_e32 v13, v35, v13
	v_lshrrev_b32_e32 v23, 24, v36
	v_lshrrev_b16 v35, 8, v36
	v_mul_i32_i24_e32 v12, v12, v20
	v_lshrrev_b32_e32 v20, 24, v22
	v_bfe_u32 v33, v38, 16, 5
	v_lshrrev_b16 v38, 8, v22
	v_bfe_u32 v22, v22, 16, 5
	v_lshrrev_b16 v39, 8, v37
	v_bfe_i32 v14, v14, 0, 8
	v_mul_i32_i24_e32 v21, v21, v32
	v_lshrrev_b32_e32 v32, 24, v37
	v_mul_i32_i24_e32 v5, v25, v5
	v_and_b32_e32 v25, 0xffff, v35
	v_mul_i32_i24_e32 v18, v23, v18
	v_mul_i32_i24_e32 v22, v26, v22
	v_and_b32_e32 v26, 0xffff, v39
	v_and_b32_e32 v23, 0xffff, v38
	v_mul_i32_i24_e32 v20, v24, v20
	v_mul_i32_i24_e32 v28, v28, v32
	;; [unrolled: 1-line block ×4, first 2 shown]
	v_mad_i32_i24 v15, v34, v15, v18
	v_bfe_u32 v36, v36, 16, 5
	v_mad_i32_i24 v12, v31, v16, v12
	v_mul_i32_i24_e32 v16, v27, v23
	v_add3_u32 v13, v13, v14, v25
	v_add3_u32 v14, v15, v28, v20
	v_mul_i32_i24_e32 v19, v36, v19
	v_add3_u32 v4, v12, v5, v21
	s_delay_alu instid0(VALU_DEP_3) | instskip(SKIP_3) | instid1(VALU_DEP_2)
	v_add3_u32 v12, v13, v16, v14
	v_lshrrev_b32_e32 v13, 16, v2
	v_bfe_u32 v37, v37, 16, 5
	v_mad_i32_i24 v17, v33, v17, v19
	v_mul_i32_i24_e32 v24, v29, v37
	s_delay_alu instid0(VALU_DEP_1) | instskip(NEXT) | instid1(VALU_DEP_1)
	v_add3_u32 v5, v17, v24, v22
	v_add3_u32 v12, v4, v5, v12
	v_cvt_f32_f16_e32 v4, v2
	v_cvt_f32_f16_e32 v5, v13
	s_delay_alu instid0(VALU_DEP_3) | instskip(NEXT) | instid1(VALU_DEP_1)
	v_cvt_f32_i32_e32 v2, v12
	v_pk_mul_f32 v[4:5], v[2:3], v[4:5]
	s_delay_alu instid0(VALU_DEP_1) | instskip(NEXT) | instid1(VALU_DEP_1)
	v_add_f32_e32 v2, v5, v4
	v_add_f32_e32 v9, v9, v2
	s_and_not1_b32 exec_lo, exec_lo, s1
	s_cbranch_execnz .LBB240_3
; %bb.4:
	s_or_b32 exec_lo, exec_lo, s1
.LBB240_5:
	s_delay_alu instid0(SALU_CYCLE_1) | instskip(SKIP_1) | instid1(VALU_DEP_1)
	s_or_b32 exec_lo, exec_lo, s14
	v_mbcnt_lo_u32_b32 v0, -1, 0
	v_xor_b32_e32 v2, 8, v0
	v_xor_b32_e32 v1, 16, v0
	;; [unrolled: 1-line block ×3, first 2 shown]
	s_delay_alu instid0(VALU_DEP_2) | instskip(SKIP_4) | instid1(VALU_DEP_2)
	v_cmp_gt_i32_e32 vcc_lo, 32, v1
	v_cndmask_b32_e32 v1, v0, v1, vcc_lo
	v_cmp_gt_i32_e32 vcc_lo, 32, v2
	v_cndmask_b32_e32 v2, v0, v2, vcc_lo
	v_cmp_gt_i32_e32 vcc_lo, 32, v3
	v_dual_lshlrev_b32 v2, 2, v2 :: v_dual_lshlrev_b32 v1, 2, v1
	ds_bpermute_b32 v1, v1, v9
	s_wait_dscnt 0x0
	v_add_f32_e32 v1, v9, v1
	ds_bpermute_b32 v2, v2, v1
	s_wait_dscnt 0x0
	v_dual_cndmask_b32 v3, v0, v3, vcc_lo :: v_dual_add_f32 v1, v1, v2
	s_delay_alu instid0(VALU_DEP_1) | instskip(SKIP_3) | instid1(VALU_DEP_1)
	v_lshlrev_b32_e32 v3, 2, v3
	ds_bpermute_b32 v2, v3, v1
	s_wait_dscnt 0x0
	v_dual_add_f32 v1, v1, v2 :: v_dual_bitop2_b32 v3, 2, v0 bitop3:0x14
	v_cmp_gt_i32_e32 vcc_lo, 32, v3
	v_cndmask_b32_e32 v3, v0, v3, vcc_lo
	s_delay_alu instid0(VALU_DEP_1) | instskip(SKIP_2) | instid1(VALU_DEP_1)
	v_lshlrev_b32_e32 v3, 2, v3
	ds_bpermute_b32 v2, v3, v1
	v_xor_b32_e32 v3, 1, v0
	v_cmp_gt_i32_e32 vcc_lo, 32, v3
	v_cndmask_b32_e32 v3, v0, v3, vcc_lo
	v_cmp_eq_u32_e32 vcc_lo, 0, v7
	s_wait_dscnt 0x0
	s_delay_alu instid0(VALU_DEP_2)
	v_dual_add_f32 v0, v1, v2 :: v_dual_lshlrev_b32 v1, 2, v3
	ds_bpermute_b32 v1, v1, v0
	s_and_b32 exec_lo, exec_lo, vcc_lo
	s_cbranch_execz .LBB240_7
; %bb.6:
	v_mad_u32 v2, s6, s2, v6
	s_wait_dscnt 0x0
	v_add_f32_e32 v0, v0, v1
	s_wait_kmcnt 0x0
	global_store_b32 v2, v0, s[12:13] scale_offset
.LBB240_7:
	s_endpgm
	.section	.rodata,"a",@progbits
	.p2align	6, 0x0
	.amdhsa_kernel _ZL9moe_vec_qIfLi32ELi4E10block_q5_1Li2EXadL_ZL17vec_dot_q5_1_q8_1PKvPK10block_q8_1RKiEEEvS2_S2_PT_PS6_iiii
		.amdhsa_group_segment_fixed_size 0
		.amdhsa_private_segment_fixed_size 0
		.amdhsa_kernarg_size 304
		.amdhsa_user_sgpr_count 2
		.amdhsa_user_sgpr_dispatch_ptr 0
		.amdhsa_user_sgpr_queue_ptr 0
		.amdhsa_user_sgpr_kernarg_segment_ptr 1
		.amdhsa_user_sgpr_dispatch_id 0
		.amdhsa_user_sgpr_kernarg_preload_length 0
		.amdhsa_user_sgpr_kernarg_preload_offset 0
		.amdhsa_user_sgpr_private_segment_size 0
		.amdhsa_wavefront_size32 1
		.amdhsa_uses_dynamic_stack 0
		.amdhsa_enable_private_segment 0
		.amdhsa_system_sgpr_workgroup_id_x 1
		.amdhsa_system_sgpr_workgroup_id_y 0
		.amdhsa_system_sgpr_workgroup_id_z 1
		.amdhsa_system_sgpr_workgroup_info 0
		.amdhsa_system_vgpr_workitem_id 1
		.amdhsa_next_free_vgpr 47
		.amdhsa_next_free_sgpr 22
		.amdhsa_named_barrier_count 0
		.amdhsa_reserve_vcc 1
		.amdhsa_float_round_mode_32 0
		.amdhsa_float_round_mode_16_64 0
		.amdhsa_float_denorm_mode_32 3
		.amdhsa_float_denorm_mode_16_64 3
		.amdhsa_fp16_overflow 0
		.amdhsa_memory_ordered 1
		.amdhsa_forward_progress 1
		.amdhsa_inst_pref_size 13
		.amdhsa_round_robin_scheduling 0
		.amdhsa_exception_fp_ieee_invalid_op 0
		.amdhsa_exception_fp_denorm_src 0
		.amdhsa_exception_fp_ieee_div_zero 0
		.amdhsa_exception_fp_ieee_overflow 0
		.amdhsa_exception_fp_ieee_underflow 0
		.amdhsa_exception_fp_ieee_inexact 0
		.amdhsa_exception_int_div_zero 0
	.end_amdhsa_kernel
	.section	.text._ZL9moe_vec_qIfLi32ELi4E10block_q5_1Li2EXadL_ZL17vec_dot_q5_1_q8_1PKvPK10block_q8_1RKiEEEvS2_S2_PT_PS6_iiii,"axG",@progbits,_ZL9moe_vec_qIfLi32ELi4E10block_q5_1Li2EXadL_ZL17vec_dot_q5_1_q8_1PKvPK10block_q8_1RKiEEEvS2_S2_PT_PS6_iiii,comdat
.Lfunc_end240:
	.size	_ZL9moe_vec_qIfLi32ELi4E10block_q5_1Li2EXadL_ZL17vec_dot_q5_1_q8_1PKvPK10block_q8_1RKiEEEvS2_S2_PT_PS6_iiii, .Lfunc_end240-_ZL9moe_vec_qIfLi32ELi4E10block_q5_1Li2EXadL_ZL17vec_dot_q5_1_q8_1PKvPK10block_q8_1RKiEEEvS2_S2_PT_PS6_iiii
                                        ; -- End function
	.set _ZL9moe_vec_qIfLi32ELi4E10block_q5_1Li2EXadL_ZL17vec_dot_q5_1_q8_1PKvPK10block_q8_1RKiEEEvS2_S2_PT_PS6_iiii.num_vgpr, 47
	.set _ZL9moe_vec_qIfLi32ELi4E10block_q5_1Li2EXadL_ZL17vec_dot_q5_1_q8_1PKvPK10block_q8_1RKiEEEvS2_S2_PT_PS6_iiii.num_agpr, 0
	.set _ZL9moe_vec_qIfLi32ELi4E10block_q5_1Li2EXadL_ZL17vec_dot_q5_1_q8_1PKvPK10block_q8_1RKiEEEvS2_S2_PT_PS6_iiii.numbered_sgpr, 22
	.set _ZL9moe_vec_qIfLi32ELi4E10block_q5_1Li2EXadL_ZL17vec_dot_q5_1_q8_1PKvPK10block_q8_1RKiEEEvS2_S2_PT_PS6_iiii.num_named_barrier, 0
	.set _ZL9moe_vec_qIfLi32ELi4E10block_q5_1Li2EXadL_ZL17vec_dot_q5_1_q8_1PKvPK10block_q8_1RKiEEEvS2_S2_PT_PS6_iiii.private_seg_size, 0
	.set _ZL9moe_vec_qIfLi32ELi4E10block_q5_1Li2EXadL_ZL17vec_dot_q5_1_q8_1PKvPK10block_q8_1RKiEEEvS2_S2_PT_PS6_iiii.uses_vcc, 1
	.set _ZL9moe_vec_qIfLi32ELi4E10block_q5_1Li2EXadL_ZL17vec_dot_q5_1_q8_1PKvPK10block_q8_1RKiEEEvS2_S2_PT_PS6_iiii.uses_flat_scratch, 0
	.set _ZL9moe_vec_qIfLi32ELi4E10block_q5_1Li2EXadL_ZL17vec_dot_q5_1_q8_1PKvPK10block_q8_1RKiEEEvS2_S2_PT_PS6_iiii.has_dyn_sized_stack, 0
	.set _ZL9moe_vec_qIfLi32ELi4E10block_q5_1Li2EXadL_ZL17vec_dot_q5_1_q8_1PKvPK10block_q8_1RKiEEEvS2_S2_PT_PS6_iiii.has_recursion, 0
	.set _ZL9moe_vec_qIfLi32ELi4E10block_q5_1Li2EXadL_ZL17vec_dot_q5_1_q8_1PKvPK10block_q8_1RKiEEEvS2_S2_PT_PS6_iiii.has_indirect_call, 0
	.section	.AMDGPU.csdata,"",@progbits
; Kernel info:
; codeLenInByte = 1608
; TotalNumSgprs: 24
; NumVgprs: 47
; ScratchSize: 0
; MemoryBound: 0
; FloatMode: 240
; IeeeMode: 1
; LDSByteSize: 0 bytes/workgroup (compile time only)
; SGPRBlocks: 0
; VGPRBlocks: 2
; NumSGPRsForWavesPerEU: 24
; NumVGPRsForWavesPerEU: 47
; NamedBarCnt: 0
; Occupancy: 16
; WaveLimiterHint : 1
; COMPUTE_PGM_RSRC2:SCRATCH_EN: 0
; COMPUTE_PGM_RSRC2:USER_SGPR: 2
; COMPUTE_PGM_RSRC2:TRAP_HANDLER: 0
; COMPUTE_PGM_RSRC2:TGID_X_EN: 1
; COMPUTE_PGM_RSRC2:TGID_Y_EN: 0
; COMPUTE_PGM_RSRC2:TGID_Z_EN: 1
; COMPUTE_PGM_RSRC2:TIDIG_COMP_CNT: 1
	.section	.text._ZL9moe_vec_qIfLi32ELi8E10block_q8_0Li2EXadL_ZL17vec_dot_q8_0_q8_1PKvPK10block_q8_1RKiEEEvS2_S2_PT_PS6_iiii,"axG",@progbits,_ZL9moe_vec_qIfLi32ELi8E10block_q8_0Li2EXadL_ZL17vec_dot_q8_0_q8_1PKvPK10block_q8_1RKiEEEvS2_S2_PT_PS6_iiii,comdat
	.globl	_ZL9moe_vec_qIfLi32ELi8E10block_q8_0Li2EXadL_ZL17vec_dot_q8_0_q8_1PKvPK10block_q8_1RKiEEEvS2_S2_PT_PS6_iiii ; -- Begin function _ZL9moe_vec_qIfLi32ELi8E10block_q8_0Li2EXadL_ZL17vec_dot_q8_0_q8_1PKvPK10block_q8_1RKiEEEvS2_S2_PT_PS6_iiii
	.p2align	8
	.type	_ZL9moe_vec_qIfLi32ELi8E10block_q8_0Li2EXadL_ZL17vec_dot_q8_0_q8_1PKvPK10block_q8_1RKiEEEvS2_S2_PT_PS6_iiii,@function
_ZL9moe_vec_qIfLi32ELi8E10block_q8_0Li2EXadL_ZL17vec_dot_q8_0_q8_1PKvPK10block_q8_1RKiEEEvS2_S2_PT_PS6_iiii: ; @_ZL9moe_vec_qIfLi32ELi8E10block_q8_0Li2EXadL_ZL17vec_dot_q8_0_q8_1PKvPK10block_q8_1RKiEEEvS2_S2_PT_PS6_iiii
; %bb.0:
	s_clause 0x1
	s_load_u16 s3, s[0:1], 0x3e
	s_load_b128 s[4:7], s[0:1], 0x20
	s_bfe_u32 s2, ttmp6, 0x4000c
	s_and_b32 s8, ttmp6, 15
	s_add_co_i32 s2, s2, 1
	v_bfe_u32 v1, v0, 10, 10
	s_mul_i32 s2, ttmp9, s2
	s_mov_b32 s9, 0
	s_add_co_i32 s8, s8, s2
	s_getreg_b32 s2, hwreg(HW_REG_IB_STS2, 6, 4)
	s_delay_alu instid0(SALU_CYCLE_1) | instskip(SKIP_4) | instid1(VALU_DEP_1)
	s_cmp_eq_u32 s2, 0
	s_cselect_b32 s8, ttmp9, s8
	s_wait_kmcnt 0x0
	v_mad_u32 v2, s8, s3, v1
	s_mov_b32 s3, exec_lo
	v_cmpx_gt_u32_e64 s6, v2
	s_cbranch_execz .LBB241_7
; %bb.1:
	s_load_b64 s[10:11], s[0:1], 0x10
	s_bfe_u32 s3, ttmp6, 0x40014
	s_lshr_b32 s8, ttmp7, 16
	s_add_co_i32 s3, s3, 1
	s_cvt_f32_u32 s13, s4
	s_mul_i32 s3, s8, s3
	s_bfe_u32 s12, ttmp6, 0x40008
	v_bfe_u32 v4, v0, 2, 8
	s_add_co_i32 s12, s12, s3
	v_rcp_iflag_f32_e32 v1, s13
	s_cmp_eq_u32 s2, 0
	v_and_b32_e32 v3, 0x3ff, v0
	s_cselect_b32 s8, s8, s12
	s_ashr_i32 s2, s5, 31
	v_mov_b32_e32 v5, 0
	s_lshr_b32 s2, s2, 27
	s_mov_b32 s12, exec_lo
	s_add_co_i32 s3, s5, s2
	v_readfirstlane_b32 s2, v1
	s_ashr_i32 s13, s3, 5
	s_delay_alu instid0(SALU_CYCLE_1)
	v_cmpx_gt_u32_e64 s13, v4
	s_cbranch_execz .LBB241_5
; %bb.2:
	s_load_b64 s[14:15], s[0:1], 0x18
	s_mul_f32 s5, s2, 0x4f7ffffe
	s_sub_co_i32 s16, 0, s4
	s_mov_b32 s17, s9
	s_wait_xcnt 0x0
	s_load_b128 s[0:3], s[0:1], 0x0
	s_cvt_u32_f32 s18, s5
	v_mul_lo_u32 v6, v2, s13
	s_mul_i32 s19, s13, s6
	v_dual_mov_b32 v1, 0 :: v_dual_lshlrev_b32 v0, 3, v3
	s_mul_i32 s16, s16, s18
	s_mov_b32 s5, 0
	s_delay_alu instid0(VALU_DEP_1) | instskip(SKIP_4) | instid1(SALU_CYCLE_1)
	v_dual_mov_b32 v5, v1 :: v_dual_bitop2_b32 v0, 24, v0 bitop3:0x40
	s_wait_kmcnt 0x0
	s_load_b32 s20, s[14:15], s8 offset:0x0 scale_offset
	s_wait_xcnt 0x0
	s_mul_hi_u32 s14, s18, s16
	s_add_co_i32 s16, s18, s14
	s_delay_alu instid0(SALU_CYCLE_1) | instskip(NEXT) | instid1(SALU_CYCLE_1)
	s_mul_u64 s[14:15], s[8:9], s[16:17]
	s_mul_i32 s9, s15, s4
	s_add_co_i32 s14, s15, 1
	s_sub_co_i32 s9, s8, s9
	s_delay_alu instid0(SALU_CYCLE_1)
	s_sub_co_i32 s16, s9, s4
	s_cmp_ge_u32 s9, s4
	s_cselect_b32 s15, s14, s15
	s_cselect_b32 s9, s16, s9
	s_add_co_i32 s16, s15, 1
	s_cmp_ge_u32 s9, s4
	s_cselect_b32 s4, s16, s15
	s_wait_kmcnt 0x0
	s_mul_i32 s14, s19, s20
	s_mul_i32 s4, s4, s7
	s_ashr_i32 s15, s14, 31
	s_lshl_b64 s[16:17], s[4:5], 2
	s_mul_u64 s[14:15], s[14:15], 34
	s_add_nc_u64 s[2:3], s[2:3], s[16:17]
	s_add_nc_u64 s[0:1], s[0:1], s[14:15]
.LBB241_3:                              ; =>This Inner Loop Header: Depth=1
	v_add_nc_u32_e32 v7, v6, v4
	v_mad_nc_i64_i32 v[8:9], v4, 36, s[2:3]
	v_add_nc_u32_e32 v4, 8, v4
	s_delay_alu instid0(VALU_DEP_3) | instskip(NEXT) | instid1(VALU_DEP_2)
	v_mad_nc_i64_i32 v[10:11], v7, 34, s[0:1]
	v_cmp_le_u32_e32 vcc_lo, s13, v4
	s_delay_alu instid0(VALU_DEP_4) | instskip(SKIP_1) | instid1(VALU_DEP_3)
	v_add_nc_u64_e32 v[12:13], v[8:9], v[0:1]
	s_or_b32 s5, vcc_lo, s5
	v_add_nc_u64_e32 v[14:15], v[10:11], v[0:1]
	global_load_b64 v[16:17], v[12:13], off offset:4
	s_clause 0x1
	global_load_b32 v7, v[14:15], off offset:2
	global_load_b32 v18, v[14:15], off offset:6
	global_load_b32 v19, v[8:9], off
	global_load_u16 v20, v[10:11], off
	s_wait_loadcnt 0x4
	s_wait_xcnt 0x1
	v_lshrrev_b16 v8, 8, v16
	v_bfe_i32 v9, v16, 0, 8
	s_wait_loadcnt 0x3
	s_wait_xcnt 0x0
	v_dual_ashrrev_i32 v10, 24, v16 :: v_dual_ashrrev_i32 v21, 24, v7
	v_bfe_i32 v11, v16, 16, 8
	v_bfe_i32 v12, v17, 0, 8
	;; [unrolled: 1-line block ×4, first 2 shown]
	v_ashrrev_i32_e32 v15, 24, v17
	v_lshrrev_b16 v16, 8, v7
	v_bfe_i32 v17, v7, 0, 8
	v_bfe_i32 v7, v7, 16, 8
	;; [unrolled: 1-line block ×3, first 2 shown]
	s_wait_loadcnt 0x2
	v_bfe_i32 v23, v18, 8, 8
	v_ashrrev_i32_e32 v24, 24, v18
	v_bfe_i32 v16, v16, 0, 8
	v_mul_i32_i24_e32 v7, v11, v7
	v_mul_i32_i24_e32 v10, v10, v21
	v_bfe_i32 v22, v18, 0, 8
	v_bfe_i32 v11, v18, 16, 8
	v_mul_i32_i24_e32 v13, v13, v23
	v_mul_i32_i24_e32 v15, v15, v24
	v_mad_i32_i24 v7, v9, v17, v7
	v_mad_i32_i24 v8, v8, v16, v10
	v_mul_i32_i24_e32 v9, v14, v11
	v_mad_i32_i24 v10, v12, v22, v13
	s_wait_loadcnt 0x0
	v_cvt_f32_f16_e32 v11, v20
	v_add3_u32 v7, v7, v8, v15
	v_cvt_f32_f16_e32 v8, v19
	s_delay_alu instid0(VALU_DEP_2) | instskip(NEXT) | instid1(VALU_DEP_2)
	v_add3_u32 v7, v7, v10, v9
	v_mul_f32_e32 v8, v11, v8
	s_delay_alu instid0(VALU_DEP_2) | instskip(NEXT) | instid1(VALU_DEP_1)
	v_cvt_f32_i32_e32 v7, v7
	v_fmac_f32_e32 v5, v8, v7
	s_and_not1_b32 exec_lo, exec_lo, s5
	s_cbranch_execnz .LBB241_3
; %bb.4:
	s_or_b32 exec_lo, exec_lo, s5
.LBB241_5:
	s_delay_alu instid0(SALU_CYCLE_1) | instskip(SKIP_1) | instid1(VALU_DEP_1)
	s_or_b32 exec_lo, exec_lo, s12
	v_mbcnt_lo_u32_b32 v0, -1, 0
	v_xor_b32_e32 v1, 16, v0
	v_xor_b32_e32 v4, 8, v0
	s_delay_alu instid0(VALU_DEP_2) | instskip(SKIP_1) | instid1(VALU_DEP_3)
	v_cmp_gt_i32_e32 vcc_lo, 32, v1
	v_cndmask_b32_e32 v1, v0, v1, vcc_lo
	v_cmp_gt_i32_e32 vcc_lo, 32, v4
	s_delay_alu instid0(VALU_DEP_2)
	v_dual_cndmask_b32 v4, v0, v4 :: v_dual_lshlrev_b32 v1, 2, v1
	ds_bpermute_b32 v1, v1, v5
	s_wait_dscnt 0x0
	v_dual_add_f32 v1, v5, v1 :: v_dual_lshlrev_b32 v4, 2, v4
	v_xor_b32_e32 v5, 4, v0
	ds_bpermute_b32 v4, v4, v1
	v_cmp_gt_i32_e32 vcc_lo, 32, v5
	v_cndmask_b32_e32 v5, v0, v5, vcc_lo
	s_wait_dscnt 0x0
	s_delay_alu instid0(VALU_DEP_1) | instskip(SKIP_2) | instid1(VALU_DEP_1)
	v_dual_lshlrev_b32 v5, 2, v5 :: v_dual_add_f32 v1, v1, v4
	ds_bpermute_b32 v4, v5, v1
	v_xor_b32_e32 v5, 2, v0
	v_cmp_gt_i32_e32 vcc_lo, 32, v5
	s_wait_dscnt 0x0
	v_dual_cndmask_b32 v5, v0, v5, vcc_lo :: v_dual_add_f32 v1, v1, v4
	s_delay_alu instid0(VALU_DEP_1) | instskip(SKIP_2) | instid1(VALU_DEP_1)
	v_lshlrev_b32_e32 v5, 2, v5
	ds_bpermute_b32 v4, v5, v1
	v_xor_b32_e32 v5, 1, v0
	v_cmp_gt_i32_e32 vcc_lo, 32, v5
	v_cndmask_b32_e32 v5, v0, v5, vcc_lo
	v_cmp_eq_u32_e32 vcc_lo, 0, v3
	s_wait_dscnt 0x0
	s_delay_alu instid0(VALU_DEP_2)
	v_dual_add_f32 v0, v1, v4 :: v_dual_lshlrev_b32 v1, 2, v5
	ds_bpermute_b32 v1, v1, v0
	s_and_b32 exec_lo, exec_lo, vcc_lo
	s_cbranch_execz .LBB241_7
; %bb.6:
	v_mad_u32 v2, s6, s8, v2
	s_wait_dscnt 0x0
	v_add_f32_e32 v0, v0, v1
	s_wait_kmcnt 0x0
	global_store_b32 v2, v0, s[10:11] scale_offset
.LBB241_7:
	s_endpgm
	.section	.rodata,"a",@progbits
	.p2align	6, 0x0
	.amdhsa_kernel _ZL9moe_vec_qIfLi32ELi8E10block_q8_0Li2EXadL_ZL17vec_dot_q8_0_q8_1PKvPK10block_q8_1RKiEEEvS2_S2_PT_PS6_iiii
		.amdhsa_group_segment_fixed_size 0
		.amdhsa_private_segment_fixed_size 0
		.amdhsa_kernarg_size 304
		.amdhsa_user_sgpr_count 2
		.amdhsa_user_sgpr_dispatch_ptr 0
		.amdhsa_user_sgpr_queue_ptr 0
		.amdhsa_user_sgpr_kernarg_segment_ptr 1
		.amdhsa_user_sgpr_dispatch_id 0
		.amdhsa_user_sgpr_kernarg_preload_length 0
		.amdhsa_user_sgpr_kernarg_preload_offset 0
		.amdhsa_user_sgpr_private_segment_size 0
		.amdhsa_wavefront_size32 1
		.amdhsa_uses_dynamic_stack 0
		.amdhsa_enable_private_segment 0
		.amdhsa_system_sgpr_workgroup_id_x 1
		.amdhsa_system_sgpr_workgroup_id_y 0
		.amdhsa_system_sgpr_workgroup_id_z 1
		.amdhsa_system_sgpr_workgroup_info 0
		.amdhsa_system_vgpr_workitem_id 1
		.amdhsa_next_free_vgpr 25
		.amdhsa_next_free_sgpr 21
		.amdhsa_named_barrier_count 0
		.amdhsa_reserve_vcc 1
		.amdhsa_float_round_mode_32 0
		.amdhsa_float_round_mode_16_64 0
		.amdhsa_float_denorm_mode_32 3
		.amdhsa_float_denorm_mode_16_64 3
		.amdhsa_fp16_overflow 0
		.amdhsa_memory_ordered 1
		.amdhsa_forward_progress 1
		.amdhsa_inst_pref_size 8
		.amdhsa_round_robin_scheduling 0
		.amdhsa_exception_fp_ieee_invalid_op 0
		.amdhsa_exception_fp_denorm_src 0
		.amdhsa_exception_fp_ieee_div_zero 0
		.amdhsa_exception_fp_ieee_overflow 0
		.amdhsa_exception_fp_ieee_underflow 0
		.amdhsa_exception_fp_ieee_inexact 0
		.amdhsa_exception_int_div_zero 0
	.end_amdhsa_kernel
	.section	.text._ZL9moe_vec_qIfLi32ELi8E10block_q8_0Li2EXadL_ZL17vec_dot_q8_0_q8_1PKvPK10block_q8_1RKiEEEvS2_S2_PT_PS6_iiii,"axG",@progbits,_ZL9moe_vec_qIfLi32ELi8E10block_q8_0Li2EXadL_ZL17vec_dot_q8_0_q8_1PKvPK10block_q8_1RKiEEEvS2_S2_PT_PS6_iiii,comdat
.Lfunc_end241:
	.size	_ZL9moe_vec_qIfLi32ELi8E10block_q8_0Li2EXadL_ZL17vec_dot_q8_0_q8_1PKvPK10block_q8_1RKiEEEvS2_S2_PT_PS6_iiii, .Lfunc_end241-_ZL9moe_vec_qIfLi32ELi8E10block_q8_0Li2EXadL_ZL17vec_dot_q8_0_q8_1PKvPK10block_q8_1RKiEEEvS2_S2_PT_PS6_iiii
                                        ; -- End function
	.set _ZL9moe_vec_qIfLi32ELi8E10block_q8_0Li2EXadL_ZL17vec_dot_q8_0_q8_1PKvPK10block_q8_1RKiEEEvS2_S2_PT_PS6_iiii.num_vgpr, 25
	.set _ZL9moe_vec_qIfLi32ELi8E10block_q8_0Li2EXadL_ZL17vec_dot_q8_0_q8_1PKvPK10block_q8_1RKiEEEvS2_S2_PT_PS6_iiii.num_agpr, 0
	.set _ZL9moe_vec_qIfLi32ELi8E10block_q8_0Li2EXadL_ZL17vec_dot_q8_0_q8_1PKvPK10block_q8_1RKiEEEvS2_S2_PT_PS6_iiii.numbered_sgpr, 21
	.set _ZL9moe_vec_qIfLi32ELi8E10block_q8_0Li2EXadL_ZL17vec_dot_q8_0_q8_1PKvPK10block_q8_1RKiEEEvS2_S2_PT_PS6_iiii.num_named_barrier, 0
	.set _ZL9moe_vec_qIfLi32ELi8E10block_q8_0Li2EXadL_ZL17vec_dot_q8_0_q8_1PKvPK10block_q8_1RKiEEEvS2_S2_PT_PS6_iiii.private_seg_size, 0
	.set _ZL9moe_vec_qIfLi32ELi8E10block_q8_0Li2EXadL_ZL17vec_dot_q8_0_q8_1PKvPK10block_q8_1RKiEEEvS2_S2_PT_PS6_iiii.uses_vcc, 1
	.set _ZL9moe_vec_qIfLi32ELi8E10block_q8_0Li2EXadL_ZL17vec_dot_q8_0_q8_1PKvPK10block_q8_1RKiEEEvS2_S2_PT_PS6_iiii.uses_flat_scratch, 0
	.set _ZL9moe_vec_qIfLi32ELi8E10block_q8_0Li2EXadL_ZL17vec_dot_q8_0_q8_1PKvPK10block_q8_1RKiEEEvS2_S2_PT_PS6_iiii.has_dyn_sized_stack, 0
	.set _ZL9moe_vec_qIfLi32ELi8E10block_q8_0Li2EXadL_ZL17vec_dot_q8_0_q8_1PKvPK10block_q8_1RKiEEEvS2_S2_PT_PS6_iiii.has_recursion, 0
	.set _ZL9moe_vec_qIfLi32ELi8E10block_q8_0Li2EXadL_ZL17vec_dot_q8_0_q8_1PKvPK10block_q8_1RKiEEEvS2_S2_PT_PS6_iiii.has_indirect_call, 0
	.section	.AMDGPU.csdata,"",@progbits
; Kernel info:
; codeLenInByte = 1020
; TotalNumSgprs: 23
; NumVgprs: 25
; ScratchSize: 0
; MemoryBound: 0
; FloatMode: 240
; IeeeMode: 1
; LDSByteSize: 0 bytes/workgroup (compile time only)
; SGPRBlocks: 0
; VGPRBlocks: 1
; NumSGPRsForWavesPerEU: 23
; NumVGPRsForWavesPerEU: 25
; NamedBarCnt: 0
; Occupancy: 16
; WaveLimiterHint : 1
; COMPUTE_PGM_RSRC2:SCRATCH_EN: 0
; COMPUTE_PGM_RSRC2:USER_SGPR: 2
; COMPUTE_PGM_RSRC2:TRAP_HANDLER: 0
; COMPUTE_PGM_RSRC2:TGID_X_EN: 1
; COMPUTE_PGM_RSRC2:TGID_Y_EN: 0
; COMPUTE_PGM_RSRC2:TGID_Z_EN: 1
; COMPUTE_PGM_RSRC2:TIDIG_COMP_CNT: 1
	.section	.text._ZL9moe_vec_qIfLi256ELi16E10block_q2_KLi1EXadL_ZL17vec_dot_q2_K_q8_1PKvPK10block_q8_1RKiEEEvS2_S2_PT_PS6_iiii,"axG",@progbits,_ZL9moe_vec_qIfLi256ELi16E10block_q2_KLi1EXadL_ZL17vec_dot_q2_K_q8_1PKvPK10block_q8_1RKiEEEvS2_S2_PT_PS6_iiii,comdat
	.globl	_ZL9moe_vec_qIfLi256ELi16E10block_q2_KLi1EXadL_ZL17vec_dot_q2_K_q8_1PKvPK10block_q8_1RKiEEEvS2_S2_PT_PS6_iiii ; -- Begin function _ZL9moe_vec_qIfLi256ELi16E10block_q2_KLi1EXadL_ZL17vec_dot_q2_K_q8_1PKvPK10block_q8_1RKiEEEvS2_S2_PT_PS6_iiii
	.p2align	8
	.type	_ZL9moe_vec_qIfLi256ELi16E10block_q2_KLi1EXadL_ZL17vec_dot_q2_K_q8_1PKvPK10block_q8_1RKiEEEvS2_S2_PT_PS6_iiii,@function
_ZL9moe_vec_qIfLi256ELi16E10block_q2_KLi1EXadL_ZL17vec_dot_q2_K_q8_1PKvPK10block_q8_1RKiEEEvS2_S2_PT_PS6_iiii: ; @_ZL9moe_vec_qIfLi256ELi16E10block_q2_KLi1EXadL_ZL17vec_dot_q2_K_q8_1PKvPK10block_q8_1RKiEEEvS2_S2_PT_PS6_iiii
; %bb.0:
	s_clause 0x1
	s_load_u16 s3, s[0:1], 0x3e
	s_load_b128 s[4:7], s[0:1], 0x20
	s_bfe_u32 s2, ttmp6, 0x4000c
	s_and_b32 s8, ttmp6, 15
	s_add_co_i32 s2, s2, 1
	v_bfe_u32 v1, v0, 10, 10
	s_mul_i32 s2, ttmp9, s2
	s_delay_alu instid0(SALU_CYCLE_1) | instskip(SKIP_1) | instid1(SALU_CYCLE_1)
	s_add_co_i32 s8, s8, s2
	s_getreg_b32 s2, hwreg(HW_REG_IB_STS2, 6, 4)
	s_cmp_eq_u32 s2, 0
	s_cselect_b32 s8, ttmp9, s8
	s_wait_kmcnt 0x0
	v_mad_u32 v12, s8, s3, v1
	s_mov_b32 s3, exec_lo
	s_delay_alu instid0(VALU_DEP_1)
	v_cmpx_gt_u32_e64 s6, v12
	s_cbranch_execz .LBB242_7
; %bb.1:
	s_load_b64 s[8:9], s[0:1], 0x10
	s_bfe_u32 s3, ttmp6, 0x40014
	s_lshr_b32 s10, ttmp7, 16
	s_add_co_i32 s3, s3, 1
	s_bfe_u32 s11, ttmp6, 0x40008
	s_mul_i32 s3, s10, s3
	v_bfe_u32 v14, v0, 4, 6
	s_add_co_i32 s11, s11, s3
	s_cmp_eq_u32 s2, 0
	v_and_b32_e32 v13, 0x3ff, v0
	s_cselect_b32 s10, s10, s11
	s_ashr_i32 s2, s5, 31
	v_mov_b32_e32 v16, 0
	s_lshr_b32 s2, s2, 24
	s_mov_b32 s11, exec_lo
	s_add_co_i32 s2, s5, s2
	s_delay_alu instid0(SALU_CYCLE_1) | instskip(NEXT) | instid1(SALU_CYCLE_1)
	s_ashr_i32 s12, s2, 8
	v_cmpx_gt_u32_e64 s12, v14
	s_cbranch_execz .LBB242_5
; %bb.2:
	s_load_b64 s[2:3], s[0:1], 0x18
	s_cvt_f32_u32 s5, s4
	s_mul_i32 s15, s12, s6
	v_mul_lo_u32 v15, v12, s12
	v_lshlrev_b32_e32 v17, 3, v14
	v_rcp_iflag_f32_e32 v0, s5
	v_lshrrev_b32_e32 v2, 1, v13
	s_delay_alu instid0(TRANS32_DEP_1) | instskip(SKIP_1) | instid1(VALU_DEP_1)
	v_readfirstlane_b32 s5, v0
	v_and_b32_e32 v0, 15, v13
	v_sub_co_u32 v1, vcc_lo, v0, 8
	s_wait_kmcnt 0x0
	s_load_b32 s13, s[2:3], s10 offset:0x0 scale_offset
	s_wait_xcnt 0x0
	s_mul_f32 s2, s5, 0x4f7ffffe
	s_sub_co_i32 s5, 0, s4
	v_dual_cndmask_b32 v6, v1, v0 :: v_dual_mov_b32 v1, 0
	s_delay_alu instid0(SALU_CYCLE_1) | instskip(SKIP_2) | instid1(VALU_DEP_2)
	s_cvt_u32_f32 s14, s2
	s_load_b128 s[0:3], s[0:1], 0x0
	v_and_b32_e32 v3, 4, v2
	v_dual_sub_nc_u32 v2, v0, v6 :: v_dual_lshlrev_b32 v0, 2, v0
	s_mul_i32 s16, s5, s14
	s_mov_b32 s5, 0
	s_mul_hi_u32 s16, s14, s16
	v_cmp_lt_u32_e32 vcc_lo, 3, v6
	s_add_co_i32 s14, s14, s16
	v_mov_b32_e32 v7, v1
	s_mul_hi_u32 s16, s10, s14
	v_mov_b32_e32 v16, v1
	s_mul_i32 s14, s16, s4
	s_add_co_i32 s17, s16, 1
	s_sub_co_i32 s18, s10, s14
	s_wait_kmcnt 0x0
	s_mul_i32 s14, s15, s13
	s_sub_co_i32 s13, s18, s4
	s_ashr_i32 s15, s14, 31
	s_cmp_ge_u32 s18, s4
	v_add_co_ci_u32_e64 v2, null, 0, v2, vcc_lo
	s_cselect_b32 s16, s17, s16
	s_cselect_b32 s13, s13, s18
	s_add_co_i32 s17, s16, 1
	s_cmp_ge_u32 s13, s4
	v_lshlrev_b64_e32 v[6:7], 2, v[6:7]
	s_cselect_b32 s4, s17, s16
	s_delay_alu instid0(SALU_CYCLE_1) | instskip(NEXT) | instid1(SALU_CYCLE_1)
	s_mul_i32 s4, s4, s7
	s_lshl_b64 s[16:17], s[4:5], 2
	s_delay_alu instid0(SALU_CYCLE_1) | instskip(NEXT) | instid1(SALU_CYCLE_1)
	s_add_nc_u64 s[2:3], s[2:3], s[16:17]
	v_mad_nc_u64_u32 v[4:5], v3, 36, s[2:3]
	v_ashrrev_i32_e32 v3, 31, v2
	s_mul_u64 s[2:3], s[14:15], 0x54
	s_delay_alu instid0(SALU_CYCLE_1)
	s_add_nc_u64 s[0:1], s[0:1], s[2:3]
.LBB242_3:                              ; =>This Inner Loop Header: Depth=1
	v_add_nc_u32_e32 v10, v15, v14
	s_delay_alu instid0(VALU_DEP_3)
	v_mad_nc_i64_i32 v[8:9], v17, 36, v[4:5]
	s_clause 0x2
	global_load_b32 v24, v[8:9], off
	global_load_b32 v25, v[8:9], off offset:36
	global_load_b32 v26, v[8:9], off offset:72
	v_mad_nc_i64_i32 v[10:11], 0x54, v10, s[0:1]
	v_add_nc_u64_e32 v[18:19], v[8:9], v[6:7]
	s_delay_alu instid0(VALU_DEP_2)
	v_add_nc_u64_e32 v[20:21], v[10:11], v[0:1]
	v_add_nc_u64_e32 v[22:23], v[10:11], v[2:3]
	s_clause 0x3
	global_load_b32 v27, v[18:19], off offset:4
	global_load_b32 v28, v[18:19], off offset:40
	global_load_b32 v29, v[18:19], off offset:76
	global_load_b32 v30, v[18:19], off offset:112
	s_clause 0x4
	global_load_b32 v31, v[20:21], off offset:16
	global_load_u8 v32, v[22:23], off
	global_load_u8 v33, v[22:23], off offset:2
	global_load_u8 v34, v[22:23], off offset:4
	;; [unrolled: 1-line block ×3, first 2 shown]
	global_load_b32 v36, v[8:9], off offset:108
	global_load_b32 v37, v[10:11], off offset:80
	s_wait_loadcnt 0xd
	s_wait_xcnt 0x0
	v_cvt_f32_f16_e32 v10, v24
	s_wait_loadcnt 0xc
	v_cvt_f32_f16_e32 v11, v25
	s_wait_loadcnt 0xb
	;; [unrolled: 2-line block ×3, first 2 shown]
	v_lshrrev_b16 v18, 8, v27
	s_wait_loadcnt 0x8
	v_dual_ashrrev_i32 v26, 24, v28 :: v_dual_lshlrev_b32 v38, 16, v29
	s_wait_loadcnt 0x7
	v_dual_lshlrev_b32 v39, 16, v30 :: v_dual_lshlrev_b32 v42, 8, v29
	s_wait_loadcnt 0x5
	v_lshrrev_b16 v46, 4, v32
	v_dual_lshlrev_b32 v22, 8, v28 :: v_dual_lshlrev_b32 v23, 16, v28
	v_bfe_i32 v21, v27, 0, 8
	s_wait_loadcnt 0x1
	v_cvt_f32_f16_e32 v9, v36
	v_and_b32_e32 v46, 0xffff, v46
	v_bfe_i32 v36, v29, 0, 8
	v_bfe_i32 v41, v29, 8, 8
	;; [unrolled: 1-line block ×3, first 2 shown]
	v_dual_ashrrev_i32 v29, 24, v29 :: v_dual_bitop2_b32 v48, 3, v31 bitop3:0x40
	v_mul_lo_u32 v46, 0x1010101, v46
	v_and_b32_e32 v55, 15, v33
	v_lshrrev_b16 v33, 4, v33
	v_perm_b32 v38, v42, v38, 0xc0c0703
	v_and_b32_e32 v42, 15, v35
	v_lshrrev_b16 v35, 4, v35
	v_ashrrev_i32_e32 v19, 24, v27
	v_and_b32_e32 v33, 0xffff, v33
	v_bfe_i32 v20, v27, 16, 8
	v_bfe_i32 v24, v28, 8, 8
	;; [unrolled: 1-line block ×6, first 2 shown]
	v_lshlrev_b32_e32 v43, 8, v30
	v_bfe_i32 v44, v30, 16, 8
	v_ashrrev_i32_e32 v30, 24, v30
	v_bfe_u32 v47, v31, 2, 2
	v_bfe_u32 v49, v31, 10, 2
	;; [unrolled: 1-line block ×7, first 2 shown]
	v_dual_lshrrev_b32 v59, 30, v31 :: v_dual_bitop2_b32 v32, 15, v32 bitop3:0x40
	v_perm_b32 v22, v22, v23, 0xc0c0703
	v_bfe_u32 v23, v31, 6, 2
	v_bfe_u32 v56, v31, 4, 2
	;; [unrolled: 1-line block ×7, first 2 shown]
	v_bfe_i32 v18, v18, 0, 8
	v_mul_i32_i24_e32 v48, v21, v48
	v_and_b32_e32 v35, 0xffff, v35
	v_mul_lo_u32 v33, 0x1010101, v33
	v_mul_i32_i24_e32 v47, v25, v47
	v_mul_i32_i24_e32 v27, v27, v53
	v_mul_i32_i24_e32 v31, v45, v31
	v_mul_i32_i24_e32 v45, v29, v60
	v_mul_i32_i24_e32 v53, v30, v59
	v_perm_b32 v39, v43, v39, 0xc0c0703
	v_and_b32_e32 v43, 15, v34
	v_lshrrev_b16 v34, 4, v34
	v_mul_i32_i24_e32 v54, v20, v54
	v_mul_i32_i24_e32 v52, v19, v52
	v_mad_i32_i24 v48, v18, v50, v48
	v_mul_lo_u32 v35, 0x1010101, v35
	v_mul_i32_i24_e32 v51, v26, v51
	v_mul_i32_i24_e32 v41, v41, v58
	;; [unrolled: 1-line block ×4, first 2 shown]
	v_mad_i32_i24 v24, v24, v49, v47
	v_mad_i32_i24 v45, v36, v56, v45
	;; [unrolled: 1-line block ×3, first 2 shown]
	v_and_b32_e32 v32, 0xffff, v32
	v_and_b32_e32 v34, 0xffff, v34
	v_add3_u32 v47, v48, v54, v52
	v_add3_u32 v24, v24, v27, v51
	;; [unrolled: 1-line block ×4, first 2 shown]
	v_lshrrev_b32_e32 v44, 24, v33
	v_and_b32_e32 v43, 0xffff, v43
	v_mul_lo_u32 v34, 0x1010101, v34
	v_mul_lo_u32 v31, v47, v32
	v_lshrrev_b32_e32 v32, 24, v46
	v_and_b32_e32 v55, 0xffff, v55
	v_mul_lo_u32 v27, v27, v43
	v_lshrrev_b16 v40, 8, v46
	v_bfe_i32 v43, v33, 0, 8
	v_lshrrev_b32_e32 v47, 24, v35
	v_and_b32_e32 v42, 0xffff, v42
	v_mul_lo_u32 v24, v24, v55
	v_bfe_i32 v41, v46, 16, 8
	v_perm_b32 v33, v33, v33, 0xc0c0201
	v_bfe_i32 v45, v35, 0, 8
	v_mul_lo_u32 v23, v23, v42
	v_bfe_i32 v42, v46, 0, 8
	v_bfe_i32 v40, v40, 0, 8
	v_mul_i32_i24_e32 v25, v25, v43
	v_mul_i32_i24_e32 v19, v32, v19
	v_bfe_i32 v46, v34, 0, 8
	v_perm_b32 v35, v35, v35, 0xc0c0201
	v_mul_i32_i24_e32 v21, v42, v21
	v_mul_i32_i24_e32 v20, v41, v20
	v_dot4_i32_iu8 v22, v22, v33, v25 neg_lo:[1,1,0]
	v_mad_i32_i24 v18, v40, v18, v19
	v_mul_i32_i24_e32 v28, v28, v45
	v_perm_b32 v32, v34, v34, 0xc0c0201
	v_mul_i32_i24_e32 v25, v36, v46
	v_cvt_f32_i32_e32 v19, v24
	v_mad_i32_i24 v22, v26, v44, v22
	v_add3_u32 v20, v21, v20, v18
	v_cvt_f32_i32_e32 v18, v31
	v_dot4_i32_iu8 v24, v39, v35, v28 neg_lo:[1,1,0]
	v_dot4_i32_iu8 v25, v38, v32, v25 neg_lo:[1,1,0]
	v_cvt_f32_i32_e32 v21, v22
	v_cvt_f32_i32_e32 v20, v20
	v_pk_mul_f32 v[18:19], v[10:11], v[18:19]
	v_lshrrev_b32_e32 v48, 24, v34
	v_mad_i32_i24 v24, v30, v47, v24
	v_cvt_f32_i32_e32 v23, v23
	v_pk_mul_f32 v[10:11], v[10:11], v[20:21]
	v_cvt_f32_i32_e32 v22, v27
	s_delay_alu instid0(VALU_DEP_4) | instskip(SKIP_2) | instid1(VALU_DEP_4)
	v_cvt_f32_i32_e32 v21, v24
	v_mov_b32_e32 v24, v18
	v_mad_i32_i24 v25, v29, v48, v25
	v_pk_mul_f32 v[22:23], v[8:9], v[22:23]
	s_delay_alu instid0(VALU_DEP_2) | instskip(SKIP_1) | instid1(VALU_DEP_2)
	v_cvt_f32_i32_e32 v20, v25
	v_dual_mov_b32 v25, v10 :: v_dual_mov_b32 v10, v19
	v_pk_mul_f32 v[8:9], v[8:9], v[20:21]
	s_delay_alu instid0(VALU_DEP_2) | instskip(NEXT) | instid1(VALU_DEP_2)
	v_pk_add_f32 v[18:19], v[24:25], 0 op_sel_hi:[1,0]
	v_dual_mov_b32 v20, v22 :: v_dual_mov_b32 v21, v8
	s_delay_alu instid0(VALU_DEP_2) | instskip(SKIP_3) | instid1(VALU_DEP_3)
	v_pk_add_f32 v[10:11], v[18:19], v[10:11]
	s_wait_loadcnt 0x0
	v_dual_mov_b32 v8, v23 :: v_dual_lshrrev_b32 v19, 16, v37
	v_cvt_f32_f16_e32 v18, v37
	v_pk_add_f32 v[10:11], v[10:11], v[20:21]
	s_delay_alu instid0(VALU_DEP_3) | instskip(NEXT) | instid1(VALU_DEP_2)
	v_cvt_f32_f16_e32 v19, v19
	v_pk_add_f32 v[8:9], v[10:11], v[8:9]
	s_delay_alu instid0(VALU_DEP_1) | instskip(NEXT) | instid1(VALU_DEP_1)
	v_pk_mul_f32 v[8:9], v[8:9], v[18:19]
	v_dual_add_nc_u32 v14, 2, v14 :: v_dual_sub_f32 v8, v8, v9
	s_delay_alu instid0(VALU_DEP_1) | instskip(NEXT) | instid1(VALU_DEP_2)
	v_cmp_le_u32_e32 vcc_lo, s12, v14
	v_dual_add_f32 v16, v16, v8 :: v_dual_add_nc_u32 v17, 16, v17
	s_or_b32 s5, vcc_lo, s5
	s_delay_alu instid0(SALU_CYCLE_1)
	s_and_not1_b32 exec_lo, exec_lo, s5
	s_cbranch_execnz .LBB242_3
; %bb.4:
	s_or_b32 exec_lo, exec_lo, s5
.LBB242_5:
	s_delay_alu instid0(SALU_CYCLE_1) | instskip(SKIP_1) | instid1(VALU_DEP_1)
	s_or_b32 exec_lo, exec_lo, s11
	v_mbcnt_lo_u32_b32 v0, -1, 0
	v_xor_b32_e32 v2, 8, v0
	v_xor_b32_e32 v1, 16, v0
	;; [unrolled: 1-line block ×3, first 2 shown]
	s_delay_alu instid0(VALU_DEP_2) | instskip(SKIP_4) | instid1(VALU_DEP_2)
	v_cmp_gt_i32_e32 vcc_lo, 32, v1
	v_cndmask_b32_e32 v1, v0, v1, vcc_lo
	v_cmp_gt_i32_e32 vcc_lo, 32, v2
	v_cndmask_b32_e32 v2, v0, v2, vcc_lo
	v_cmp_gt_i32_e32 vcc_lo, 32, v3
	v_dual_lshlrev_b32 v2, 2, v2 :: v_dual_lshlrev_b32 v1, 2, v1
	ds_bpermute_b32 v1, v1, v16
	s_wait_dscnt 0x0
	v_add_f32_e32 v1, v16, v1
	ds_bpermute_b32 v2, v2, v1
	s_wait_dscnt 0x0
	v_dual_cndmask_b32 v3, v0, v3, vcc_lo :: v_dual_add_f32 v1, v1, v2
	s_delay_alu instid0(VALU_DEP_1) | instskip(SKIP_3) | instid1(VALU_DEP_1)
	v_lshlrev_b32_e32 v3, 2, v3
	ds_bpermute_b32 v2, v3, v1
	s_wait_dscnt 0x0
	v_dual_add_f32 v1, v1, v2 :: v_dual_bitop2_b32 v3, 2, v0 bitop3:0x14
	v_cmp_gt_i32_e32 vcc_lo, 32, v3
	v_cndmask_b32_e32 v3, v0, v3, vcc_lo
	s_delay_alu instid0(VALU_DEP_1) | instskip(SKIP_2) | instid1(VALU_DEP_1)
	v_lshlrev_b32_e32 v3, 2, v3
	ds_bpermute_b32 v2, v3, v1
	v_xor_b32_e32 v3, 1, v0
	v_cmp_gt_i32_e32 vcc_lo, 32, v3
	v_cndmask_b32_e32 v3, v0, v3, vcc_lo
	v_cmp_eq_u32_e32 vcc_lo, 0, v13
	s_wait_dscnt 0x0
	s_delay_alu instid0(VALU_DEP_2)
	v_dual_add_f32 v0, v1, v2 :: v_dual_lshlrev_b32 v1, 2, v3
	ds_bpermute_b32 v1, v1, v0
	s_and_b32 exec_lo, exec_lo, vcc_lo
	s_cbranch_execz .LBB242_7
; %bb.6:
	v_mad_u32 v2, s6, s10, v12
	s_wait_dscnt 0x0
	v_add_f32_e32 v0, v0, v1
	s_wait_kmcnt 0x0
	global_store_b32 v2, v0, s[8:9] scale_offset
.LBB242_7:
	s_endpgm
	.section	.rodata,"a",@progbits
	.p2align	6, 0x0
	.amdhsa_kernel _ZL9moe_vec_qIfLi256ELi16E10block_q2_KLi1EXadL_ZL17vec_dot_q2_K_q8_1PKvPK10block_q8_1RKiEEEvS2_S2_PT_PS6_iiii
		.amdhsa_group_segment_fixed_size 0
		.amdhsa_private_segment_fixed_size 0
		.amdhsa_kernarg_size 304
		.amdhsa_user_sgpr_count 2
		.amdhsa_user_sgpr_dispatch_ptr 0
		.amdhsa_user_sgpr_queue_ptr 0
		.amdhsa_user_sgpr_kernarg_segment_ptr 1
		.amdhsa_user_sgpr_dispatch_id 0
		.amdhsa_user_sgpr_kernarg_preload_length 0
		.amdhsa_user_sgpr_kernarg_preload_offset 0
		.amdhsa_user_sgpr_private_segment_size 0
		.amdhsa_wavefront_size32 1
		.amdhsa_uses_dynamic_stack 0
		.amdhsa_enable_private_segment 0
		.amdhsa_system_sgpr_workgroup_id_x 1
		.amdhsa_system_sgpr_workgroup_id_y 0
		.amdhsa_system_sgpr_workgroup_id_z 1
		.amdhsa_system_sgpr_workgroup_info 0
		.amdhsa_system_vgpr_workitem_id 1
		.amdhsa_next_free_vgpr 62
		.amdhsa_next_free_sgpr 19
		.amdhsa_named_barrier_count 0
		.amdhsa_reserve_vcc 1
		.amdhsa_float_round_mode_32 0
		.amdhsa_float_round_mode_16_64 0
		.amdhsa_float_denorm_mode_32 3
		.amdhsa_float_denorm_mode_16_64 3
		.amdhsa_fp16_overflow 0
		.amdhsa_memory_ordered 1
		.amdhsa_forward_progress 1
		.amdhsa_inst_pref_size 16
		.amdhsa_round_robin_scheduling 0
		.amdhsa_exception_fp_ieee_invalid_op 0
		.amdhsa_exception_fp_denorm_src 0
		.amdhsa_exception_fp_ieee_div_zero 0
		.amdhsa_exception_fp_ieee_overflow 0
		.amdhsa_exception_fp_ieee_underflow 0
		.amdhsa_exception_fp_ieee_inexact 0
		.amdhsa_exception_int_div_zero 0
	.end_amdhsa_kernel
	.section	.text._ZL9moe_vec_qIfLi256ELi16E10block_q2_KLi1EXadL_ZL17vec_dot_q2_K_q8_1PKvPK10block_q8_1RKiEEEvS2_S2_PT_PS6_iiii,"axG",@progbits,_ZL9moe_vec_qIfLi256ELi16E10block_q2_KLi1EXadL_ZL17vec_dot_q2_K_q8_1PKvPK10block_q8_1RKiEEEvS2_S2_PT_PS6_iiii,comdat
.Lfunc_end242:
	.size	_ZL9moe_vec_qIfLi256ELi16E10block_q2_KLi1EXadL_ZL17vec_dot_q2_K_q8_1PKvPK10block_q8_1RKiEEEvS2_S2_PT_PS6_iiii, .Lfunc_end242-_ZL9moe_vec_qIfLi256ELi16E10block_q2_KLi1EXadL_ZL17vec_dot_q2_K_q8_1PKvPK10block_q8_1RKiEEEvS2_S2_PT_PS6_iiii
                                        ; -- End function
	.set _ZL9moe_vec_qIfLi256ELi16E10block_q2_KLi1EXadL_ZL17vec_dot_q2_K_q8_1PKvPK10block_q8_1RKiEEEvS2_S2_PT_PS6_iiii.num_vgpr, 62
	.set _ZL9moe_vec_qIfLi256ELi16E10block_q2_KLi1EXadL_ZL17vec_dot_q2_K_q8_1PKvPK10block_q8_1RKiEEEvS2_S2_PT_PS6_iiii.num_agpr, 0
	.set _ZL9moe_vec_qIfLi256ELi16E10block_q2_KLi1EXadL_ZL17vec_dot_q2_K_q8_1PKvPK10block_q8_1RKiEEEvS2_S2_PT_PS6_iiii.numbered_sgpr, 19
	.set _ZL9moe_vec_qIfLi256ELi16E10block_q2_KLi1EXadL_ZL17vec_dot_q2_K_q8_1PKvPK10block_q8_1RKiEEEvS2_S2_PT_PS6_iiii.num_named_barrier, 0
	.set _ZL9moe_vec_qIfLi256ELi16E10block_q2_KLi1EXadL_ZL17vec_dot_q2_K_q8_1PKvPK10block_q8_1RKiEEEvS2_S2_PT_PS6_iiii.private_seg_size, 0
	.set _ZL9moe_vec_qIfLi256ELi16E10block_q2_KLi1EXadL_ZL17vec_dot_q2_K_q8_1PKvPK10block_q8_1RKiEEEvS2_S2_PT_PS6_iiii.uses_vcc, 1
	.set _ZL9moe_vec_qIfLi256ELi16E10block_q2_KLi1EXadL_ZL17vec_dot_q2_K_q8_1PKvPK10block_q8_1RKiEEEvS2_S2_PT_PS6_iiii.uses_flat_scratch, 0
	.set _ZL9moe_vec_qIfLi256ELi16E10block_q2_KLi1EXadL_ZL17vec_dot_q2_K_q8_1PKvPK10block_q8_1RKiEEEvS2_S2_PT_PS6_iiii.has_dyn_sized_stack, 0
	.set _ZL9moe_vec_qIfLi256ELi16E10block_q2_KLi1EXadL_ZL17vec_dot_q2_K_q8_1PKvPK10block_q8_1RKiEEEvS2_S2_PT_PS6_iiii.has_recursion, 0
	.set _ZL9moe_vec_qIfLi256ELi16E10block_q2_KLi1EXadL_ZL17vec_dot_q2_K_q8_1PKvPK10block_q8_1RKiEEEvS2_S2_PT_PS6_iiii.has_indirect_call, 0
	.section	.AMDGPU.csdata,"",@progbits
; Kernel info:
; codeLenInByte = 2028
; TotalNumSgprs: 21
; NumVgprs: 62
; ScratchSize: 0
; MemoryBound: 0
; FloatMode: 240
; IeeeMode: 1
; LDSByteSize: 0 bytes/workgroup (compile time only)
; SGPRBlocks: 0
; VGPRBlocks: 3
; NumSGPRsForWavesPerEU: 21
; NumVGPRsForWavesPerEU: 62
; NamedBarCnt: 0
; Occupancy: 16
; WaveLimiterHint : 1
; COMPUTE_PGM_RSRC2:SCRATCH_EN: 0
; COMPUTE_PGM_RSRC2:USER_SGPR: 2
; COMPUTE_PGM_RSRC2:TRAP_HANDLER: 0
; COMPUTE_PGM_RSRC2:TGID_X_EN: 1
; COMPUTE_PGM_RSRC2:TGID_Y_EN: 0
; COMPUTE_PGM_RSRC2:TGID_Z_EN: 1
; COMPUTE_PGM_RSRC2:TIDIG_COMP_CNT: 1
	.section	.text._ZL9moe_vec_qIfLi256ELi16E10block_q3_KLi1EXadL_ZL17vec_dot_q3_K_q8_1PKvPK10block_q8_1RKiEEEvS2_S2_PT_PS6_iiii,"axG",@progbits,_ZL9moe_vec_qIfLi256ELi16E10block_q3_KLi1EXadL_ZL17vec_dot_q3_K_q8_1PKvPK10block_q8_1RKiEEEvS2_S2_PT_PS6_iiii,comdat
	.globl	_ZL9moe_vec_qIfLi256ELi16E10block_q3_KLi1EXadL_ZL17vec_dot_q3_K_q8_1PKvPK10block_q8_1RKiEEEvS2_S2_PT_PS6_iiii ; -- Begin function _ZL9moe_vec_qIfLi256ELi16E10block_q3_KLi1EXadL_ZL17vec_dot_q3_K_q8_1PKvPK10block_q8_1RKiEEEvS2_S2_PT_PS6_iiii
	.p2align	8
	.type	_ZL9moe_vec_qIfLi256ELi16E10block_q3_KLi1EXadL_ZL17vec_dot_q3_K_q8_1PKvPK10block_q8_1RKiEEEvS2_S2_PT_PS6_iiii,@function
_ZL9moe_vec_qIfLi256ELi16E10block_q3_KLi1EXadL_ZL17vec_dot_q3_K_q8_1PKvPK10block_q8_1RKiEEEvS2_S2_PT_PS6_iiii: ; @_ZL9moe_vec_qIfLi256ELi16E10block_q3_KLi1EXadL_ZL17vec_dot_q3_K_q8_1PKvPK10block_q8_1RKiEEEvS2_S2_PT_PS6_iiii
; %bb.0:
	s_clause 0x1
	s_load_u16 s3, s[0:1], 0x3e
	s_load_b128 s[4:7], s[0:1], 0x20
	s_bfe_u32 s2, ttmp6, 0x4000c
	s_and_b32 s8, ttmp6, 15
	s_add_co_i32 s2, s2, 1
	v_bfe_u32 v1, v0, 10, 10
	s_mul_i32 s2, ttmp9, s2
	s_delay_alu instid0(SALU_CYCLE_1) | instskip(SKIP_1) | instid1(SALU_CYCLE_1)
	s_add_co_i32 s8, s8, s2
	s_getreg_b32 s2, hwreg(HW_REG_IB_STS2, 6, 4)
	s_cmp_eq_u32 s2, 0
	s_cselect_b32 s8, ttmp9, s8
	s_wait_kmcnt 0x0
	v_mad_u32 v32, s8, s3, v1
	s_mov_b32 s3, exec_lo
	s_delay_alu instid0(VALU_DEP_1)
	v_cmpx_gt_u32_e64 s6, v32
	s_cbranch_execz .LBB243_7
; %bb.1:
	s_load_b64 s[8:9], s[0:1], 0x10
	s_bfe_u32 s3, ttmp6, 0x40014
	s_lshr_b32 s10, ttmp7, 16
	s_add_co_i32 s3, s3, 1
	s_bfe_u32 s11, ttmp6, 0x40008
	s_mul_i32 s3, s10, s3
	v_bfe_u32 v34, v0, 4, 6
	s_add_co_i32 s11, s11, s3
	s_cmp_eq_u32 s2, 0
	v_and_b32_e32 v33, 0x3ff, v0
	s_cselect_b32 s12, s10, s11
	s_ashr_i32 s2, s5, 31
	v_mov_b32_e32 v42, 0
	s_lshr_b32 s2, s2, 24
	s_mov_b32 s13, exec_lo
	s_add_co_i32 s2, s5, s2
	s_delay_alu instid0(SALU_CYCLE_1) | instskip(NEXT) | instid1(SALU_CYCLE_1)
	s_ashr_i32 s14, s2, 8
	v_cmpx_gt_u32_e64 s14, v34
	s_cbranch_execz .LBB243_5
; %bb.2:
	v_dual_lshrrev_b32 v4, 1, v33 :: v_dual_bitop2_b32 v0, 15, v33 bitop3:0x40
	s_cvt_f32_u32 s5, s4
	s_load_b64 s[10:11], s[0:1], 0x18
	s_sub_co_i32 s16, 0, s4
	s_delay_alu instid0(VALU_DEP_1)
	v_sub_co_u32 v2, vcc_lo, v0, 8
	v_rcp_iflag_f32_e32 v1, s5
	s_wait_xcnt 0x0
	s_load_b128 s[0:3], s[0:1], 0x0
	s_mul_i32 s15, s14, s6
	v_cndmask_b32_e32 v2, v2, v0, vcc_lo
	s_mov_b32 s5, 0
	v_mul_lo_u32 v35, v32, s14
	v_and_b32_e32 v36, 4, v4
	v_readfirstlane_b32 s17, v1
	v_dual_mov_b32 v1, 0 :: v_dual_sub_nc_u32 v3, v0, v2
	v_cmp_lt_u32_e32 vcc_lo, 3, v2
	v_lshlrev_b32_e32 v0, 2, v0
	s_mul_f32 s17, s17, 0x4f7ffffe
	s_delay_alu instid0(VALU_DEP_3)
	v_dual_lshlrev_b32 v46, 3, v34 :: v_dual_mov_b32 v42, v1
	v_add_co_ci_u32_e64 v11, null, 0, v3, vcc_lo
	s_wait_kmcnt 0x0
	s_load_b32 s10, s[10:11], s12 offset:0x0 scale_offset
	s_wait_xcnt 0x0
	s_cvt_u32_f32 s11, s17
	v_mov_b32_e32 v3, v1
	v_bfe_i32 v4, v11, 0, 8
	v_add_nc_u16 v12, v11, 2
	v_add_nc_u16 v16, v11, 4
	s_mul_i32 s16, s16, s11
	v_lshlrev_b64_e32 v[2:3], 2, v[2:3]
	v_lshrrev_b16 v4, 7, v4
	v_bfe_i32 v5, v12, 0, 8
	v_bfe_i32 v14, v16, 0, 8
	s_mul_hi_u32 s16, s11, s16
	s_delay_alu instid0(VALU_DEP_3) | instskip(NEXT) | instid1(VALU_DEP_3)
	v_and_b32_e32 v4, 0xff, v4
	v_lshrrev_b16 v5, 7, v5
	s_delay_alu instid0(VALU_DEP_3) | instskip(SKIP_1) | instid1(VALU_DEP_3)
	v_lshrrev_b16 v14, 7, v14
	s_add_co_i32 s11, s11, s16
	v_lshrrev_b16 v6, 5, v4
	v_lshrrev_b16 v4, 6, v4
	v_and_b32_e32 v9, 0xff, v5
	v_and_b32_e32 v14, 0xff, v14
	s_mul_hi_u32 s16, s12, s11
	s_wait_kmcnt 0x0
	s_mul_i32 s10, s15, s10
	v_add_nc_u16 v8, v11, v4
	v_lshrrev_b16 v13, 5, v9
	v_lshrrev_b16 v9, 6, v9
	;; [unrolled: 1-line block ×4, first 2 shown]
	v_bfe_i32 v10, v8, 0, 8
	v_add_nc_u16 v13, v12, v13
	v_and_b32_e32 v8, 0xfc, v8
	v_add_nc_u16 v17, v16, v17
	s_mul_i32 s11, s16, s4
	v_ashrrev_i16 v10, 2, v10
	v_bfe_i32 v15, v13, 0, 8
	v_sub_nc_u16 v8, v11, v8
	v_bfe_i32 v19, v17, 0, 8
	v_and_b32_e32 v17, 0xf8, v17
	v_bfe_i32 v10, v10, 0, 16
	s_sub_co_i32 s18, s12, s11
	v_bfe_i32 v8, v8, 0, 8
	s_add_co_i32 s17, s16, 1
	s_sub_co_i32 s15, s18, s4
	v_lshlrev_b32_e32 v38, 1, v10
	v_lshrrev_b16 v10, 3, v15
	v_add_nc_u16 v15, v12, v9
	v_and_b32_e32 v9, 0xf8, v13
	s_ashr_i32 s11, s10, 31
	s_cmp_ge_u32 s18, s4
	v_and_b32_e32 v10, 0xff, v10
	v_bfe_i32 v13, v15, 0, 8
	v_sub_nc_u16 v18, v12, v9
	v_and_b32_e32 v15, 0xfc, v15
	v_add_nc_u16 v6, v11, v6
	v_lshlrev_b32_e32 v39, 2, v10
	v_ashrrev_i16 v13, 2, v13
	v_bfe_i32 v10, v18, 0, 8
	v_add_nc_u16 v18, v11, 6
	v_sub_nc_u16 v12, v12, v15
	s_cselect_b32 s16, s17, s16
	v_bfe_i32 v13, v13, 0, 16
	s_cselect_b32 s15, s15, s18
	v_bfe_i32 v20, v18, 0, 8
	v_bfe_i32 v12, v12, 0, 8
	s_add_co_i32 s17, s16, 1
	v_lshlrev_b32_e32 v40, 1, v13
	v_lshrrev_b16 v13, 3, v19
	v_lshrrev_b16 v15, 7, v20
	v_add_nc_u16 v20, v16, v14
	v_sub_nc_u16 v14, v16, v17
	s_cmp_ge_u32 s15, s4
	v_and_b32_e32 v19, 0xff, v13
	v_and_b32_e32 v15, 0xff, v15
	v_bfe_i32 v17, v20, 0, 8
	v_bfe_i32 v14, v14, 0, 8
	v_and_b32_e32 v20, 0xfc, v20
	v_lshlrev_b32_e32 v41, 2, v19
	v_lshrrev_b16 v19, 5, v15
	v_lshrrev_b16 v21, 6, v15
	;; [unrolled: 1-line block ×3, first 2 shown]
	v_bfe_i32 v7, v6, 0, 8
	v_and_b32_e32 v6, 0xf8, v6
	v_add_nc_u16 v19, v18, v19
	v_add_nc_u16 v21, v18, v21
	v_sub_nc_u16 v16, v16, v20
	v_and_b32_e32 v17, 0xff, v17
	s_cselect_b32 s4, s17, s16
	v_bfe_i32 v20, v19, 0, 8
	v_and_b32_e32 v19, 0xf8, v19
	v_bfe_i32 v22, v21, 0, 8
	v_and_b32_e32 v21, 0xfc, v21
	s_mul_i32 s4, s4, s7
	v_lshrrev_b16 v7, 3, v7
	s_lshl_b64 s[16:17], s[4:5], 2
	v_sub_nc_u16 v6, v11, v6
	v_sub_nc_u16 v19, v18, v19
	;; [unrolled: 1-line block ×3, first 2 shown]
	v_bfe_i32 v16, v16, 0, 8
	v_lshlrev_b32_e32 v43, 1, v17
	v_lshrrev_b16 v17, 3, v20
	v_lshrrev_b16 v20, 2, v22
	s_add_nc_u64 s[2:3], s[2:3], s[16:17]
	v_and_b32_e32 v7, 0xff, v7
	v_mad_nc_u64_u32 v[4:5], v36, 36, s[2:3]
	v_bfe_i32 v6, v6, 0, 8
	v_and_b32_e32 v22, 0xff, v17
	v_bfe_i32 v18, v19, 0, 8
	v_and_b32_e32 v23, 0xff, v20
	v_bfe_i32 v20, v21, 0, 8
	v_dual_lshlrev_b32 v37, 2, v7 :: v_dual_ashrrev_i32 v7, 31, v6
	v_dual_ashrrev_i32 v9, 31, v8 :: v_dual_ashrrev_i32 v11, 31, v10
	v_dual_ashrrev_i32 v13, 31, v12 :: v_dual_ashrrev_i32 v15, 31, v14
	v_dual_ashrrev_i32 v17, 31, v16 :: v_dual_lshlrev_b32 v44, 2, v22
	v_dual_lshlrev_b32 v45, 1, v23 :: v_dual_ashrrev_i32 v19, 31, v18
	v_ashrrev_i32_e32 v21, 31, v20
	s_mul_u64 s[2:3], s[10:11], 0x6e
	s_delay_alu instid0(SALU_CYCLE_1)
	s_add_nc_u64 s[0:1], s[0:1], s[2:3]
.LBB243_3:                              ; =>This Inner Loop Header: Depth=1
	v_add_nc_u32_e32 v24, v35, v34
	v_mad_nc_i64_i32 v[22:23], v46, 36, v[4:5]
	v_add_nc_u32_e32 v46, 16, v46
	v_add_nc_u32_e32 v34, 2, v34
	s_delay_alu instid0(VALU_DEP_4) | instskip(NEXT) | instid1(VALU_DEP_2)
	v_mad_nc_i64_i32 v[24:25], 0x6e, v24, s[0:1]
	v_cmp_le_u32_e32 vcc_lo, s14, v34
	v_add_nc_u64_e32 v[30:31], v[22:23], v[2:3]
	s_or_b32 s5, vcc_lo, s5
	s_delay_alu instid0(VALU_DEP_3)
	v_add_nc_u64_e32 v[28:29], v[24:25], v[2:3]
	v_add_nc_u64_e32 v[26:27], v[24:25], v[0:1]
	v_add_nc_u64_e32 v[48:49], v[24:25], v[6:7]
	v_add_nc_u64_e32 v[50:51], v[24:25], v[8:9]
	v_add_nc_u64_e32 v[52:53], v[24:25], v[10:11]
	s_clause 0x4
	global_load_b32 v47, v[30:31], off offset:76
	global_load_b32 v54, v[30:31], off offset:4
	;; [unrolled: 1-line block ×5, first 2 shown]
	s_clause 0x5
	global_load_b32 v58, v[28:29], off
	global_load_b32 v59, v[26:27], off offset:32
	global_load_u8 v60, v[48:49], off offset:96
	global_load_u8 v61, v[50:51], off offset:104
	;; [unrolled: 1-line block ×3, first 2 shown]
	global_load_u16 v63, v[24:25], off offset:108
	s_wait_loadcnt 0x9
	s_wait_xcnt 0x4
	v_lshrrev_b16 v27, 8, v54
	s_wait_loadcnt 0x7
	v_bfe_i32 v28, v56, 0, 8
	s_wait_loadcnt 0x5
	v_ashrrev_i32_e32 v29, v36, v58
	s_wait_loadcnt 0x4
	v_bfe_u32 v31, v59, 24, 2
	v_and_b32_e32 v30, 0x3030303, v59
	s_wait_xcnt 0x3
	v_lshrrev_b32_e32 v48, 2, v59
	v_bfe_i32 v27, v27, 0, 8
	v_not_b32_e32 v49, v29
	v_ashrrev_i32_e32 v26, 24, v54
	s_wait_xcnt 0x2
	v_lshrrev_b16 v50, 8, v30
	s_delay_alu instid0(VALU_DEP_3) | instskip(NEXT) | instid1(VALU_DEP_1)
	v_lshlrev_b32_e32 v51, 2, v49
	v_and_b32_e32 v51, 0x4040404, v51
	s_wait_xcnt 0x1
	s_delay_alu instid0(VALU_DEP_1) | instskip(SKIP_1) | instid1(VALU_DEP_2)
	v_lshrrev_b32_e32 v52, 24, v51
	v_bitop3_b32 v29, v29, 0x4040404, v29 bitop3:0xc
	v_sub_nc_u16 v31, v31, v52
	v_lshrrev_b16 v52, 8, v51
	s_delay_alu instid0(VALU_DEP_2) | instskip(NEXT) | instid1(VALU_DEP_2)
	v_bfe_i32 v31, v31, 0, 16
	v_sub_nc_u16 v50, v50, v52
	v_and_b32_e32 v52, 0x3030303, v48
	v_bfe_u32 v48, v48, 24, 2
	s_delay_alu instid0(VALU_DEP_4) | instskip(SKIP_3) | instid1(VALU_DEP_3)
	v_mul_i32_i24_e32 v26, v31, v26
	v_lshlrev_b32_e32 v31, 1, v49
	v_bfe_i32 v50, v50, 0, 16
	v_lshrrev_b32_e32 v49, 1, v49
	v_and_b32_e32 v31, 0x4040404, v31
	s_delay_alu instid0(VALU_DEP_3) | instskip(SKIP_1) | instid1(VALU_DEP_4)
	v_mad_i32_i24 v50, v50, v27, v26
	v_lshrrev_b16 v26, 8, v52
	v_and_b32_e32 v49, 0x4040404, v49
	s_delay_alu instid0(VALU_DEP_4) | instskip(NEXT) | instid1(VALU_DEP_1)
	v_lshrrev_b16 v27, 8, v31
	v_sub_nc_u16 v26, v26, v27
	v_sub_nc_u16 v27, v52, v31
	v_lshrrev_b32_e32 v52, 16, v52
	s_delay_alu instid0(VALU_DEP_3) | instskip(NEXT) | instid1(VALU_DEP_3)
	v_lshlrev_b16 v26, 8, v26
	v_bfe_i32 v27, v27, 0, 8
	s_delay_alu instid0(VALU_DEP_2) | instskip(NEXT) | instid1(VALU_DEP_2)
	v_bfe_i32 v26, v26, 8, 8
	v_mul_i32_i24_e32 v27, v28, v27
	v_bfe_i32 v28, v56, 8, 8
	s_delay_alu instid0(VALU_DEP_1)
	v_mad_i32_i24 v28, v28, v26, v27
	v_add_nc_u64_e32 v[26:27], v[24:25], v[12:13]
	global_load_u8 v53, v[26:27], off offset:104
	s_wait_xcnt 0x0
	v_add_nc_u64_e32 v[26:27], v[24:25], v[14:15]
	global_load_u8 v58, v[26:27], off offset:96
	s_wait_xcnt 0x0
	;; [unrolled: 3-line block ×3, first 2 shown]
	v_add_nc_u64_e32 v[26:27], v[24:25], v[20:21]
	v_add_nc_u64_e32 v[24:25], v[24:25], v[18:19]
	s_clause 0x1
	global_load_u8 v26, v[26:27], off offset:104
	global_load_u8 v24, v[24:25], off offset:96
	s_wait_xcnt 0x0
	v_lshrrev_b32_e32 v25, 16, v30
	v_sub_nc_u16 v27, v30, v51
	v_lshrrev_b32_e32 v30, 16, v51
	v_lshlrev_b32_e32 v51, 8, v47
	s_delay_alu instid0(VALU_DEP_3) | instskip(NEXT) | instid1(VALU_DEP_3)
	v_bfe_i32 v27, v27, 0, 8
	v_sub_nc_u16 v25, v25, v30
	v_bfe_i32 v30, v54, 0, 8
	s_delay_alu instid0(VALU_DEP_2) | instskip(NEXT) | instid1(VALU_DEP_2)
	v_bfe_i32 v25, v25, 0, 8
	v_mul_i32_i24_e32 v27, v27, v30
	v_bfe_i32 v30, v54, 16, 8
	v_lshlrev_b32_e32 v54, 8, v55
	s_delay_alu instid0(VALU_DEP_2) | instskip(NEXT) | instid1(VALU_DEP_1)
	v_mul_i32_i24_e32 v25, v25, v30
	v_add3_u32 v25, v27, v25, v50
	s_clause 0x2
	global_load_b32 v27, v[22:23], off
	global_load_b32 v30, v[22:23], off offset:36
	global_load_b32 v50, v[22:23], off offset:72
	s_wait_xcnt 0x0
	v_dual_lshlrev_b32 v23, 16, v47 :: v_dual_lshlrev_b32 v22, 8, v56
	s_delay_alu instid0(VALU_DEP_1) | instskip(SKIP_1) | instid1(VALU_DEP_3)
	v_perm_b32 v23, v51, v23, 0xc0c0703
	v_lshlrev_b32_e32 v51, 16, v55
	v_perm_b32 v22, v56, v22, 0xc0c0703
	s_wait_loadcnt 0xb
	v_bfe_u32 v56, v60, v37, 4
	s_delay_alu instid0(VALU_DEP_3)
	v_perm_b32 v51, v54, v51, 0xc0c0703
	s_wait_loadcnt 0xa
	v_lshrrev_b32_e32 v54, v38, v61
	v_lshrrev_b16 v61, 8, v29
	s_wait_loadcnt 0x7
	v_lshrrev_b32_e32 v53, v40, v53
	s_delay_alu instid0(VALU_DEP_1) | instskip(SKIP_4) | instid1(VALU_DEP_1)
	v_lshlrev_b32_e32 v53, 4, v53
	s_wait_loadcnt 0x6
	v_bfe_u32 v58, v58, v41, 4
	s_wait_loadcnt 0x5
	v_dual_lshrrev_b32 v60, v43, v64 :: v_dual_lshlrev_b32 v54, 4, v54
	v_lshlrev_b32_e32 v60, 4, v60
	s_delay_alu instid0(VALU_DEP_2)
	v_and_or_b32 v54, v54, 48, v56
	v_bfe_u32 v56, v62, v39, 4
	s_wait_loadcnt 0x4
	v_lshrrev_b32_e32 v26, v45, v26
	s_wait_loadcnt 0x3
	v_bfe_u32 v24, v24, v44, 4
	v_and_or_b32 v58, v60, 48, v58
	v_lshrrev_b32_e32 v62, 16, v49
	v_and_or_b32 v53, v53, 48, v56
	v_lshrrev_b32_e32 v56, 4, v59
	v_subrev_nc_u32_e32 v54, 32, v54
	v_subrev_nc_u32_e32 v58, 32, v58
	s_delay_alu instid0(VALU_DEP_4) | instskip(NEXT) | instid1(VALU_DEP_4)
	v_subrev_nc_u32_e32 v53, 32, v53
	v_bfe_u32 v60, v56, 24, 2
	v_and_b32_e32 v56, 0x3030303, v56
	v_lshlrev_b32_e32 v26, 4, v26
	v_mul_lo_u32 v25, v54, v25
	s_delay_alu instid0(VALU_DEP_2) | instskip(SKIP_1) | instid1(VALU_DEP_2)
	v_and_or_b32 v24, v26, 48, v24
	v_lshrrev_b32_e32 v26, 24, v29
	v_subrev_nc_u32_e32 v24, 32, v24
	s_delay_alu instid0(VALU_DEP_2) | instskip(SKIP_2) | instid1(VALU_DEP_3)
	v_sub_nc_u16 v26, v60, v26
	v_lshrrev_b16 v60, 8, v56
	v_cvt_f32_i32_e32 v25, v25
	v_lshlrev_b16 v26, 8, v26
	s_delay_alu instid0(VALU_DEP_3) | instskip(SKIP_2) | instid1(VALU_DEP_4)
	v_sub_nc_u16 v60, v60, v61
	v_sub_nc_u16 v61, v56, v29
	v_dual_lshrrev_b32 v56, 16, v56 :: v_dual_lshrrev_b32 v29, 16, v29
	v_bfe_i32 v26, v26, 8, 8
	s_wait_loadcnt 0x2
	v_fma_mix_f32 v25, v27, v25, 0 op_sel_hi:[1,0,0]
	s_delay_alu instid0(VALU_DEP_3) | instskip(SKIP_1) | instid1(VALU_DEP_1)
	v_sub_nc_u16 v29, v56, v29
	v_dual_lshrrev_b32 v56, 24, v31 :: v_dual_lshrrev_b32 v31, 16, v31
	v_sub_nc_u16 v48, v48, v56
	s_delay_alu instid0(VALU_DEP_2)
	v_sub_nc_u16 v31, v52, v31
	v_lshrrev_b32_e32 v52, 6, v59
	v_lshlrev_b16 v56, 8, v60
	v_lshrrev_b16 v60, 8, v49
	v_lshrrev_b32_e32 v59, 30, v59
	v_lshlrev_b16 v48, 8, v48
	v_and_b32_e32 v52, 0x3030303, v52
	v_perm_b32 v29, v29, v56, 0xc0c0401
	s_delay_alu instid0(VALU_DEP_3) | instskip(NEXT) | instid1(VALU_DEP_3)
	v_bitop3_b16 v48, v31, v48, 0xff bitop3:0xec
	v_lshrrev_b16 v56, 8, v52
	s_delay_alu instid0(VALU_DEP_2) | instskip(NEXT) | instid1(VALU_DEP_2)
	v_perm_b32 v31, v48, v31, 0xc0c0500
	v_sub_nc_u16 v56, v56, v60
	v_lshrrev_b32_e32 v60, 16, v52
	v_sub_nc_u16 v52, v52, v49
	v_dual_lshrrev_b32 v49, 24, v49 :: v_dual_ashrrev_i32 v48, 24, v55
	v_bfe_i32 v55, v55, 0, 8
	s_delay_alu instid0(VALU_DEP_4) | instskip(NEXT) | instid1(VALU_DEP_4)
	v_sub_nc_u16 v60, v60, v62
	v_bfe_i32 v52, v52, 0, 8
	s_delay_alu instid0(VALU_DEP_4)
	v_sub_nc_u16 v49, v59, v49
	v_ashrrev_i32_e32 v59, 24, v47
	v_bfe_i32 v47, v47, 0, 8
	v_lshlrev_b16 v56, 8, v56
	v_dot4_i32_iu8 v22, v22, v31, v28 neg_lo:[1,1,0]
	v_lshlrev_b16 v49, 8, v49
	v_mul_i32_i24_e32 v26, v59, v26
	v_bfe_i32 v59, v61, 0, 8
	v_perm_b32 v28, v60, v56, 0xc0c0401
	v_mul_lo_u32 v22, v53, v22
	v_bfe_i32 v49, v49, 8, 8
	s_delay_alu instid0(VALU_DEP_4) | instskip(NEXT) | instid1(VALU_DEP_2)
	v_mad_i32_i24 v26, v47, v59, v26
	v_mul_i32_i24_e32 v47, v48, v49
	s_delay_alu instid0(VALU_DEP_2) | instskip(NEXT) | instid1(VALU_DEP_2)
	v_dot4_i32_iu8 v23, v23, v29, v26 neg_lo:[1,1,0]
	v_mad_i32_i24 v26, v55, v52, v47
	v_cvt_f32_i32_e32 v22, v22
	s_delay_alu instid0(VALU_DEP_3) | instskip(NEXT) | instid1(VALU_DEP_3)
	v_mul_lo_u32 v23, v58, v23
	v_dot4_i32_iu8 v26, v51, v28, v26 neg_lo:[1,1,0]
	s_wait_loadcnt 0x1
	s_delay_alu instid0(VALU_DEP_3) | instskip(NEXT) | instid1(VALU_DEP_2)
	v_fma_mix_f32 v22, v30, v22, v25 op_sel_hi:[1,0,0]
	v_mul_lo_u32 v24, v24, v26
	s_delay_alu instid0(VALU_DEP_4) | instskip(SKIP_1) | instid1(VALU_DEP_1)
	v_cvt_f32_i32_e32 v23, v23
	s_wait_loadcnt 0x0
	v_fma_mix_f32 v22, v50, v23, v22 op_sel_hi:[1,0,0]
	s_delay_alu instid0(VALU_DEP_3) | instskip(NEXT) | instid1(VALU_DEP_1)
	v_cvt_f32_i32_e32 v24, v24
	v_fma_mix_f32 v22, v57, v24, v22 op_sel_hi:[1,0,0]
	s_delay_alu instid0(VALU_DEP_1)
	v_fma_mix_f32 v42, v22, v63, v42 op_sel_hi:[0,1,0]
	s_and_not1_b32 exec_lo, exec_lo, s5
	s_cbranch_execnz .LBB243_3
; %bb.4:
	s_or_b32 exec_lo, exec_lo, s5
.LBB243_5:
	s_delay_alu instid0(SALU_CYCLE_1) | instskip(SKIP_1) | instid1(VALU_DEP_1)
	s_or_b32 exec_lo, exec_lo, s13
	v_mbcnt_lo_u32_b32 v0, -1, 0
	v_xor_b32_e32 v2, 8, v0
	v_xor_b32_e32 v1, 16, v0
	;; [unrolled: 1-line block ×3, first 2 shown]
	s_delay_alu instid0(VALU_DEP_2) | instskip(SKIP_4) | instid1(VALU_DEP_2)
	v_cmp_gt_i32_e32 vcc_lo, 32, v1
	v_cndmask_b32_e32 v1, v0, v1, vcc_lo
	v_cmp_gt_i32_e32 vcc_lo, 32, v2
	v_cndmask_b32_e32 v2, v0, v2, vcc_lo
	v_cmp_gt_i32_e32 vcc_lo, 32, v3
	v_dual_lshlrev_b32 v2, 2, v2 :: v_dual_lshlrev_b32 v1, 2, v1
	ds_bpermute_b32 v1, v1, v42
	s_wait_dscnt 0x0
	v_add_f32_e32 v1, v42, v1
	ds_bpermute_b32 v2, v2, v1
	s_wait_dscnt 0x0
	v_dual_cndmask_b32 v3, v0, v3, vcc_lo :: v_dual_add_f32 v1, v1, v2
	s_delay_alu instid0(VALU_DEP_1) | instskip(SKIP_3) | instid1(VALU_DEP_1)
	v_lshlrev_b32_e32 v3, 2, v3
	ds_bpermute_b32 v2, v3, v1
	s_wait_dscnt 0x0
	v_dual_add_f32 v1, v1, v2 :: v_dual_bitop2_b32 v3, 2, v0 bitop3:0x14
	v_cmp_gt_i32_e32 vcc_lo, 32, v3
	v_cndmask_b32_e32 v3, v0, v3, vcc_lo
	s_delay_alu instid0(VALU_DEP_1) | instskip(SKIP_2) | instid1(VALU_DEP_1)
	v_lshlrev_b32_e32 v3, 2, v3
	ds_bpermute_b32 v2, v3, v1
	v_xor_b32_e32 v3, 1, v0
	v_cmp_gt_i32_e32 vcc_lo, 32, v3
	v_cndmask_b32_e32 v3, v0, v3, vcc_lo
	v_cmp_eq_u32_e32 vcc_lo, 0, v33
	s_wait_dscnt 0x0
	s_delay_alu instid0(VALU_DEP_2)
	v_dual_add_f32 v0, v1, v2 :: v_dual_lshlrev_b32 v1, 2, v3
	ds_bpermute_b32 v1, v1, v0
	s_and_b32 exec_lo, exec_lo, vcc_lo
	s_cbranch_execz .LBB243_7
; %bb.6:
	v_mad_u32 v2, s6, s12, v32
	s_wait_dscnt 0x0
	v_add_f32_e32 v0, v0, v1
	s_wait_kmcnt 0x0
	global_store_b32 v2, v0, s[8:9] scale_offset
.LBB243_7:
	s_sendmsg sendmsg(MSG_DEALLOC_VGPRS)
	s_endpgm
	.section	.rodata,"a",@progbits
	.p2align	6, 0x0
	.amdhsa_kernel _ZL9moe_vec_qIfLi256ELi16E10block_q3_KLi1EXadL_ZL17vec_dot_q3_K_q8_1PKvPK10block_q8_1RKiEEEvS2_S2_PT_PS6_iiii
		.amdhsa_group_segment_fixed_size 0
		.amdhsa_private_segment_fixed_size 0
		.amdhsa_kernarg_size 304
		.amdhsa_user_sgpr_count 2
		.amdhsa_user_sgpr_dispatch_ptr 0
		.amdhsa_user_sgpr_queue_ptr 0
		.amdhsa_user_sgpr_kernarg_segment_ptr 1
		.amdhsa_user_sgpr_dispatch_id 0
		.amdhsa_user_sgpr_kernarg_preload_length 0
		.amdhsa_user_sgpr_kernarg_preload_offset 0
		.amdhsa_user_sgpr_private_segment_size 0
		.amdhsa_wavefront_size32 1
		.amdhsa_uses_dynamic_stack 0
		.amdhsa_enable_private_segment 0
		.amdhsa_system_sgpr_workgroup_id_x 1
		.amdhsa_system_sgpr_workgroup_id_y 0
		.amdhsa_system_sgpr_workgroup_id_z 1
		.amdhsa_system_sgpr_workgroup_info 0
		.amdhsa_system_vgpr_workitem_id 1
		.amdhsa_next_free_vgpr 65
		.amdhsa_next_free_sgpr 19
		.amdhsa_named_barrier_count 0
		.amdhsa_reserve_vcc 1
		.amdhsa_float_round_mode_32 0
		.amdhsa_float_round_mode_16_64 0
		.amdhsa_float_denorm_mode_32 3
		.amdhsa_float_denorm_mode_16_64 3
		.amdhsa_fp16_overflow 0
		.amdhsa_memory_ordered 1
		.amdhsa_forward_progress 1
		.amdhsa_inst_pref_size 24
		.amdhsa_round_robin_scheduling 0
		.amdhsa_exception_fp_ieee_invalid_op 0
		.amdhsa_exception_fp_denorm_src 0
		.amdhsa_exception_fp_ieee_div_zero 0
		.amdhsa_exception_fp_ieee_overflow 0
		.amdhsa_exception_fp_ieee_underflow 0
		.amdhsa_exception_fp_ieee_inexact 0
		.amdhsa_exception_int_div_zero 0
	.end_amdhsa_kernel
	.section	.text._ZL9moe_vec_qIfLi256ELi16E10block_q3_KLi1EXadL_ZL17vec_dot_q3_K_q8_1PKvPK10block_q8_1RKiEEEvS2_S2_PT_PS6_iiii,"axG",@progbits,_ZL9moe_vec_qIfLi256ELi16E10block_q3_KLi1EXadL_ZL17vec_dot_q3_K_q8_1PKvPK10block_q8_1RKiEEEvS2_S2_PT_PS6_iiii,comdat
.Lfunc_end243:
	.size	_ZL9moe_vec_qIfLi256ELi16E10block_q3_KLi1EXadL_ZL17vec_dot_q3_K_q8_1PKvPK10block_q8_1RKiEEEvS2_S2_PT_PS6_iiii, .Lfunc_end243-_ZL9moe_vec_qIfLi256ELi16E10block_q3_KLi1EXadL_ZL17vec_dot_q3_K_q8_1PKvPK10block_q8_1RKiEEEvS2_S2_PT_PS6_iiii
                                        ; -- End function
	.set _ZL9moe_vec_qIfLi256ELi16E10block_q3_KLi1EXadL_ZL17vec_dot_q3_K_q8_1PKvPK10block_q8_1RKiEEEvS2_S2_PT_PS6_iiii.num_vgpr, 65
	.set _ZL9moe_vec_qIfLi256ELi16E10block_q3_KLi1EXadL_ZL17vec_dot_q3_K_q8_1PKvPK10block_q8_1RKiEEEvS2_S2_PT_PS6_iiii.num_agpr, 0
	.set _ZL9moe_vec_qIfLi256ELi16E10block_q3_KLi1EXadL_ZL17vec_dot_q3_K_q8_1PKvPK10block_q8_1RKiEEEvS2_S2_PT_PS6_iiii.numbered_sgpr, 19
	.set _ZL9moe_vec_qIfLi256ELi16E10block_q3_KLi1EXadL_ZL17vec_dot_q3_K_q8_1PKvPK10block_q8_1RKiEEEvS2_S2_PT_PS6_iiii.num_named_barrier, 0
	.set _ZL9moe_vec_qIfLi256ELi16E10block_q3_KLi1EXadL_ZL17vec_dot_q3_K_q8_1PKvPK10block_q8_1RKiEEEvS2_S2_PT_PS6_iiii.private_seg_size, 0
	.set _ZL9moe_vec_qIfLi256ELi16E10block_q3_KLi1EXadL_ZL17vec_dot_q3_K_q8_1PKvPK10block_q8_1RKiEEEvS2_S2_PT_PS6_iiii.uses_vcc, 1
	.set _ZL9moe_vec_qIfLi256ELi16E10block_q3_KLi1EXadL_ZL17vec_dot_q3_K_q8_1PKvPK10block_q8_1RKiEEEvS2_S2_PT_PS6_iiii.uses_flat_scratch, 0
	.set _ZL9moe_vec_qIfLi256ELi16E10block_q3_KLi1EXadL_ZL17vec_dot_q3_K_q8_1PKvPK10block_q8_1RKiEEEvS2_S2_PT_PS6_iiii.has_dyn_sized_stack, 0
	.set _ZL9moe_vec_qIfLi256ELi16E10block_q3_KLi1EXadL_ZL17vec_dot_q3_K_q8_1PKvPK10block_q8_1RKiEEEvS2_S2_PT_PS6_iiii.has_recursion, 0
	.set _ZL9moe_vec_qIfLi256ELi16E10block_q3_KLi1EXadL_ZL17vec_dot_q3_K_q8_1PKvPK10block_q8_1RKiEEEvS2_S2_PT_PS6_iiii.has_indirect_call, 0
	.section	.AMDGPU.csdata,"",@progbits
; Kernel info:
; codeLenInByte = 3000
; TotalNumSgprs: 21
; NumVgprs: 65
; ScratchSize: 0
; MemoryBound: 0
; FloatMode: 240
; IeeeMode: 1
; LDSByteSize: 0 bytes/workgroup (compile time only)
; SGPRBlocks: 0
; VGPRBlocks: 4
; NumSGPRsForWavesPerEU: 21
; NumVGPRsForWavesPerEU: 65
; NamedBarCnt: 0
; Occupancy: 12
; WaveLimiterHint : 1
; COMPUTE_PGM_RSRC2:SCRATCH_EN: 0
; COMPUTE_PGM_RSRC2:USER_SGPR: 2
; COMPUTE_PGM_RSRC2:TRAP_HANDLER: 0
; COMPUTE_PGM_RSRC2:TGID_X_EN: 1
; COMPUTE_PGM_RSRC2:TGID_Y_EN: 0
; COMPUTE_PGM_RSRC2:TGID_Z_EN: 1
; COMPUTE_PGM_RSRC2:TIDIG_COMP_CNT: 1
	.section	.text._ZL9moe_vec_qIfLi256ELi32E10block_q4_KLi2EXadL_ZL17vec_dot_q4_K_q8_1PKvPK10block_q8_1RKiEEEvS2_S2_PT_PS6_iiii,"axG",@progbits,_ZL9moe_vec_qIfLi256ELi32E10block_q4_KLi2EXadL_ZL17vec_dot_q4_K_q8_1PKvPK10block_q8_1RKiEEEvS2_S2_PT_PS6_iiii,comdat
	.globl	_ZL9moe_vec_qIfLi256ELi32E10block_q4_KLi2EXadL_ZL17vec_dot_q4_K_q8_1PKvPK10block_q8_1RKiEEEvS2_S2_PT_PS6_iiii ; -- Begin function _ZL9moe_vec_qIfLi256ELi32E10block_q4_KLi2EXadL_ZL17vec_dot_q4_K_q8_1PKvPK10block_q8_1RKiEEEvS2_S2_PT_PS6_iiii
	.p2align	8
	.type	_ZL9moe_vec_qIfLi256ELi32E10block_q4_KLi2EXadL_ZL17vec_dot_q4_K_q8_1PKvPK10block_q8_1RKiEEEvS2_S2_PT_PS6_iiii,@function
_ZL9moe_vec_qIfLi256ELi32E10block_q4_KLi2EXadL_ZL17vec_dot_q4_K_q8_1PKvPK10block_q8_1RKiEEEvS2_S2_PT_PS6_iiii: ; @_ZL9moe_vec_qIfLi256ELi32E10block_q4_KLi2EXadL_ZL17vec_dot_q4_K_q8_1PKvPK10block_q8_1RKiEEEvS2_S2_PT_PS6_iiii
; %bb.0:
	s_clause 0x1
	s_load_u16 s3, s[0:1], 0x3e
	s_load_b128 s[4:7], s[0:1], 0x20
	s_bfe_u32 s2, ttmp6, 0x4000c
	s_and_b32 s8, ttmp6, 15
	s_add_co_i32 s2, s2, 1
	v_bfe_u32 v1, v0, 10, 10
	s_mul_i32 s2, ttmp9, s2
	s_delay_alu instid0(SALU_CYCLE_1) | instskip(SKIP_1) | instid1(SALU_CYCLE_1)
	s_add_co_i32 s8, s8, s2
	s_getreg_b32 s2, hwreg(HW_REG_IB_STS2, 6, 4)
	s_cmp_eq_u32 s2, 0
	s_cselect_b32 s8, ttmp9, s8
	s_wait_kmcnt 0x0
	v_mad_u32 v14, s8, s3, v1
	s_mov_b32 s3, exec_lo
	s_delay_alu instid0(VALU_DEP_1)
	v_cmpx_gt_u32_e64 s6, v14
	s_cbranch_execz .LBB244_11
; %bb.1:
	s_load_b64 s[8:9], s[0:1], 0x10
	s_bfe_u32 s3, ttmp6, 0x40014
	s_lshr_b32 s10, ttmp7, 16
	s_add_co_i32 s3, s3, 1
	s_bfe_u32 s11, ttmp6, 0x40008
	s_mul_i32 s3, s10, s3
	v_bfe_u32 v16, v0, 4, 6
	s_add_co_i32 s11, s11, s3
	s_cmp_eq_u32 s2, 0
	v_and_b32_e32 v15, 0x3ff, v0
	s_cselect_b32 s10, s10, s11
	s_ashr_i32 s2, s5, 31
	v_mov_b32_e32 v18, 0
	s_lshr_b32 s2, s2, 24
	s_mov_b32 s11, exec_lo
	s_add_co_i32 s2, s5, s2
	s_delay_alu instid0(SALU_CYCLE_1) | instskip(NEXT) | instid1(SALU_CYCLE_1)
	s_ashr_i32 s12, s2, 8
	v_cmpx_gt_u32_e64 s12, v16
	s_cbranch_execz .LBB244_9
; %bb.2:
	s_load_b64 s[2:3], s[0:1], 0x18
	s_cvt_f32_u32 s5, s4
	s_sub_co_i32 s16, 0, s4
	s_mul_i32 s14, s12, s6
	v_mul_lo_u32 v17, v14, s12
	v_rcp_iflag_f32_e32 v0, s5
	v_mov_b32_e32 v1, 0
	s_delay_alu instid0(VALU_DEP_1) | instskip(NEXT) | instid1(TRANS32_DEP_1)
	v_dual_mov_b32 v9, v1 :: v_dual_mov_b32 v18, v1
	v_readfirstlane_b32 s5, v0
	v_dual_mov_b32 v3, v1 :: v_dual_lshlrev_b32 v0, 1, v15
	s_mul_f32 s5, s5, 0x4f7ffffe
	s_delay_alu instid0(VALU_DEP_1)
	v_bfe_u32 v6, v0, 3, 2
	s_wait_kmcnt 0x0
	s_load_b32 s13, s[2:3], s10 offset:0x0 scale_offset
	v_and_b32_e32 v4, 30, v0
	s_cvt_u32_f32 s15, s5
	s_wait_xcnt 0x0
	s_load_b128 s[0:3], s[0:1], 0x0
	s_mov_b32 s5, 0
	v_lshlrev_b32_e32 v5, 1, v6
	s_mul_i32 s16, s16, s15
	v_cmp_lt_u32_e32 vcc_lo, 15, v4
	s_mul_hi_u32 s16, s15, s16
	v_dual_lshlrev_b32 v0, 5, v6 :: v_dual_bitop2_b32 v8, 3, v15 bitop3:0x40
	s_add_co_i32 s15, s15, s16
	v_dual_lshlrev_b32 v19, 3, v16 :: v_dual_lshlrev_b32 v6, 1, v6
	s_mul_hi_u32 s16, s10, s15
	s_delay_alu instid0(VALU_DEP_2)
	v_lshlrev_b32_e32 v2, 2, v8
	s_mul_i32 s15, s16, s4
	s_add_co_i32 s17, s16, 1
	s_sub_co_i32 s18, s10, s15
	v_dual_mov_b32 v7, v1 :: v_dual_lshlrev_b32 v8, 2, v8
	s_wait_kmcnt 0x0
	s_mul_i32 s14, s14, s13
	s_sub_co_i32 s13, s18, s4
	s_ashr_i32 s15, s14, 31
	s_cmp_ge_u32 s18, s4
	s_mul_u64 s[14:15], s[14:15], 0x90
	s_cselect_b32 s16, s17, s16
	s_cselect_b32 s13, s13, s18
	s_add_co_i32 s17, s16, 1
	s_cmp_ge_u32 s13, s4
	s_cselect_b32 s4, s17, s16
	s_delay_alu instid0(SALU_CYCLE_1) | instskip(NEXT) | instid1(SALU_CYCLE_1)
	s_mul_i32 s4, s4, s7
	s_lshl_b64 s[16:17], s[4:5], 2
	s_delay_alu instid0(SALU_CYCLE_1) | instskip(NEXT) | instid1(SALU_CYCLE_1)
	s_add_nc_u64 s[2:3], s[2:3], s[16:17]
	v_mad_nc_u64_u32 v[4:5], v5, 36, s[2:3]
	s_add_nc_u64 s[2:3], s[0:1], s[14:15]
	s_movk_i32 s1, 0xff
	s_branch .LBB244_4
.LBB244_3:                              ;   in Loop: Header=BB244_4 Depth=1
	s_or_b32 exec_lo, exec_lo, s0
	v_mad_nc_i64_i32 v[12:13], v19, 36, v[4:5]
	s_wait_loadcnt 0x0
	v_bfe_u32 v34, v20, 16, 4
	v_bfe_u32 v39, v21, 4, 4
	;; [unrolled: 1-line block ×3, first 2 shown]
	v_dual_lshrrev_b32 v38, 28, v20 :: v_dual_bitop2_b32 v33, 15, v20 bitop3:0x40
	v_and_b32_e32 v35, 0xff00ff, v22
	v_bfe_u32 v41, v20, 4, 4
	v_bfe_u32 v40, v21, 12, 4
	;; [unrolled: 1-line block ×3, first 2 shown]
	v_lshrrev_b32_e32 v37, 4, v20
	v_add_nc_u64_e32 v[24:25], v[12:13], v[8:9]
	s_clause 0x4
	global_load_b32 v23, v[24:25], off offset:4
	global_load_b32 v26, v[24:25], off offset:20
	;; [unrolled: 1-line block ×4, first 2 shown]
	global_load_b32 v29, v[12:13], off
	global_load_b32 v30, v[10:11], off
	global_load_b32 v31, v[12:13], off offset:36
	s_wait_xcnt 0x1
	v_and_b32_e32 v11, 0xf0f0f0f, v21
	s_wait_xcnt 0x0
	v_and_b32_e32 v13, 0xf0f0f0f, v20
	v_and_b32_e32 v25, 15, v21
	v_bfe_u32 v24, v20, 24, 4
	v_lshrrev_b16 v37, 8, v37
	v_lshrrev_b16 v11, 8, v11
	;; [unrolled: 1-line block ×3, first 2 shown]
	v_bfe_u32 v12, v21, 24, 4
	v_bfe_u32 v20, v20, 20, 4
	v_dual_lshrrev_b32 v35, 16, v35 :: v_dual_bitop2_b32 v37, 15, v37 bitop3:0x40
	v_and_b32_e32 v11, 0xffff, v11
	v_and_b32_e32 v13, 0xffff, v13
	v_pk_lshrrev_b16 v10, 8, v22 op_sel_hi:[0,1]
	s_delay_alu instid0(VALU_DEP_4) | instskip(SKIP_2) | instid1(VALU_DEP_4)
	v_and_b32_e32 v37, 0xffff, v37
	v_lshrrev_b32_e32 v21, 28, v21
	v_bitop3_b32 v22, v22, s1, 0xff00ff bitop3:0x80
	v_dual_add_nc_u32 v16, 2, v16 :: v_dual_lshrrev_b32 v42, 16, v10
	v_and_b32_e32 v10, 0xff, v10
	v_add_nc_u32_e32 v19, 16, v19
	s_delay_alu instid0(VALU_DEP_3)
	v_cmp_le_u32_e64 s0, s12, v16
	s_or_b32 s5, s0, s5
	s_wait_loadcnt 0x6
	v_lshrrev_b16 v43, 8, v23
	s_wait_loadcnt 0x5
	v_lshrrev_b16 v44, 8, v26
	v_dual_ashrrev_i32 v46, 24, v23 :: v_dual_ashrrev_i32 v48, 24, v26
	v_bfe_i32 v47, v23, 0, 8
	v_bfe_i32 v49, v26, 16, 8
	s_wait_loadcnt 0x3
	v_bfe_i32 v50, v28, 0, 8
	v_bfe_i32 v51, v28, 8, 8
	;; [unrolled: 1-line block ×3, first 2 shown]
	v_dual_ashrrev_i32 v28, 24, v28 :: v_dual_ashrrev_i32 v54, 24, v27
	v_bfe_i32 v43, v43, 0, 8
	v_lshrrev_b16 v45, 8, v27
	v_bfe_i32 v23, v23, 16, 8
	v_bfe_i32 v26, v26, 0, 8
	;; [unrolled: 1-line block ×5, first 2 shown]
	v_mul_i32_i24_e32 v34, v49, v34
	v_mul_i32_i24_e32 v24, v48, v24
	;; [unrolled: 1-line block ×3, first 2 shown]
	v_add_nc_u32_e32 v50, v50, v28
	v_mul_i32_i24_e32 v11, v43, v11
	v_add_nc_u32_e32 v43, v43, v47
	v_mul_i32_i24_e32 v33, v26, v33
	v_bfe_i32 v45, v45, 0, 8
	v_mul_i32_i24_e32 v20, v27, v20
	v_mul_i32_i24_e32 v38, v54, v38
	;; [unrolled: 1-line block ×3, first 2 shown]
	v_mad_i32_i24 v32, v23, v32, v34
	v_mad_i32_i24 v12, v46, v12, v24
	v_add3_u32 v23, v43, v23, v46
	v_mul_i32_i24_e32 v40, v51, v40
	v_mad_i32_i24 v25, v47, v25, v33
	v_mad_i32_i24 v20, v53, v41, v20
	;; [unrolled: 1-line block ×3, first 2 shown]
	v_add3_u32 v33, v50, v51, v52
	v_add3_u32 v11, v11, v13, v12
	;; [unrolled: 1-line block ×3, first 2 shown]
	v_mul_i32_i24_e32 v36, v52, v36
	v_mad_i32_i24 v13, v28, v21, v40
	v_add3_u32 v20, v20, v24, v39
	v_add3_u32 v21, v33, v45, v53
	;; [unrolled: 1-line block ×4, first 2 shown]
	s_delay_alu instid0(VALU_DEP_4) | instskip(NEXT) | instid1(VALU_DEP_4)
	v_add3_u32 v13, v20, v13, v36
	v_add3_u32 v20, v21, v27, v54
	s_delay_alu instid0(VALU_DEP_4) | instskip(NEXT) | instid1(VALU_DEP_4)
	v_mul_lo_u32 v11, v11, v22
	v_mul_lo_u32 v21, v12, v35
	s_delay_alu instid0(VALU_DEP_4) | instskip(NEXT) | instid1(VALU_DEP_4)
	v_mul_lo_u32 v22, v13, v10
	v_mul_lo_u32 v23, v20, v42
	s_wait_loadcnt 0x2
	v_cvt_f32_f16_e32 v10, v29
	s_wait_loadcnt 0x0
	v_cvt_f32_f16_e32 v20, v31
	v_cvt_f32_i32_e32 v12, v11
	v_cvt_f32_i32_e32 v13, v21
	v_lshrrev_b32_e32 v21, 16, v30
	v_cvt_f32_i32_e32 v22, v22
	v_cvt_f32_i32_e32 v23, v23
	s_delay_alu instid0(VALU_DEP_4) | instskip(SKIP_2) | instid1(VALU_DEP_3)
	v_pk_fma_f32 v[10:11], v[10:11], v[12:13], 0 op_sel_hi:[0,1,0]
	v_cvt_f32_f16_e32 v12, v30
	v_cvt_f32_f16_e32 v13, v21
	v_pk_fma_f32 v[10:11], v[20:21], v[22:23], v[10:11] op_sel_hi:[0,1,1]
	s_delay_alu instid0(VALU_DEP_1) | instskip(NEXT) | instid1(VALU_DEP_1)
	v_pk_mul_f32 v[10:11], v[10:11], v[12:13]
	v_sub_f32_e32 v10, v10, v11
	s_delay_alu instid0(VALU_DEP_1)
	v_add_f32_e32 v18, v18, v10
	s_and_not1_b32 exec_lo, exec_lo, s5
	s_cbranch_execz .LBB244_8
.LBB244_4:                              ; =>This Inner Loop Header: Depth=1
	v_add_nc_u32_e32 v10, v17, v16
                                        ; implicit-def: $vgpr22
	s_delay_alu instid0(VALU_DEP_1) | instskip(NEXT) | instid1(VALU_DEP_1)
	v_mad_nc_i64_i32 v[10:11], 0x90, v10, s[2:3]
	v_add_nc_u64_e32 v[12:13], v[10:11], v[0:1]
	s_delay_alu instid0(VALU_DEP_1)
	v_add_nc_u64_e32 v[12:13], v[12:13], v[2:3]
	s_clause 0x1
	global_load_b32 v21, v[12:13], off offset:16
	global_load_b32 v20, v[12:13], off offset:32
	s_wait_xcnt 0x0
	v_add_nc_u64_e32 v[12:13], v[10:11], v[6:7]
	s_and_saveexec_b32 s0, vcc_lo
	s_delay_alu instid0(SALU_CYCLE_1)
	s_xor_b32 s0, exec_lo, s0
	s_cbranch_execz .LBB244_6
; %bb.5:                                ;   in Loop: Header=BB244_4 Depth=1
	s_clause 0x2
	global_load_u16 v22, v[12:13], off
	global_load_u16 v23, v[12:13], off offset:8
	global_load_u16 v24, v[12:13], off offset:4
	s_wait_loadcnt 0x1
	s_wait_xcnt 0x0
	v_pk_lshrrev_b16 v12, 4, v23 op_sel:[1,0] op_sel_hi:[0,0]
	s_wait_loadcnt 0x0
	v_perm_b32 v13, v24, v22, 0x5040100
	s_delay_alu instid0(VALU_DEP_2) | instskip(NEXT) | instid1(VALU_DEP_2)
	v_and_b32_e32 v12, 0xf0f0f0f, v12
	v_pk_lshrrev_b16 v13, 2, v13 op_sel_hi:[0,1]
	s_delay_alu instid0(VALU_DEP_1)
	v_and_or_b32 v22, 0x30303030, v13, v12
                                        ; implicit-def: $vgpr12_vgpr13
.LBB244_6:                              ;   in Loop: Header=BB244_4 Depth=1
	s_and_not1_saveexec_b32 s0, s0
	s_cbranch_execz .LBB244_3
; %bb.7:                                ;   in Loop: Header=BB244_4 Depth=1
	s_clause 0x1
	global_load_u16 v22, v[12:13], off offset:4
	global_load_u16 v23, v[12:13], off offset:8
	s_wait_loadcnt 0x0
	v_perm_b32 v12, v23, v22, 0x5040100
	s_delay_alu instid0(VALU_DEP_1)
	v_and_b32_e32 v22, 0x3f3f3f3f, v12
	s_branch .LBB244_3
.LBB244_8:
	s_or_b32 exec_lo, exec_lo, s5
.LBB244_9:
	s_delay_alu instid0(SALU_CYCLE_1) | instskip(SKIP_1) | instid1(VALU_DEP_1)
	s_or_b32 exec_lo, exec_lo, s11
	v_mbcnt_lo_u32_b32 v0, -1, 0
	v_xor_b32_e32 v2, 8, v0
	v_xor_b32_e32 v1, 16, v0
	;; [unrolled: 1-line block ×3, first 2 shown]
	s_delay_alu instid0(VALU_DEP_2) | instskip(SKIP_4) | instid1(VALU_DEP_2)
	v_cmp_gt_i32_e32 vcc_lo, 32, v1
	v_cndmask_b32_e32 v1, v0, v1, vcc_lo
	v_cmp_gt_i32_e32 vcc_lo, 32, v2
	v_cndmask_b32_e32 v2, v0, v2, vcc_lo
	v_cmp_gt_i32_e32 vcc_lo, 32, v3
	v_dual_lshlrev_b32 v2, 2, v2 :: v_dual_lshlrev_b32 v1, 2, v1
	ds_bpermute_b32 v1, v1, v18
	s_wait_dscnt 0x0
	v_add_f32_e32 v1, v18, v1
	ds_bpermute_b32 v2, v2, v1
	s_wait_dscnt 0x0
	v_dual_cndmask_b32 v3, v0, v3, vcc_lo :: v_dual_add_f32 v1, v1, v2
	s_delay_alu instid0(VALU_DEP_1) | instskip(SKIP_3) | instid1(VALU_DEP_1)
	v_lshlrev_b32_e32 v3, 2, v3
	ds_bpermute_b32 v2, v3, v1
	s_wait_dscnt 0x0
	v_dual_add_f32 v1, v1, v2 :: v_dual_bitop2_b32 v3, 2, v0 bitop3:0x14
	v_cmp_gt_i32_e32 vcc_lo, 32, v3
	v_cndmask_b32_e32 v3, v0, v3, vcc_lo
	s_delay_alu instid0(VALU_DEP_1) | instskip(SKIP_2) | instid1(VALU_DEP_1)
	v_lshlrev_b32_e32 v3, 2, v3
	ds_bpermute_b32 v2, v3, v1
	v_xor_b32_e32 v3, 1, v0
	v_cmp_gt_i32_e32 vcc_lo, 32, v3
	v_cndmask_b32_e32 v3, v0, v3, vcc_lo
	v_cmp_eq_u32_e32 vcc_lo, 0, v15
	s_wait_dscnt 0x0
	s_delay_alu instid0(VALU_DEP_2)
	v_dual_add_f32 v0, v1, v2 :: v_dual_lshlrev_b32 v1, 2, v3
	ds_bpermute_b32 v1, v1, v0
	s_and_b32 exec_lo, exec_lo, vcc_lo
	s_cbranch_execz .LBB244_11
; %bb.10:
	v_mad_u32 v2, s6, s10, v14
	s_wait_dscnt 0x0
	v_add_f32_e32 v0, v0, v1
	s_wait_kmcnt 0x0
	global_store_b32 v2, v0, s[8:9] scale_offset
.LBB244_11:
	s_endpgm
	.section	.rodata,"a",@progbits
	.p2align	6, 0x0
	.amdhsa_kernel _ZL9moe_vec_qIfLi256ELi32E10block_q4_KLi2EXadL_ZL17vec_dot_q4_K_q8_1PKvPK10block_q8_1RKiEEEvS2_S2_PT_PS6_iiii
		.amdhsa_group_segment_fixed_size 0
		.amdhsa_private_segment_fixed_size 0
		.amdhsa_kernarg_size 304
		.amdhsa_user_sgpr_count 2
		.amdhsa_user_sgpr_dispatch_ptr 0
		.amdhsa_user_sgpr_queue_ptr 0
		.amdhsa_user_sgpr_kernarg_segment_ptr 1
		.amdhsa_user_sgpr_dispatch_id 0
		.amdhsa_user_sgpr_kernarg_preload_length 0
		.amdhsa_user_sgpr_kernarg_preload_offset 0
		.amdhsa_user_sgpr_private_segment_size 0
		.amdhsa_wavefront_size32 1
		.amdhsa_uses_dynamic_stack 0
		.amdhsa_enable_private_segment 0
		.amdhsa_system_sgpr_workgroup_id_x 1
		.amdhsa_system_sgpr_workgroup_id_y 0
		.amdhsa_system_sgpr_workgroup_id_z 1
		.amdhsa_system_sgpr_workgroup_info 0
		.amdhsa_system_vgpr_workitem_id 1
		.amdhsa_next_free_vgpr 55
		.amdhsa_next_free_sgpr 19
		.amdhsa_named_barrier_count 0
		.amdhsa_reserve_vcc 1
		.amdhsa_float_round_mode_32 0
		.amdhsa_float_round_mode_16_64 0
		.amdhsa_float_denorm_mode_32 3
		.amdhsa_float_denorm_mode_16_64 3
		.amdhsa_fp16_overflow 0
		.amdhsa_memory_ordered 1
		.amdhsa_forward_progress 1
		.amdhsa_inst_pref_size 15
		.amdhsa_round_robin_scheduling 0
		.amdhsa_exception_fp_ieee_invalid_op 0
		.amdhsa_exception_fp_denorm_src 0
		.amdhsa_exception_fp_ieee_div_zero 0
		.amdhsa_exception_fp_ieee_overflow 0
		.amdhsa_exception_fp_ieee_underflow 0
		.amdhsa_exception_fp_ieee_inexact 0
		.amdhsa_exception_int_div_zero 0
	.end_amdhsa_kernel
	.section	.text._ZL9moe_vec_qIfLi256ELi32E10block_q4_KLi2EXadL_ZL17vec_dot_q4_K_q8_1PKvPK10block_q8_1RKiEEEvS2_S2_PT_PS6_iiii,"axG",@progbits,_ZL9moe_vec_qIfLi256ELi32E10block_q4_KLi2EXadL_ZL17vec_dot_q4_K_q8_1PKvPK10block_q8_1RKiEEEvS2_S2_PT_PS6_iiii,comdat
.Lfunc_end244:
	.size	_ZL9moe_vec_qIfLi256ELi32E10block_q4_KLi2EXadL_ZL17vec_dot_q4_K_q8_1PKvPK10block_q8_1RKiEEEvS2_S2_PT_PS6_iiii, .Lfunc_end244-_ZL9moe_vec_qIfLi256ELi32E10block_q4_KLi2EXadL_ZL17vec_dot_q4_K_q8_1PKvPK10block_q8_1RKiEEEvS2_S2_PT_PS6_iiii
                                        ; -- End function
	.set _ZL9moe_vec_qIfLi256ELi32E10block_q4_KLi2EXadL_ZL17vec_dot_q4_K_q8_1PKvPK10block_q8_1RKiEEEvS2_S2_PT_PS6_iiii.num_vgpr, 55
	.set _ZL9moe_vec_qIfLi256ELi32E10block_q4_KLi2EXadL_ZL17vec_dot_q4_K_q8_1PKvPK10block_q8_1RKiEEEvS2_S2_PT_PS6_iiii.num_agpr, 0
	.set _ZL9moe_vec_qIfLi256ELi32E10block_q4_KLi2EXadL_ZL17vec_dot_q4_K_q8_1PKvPK10block_q8_1RKiEEEvS2_S2_PT_PS6_iiii.numbered_sgpr, 19
	.set _ZL9moe_vec_qIfLi256ELi32E10block_q4_KLi2EXadL_ZL17vec_dot_q4_K_q8_1PKvPK10block_q8_1RKiEEEvS2_S2_PT_PS6_iiii.num_named_barrier, 0
	.set _ZL9moe_vec_qIfLi256ELi32E10block_q4_KLi2EXadL_ZL17vec_dot_q4_K_q8_1PKvPK10block_q8_1RKiEEEvS2_S2_PT_PS6_iiii.private_seg_size, 0
	.set _ZL9moe_vec_qIfLi256ELi32E10block_q4_KLi2EXadL_ZL17vec_dot_q4_K_q8_1PKvPK10block_q8_1RKiEEEvS2_S2_PT_PS6_iiii.uses_vcc, 1
	.set _ZL9moe_vec_qIfLi256ELi32E10block_q4_KLi2EXadL_ZL17vec_dot_q4_K_q8_1PKvPK10block_q8_1RKiEEEvS2_S2_PT_PS6_iiii.uses_flat_scratch, 0
	.set _ZL9moe_vec_qIfLi256ELi32E10block_q4_KLi2EXadL_ZL17vec_dot_q4_K_q8_1PKvPK10block_q8_1RKiEEEvS2_S2_PT_PS6_iiii.has_dyn_sized_stack, 0
	.set _ZL9moe_vec_qIfLi256ELi32E10block_q4_KLi2EXadL_ZL17vec_dot_q4_K_q8_1PKvPK10block_q8_1RKiEEEvS2_S2_PT_PS6_iiii.has_recursion, 0
	.set _ZL9moe_vec_qIfLi256ELi32E10block_q4_KLi2EXadL_ZL17vec_dot_q4_K_q8_1PKvPK10block_q8_1RKiEEEvS2_S2_PT_PS6_iiii.has_indirect_call, 0
	.section	.AMDGPU.csdata,"",@progbits
; Kernel info:
; codeLenInByte = 1824
; TotalNumSgprs: 21
; NumVgprs: 55
; ScratchSize: 0
; MemoryBound: 0
; FloatMode: 240
; IeeeMode: 1
; LDSByteSize: 0 bytes/workgroup (compile time only)
; SGPRBlocks: 0
; VGPRBlocks: 3
; NumSGPRsForWavesPerEU: 21
; NumVGPRsForWavesPerEU: 55
; NamedBarCnt: 0
; Occupancy: 16
; WaveLimiterHint : 1
; COMPUTE_PGM_RSRC2:SCRATCH_EN: 0
; COMPUTE_PGM_RSRC2:USER_SGPR: 2
; COMPUTE_PGM_RSRC2:TRAP_HANDLER: 0
; COMPUTE_PGM_RSRC2:TGID_X_EN: 1
; COMPUTE_PGM_RSRC2:TGID_Y_EN: 0
; COMPUTE_PGM_RSRC2:TGID_Z_EN: 1
; COMPUTE_PGM_RSRC2:TIDIG_COMP_CNT: 1
	.section	.text._ZL9moe_vec_qIfLi256ELi32E10block_q5_KLi2EXadL_ZL17vec_dot_q5_K_q8_1PKvPK10block_q8_1RKiEEEvS2_S2_PT_PS6_iiii,"axG",@progbits,_ZL9moe_vec_qIfLi256ELi32E10block_q5_KLi2EXadL_ZL17vec_dot_q5_K_q8_1PKvPK10block_q8_1RKiEEEvS2_S2_PT_PS6_iiii,comdat
	.globl	_ZL9moe_vec_qIfLi256ELi32E10block_q5_KLi2EXadL_ZL17vec_dot_q5_K_q8_1PKvPK10block_q8_1RKiEEEvS2_S2_PT_PS6_iiii ; -- Begin function _ZL9moe_vec_qIfLi256ELi32E10block_q5_KLi2EXadL_ZL17vec_dot_q5_K_q8_1PKvPK10block_q8_1RKiEEEvS2_S2_PT_PS6_iiii
	.p2align	8
	.type	_ZL9moe_vec_qIfLi256ELi32E10block_q5_KLi2EXadL_ZL17vec_dot_q5_K_q8_1PKvPK10block_q8_1RKiEEEvS2_S2_PT_PS6_iiii,@function
_ZL9moe_vec_qIfLi256ELi32E10block_q5_KLi2EXadL_ZL17vec_dot_q5_K_q8_1PKvPK10block_q8_1RKiEEEvS2_S2_PT_PS6_iiii: ; @_ZL9moe_vec_qIfLi256ELi32E10block_q5_KLi2EXadL_ZL17vec_dot_q5_K_q8_1PKvPK10block_q8_1RKiEEEvS2_S2_PT_PS6_iiii
; %bb.0:
	s_clause 0x1
	s_load_u16 s3, s[0:1], 0x3e
	s_load_b128 s[4:7], s[0:1], 0x20
	s_bfe_u32 s2, ttmp6, 0x4000c
	s_and_b32 s8, ttmp6, 15
	s_add_co_i32 s2, s2, 1
	v_bfe_u32 v1, v0, 10, 10
	s_mul_i32 s2, ttmp9, s2
	s_delay_alu instid0(SALU_CYCLE_1) | instskip(SKIP_1) | instid1(SALU_CYCLE_1)
	s_add_co_i32 s8, s8, s2
	s_getreg_b32 s2, hwreg(HW_REG_IB_STS2, 6, 4)
	s_cmp_eq_u32 s2, 0
	s_cselect_b32 s8, ttmp9, s8
	s_wait_kmcnt 0x0
	v_mad_u32 v14, s8, s3, v1
	s_mov_b32 s3, exec_lo
	s_delay_alu instid0(VALU_DEP_1)
	v_cmpx_gt_u32_e64 s6, v14
	s_cbranch_execz .LBB245_11
; %bb.1:
	s_load_b64 s[8:9], s[0:1], 0x10
	s_bfe_u32 s3, ttmp6, 0x40014
	s_lshr_b32 s10, ttmp7, 16
	s_add_co_i32 s3, s3, 1
	s_bfe_u32 s11, ttmp6, 0x40008
	s_mul_i32 s3, s10, s3
	v_bfe_u32 v16, v0, 4, 6
	s_add_co_i32 s11, s11, s3
	s_cmp_eq_u32 s2, 0
	v_and_b32_e32 v15, 0x3ff, v0
	s_cselect_b32 s10, s10, s11
	s_ashr_i32 s2, s5, 31
	v_mov_b32_e32 v18, 0
	s_lshr_b32 s2, s2, 24
	s_mov_b32 s11, exec_lo
	s_add_co_i32 s2, s5, s2
	s_delay_alu instid0(SALU_CYCLE_1) | instskip(NEXT) | instid1(SALU_CYCLE_1)
	s_ashr_i32 s12, s2, 8
	v_cmpx_gt_u32_e64 s12, v16
	s_cbranch_execz .LBB245_9
; %bb.2:
	s_load_b64 s[2:3], s[0:1], 0x18
	s_cvt_f32_u32 s5, s4
	s_sub_co_i32 s16, 0, s4
	s_mul_i32 s14, s12, s6
	v_mul_lo_u32 v17, v14, s12
	v_rcp_iflag_f32_e32 v0, s5
	v_mov_b32_e32 v1, 0
	s_delay_alu instid0(VALU_DEP_1) | instskip(NEXT) | instid1(TRANS32_DEP_1)
	v_dual_mov_b32 v9, v1 :: v_dual_mov_b32 v18, v1
	v_readfirstlane_b32 s5, v0
	v_dual_mov_b32 v3, v1 :: v_dual_lshlrev_b32 v0, 1, v15
	s_mul_f32 s5, s5, 0x4f7ffffe
	s_delay_alu instid0(VALU_DEP_1)
	v_bfe_u32 v6, v0, 3, 2
	s_wait_kmcnt 0x0
	s_load_b32 s13, s[2:3], s10 offset:0x0 scale_offset
	v_and_b32_e32 v4, 30, v0
	s_cvt_u32_f32 s15, s5
	s_wait_xcnt 0x0
	s_load_b128 s[0:3], s[0:1], 0x0
	s_mov_b32 s5, 0
	v_lshlrev_b32_e32 v19, 1, v6
	s_mul_i32 s16, s16, s15
	v_cmp_lt_u32_e32 vcc_lo, 15, v4
	s_mul_hi_u32 s16, s15, s16
	v_dual_lshlrev_b32 v0, 5, v6 :: v_dual_bitop2_b32 v8, 3, v15 bitop3:0x40
	s_add_co_i32 s15, s15, s16
	v_dual_lshlrev_b32 v20, 3, v16 :: v_dual_lshlrev_b32 v6, 1, v6
	s_mul_hi_u32 s16, s10, s15
	s_delay_alu instid0(VALU_DEP_2)
	v_lshlrev_b32_e32 v2, 2, v8
	s_mul_i32 s15, s16, s4
	s_add_co_i32 s17, s16, 1
	s_sub_co_i32 s18, s10, s15
	v_dual_mov_b32 v7, v1 :: v_dual_lshlrev_b32 v8, 2, v8
	s_wait_kmcnt 0x0
	s_mul_i32 s14, s14, s13
	s_sub_co_i32 s13, s18, s4
	s_ashr_i32 s15, s14, 31
	s_cmp_ge_u32 s18, s4
	s_mul_u64 s[14:15], s[14:15], 0xb0
	s_cselect_b32 s16, s17, s16
	s_cselect_b32 s13, s13, s18
	s_add_co_i32 s17, s16, 1
	s_cmp_ge_u32 s13, s4
	s_cselect_b32 s4, s17, s16
	s_delay_alu instid0(SALU_CYCLE_1) | instskip(NEXT) | instid1(SALU_CYCLE_1)
	s_mul_i32 s4, s4, s7
	s_lshl_b64 s[16:17], s[4:5], 2
	s_delay_alu instid0(SALU_CYCLE_1) | instskip(NEXT) | instid1(SALU_CYCLE_1)
	s_add_nc_u64 s[2:3], s[2:3], s[16:17]
	v_mad_nc_u64_u32 v[4:5], v19, 36, s[2:3]
	s_add_nc_u64 s[2:3], s[0:1], s[14:15]
	s_movk_i32 s1, 0xff
	s_branch .LBB245_4
.LBB245_3:                              ;   in Loop: Header=BB245_4 Depth=1
	s_or_b32 exec_lo, exec_lo, s0
	v_mad_nc_i64_i32 v[12:13], v20, 36, v[4:5]
	v_add_nc_u32_e32 v16, 2, v16
	v_add_nc_u32_e32 v20, 16, v20
	s_delay_alu instid0(VALU_DEP_2) | instskip(NEXT) | instid1(VALU_DEP_4)
	v_cmp_le_u32_e64 s0, s12, v16
	v_add_nc_u64_e32 v[26:27], v[12:13], v[8:9]
	s_clause 0x4
	global_load_b32 v28, v[26:27], off offset:4
	global_load_b32 v29, v[26:27], off offset:20
	;; [unrolled: 1-line block ×4, first 2 shown]
	global_load_b32 v32, v[12:13], off
	global_load_b32 v33, v[10:11], off
	global_load_b32 v34, v[12:13], off offset:36
	s_wait_loadcnt 0x7
	s_wait_xcnt 0x0
	v_dual_ashrrev_i32 v11, v19, v25 :: v_dual_ashrrev_i32 v12, v19, v24
	v_and_b32_e32 v13, 0xf0f0f0f, v23
	v_and_b32_e32 v24, 0xf0f0f0f, v22
	v_dual_lshrrev_b32 v23, 4, v23 :: v_dual_lshrrev_b32 v22, 4, v22
	s_delay_alu instid0(VALU_DEP_4) | instskip(SKIP_1) | instid1(VALU_DEP_3)
	v_dual_lshlrev_b32 v26, 4, v12 :: v_dual_lshlrev_b32 v27, 4, v11
	v_dual_lshlrev_b32 v12, 3, v12 :: v_dual_lshlrev_b32 v11, 3, v11
	v_and_b32_e32 v22, 0xf0f0f0f, v22
	s_delay_alu instid0(VALU_DEP_4) | instskip(NEXT) | instid1(VALU_DEP_4)
	v_and_b32_e32 v23, 0xf0f0f0f, v23
	v_and_b32_e32 v27, 0x10101010, v27
	;; [unrolled: 1-line block ×5, first 2 shown]
	v_pk_lshrrev_b16 v10, 8, v21 op_sel_hi:[0,1]
	v_or_b32_e32 v37, v27, v24
	v_bitop3_b32 v24, v27, 31, v24 bitop3:0xc8
	v_or_b32_e32 v27, v11, v22
	v_or_b32_e32 v36, v26, v13
	v_bitop3_b32 v13, v26, 31, v13 bitop3:0xc8
	v_or_b32_e32 v26, v12, v23
	v_bitop3_b32 v11, v11, 31, v22 bitop3:0xc8
	v_dual_lshrrev_b32 v42, 24, v27 :: v_dual_lshrrev_b32 v38, 24, v37
	v_lshrrev_b16 v39, 8, v37
	v_bfe_u32 v37, v37, 16, 5
	v_bitop3_b32 v12, v12, 31, v23 bitop3:0xc8
	v_dual_lshrrev_b32 v40, 24, v26 :: v_dual_lshrrev_b32 v22, 24, v36
	v_lshrrev_b16 v23, 8, v36
	v_bfe_u32 v36, v36, 16, 5
	v_lshrrev_b16 v41, 8, v26
	v_lshrrev_b16 v43, 8, v27
	v_bfe_u32 v27, v27, 16, 5
	v_and_b32_e32 v39, 0xffff, v39
	v_and_b32_e32 v23, 0xffff, v23
	v_bfe_u32 v26, v26, 16, 5
	v_and_b32_e32 v43, 0xffff, v43
	v_and_b32_e32 v41, 0xffff, v41
	v_and_b32_e32 v25, 0xff00ff, v21
	v_bitop3_b32 v21, v21, s1, 0xff00ff bitop3:0x80
	v_lshrrev_b32_e32 v35, 16, v10
	v_and_b32_e32 v10, 0xff, v10
	s_or_b32 s5, s0, s5
	v_lshrrev_b32_e32 v25, 16, v25
	s_wait_loadcnt 0x6
	v_lshrrev_b16 v44, 8, v28
	s_wait_loadcnt 0x5
	v_bfe_i32 v48, v29, 16, 8
	v_lshrrev_b16 v45, 8, v29
	s_wait_loadcnt 0x4
	v_lshrrev_b16 v46, 8, v30
	v_dual_ashrrev_i32 v47, 24, v29 :: v_dual_ashrrev_i32 v49, 24, v28
	v_bfe_i32 v29, v29, 0, 8
	v_bfe_i32 v50, v28, 0, 8
	;; [unrolled: 1-line block ×3, first 2 shown]
	v_mul_i32_i24_e32 v37, v48, v37
	v_bfe_i32 v44, v44, 0, 8
	s_wait_loadcnt 0x3
	v_dual_ashrrev_i32 v51, 24, v31 :: v_dual_ashrrev_i32 v54, 24, v30
	v_bfe_i32 v52, v31, 16, 8
	v_bfe_i32 v55, v30, 0, 8
	;; [unrolled: 1-line block ×3, first 2 shown]
	v_mul_i32_i24_e32 v24, v29, v24
	v_mul_i32_i24_e32 v38, v47, v38
	v_bfe_i32 v46, v46, 0, 8
	v_mad_i32_i24 v36, v28, v36, v37
	v_add_nc_u32_e32 v37, v50, v44
	v_bfe_i32 v53, v31, 8, 8
	v_bfe_i32 v31, v31, 0, 8
	;; [unrolled: 1-line block ×3, first 2 shown]
	v_mul_i32_i24_e32 v27, v52, v27
	v_mul_i32_i24_e32 v42, v51, v42
	;; [unrolled: 1-line block ×4, first 2 shown]
	v_mad_i32_i24 v13, v50, v13, v24
	v_mad_i32_i24 v22, v49, v22, v38
	v_add_nc_u32_e32 v24, v55, v46
	v_add3_u32 v28, v37, v28, v49
	v_mul_i32_i24_e32 v11, v31, v11
	v_mul_i32_i24_e32 v43, v53, v43
	;; [unrolled: 1-line block ×3, first 2 shown]
	v_mad_i32_i24 v26, v30, v26, v27
	v_mad_i32_i24 v27, v54, v40, v42
	v_add3_u32 v24, v24, v30, v54
	v_add3_u32 v22, v23, v39, v22
	v_add3_u32 v23, v28, v29, v45
	v_mad_i32_i24 v11, v55, v12, v11
	v_add3_u32 v12, v38, v43, v27
	v_add3_u32 v24, v24, v51, v31
	;; [unrolled: 1-line block ×4, first 2 shown]
	s_delay_alu instid0(VALU_DEP_4) | instskip(NEXT) | instid1(VALU_DEP_4)
	v_add3_u32 v11, v11, v26, v12
	v_add3_u32 v12, v24, v53, v52
	s_delay_alu instid0(VALU_DEP_4) | instskip(NEXT) | instid1(VALU_DEP_4)
	v_mul_lo_u32 v13, v13, v21
	v_mul_lo_u32 v21, v22, v25
	s_wait_loadcnt 0x0
	v_cvt_f32_f16_e32 v22, v34
	v_mul_lo_u32 v11, v11, v10
	v_mul_lo_u32 v23, v12, v35
	v_cvt_f32_f16_e32 v10, v32
	v_cvt_f32_i32_e32 v12, v13
	v_cvt_f32_i32_e32 v13, v21
	v_lshrrev_b32_e32 v21, 16, v33
	v_cvt_f32_i32_e32 v24, v11
	v_cvt_f32_i32_e32 v25, v23
	s_delay_alu instid0(VALU_DEP_4) | instskip(SKIP_2) | instid1(VALU_DEP_3)
	v_pk_fma_f32 v[10:11], v[10:11], v[12:13], 0 op_sel_hi:[0,1,0]
	v_cvt_f32_f16_e32 v12, v33
	v_cvt_f32_f16_e32 v13, v21
	v_pk_fma_f32 v[10:11], v[22:23], v[24:25], v[10:11] op_sel_hi:[0,1,1]
	s_delay_alu instid0(VALU_DEP_1) | instskip(NEXT) | instid1(VALU_DEP_1)
	v_pk_mul_f32 v[10:11], v[10:11], v[12:13]
	v_sub_f32_e32 v10, v10, v11
	s_delay_alu instid0(VALU_DEP_1)
	v_add_f32_e32 v18, v18, v10
	s_and_not1_b32 exec_lo, exec_lo, s5
	s_cbranch_execz .LBB245_8
.LBB245_4:                              ; =>This Inner Loop Header: Depth=1
	v_add_nc_u32_e32 v10, v17, v16
                                        ; implicit-def: $vgpr21
	s_delay_alu instid0(VALU_DEP_1) | instskip(NEXT) | instid1(VALU_DEP_1)
	v_mad_nc_i64_i32 v[10:11], 0xb0, v10, s[2:3]
	v_add_nc_u64_e32 v[12:13], v[10:11], v[0:1]
	v_add_nc_u64_e32 v[26:27], v[10:11], v[2:3]
	s_delay_alu instid0(VALU_DEP_2)
	v_add_nc_u64_e32 v[12:13], v[12:13], v[2:3]
	s_clause 0x3
	global_load_b32 v23, v[12:13], off offset:48
	global_load_b32 v22, v[12:13], off offset:64
	;; [unrolled: 1-line block ×4, first 2 shown]
	s_wait_xcnt 0x2
	v_add_nc_u64_e32 v[12:13], v[10:11], v[6:7]
	s_wait_xcnt 0x0
	s_and_saveexec_b32 s0, vcc_lo
	s_delay_alu instid0(SALU_CYCLE_1)
	s_xor_b32 s0, exec_lo, s0
	s_cbranch_execz .LBB245_6
; %bb.5:                                ;   in Loop: Header=BB245_4 Depth=1
	s_clause 0x2
	global_load_u16 v21, v[12:13], off
	global_load_u16 v26, v[12:13], off offset:8
	global_load_u16 v27, v[12:13], off offset:4
	s_wait_loadcnt 0x1
	s_wait_xcnt 0x0
	v_pk_lshrrev_b16 v12, 4, v26 op_sel:[1,0] op_sel_hi:[0,0]
	s_wait_loadcnt 0x0
	v_perm_b32 v13, v27, v21, 0x5040100
	s_delay_alu instid0(VALU_DEP_2) | instskip(NEXT) | instid1(VALU_DEP_2)
	v_and_b32_e32 v12, 0xf0f0f0f, v12
	v_pk_lshrrev_b16 v13, 2, v13 op_sel_hi:[0,1]
	s_delay_alu instid0(VALU_DEP_1)
	v_and_or_b32 v21, 0x30303030, v13, v12
                                        ; implicit-def: $vgpr12_vgpr13
.LBB245_6:                              ;   in Loop: Header=BB245_4 Depth=1
	s_and_not1_saveexec_b32 s0, s0
	s_cbranch_execz .LBB245_3
; %bb.7:                                ;   in Loop: Header=BB245_4 Depth=1
	s_clause 0x1
	global_load_u16 v21, v[12:13], off offset:4
	global_load_u16 v26, v[12:13], off offset:8
	s_wait_loadcnt 0x0
	v_perm_b32 v12, v26, v21, 0x5040100
	s_delay_alu instid0(VALU_DEP_1)
	v_and_b32_e32 v21, 0x3f3f3f3f, v12
	s_branch .LBB245_3
.LBB245_8:
	s_or_b32 exec_lo, exec_lo, s5
.LBB245_9:
	s_delay_alu instid0(SALU_CYCLE_1) | instskip(SKIP_1) | instid1(VALU_DEP_1)
	s_or_b32 exec_lo, exec_lo, s11
	v_mbcnt_lo_u32_b32 v0, -1, 0
	v_xor_b32_e32 v2, 8, v0
	v_xor_b32_e32 v1, 16, v0
	;; [unrolled: 1-line block ×3, first 2 shown]
	s_delay_alu instid0(VALU_DEP_2) | instskip(SKIP_4) | instid1(VALU_DEP_2)
	v_cmp_gt_i32_e32 vcc_lo, 32, v1
	v_cndmask_b32_e32 v1, v0, v1, vcc_lo
	v_cmp_gt_i32_e32 vcc_lo, 32, v2
	v_cndmask_b32_e32 v2, v0, v2, vcc_lo
	v_cmp_gt_i32_e32 vcc_lo, 32, v3
	v_dual_lshlrev_b32 v2, 2, v2 :: v_dual_lshlrev_b32 v1, 2, v1
	ds_bpermute_b32 v1, v1, v18
	s_wait_dscnt 0x0
	v_add_f32_e32 v1, v18, v1
	ds_bpermute_b32 v2, v2, v1
	s_wait_dscnt 0x0
	v_dual_cndmask_b32 v3, v0, v3, vcc_lo :: v_dual_add_f32 v1, v1, v2
	s_delay_alu instid0(VALU_DEP_1) | instskip(SKIP_3) | instid1(VALU_DEP_1)
	v_lshlrev_b32_e32 v3, 2, v3
	ds_bpermute_b32 v2, v3, v1
	s_wait_dscnt 0x0
	v_dual_add_f32 v1, v1, v2 :: v_dual_bitop2_b32 v3, 2, v0 bitop3:0x14
	v_cmp_gt_i32_e32 vcc_lo, 32, v3
	v_cndmask_b32_e32 v3, v0, v3, vcc_lo
	s_delay_alu instid0(VALU_DEP_1) | instskip(SKIP_2) | instid1(VALU_DEP_1)
	v_lshlrev_b32_e32 v3, 2, v3
	ds_bpermute_b32 v2, v3, v1
	v_xor_b32_e32 v3, 1, v0
	v_cmp_gt_i32_e32 vcc_lo, 32, v3
	v_cndmask_b32_e32 v3, v0, v3, vcc_lo
	v_cmp_eq_u32_e32 vcc_lo, 0, v15
	s_wait_dscnt 0x0
	s_delay_alu instid0(VALU_DEP_2)
	v_dual_add_f32 v0, v1, v2 :: v_dual_lshlrev_b32 v1, 2, v3
	ds_bpermute_b32 v1, v1, v0
	s_and_b32 exec_lo, exec_lo, vcc_lo
	s_cbranch_execz .LBB245_11
; %bb.10:
	v_mad_u32 v2, s6, s10, v14
	s_wait_dscnt 0x0
	v_add_f32_e32 v0, v0, v1
	s_wait_kmcnt 0x0
	global_store_b32 v2, v0, s[8:9] scale_offset
.LBB245_11:
	s_endpgm
	.section	.rodata,"a",@progbits
	.p2align	6, 0x0
	.amdhsa_kernel _ZL9moe_vec_qIfLi256ELi32E10block_q5_KLi2EXadL_ZL17vec_dot_q5_K_q8_1PKvPK10block_q8_1RKiEEEvS2_S2_PT_PS6_iiii
		.amdhsa_group_segment_fixed_size 0
		.amdhsa_private_segment_fixed_size 0
		.amdhsa_kernarg_size 304
		.amdhsa_user_sgpr_count 2
		.amdhsa_user_sgpr_dispatch_ptr 0
		.amdhsa_user_sgpr_queue_ptr 0
		.amdhsa_user_sgpr_kernarg_segment_ptr 1
		.amdhsa_user_sgpr_dispatch_id 0
		.amdhsa_user_sgpr_kernarg_preload_length 0
		.amdhsa_user_sgpr_kernarg_preload_offset 0
		.amdhsa_user_sgpr_private_segment_size 0
		.amdhsa_wavefront_size32 1
		.amdhsa_uses_dynamic_stack 0
		.amdhsa_enable_private_segment 0
		.amdhsa_system_sgpr_workgroup_id_x 1
		.amdhsa_system_sgpr_workgroup_id_y 0
		.amdhsa_system_sgpr_workgroup_id_z 1
		.amdhsa_system_sgpr_workgroup_info 0
		.amdhsa_system_vgpr_workitem_id 1
		.amdhsa_next_free_vgpr 56
		.amdhsa_next_free_sgpr 19
		.amdhsa_named_barrier_count 0
		.amdhsa_reserve_vcc 1
		.amdhsa_float_round_mode_32 0
		.amdhsa_float_round_mode_16_64 0
		.amdhsa_float_denorm_mode_32 3
		.amdhsa_float_denorm_mode_16_64 3
		.amdhsa_fp16_overflow 0
		.amdhsa_memory_ordered 1
		.amdhsa_forward_progress 1
		.amdhsa_inst_pref_size 16
		.amdhsa_round_robin_scheduling 0
		.amdhsa_exception_fp_ieee_invalid_op 0
		.amdhsa_exception_fp_denorm_src 0
		.amdhsa_exception_fp_ieee_div_zero 0
		.amdhsa_exception_fp_ieee_overflow 0
		.amdhsa_exception_fp_ieee_underflow 0
		.amdhsa_exception_fp_ieee_inexact 0
		.amdhsa_exception_int_div_zero 0
	.end_amdhsa_kernel
	.section	.text._ZL9moe_vec_qIfLi256ELi32E10block_q5_KLi2EXadL_ZL17vec_dot_q5_K_q8_1PKvPK10block_q8_1RKiEEEvS2_S2_PT_PS6_iiii,"axG",@progbits,_ZL9moe_vec_qIfLi256ELi32E10block_q5_KLi2EXadL_ZL17vec_dot_q5_K_q8_1PKvPK10block_q8_1RKiEEEvS2_S2_PT_PS6_iiii,comdat
.Lfunc_end245:
	.size	_ZL9moe_vec_qIfLi256ELi32E10block_q5_KLi2EXadL_ZL17vec_dot_q5_K_q8_1PKvPK10block_q8_1RKiEEEvS2_S2_PT_PS6_iiii, .Lfunc_end245-_ZL9moe_vec_qIfLi256ELi32E10block_q5_KLi2EXadL_ZL17vec_dot_q5_K_q8_1PKvPK10block_q8_1RKiEEEvS2_S2_PT_PS6_iiii
                                        ; -- End function
	.set _ZL9moe_vec_qIfLi256ELi32E10block_q5_KLi2EXadL_ZL17vec_dot_q5_K_q8_1PKvPK10block_q8_1RKiEEEvS2_S2_PT_PS6_iiii.num_vgpr, 56
	.set _ZL9moe_vec_qIfLi256ELi32E10block_q5_KLi2EXadL_ZL17vec_dot_q5_K_q8_1PKvPK10block_q8_1RKiEEEvS2_S2_PT_PS6_iiii.num_agpr, 0
	.set _ZL9moe_vec_qIfLi256ELi32E10block_q5_KLi2EXadL_ZL17vec_dot_q5_K_q8_1PKvPK10block_q8_1RKiEEEvS2_S2_PT_PS6_iiii.numbered_sgpr, 19
	.set _ZL9moe_vec_qIfLi256ELi32E10block_q5_KLi2EXadL_ZL17vec_dot_q5_K_q8_1PKvPK10block_q8_1RKiEEEvS2_S2_PT_PS6_iiii.num_named_barrier, 0
	.set _ZL9moe_vec_qIfLi256ELi32E10block_q5_KLi2EXadL_ZL17vec_dot_q5_K_q8_1PKvPK10block_q8_1RKiEEEvS2_S2_PT_PS6_iiii.private_seg_size, 0
	.set _ZL9moe_vec_qIfLi256ELi32E10block_q5_KLi2EXadL_ZL17vec_dot_q5_K_q8_1PKvPK10block_q8_1RKiEEEvS2_S2_PT_PS6_iiii.uses_vcc, 1
	.set _ZL9moe_vec_qIfLi256ELi32E10block_q5_KLi2EXadL_ZL17vec_dot_q5_K_q8_1PKvPK10block_q8_1RKiEEEvS2_S2_PT_PS6_iiii.uses_flat_scratch, 0
	.set _ZL9moe_vec_qIfLi256ELi32E10block_q5_KLi2EXadL_ZL17vec_dot_q5_K_q8_1PKvPK10block_q8_1RKiEEEvS2_S2_PT_PS6_iiii.has_dyn_sized_stack, 0
	.set _ZL9moe_vec_qIfLi256ELi32E10block_q5_KLi2EXadL_ZL17vec_dot_q5_K_q8_1PKvPK10block_q8_1RKiEEEvS2_S2_PT_PS6_iiii.has_recursion, 0
	.set _ZL9moe_vec_qIfLi256ELi32E10block_q5_KLi2EXadL_ZL17vec_dot_q5_K_q8_1PKvPK10block_q8_1RKiEEEvS2_S2_PT_PS6_iiii.has_indirect_call, 0
	.section	.AMDGPU.csdata,"",@progbits
; Kernel info:
; codeLenInByte = 1960
; TotalNumSgprs: 21
; NumVgprs: 56
; ScratchSize: 0
; MemoryBound: 0
; FloatMode: 240
; IeeeMode: 1
; LDSByteSize: 0 bytes/workgroup (compile time only)
; SGPRBlocks: 0
; VGPRBlocks: 3
; NumSGPRsForWavesPerEU: 21
; NumVGPRsForWavesPerEU: 56
; NamedBarCnt: 0
; Occupancy: 16
; WaveLimiterHint : 1
; COMPUTE_PGM_RSRC2:SCRATCH_EN: 0
; COMPUTE_PGM_RSRC2:USER_SGPR: 2
; COMPUTE_PGM_RSRC2:TRAP_HANDLER: 0
; COMPUTE_PGM_RSRC2:TGID_X_EN: 1
; COMPUTE_PGM_RSRC2:TGID_Y_EN: 0
; COMPUTE_PGM_RSRC2:TGID_Z_EN: 1
; COMPUTE_PGM_RSRC2:TIDIG_COMP_CNT: 1
	.section	.text._ZL9moe_vec_qIfLi256ELi32E10block_q6_KLi1EXadL_ZL17vec_dot_q6_K_q8_1PKvPK10block_q8_1RKiEEEvS2_S2_PT_PS6_iiii,"axG",@progbits,_ZL9moe_vec_qIfLi256ELi32E10block_q6_KLi1EXadL_ZL17vec_dot_q6_K_q8_1PKvPK10block_q8_1RKiEEEvS2_S2_PT_PS6_iiii,comdat
	.globl	_ZL9moe_vec_qIfLi256ELi32E10block_q6_KLi1EXadL_ZL17vec_dot_q6_K_q8_1PKvPK10block_q8_1RKiEEEvS2_S2_PT_PS6_iiii ; -- Begin function _ZL9moe_vec_qIfLi256ELi32E10block_q6_KLi1EXadL_ZL17vec_dot_q6_K_q8_1PKvPK10block_q8_1RKiEEEvS2_S2_PT_PS6_iiii
	.p2align	8
	.type	_ZL9moe_vec_qIfLi256ELi32E10block_q6_KLi1EXadL_ZL17vec_dot_q6_K_q8_1PKvPK10block_q8_1RKiEEEvS2_S2_PT_PS6_iiii,@function
_ZL9moe_vec_qIfLi256ELi32E10block_q6_KLi1EXadL_ZL17vec_dot_q6_K_q8_1PKvPK10block_q8_1RKiEEEvS2_S2_PT_PS6_iiii: ; @_ZL9moe_vec_qIfLi256ELi32E10block_q6_KLi1EXadL_ZL17vec_dot_q6_K_q8_1PKvPK10block_q8_1RKiEEEvS2_S2_PT_PS6_iiii
; %bb.0:
	s_clause 0x1
	s_load_u16 s2, s[0:1], 0x3e
	s_load_b128 s[4:7], s[0:1], 0x20
	s_bfe_u32 s3, ttmp6, 0x4000c
	s_and_b32 s8, ttmp6, 15
	s_add_co_i32 s3, s3, 1
	v_bfe_u32 v1, v0, 10, 10
	s_mul_i32 s3, ttmp9, s3
	s_delay_alu instid0(SALU_CYCLE_1) | instskip(SKIP_1) | instid1(SALU_CYCLE_1)
	s_add_co_i32 s3, s8, s3
	s_getreg_b32 s8, hwreg(HW_REG_IB_STS2, 6, 4)
	s_cmp_eq_u32 s8, 0
	s_cselect_b32 s3, ttmp9, s3
	s_wait_kmcnt 0x0
	v_mad_u32 v10, s3, s2, v1
	s_mov_b32 s2, exec_lo
	s_delay_alu instid0(VALU_DEP_1)
	v_cmpx_gt_u32_e64 s6, v10
	s_cbranch_execz .LBB246_7
; %bb.1:
	s_load_b64 s[2:3], s[0:1], 0x10
	s_bfe_u32 s9, ttmp6, 0x40014
	s_lshr_b32 s10, ttmp7, 16
	s_add_co_i32 s9, s9, 1
	s_bfe_u32 s11, ttmp6, 0x40008
	s_mul_i32 s9, s10, s9
	v_bfe_u32 v12, v0, 5, 5
	s_add_co_i32 s11, s11, s9
	s_cmp_eq_u32 s8, 0
	v_and_b32_e32 v11, 0x3ff, v0
	s_cselect_b32 s12, s10, s11
	s_ashr_i32 s8, s5, 31
	v_mov_b32_e32 v13, 0
	s_lshr_b32 s8, s8, 24
	s_mov_b32 s13, exec_lo
	s_add_co_i32 s5, s5, s8
	s_delay_alu instid0(SALU_CYCLE_1) | instskip(NEXT) | instid1(SALU_CYCLE_1)
	s_ashr_i32 s14, s5, 8
	v_cmpx_gt_u32_e64 s14, v12
	s_cbranch_execz .LBB246_5
; %bb.2:
	s_load_b64 s[8:9], s[0:1], 0x18
	s_cvt_f32_u32 s5, s4
	v_mul_lo_u32 v14, v10, s14
	v_dual_lshlrev_b32 v16, 3, v12 :: v_dual_bitop2_b32 v5, 7, v11 bitop3:0x40
	s_delay_alu instid0(SALU_CYCLE_1) | instskip(SKIP_1) | instid1(TRANS32_DEP_1)
	v_rcp_iflag_f32_e32 v0, s5
	v_nop
	v_readfirstlane_b32 s5, v0
	v_and_b32_e32 v0, 31, v11
	s_mul_f32 s5, s5, 0x4f7ffffe
	s_delay_alu instid0(VALU_DEP_1)
	v_add_nc_u32_e32 v1, 0xf0, v0
	v_cmp_lt_u32_e32 vcc_lo, 15, v0
	s_wait_kmcnt 0x0
	s_load_b32 s15, s[8:9], s12 offset:0x0 scale_offset
	s_cvt_u32_f32 s5, s5
	s_wait_xcnt 0x0
	s_sub_co_i32 s8, 0, s4
	v_cndmask_b32_e64 v8, 0, 8, vcc_lo
	s_mul_i32 s16, s8, s5
	s_load_b128 s[8:11], s[0:1], 0x0
	s_wait_xcnt 0x0
	s_mul_hi_u32 s0, s5, s16
	s_mul_i32 s16, s14, s6
	s_add_co_i32 s5, s5, s0
	s_mov_b32 s1, 0
	s_mul_hi_u32 s0, s12, s5
	s_delay_alu instid0(SALU_CYCLE_1)
	s_mul_i32 s5, s0, s4
	s_add_co_i32 s18, s0, 1
	s_sub_co_i32 s5, s12, s5
	s_wait_kmcnt 0x0
	s_mul_i32 s16, s16, s15
	s_sub_co_i32 s15, s5, s4
	s_ashr_i32 s17, s16, 31
	s_cmp_ge_u32 s5, s4
	s_cselect_b32 s0, s18, s0
	s_cselect_b32 s5, s15, s5
	s_add_co_i32 s15, s0, 1
	s_cmp_ge_u32 s5, s4
	s_cselect_b32 s4, s15, s0
	v_cmp_gt_u32_e64 s0, 16, v0
	s_delay_alu instid0(VALU_DEP_1) | instskip(SKIP_3) | instid1(VALU_DEP_2)
	v_cndmask_b32_e64 v4, v1, v0, s0
	s_mul_i32 s0, s4, s7
	v_cndmask_b32_e64 v1, 0, 4, vcc_lo
	s_lshl_b64 s[4:5], s[0:1], 2
	v_and_b32_e32 v2, 0xf8, v4
	s_add_nc_u64 s[4:5], s[10:11], s[4:5]
	v_bfe_u32 v13, v4, 2, 6
	v_mad_nc_u64_u32 v[6:7], v1, 36, s[4:5]
	v_mov_b32_e32 v1, 0
	v_cmp_ne_u32_e32 vcc_lo, 0, v2
	v_dual_lshlrev_b32 v0, 2, v0 :: v_dual_bitop2_b32 v3, v8, v5 bitop3:0x54
	s_delay_alu instid0(VALU_DEP_3) | instskip(SKIP_1) | instid1(VALU_DEP_3)
	v_dual_mov_b32 v5, v1 :: v_dual_lshlrev_b32 v4, 2, v5
	v_cndmask_b32_e64 v9, 0, 1, vcc_lo
	v_dual_mov_b32 v3, v1 :: v_dual_lshlrev_b32 v2, 2, v3
	v_cndmask_b32_e64 v15, 0, 2, vcc_lo
	v_add_nc_u32_e32 v8, v13, v8
	s_delay_alu instid0(VALU_DEP_4) | instskip(SKIP_2) | instid1(SALU_CYCLE_1)
	v_mad_nc_u64_u32 v[6:7], v9, 36, v[6:7]
	v_dual_mov_b32 v9, v1 :: v_dual_mov_b32 v13, v1
	s_mul_u64 s[4:5], s[16:17], 0xd2
	s_add_nc_u64 s[4:5], s[8:9], s[4:5]
.LBB246_3:                              ; =>This Inner Loop Header: Depth=1
	v_add_nc_u32_e32 v17, v14, v12
	s_delay_alu instid0(VALU_DEP_3) | instskip(SKIP_2) | instid1(VALU_DEP_4)
	v_mad_nc_i64_i32 v[18:19], v16, 36, v[6:7]
	v_add_nc_u32_e32 v12, 1, v12
	v_add_nc_u32_e32 v16, 8, v16
	v_mad_nc_i64_i32 v[20:21], 0xd2, v17, s[4:5]
	s_delay_alu instid0(VALU_DEP_3) | instskip(SKIP_2) | instid1(VALU_DEP_3)
	v_cmp_le_u32_e32 vcc_lo, s14, v12
	s_or_b32 s1, vcc_lo, s1
	v_add_nc_u64_e32 v[22:23], v[18:19], v[4:5]
	v_add_nc_u64_e32 v[24:25], v[20:21], v[0:1]
	;; [unrolled: 1-line block ×3, first 2 shown]
	global_load_b32 v17, v[22:23], off offset:4
	s_clause 0x1
	global_load_b32 v28, v[24:25], off
	global_load_b32 v29, v[26:27], off offset:128
	global_load_b32 v30, v[22:23], off offset:76
	s_wait_xcnt 0x0
	v_add_nc_u64_e32 v[22:23], v[20:21], v[8:9]
	s_clause 0x1
	global_load_i8 v24, v[22:23], off offset:192
	global_load_i8 v25, v[22:23], off offset:196
	s_clause 0x1
	global_load_b32 v26, v[18:19], off
	global_load_b32 v27, v[18:19], off offset:72
	global_load_u16 v31, v[20:21], off offset:208
	s_wait_loadcnt 0x8
	s_wait_xcnt 0x1
	v_ashrrev_i32_e32 v19, 24, v17
	s_wait_loadcnt 0x7
	v_and_b32_e32 v32, 0xf0f0f0f, v28
	s_wait_loadcnt 0x6
	v_dual_ashrrev_i32 v29, v15, v29 :: v_dual_lshrrev_b32 v28, 4, v28
	v_lshrrev_b16 v18, 8, v17
	s_wait_xcnt 0x0
	v_bfe_i32 v20, v17, 16, 8
	v_bfe_i32 v17, v17, 0, 8
	v_lshlrev_b32_e32 v33, 4, v29
	v_and_b32_e32 v28, 0xf0f0f0f, v28
	s_wait_loadcnt 0x5
	v_bfe_i32 v22, v30, 0, 8
	v_bfe_i32 v18, v18, 0, 8
	;; [unrolled: 1-line block ×3, first 2 shown]
	v_and_or_b32 v32, 0x30303030, v33, v32
	v_ashrrev_i32_e32 v23, 24, v30
	v_bfe_i32 v30, v30, 16, 8
	s_delay_alu instid0(VALU_DEP_3) | instskip(SKIP_3) | instid1(VALU_DEP_4)
	v_lshrrev_b32_e32 v33, 16, v32
	v_and_or_b32 v28, 0x30303030, v29, v28
	v_lshlrev_b16 v29, 8, v32
	v_and_b32_e32 v32, 0x3f00, v32
	v_lshlrev_b16 v36, 8, v33
	s_delay_alu instid0(VALU_DEP_4)
	v_lshrrev_b32_e32 v34, 16, v28
	v_lshlrev_b16 v35, 8, v28
	v_and_b32_e32 v33, 0x3f00, v33
	v_add_nc_u16 v29, 0xe000, v29
	v_add_nc_u16 v32, 0xe000, v32
	v_lshlrev_b16 v37, 8, v34
	v_add_nc_u16 v35, 0xe000, v35
	v_add_nc_u16 v33, 0xe000, v33
	v_ashrrev_i16 v29, 8, v29
	v_add_nc_u16 v36, 0xe000, v36
	v_add_nc_u16 v37, 0xe000, v37
	v_lshrrev_b16 v35, 8, v35
	v_ashrrev_i16 v33, 8, v33
	v_ashrrev_i16 v32, 8, v32
	;; [unrolled: 1-line block ×3, first 2 shown]
	v_lshrrev_b16 v37, 8, v37
	v_bitop3_b16 v28, v28, v35, 0x3f00 bitop3:0xec
	v_bfe_i32 v29, v29, 0, 16
	v_bfe_i32 v33, v33, 0, 16
	;; [unrolled: 1-line block ×3, first 2 shown]
	v_bitop3_b16 v34, v34, v37, 0x3f00 bitop3:0xec
	v_add_nc_u16 v28, 0xe000, v28
	v_bfe_i32 v35, v36, 0, 16
	v_mul_i32_i24_e32 v17, v29, v17
	v_mul_i32_i24_e32 v19, v33, v19
	v_add_nc_u16 v29, 0xe000, v34
	v_bfe_i32 v33, v28, 0, 8
	v_mul_i32_i24_e32 v20, v35, v20
	v_bfe_i32 v28, v28, 8, 8
	v_mad_i32_i24 v18, v32, v18, v19
	v_bfe_i32 v19, v29, 0, 8
	v_bfe_i32 v29, v29, 8, 8
	v_mul_i32_i24_e32 v22, v22, v33
	s_delay_alu instid0(VALU_DEP_4) | instskip(NEXT) | instid1(VALU_DEP_4)
	v_add3_u32 v17, v17, v20, v18
	v_mul_i32_i24_e32 v18, v30, v19
	s_delay_alu instid0(VALU_DEP_4) | instskip(NEXT) | instid1(VALU_DEP_4)
	v_mul_i32_i24_e32 v19, v23, v29
	v_mad_i32_i24 v20, v21, v28, v22
	s_wait_loadcnt 0x4
	v_mul_lo_u32 v17, v17, v24
	s_delay_alu instid0(VALU_DEP_2) | instskip(SKIP_1) | instid1(VALU_DEP_1)
	v_add3_u32 v18, v20, v18, v19
	s_wait_loadcnt 0x3
	v_mul_lo_u32 v18, v18, v25
	s_delay_alu instid0(VALU_DEP_3) | instskip(SKIP_1) | instid1(VALU_DEP_1)
	v_cvt_f32_i32_e32 v17, v17
	s_wait_loadcnt 0x2
	v_fma_mix_f32 v17, v26, v17, 0 op_sel_hi:[1,0,0]
	s_delay_alu instid0(VALU_DEP_3) | instskip(SKIP_1) | instid1(VALU_DEP_1)
	v_cvt_f32_i32_e32 v18, v18
	s_wait_loadcnt 0x1
	v_fma_mix_f32 v17, v27, v18, v17 op_sel_hi:[1,0,0]
	s_wait_loadcnt 0x0
	s_delay_alu instid0(VALU_DEP_1)
	v_fma_mix_f32 v13, v17, v31, v13 op_sel_hi:[0,1,0]
	s_and_not1_b32 exec_lo, exec_lo, s1
	s_cbranch_execnz .LBB246_3
; %bb.4:
	s_or_b32 exec_lo, exec_lo, s1
.LBB246_5:
	s_delay_alu instid0(SALU_CYCLE_1) | instskip(SKIP_1) | instid1(VALU_DEP_1)
	s_or_b32 exec_lo, exec_lo, s13
	v_mbcnt_lo_u32_b32 v0, -1, 0
	v_xor_b32_e32 v2, 8, v0
	v_xor_b32_e32 v1, 16, v0
	;; [unrolled: 1-line block ×3, first 2 shown]
	s_delay_alu instid0(VALU_DEP_2) | instskip(SKIP_4) | instid1(VALU_DEP_2)
	v_cmp_gt_i32_e32 vcc_lo, 32, v1
	v_cndmask_b32_e32 v1, v0, v1, vcc_lo
	v_cmp_gt_i32_e32 vcc_lo, 32, v2
	v_cndmask_b32_e32 v2, v0, v2, vcc_lo
	v_cmp_gt_i32_e32 vcc_lo, 32, v3
	v_dual_lshlrev_b32 v2, 2, v2 :: v_dual_lshlrev_b32 v1, 2, v1
	ds_bpermute_b32 v1, v1, v13
	s_wait_dscnt 0x0
	v_add_f32_e32 v1, v13, v1
	ds_bpermute_b32 v2, v2, v1
	s_wait_dscnt 0x0
	v_dual_cndmask_b32 v3, v0, v3, vcc_lo :: v_dual_add_f32 v1, v1, v2
	s_delay_alu instid0(VALU_DEP_1) | instskip(SKIP_3) | instid1(VALU_DEP_1)
	v_lshlrev_b32_e32 v3, 2, v3
	ds_bpermute_b32 v2, v3, v1
	s_wait_dscnt 0x0
	v_dual_add_f32 v1, v1, v2 :: v_dual_bitop2_b32 v3, 2, v0 bitop3:0x14
	v_cmp_gt_i32_e32 vcc_lo, 32, v3
	v_cndmask_b32_e32 v3, v0, v3, vcc_lo
	s_delay_alu instid0(VALU_DEP_1) | instskip(SKIP_2) | instid1(VALU_DEP_1)
	v_lshlrev_b32_e32 v3, 2, v3
	ds_bpermute_b32 v2, v3, v1
	v_xor_b32_e32 v3, 1, v0
	v_cmp_gt_i32_e32 vcc_lo, 32, v3
	v_cndmask_b32_e32 v3, v0, v3, vcc_lo
	v_cmp_eq_u32_e32 vcc_lo, 0, v11
	s_wait_dscnt 0x0
	s_delay_alu instid0(VALU_DEP_2)
	v_dual_add_f32 v0, v1, v2 :: v_dual_lshlrev_b32 v1, 2, v3
	ds_bpermute_b32 v1, v1, v0
	s_and_b32 exec_lo, exec_lo, vcc_lo
	s_cbranch_execz .LBB246_7
; %bb.6:
	v_mad_u32 v2, s6, s12, v10
	s_wait_dscnt 0x0
	v_add_f32_e32 v0, v0, v1
	s_wait_kmcnt 0x0
	global_store_b32 v2, v0, s[2:3] scale_offset
.LBB246_7:
	s_endpgm
	.section	.rodata,"a",@progbits
	.p2align	6, 0x0
	.amdhsa_kernel _ZL9moe_vec_qIfLi256ELi32E10block_q6_KLi1EXadL_ZL17vec_dot_q6_K_q8_1PKvPK10block_q8_1RKiEEEvS2_S2_PT_PS6_iiii
		.amdhsa_group_segment_fixed_size 0
		.amdhsa_private_segment_fixed_size 0
		.amdhsa_kernarg_size 304
		.amdhsa_user_sgpr_count 2
		.amdhsa_user_sgpr_dispatch_ptr 0
		.amdhsa_user_sgpr_queue_ptr 0
		.amdhsa_user_sgpr_kernarg_segment_ptr 1
		.amdhsa_user_sgpr_dispatch_id 0
		.amdhsa_user_sgpr_kernarg_preload_length 0
		.amdhsa_user_sgpr_kernarg_preload_offset 0
		.amdhsa_user_sgpr_private_segment_size 0
		.amdhsa_wavefront_size32 1
		.amdhsa_uses_dynamic_stack 0
		.amdhsa_enable_private_segment 0
		.amdhsa_system_sgpr_workgroup_id_x 1
		.amdhsa_system_sgpr_workgroup_id_y 0
		.amdhsa_system_sgpr_workgroup_id_z 1
		.amdhsa_system_sgpr_workgroup_info 0
		.amdhsa_system_vgpr_workitem_id 1
		.amdhsa_next_free_vgpr 38
		.amdhsa_next_free_sgpr 19
		.amdhsa_named_barrier_count 0
		.amdhsa_reserve_vcc 1
		.amdhsa_float_round_mode_32 0
		.amdhsa_float_round_mode_16_64 0
		.amdhsa_float_denorm_mode_32 3
		.amdhsa_float_denorm_mode_16_64 3
		.amdhsa_fp16_overflow 0
		.amdhsa_memory_ordered 1
		.amdhsa_forward_progress 1
		.amdhsa_inst_pref_size 13
		.amdhsa_round_robin_scheduling 0
		.amdhsa_exception_fp_ieee_invalid_op 0
		.amdhsa_exception_fp_denorm_src 0
		.amdhsa_exception_fp_ieee_div_zero 0
		.amdhsa_exception_fp_ieee_overflow 0
		.amdhsa_exception_fp_ieee_underflow 0
		.amdhsa_exception_fp_ieee_inexact 0
		.amdhsa_exception_int_div_zero 0
	.end_amdhsa_kernel
	.section	.text._ZL9moe_vec_qIfLi256ELi32E10block_q6_KLi1EXadL_ZL17vec_dot_q6_K_q8_1PKvPK10block_q8_1RKiEEEvS2_S2_PT_PS6_iiii,"axG",@progbits,_ZL9moe_vec_qIfLi256ELi32E10block_q6_KLi1EXadL_ZL17vec_dot_q6_K_q8_1PKvPK10block_q8_1RKiEEEvS2_S2_PT_PS6_iiii,comdat
.Lfunc_end246:
	.size	_ZL9moe_vec_qIfLi256ELi32E10block_q6_KLi1EXadL_ZL17vec_dot_q6_K_q8_1PKvPK10block_q8_1RKiEEEvS2_S2_PT_PS6_iiii, .Lfunc_end246-_ZL9moe_vec_qIfLi256ELi32E10block_q6_KLi1EXadL_ZL17vec_dot_q6_K_q8_1PKvPK10block_q8_1RKiEEEvS2_S2_PT_PS6_iiii
                                        ; -- End function
	.set _ZL9moe_vec_qIfLi256ELi32E10block_q6_KLi1EXadL_ZL17vec_dot_q6_K_q8_1PKvPK10block_q8_1RKiEEEvS2_S2_PT_PS6_iiii.num_vgpr, 38
	.set _ZL9moe_vec_qIfLi256ELi32E10block_q6_KLi1EXadL_ZL17vec_dot_q6_K_q8_1PKvPK10block_q8_1RKiEEEvS2_S2_PT_PS6_iiii.num_agpr, 0
	.set _ZL9moe_vec_qIfLi256ELi32E10block_q6_KLi1EXadL_ZL17vec_dot_q6_K_q8_1PKvPK10block_q8_1RKiEEEvS2_S2_PT_PS6_iiii.numbered_sgpr, 19
	.set _ZL9moe_vec_qIfLi256ELi32E10block_q6_KLi1EXadL_ZL17vec_dot_q6_K_q8_1PKvPK10block_q8_1RKiEEEvS2_S2_PT_PS6_iiii.num_named_barrier, 0
	.set _ZL9moe_vec_qIfLi256ELi32E10block_q6_KLi1EXadL_ZL17vec_dot_q6_K_q8_1PKvPK10block_q8_1RKiEEEvS2_S2_PT_PS6_iiii.private_seg_size, 0
	.set _ZL9moe_vec_qIfLi256ELi32E10block_q6_KLi1EXadL_ZL17vec_dot_q6_K_q8_1PKvPK10block_q8_1RKiEEEvS2_S2_PT_PS6_iiii.uses_vcc, 1
	.set _ZL9moe_vec_qIfLi256ELi32E10block_q6_KLi1EXadL_ZL17vec_dot_q6_K_q8_1PKvPK10block_q8_1RKiEEEvS2_S2_PT_PS6_iiii.uses_flat_scratch, 0
	.set _ZL9moe_vec_qIfLi256ELi32E10block_q6_KLi1EXadL_ZL17vec_dot_q6_K_q8_1PKvPK10block_q8_1RKiEEEvS2_S2_PT_PS6_iiii.has_dyn_sized_stack, 0
	.set _ZL9moe_vec_qIfLi256ELi32E10block_q6_KLi1EXadL_ZL17vec_dot_q6_K_q8_1PKvPK10block_q8_1RKiEEEvS2_S2_PT_PS6_iiii.has_recursion, 0
	.set _ZL9moe_vec_qIfLi256ELi32E10block_q6_KLi1EXadL_ZL17vec_dot_q6_K_q8_1PKvPK10block_q8_1RKiEEEvS2_S2_PT_PS6_iiii.has_indirect_call, 0
	.section	.AMDGPU.csdata,"",@progbits
; Kernel info:
; codeLenInByte = 1596
; TotalNumSgprs: 21
; NumVgprs: 38
; ScratchSize: 0
; MemoryBound: 0
; FloatMode: 240
; IeeeMode: 1
; LDSByteSize: 0 bytes/workgroup (compile time only)
; SGPRBlocks: 0
; VGPRBlocks: 2
; NumSGPRsForWavesPerEU: 21
; NumVGPRsForWavesPerEU: 38
; NamedBarCnt: 0
; Occupancy: 16
; WaveLimiterHint : 1
; COMPUTE_PGM_RSRC2:SCRATCH_EN: 0
; COMPUTE_PGM_RSRC2:USER_SGPR: 2
; COMPUTE_PGM_RSRC2:TRAP_HANDLER: 0
; COMPUTE_PGM_RSRC2:TGID_X_EN: 1
; COMPUTE_PGM_RSRC2:TGID_Y_EN: 0
; COMPUTE_PGM_RSRC2:TGID_Z_EN: 1
; COMPUTE_PGM_RSRC2:TIDIG_COMP_CNT: 1
	.section	.text._ZL9moe_vec_qIfLi256ELi8E13block_iq2_xxsLi1EXadL_ZL20vec_dot_iq2_xxs_q8_1PKvPK10block_q8_1RKiEEEvS2_S2_PT_PS6_iiii,"axG",@progbits,_ZL9moe_vec_qIfLi256ELi8E13block_iq2_xxsLi1EXadL_ZL20vec_dot_iq2_xxs_q8_1PKvPK10block_q8_1RKiEEEvS2_S2_PT_PS6_iiii,comdat
	.globl	_ZL9moe_vec_qIfLi256ELi8E13block_iq2_xxsLi1EXadL_ZL20vec_dot_iq2_xxs_q8_1PKvPK10block_q8_1RKiEEEvS2_S2_PT_PS6_iiii ; -- Begin function _ZL9moe_vec_qIfLi256ELi8E13block_iq2_xxsLi1EXadL_ZL20vec_dot_iq2_xxs_q8_1PKvPK10block_q8_1RKiEEEvS2_S2_PT_PS6_iiii
	.p2align	8
	.type	_ZL9moe_vec_qIfLi256ELi8E13block_iq2_xxsLi1EXadL_ZL20vec_dot_iq2_xxs_q8_1PKvPK10block_q8_1RKiEEEvS2_S2_PT_PS6_iiii,@function
_ZL9moe_vec_qIfLi256ELi8E13block_iq2_xxsLi1EXadL_ZL20vec_dot_iq2_xxs_q8_1PKvPK10block_q8_1RKiEEEvS2_S2_PT_PS6_iiii: ; @_ZL9moe_vec_qIfLi256ELi8E13block_iq2_xxsLi1EXadL_ZL20vec_dot_iq2_xxs_q8_1PKvPK10block_q8_1RKiEEEvS2_S2_PT_PS6_iiii
; %bb.0:
	s_clause 0x1
	s_load_u16 s3, s[0:1], 0x3e
	s_load_b128 s[8:11], s[0:1], 0x20
	s_bfe_u32 s2, ttmp6, 0x4000c
	s_and_b32 s4, ttmp6, 15
	s_add_co_i32 s2, s2, 1
	v_bfe_u32 v1, v0, 10, 10
	s_mul_i32 s2, ttmp9, s2
	s_delay_alu instid0(SALU_CYCLE_1) | instskip(SKIP_1) | instid1(SALU_CYCLE_1)
	s_add_co_i32 s4, s4, s2
	s_getreg_b32 s2, hwreg(HW_REG_IB_STS2, 6, 4)
	s_cmp_eq_u32 s2, 0
	s_cselect_b32 s4, ttmp9, s4
	s_wait_kmcnt 0x0
	v_mad_u32 v16, s4, s3, v1
	s_mov_b32 s3, exec_lo
	s_delay_alu instid0(VALU_DEP_1)
	v_cmpx_gt_u32_e64 s10, v16
	s_cbranch_execz .LBB247_7
; %bb.1:
	s_load_b64 s[12:13], s[0:1], 0x10
	s_bfe_u32 s3, ttmp6, 0x40014
	s_lshr_b32 s4, ttmp7, 16
	s_add_co_i32 s3, s3, 1
	s_bfe_u32 s5, ttmp6, 0x40008
	s_mul_i32 s3, s4, s3
	v_bfe_u32 v18, v0, 3, 7
	s_add_co_i32 s5, s5, s3
	s_cmp_eq_u32 s2, 0
	v_and_b32_e32 v17, 0x3ff, v0
	s_cselect_b32 s20, s4, s5
	s_ashr_i32 s2, s9, 31
	v_mov_b32_e32 v19, 0
	s_lshr_b32 s2, s2, 24
	s_mov_b32 s21, exec_lo
	s_add_co_i32 s2, s9, s2
	s_delay_alu instid0(SALU_CYCLE_1) | instskip(NEXT) | instid1(SALU_CYCLE_1)
	s_ashr_i32 s22, s2, 8
	v_cmpx_gt_u32_e64 s22, v18
	s_cbranch_execz .LBB247_5
; %bb.2:
	s_load_b64 s[2:3], s[0:1], 0x18
	s_cvt_f32_u32 s4, s8
	v_dual_mov_b32 v11, 0 :: v_dual_bitop2_b32 v1, 7, v17 bitop3:0x40
	v_mul_lo_u32 v20, v16, s22
	s_delay_alu instid0(SALU_CYCLE_1) | instskip(SKIP_3) | instid1(TRANS32_DEP_1)
	v_rcp_iflag_f32_e32 v0, s4
	s_get_pc_i64 s[16:17]
	s_add_nc_u64 s[16:17], s[16:17], _ZL12ksigns_iq2xs@rel64+4
	v_dual_lshlrev_b32 v21, 3, v18 :: v_dual_mov_b32 v19, v11
	v_readfirstlane_b32 s4, v0
	v_lshlrev_b32_e32 v0, 2, v1
	s_delay_alu instid0(VALU_DEP_1)
	v_lshlrev_b32_e32 v10, 1, v0
	s_wait_kmcnt 0x0
	s_load_b32 s5, s[2:3], s20 offset:0x0 scale_offset
	s_wait_xcnt 0x0
	s_mul_f32 s2, s4, 0x4f7ffffe
	s_sub_co_i32 s3, 0, s8
	s_delay_alu instid0(SALU_CYCLE_2) | instskip(NEXT) | instid1(SALU_CYCLE_3)
	s_cvt_u32_f32 s2, s2
	s_mul_i32 s3, s3, s2
	s_delay_alu instid0(SALU_CYCLE_1) | instskip(NEXT) | instid1(SALU_CYCLE_1)
	s_mul_hi_u32 s3, s2, s3
	s_add_co_i32 s4, s2, s3
	s_load_b128 s[0:3], s[0:1], 0x0
	s_mul_hi_u32 s6, s20, s4
	s_mul_i32 s4, s22, s10
	s_mul_i32 s7, s6, s8
	s_add_co_i32 s9, s6, 1
	s_sub_co_i32 s7, s20, s7
	s_wait_kmcnt 0x0
	s_mul_i32 s4, s4, s5
	s_sub_co_i32 s14, s7, s8
	s_ashr_i32 s5, s4, 31
	s_cmp_ge_u32 s7, s8
	s_cselect_b32 s6, s9, s6
	s_cselect_b32 s7, s14, s7
	s_add_co_i32 s14, s6, 1
	s_cmp_ge_u32 s7, s8
	s_mov_b32 s9, 0
	s_cselect_b32 s6, s14, s6
	s_get_pc_i64 s[14:15]
	s_add_nc_u64 s[14:15], s[14:15], _ZL11iq2xxs_grid@rel64+4
	s_mul_i32 s8, s6, s11
	s_delay_alu instid0(SALU_CYCLE_1) | instskip(NEXT) | instid1(SALU_CYCLE_1)
	s_lshl_b64 s[6:7], s[8:9], 2
	s_add_nc_u64 s[2:3], s[2:3], s[6:7]
	s_delay_alu instid0(SALU_CYCLE_1) | instskip(SKIP_1) | instid1(SALU_CYCLE_1)
	v_mad_nc_u64_u32 v[8:9], v1, 36, s[2:3]
	s_mul_u64 s[2:3], s[4:5], 0x42
	s_add_nc_u64 s[18:19], s[0:1], s[2:3]
.LBB247_3:                              ; =>This Inner Loop Header: Depth=1
	v_add_nc_u32_e32 v0, v20, v18
	s_delay_alu instid0(VALU_DEP_2) | instskip(SKIP_1) | instid1(VALU_DEP_3)
	v_mad_nc_i64_i32 v[14:15], v21, 36, v[8:9]
	v_add_nc_u32_e32 v21, 32, v21
	v_mad_nc_i64_i32 v[12:13], 0x42, v0, s[18:19]
	s_clause 0x2
	global_load_b128 v[0:3], v[14:15], off offset:4
	global_load_b128 v[4:7], v[14:15], off offset:20
	global_load_u16 v22, v[14:15], off
	s_wait_xcnt 0x0
	v_add_nc_u64_e32 v[14:15], v[12:13], v[10:11]
	s_clause 0x2
	global_load_b32 v23, v[14:15], off offset:2
	global_load_b32 v24, v[14:15], off offset:6
	global_load_u16 v25, v[12:13], off
	s_wait_loadcnt 0x5
	s_wait_xcnt 0x1
	v_dual_ashrrev_i32 v15, 24, v0 :: v_dual_ashrrev_i32 v33, 24, v2
	v_bfe_i32 v30, v2, 0, 8
	v_bfe_i32 v31, v2, 8, 8
	;; [unrolled: 1-line block ×3, first 2 shown]
	s_wait_xcnt 0x0
	v_bfe_i32 v12, v0, 0, 8
	v_bfe_i32 v13, v0, 8, 8
	v_bfe_i32 v14, v0, 16, 8
	v_bfe_i32 v26, v1, 0, 8
	v_bfe_i32 v27, v1, 8, 8
	v_bfe_i32 v28, v1, 16, 8
	s_wait_loadcnt 0x2
	v_and_b32_e32 v2, 0xff, v23
	s_wait_loadcnt 0x1
	v_and_b32_e32 v50, 0x7f, v24
	v_ashrrev_i32_e32 v29, 24, v1
	global_load_b64 v[0:1], v2, s[14:15] scale_offset
	global_load_i8 v53, v50, s[16:17]
	v_bfe_i32 v47, v7, 0, 8
	v_bfe_i32 v48, v7, 8, 8
	;; [unrolled: 1-line block ×3, first 2 shown]
	v_dual_ashrrev_i32 v7, 24, v7 :: v_dual_lshrrev_b32 v52, 28, v24
	v_bfe_i32 v34, v3, 0, 8
	v_bfe_i32 v35, v3, 8, 8
	;; [unrolled: 1-line block ×3, first 2 shown]
	v_ashrrev_i32_e32 v37, 24, v3
	v_cvt_f32_ubyte0_e32 v52, v52
	v_dual_lshrrev_b32 v3, 5, v23 :: v_dual_lshrrev_b32 v51, 13, v23
	s_wait_loadcnt 0x2
	v_cvt_f32_f16_e32 v25, v25
	v_bfe_i32 v38, v4, 0, 8
	v_add_f32_e32 v52, 0.5, v52
	s_wait_xcnt 0x1
	v_and_b32_e32 v2, 0x7f8, v3
	v_and_b32_e32 v51, 0x7f8, v51
	v_bfe_i32 v39, v4, 8, 8
	v_bfe_i32 v40, v4, 16, 8
	v_ashrrev_i32_e32 v4, 24, v4
	global_load_b64 v[2:3], v2, s[14:15]
	v_bfe_i32 v41, v5, 0, 8
	v_bfe_i32 v42, v5, 8, 8
	;; [unrolled: 1-line block ×3, first 2 shown]
	v_ashrrev_i32_e32 v5, 24, v5
	v_bfe_i32 v44, v6, 0, 8
	v_bfe_i32 v45, v6, 8, 8
	;; [unrolled: 1-line block ×3, first 2 shown]
	v_ashrrev_i32_e32 v6, 24, v6
	v_cvt_f32_f16_e32 v22, v22
	s_wait_loadcnt 0x2
	v_lshrrev_b32_e32 v54, 24, v1
	v_dual_mul_f32 v25, v52, v25 :: v_dual_lshrrev_b32 v52, 24, v0
	v_and_b32_e32 v55, 0xff, v0
	v_bfe_u32 v57, v0, 8, 8
	v_bfe_u32 v0, v0, 16, 8
	v_and_b32_e32 v59, 0xff, v1
	v_bfe_u32 v60, v1, 8, 8
	v_bfe_u32 v1, v1, 16, 8
	v_mul_i32_i24_e32 v12, v55, v12
	v_mul_i32_i24_e32 v14, v0, v14
	;; [unrolled: 1-line block ×3, first 2 shown]
	s_wait_loadcnt 0x1
	v_and_b32_e32 v61, 4, v53
	v_mul_i32_i24_e32 v28, v1, v28
	global_load_b64 v[0:1], v51, s[14:15]
	v_and_b32_e32 v56, 1, v53
	v_and_b32_e32 v58, 2, v53
	;; [unrolled: 1-line block ×3, first 2 shown]
	v_mul_i32_i24_e32 v15, v52, v15
	v_sub_nc_u32_e32 v63, 0, v12
	v_cmp_eq_u16_e32 vcc_lo, 0, v56
	v_sub_nc_u32_e32 v56, 0, v13
	v_cmp_eq_u16_e64 s0, 0, v58
	v_sub_nc_u32_e32 v58, 0, v14
	v_cmp_eq_u16_e64 s1, 0, v61
	;; [unrolled: 2-line block ×3, first 2 shown]
	v_dual_cndmask_b32 v12, v63, v12, vcc_lo :: v_dual_cndmask_b32 v13, v56, v13, s0
	v_mul_i32_i24_e32 v27, v60, v27
	s_delay_alu instid0(VALU_DEP_3) | instskip(SKIP_1) | instid1(VALU_DEP_4)
	v_dual_cndmask_b32 v14, v58, v14, s1 :: v_dual_cndmask_b32 v15, v61, v15, s2
	v_mul_i32_i24_e32 v26, v59, v26
	v_add_nc_u32_e32 v12, v13, v12
	v_mul_i32_i24_e32 v29, v54, v29
	s_wait_loadcnt 0x0
	s_delay_alu instid0(VALU_DEP_3)
	v_dual_sub_nc_u32 v63, 0, v26 :: v_dual_lshrrev_b32 v51, 24, v0
	v_lshrrev_b32_e32 v55, 24, v1
	v_and_b32_e32 v56, 0xff, v0
	v_bfe_u32 v58, v0, 8, 8
	v_bfe_u32 v13, v0, 16, 8
	v_and_b32_e32 v0, 32, v53
	v_add3_u32 v12, v12, v14, v15
	v_and_b32_e32 v14, 0xff, v1
	v_bfe_u32 v15, v1, 8, 8
	v_bfe_u32 v61, v1, 16, 8
	v_sub_nc_u32_e32 v1, 0, v27
	v_cmp_eq_u16_e32 vcc_lo, 0, v0
	v_and_b32_e32 v0, 16, v53
	v_mul_i32_i24_e32 v38, v56, v38
	v_mul_i32_i24_e32 v39, v58, v39
	;; [unrolled: 1-line block ×4, first 2 shown]
	v_cmp_eq_u16_e64 s0, 0, v0
	v_lshrrev_b32_e32 v0, 21, v23
	v_cndmask_b32_e32 v23, v1, v27, vcc_lo
	v_cmp_gt_u32_e32 vcc_lo, 64, v50
	s_delay_alu instid0(VALU_DEP_4) | instskip(NEXT) | instid1(VALU_DEP_4)
	v_dual_sub_nc_u32 v27, 0, v29 :: v_dual_cndmask_b32 v26, v63, v26, s0
	v_and_b32_e32 v0, 0x7f8, v0
	v_cmp_gt_i16_e64 s0, 0, v53
	v_bfe_u32 v53, v24, 7, 7
	v_mul_i32_i24_e32 v15, v15, v42
	v_add3_u32 v12, v12, v26, v23
	global_load_b64 v[0:1], v0, s[14:15]
	v_lshrrev_b32_e32 v52, 24, v2
	v_and_b32_e32 v57, 0xff, v2
	v_bfe_u32 v59, v2, 8, 8
	v_bfe_u32 v2, v2, 16, 8
	v_lshrrev_b32_e32 v54, 24, v3
	v_mul_i32_i24_e32 v33, v52, v33
	v_mul_i32_i24_e32 v30, v57, v30
	v_bfe_u32 v57, v24, 14, 7
	v_mul_i32_i24_e32 v2, v2, v32
	global_load_i8 v32, v53, s[16:17]
	v_bfe_u32 v24, v24, 21, 7
	v_mul_i32_i24_e32 v31, v59, v31
	global_load_i8 v52, v57, s[16:17]
	v_and_b32_e32 v60, 0xff, v3
	v_bfe_u32 v62, v3, 8, 8
	global_load_i8 v59, v24, s[16:17]
	v_bfe_u32 v3, v3, 16, 8
	v_sub_nc_u32_e32 v26, 0, v28
	v_mul_i32_i24_e32 v34, v60, v34
	v_cndmask_b32_e64 v27, v29, v27, s0
	v_mul_i32_i24_e32 v37, v54, v37
	v_mul_i32_i24_e32 v3, v3, v36
	;; [unrolled: 1-line block ×6, first 2 shown]
	s_wait_loadcnt 0x3
	v_dual_lshrrev_b32 v23, 24, v0 :: v_dual_lshrrev_b32 v50, 24, v1
	v_cndmask_b32_e32 v26, v26, v28, vcc_lo
	v_and_b32_e32 v28, 0xff, v0
	v_bfe_u32 v29, v0, 8, 8
	v_bfe_u32 v0, v0, 16, 8
	v_mul_i32_i24_e32 v7, v50, v7
	v_sub_nc_u32_e32 v50, 0, v30
	v_add3_u32 v12, v12, v26, v27
	v_and_b32_e32 v26, 0xff, v1
	s_wait_loadcnt 0x2
	v_and_b32_e32 v60, 1, v32
	v_and_b32_e32 v36, 2, v32
	;; [unrolled: 1-line block ×4, first 2 shown]
	v_bfe_u32 v27, v1, 8, 8
	v_cmp_eq_u16_e32 vcc_lo, 0, v60
	v_sub_nc_u32_e32 v60, 0, v31
	v_cmp_eq_u16_e64 s0, 0, v36
	v_bfe_u32 v1, v1, 16, 8
	v_and_b32_e32 v58, 16, v32
	v_and_b32_e32 v40, 32, v32
	s_wait_loadcnt 0x1
	v_dual_cndmask_b32 v30, v50, v30, vcc_lo :: v_dual_bitop2_b32 v41, 2, v52 bitop3:0x40
	v_dual_sub_nc_u32 v50, 0, v3 :: v_dual_bitop2_b32 v61, 8, v52 bitop3:0x40
	v_dual_cndmask_b32 v31, v60, v31, s0 :: v_dual_bitop2_b32 v55, 16, v52 bitop3:0x40
	v_sub_nc_u32_e32 v36, 0, v2
	v_cmp_eq_u16_e64 s1, 0, v54
	v_sub_nc_u32_e32 v54, 0, v33
	v_cmp_eq_u16_e64 s2, 0, v56
	v_and_b32_e32 v42, 4, v52
	v_mul_i32_i24_e32 v1, v1, v49
	s_wait_loadcnt 0x0
	v_dual_cndmask_b32 v2, v36, v2, s1 :: v_dual_bitop2_b32 v49, 32, v59 bitop3:0x40
	v_sub_nc_u32_e32 v56, 0, v35
	v_cmp_gt_i16_e64 s4, 0, v32
	v_sub_nc_u32_e32 v32, 0, v39
	v_cmp_eq_u16_e64 s3, 0, v40
	v_cmp_eq_u16_e64 s5, 0, v41
	v_sub_nc_u32_e32 v41, 0, v34
	v_add3_u32 v12, v12, v30, v31
	v_cmp_eq_u16_e32 vcc_lo, 0, v61
	v_dual_sub_nc_u32 v61, 0, v15 :: v_dual_cndmask_b32 v33, v54, v33, s2
	v_cmp_eq_u16_e64 s1, 0, v58
	v_dual_sub_nc_u32 v40, 0, v37 :: v_dual_bitop2_b32 v51, 1, v52 bitop3:0x40
	v_mul_i32_i24_e32 v0, v0, v46
	s_delay_alu instid0(VALU_DEP_3)
	v_dual_cndmask_b32 v35, v56, v35, s3 :: v_dual_cndmask_b32 v34, v41, v34, s1
	v_add3_u32 v2, v12, v2, v33
	v_cmp_gt_u32_e64 s1, 64, v53
	v_mul_i32_i24_e32 v28, v28, v44
	v_dual_sub_nc_u32 v60, 0, v38 :: v_dual_bitop2_b32 v44, 32, v52 bitop3:0x40
	v_mul_i32_i24_e32 v6, v23, v6
	s_delay_alu instid0(VALU_DEP_4)
	v_dual_sub_nc_u32 v12, 0, v0 :: v_dual_cndmask_b32 v3, v50, v3, s1
	v_cndmask_b32_e64 v33, v37, v40, s4
	v_add3_u32 v2, v2, v34, v35
	v_cmp_eq_u16_e64 s1, 0, v51
	v_mul_i32_i24_e32 v29, v29, v45
	v_dual_sub_nc_u32 v30, 0, v13 :: v_dual_bitop2_b32 v45, 1, v59 bitop3:0x40
	v_dual_sub_nc_u32 v31, 0, v4 :: v_dual_bitop2_b32 v46, 2, v59 bitop3:0x40
	v_dual_sub_nc_u32 v34, 0, v6 :: v_dual_cndmask_b32 v32, v32, v39, s5
	v_add3_u32 v2, v2, v3, v33
	v_cmp_eq_u16_e64 s2, 0, v42
	v_cndmask_b32_e64 v35, v60, v38, s1
	v_mul_i32_i24_e32 v26, v26, v47
	v_mul_i32_i24_e32 v27, v27, v48
	v_and_b32_e32 v48, 16, v59
	v_cmp_eq_u16_e64 s0, 0, v44
	v_cmp_eq_u16_e64 s7, 0, v46
	v_dual_sub_nc_u32 v46, 0, v14 :: v_dual_cndmask_b32 v3, v30, v13, s2
	v_cndmask_b32_e32 v4, v31, v4, vcc_lo
	v_add3_u32 v2, v2, v35, v32
	v_cmp_eq_u16_e32 vcc_lo, 0, v55
	v_dual_sub_nc_u32 v44, 0, v5 :: v_dual_bitop2_b32 v23, 4, v59 bitop3:0x40
	v_cmp_gt_i16_e64 s6, 0, v52
	v_dual_sub_nc_u32 v36, 0, v43 :: v_dual_sub_nc_u32 v54, 0, v28
	v_dual_sub_nc_u32 v13, 0, v26 :: v_dual_cndmask_b32 v15, v61, v15, s0
	v_cndmask_b32_e32 v14, v46, v14, vcc_lo
	v_add3_u32 v2, v2, v3, v4
	v_cmp_gt_u32_e32 vcc_lo, 64, v57
	v_dual_sub_nc_u32 v52, 0, v29 :: v_dual_bitop2_b32 v47, 8, v59 bitop3:0x40
	v_dual_sub_nc_u32 v3, 0, v27 :: v_dual_cndmask_b32 v5, v5, v44, s6
	v_cndmask_b32_e32 v4, v36, v43, vcc_lo
	v_add3_u32 v2, v2, v14, v15
	v_cmp_eq_u16_e64 s0, 0, v45
	v_cmp_eq_u16_e64 s1, 0, v47
	v_cndmask_b32_e64 v15, v52, v29, s7
	v_cmp_eq_u16_e32 vcc_lo, 0, v49
	v_add3_u32 v2, v2, v4, v5
	v_cndmask_b32_e64 v14, v54, v28, s0
	v_cmp_eq_u16_e64 s0, 0, v23
	v_dual_sub_nc_u32 v4, 0, v1 :: v_dual_cndmask_b32 v5, v34, v6, s1
	v_sub_nc_u32_e32 v6, 0, v7
	s_delay_alu instid0(VALU_DEP_4) | instskip(NEXT) | instid1(VALU_DEP_4)
	v_add3_u32 v2, v2, v14, v15
	v_cndmask_b32_e64 v0, v12, v0, s0
	v_cmp_eq_u16_e64 s0, 0, v48
	v_cndmask_b32_e32 v3, v3, v27, vcc_lo
	v_cmp_gt_i16_e32 vcc_lo, 0, v59
	s_delay_alu instid0(VALU_DEP_4) | instskip(NEXT) | instid1(VALU_DEP_4)
	v_add3_u32 v0, v2, v0, v5
	v_cndmask_b32_e64 v12, v13, v26, s0
	v_cmp_gt_u32_e64 s0, 64, v24
	v_cndmask_b32_e32 v2, v7, v6, vcc_lo
	s_delay_alu instid0(VALU_DEP_3) | instskip(NEXT) | instid1(VALU_DEP_3)
	v_add3_u32 v0, v0, v12, v3
	v_dual_cndmask_b32 v1, v4, v1, s0 :: v_dual_mul_f32 v3, v25, v22
	v_add_nc_u32_e32 v18, 4, v18
	s_delay_alu instid0(VALU_DEP_2) | instskip(NEXT) | instid1(VALU_DEP_3)
	v_add3_u32 v0, v0, v1, v2
	v_mul_f32_e32 v1, 0x3e800000, v3
	s_delay_alu instid0(VALU_DEP_3) | instskip(NEXT) | instid1(VALU_DEP_3)
	v_cmp_le_u32_e32 vcc_lo, s22, v18
	v_cvt_f32_i32_e32 v0, v0
	s_or_b32 s9, vcc_lo, s9
	s_delay_alu instid0(VALU_DEP_1)
	v_fmac_f32_e32 v19, v1, v0
	s_and_not1_b32 exec_lo, exec_lo, s9
	s_cbranch_execnz .LBB247_3
; %bb.4:
	s_or_b32 exec_lo, exec_lo, s9
.LBB247_5:
	s_delay_alu instid0(SALU_CYCLE_1) | instskip(SKIP_1) | instid1(VALU_DEP_1)
	s_or_b32 exec_lo, exec_lo, s21
	v_mbcnt_lo_u32_b32 v0, -1, 0
	v_xor_b32_e32 v2, 8, v0
	v_xor_b32_e32 v1, 16, v0
	;; [unrolled: 1-line block ×3, first 2 shown]
	s_delay_alu instid0(VALU_DEP_2) | instskip(SKIP_4) | instid1(VALU_DEP_2)
	v_cmp_gt_i32_e32 vcc_lo, 32, v1
	v_cndmask_b32_e32 v1, v0, v1, vcc_lo
	v_cmp_gt_i32_e32 vcc_lo, 32, v2
	v_cndmask_b32_e32 v2, v0, v2, vcc_lo
	v_cmp_gt_i32_e32 vcc_lo, 32, v3
	v_dual_lshlrev_b32 v2, 2, v2 :: v_dual_lshlrev_b32 v1, 2, v1
	ds_bpermute_b32 v1, v1, v19
	s_wait_dscnt 0x0
	v_add_f32_e32 v1, v19, v1
	ds_bpermute_b32 v2, v2, v1
	s_wait_dscnt 0x0
	v_dual_cndmask_b32 v3, v0, v3, vcc_lo :: v_dual_add_f32 v1, v1, v2
	s_delay_alu instid0(VALU_DEP_1) | instskip(SKIP_3) | instid1(VALU_DEP_1)
	v_lshlrev_b32_e32 v3, 2, v3
	ds_bpermute_b32 v2, v3, v1
	s_wait_dscnt 0x0
	v_dual_add_f32 v1, v1, v2 :: v_dual_bitop2_b32 v3, 2, v0 bitop3:0x14
	v_cmp_gt_i32_e32 vcc_lo, 32, v3
	v_cndmask_b32_e32 v3, v0, v3, vcc_lo
	s_delay_alu instid0(VALU_DEP_1) | instskip(SKIP_2) | instid1(VALU_DEP_1)
	v_lshlrev_b32_e32 v3, 2, v3
	ds_bpermute_b32 v2, v3, v1
	v_xor_b32_e32 v3, 1, v0
	v_cmp_gt_i32_e32 vcc_lo, 32, v3
	v_cndmask_b32_e32 v3, v0, v3, vcc_lo
	v_cmp_eq_u32_e32 vcc_lo, 0, v17
	s_wait_dscnt 0x0
	s_delay_alu instid0(VALU_DEP_2)
	v_dual_add_f32 v0, v1, v2 :: v_dual_lshlrev_b32 v1, 2, v3
	ds_bpermute_b32 v1, v1, v0
	s_and_b32 exec_lo, exec_lo, vcc_lo
	s_cbranch_execz .LBB247_7
; %bb.6:
	v_mad_u32 v2, s10, s20, v16
	s_wait_dscnt 0x0
	v_add_f32_e32 v0, v0, v1
	s_wait_kmcnt 0x0
	global_store_b32 v2, v0, s[12:13] scale_offset
.LBB247_7:
	s_endpgm
	.section	.rodata,"a",@progbits
	.p2align	6, 0x0
	.amdhsa_kernel _ZL9moe_vec_qIfLi256ELi8E13block_iq2_xxsLi1EXadL_ZL20vec_dot_iq2_xxs_q8_1PKvPK10block_q8_1RKiEEEvS2_S2_PT_PS6_iiii
		.amdhsa_group_segment_fixed_size 0
		.amdhsa_private_segment_fixed_size 0
		.amdhsa_kernarg_size 304
		.amdhsa_user_sgpr_count 2
		.amdhsa_user_sgpr_dispatch_ptr 0
		.amdhsa_user_sgpr_queue_ptr 0
		.amdhsa_user_sgpr_kernarg_segment_ptr 1
		.amdhsa_user_sgpr_dispatch_id 0
		.amdhsa_user_sgpr_kernarg_preload_length 0
		.amdhsa_user_sgpr_kernarg_preload_offset 0
		.amdhsa_user_sgpr_private_segment_size 0
		.amdhsa_wavefront_size32 1
		.amdhsa_uses_dynamic_stack 0
		.amdhsa_enable_private_segment 0
		.amdhsa_system_sgpr_workgroup_id_x 1
		.amdhsa_system_sgpr_workgroup_id_y 0
		.amdhsa_system_sgpr_workgroup_id_z 1
		.amdhsa_system_sgpr_workgroup_info 0
		.amdhsa_system_vgpr_workitem_id 1
		.amdhsa_next_free_vgpr 64
		.amdhsa_next_free_sgpr 23
		.amdhsa_named_barrier_count 0
		.amdhsa_reserve_vcc 1
		.amdhsa_float_round_mode_32 0
		.amdhsa_float_round_mode_16_64 0
		.amdhsa_float_denorm_mode_32 3
		.amdhsa_float_denorm_mode_16_64 3
		.amdhsa_fp16_overflow 0
		.amdhsa_memory_ordered 1
		.amdhsa_forward_progress 1
		.amdhsa_inst_pref_size 21
		.amdhsa_round_robin_scheduling 0
		.amdhsa_exception_fp_ieee_invalid_op 0
		.amdhsa_exception_fp_denorm_src 0
		.amdhsa_exception_fp_ieee_div_zero 0
		.amdhsa_exception_fp_ieee_overflow 0
		.amdhsa_exception_fp_ieee_underflow 0
		.amdhsa_exception_fp_ieee_inexact 0
		.amdhsa_exception_int_div_zero 0
	.end_amdhsa_kernel
	.section	.text._ZL9moe_vec_qIfLi256ELi8E13block_iq2_xxsLi1EXadL_ZL20vec_dot_iq2_xxs_q8_1PKvPK10block_q8_1RKiEEEvS2_S2_PT_PS6_iiii,"axG",@progbits,_ZL9moe_vec_qIfLi256ELi8E13block_iq2_xxsLi1EXadL_ZL20vec_dot_iq2_xxs_q8_1PKvPK10block_q8_1RKiEEEvS2_S2_PT_PS6_iiii,comdat
.Lfunc_end247:
	.size	_ZL9moe_vec_qIfLi256ELi8E13block_iq2_xxsLi1EXadL_ZL20vec_dot_iq2_xxs_q8_1PKvPK10block_q8_1RKiEEEvS2_S2_PT_PS6_iiii, .Lfunc_end247-_ZL9moe_vec_qIfLi256ELi8E13block_iq2_xxsLi1EXadL_ZL20vec_dot_iq2_xxs_q8_1PKvPK10block_q8_1RKiEEEvS2_S2_PT_PS6_iiii
                                        ; -- End function
	.set _ZL9moe_vec_qIfLi256ELi8E13block_iq2_xxsLi1EXadL_ZL20vec_dot_iq2_xxs_q8_1PKvPK10block_q8_1RKiEEEvS2_S2_PT_PS6_iiii.num_vgpr, 64
	.set _ZL9moe_vec_qIfLi256ELi8E13block_iq2_xxsLi1EXadL_ZL20vec_dot_iq2_xxs_q8_1PKvPK10block_q8_1RKiEEEvS2_S2_PT_PS6_iiii.num_agpr, 0
	.set _ZL9moe_vec_qIfLi256ELi8E13block_iq2_xxsLi1EXadL_ZL20vec_dot_iq2_xxs_q8_1PKvPK10block_q8_1RKiEEEvS2_S2_PT_PS6_iiii.numbered_sgpr, 23
	.set _ZL9moe_vec_qIfLi256ELi8E13block_iq2_xxsLi1EXadL_ZL20vec_dot_iq2_xxs_q8_1PKvPK10block_q8_1RKiEEEvS2_S2_PT_PS6_iiii.num_named_barrier, 0
	.set _ZL9moe_vec_qIfLi256ELi8E13block_iq2_xxsLi1EXadL_ZL20vec_dot_iq2_xxs_q8_1PKvPK10block_q8_1RKiEEEvS2_S2_PT_PS6_iiii.private_seg_size, 0
	.set _ZL9moe_vec_qIfLi256ELi8E13block_iq2_xxsLi1EXadL_ZL20vec_dot_iq2_xxs_q8_1PKvPK10block_q8_1RKiEEEvS2_S2_PT_PS6_iiii.uses_vcc, 1
	.set _ZL9moe_vec_qIfLi256ELi8E13block_iq2_xxsLi1EXadL_ZL20vec_dot_iq2_xxs_q8_1PKvPK10block_q8_1RKiEEEvS2_S2_PT_PS6_iiii.uses_flat_scratch, 0
	.set _ZL9moe_vec_qIfLi256ELi8E13block_iq2_xxsLi1EXadL_ZL20vec_dot_iq2_xxs_q8_1PKvPK10block_q8_1RKiEEEvS2_S2_PT_PS6_iiii.has_dyn_sized_stack, 0
	.set _ZL9moe_vec_qIfLi256ELi8E13block_iq2_xxsLi1EXadL_ZL20vec_dot_iq2_xxs_q8_1PKvPK10block_q8_1RKiEEEvS2_S2_PT_PS6_iiii.has_recursion, 0
	.set _ZL9moe_vec_qIfLi256ELi8E13block_iq2_xxsLi1EXadL_ZL20vec_dot_iq2_xxs_q8_1PKvPK10block_q8_1RKiEEEvS2_S2_PT_PS6_iiii.has_indirect_call, 0
	.section	.AMDGPU.csdata,"",@progbits
; Kernel info:
; codeLenInByte = 2584
; TotalNumSgprs: 25
; NumVgprs: 64
; ScratchSize: 0
; MemoryBound: 0
; FloatMode: 240
; IeeeMode: 1
; LDSByteSize: 0 bytes/workgroup (compile time only)
; SGPRBlocks: 0
; VGPRBlocks: 3
; NumSGPRsForWavesPerEU: 25
; NumVGPRsForWavesPerEU: 64
; NamedBarCnt: 0
; Occupancy: 16
; WaveLimiterHint : 1
; COMPUTE_PGM_RSRC2:SCRATCH_EN: 0
; COMPUTE_PGM_RSRC2:USER_SGPR: 2
; COMPUTE_PGM_RSRC2:TRAP_HANDLER: 0
; COMPUTE_PGM_RSRC2:TGID_X_EN: 1
; COMPUTE_PGM_RSRC2:TGID_Y_EN: 0
; COMPUTE_PGM_RSRC2:TGID_Z_EN: 1
; COMPUTE_PGM_RSRC2:TIDIG_COMP_CNT: 1
	.section	.text._ZL9moe_vec_qIfLi256ELi8E12block_iq2_xsLi1EXadL_ZL19vec_dot_iq2_xs_q8_1PKvPK10block_q8_1RKiEEEvS2_S2_PT_PS6_iiii,"axG",@progbits,_ZL9moe_vec_qIfLi256ELi8E12block_iq2_xsLi1EXadL_ZL19vec_dot_iq2_xs_q8_1PKvPK10block_q8_1RKiEEEvS2_S2_PT_PS6_iiii,comdat
	.globl	_ZL9moe_vec_qIfLi256ELi8E12block_iq2_xsLi1EXadL_ZL19vec_dot_iq2_xs_q8_1PKvPK10block_q8_1RKiEEEvS2_S2_PT_PS6_iiii ; -- Begin function _ZL9moe_vec_qIfLi256ELi8E12block_iq2_xsLi1EXadL_ZL19vec_dot_iq2_xs_q8_1PKvPK10block_q8_1RKiEEEvS2_S2_PT_PS6_iiii
	.p2align	8
	.type	_ZL9moe_vec_qIfLi256ELi8E12block_iq2_xsLi1EXadL_ZL19vec_dot_iq2_xs_q8_1PKvPK10block_q8_1RKiEEEvS2_S2_PT_PS6_iiii,@function
_ZL9moe_vec_qIfLi256ELi8E12block_iq2_xsLi1EXadL_ZL19vec_dot_iq2_xs_q8_1PKvPK10block_q8_1RKiEEEvS2_S2_PT_PS6_iiii: ; @_ZL9moe_vec_qIfLi256ELi8E12block_iq2_xsLi1EXadL_ZL19vec_dot_iq2_xs_q8_1PKvPK10block_q8_1RKiEEEvS2_S2_PT_PS6_iiii
; %bb.0:
	s_clause 0x1
	s_load_u16 s3, s[0:1], 0x3e
	s_load_b128 s[28:31], s[0:1], 0x20
	s_bfe_u32 s2, ttmp6, 0x4000c
	s_and_b32 s4, ttmp6, 15
	s_add_co_i32 s2, s2, 1
	v_bfe_u32 v1, v0, 10, 10
	s_mul_i32 s2, ttmp9, s2
	s_delay_alu instid0(SALU_CYCLE_1) | instskip(SKIP_1) | instid1(SALU_CYCLE_1)
	s_add_co_i32 s4, s4, s2
	s_getreg_b32 s2, hwreg(HW_REG_IB_STS2, 6, 4)
	s_cmp_eq_u32 s2, 0
	s_cselect_b32 s4, ttmp9, s4
	s_wait_kmcnt 0x0
	v_mad_u32 v18, s4, s3, v1
	s_mov_b32 s3, exec_lo
	s_delay_alu instid0(VALU_DEP_1)
	v_cmpx_gt_u32_e64 s30, v18
	s_cbranch_execz .LBB248_7
; %bb.1:
	s_load_b64 s[34:35], s[0:1], 0x10
	s_bfe_u32 s3, ttmp6, 0x40014
	s_lshr_b32 s4, ttmp7, 16
	s_add_co_i32 s3, s3, 1
	s_bfe_u32 s5, ttmp6, 0x40008
	s_mul_i32 s3, s4, s3
	v_bfe_u32 v20, v0, 3, 7
	s_add_co_i32 s5, s5, s3
	s_cmp_eq_u32 s2, 0
	v_and_b32_e32 v19, 0x3ff, v0
	s_cselect_b32 s33, s4, s5
	s_ashr_i32 s2, s29, 31
	v_mov_b32_e32 v21, 0
	s_lshr_b32 s2, s2, 24
	s_mov_b32 s42, exec_lo
	s_add_co_i32 s2, s29, s2
	s_delay_alu instid0(SALU_CYCLE_1) | instskip(NEXT) | instid1(SALU_CYCLE_1)
	s_ashr_i32 s43, s2, 8
	v_cmpx_gt_u32_e64 s43, v20
	s_cbranch_execz .LBB248_5
; %bb.2:
	s_load_b64 s[2:3], s[0:1], 0x18
	s_cvt_f32_u32 s4, s28
	s_mov_b32 s29, 0
	v_dual_mov_b32 v9, 0 :: v_dual_bitop2_b32 v8, 7, v19 bitop3:0x40
	s_delay_alu instid0(SALU_CYCLE_1)
	v_rcp_iflag_f32_e32 v0, s4
	v_mul_lo_u32 v22, v18, s43
	v_lshlrev_b32_e32 v23, 3, v20
	s_get_pc_i64 s[36:37]
	s_add_nc_u64 s[36:37], s[36:37], _ZL10iq2xs_grid@rel64+4
	v_mov_b32_e32 v21, v9
	s_get_pc_i64 s[38:39]
	s_add_nc_u64 s[38:39], s[38:39], _ZL12ksigns_iq2xs@rel64+4
	v_mov_b32_e32 v13, v9
	v_readfirstlane_b32 s4, v0
	v_lshlrev_b32_e32 v0, 2, v8
	s_delay_alu instid0(VALU_DEP_1)
	v_lshlrev_b32_e32 v12, 1, v0
	s_wait_kmcnt 0x0
	s_load_b32 s5, s[2:3], s33 offset:0x0 scale_offset
	s_wait_xcnt 0x0
	s_mul_f32 s2, s4, 0x4f7ffffe
	s_sub_co_i32 s3, 0, s28
	s_delay_alu instid0(SALU_CYCLE_2) | instskip(NEXT) | instid1(SALU_CYCLE_3)
	s_cvt_u32_f32 s2, s2
	s_mul_i32 s3, s3, s2
	s_delay_alu instid0(SALU_CYCLE_1) | instskip(NEXT) | instid1(SALU_CYCLE_1)
	s_mul_hi_u32 s3, s2, s3
	s_add_co_i32 s4, s2, s3
	s_load_b128 s[0:3], s[0:1], 0x0
	s_mul_hi_u32 s6, s33, s4
	s_mul_i32 s4, s43, s30
	s_mul_i32 s7, s6, s28
	s_add_co_i32 s8, s6, 1
	s_sub_co_i32 s7, s33, s7
	s_wait_kmcnt 0x0
	s_mul_i32 s4, s4, s5
	s_sub_co_i32 s9, s7, s28
	s_ashr_i32 s5, s4, 31
	s_cmp_ge_u32 s7, s28
	s_cselect_b32 s6, s8, s6
	s_cselect_b32 s7, s9, s7
	s_add_co_i32 s8, s6, 1
	s_cmp_ge_u32 s7, s28
	s_cselect_b32 s6, s8, s6
	s_delay_alu instid0(SALU_CYCLE_1) | instskip(NEXT) | instid1(SALU_CYCLE_1)
	s_mul_i32 s28, s6, s31
	s_lshl_b64 s[6:7], s[28:29], 2
	s_delay_alu instid0(SALU_CYCLE_1) | instskip(NEXT) | instid1(SALU_CYCLE_1)
	s_add_nc_u64 s[2:3], s[2:3], s[6:7]
	v_mad_nc_u64_u32 v[10:11], v8, 36, s[2:3]
	s_mul_u64 s[2:3], s[4:5], 0x4a
	s_delay_alu instid0(SALU_CYCLE_1)
	s_add_nc_u64 s[40:41], s[0:1], s[2:3]
.LBB248_3:                              ; =>This Inner Loop Header: Depth=1
	v_add_nc_u32_e32 v0, v22, v20
	s_delay_alu instid0(VALU_DEP_2) | instskip(SKIP_1) | instid1(VALU_DEP_3)
	v_mad_nc_i64_i32 v[14:15], v23, 36, v[10:11]
	v_dual_add_nc_u32 v20, 4, v20 :: v_dual_add_nc_u32 v23, 32, v23
	v_mad_nc_i64_i32 v[16:17], 0x4a, v0, s[40:41]
	s_clause 0x2
	global_load_b128 v[0:3], v[14:15], off offset:4
	global_load_b128 v[4:7], v[14:15], off offset:20
	global_load_u16 v25, v[14:15], off
	v_add_nc_u64_e32 v[28:29], v[16:17], v[12:13]
	v_add_nc_u64_e32 v[30:31], v[16:17], v[8:9]
	s_clause 0x2
	global_load_u16 v24, v[16:17], off
	global_load_b64 v[14:15], v[28:29], off offset:2
	global_load_u8 v26, v[30:31], off offset:66
	s_wait_loadcnt 0x5
	v_bfe_i32 v40, v1, 0, 8
	v_bfe_i32 v41, v1, 8, 8
	;; [unrolled: 1-line block ×3, first 2 shown]
	v_dual_ashrrev_i32 v42, 24, v1 :: v_dual_ashrrev_i32 v39, 24, v0
	s_wait_xcnt 0x0
	v_ashrrev_i32_e32 v30, 24, v2
	v_bfe_i32 v27, v2, 0, 8
	v_bfe_i32 v28, v2, 8, 8
	;; [unrolled: 1-line block ×5, first 2 shown]
	s_wait_loadcnt 0x1
	v_and_b32_e32 v56, 0x1ff, v14
	v_and_b32_e32 v57, 0x1ff, v15
	v_bfe_u32 v62, v15, 9, 7
	v_bfe_u32 v53, v14, 9, 7
	s_clause 0x1
	global_load_b64 v[58:59], v56, s[36:37] scale_offset
	global_load_b64 v[60:61], v57, s[36:37] scale_offset
	s_clause 0x1
	global_load_i8 v63, v62, s[38:39]
	; meta instruction
	; meta instruction
	;; [unrolled: 1-line block ×3, first 2 shown]
	global_load_i8 v62, v53, s[38:39]
	v_dual_lshrrev_b32 v1, 16, v15 :: v_dual_lshrrev_b32 v54, 13, v14
	v_bfe_i32 v16, v3, 16, 8
	v_dual_ashrrev_i32 v2, 24, v3 :: v_dual_ashrrev_i32 v50, 24, v4
	v_bfe_i32 v47, v4, 0, 8
	v_bfe_i32 v48, v4, 8, 8
	;; [unrolled: 1-line block ×6, first 2 shown]
	v_dual_ashrrev_i32 v46, 24, v5 :: v_dual_ashrrev_i32 v32, 24, v6
	v_bfe_i32 v35, v6, 0, 8
	v_bfe_i32 v34, v6, 8, 8
	;; [unrolled: 1-line block ×6, first 2 shown]
	v_dual_ashrrev_i32 v4, 24, v7 :: v_dual_lshrrev_b32 v7, 25, v14
	v_lshrrev_b32_e32 v55, 13, v15
	s_wait_xcnt 0x0
	v_and_b32_e32 v53, 0xff8, v54
	v_lshrrev_b32_e32 v36, 25, v15
	v_bfe_i32 v45, v0, 0, 8
	v_bfe_i32 v37, v0, 8, 8
	v_and_b32_e32 v56, 0xff8, v55
	s_clause 0x1
	global_load_b64 v[54:55], v53, s[36:37]
	global_load_b64 v[56:57], v56, s[36:37]
	v_bfe_i32 v38, v0, 16, 8
	v_cmp_gt_i16_e64 s0, 0, v15
	v_lshrrev_b32_e32 v0, 16, v14
	v_cmp_gt_i16_e32 vcc_lo, 0, v14
	v_cmp_gt_i16_e64 s15, 0, v1
	v_cvt_f32_f16_e32 v25, v25
	s_wait_loadcnt 0x5
	v_lshrrev_b32_e32 v64, 24, v58
	s_clause 0x1
	global_load_i8 v36, v36, s[38:39]
	global_load_i8 v7, v7, s[38:39]
	s_wait_xcnt 0x3
	v_bfe_u32 v53, v59, 16, 8
	v_and_b32_e32 v66, 0xff, v58
	v_bfe_u32 v67, v58, 8, 8
	s_wait_loadcnt 0x6
	v_bfe_u32 v69, v61, 16, 8
	v_bfe_u32 v58, v58, 16, 8
	s_wait_loadcnt 0x5
	v_dual_lshrrev_b32 v71, 24, v61 :: v_dual_bitop2_b32 v75, 2, v63 bitop3:0x40
	v_mul_i32_i24_e32 v53, v53, v51
	v_mul_i32_i24_e32 v51, v69, v52
	s_wait_loadcnt 0x4
	v_and_b32_e32 v52, 1, v62
	v_mul_i32_i24_e32 v45, v66, v45
	v_and_b32_e32 v66, 2, v62
	v_mul_i32_i24_e32 v67, v67, v37
	;; [unrolled: 2-line block ×3, first 2 shown]
	v_mul_i32_i24_e32 v46, v71, v46
	v_sub_nc_u32_e32 v71, 0, v53
	v_cmp_eq_u16_e64 s6, 0, v66
	v_dual_lshrrev_b32 v65, 24, v59 :: v_dual_bitop2_b32 v66, 4, v62 bitop3:0x40
	v_lshrrev_b32_e32 v70, 24, v60
	v_bfe_u32 v59, v59, 8, 8
	v_mul_i32_i24_e32 v40, v68, v40
	s_delay_alu instid0(VALU_DEP_4)
	v_cmp_eq_u16_e64 s7, 0, v66
	v_and_b32_e32 v66, 8, v62
	v_and_b32_e32 v72, 0xff, v60
	v_bfe_u32 v73, v60, 8, 8
	v_bfe_u32 v60, v60, 16, 8
	v_and_b32_e32 v74, 0xff, v61
	v_bfe_u32 v61, v61, 8, 8
	v_mul_i32_i24_e32 v41, v59, v41
	v_mul_i32_i24_e32 v37, v65, v42
	v_sub_nc_u32_e32 v80, 0, v40
	v_cmp_eq_u16_e64 s8, 0, v66
	s_wait_loadcnt 0x3
	v_lshrrev_b32_e32 v58, 24, v55
	v_cmp_eq_u16_e64 s5, 0, v52
	v_dual_sub_nc_u32 v52, 0, v67 :: v_dual_bitop2_b32 v66, 16, v62 bitop3:0x40
	v_dual_sub_nc_u32 v81, 0, v41 :: v_dual_bitop2_b32 v76, 4, v63 bitop3:0x40
	v_and_b32_e32 v77, 8, v63
	s_wait_loadcnt 0x2
	v_dual_lshrrev_b32 v68, 24, v57 :: v_dual_bitop2_b32 v78, 1, v63 bitop3:0x40
	v_mul_i32_i24_e32 v39, v64, v39
	v_mul_i32_i24_e32 v42, v72, v47
	;; [unrolled: 1-line block ×5, first 2 shown]
	v_lshrrev_b32_e32 v50, 24, v54
	v_and_b32_e32 v59, 0xff, v54
	v_bfe_u32 v60, v54, 8, 8
	v_bfe_u32 v54, v54, 16, 8
	v_and_b32_e32 v64, 0xff, v55
	v_bfe_u32 v65, v55, 8, 8
	v_bfe_u32 v55, v55, 16, 8
	v_mul_i32_i24_e32 v44, v61, v44
	v_lshrrev_b32_e32 v61, 24, v56
	v_and_b32_e32 v69, 0xff, v56
	v_bfe_u32 v70, v56, 8, 8
	v_bfe_u32 v56, v56, 16, 8
	v_and_b32_e32 v15, 0xff, v57
	v_bfe_u32 v72, v57, 8, 8
	v_bfe_u32 v57, v57, 16, 8
	v_cmp_eq_u16_e64 s9, 0, v66
	v_sub_nc_u32_e32 v66, 0, v37
	v_cmp_gt_i16_e64 s10, 0, v62
	v_dual_sub_nc_u32 v73, 0, v47 :: v_dual_bitop2_b32 v62, 32, v62 bitop3:0x40
	v_cmp_eq_u16_e64 s1, 0, v75
	v_cmp_eq_u16_e64 s2, 0, v76
	v_dual_sub_nc_u32 v75, 0, v49 :: v_dual_sub_nc_u32 v76, 0, v42
	v_cmp_eq_u16_e64 s4, 0, v78
	v_cmp_eq_u16_e64 s11, 0, v62
	v_dual_sub_nc_u32 v83, 0, v44 :: v_dual_bitop2_b32 v62, 16, v63 bitop3:0x40
	v_cmp_gt_i16_e64 s13, 0, v63
	v_mul_i32_i24_e32 v27, v59, v27
	v_mul_i32_i24_e32 v28, v60, v28
	v_and_b32_e32 v63, 32, v63
	v_mul_i32_i24_e32 v29, v54, v29
	v_mul_i32_i24_e32 v30, v50, v30
	;; [unrolled: 1-line block ×14, first 2 shown]
	v_dual_sub_nc_u32 v14, 0, v51 :: v_dual_sub_nc_u32 v74, 0, v48
	v_cmp_eq_u16_e64 s3, 0, v77
	v_dual_sub_nc_u32 v77, 0, v45 :: v_dual_sub_nc_u32 v1, 0, v28
	v_cmp_eq_u16_e64 s14, 0, v63
	v_dual_sub_nc_u32 v63, 0, v6 :: v_dual_cndmask_b32 v47, v73, v47, s1
	v_dual_sub_nc_u32 v78, 0, v38 :: v_dual_sub_nc_u32 v79, 0, v39
	v_sub_nc_u32_e32 v82, 0, v43
	v_cmp_eq_u16_e64 s12, 0, v62
	v_sub_nc_u32_e32 v62, 0, v46
	v_dual_sub_nc_u32 v65, 0, v2 :: v_dual_cndmask_b32 v48, v74, v48, s2
	v_cndmask_b32_e64 v49, v75, v49, s3
	v_dual_cndmask_b32 v45, v77, v45, s5 :: v_dual_cndmask_b32 v52, v52, v67, s6
	v_dual_cndmask_b32 v38, v78, v38, s7 :: v_dual_cndmask_b32 v39, v79, v39, s8
	v_dual_cndmask_b32 v53, v53, v71, vcc_lo :: v_dual_cndmask_b32 v44, v83, v44, s14
	v_dual_cndmask_b32 v37, v37, v66, s10 :: v_dual_cndmask_b32 v43, v82, v43, s12
	v_cndmask_b32_e64 v14, v51, v14, s0
	v_dual_cndmask_b32 v46, v46, v62, s13 :: v_dual_sub_nc_u32 v51, 0, v16
	v_add_nc_u32_e32 v45, v52, v45
	v_dual_cndmask_b32 v40, v80, v40, s9 :: v_dual_cndmask_b32 v41, v81, v41, s11
	v_sub_nc_u32_e32 v64, 0, v3
	v_mul_i32_i24_e32 v4, v68, v4
	s_wait_loadcnt 0x1
	v_and_b32_e32 v56, 1, v36
	s_wait_loadcnt 0x0
	v_and_b32_e32 v50, 2, v7
	v_and_b32_e32 v54, 4, v7
	v_and_b32_e32 v55, 8, v7
	v_and_b32_e32 v58, 16, v7
	v_and_b32_e32 v59, 32, v7
	v_and_b32_e32 v60, 2, v36
	v_and_b32_e32 v15, 4, v36
	v_and_b32_e32 v57, 8, v36
	v_and_b32_e32 v61, 16, v36
	v_cmp_gt_i16_e64 s26, 0, v36
	v_and_b32_e32 v36, 32, v36
	v_cmp_eq_u16_e64 s16, 0, v50
	v_sub_nc_u32_e32 v50, 0, v29
	v_cmp_eq_u16_e64 s17, 0, v54
	v_sub_nc_u32_e32 v54, 0, v30
	;; [unrolled: 2-line block ×8, first 2 shown]
	v_cmp_eq_u16_e64 s27, 0, v36
	v_cndmask_b32_e64 v36, v76, v42, s4
	v_cmp_gt_i16_e64 s1, 0, v7
	v_dual_cndmask_b32 v1, v1, v28, s16 :: v_dual_bitop2_b32 v7, 1, v7 bitop3:0x40
	v_cmp_eq_u16_e64 s24, 0, v57
	s_delay_alu instid0(VALU_DEP_4) | instskip(NEXT) | instid1(VALU_DEP_3)
	v_dual_add_nc_u32 v36, v47, v36 :: v_dual_sub_nc_u32 v47, 0, v27
	v_cmp_eq_u16_e32 vcc_lo, 0, v7
	v_dual_cndmask_b32 v29, v50, v29, s17 :: v_dual_cndmask_b32 v35, v59, v35, s21
	s_delay_alu instid0(VALU_DEP_3) | instskip(SKIP_3) | instid1(VALU_DEP_4)
	v_add3_u32 v36, v36, v48, v49
	v_dual_cndmask_b32 v34, v56, v34, s22 :: v_dual_cndmask_b32 v15, v15, v32, s24
	v_cndmask_b32_e32 v7, v47, v27, vcc_lo
	v_add3_u32 v27, v45, v38, v39
	v_add3_u32 v28, v36, v43, v44
	v_sub_nc_u32_e32 v57, 0, v5
	v_cmp_eq_u16_e64 s25, 0, v61
	v_sub_nc_u32_e32 v61, 0, v4
	v_add3_u32 v27, v27, v40, v41
	v_add3_u32 v14, v28, v14, v46
	v_dual_cndmask_b32 v28, v54, v30, s18 :: v_dual_cndmask_b32 v30, v60, v33, s23
	v_dual_cndmask_b32 v31, v55, v31, s19 :: v_dual_cndmask_b32 v5, v57, v5, s25
	s_delay_alu instid0(VALU_DEP_4) | instskip(NEXT) | instid1(VALU_DEP_4)
	v_add3_u32 v27, v27, v53, v37
	v_add3_u32 v14, v14, v35, v34
	v_cndmask_b32_e64 v3, v64, v3, s27
	v_lshrrev_b16 v42, 4, v26
	v_and_b32_e32 v26, 15, v26
	v_add3_u32 v1, v27, v7, v1
	v_add3_u32 v7, v14, v30, v15
	v_cndmask_b32_e64 v14, v58, v17, s20
	v_dual_cndmask_b32 v6, v6, v63, s15 :: v_dual_cndmask_b32 v4, v4, v61, s26
	s_delay_alu instid0(VALU_DEP_4) | instskip(NEXT) | instid1(VALU_DEP_4)
	v_add3_u32 v1, v1, v29, v28
	v_add3_u32 v3, v7, v5, v3
	v_cmp_gt_i16_e32 vcc_lo, 0, v0
	v_cvt_f32_ubyte0_e32 v42, v42
	v_cndmask_b32_e64 v2, v2, v65, s1
	v_add3_u32 v1, v1, v31, v14
	v_add3_u32 v3, v3, v6, v4
	v_cndmask_b32_e32 v0, v16, v51, vcc_lo
	v_cvt_f32_f16_e32 v4, v24
	v_cvt_f32_ubyte0_e32 v5, v26
	v_add_f32_e32 v6, 0.5, v42
	v_cmp_le_u32_e32 vcc_lo, s43, v20
	v_add3_u32 v0, v1, v0, v2
	v_cvt_f32_i32_e32 v1, v3
	v_mul_f32_e32 v2, v4, v25
	v_add_f32_e32 v3, 0.5, v5
	s_or_b32 s29, vcc_lo, s29
	v_cvt_f32_i32_e32 v0, v0
	s_delay_alu instid0(VALU_DEP_3) | instskip(NEXT) | instid1(VALU_DEP_1)
	v_dual_mul_f32 v1, v6, v1 :: v_dual_mul_f32 v2, 0x3e800000, v2
	v_fmac_f32_e32 v1, v3, v0
	s_delay_alu instid0(VALU_DEP_1)
	v_fmac_f32_e32 v21, v2, v1
	s_and_not1_b32 exec_lo, exec_lo, s29
	s_cbranch_execnz .LBB248_3
; %bb.4:
	s_or_b32 exec_lo, exec_lo, s29
.LBB248_5:
	s_delay_alu instid0(SALU_CYCLE_1) | instskip(SKIP_1) | instid1(VALU_DEP_1)
	s_or_b32 exec_lo, exec_lo, s42
	v_mbcnt_lo_u32_b32 v0, -1, 0
	v_xor_b32_e32 v2, 8, v0
	v_xor_b32_e32 v1, 16, v0
	;; [unrolled: 1-line block ×3, first 2 shown]
	s_delay_alu instid0(VALU_DEP_2) | instskip(SKIP_4) | instid1(VALU_DEP_2)
	v_cmp_gt_i32_e32 vcc_lo, 32, v1
	v_cndmask_b32_e32 v1, v0, v1, vcc_lo
	v_cmp_gt_i32_e32 vcc_lo, 32, v2
	v_cndmask_b32_e32 v2, v0, v2, vcc_lo
	v_cmp_gt_i32_e32 vcc_lo, 32, v3
	v_dual_lshlrev_b32 v2, 2, v2 :: v_dual_lshlrev_b32 v1, 2, v1
	ds_bpermute_b32 v1, v1, v21
	s_wait_dscnt 0x0
	v_add_f32_e32 v1, v21, v1
	ds_bpermute_b32 v2, v2, v1
	s_wait_dscnt 0x0
	v_dual_cndmask_b32 v3, v0, v3, vcc_lo :: v_dual_add_f32 v1, v1, v2
	s_delay_alu instid0(VALU_DEP_1) | instskip(SKIP_3) | instid1(VALU_DEP_1)
	v_lshlrev_b32_e32 v3, 2, v3
	ds_bpermute_b32 v2, v3, v1
	s_wait_dscnt 0x0
	v_dual_add_f32 v1, v1, v2 :: v_dual_bitop2_b32 v3, 2, v0 bitop3:0x14
	v_cmp_gt_i32_e32 vcc_lo, 32, v3
	v_cndmask_b32_e32 v3, v0, v3, vcc_lo
	s_delay_alu instid0(VALU_DEP_1) | instskip(SKIP_2) | instid1(VALU_DEP_1)
	v_lshlrev_b32_e32 v3, 2, v3
	ds_bpermute_b32 v2, v3, v1
	v_xor_b32_e32 v3, 1, v0
	v_cmp_gt_i32_e32 vcc_lo, 32, v3
	v_cndmask_b32_e32 v3, v0, v3, vcc_lo
	v_cmp_eq_u32_e32 vcc_lo, 0, v19
	s_wait_dscnt 0x0
	s_delay_alu instid0(VALU_DEP_2)
	v_dual_add_f32 v0, v1, v2 :: v_dual_lshlrev_b32 v1, 2, v3
	ds_bpermute_b32 v1, v1, v0
	s_and_b32 exec_lo, exec_lo, vcc_lo
	s_cbranch_execz .LBB248_7
; %bb.6:
	v_mad_u32 v2, s30, s33, v18
	s_wait_dscnt 0x0
	v_add_f32_e32 v0, v0, v1
	s_wait_kmcnt 0x0
	global_store_b32 v2, v0, s[34:35] scale_offset
.LBB248_7:
	s_sendmsg sendmsg(MSG_DEALLOC_VGPRS)
	s_endpgm
	.section	.rodata,"a",@progbits
	.p2align	6, 0x0
	.amdhsa_kernel _ZL9moe_vec_qIfLi256ELi8E12block_iq2_xsLi1EXadL_ZL19vec_dot_iq2_xs_q8_1PKvPK10block_q8_1RKiEEEvS2_S2_PT_PS6_iiii
		.amdhsa_group_segment_fixed_size 0
		.amdhsa_private_segment_fixed_size 0
		.amdhsa_kernarg_size 304
		.amdhsa_user_sgpr_count 2
		.amdhsa_user_sgpr_dispatch_ptr 0
		.amdhsa_user_sgpr_queue_ptr 0
		.amdhsa_user_sgpr_kernarg_segment_ptr 1
		.amdhsa_user_sgpr_dispatch_id 0
		.amdhsa_user_sgpr_kernarg_preload_length 0
		.amdhsa_user_sgpr_kernarg_preload_offset 0
		.amdhsa_user_sgpr_private_segment_size 0
		.amdhsa_wavefront_size32 1
		.amdhsa_uses_dynamic_stack 0
		.amdhsa_enable_private_segment 0
		.amdhsa_system_sgpr_workgroup_id_x 1
		.amdhsa_system_sgpr_workgroup_id_y 0
		.amdhsa_system_sgpr_workgroup_id_z 1
		.amdhsa_system_sgpr_workgroup_info 0
		.amdhsa_system_vgpr_workitem_id 1
		.amdhsa_next_free_vgpr 84
		.amdhsa_next_free_sgpr 44
		.amdhsa_named_barrier_count 0
		.amdhsa_reserve_vcc 1
		.amdhsa_float_round_mode_32 0
		.amdhsa_float_round_mode_16_64 0
		.amdhsa_float_denorm_mode_32 3
		.amdhsa_float_denorm_mode_16_64 3
		.amdhsa_fp16_overflow 0
		.amdhsa_memory_ordered 1
		.amdhsa_forward_progress 1
		.amdhsa_inst_pref_size 21
		.amdhsa_round_robin_scheduling 0
		.amdhsa_exception_fp_ieee_invalid_op 0
		.amdhsa_exception_fp_denorm_src 0
		.amdhsa_exception_fp_ieee_div_zero 0
		.amdhsa_exception_fp_ieee_overflow 0
		.amdhsa_exception_fp_ieee_underflow 0
		.amdhsa_exception_fp_ieee_inexact 0
		.amdhsa_exception_int_div_zero 0
	.end_amdhsa_kernel
	.section	.text._ZL9moe_vec_qIfLi256ELi8E12block_iq2_xsLi1EXadL_ZL19vec_dot_iq2_xs_q8_1PKvPK10block_q8_1RKiEEEvS2_S2_PT_PS6_iiii,"axG",@progbits,_ZL9moe_vec_qIfLi256ELi8E12block_iq2_xsLi1EXadL_ZL19vec_dot_iq2_xs_q8_1PKvPK10block_q8_1RKiEEEvS2_S2_PT_PS6_iiii,comdat
.Lfunc_end248:
	.size	_ZL9moe_vec_qIfLi256ELi8E12block_iq2_xsLi1EXadL_ZL19vec_dot_iq2_xs_q8_1PKvPK10block_q8_1RKiEEEvS2_S2_PT_PS6_iiii, .Lfunc_end248-_ZL9moe_vec_qIfLi256ELi8E12block_iq2_xsLi1EXadL_ZL19vec_dot_iq2_xs_q8_1PKvPK10block_q8_1RKiEEEvS2_S2_PT_PS6_iiii
                                        ; -- End function
	.set _ZL9moe_vec_qIfLi256ELi8E12block_iq2_xsLi1EXadL_ZL19vec_dot_iq2_xs_q8_1PKvPK10block_q8_1RKiEEEvS2_S2_PT_PS6_iiii.num_vgpr, 84
	.set _ZL9moe_vec_qIfLi256ELi8E12block_iq2_xsLi1EXadL_ZL19vec_dot_iq2_xs_q8_1PKvPK10block_q8_1RKiEEEvS2_S2_PT_PS6_iiii.num_agpr, 0
	.set _ZL9moe_vec_qIfLi256ELi8E12block_iq2_xsLi1EXadL_ZL19vec_dot_iq2_xs_q8_1PKvPK10block_q8_1RKiEEEvS2_S2_PT_PS6_iiii.numbered_sgpr, 44
	.set _ZL9moe_vec_qIfLi256ELi8E12block_iq2_xsLi1EXadL_ZL19vec_dot_iq2_xs_q8_1PKvPK10block_q8_1RKiEEEvS2_S2_PT_PS6_iiii.num_named_barrier, 0
	.set _ZL9moe_vec_qIfLi256ELi8E12block_iq2_xsLi1EXadL_ZL19vec_dot_iq2_xs_q8_1PKvPK10block_q8_1RKiEEEvS2_S2_PT_PS6_iiii.private_seg_size, 0
	.set _ZL9moe_vec_qIfLi256ELi8E12block_iq2_xsLi1EXadL_ZL19vec_dot_iq2_xs_q8_1PKvPK10block_q8_1RKiEEEvS2_S2_PT_PS6_iiii.uses_vcc, 1
	.set _ZL9moe_vec_qIfLi256ELi8E12block_iq2_xsLi1EXadL_ZL19vec_dot_iq2_xs_q8_1PKvPK10block_q8_1RKiEEEvS2_S2_PT_PS6_iiii.uses_flat_scratch, 0
	.set _ZL9moe_vec_qIfLi256ELi8E12block_iq2_xsLi1EXadL_ZL19vec_dot_iq2_xs_q8_1PKvPK10block_q8_1RKiEEEvS2_S2_PT_PS6_iiii.has_dyn_sized_stack, 0
	.set _ZL9moe_vec_qIfLi256ELi8E12block_iq2_xsLi1EXadL_ZL19vec_dot_iq2_xs_q8_1PKvPK10block_q8_1RKiEEEvS2_S2_PT_PS6_iiii.has_recursion, 0
	.set _ZL9moe_vec_qIfLi256ELi8E12block_iq2_xsLi1EXadL_ZL19vec_dot_iq2_xs_q8_1PKvPK10block_q8_1RKiEEEvS2_S2_PT_PS6_iiii.has_indirect_call, 0
	.section	.AMDGPU.csdata,"",@progbits
; Kernel info:
; codeLenInByte = 2640
; TotalNumSgprs: 46
; NumVgprs: 84
; ScratchSize: 0
; MemoryBound: 0
; FloatMode: 240
; IeeeMode: 1
; LDSByteSize: 0 bytes/workgroup (compile time only)
; SGPRBlocks: 0
; VGPRBlocks: 5
; NumSGPRsForWavesPerEU: 46
; NumVGPRsForWavesPerEU: 84
; NamedBarCnt: 0
; Occupancy: 10
; WaveLimiterHint : 1
; COMPUTE_PGM_RSRC2:SCRATCH_EN: 0
; COMPUTE_PGM_RSRC2:USER_SGPR: 2
; COMPUTE_PGM_RSRC2:TRAP_HANDLER: 0
; COMPUTE_PGM_RSRC2:TGID_X_EN: 1
; COMPUTE_PGM_RSRC2:TGID_Y_EN: 0
; COMPUTE_PGM_RSRC2:TGID_Z_EN: 1
; COMPUTE_PGM_RSRC2:TIDIG_COMP_CNT: 1
	.section	.text._ZL9moe_vec_qIfLi256ELi8E13block_iq3_xxsLi1EXadL_ZL20vec_dot_iq3_xxs_q8_1PKvPK10block_q8_1RKiEEEvS2_S2_PT_PS6_iiii,"axG",@progbits,_ZL9moe_vec_qIfLi256ELi8E13block_iq3_xxsLi1EXadL_ZL20vec_dot_iq3_xxs_q8_1PKvPK10block_q8_1RKiEEEvS2_S2_PT_PS6_iiii,comdat
	.globl	_ZL9moe_vec_qIfLi256ELi8E13block_iq3_xxsLi1EXadL_ZL20vec_dot_iq3_xxs_q8_1PKvPK10block_q8_1RKiEEEvS2_S2_PT_PS6_iiii ; -- Begin function _ZL9moe_vec_qIfLi256ELi8E13block_iq3_xxsLi1EXadL_ZL20vec_dot_iq3_xxs_q8_1PKvPK10block_q8_1RKiEEEvS2_S2_PT_PS6_iiii
	.p2align	8
	.type	_ZL9moe_vec_qIfLi256ELi8E13block_iq3_xxsLi1EXadL_ZL20vec_dot_iq3_xxs_q8_1PKvPK10block_q8_1RKiEEEvS2_S2_PT_PS6_iiii,@function
_ZL9moe_vec_qIfLi256ELi8E13block_iq3_xxsLi1EXadL_ZL20vec_dot_iq3_xxs_q8_1PKvPK10block_q8_1RKiEEEvS2_S2_PT_PS6_iiii: ; @_ZL9moe_vec_qIfLi256ELi8E13block_iq3_xxsLi1EXadL_ZL20vec_dot_iq3_xxs_q8_1PKvPK10block_q8_1RKiEEEvS2_S2_PT_PS6_iiii
; %bb.0:
	s_clause 0x1
	s_load_u16 s2, s[0:1], 0x3e
	s_load_b128 s[4:7], s[0:1], 0x20
	s_bfe_u32 s3, ttmp6, 0x4000c
	s_and_b32 s8, ttmp6, 15
	s_add_co_i32 s3, s3, 1
	v_bfe_u32 v1, v0, 10, 10
	s_mul_i32 s3, ttmp9, s3
	s_delay_alu instid0(SALU_CYCLE_1) | instskip(SKIP_1) | instid1(SALU_CYCLE_1)
	s_add_co_i32 s3, s8, s3
	s_getreg_b32 s8, hwreg(HW_REG_IB_STS2, 6, 4)
	s_cmp_eq_u32 s8, 0
	s_cselect_b32 s3, ttmp9, s3
	s_wait_kmcnt 0x0
	v_mad_u32 v14, s3, s2, v1
	s_mov_b32 s2, exec_lo
	s_delay_alu instid0(VALU_DEP_1)
	v_cmpx_gt_u32_e64 s6, v14
	s_cbranch_execz .LBB249_9
; %bb.1:
	s_load_b64 s[2:3], s[0:1], 0x10
	s_bfe_u32 s9, ttmp6, 0x40014
	s_lshr_b32 s10, ttmp7, 16
	s_add_co_i32 s9, s9, 1
	s_bfe_u32 s11, ttmp6, 0x40008
	s_mul_i32 s9, s10, s9
	v_bfe_u32 v16, v0, 3, 7
	s_add_co_i32 s11, s11, s9
	s_cmp_eq_u32 s8, 0
	v_and_b32_e32 v15, 0x3ff, v0
	s_cselect_b32 s14, s10, s11
	s_ashr_i32 s8, s5, 31
	v_mov_b32_e32 v18, 0
	s_lshr_b32 s8, s8, 24
	s_mov_b32 s15, exec_lo
	s_add_co_i32 s5, s5, s8
	s_delay_alu instid0(SALU_CYCLE_1) | instskip(NEXT) | instid1(SALU_CYCLE_1)
	s_ashr_i32 s16, s5, 8
	v_cmpx_gt_u32_e64 s16, v16
	s_cbranch_execz .LBB249_7
; %bb.2:
	s_load_b64 s[8:9], s[0:1], 0x18
	s_cvt_f32_u32 s5, s4
	v_dual_mov_b32 v1, 0 :: v_dual_bitop2_b32 v6, 7, v15 bitop3:0x40
	v_mul_lo_u32 v17, v14, s16
	s_delay_alu instid0(SALU_CYCLE_1) | instskip(NEXT) | instid1(VALU_DEP_2)
	v_rcp_iflag_f32_e32 v0, s5
	v_dual_mov_b32 v18, v1 :: v_dual_lshlrev_b32 v19, 3, v16
	s_delay_alu instid0(TRANS32_DEP_1) | instskip(NEXT) | instid1(VALU_DEP_3)
	v_readfirstlane_b32 s5, v0
	v_dual_lshlrev_b32 v0, 3, v6 :: v_dual_add_nc_u32 v20, v16, v17
	s_mul_f32 s5, s5, 0x4f7ffffe
	s_wait_kmcnt 0x0
	s_load_b32 s12, s[8:9], s14 offset:0x0 scale_offset
	s_delay_alu instid0(SALU_CYCLE_1) | instskip(SKIP_2) | instid1(SALU_CYCLE_1)
	s_cvt_u32_f32 s5, s5
	s_wait_xcnt 0x0
	s_sub_co_i32 s8, 0, s4
	s_mul_i32 s8, s8, s5
	s_delay_alu instid0(SALU_CYCLE_1) | instskip(NEXT) | instid1(SALU_CYCLE_1)
	s_mul_hi_u32 s8, s5, s8
	s_add_co_i32 s5, s5, s8
	s_load_b128 s[8:11], s[0:1], 0x0
	s_wait_xcnt 0x0
	s_mul_hi_u32 s0, s14, s5
	s_mul_i32 s1, s16, s6
	s_mul_i32 s5, s0, s4
	s_add_co_i32 s17, s0, 1
	s_sub_co_i32 s5, s14, s5
	s_delay_alu instid0(SALU_CYCLE_1)
	s_sub_co_i32 s18, s5, s4
	s_wait_kmcnt 0x0
	s_mul_i32 s12, s1, s12
	s_mov_b32 s1, 0
	s_ashr_i32 s13, s12, 31
	s_cmp_ge_u32 s5, s4
	s_cselect_b32 s0, s17, s0
	s_cselect_b32 s5, s18, s5
	s_add_co_i32 s17, s0, 1
	s_cmp_ge_u32 s5, s4
	s_cselect_b32 s0, s17, s0
	s_delay_alu instid0(SALU_CYCLE_1) | instskip(NEXT) | instid1(SALU_CYCLE_1)
	s_mul_i32 s0, s0, s7
	s_lshl_b64 s[4:5], s[0:1], 2
	s_delay_alu instid0(SALU_CYCLE_1)
	s_add_nc_u64 s[4:5], s[10:11], s[4:5]
	s_mul_u64 s[10:11], s[12:13], 0x62
	v_mad_nc_u64_u32 v[2:3], v6, 36, s[4:5]
	s_add_nc_u64 s[4:5], s[8:9], s[10:11]
	s_get_pc_i64 s[8:9]
	s_add_nc_u64 s[8:9], s[8:9], _ZL11iq3xxs_grid@rel64+4
	v_add_nc_u64_e32 v[4:5], s[4:5], v[0:1]
	v_lshlrev_b32_e32 v0, 1, v6
	s_get_pc_i64 s[10:11]
	s_add_nc_u64 s[10:11], s[10:11], _ZL8ksigns64@rel64+4
	s_delay_alu instid0(VALU_DEP_1) | instskip(NEXT) | instid1(VALU_DEP_3)
	v_lshlrev_b32_e32 v0, 1, v0
	v_add_nc_u64_e32 v[4:5], 2, v[4:5]
	v_add_nc_u64_e32 v[6:7], 4, v[2:3]
.LBB249_3:                              ; =>This Loop Header: Depth=1
                                        ;     Child Loop BB249_4 Depth 2
	v_dual_mov_b32 v21, 0 :: v_dual_add_nc_u32 v8, v16, v17
	s_delay_alu instid0(VALU_DEP_3) | instskip(SKIP_1) | instid1(VALU_DEP_2)
	v_mad_nc_i64_i32 v[12:13], 0x62, v20, v[4:5]
	s_mov_b64 s[12:13], 0
	v_mad_nc_i64_i32 v[8:9], 0x62, v8, s[4:5]
	s_delay_alu instid0(VALU_DEP_1)
	v_add_nc_u64_e32 v[10:11], v[8:9], v[0:1]
	global_load_b32 v22, v[10:11], off offset:66
	s_wait_xcnt 0x0
	v_mad_nc_i64_i32 v[10:11], v19, 36, v[6:7]
.LBB249_4:                              ;   Parent Loop BB249_3 Depth=1
                                        ; =>  This Inner Loop Header: Depth=2
	global_load_u16 v23, v[12:13], off
	s_wait_loadcnt 0x1
	v_and_b32_e32 v26, 0x7f, v22
	v_add_nc_u64_e32 v[24:25], s[12:13], v[10:11]
	s_wait_xcnt 0x0
	v_add_nc_u64_e32 v[12:13], 2, v[12:13]
	v_lshrrev_b32_e32 v22, 7, v22
	s_add_nc_u64 s[12:13], s[12:13], 8
	global_load_b64 v[26:27], v26, s[10:11] scale_offset
	s_cmp_lg_u32 s12, 32
	s_wait_loadcnt 0x1
	v_lshrrev_b16 v28, 8, v23
	v_and_b32_e32 v23, 0xff, v23
	s_delay_alu instid0(VALU_DEP_2)
	v_and_b32_e32 v30, 0xffff, v28
	s_wait_loadcnt 0x0
	v_and_b32_e32 v33, 0xff0000, v27
	v_and_b32_e32 v34, 0xff00, v27
	s_clause 0x1
	global_load_b32 v31, v23, s[8:9] scale_offset
	global_load_b32 v32, v30, s[8:9] scale_offset
	global_load_b64 v[28:29], v[24:25], off
	s_wait_xcnt 0x0
	v_and_b32_e32 v24, 0xff0000, v26
	v_and_b32_e32 v23, 0xff000000, v26
	;; [unrolled: 1-line block ×4, first 2 shown]
	s_wait_loadcnt 0x1
	v_xor_b32_e32 v32, v27, v32
	v_xor_b32_e32 v31, v26, v31
	s_wait_loadcnt 0x0
	v_lshrrev_b16 v35, 8, v28
	v_lshrrev_b16 v36, 8, v29
	v_dual_ashrrev_i32 v37, 24, v28 :: v_dual_ashrrev_i32 v39, 24, v29
	v_dual_sub_nc_u32 v24, v31, v24 :: v_dual_sub_nc_u32 v26, v31, v26
	v_bfe_i32 v38, v28, 16, 8
	v_bfe_i32 v28, v28, 0, 8
	;; [unrolled: 1-line block ×4, first 2 shown]
	v_perm_b32 v24, v24, v26, 0xc060c00
	v_dual_sub_nc_u32 v26, v32, v33 :: v_dual_sub_nc_u32 v23, v31, v23
	v_sub_nc_u32_e32 v25, v31, v25
	v_bfe_i32 v35, v35, 0, 8
	v_bfe_i32 v36, v36, 0, 8
	s_delay_alu instid0(VALU_DEP_4) | instskip(SKIP_3) | instid1(VALU_DEP_3)
	v_ashrrev_i32_e32 v23, 24, v23
	v_dual_sub_nc_u32 v27, v32, v27 :: v_dual_sub_nc_u32 v31, v32, v34
	v_sub_nc_u32_e32 v30, v32, v30
	v_lshrrev_b16 v25, 8, v25
	v_perm_b32 v26, v26, v27, 0xc060c00
	s_delay_alu instid0(VALU_DEP_4)
	v_lshrrev_b16 v27, 8, v31
	v_bfe_i32 v31, v24, 0, 8
	v_ashrrev_i32_e32 v30, 24, v30
	v_bfe_i32 v24, v24, 16, 8
	v_bfe_i32 v32, v26, 16, 8
	;; [unrolled: 1-line block ×3, first 2 shown]
	v_mul_i32_i24_e32 v28, v31, v28
	v_bfe_i32 v26, v26, 0, 8
	v_bfe_i32 v27, v27, 0, 8
	v_mul_i32_i24_e32 v30, v30, v39
	v_mul_i32_i24_e32 v31, v32, v40
	v_mul_i32_i24_e32 v25, v25, v35
	v_mul_i32_i24_e32 v26, v26, v29
	v_mul_i32_i24_e32 v27, v27, v36
	v_mad_i32_i24 v23, v23, v37, v30
	v_mad_i32_i24 v24, v24, v38, v31
	s_delay_alu instid0(VALU_DEP_2) | instskip(NEXT) | instid1(VALU_DEP_2)
	v_add3_u32 v23, v25, v27, v23
	v_add3_u32 v24, v28, v26, v24
	s_delay_alu instid0(VALU_DEP_1)
	v_add3_u32 v21, v24, v23, v21
	s_cbranch_scc1 .LBB249_4
; %bb.5:                                ;   in Loop: Header=BB249_3 Depth=1
	v_dual_lshlrev_b32 v10, 3, v16 :: v_dual_add_nc_u32 v19, 32, v19
	v_add_nc_u32_e32 v16, 4, v16
	v_add_nc_u32_e32 v20, 4, v20
	s_delay_alu instid0(VALU_DEP_3)
	v_mad_nc_i64_i32 v[10:11], v10, 36, v[2:3]
	global_load_u16 v12, v[8:9], off
	global_load_b32 v13, v[10:11], off
	s_wait_xcnt 0x1
	v_cvt_f32_u32_e32 v8, v22
	v_cmp_le_u32_e32 vcc_lo, s16, v16
	s_delay_alu instid0(VALU_DEP_2) | instskip(SKIP_3) | instid1(VALU_DEP_1)
	v_add_f32_e32 v8, 0.5, v8
	s_or_b32 s1, vcc_lo, s1
	s_wait_loadcnt 0x1
	v_cvt_f32_f16_e32 v9, v12
	v_mul_f32_e32 v8, v8, v9
	s_wait_loadcnt 0x0
	v_cvt_f32_f16_e32 v9, v13
	s_delay_alu instid0(VALU_DEP_1) | instskip(SKIP_1) | instid1(VALU_DEP_2)
	v_mul_f32_e32 v8, v8, v9
	v_cvt_f32_i32_e32 v9, v21
	v_mul_f32_e32 v8, 0.5, v8
	s_delay_alu instid0(VALU_DEP_1)
	v_fmac_f32_e32 v18, v8, v9
	s_and_not1_b32 exec_lo, exec_lo, s1
	s_cbranch_execnz .LBB249_3
; %bb.6:
	s_or_b32 exec_lo, exec_lo, s1
.LBB249_7:
	s_delay_alu instid0(SALU_CYCLE_1) | instskip(SKIP_1) | instid1(VALU_DEP_1)
	s_or_b32 exec_lo, exec_lo, s15
	v_mbcnt_lo_u32_b32 v0, -1, 0
	v_xor_b32_e32 v2, 8, v0
	v_xor_b32_e32 v1, 16, v0
	;; [unrolled: 1-line block ×3, first 2 shown]
	s_delay_alu instid0(VALU_DEP_2) | instskip(SKIP_4) | instid1(VALU_DEP_2)
	v_cmp_gt_i32_e32 vcc_lo, 32, v1
	v_cndmask_b32_e32 v1, v0, v1, vcc_lo
	v_cmp_gt_i32_e32 vcc_lo, 32, v2
	v_cndmask_b32_e32 v2, v0, v2, vcc_lo
	v_cmp_gt_i32_e32 vcc_lo, 32, v3
	v_dual_lshlrev_b32 v2, 2, v2 :: v_dual_lshlrev_b32 v1, 2, v1
	ds_bpermute_b32 v1, v1, v18
	s_wait_dscnt 0x0
	v_add_f32_e32 v1, v18, v1
	ds_bpermute_b32 v2, v2, v1
	s_wait_dscnt 0x0
	v_dual_cndmask_b32 v3, v0, v3, vcc_lo :: v_dual_add_f32 v1, v1, v2
	s_delay_alu instid0(VALU_DEP_1) | instskip(SKIP_3) | instid1(VALU_DEP_1)
	v_lshlrev_b32_e32 v3, 2, v3
	ds_bpermute_b32 v2, v3, v1
	s_wait_dscnt 0x0
	v_dual_add_f32 v1, v1, v2 :: v_dual_bitop2_b32 v3, 2, v0 bitop3:0x14
	v_cmp_gt_i32_e32 vcc_lo, 32, v3
	v_cndmask_b32_e32 v3, v0, v3, vcc_lo
	s_delay_alu instid0(VALU_DEP_1) | instskip(SKIP_2) | instid1(VALU_DEP_1)
	v_lshlrev_b32_e32 v3, 2, v3
	ds_bpermute_b32 v2, v3, v1
	v_xor_b32_e32 v3, 1, v0
	v_cmp_gt_i32_e32 vcc_lo, 32, v3
	v_cndmask_b32_e32 v3, v0, v3, vcc_lo
	v_cmp_eq_u32_e32 vcc_lo, 0, v15
	s_wait_dscnt 0x0
	s_delay_alu instid0(VALU_DEP_2)
	v_dual_add_f32 v0, v1, v2 :: v_dual_lshlrev_b32 v1, 2, v3
	ds_bpermute_b32 v1, v1, v0
	s_and_b32 exec_lo, exec_lo, vcc_lo
	s_cbranch_execz .LBB249_9
; %bb.8:
	v_mad_u32 v2, s6, s14, v14
	s_wait_dscnt 0x0
	v_add_f32_e32 v0, v0, v1
	s_wait_kmcnt 0x0
	global_store_b32 v2, v0, s[2:3] scale_offset
.LBB249_9:
	s_endpgm
	.section	.rodata,"a",@progbits
	.p2align	6, 0x0
	.amdhsa_kernel _ZL9moe_vec_qIfLi256ELi8E13block_iq3_xxsLi1EXadL_ZL20vec_dot_iq3_xxs_q8_1PKvPK10block_q8_1RKiEEEvS2_S2_PT_PS6_iiii
		.amdhsa_group_segment_fixed_size 0
		.amdhsa_private_segment_fixed_size 0
		.amdhsa_kernarg_size 304
		.amdhsa_user_sgpr_count 2
		.amdhsa_user_sgpr_dispatch_ptr 0
		.amdhsa_user_sgpr_queue_ptr 0
		.amdhsa_user_sgpr_kernarg_segment_ptr 1
		.amdhsa_user_sgpr_dispatch_id 0
		.amdhsa_user_sgpr_kernarg_preload_length 0
		.amdhsa_user_sgpr_kernarg_preload_offset 0
		.amdhsa_user_sgpr_private_segment_size 0
		.amdhsa_wavefront_size32 1
		.amdhsa_uses_dynamic_stack 0
		.amdhsa_enable_private_segment 0
		.amdhsa_system_sgpr_workgroup_id_x 1
		.amdhsa_system_sgpr_workgroup_id_y 0
		.amdhsa_system_sgpr_workgroup_id_z 1
		.amdhsa_system_sgpr_workgroup_info 0
		.amdhsa_system_vgpr_workitem_id 1
		.amdhsa_next_free_vgpr 41
		.amdhsa_next_free_sgpr 19
		.amdhsa_named_barrier_count 0
		.amdhsa_reserve_vcc 1
		.amdhsa_float_round_mode_32 0
		.amdhsa_float_round_mode_16_64 0
		.amdhsa_float_denorm_mode_32 3
		.amdhsa_float_denorm_mode_16_64 3
		.amdhsa_fp16_overflow 0
		.amdhsa_memory_ordered 1
		.amdhsa_forward_progress 1
		.amdhsa_inst_pref_size 12
		.amdhsa_round_robin_scheduling 0
		.amdhsa_exception_fp_ieee_invalid_op 0
		.amdhsa_exception_fp_denorm_src 0
		.amdhsa_exception_fp_ieee_div_zero 0
		.amdhsa_exception_fp_ieee_overflow 0
		.amdhsa_exception_fp_ieee_underflow 0
		.amdhsa_exception_fp_ieee_inexact 0
		.amdhsa_exception_int_div_zero 0
	.end_amdhsa_kernel
	.section	.text._ZL9moe_vec_qIfLi256ELi8E13block_iq3_xxsLi1EXadL_ZL20vec_dot_iq3_xxs_q8_1PKvPK10block_q8_1RKiEEEvS2_S2_PT_PS6_iiii,"axG",@progbits,_ZL9moe_vec_qIfLi256ELi8E13block_iq3_xxsLi1EXadL_ZL20vec_dot_iq3_xxs_q8_1PKvPK10block_q8_1RKiEEEvS2_S2_PT_PS6_iiii,comdat
.Lfunc_end249:
	.size	_ZL9moe_vec_qIfLi256ELi8E13block_iq3_xxsLi1EXadL_ZL20vec_dot_iq3_xxs_q8_1PKvPK10block_q8_1RKiEEEvS2_S2_PT_PS6_iiii, .Lfunc_end249-_ZL9moe_vec_qIfLi256ELi8E13block_iq3_xxsLi1EXadL_ZL20vec_dot_iq3_xxs_q8_1PKvPK10block_q8_1RKiEEEvS2_S2_PT_PS6_iiii
                                        ; -- End function
	.set _ZL9moe_vec_qIfLi256ELi8E13block_iq3_xxsLi1EXadL_ZL20vec_dot_iq3_xxs_q8_1PKvPK10block_q8_1RKiEEEvS2_S2_PT_PS6_iiii.num_vgpr, 41
	.set _ZL9moe_vec_qIfLi256ELi8E13block_iq3_xxsLi1EXadL_ZL20vec_dot_iq3_xxs_q8_1PKvPK10block_q8_1RKiEEEvS2_S2_PT_PS6_iiii.num_agpr, 0
	.set _ZL9moe_vec_qIfLi256ELi8E13block_iq3_xxsLi1EXadL_ZL20vec_dot_iq3_xxs_q8_1PKvPK10block_q8_1RKiEEEvS2_S2_PT_PS6_iiii.numbered_sgpr, 19
	.set _ZL9moe_vec_qIfLi256ELi8E13block_iq3_xxsLi1EXadL_ZL20vec_dot_iq3_xxs_q8_1PKvPK10block_q8_1RKiEEEvS2_S2_PT_PS6_iiii.num_named_barrier, 0
	.set _ZL9moe_vec_qIfLi256ELi8E13block_iq3_xxsLi1EXadL_ZL20vec_dot_iq3_xxs_q8_1PKvPK10block_q8_1RKiEEEvS2_S2_PT_PS6_iiii.private_seg_size, 0
	.set _ZL9moe_vec_qIfLi256ELi8E13block_iq3_xxsLi1EXadL_ZL20vec_dot_iq3_xxs_q8_1PKvPK10block_q8_1RKiEEEvS2_S2_PT_PS6_iiii.uses_vcc, 1
	.set _ZL9moe_vec_qIfLi256ELi8E13block_iq3_xxsLi1EXadL_ZL20vec_dot_iq3_xxs_q8_1PKvPK10block_q8_1RKiEEEvS2_S2_PT_PS6_iiii.uses_flat_scratch, 0
	.set _ZL9moe_vec_qIfLi256ELi8E13block_iq3_xxsLi1EXadL_ZL20vec_dot_iq3_xxs_q8_1PKvPK10block_q8_1RKiEEEvS2_S2_PT_PS6_iiii.has_dyn_sized_stack, 0
	.set _ZL9moe_vec_qIfLi256ELi8E13block_iq3_xxsLi1EXadL_ZL20vec_dot_iq3_xxs_q8_1PKvPK10block_q8_1RKiEEEvS2_S2_PT_PS6_iiii.has_recursion, 0
	.set _ZL9moe_vec_qIfLi256ELi8E13block_iq3_xxsLi1EXadL_ZL20vec_dot_iq3_xxs_q8_1PKvPK10block_q8_1RKiEEEvS2_S2_PT_PS6_iiii.has_indirect_call, 0
	.section	.AMDGPU.csdata,"",@progbits
; Kernel info:
; codeLenInByte = 1456
; TotalNumSgprs: 21
; NumVgprs: 41
; ScratchSize: 0
; MemoryBound: 0
; FloatMode: 240
; IeeeMode: 1
; LDSByteSize: 0 bytes/workgroup (compile time only)
; SGPRBlocks: 0
; VGPRBlocks: 2
; NumSGPRsForWavesPerEU: 21
; NumVGPRsForWavesPerEU: 41
; NamedBarCnt: 0
; Occupancy: 16
; WaveLimiterHint : 1
; COMPUTE_PGM_RSRC2:SCRATCH_EN: 0
; COMPUTE_PGM_RSRC2:USER_SGPR: 2
; COMPUTE_PGM_RSRC2:TRAP_HANDLER: 0
; COMPUTE_PGM_RSRC2:TGID_X_EN: 1
; COMPUTE_PGM_RSRC2:TGID_Y_EN: 0
; COMPUTE_PGM_RSRC2:TGID_Z_EN: 1
; COMPUTE_PGM_RSRC2:TIDIG_COMP_CNT: 1
	.section	.text._ZL9moe_vec_qIfLi256ELi8E11block_iq1_sLi1EXadL_ZL18vec_dot_iq1_s_q8_1PKvPK10block_q8_1RKiEEEvS2_S2_PT_PS6_iiii,"axG",@progbits,_ZL9moe_vec_qIfLi256ELi8E11block_iq1_sLi1EXadL_ZL18vec_dot_iq1_s_q8_1PKvPK10block_q8_1RKiEEEvS2_S2_PT_PS6_iiii,comdat
	.globl	_ZL9moe_vec_qIfLi256ELi8E11block_iq1_sLi1EXadL_ZL18vec_dot_iq1_s_q8_1PKvPK10block_q8_1RKiEEEvS2_S2_PT_PS6_iiii ; -- Begin function _ZL9moe_vec_qIfLi256ELi8E11block_iq1_sLi1EXadL_ZL18vec_dot_iq1_s_q8_1PKvPK10block_q8_1RKiEEEvS2_S2_PT_PS6_iiii
	.p2align	8
	.type	_ZL9moe_vec_qIfLi256ELi8E11block_iq1_sLi1EXadL_ZL18vec_dot_iq1_s_q8_1PKvPK10block_q8_1RKiEEEvS2_S2_PT_PS6_iiii,@function
_ZL9moe_vec_qIfLi256ELi8E11block_iq1_sLi1EXadL_ZL18vec_dot_iq1_s_q8_1PKvPK10block_q8_1RKiEEEvS2_S2_PT_PS6_iiii: ; @_ZL9moe_vec_qIfLi256ELi8E11block_iq1_sLi1EXadL_ZL18vec_dot_iq1_s_q8_1PKvPK10block_q8_1RKiEEEvS2_S2_PT_PS6_iiii
; %bb.0:
	s_clause 0x1
	s_load_u16 s3, s[0:1], 0x3e
	s_load_b128 s[4:7], s[0:1], 0x20
	s_bfe_u32 s2, ttmp6, 0x4000c
	s_and_b32 s8, ttmp6, 15
	s_add_co_i32 s2, s2, 1
	v_bfe_u32 v1, v0, 10, 10
	s_mul_i32 s2, ttmp9, s2
	s_delay_alu instid0(SALU_CYCLE_1) | instskip(SKIP_1) | instid1(SALU_CYCLE_1)
	s_add_co_i32 s8, s8, s2
	s_getreg_b32 s2, hwreg(HW_REG_IB_STS2, 6, 4)
	s_cmp_eq_u32 s2, 0
	s_cselect_b32 s8, ttmp9, s8
	s_wait_kmcnt 0x0
	v_mad_u32 v18, s8, s3, v1
	s_mov_b32 s3, exec_lo
	s_delay_alu instid0(VALU_DEP_1)
	v_cmpx_gt_u32_e64 s6, v18
	s_cbranch_execz .LBB250_7
; %bb.1:
	s_load_b64 s[8:9], s[0:1], 0x10
	s_bfe_u32 s3, ttmp6, 0x40014
	s_lshr_b32 s10, ttmp7, 16
	s_add_co_i32 s3, s3, 1
	s_bfe_u32 s11, ttmp6, 0x40008
	s_mul_i32 s3, s10, s3
	v_bfe_u32 v20, v0, 3, 7
	s_add_co_i32 s11, s11, s3
	s_cmp_eq_u32 s2, 0
	v_and_b32_e32 v19, 0x3ff, v0
	s_cselect_b32 s10, s10, s11
	s_ashr_i32 s2, s5, 31
	v_mov_b32_e32 v21, 0
	s_lshr_b32 s2, s2, 24
	s_mov_b32 s11, exec_lo
	s_add_co_i32 s2, s5, s2
	s_delay_alu instid0(SALU_CYCLE_1) | instskip(NEXT) | instid1(SALU_CYCLE_1)
	s_ashr_i32 s12, s2, 8
	v_cmpx_gt_u32_e64 s12, v20
	s_cbranch_execz .LBB250_5
; %bb.2:
	s_load_b64 s[2:3], s[0:1], 0x18
	s_cvt_f32_u32 s5, s4
	s_mul_i32 s14, s12, s6
	v_mul_lo_u32 v22, v18, s12
	v_mov_b32_e32 v9, 0
	v_rcp_iflag_f32_e32 v0, s5
	s_delay_alu instid0(VALU_DEP_1) | instskip(NEXT) | instid1(TRANS32_DEP_1)
	v_dual_mov_b32 v13, v9 :: v_dual_mov_b32 v21, v9
	v_readfirstlane_b32 s5, v0
	v_and_b32_e32 v0, 7, v19
	s_delay_alu instid0(VALU_DEP_1)
	v_dual_lshlrev_b32 v2, 1, v0 :: v_dual_lshlrev_b32 v12, 1, v0
	s_wait_kmcnt 0x0
	s_load_b32 s13, s[2:3], s10 offset:0x0 scale_offset
	s_wait_xcnt 0x0
	s_mul_f32 s2, s5, 0x4f7ffffe
	s_sub_co_i32 s3, 0, s4
	v_dual_lshlrev_b32 v23, 3, v20 :: v_dual_lshlrev_b32 v8, 1, v2
	s_delay_alu instid0(SALU_CYCLE_1) | instskip(NEXT) | instid1(SALU_CYCLE_3)
	s_cvt_u32_f32 s2, s2
	s_mul_i32 s3, s3, s2
	s_delay_alu instid0(SALU_CYCLE_1) | instskip(NEXT) | instid1(SALU_CYCLE_1)
	s_mul_hi_u32 s3, s2, s3
	s_add_co_i32 s5, s2, s3
	s_load_b128 s[0:3], s[0:1], 0x0
	s_mul_hi_u32 s5, s10, s5
	s_delay_alu instid0(SALU_CYCLE_1)
	s_mul_i32 s15, s5, s4
	s_add_co_i32 s16, s5, 1
	s_sub_co_i32 s17, s10, s15
	s_wait_kmcnt 0x0
	s_mul_i32 s14, s14, s13
	s_sub_co_i32 s13, s17, s4
	s_ashr_i32 s15, s14, 31
	s_cmp_ge_u32 s17, s4
	s_mul_u64 s[14:15], s[14:15], 50
	s_cselect_b32 s5, s16, s5
	s_cselect_b32 s13, s13, s17
	s_add_co_i32 s16, s5, 1
	s_cmp_ge_u32 s13, s4
	s_cselect_b32 s4, s16, s5
	s_mov_b32 s5, 0
	s_mul_i32 s4, s4, s7
	s_add_nc_u64 s[0:1], s[0:1], s[14:15]
	s_lshl_b64 s[16:17], s[4:5], 2
	s_mov_b32 s4, 0xb7000000
	s_add_nc_u64 s[2:3], s[2:3], s[16:17]
	s_delay_alu instid0(SALU_CYCLE_1)
	v_mad_nc_u64_u32 v[10:11], v0, 36, s[2:3]
	s_get_pc_i64 s[2:3]
	s_add_nc_u64 s[2:3], s[2:3], _ZL13iq1s_grid_gpu@rel64+4
.LBB250_3:                              ; =>This Inner Loop Header: Depth=1
	v_add_nc_u32_e32 v0, v22, v20
	s_delay_alu instid0(VALU_DEP_2) | instskip(SKIP_1) | instid1(VALU_DEP_3)
	v_mad_nc_i64_i32 v[14:15], v23, 36, v[10:11]
	v_dual_add_nc_u32 v20, 4, v20 :: v_dual_add_nc_u32 v23, 32, v23
	v_mad_nc_i64_i32 v[16:17], v0, 50, s[0:1]
	s_delay_alu instid0(VALU_DEP_2) | instskip(SKIP_1) | instid1(VALU_DEP_2)
	v_cmp_le_u32_e32 vcc_lo, s12, v20
	s_or_b32 s5, vcc_lo, s5
	v_add_nc_u64_e32 v[0:1], v[16:17], v[8:9]
	v_add_nc_u64_e32 v[2:3], v[16:17], v[12:13]
	s_clause 0x1
	global_load_b32 v25, v[0:1], off offset:2
	global_load_u16 v24, v[2:3], off offset:34
	s_clause 0x1
	global_load_b128 v[0:3], v[14:15], off offset:4
	global_load_b128 v[4:7], v[14:15], off offset:20
	global_load_u16 v26, v[16:17], off
	s_wait_loadcnt 0x4
	s_wait_xcnt 0x0
	v_and_b32_e32 v17, 0xff, v25
	s_wait_loadcnt 0x3
	v_dual_lshlrev_b32 v27, 8, v24 :: v_dual_lshlrev_b32 v29, 5, v24
	v_bfe_u32 v28, v25, 8, 8
	v_lshrrev_b32_e32 v16, 24, v25
	v_bfe_u32 v25, v25, 16, 8
	v_dual_lshlrev_b32 v30, 2, v24 :: v_dual_lshrrev_b32 v31, 1, v24
	v_and_or_b32 v17, 0x700, v27, v17
	v_and_or_b32 v27, 0x700, v29, v28
	s_wait_loadcnt 0x2
	v_ashrrev_i32_e32 v33, 24, v1
	v_and_or_b32 v25, 0x700, v30, v25
	v_and_or_b32 v16, 0x700, v31, v16
	v_dual_lshlrev_b32 v17, 3, v17 :: v_dual_lshlrev_b32 v27, 3, v27
	v_bfe_i32 v34, v1, 16, 8
	s_delay_alu instid0(VALU_DEP_3)
	v_dual_lshlrev_b32 v25, 3, v25 :: v_dual_lshlrev_b32 v16, 3, v16
	s_clause 0x3
	global_load_b32 v28, v17, s[2:3]
	global_load_b32 v29, v27, s[2:3]
	;; [unrolled: 1-line block ×4, first 2 shown]
	global_load_b32 v32, v[14:15], off
	s_wait_xcnt 0x0
	v_lshrrev_b16 v14, 8, v0
	v_lshrrev_b16 v15, 8, v1
	v_bfe_i32 v25, v0, 16, 8
	v_bfe_i32 v27, v0, 0, 8
	v_ashrrev_i32_e32 v0, 24, v0
	v_bfe_i32 v1, v1, 0, 8
	v_lshrrev_b16 v17, 8, v3
	v_dual_ashrrev_i32 v35, 24, v2 :: v_dual_ashrrev_i32 v37, 24, v3
	v_bfe_i32 v38, v3, 16, 8
	v_bfe_i32 v3, v3, 0, 8
	v_lshrrev_b16 v16, 8, v2
	v_bfe_i32 v36, v2, 16, 8
	v_bfe_i32 v2, v2, 0, 8
	s_wait_loadcnt 0x6
	v_lshrrev_b16 v39, 8, v4
	v_dual_ashrrev_i32 v43, 24, v4 :: v_dual_ashrrev_i32 v45, 24, v5
	v_bfe_i32 v44, v4, 16, 8
	v_bfe_i32 v4, v4, 0, 8
	v_lshrrev_b16 v40, 8, v5
	v_bfe_i32 v46, v5, 16, 8
	v_bfe_i32 v5, v5, 0, 8
	v_lshrrev_b16 v41, 8, v6
	v_dual_ashrrev_i32 v47, 24, v6 :: v_dual_ashrrev_i32 v49, 24, v7
	v_bfe_i32 v48, v6, 16, 8
	v_bfe_i32 v6, v6, 0, 8
	v_lshrrev_b16 v42, 8, v7
	v_bfe_i32 v50, v7, 16, 8
	v_bfe_i32 v7, v7, 0, 8
	;; [unrolled: 1-line block ×10, first 2 shown]
	s_wait_loadcnt 0x4
	v_bfe_u32 v51, v28, 24, 4
	v_and_b32_e32 v52, 0xf0f0f0f, v28
	v_dual_lshrrev_b32 v53, 4, v28 :: v_dual_lshrrev_b32 v54, 28, v28
	v_bfe_u32 v55, v28, 16, 4
	s_wait_loadcnt 0x3
	v_dual_lshrrev_b32 v60, 4, v29 :: v_dual_bitop2_b32 v56, 15, v28 bitop3:0x40
	v_bfe_u32 v57, v28, 20, 4
	v_bfe_u32 v28, v28, 4, 4
	;; [unrolled: 1-line block ×3, first 2 shown]
	v_and_b32_e32 v59, 0xf0f0f0f, v29
	v_lshrrev_b32_e32 v61, 28, v29
	v_mul_i32_i24_e32 v34, v57, v34
	v_mul_i32_i24_e32 v1, v28, v1
	v_and_b32_e32 v28, 15, v29
	v_bfe_u32 v57, v29, 16, 4
	v_mul_i32_i24_e32 v33, v54, v33
	v_bfe_u32 v54, v29, 20, 4
	v_bfe_u32 v29, v29, 4, 4
	v_mul_i32_i24_e32 v35, v35, v58
	s_wait_loadcnt 0x2
	v_lshrrev_b32_e32 v58, 4, v30
	v_mul_i32_i24_e32 v2, v2, v28
	v_bfe_u32 v28, v30, 24, 4
	v_mul_i32_i24_e32 v3, v29, v3
	v_and_b32_e32 v29, 15, v30
	v_mul_i32_i24_e32 v36, v36, v57
	v_and_b32_e32 v57, 0xf0f0f0f, v30
	v_mul_i32_i24_e32 v38, v54, v38
	v_bfe_u32 v54, v30, 16, 4
	v_mul_i32_i24_e32 v37, v61, v37
	v_lshrrev_b32_e32 v61, 28, v30
	v_mul_i32_i24_e32 v4, v4, v29
	v_bfe_u32 v29, v30, 20, 4
	v_bfe_u32 v30, v30, 4, 4
	v_mul_i32_i24_e32 v44, v44, v54
	s_wait_loadcnt 0x1
	v_bfe_u32 v54, v31, 24, 4
	v_mul_i32_i24_e32 v28, v43, v28
	v_mul_i32_i24_e32 v29, v29, v46
	;; [unrolled: 1-line block ×3, first 2 shown]
	v_and_b32_e32 v30, 15, v31
	v_bfe_u32 v46, v31, 16, 4
	v_and_b32_e32 v43, 0xf0f0f0f, v31
	v_mul_i32_i24_e32 v45, v61, v45
	v_lshrrev_b32_e32 v61, 4, v31
	v_mul_i32_i24_e32 v6, v6, v30
	v_lshrrev_b32_e32 v30, 28, v31
	v_mul_i32_i24_e32 v46, v48, v46
	v_bfe_u32 v48, v31, 20, 4
	v_bfe_u32 v31, v31, 4, 4
	v_lshrrev_b16 v53, 8, v53
	v_lshrrev_b16 v52, 8, v52
	;; [unrolled: 1-line block ×4, first 2 shown]
	v_mul_i32_i24_e32 v7, v31, v7
	v_mul_i32_i24_e32 v31, v48, v50
	v_and_b32_e32 v48, 15, v53
	v_lshrrev_b16 v57, 8, v57
	v_lshrrev_b16 v58, 8, v58
	v_mul_i32_i24_e32 v30, v30, v49
	v_and_b32_e32 v49, 0xffff, v52
	v_and_b32_e32 v50, 15, v60
	;; [unrolled: 1-line block ×3, first 2 shown]
	v_mad_i32_i24 v1, v56, v27, v1
	v_and_b32_e32 v27, 0xffff, v48
	v_lshrrev_b16 v43, 8, v43
	v_lshrrev_b16 v61, 8, v61
	v_mul_i32_i24_e32 v47, v47, v54
	v_and_b32_e32 v53, 15, v58
	v_and_b32_e32 v54, 0xffff, v57
	v_mad_i32_i24 v0, v51, v0, v33
	v_mul_i32_i24_e32 v14, v49, v14
	v_mul_i32_i24_e32 v16, v16, v52
	v_and_b32_e32 v33, 0xffff, v50
	v_mul_i32_i24_e32 v15, v27, v15
	v_add3_u32 v1, v1, v2, v3
	v_and_b32_e32 v57, 15, v61
	v_and_b32_e32 v43, 0xffff, v43
	v_mad_i32_i24 v25, v55, v25, v34
	v_mul_i32_i24_e32 v34, v39, v54
	v_add3_u32 v0, v0, v35, v37
	v_mul_i32_i24_e32 v17, v33, v17
	v_add3_u32 v14, v14, v15, v16
	v_add3_u32 v1, v1, v4, v5
	v_lshrrev_b32_e32 v5, 11, v24
	v_and_b32_e32 v39, 0xffff, v53
	v_mul_i32_i24_e32 v27, v41, v43
	v_and_b32_e32 v41, 0xffff, v57
	v_add3_u32 v15, v25, v36, v38
	v_add3_u32 v0, v0, v28, v45
	v_mul_i32_i24_e32 v2, v39, v40
	v_add3_u32 v3, v14, v17, v34
	v_mul_i32_i24_e32 v14, v41, v42
	v_add3_u32 v4, v15, v44, v29
	v_add3_u32 v0, v0, v47, v30
	;; [unrolled: 1-line block ×4, first 2 shown]
	v_and_b32_e32 v3, 0x8000, v24
	v_add3_u32 v4, v4, v46, v31
	v_and_or_b32 v5, v5, 14, 1
	s_delay_alu instid0(VALU_DEP_4)
	v_add3_u32 v0, v2, v14, v0
	s_wait_loadcnt 0x0
	v_lshrrev_b32_e32 v2, 16, v32
	v_cvt_f32_u32_e32 v3, v3
	v_cvt_f32_ubyte0_e32 v5, v5
	v_add3_u32 v4, v1, v4, v0
	v_cvt_f32_f16_e32 v1, v32
	v_cvt_f32_f16_e32 v0, v2
	v_fmaak_f32 v2, s4, v3, 0xbf600000
	s_delay_alu instid0(VALU_DEP_4) | instskip(SKIP_1) | instid1(VALU_DEP_2)
	v_cvt_f32_i32_e32 v3, v4
	v_cvt_f32_f16_e32 v4, v26
	v_pk_mul_f32 v[0:1], v[2:3], v[0:1]
	s_delay_alu instid0(VALU_DEP_1) | instskip(NEXT) | instid1(VALU_DEP_1)
	v_dual_mul_f32 v2, v5, v4 :: v_dual_add_f32 v0, v0, v1
	v_fmac_f32_e32 v21, v2, v0
	s_and_not1_b32 exec_lo, exec_lo, s5
	s_cbranch_execnz .LBB250_3
; %bb.4:
	s_or_b32 exec_lo, exec_lo, s5
.LBB250_5:
	s_delay_alu instid0(SALU_CYCLE_1) | instskip(SKIP_1) | instid1(VALU_DEP_1)
	s_or_b32 exec_lo, exec_lo, s11
	v_mbcnt_lo_u32_b32 v0, -1, 0
	v_xor_b32_e32 v2, 8, v0
	v_xor_b32_e32 v1, 16, v0
	v_xor_b32_e32 v3, 4, v0
	s_delay_alu instid0(VALU_DEP_2) | instskip(SKIP_4) | instid1(VALU_DEP_2)
	v_cmp_gt_i32_e32 vcc_lo, 32, v1
	v_cndmask_b32_e32 v1, v0, v1, vcc_lo
	v_cmp_gt_i32_e32 vcc_lo, 32, v2
	v_cndmask_b32_e32 v2, v0, v2, vcc_lo
	v_cmp_gt_i32_e32 vcc_lo, 32, v3
	v_dual_lshlrev_b32 v2, 2, v2 :: v_dual_lshlrev_b32 v1, 2, v1
	ds_bpermute_b32 v1, v1, v21
	s_wait_dscnt 0x0
	v_add_f32_e32 v1, v21, v1
	ds_bpermute_b32 v2, v2, v1
	s_wait_dscnt 0x0
	v_dual_cndmask_b32 v3, v0, v3, vcc_lo :: v_dual_add_f32 v1, v1, v2
	s_delay_alu instid0(VALU_DEP_1) | instskip(SKIP_3) | instid1(VALU_DEP_1)
	v_lshlrev_b32_e32 v3, 2, v3
	ds_bpermute_b32 v2, v3, v1
	s_wait_dscnt 0x0
	v_dual_add_f32 v1, v1, v2 :: v_dual_bitop2_b32 v3, 2, v0 bitop3:0x14
	v_cmp_gt_i32_e32 vcc_lo, 32, v3
	v_cndmask_b32_e32 v3, v0, v3, vcc_lo
	s_delay_alu instid0(VALU_DEP_1) | instskip(SKIP_2) | instid1(VALU_DEP_1)
	v_lshlrev_b32_e32 v3, 2, v3
	ds_bpermute_b32 v2, v3, v1
	v_xor_b32_e32 v3, 1, v0
	v_cmp_gt_i32_e32 vcc_lo, 32, v3
	v_cndmask_b32_e32 v3, v0, v3, vcc_lo
	v_cmp_eq_u32_e32 vcc_lo, 0, v19
	s_wait_dscnt 0x0
	s_delay_alu instid0(VALU_DEP_2)
	v_dual_add_f32 v0, v1, v2 :: v_dual_lshlrev_b32 v1, 2, v3
	ds_bpermute_b32 v1, v1, v0
	s_and_b32 exec_lo, exec_lo, vcc_lo
	s_cbranch_execz .LBB250_7
; %bb.6:
	v_mad_u32 v2, s6, s10, v18
	s_wait_dscnt 0x0
	v_add_f32_e32 v0, v0, v1
	s_wait_kmcnt 0x0
	global_store_b32 v2, v0, s[8:9] scale_offset
.LBB250_7:
	s_endpgm
	.section	.rodata,"a",@progbits
	.p2align	6, 0x0
	.amdhsa_kernel _ZL9moe_vec_qIfLi256ELi8E11block_iq1_sLi1EXadL_ZL18vec_dot_iq1_s_q8_1PKvPK10block_q8_1RKiEEEvS2_S2_PT_PS6_iiii
		.amdhsa_group_segment_fixed_size 0
		.amdhsa_private_segment_fixed_size 0
		.amdhsa_kernarg_size 304
		.amdhsa_user_sgpr_count 2
		.amdhsa_user_sgpr_dispatch_ptr 0
		.amdhsa_user_sgpr_queue_ptr 0
		.amdhsa_user_sgpr_kernarg_segment_ptr 1
		.amdhsa_user_sgpr_dispatch_id 0
		.amdhsa_user_sgpr_kernarg_preload_length 0
		.amdhsa_user_sgpr_kernarg_preload_offset 0
		.amdhsa_user_sgpr_private_segment_size 0
		.amdhsa_wavefront_size32 1
		.amdhsa_uses_dynamic_stack 0
		.amdhsa_enable_private_segment 0
		.amdhsa_system_sgpr_workgroup_id_x 1
		.amdhsa_system_sgpr_workgroup_id_y 0
		.amdhsa_system_sgpr_workgroup_id_z 1
		.amdhsa_system_sgpr_workgroup_info 0
		.amdhsa_system_vgpr_workitem_id 1
		.amdhsa_next_free_vgpr 62
		.amdhsa_next_free_sgpr 18
		.amdhsa_named_barrier_count 0
		.amdhsa_reserve_vcc 1
		.amdhsa_float_round_mode_32 0
		.amdhsa_float_round_mode_16_64 0
		.amdhsa_float_denorm_mode_32 3
		.amdhsa_float_denorm_mode_16_64 3
		.amdhsa_fp16_overflow 0
		.amdhsa_memory_ordered 1
		.amdhsa_forward_progress 1
		.amdhsa_inst_pref_size 17
		.amdhsa_round_robin_scheduling 0
		.amdhsa_exception_fp_ieee_invalid_op 0
		.amdhsa_exception_fp_denorm_src 0
		.amdhsa_exception_fp_ieee_div_zero 0
		.amdhsa_exception_fp_ieee_overflow 0
		.amdhsa_exception_fp_ieee_underflow 0
		.amdhsa_exception_fp_ieee_inexact 0
		.amdhsa_exception_int_div_zero 0
	.end_amdhsa_kernel
	.section	.text._ZL9moe_vec_qIfLi256ELi8E11block_iq1_sLi1EXadL_ZL18vec_dot_iq1_s_q8_1PKvPK10block_q8_1RKiEEEvS2_S2_PT_PS6_iiii,"axG",@progbits,_ZL9moe_vec_qIfLi256ELi8E11block_iq1_sLi1EXadL_ZL18vec_dot_iq1_s_q8_1PKvPK10block_q8_1RKiEEEvS2_S2_PT_PS6_iiii,comdat
.Lfunc_end250:
	.size	_ZL9moe_vec_qIfLi256ELi8E11block_iq1_sLi1EXadL_ZL18vec_dot_iq1_s_q8_1PKvPK10block_q8_1RKiEEEvS2_S2_PT_PS6_iiii, .Lfunc_end250-_ZL9moe_vec_qIfLi256ELi8E11block_iq1_sLi1EXadL_ZL18vec_dot_iq1_s_q8_1PKvPK10block_q8_1RKiEEEvS2_S2_PT_PS6_iiii
                                        ; -- End function
	.set _ZL9moe_vec_qIfLi256ELi8E11block_iq1_sLi1EXadL_ZL18vec_dot_iq1_s_q8_1PKvPK10block_q8_1RKiEEEvS2_S2_PT_PS6_iiii.num_vgpr, 62
	.set _ZL9moe_vec_qIfLi256ELi8E11block_iq1_sLi1EXadL_ZL18vec_dot_iq1_s_q8_1PKvPK10block_q8_1RKiEEEvS2_S2_PT_PS6_iiii.num_agpr, 0
	.set _ZL9moe_vec_qIfLi256ELi8E11block_iq1_sLi1EXadL_ZL18vec_dot_iq1_s_q8_1PKvPK10block_q8_1RKiEEEvS2_S2_PT_PS6_iiii.numbered_sgpr, 18
	.set _ZL9moe_vec_qIfLi256ELi8E11block_iq1_sLi1EXadL_ZL18vec_dot_iq1_s_q8_1PKvPK10block_q8_1RKiEEEvS2_S2_PT_PS6_iiii.num_named_barrier, 0
	.set _ZL9moe_vec_qIfLi256ELi8E11block_iq1_sLi1EXadL_ZL18vec_dot_iq1_s_q8_1PKvPK10block_q8_1RKiEEEvS2_S2_PT_PS6_iiii.private_seg_size, 0
	.set _ZL9moe_vec_qIfLi256ELi8E11block_iq1_sLi1EXadL_ZL18vec_dot_iq1_s_q8_1PKvPK10block_q8_1RKiEEEvS2_S2_PT_PS6_iiii.uses_vcc, 1
	.set _ZL9moe_vec_qIfLi256ELi8E11block_iq1_sLi1EXadL_ZL18vec_dot_iq1_s_q8_1PKvPK10block_q8_1RKiEEEvS2_S2_PT_PS6_iiii.uses_flat_scratch, 0
	.set _ZL9moe_vec_qIfLi256ELi8E11block_iq1_sLi1EXadL_ZL18vec_dot_iq1_s_q8_1PKvPK10block_q8_1RKiEEEvS2_S2_PT_PS6_iiii.has_dyn_sized_stack, 0
	.set _ZL9moe_vec_qIfLi256ELi8E11block_iq1_sLi1EXadL_ZL18vec_dot_iq1_s_q8_1PKvPK10block_q8_1RKiEEEvS2_S2_PT_PS6_iiii.has_recursion, 0
	.set _ZL9moe_vec_qIfLi256ELi8E11block_iq1_sLi1EXadL_ZL18vec_dot_iq1_s_q8_1PKvPK10block_q8_1RKiEEEvS2_S2_PT_PS6_iiii.has_indirect_call, 0
	.section	.AMDGPU.csdata,"",@progbits
; Kernel info:
; codeLenInByte = 2088
; TotalNumSgprs: 20
; NumVgprs: 62
; ScratchSize: 0
; MemoryBound: 0
; FloatMode: 240
; IeeeMode: 1
; LDSByteSize: 0 bytes/workgroup (compile time only)
; SGPRBlocks: 0
; VGPRBlocks: 3
; NumSGPRsForWavesPerEU: 20
; NumVGPRsForWavesPerEU: 62
; NamedBarCnt: 0
; Occupancy: 16
; WaveLimiterHint : 1
; COMPUTE_PGM_RSRC2:SCRATCH_EN: 0
; COMPUTE_PGM_RSRC2:USER_SGPR: 2
; COMPUTE_PGM_RSRC2:TRAP_HANDLER: 0
; COMPUTE_PGM_RSRC2:TGID_X_EN: 1
; COMPUTE_PGM_RSRC2:TGID_Y_EN: 0
; COMPUTE_PGM_RSRC2:TGID_Z_EN: 1
; COMPUTE_PGM_RSRC2:TIDIG_COMP_CNT: 1
	.section	.text._ZL9moe_vec_qIfLi32ELi4E12block_iq4_nlLi2EXadL_ZL19vec_dot_iq4_nl_q8_1PKvPK10block_q8_1RKiEEEvS2_S2_PT_PS6_iiii,"axG",@progbits,_ZL9moe_vec_qIfLi32ELi4E12block_iq4_nlLi2EXadL_ZL19vec_dot_iq4_nl_q8_1PKvPK10block_q8_1RKiEEEvS2_S2_PT_PS6_iiii,comdat
	.globl	_ZL9moe_vec_qIfLi32ELi4E12block_iq4_nlLi2EXadL_ZL19vec_dot_iq4_nl_q8_1PKvPK10block_q8_1RKiEEEvS2_S2_PT_PS6_iiii ; -- Begin function _ZL9moe_vec_qIfLi32ELi4E12block_iq4_nlLi2EXadL_ZL19vec_dot_iq4_nl_q8_1PKvPK10block_q8_1RKiEEEvS2_S2_PT_PS6_iiii
	.p2align	8
	.type	_ZL9moe_vec_qIfLi32ELi4E12block_iq4_nlLi2EXadL_ZL19vec_dot_iq4_nl_q8_1PKvPK10block_q8_1RKiEEEvS2_S2_PT_PS6_iiii,@function
_ZL9moe_vec_qIfLi32ELi4E12block_iq4_nlLi2EXadL_ZL19vec_dot_iq4_nl_q8_1PKvPK10block_q8_1RKiEEEvS2_S2_PT_PS6_iiii: ; @_ZL9moe_vec_qIfLi32ELi4E12block_iq4_nlLi2EXadL_ZL19vec_dot_iq4_nl_q8_1PKvPK10block_q8_1RKiEEEvS2_S2_PT_PS6_iiii
; %bb.0:
	s_clause 0x1
	s_load_u16 s3, s[0:1], 0x3e
	s_load_b128 s[4:7], s[0:1], 0x20
	s_bfe_u32 s2, ttmp6, 0x4000c
	s_and_b32 s8, ttmp6, 15
	s_add_co_i32 s2, s2, 1
	v_bfe_u32 v1, v0, 10, 10
	s_mul_i32 s2, ttmp9, s2
	s_delay_alu instid0(SALU_CYCLE_1) | instskip(SKIP_1) | instid1(SALU_CYCLE_1)
	s_add_co_i32 s8, s8, s2
	s_getreg_b32 s2, hwreg(HW_REG_IB_STS2, 6, 4)
	s_cmp_eq_u32 s2, 0
	s_cselect_b32 s8, ttmp9, s8
	s_wait_kmcnt 0x0
	v_mad_u32 v4, s8, s3, v1
	s_mov_b32 s3, 0
	s_mov_b32 s8, exec_lo
	s_delay_alu instid0(VALU_DEP_1)
	v_cmpx_gt_u32_e64 s6, v4
	s_cbranch_execz .LBB251_7
; %bb.1:
	s_load_b64 s[12:13], s[0:1], 0x10
	s_bfe_u32 s8, ttmp6, 0x40014
	s_lshr_b32 s9, ttmp7, 16
	s_add_co_i32 s8, s8, 1
	s_cvt_f32_u32 s11, s4
	s_mul_i32 s8, s9, s8
	s_bfe_u32 s10, ttmp6, 0x40008
	v_bfe_u32 v6, v0, 1, 9
	s_add_co_i32 s10, s10, s8
	v_rcp_iflag_f32_e32 v1, s11
	s_cmp_eq_u32 s2, 0
	v_and_b32_e32 v5, 0x3ff, v0
	s_cselect_b32 s2, s9, s10
	s_ashr_i32 s8, s5, 31
	v_mov_b32_e32 v7, 0
	s_lshr_b32 s8, s8, 27
	s_mov_b32 s16, exec_lo
	s_add_co_i32 s8, s5, s8
	v_readfirstlane_b32 s5, v1
	s_ashr_i32 s17, s8, 5
	s_delay_alu instid0(SALU_CYCLE_1)
	v_cmpx_gt_u32_e64 s17, v6
	s_cbranch_execz .LBB251_5
; %bb.2:
	s_clause 0x1
	s_load_b64 s[18:19], s[0:1], 0x18
	s_load_b128 s[8:11], s[0:1], 0x0
	s_wait_xcnt 0x0
	s_mul_f32 s0, s5, 0x4f7ffffe
	s_sub_co_i32 s5, 0, s4
	s_mov_b32 s21, s3
	v_dual_mov_b32 v1, 0 :: v_dual_lshlrev_b32 v0, 1, v5
	s_cvt_u32_f32 s0, s0
	v_mul_lo_u32 v8, v4, s17
	s_mul_i32 s22, s17, s6
	s_delay_alu instid0(VALU_DEP_2) | instskip(SKIP_3) | instid1(VALU_DEP_2)
	v_dual_mov_b32 v3, v1 :: v_dual_bitop2_b32 v0, 2, v0 bitop3:0x40
	s_mul_i32 s5, s5, s0
	v_mov_b32_e32 v7, v1
	s_mul_hi_u32 s5, s0, s5
	v_lshlrev_b32_e32 v10, 1, v0
	s_add_co_i32 s20, s0, s5
	s_mov_b32 s1, 0
	v_lshlrev_b32_e32 v2, 2, v0
	s_get_pc_i64 s[14:15]
	s_add_nc_u64 s[14:15], s[14:15], _ZL13kvalues_iq4nl@rel64+4
	s_wait_kmcnt 0x0
	s_load_b32 s23, s[18:19], s2 offset:0x0 scale_offset
	s_wait_xcnt 0x0
	s_mul_u64 s[18:19], s[2:3], s[20:21]
	v_lshlrev_b32_e32 v0, 1, v10
	s_mul_i32 s0, s19, s4
	s_add_co_i32 s3, s19, 1
	s_sub_co_i32 s0, s2, s0
	s_delay_alu instid0(SALU_CYCLE_1)
	s_sub_co_i32 s5, s0, s4
	s_cmp_ge_u32 s0, s4
	s_cselect_b32 s3, s3, s19
	s_cselect_b32 s0, s5, s0
	s_add_co_i32 s5, s3, 1
	s_cmp_ge_u32 s0, s4
	s_cselect_b32 s0, s5, s3
	s_delay_alu instid0(SALU_CYCLE_1) | instskip(NEXT) | instid1(SALU_CYCLE_1)
	s_mul_i32 s0, s0, s7
	s_lshl_b64 s[18:19], s[0:1], 2
	s_wait_kmcnt 0x0
	s_mul_i32 s4, s22, s23
	s_delay_alu instid0(SALU_CYCLE_1) | instskip(NEXT) | instid1(SALU_CYCLE_1)
	s_ashr_i32 s5, s4, 31
	s_mul_u64 s[4:5], s[4:5], 18
	s_delay_alu instid0(SALU_CYCLE_1)
	s_add_nc_u64 s[4:5], s[8:9], s[4:5]
	s_add_nc_u64 s[8:9], s[10:11], s[18:19]
.LBB251_3:                              ; =>This Inner Loop Header: Depth=1
	v_add_nc_u32_e32 v9, v8, v6
	v_mad_nc_i64_i32 v[14:15], v6, 36, s[8:9]
	v_add_nc_u32_e32 v6, 16, v6
	s_delay_alu instid0(VALU_DEP_3) | instskip(NEXT) | instid1(VALU_DEP_2)
	v_mad_nc_i64_i32 v[10:11], v9, 18, s[4:5]
	v_cmp_le_u32_e32 vcc_lo, s17, v6
	s_delay_alu instid0(VALU_DEP_4) | instskip(SKIP_1) | instid1(VALU_DEP_3)
	v_add_nc_u64_e32 v[16:17], v[14:15], v[2:3]
	s_or_b32 s1, vcc_lo, s1
	v_add_nc_u64_e32 v[12:13], v[10:11], v[0:1]
	global_load_b64 v[18:19], v[16:17], off offset:4
	global_load_b64 v[12:13], v[12:13], off offset:2
	s_wait_loadcnt 0x0
	v_and_b32_e32 v20, 15, v12
	v_bfe_u32 v21, v12, 8, 4
	v_bfe_u32 v22, v12, 16, 4
	;; [unrolled: 1-line block ×5, first 2 shown]
	v_dual_lshrrev_b32 v25, 28, v12 :: v_dual_bitop2_b32 v27, 15, v13 bitop3:0x40
	v_bfe_u32 v12, v12, 4, 4
	s_clause 0x7
	global_load_i8 v33, v20, s[14:15]
	global_load_i8 v34, v21, s[14:15]
	;; [unrolled: 1-line block ×8, first 2 shown]
	v_bfe_u32 v28, v13, 8, 4
	v_bfe_u32 v29, v13, 16, 4
	;; [unrolled: 1-line block ×5, first 2 shown]
	v_lshrrev_b32_e32 v32, 28, v13
	s_wait_xcnt 0x0
	v_bfe_u32 v9, v13, 4, 4
	s_clause 0x7
	global_load_i8 v20, v27, s[14:15]
	global_load_i8 v21, v28, s[14:15]
	;; [unrolled: 1-line block ×8, first 2 shown]
	s_clause 0x1
	global_load_b64 v[12:13], v[16:17], off offset:20
	global_load_b32 v43, v[14:15], off
	global_load_u16 v44, v[10:11], off
	s_wait_loadcnt 0x11
	s_wait_xcnt 0x3
	v_perm_b32 v9, v34, v33, 0xc0c0400
	s_wait_loadcnt 0xe
	s_wait_xcnt 0x0
	v_perm_b32 v11, v37, v36, 0xc0c0400
	s_wait_loadcnt 0xc
	v_perm_b32 v14, v39, v38, 0x4000c0c
	s_wait_loadcnt 0xb
	;; [unrolled: 2-line block ×4, first 2 shown]
	v_perm_b32 v15, v41, v22, 0x4000c0c
	v_or_b32_e32 v9, v10, v9
	v_perm_b32 v10, v21, v20, 0xc0c0400
	v_or_b32_e32 v11, v14, v11
	s_wait_loadcnt 0x3
	v_perm_b32 v14, v23, v42, 0xc0c0400
	v_dot4_i32_iu8 v9, v18, v9, 0 neg_lo:[1,1,0]
	v_or_b32_e32 v10, v15, v10
	s_wait_loadcnt 0x2
	s_delay_alu instid0(VALU_DEP_2) | instskip(SKIP_2) | instid1(VALU_DEP_2)
	v_dot4_i32_iu8 v9, v12, v11, v9 neg_lo:[1,1,0]
	s_wait_loadcnt 0x0
	v_cvt_f32_f16_e32 v12, v44
	v_dot4_i32_iu8 v9, v19, v10, v9 neg_lo:[1,1,0]
	v_cvt_f32_f16_e32 v10, v43
	s_delay_alu instid0(VALU_DEP_1) | instskip(SKIP_1) | instid1(VALU_DEP_1)
	v_mul_f32_e32 v10, v12, v10
	v_or_b32_e32 v11, v16, v14
	v_dot4_i32_iu8 v9, v13, v11, v9 neg_lo:[1,1,0]
	s_delay_alu instid0(VALU_DEP_1) | instskip(NEXT) | instid1(VALU_DEP_1)
	v_cvt_f32_i32_e32 v9, v9
	v_fmac_f32_e32 v7, v10, v9
	s_and_not1_b32 exec_lo, exec_lo, s1
	s_cbranch_execnz .LBB251_3
; %bb.4:
	s_or_b32 exec_lo, exec_lo, s1
.LBB251_5:
	s_delay_alu instid0(SALU_CYCLE_1) | instskip(SKIP_1) | instid1(VALU_DEP_1)
	s_or_b32 exec_lo, exec_lo, s16
	v_mbcnt_lo_u32_b32 v0, -1, 0
	v_xor_b32_e32 v2, 8, v0
	v_xor_b32_e32 v1, 16, v0
	v_xor_b32_e32 v3, 4, v0
	s_delay_alu instid0(VALU_DEP_2) | instskip(SKIP_4) | instid1(VALU_DEP_2)
	v_cmp_gt_i32_e32 vcc_lo, 32, v1
	v_cndmask_b32_e32 v1, v0, v1, vcc_lo
	v_cmp_gt_i32_e32 vcc_lo, 32, v2
	v_cndmask_b32_e32 v2, v0, v2, vcc_lo
	v_cmp_gt_i32_e32 vcc_lo, 32, v3
	v_dual_lshlrev_b32 v2, 2, v2 :: v_dual_lshlrev_b32 v1, 2, v1
	ds_bpermute_b32 v1, v1, v7
	s_wait_dscnt 0x0
	v_add_f32_e32 v1, v7, v1
	ds_bpermute_b32 v2, v2, v1
	s_wait_dscnt 0x0
	v_dual_cndmask_b32 v3, v0, v3, vcc_lo :: v_dual_add_f32 v1, v1, v2
	s_delay_alu instid0(VALU_DEP_1) | instskip(SKIP_3) | instid1(VALU_DEP_1)
	v_lshlrev_b32_e32 v3, 2, v3
	ds_bpermute_b32 v2, v3, v1
	s_wait_dscnt 0x0
	v_dual_add_f32 v1, v1, v2 :: v_dual_bitop2_b32 v3, 2, v0 bitop3:0x14
	v_cmp_gt_i32_e32 vcc_lo, 32, v3
	v_cndmask_b32_e32 v3, v0, v3, vcc_lo
	s_delay_alu instid0(VALU_DEP_1) | instskip(SKIP_2) | instid1(VALU_DEP_1)
	v_lshlrev_b32_e32 v3, 2, v3
	ds_bpermute_b32 v2, v3, v1
	v_xor_b32_e32 v3, 1, v0
	v_cmp_gt_i32_e32 vcc_lo, 32, v3
	v_cndmask_b32_e32 v3, v0, v3, vcc_lo
	v_cmp_eq_u32_e32 vcc_lo, 0, v5
	s_wait_dscnt 0x0
	s_delay_alu instid0(VALU_DEP_2)
	v_dual_add_f32 v0, v1, v2 :: v_dual_lshlrev_b32 v1, 2, v3
	ds_bpermute_b32 v1, v1, v0
	s_and_b32 exec_lo, exec_lo, vcc_lo
	s_cbranch_execz .LBB251_7
; %bb.6:
	v_mad_u32 v2, s6, s2, v4
	s_wait_dscnt 0x0
	v_add_f32_e32 v0, v0, v1
	s_wait_kmcnt 0x0
	global_store_b32 v2, v0, s[12:13] scale_offset
.LBB251_7:
	s_endpgm
	.section	.rodata,"a",@progbits
	.p2align	6, 0x0
	.amdhsa_kernel _ZL9moe_vec_qIfLi32ELi4E12block_iq4_nlLi2EXadL_ZL19vec_dot_iq4_nl_q8_1PKvPK10block_q8_1RKiEEEvS2_S2_PT_PS6_iiii
		.amdhsa_group_segment_fixed_size 0
		.amdhsa_private_segment_fixed_size 0
		.amdhsa_kernarg_size 304
		.amdhsa_user_sgpr_count 2
		.amdhsa_user_sgpr_dispatch_ptr 0
		.amdhsa_user_sgpr_queue_ptr 0
		.amdhsa_user_sgpr_kernarg_segment_ptr 1
		.amdhsa_user_sgpr_dispatch_id 0
		.amdhsa_user_sgpr_kernarg_preload_length 0
		.amdhsa_user_sgpr_kernarg_preload_offset 0
		.amdhsa_user_sgpr_private_segment_size 0
		.amdhsa_wavefront_size32 1
		.amdhsa_uses_dynamic_stack 0
		.amdhsa_enable_private_segment 0
		.amdhsa_system_sgpr_workgroup_id_x 1
		.amdhsa_system_sgpr_workgroup_id_y 0
		.amdhsa_system_sgpr_workgroup_id_z 1
		.amdhsa_system_sgpr_workgroup_info 0
		.amdhsa_system_vgpr_workitem_id 1
		.amdhsa_next_free_vgpr 45
		.amdhsa_next_free_sgpr 24
		.amdhsa_named_barrier_count 0
		.amdhsa_reserve_vcc 1
		.amdhsa_float_round_mode_32 0
		.amdhsa_float_round_mode_16_64 0
		.amdhsa_float_denorm_mode_32 3
		.amdhsa_float_denorm_mode_16_64 3
		.amdhsa_fp16_overflow 0
		.amdhsa_memory_ordered 1
		.amdhsa_forward_progress 1
		.amdhsa_inst_pref_size 11
		.amdhsa_round_robin_scheduling 0
		.amdhsa_exception_fp_ieee_invalid_op 0
		.amdhsa_exception_fp_denorm_src 0
		.amdhsa_exception_fp_ieee_div_zero 0
		.amdhsa_exception_fp_ieee_overflow 0
		.amdhsa_exception_fp_ieee_underflow 0
		.amdhsa_exception_fp_ieee_inexact 0
		.amdhsa_exception_int_div_zero 0
	.end_amdhsa_kernel
	.section	.text._ZL9moe_vec_qIfLi32ELi4E12block_iq4_nlLi2EXadL_ZL19vec_dot_iq4_nl_q8_1PKvPK10block_q8_1RKiEEEvS2_S2_PT_PS6_iiii,"axG",@progbits,_ZL9moe_vec_qIfLi32ELi4E12block_iq4_nlLi2EXadL_ZL19vec_dot_iq4_nl_q8_1PKvPK10block_q8_1RKiEEEvS2_S2_PT_PS6_iiii,comdat
.Lfunc_end251:
	.size	_ZL9moe_vec_qIfLi32ELi4E12block_iq4_nlLi2EXadL_ZL19vec_dot_iq4_nl_q8_1PKvPK10block_q8_1RKiEEEvS2_S2_PT_PS6_iiii, .Lfunc_end251-_ZL9moe_vec_qIfLi32ELi4E12block_iq4_nlLi2EXadL_ZL19vec_dot_iq4_nl_q8_1PKvPK10block_q8_1RKiEEEvS2_S2_PT_PS6_iiii
                                        ; -- End function
	.set _ZL9moe_vec_qIfLi32ELi4E12block_iq4_nlLi2EXadL_ZL19vec_dot_iq4_nl_q8_1PKvPK10block_q8_1RKiEEEvS2_S2_PT_PS6_iiii.num_vgpr, 45
	.set _ZL9moe_vec_qIfLi32ELi4E12block_iq4_nlLi2EXadL_ZL19vec_dot_iq4_nl_q8_1PKvPK10block_q8_1RKiEEEvS2_S2_PT_PS6_iiii.num_agpr, 0
	.set _ZL9moe_vec_qIfLi32ELi4E12block_iq4_nlLi2EXadL_ZL19vec_dot_iq4_nl_q8_1PKvPK10block_q8_1RKiEEEvS2_S2_PT_PS6_iiii.numbered_sgpr, 24
	.set _ZL9moe_vec_qIfLi32ELi4E12block_iq4_nlLi2EXadL_ZL19vec_dot_iq4_nl_q8_1PKvPK10block_q8_1RKiEEEvS2_S2_PT_PS6_iiii.num_named_barrier, 0
	.set _ZL9moe_vec_qIfLi32ELi4E12block_iq4_nlLi2EXadL_ZL19vec_dot_iq4_nl_q8_1PKvPK10block_q8_1RKiEEEvS2_S2_PT_PS6_iiii.private_seg_size, 0
	.set _ZL9moe_vec_qIfLi32ELi4E12block_iq4_nlLi2EXadL_ZL19vec_dot_iq4_nl_q8_1PKvPK10block_q8_1RKiEEEvS2_S2_PT_PS6_iiii.uses_vcc, 1
	.set _ZL9moe_vec_qIfLi32ELi4E12block_iq4_nlLi2EXadL_ZL19vec_dot_iq4_nl_q8_1PKvPK10block_q8_1RKiEEEvS2_S2_PT_PS6_iiii.uses_flat_scratch, 0
	.set _ZL9moe_vec_qIfLi32ELi4E12block_iq4_nlLi2EXadL_ZL19vec_dot_iq4_nl_q8_1PKvPK10block_q8_1RKiEEEvS2_S2_PT_PS6_iiii.has_dyn_sized_stack, 0
	.set _ZL9moe_vec_qIfLi32ELi4E12block_iq4_nlLi2EXadL_ZL19vec_dot_iq4_nl_q8_1PKvPK10block_q8_1RKiEEEvS2_S2_PT_PS6_iiii.has_recursion, 0
	.set _ZL9moe_vec_qIfLi32ELi4E12block_iq4_nlLi2EXadL_ZL19vec_dot_iq4_nl_q8_1PKvPK10block_q8_1RKiEEEvS2_S2_PT_PS6_iiii.has_indirect_call, 0
	.section	.AMDGPU.csdata,"",@progbits
; Kernel info:
; codeLenInByte = 1368
; TotalNumSgprs: 26
; NumVgprs: 45
; ScratchSize: 0
; MemoryBound: 0
; FloatMode: 240
; IeeeMode: 1
; LDSByteSize: 0 bytes/workgroup (compile time only)
; SGPRBlocks: 0
; VGPRBlocks: 2
; NumSGPRsForWavesPerEU: 26
; NumVGPRsForWavesPerEU: 45
; NamedBarCnt: 0
; Occupancy: 16
; WaveLimiterHint : 1
; COMPUTE_PGM_RSRC2:SCRATCH_EN: 0
; COMPUTE_PGM_RSRC2:USER_SGPR: 2
; COMPUTE_PGM_RSRC2:TRAP_HANDLER: 0
; COMPUTE_PGM_RSRC2:TGID_X_EN: 1
; COMPUTE_PGM_RSRC2:TGID_Y_EN: 0
; COMPUTE_PGM_RSRC2:TGID_Z_EN: 1
; COMPUTE_PGM_RSRC2:TIDIG_COMP_CNT: 1
	.section	.text._ZL9moe_vec_qIfLi256ELi8E11block_iq3_sLi1EXadL_ZL18vec_dot_iq3_s_q8_1PKvPK10block_q8_1RKiEEEvS2_S2_PT_PS6_iiii,"axG",@progbits,_ZL9moe_vec_qIfLi256ELi8E11block_iq3_sLi1EXadL_ZL18vec_dot_iq3_s_q8_1PKvPK10block_q8_1RKiEEEvS2_S2_PT_PS6_iiii,comdat
	.globl	_ZL9moe_vec_qIfLi256ELi8E11block_iq3_sLi1EXadL_ZL18vec_dot_iq3_s_q8_1PKvPK10block_q8_1RKiEEEvS2_S2_PT_PS6_iiii ; -- Begin function _ZL9moe_vec_qIfLi256ELi8E11block_iq3_sLi1EXadL_ZL18vec_dot_iq3_s_q8_1PKvPK10block_q8_1RKiEEEvS2_S2_PT_PS6_iiii
	.p2align	8
	.type	_ZL9moe_vec_qIfLi256ELi8E11block_iq3_sLi1EXadL_ZL18vec_dot_iq3_s_q8_1PKvPK10block_q8_1RKiEEEvS2_S2_PT_PS6_iiii,@function
_ZL9moe_vec_qIfLi256ELi8E11block_iq3_sLi1EXadL_ZL18vec_dot_iq3_s_q8_1PKvPK10block_q8_1RKiEEEvS2_S2_PT_PS6_iiii: ; @_ZL9moe_vec_qIfLi256ELi8E11block_iq3_sLi1EXadL_ZL18vec_dot_iq3_s_q8_1PKvPK10block_q8_1RKiEEEvS2_S2_PT_PS6_iiii
; %bb.0:
	s_clause 0x1
	s_load_u16 s3, s[0:1], 0x3e
	s_load_b128 s[4:7], s[0:1], 0x20
	s_bfe_u32 s2, ttmp6, 0x4000c
	s_and_b32 s8, ttmp6, 15
	s_add_co_i32 s2, s2, 1
	v_bfe_u32 v1, v0, 10, 10
	s_mul_i32 s2, ttmp9, s2
	s_delay_alu instid0(SALU_CYCLE_1) | instskip(SKIP_1) | instid1(SALU_CYCLE_1)
	s_add_co_i32 s8, s8, s2
	s_getreg_b32 s2, hwreg(HW_REG_IB_STS2, 6, 4)
	s_cmp_eq_u32 s2, 0
	s_cselect_b32 s8, ttmp9, s8
	s_wait_kmcnt 0x0
	v_mad_u32 v22, s8, s3, v1
	s_mov_b32 s3, exec_lo
	s_delay_alu instid0(VALU_DEP_1)
	v_cmpx_gt_u32_e64 s6, v22
	s_cbranch_execz .LBB252_9
; %bb.1:
	s_load_b64 s[8:9], s[0:1], 0x10
	s_bfe_u32 s3, ttmp6, 0x40014
	s_lshr_b32 s10, ttmp7, 16
	s_add_co_i32 s3, s3, 1
	s_bfe_u32 s11, ttmp6, 0x40008
	s_mul_i32 s3, s10, s3
	v_bfe_u32 v24, v0, 3, 7
	s_add_co_i32 s11, s11, s3
	s_cmp_eq_u32 s2, 0
	v_and_b32_e32 v23, 0x3ff, v0
	s_cselect_b32 s10, s10, s11
	s_ashr_i32 s2, s5, 31
	v_mov_b32_e32 v1, 0
	s_lshr_b32 s2, s2, 24
	s_mov_b32 s11, exec_lo
	s_add_co_i32 s2, s5, s2
	s_delay_alu instid0(SALU_CYCLE_1) | instskip(NEXT) | instid1(SALU_CYCLE_1)
	s_ashr_i32 s12, s2, 8
	v_cmpx_gt_u32_e64 s12, v24
	s_cbranch_execz .LBB252_7
; %bb.2:
	s_load_b64 s[2:3], s[0:1], 0x18
	s_cvt_f32_u32 s5, s4
	s_sub_co_i32 s16, 0, s4
	s_mul_i32 s15, s12, s6
	v_dual_mov_b32 v1, 0 :: v_dual_bitop2_b32 v2, 7, v23 bitop3:0x40
	v_rcp_iflag_f32_e32 v0, s5
	v_lshlrev_b32_e32 v12, 2, v23
	v_mul_lo_u32 v25, v22, s12
	s_delay_alu instid0(VALU_DEP_3) | instskip(SKIP_1) | instid1(TRANS32_DEP_1)
	v_dual_mov_b32 v5, v1 :: v_dual_lshlrev_b32 v4, 2, v2
	v_dual_mov_b32 v3, v1 :: v_dual_mov_b32 v7, v1
	v_readfirstlane_b32 s5, v0
	v_lshlrev_b32_e32 v0, 3, v2
	v_bfe_u32 v6, v23, 1, 2
	s_mul_f32 s14, s5, 0x4f7ffffe
	s_mov_b32 s5, 0
	s_wait_kmcnt 0x0
	s_load_b32 s13, s[2:3], s10 offset:0x0 scale_offset
	v_add_nc_u32_e32 v26, v24, v25
	s_cvt_u32_f32 s14, s14
	s_wait_xcnt 0x0
	s_load_b128 s[0:3], s[0:1], 0x0
	s_delay_alu instid0(SALU_CYCLE_1) | instskip(NEXT) | instid1(SALU_CYCLE_1)
	s_mul_i32 s16, s16, s14
	s_mul_hi_u32 s16, s14, s16
	s_delay_alu instid0(SALU_CYCLE_1) | instskip(NEXT) | instid1(SALU_CYCLE_1)
	s_add_co_i32 s14, s14, s16
	s_mul_hi_u32 s16, s10, s14
	s_delay_alu instid0(SALU_CYCLE_1)
	s_mul_i32 s14, s16, s4
	s_add_co_i32 s17, s16, 1
	s_sub_co_i32 s18, s10, s14
	s_wait_kmcnt 0x0
	s_mul_i32 s14, s15, s13
	s_sub_co_i32 s13, s18, s4
	s_ashr_i32 s15, s14, 31
	s_cmp_ge_u32 s18, s4
	s_mul_u64 s[14:15], s[14:15], 0x6e
	s_cselect_b32 s16, s17, s16
	s_cselect_b32 s13, s13, s18
	s_add_co_i32 s17, s16, 1
	s_cmp_ge_u32 s13, s4
	s_add_nc_u64 s[0:1], s[0:1], s[14:15]
	s_cselect_b32 s4, s17, s16
	v_add_nc_u64_e32 v[8:9], s[0:1], v[4:5]
	s_mul_i32 s4, s4, s7
	v_add_nc_u64_e32 v[10:11], s[0:1], v[0:1]
	s_lshl_b64 s[14:15], s[4:5], 2
	v_and_b32_e32 v0, 4, v12
	s_add_nc_u64 s[2:3], s[2:3], s[14:15]
	s_delay_alu instid0(VALU_DEP_3) | instskip(SKIP_1) | instid1(VALU_DEP_4)
	v_add_nc_u64_e32 v[8:9], 0x4a, v[8:9]
	v_mad_nc_u64_u32 v[4:5], v2, 36, s[2:3]
	v_add_nc_u64_e32 v[10:11], 2, v[10:11]
	s_get_pc_i64 s[2:3]
	s_add_nc_u64 s[2:3], s[2:3], _ZL10iq3xs_grid@rel64+4
.LBB252_3:                              ; =>This Loop Header: Depth=1
                                        ;     Child Loop BB252_4 Depth 2
	v_add_nc_u32_e32 v12, v24, v25
	s_delay_alu instid0(VALU_DEP_4) | instskip(NEXT) | instid1(VALU_DEP_3)
	v_mad_nc_i64_i32 v[16:17], 0x6e, v26, v[8:9]
	v_mad_nc_i64_i32 v[18:19], 0x6e, v26, v[10:11]
	v_mov_b32_e32 v27, 0
	s_mov_b32 s4, 7
	v_mad_nc_i64_i32 v[12:13], 0x6e, v12, s[0:1]
	s_delay_alu instid0(VALU_DEP_1) | instskip(SKIP_3) | instid1(VALU_DEP_1)
	v_add_nc_u64_e32 v[14:15], v[12:13], v[2:3]
	global_load_u8 v28, v[14:15], off offset:66
	s_wait_xcnt 0x0
	v_lshlrev_b32_e32 v14, 3, v24
	v_mad_nc_i64_i32 v[14:15], v14, 36, v[4:5]
	s_delay_alu instid0(VALU_DEP_1)
	v_add_nc_u64_e32 v[20:21], 4, v[14:15]
.LBB252_4:                              ;   Parent Loop BB252_3 Depth=1
                                        ; =>  This Inner Loop Header: Depth=2
	global_load_u16 v29, v[18:19], off
	s_add_co_i32 s7, s4, 1
	s_wait_loadcnt 0x1
	v_dual_lshlrev_b32 v30, s4, v28 :: v_dual_lshlrev_b32 v31, s7, v28
	global_load_u8 v32, v[16:17], off
	s_wait_xcnt 0x0
	v_add_nc_u64_e32 v[16:17], 1, v[16:17]
	v_add_nc_u64_e32 v[18:19], 2, v[18:19]
	s_add_co_i32 s4, s4, -2
	s_delay_alu instid0(SALU_CYCLE_1) | instskip(SKIP_3) | instid1(VALU_DEP_2)
	s_cmp_lg_u32 s4, -1
	s_wait_loadcnt 0x1
	v_lshrrev_b16 v33, 8, v29
	v_and_b32_e32 v29, 0xff, v29
	v_and_b32_e32 v33, 0xffff, v33
	s_delay_alu instid0(VALU_DEP_2) | instskip(NEXT) | instid1(VALU_DEP_2)
	v_and_or_b32 v29, 0x100, v31, v29
	v_and_or_b32 v33, 0x100, v30, v33
	s_clause 0x1
	global_load_b32 v34, v29, s[2:3] scale_offset
	global_load_b32 v35, v33, s[2:3] scale_offset
	global_load_b64 v[30:31], v[20:21], off
	s_wait_loadcnt 0x3
	s_wait_xcnt 0x2
	v_and_b32_e32 v29, 15, v32
	v_lshrrev_b16 v32, 4, v32
	s_wait_xcnt 0x0
	v_add_nc_u64_e32 v[20:21], 8, v[20:21]
	s_delay_alu instid0(VALU_DEP_2) | instskip(NEXT) | instid1(VALU_DEP_1)
	v_and_b32_e32 v32, 0xffff, v32
	v_mul_lo_u32 v32, 0x1010101, v32
	s_delay_alu instid0(VALU_DEP_1)
	v_bitop3_b32 v44, v32, 0x8040201, v32 bitop3:0xc
	v_bitop3_b32 v45, v32, 0x40000, v32 bitop3:0xc
	;; [unrolled: 1-line block ×4, first 2 shown]
	s_wait_loadcnt 0x0
	v_ashrrev_i32_e32 v37, 24, v30
	v_and_b32_e32 v29, 0xffff, v29
	v_lshrrev_b16 v33, 8, v30
	v_lshrrev_b16 v36, 8, v31
	v_bfe_i32 v40, v31, 16, 8
	v_bfe_i32 v38, v30, 16, 8
	v_mul_lo_u32 v29, 0x1010101, v29
	v_bfe_i32 v30, v30, 0, 8
	v_bfe_i32 v33, v33, 0, 8
	;; [unrolled: 1-line block ×3, first 2 shown]
	s_delay_alu instid0(VALU_DEP_4) | instskip(SKIP_3) | instid1(VALU_DEP_4)
	v_bitop3_b32 v41, v29, 0x8040201, v29 bitop3:0xc
	v_bitop3_b32 v42, v29, 0x40000, v29 bitop3:0xc
	;; [unrolled: 1-line block ×4, first 2 shown]
	v_cmp_gt_u32_e32 vcc_lo, 0x1000000, v41
	v_cndmask_b32_e64 v41, 0, -1, vcc_lo
	v_cmp_eq_u32_e32 vcc_lo, 0, v42
	v_ashrrev_i32_e32 v39, 24, v31
	v_bfe_i32 v31, v31, 0, 8
	s_delay_alu instid0(VALU_DEP_4)
	v_lshlrev_b32_e32 v41, 24, v41
	v_cndmask_b32_e64 v42, 0, 0xff0000, vcc_lo
	v_cmp_eq_u32_e32 vcc_lo, 0, v43
	v_cndmask_b32_e64 v43, 0, 0xff00, vcc_lo
	v_cmp_eq_u32_e32 vcc_lo, 0, v29
	v_cndmask_b32_e64 v29, 0, 0xff, vcc_lo
	v_cmp_gt_u32_e32 vcc_lo, 0x1000000, v44
	s_delay_alu instid0(VALU_DEP_2) | instskip(SKIP_2) | instid1(VALU_DEP_3)
	v_or3_b32 v47, v43, v29, v42
	v_cndmask_b32_e64 v44, 0, -1, vcc_lo
	v_cmp_eq_u32_e32 vcc_lo, 0, v45
	v_bitop3_b32 v34, v47, v34, v41 bitop3:0x36
	s_delay_alu instid0(VALU_DEP_3) | instskip(SKIP_2) | instid1(VALU_DEP_4)
	v_lshlrev_b32_e32 v44, 24, v44
	v_cndmask_b32_e64 v45, 0, 0xff0000, vcc_lo
	v_cmp_eq_u32_e32 vcc_lo, 0, v46
	v_dual_sub_nc_u32 v42, v34, v42 :: v_dual_sub_nc_u32 v29, v34, v29
	v_cndmask_b32_e64 v46, 0, 0xff00, vcc_lo
	v_cmp_eq_u32_e32 vcc_lo, 0, v32
	v_cndmask_b32_e64 v32, 0, 0xff, vcc_lo
	s_delay_alu instid0(VALU_DEP_1) | instskip(NEXT) | instid1(VALU_DEP_1)
	v_or3_b32 v48, v46, v32, v45
	v_bitop3_b32 v35, v48, v35, v44 bitop3:0x36
	v_dual_sub_nc_u32 v41, v34, v41 :: v_dual_sub_nc_u32 v34, v34, v43
	v_perm_b32 v29, v42, v29, 0xc060c00
	s_delay_alu instid0(VALU_DEP_3) | instskip(SKIP_1) | instid1(VALU_DEP_4)
	v_dual_sub_nc_u32 v42, v35, v45 :: v_dual_sub_nc_u32 v43, v35, v46
	v_sub_nc_u32_e32 v32, v35, v32
	v_dual_sub_nc_u32 v35, v35, v44 :: v_dual_ashrrev_i32 v41, 24, v41
	v_lshrrev_b16 v34, 8, v34
	s_delay_alu instid0(VALU_DEP_3) | instskip(SKIP_1) | instid1(VALU_DEP_4)
	v_perm_b32 v32, v42, v32, 0xc060c00
	v_lshrrev_b16 v42, 8, v43
	v_ashrrev_i32_e32 v35, 24, v35
	v_bfe_i32 v43, v29, 0, 8
	v_bfe_i32 v29, v29, 16, 8
	;; [unrolled: 1-line block ×6, first 2 shown]
	v_mul_i32_i24_e32 v35, v35, v39
	v_mul_i32_i24_e32 v39, v44, v40
	;; [unrolled: 1-line block ×6, first 2 shown]
	v_mad_i32_i24 v34, v41, v37, v35
	v_mad_i32_i24 v29, v29, v38, v39
	s_delay_alu instid0(VALU_DEP_2) | instskip(NEXT) | instid1(VALU_DEP_2)
	v_add3_u32 v32, v33, v32, v34
	v_add3_u32 v29, v30, v31, v29
	s_delay_alu instid0(VALU_DEP_1)
	v_add3_u32 v27, v29, v32, v27
	s_cbranch_scc1 .LBB252_4
; %bb.5:                                ;   in Loop: Header=BB252_3 Depth=1
	v_add_nc_u64_e32 v[16:17], v[12:13], v[6:7]
	s_clause 0x1
	global_load_u8 v18, v[16:17], off offset:106
	global_load_u16 v19, v[12:13], off
	global_load_b32 v20, v[14:15], off
	v_dual_add_nc_u32 v26, 4, v26 :: v_dual_add_nc_u32 v24, 4, v24
	s_delay_alu instid0(VALU_DEP_1)
	v_cmp_le_u32_e32 vcc_lo, s12, v24
	s_or_b32 s5, vcc_lo, s5
	s_wait_loadcnt 0x2
	s_wait_xcnt 0x1
	v_bfe_u32 v12, v18, v0, 4
	s_wait_loadcnt 0x1
	v_cvt_f32_f16_e32 v13, v19
	s_wait_loadcnt 0x0
	v_cvt_f32_f16_e32 v14, v20
	v_cvt_f32_ubyte0_e32 v12, v12
	s_delay_alu instid0(VALU_DEP_1) | instskip(NEXT) | instid1(VALU_DEP_1)
	v_add_f32_e32 v12, 0.5, v12
	v_mul_f32_e32 v12, v12, v13
	v_cvt_f32_i32_e32 v13, v27
	s_delay_alu instid0(VALU_DEP_2) | instskip(NEXT) | instid1(VALU_DEP_1)
	v_mul_f32_e32 v12, v12, v14
	v_mul_f32_e32 v12, 0.5, v12
	s_delay_alu instid0(VALU_DEP_1)
	v_fmac_f32_e32 v1, v12, v13
	s_and_not1_b32 exec_lo, exec_lo, s5
	s_cbranch_execnz .LBB252_3
; %bb.6:
	s_or_b32 exec_lo, exec_lo, s5
.LBB252_7:
	s_delay_alu instid0(SALU_CYCLE_1) | instskip(SKIP_1) | instid1(VALU_DEP_1)
	s_or_b32 exec_lo, exec_lo, s11
	v_mbcnt_lo_u32_b32 v0, -1, 0
	v_xor_b32_e32 v3, 8, v0
	v_xor_b32_e32 v2, 16, v0
	s_delay_alu instid0(VALU_DEP_1) | instskip(SKIP_1) | instid1(VALU_DEP_4)
	v_cmp_gt_i32_e32 vcc_lo, 32, v2
	v_cndmask_b32_e32 v2, v0, v2, vcc_lo
	v_cmp_gt_i32_e32 vcc_lo, 32, v3
	v_cndmask_b32_e32 v3, v0, v3, vcc_lo
	s_delay_alu instid0(VALU_DEP_1)
	v_dual_lshlrev_b32 v3, 2, v3 :: v_dual_lshlrev_b32 v2, 2, v2
	ds_bpermute_b32 v2, v2, v1
	s_wait_dscnt 0x0
	v_add_f32_e32 v1, v1, v2
	ds_bpermute_b32 v2, v3, v1
	v_xor_b32_e32 v3, 4, v0
	s_delay_alu instid0(VALU_DEP_1) | instskip(SKIP_2) | instid1(VALU_DEP_1)
	v_cmp_gt_i32_e32 vcc_lo, 32, v3
	s_wait_dscnt 0x0
	v_dual_cndmask_b32 v3, v0, v3, vcc_lo :: v_dual_add_f32 v1, v1, v2
	v_lshlrev_b32_e32 v3, 2, v3
	ds_bpermute_b32 v2, v3, v1
	s_wait_dscnt 0x0
	v_dual_add_f32 v1, v1, v2 :: v_dual_bitop2_b32 v3, 2, v0 bitop3:0x14
	s_delay_alu instid0(VALU_DEP_1) | instskip(SKIP_1) | instid1(VALU_DEP_1)
	v_cmp_gt_i32_e32 vcc_lo, 32, v3
	v_cndmask_b32_e32 v3, v0, v3, vcc_lo
	v_lshlrev_b32_e32 v3, 2, v3
	ds_bpermute_b32 v2, v3, v1
	v_xor_b32_e32 v3, 1, v0
	s_delay_alu instid0(VALU_DEP_1) | instskip(SKIP_3) | instid1(VALU_DEP_2)
	v_cmp_gt_i32_e32 vcc_lo, 32, v3
	v_cndmask_b32_e32 v3, v0, v3, vcc_lo
	v_cmp_eq_u32_e32 vcc_lo, 0, v23
	s_wait_dscnt 0x0
	v_dual_add_f32 v0, v1, v2 :: v_dual_lshlrev_b32 v1, 2, v3
	ds_bpermute_b32 v1, v1, v0
	s_and_b32 exec_lo, exec_lo, vcc_lo
	s_cbranch_execz .LBB252_9
; %bb.8:
	v_mad_u32 v2, s6, s10, v22
	s_wait_dscnt 0x0
	v_add_f32_e32 v0, v0, v1
	s_wait_kmcnt 0x0
	global_store_b32 v2, v0, s[8:9] scale_offset
.LBB252_9:
	s_endpgm
	.section	.rodata,"a",@progbits
	.p2align	6, 0x0
	.amdhsa_kernel _ZL9moe_vec_qIfLi256ELi8E11block_iq3_sLi1EXadL_ZL18vec_dot_iq3_s_q8_1PKvPK10block_q8_1RKiEEEvS2_S2_PT_PS6_iiii
		.amdhsa_group_segment_fixed_size 0
		.amdhsa_private_segment_fixed_size 0
		.amdhsa_kernarg_size 304
		.amdhsa_user_sgpr_count 2
		.amdhsa_user_sgpr_dispatch_ptr 0
		.amdhsa_user_sgpr_queue_ptr 0
		.amdhsa_user_sgpr_kernarg_segment_ptr 1
		.amdhsa_user_sgpr_dispatch_id 0
		.amdhsa_user_sgpr_kernarg_preload_length 0
		.amdhsa_user_sgpr_kernarg_preload_offset 0
		.amdhsa_user_sgpr_private_segment_size 0
		.amdhsa_wavefront_size32 1
		.amdhsa_uses_dynamic_stack 0
		.amdhsa_enable_private_segment 0
		.amdhsa_system_sgpr_workgroup_id_x 1
		.amdhsa_system_sgpr_workgroup_id_y 0
		.amdhsa_system_sgpr_workgroup_id_z 1
		.amdhsa_system_sgpr_workgroup_info 0
		.amdhsa_system_vgpr_workitem_id 1
		.amdhsa_next_free_vgpr 49
		.amdhsa_next_free_sgpr 19
		.amdhsa_named_barrier_count 0
		.amdhsa_reserve_vcc 1
		.amdhsa_float_round_mode_32 0
		.amdhsa_float_round_mode_16_64 0
		.amdhsa_float_denorm_mode_32 3
		.amdhsa_float_denorm_mode_16_64 3
		.amdhsa_fp16_overflow 0
		.amdhsa_memory_ordered 1
		.amdhsa_forward_progress 1
		.amdhsa_inst_pref_size 15
		.amdhsa_round_robin_scheduling 0
		.amdhsa_exception_fp_ieee_invalid_op 0
		.amdhsa_exception_fp_denorm_src 0
		.amdhsa_exception_fp_ieee_div_zero 0
		.amdhsa_exception_fp_ieee_overflow 0
		.amdhsa_exception_fp_ieee_underflow 0
		.amdhsa_exception_fp_ieee_inexact 0
		.amdhsa_exception_int_div_zero 0
	.end_amdhsa_kernel
	.section	.text._ZL9moe_vec_qIfLi256ELi8E11block_iq3_sLi1EXadL_ZL18vec_dot_iq3_s_q8_1PKvPK10block_q8_1RKiEEEvS2_S2_PT_PS6_iiii,"axG",@progbits,_ZL9moe_vec_qIfLi256ELi8E11block_iq3_sLi1EXadL_ZL18vec_dot_iq3_s_q8_1PKvPK10block_q8_1RKiEEEvS2_S2_PT_PS6_iiii,comdat
.Lfunc_end252:
	.size	_ZL9moe_vec_qIfLi256ELi8E11block_iq3_sLi1EXadL_ZL18vec_dot_iq3_s_q8_1PKvPK10block_q8_1RKiEEEvS2_S2_PT_PS6_iiii, .Lfunc_end252-_ZL9moe_vec_qIfLi256ELi8E11block_iq3_sLi1EXadL_ZL18vec_dot_iq3_s_q8_1PKvPK10block_q8_1RKiEEEvS2_S2_PT_PS6_iiii
                                        ; -- End function
	.set _ZL9moe_vec_qIfLi256ELi8E11block_iq3_sLi1EXadL_ZL18vec_dot_iq3_s_q8_1PKvPK10block_q8_1RKiEEEvS2_S2_PT_PS6_iiii.num_vgpr, 49
	.set _ZL9moe_vec_qIfLi256ELi8E11block_iq3_sLi1EXadL_ZL18vec_dot_iq3_s_q8_1PKvPK10block_q8_1RKiEEEvS2_S2_PT_PS6_iiii.num_agpr, 0
	.set _ZL9moe_vec_qIfLi256ELi8E11block_iq3_sLi1EXadL_ZL18vec_dot_iq3_s_q8_1PKvPK10block_q8_1RKiEEEvS2_S2_PT_PS6_iiii.numbered_sgpr, 19
	.set _ZL9moe_vec_qIfLi256ELi8E11block_iq3_sLi1EXadL_ZL18vec_dot_iq3_s_q8_1PKvPK10block_q8_1RKiEEEvS2_S2_PT_PS6_iiii.num_named_barrier, 0
	.set _ZL9moe_vec_qIfLi256ELi8E11block_iq3_sLi1EXadL_ZL18vec_dot_iq3_s_q8_1PKvPK10block_q8_1RKiEEEvS2_S2_PT_PS6_iiii.private_seg_size, 0
	.set _ZL9moe_vec_qIfLi256ELi8E11block_iq3_sLi1EXadL_ZL18vec_dot_iq3_s_q8_1PKvPK10block_q8_1RKiEEEvS2_S2_PT_PS6_iiii.uses_vcc, 1
	.set _ZL9moe_vec_qIfLi256ELi8E11block_iq3_sLi1EXadL_ZL18vec_dot_iq3_s_q8_1PKvPK10block_q8_1RKiEEEvS2_S2_PT_PS6_iiii.uses_flat_scratch, 0
	.set _ZL9moe_vec_qIfLi256ELi8E11block_iq3_sLi1EXadL_ZL18vec_dot_iq3_s_q8_1PKvPK10block_q8_1RKiEEEvS2_S2_PT_PS6_iiii.has_dyn_sized_stack, 0
	.set _ZL9moe_vec_qIfLi256ELi8E11block_iq3_sLi1EXadL_ZL18vec_dot_iq3_s_q8_1PKvPK10block_q8_1RKiEEEvS2_S2_PT_PS6_iiii.has_recursion, 0
	.set _ZL9moe_vec_qIfLi256ELi8E11block_iq3_sLi1EXadL_ZL18vec_dot_iq3_s_q8_1PKvPK10block_q8_1RKiEEEvS2_S2_PT_PS6_iiii.has_indirect_call, 0
	.section	.AMDGPU.csdata,"",@progbits
; Kernel info:
; codeLenInByte = 1808
; TotalNumSgprs: 21
; NumVgprs: 49
; ScratchSize: 0
; MemoryBound: 0
; FloatMode: 240
; IeeeMode: 1
; LDSByteSize: 0 bytes/workgroup (compile time only)
; SGPRBlocks: 0
; VGPRBlocks: 3
; NumSGPRsForWavesPerEU: 21
; NumVGPRsForWavesPerEU: 49
; NamedBarCnt: 0
; Occupancy: 16
; WaveLimiterHint : 1
; COMPUTE_PGM_RSRC2:SCRATCH_EN: 0
; COMPUTE_PGM_RSRC2:USER_SGPR: 2
; COMPUTE_PGM_RSRC2:TRAP_HANDLER: 0
; COMPUTE_PGM_RSRC2:TGID_X_EN: 1
; COMPUTE_PGM_RSRC2:TGID_Y_EN: 0
; COMPUTE_PGM_RSRC2:TGID_Z_EN: 1
; COMPUTE_PGM_RSRC2:TIDIG_COMP_CNT: 1
	.section	.text._ZL9moe_vec_qIfLi256ELi8E11block_iq2_sLi1EXadL_ZL18vec_dot_iq2_s_q8_1PKvPK10block_q8_1RKiEEEvS2_S2_PT_PS6_iiii,"axG",@progbits,_ZL9moe_vec_qIfLi256ELi8E11block_iq2_sLi1EXadL_ZL18vec_dot_iq2_s_q8_1PKvPK10block_q8_1RKiEEEvS2_S2_PT_PS6_iiii,comdat
	.globl	_ZL9moe_vec_qIfLi256ELi8E11block_iq2_sLi1EXadL_ZL18vec_dot_iq2_s_q8_1PKvPK10block_q8_1RKiEEEvS2_S2_PT_PS6_iiii ; -- Begin function _ZL9moe_vec_qIfLi256ELi8E11block_iq2_sLi1EXadL_ZL18vec_dot_iq2_s_q8_1PKvPK10block_q8_1RKiEEEvS2_S2_PT_PS6_iiii
	.p2align	8
	.type	_ZL9moe_vec_qIfLi256ELi8E11block_iq2_sLi1EXadL_ZL18vec_dot_iq2_s_q8_1PKvPK10block_q8_1RKiEEEvS2_S2_PT_PS6_iiii,@function
_ZL9moe_vec_qIfLi256ELi8E11block_iq2_sLi1EXadL_ZL18vec_dot_iq2_s_q8_1PKvPK10block_q8_1RKiEEEvS2_S2_PT_PS6_iiii: ; @_ZL9moe_vec_qIfLi256ELi8E11block_iq2_sLi1EXadL_ZL18vec_dot_iq2_s_q8_1PKvPK10block_q8_1RKiEEEvS2_S2_PT_PS6_iiii
; %bb.0:
	s_clause 0x1
	s_load_u16 s2, s[0:1], 0x3e
	s_load_b128 s[4:7], s[0:1], 0x20
	s_bfe_u32 s3, ttmp6, 0x4000c
	s_and_b32 s8, ttmp6, 15
	s_add_co_i32 s3, s3, 1
	v_bfe_u32 v1, v0, 10, 10
	s_mul_i32 s3, ttmp9, s3
	s_delay_alu instid0(SALU_CYCLE_1) | instskip(SKIP_1) | instid1(SALU_CYCLE_1)
	s_add_co_i32 s3, s8, s3
	s_getreg_b32 s8, hwreg(HW_REG_IB_STS2, 6, 4)
	s_cmp_eq_u32 s8, 0
	s_cselect_b32 s3, ttmp9, s3
	s_wait_kmcnt 0x0
	v_mad_u32 v22, s3, s2, v1
	s_mov_b32 s2, exec_lo
	s_delay_alu instid0(VALU_DEP_1)
	v_cmpx_gt_u32_e64 s6, v22
	s_cbranch_execz .LBB253_7
; %bb.1:
	s_load_b64 s[2:3], s[0:1], 0x10
	s_bfe_u32 s9, ttmp6, 0x40014
	s_lshr_b32 s10, ttmp7, 16
	s_add_co_i32 s9, s9, 1
	s_bfe_u32 s11, ttmp6, 0x40008
	s_mul_i32 s9, s10, s9
	v_bfe_u32 v24, v0, 3, 7
	s_add_co_i32 s11, s11, s9
	s_cmp_eq_u32 s8, 0
	v_and_b32_e32 v23, 0x3ff, v0
	s_cselect_b32 s10, s10, s11
	s_ashr_i32 s8, s5, 31
	v_mov_b32_e32 v25, 0
	s_lshr_b32 s8, s8, 24
	s_mov_b32 s11, exec_lo
	s_add_co_i32 s5, s5, s8
	s_delay_alu instid0(SALU_CYCLE_1) | instskip(NEXT) | instid1(SALU_CYCLE_1)
	s_ashr_i32 s12, s5, 8
	v_cmpx_gt_u32_e64 s12, v24
	s_cbranch_execz .LBB253_5
; %bb.2:
	s_clause 0x1
	s_load_b64 s[8:9], s[0:1], 0x18
	s_load_b128 s[16:19], s[0:1], 0x0
	s_cvt_f32_u32 s5, s4
	s_wait_xcnt 0x0
	s_mul_i32 s1, s12, s6
	v_dual_mov_b32 v5, 0 :: v_dual_bitop2_b32 v4, 7, v23 bitop3:0x40
	v_rcp_iflag_f32_e32 v0, s5
	v_mul_lo_u32 v26, v22, s12
	v_lshlrev_b32_e32 v27, 3, v24
	s_delay_alu instid0(VALU_DEP_3) | instskip(SKIP_1) | instid1(TRANS32_DEP_1)
	v_dual_mov_b32 v9, v5 :: v_dual_lshlrev_b32 v8, 2, v4
	v_mov_b32_e32 v25, v5
	v_readfirstlane_b32 s5, v0
	s_mul_f32 s5, s5, 0x4f7ffffe
	s_wait_kmcnt 0x0
	s_load_b32 s8, s[8:9], s10 offset:0x0 scale_offset
	s_wait_xcnt 0x0
	s_sub_co_i32 s9, 0, s4
	s_cvt_u32_f32 s5, s5
	s_delay_alu instid0(SALU_CYCLE_3) | instskip(NEXT) | instid1(SALU_CYCLE_1)
	s_mul_i32 s9, s9, s5
	s_mul_hi_u32 s9, s5, s9
	s_delay_alu instid0(SALU_CYCLE_1) | instskip(NEXT) | instid1(SALU_CYCLE_1)
	s_add_co_i32 s5, s5, s9
	s_mul_hi_u32 s0, s10, s5
	s_delay_alu instid0(SALU_CYCLE_1)
	s_mul_i32 s5, s0, s4
	s_add_co_i32 s13, s0, 1
	s_sub_co_i32 s5, s10, s5
	s_wait_kmcnt 0x0
	s_mul_i32 s8, s1, s8
	s_sub_co_i32 s1, s5, s4
	s_ashr_i32 s9, s8, 31
	s_cmp_ge_u32 s5, s4
	s_mul_u64 s[8:9], s[8:9], 0x52
	s_cselect_b32 s0, s13, s0
	s_cselect_b32 s1, s1, s5
	s_add_co_i32 s5, s0, 1
	s_cmp_ge_u32 s1, s4
	s_mov_b32 s1, 0
	s_cselect_b32 s0, s5, s0
	s_add_nc_u64 s[8:9], s[16:17], s[8:9]
	s_mul_i32 s0, s0, s7
	s_delay_alu instid0(SALU_CYCLE_1) | instskip(NEXT) | instid1(SALU_CYCLE_1)
	s_lshl_b64 s[4:5], s[0:1], 2
	s_add_nc_u64 s[4:5], s[18:19], s[4:5]
	s_delay_alu instid0(SALU_CYCLE_1)
	v_mad_nc_u64_u32 v[6:7], v4, 36, s[4:5]
	s_get_pc_i64 s[4:5]
	s_add_nc_u64 s[4:5], s[4:5], _ZL9iq2s_grid@rel64+4
.LBB253_3:                              ; =>This Inner Loop Header: Depth=1
	v_add_nc_u32_e32 v0, v26, v24
	s_delay_alu instid0(VALU_DEP_2) | instskip(SKIP_1) | instid1(VALU_DEP_3)
	v_mad_nc_i64_i32 v[12:13], v27, 36, v[6:7]
	v_dual_add_nc_u32 v24, 4, v24 :: v_dual_add_nc_u32 v27, 32, v27
	v_mad_nc_i64_i32 v[10:11], 0x52, v0, s[8:9]
	s_delay_alu instid0(VALU_DEP_1)
	v_add_nc_u64_e32 v[14:15], v[10:11], v[8:9]
	v_add_nc_u64_e32 v[16:17], v[10:11], v[4:5]
	s_clause 0x1
	global_load_b32 v18, v[14:15], off offset:2
	global_load_u8 v19, v[16:17], off offset:66
	global_load_b128 v[0:3], v[12:13], off offset:20
	s_clause 0x1
	global_load_u8 v34, v[16:17], off offset:74
	global_load_b32 v35, v[14:15], off offset:34
	s_wait_loadcnt 0x4
	s_wait_xcnt 0x0
	v_and_b32_e32 v14, 0xff, v18
	s_wait_loadcnt 0x3
	v_lshlrev_b32_e32 v15, 8, v19
	v_bfe_u32 v16, v18, 8, 8
	v_dual_lshlrev_b32 v17, 6, v19 :: v_dual_lshlrev_b32 v21, 4, v19
	v_bfe_u32 v20, v18, 16, 8
	v_dual_lshrrev_b32 v18, 24, v18 :: v_dual_lshlrev_b32 v19, 2, v19
	v_and_or_b32 v36, 0x300, v15, v14
	s_delay_alu instid0(VALU_DEP_4) | instskip(NEXT) | instid1(VALU_DEP_4)
	v_and_or_b32 v37, 0x300, v17, v16
	v_and_or_b32 v38, 0x300, v21, v20
	s_delay_alu instid0(VALU_DEP_4)
	v_and_or_b32 v39, 0x300, v19, v18
	s_clause 0x3
	global_load_b64 v[20:21], v36, s[4:5] scale_offset
	global_load_b64 v[18:19], v37, s[4:5] scale_offset
	;; [unrolled: 1-line block ×4, first 2 shown]
	s_clause 0x1
	global_load_b128 v[30:33], v[12:13], off offset:4
	global_load_b32 v29, v[12:13], off
	global_load_u16 v28, v[10:11], off
	s_wait_loadcnt 0x9
	s_wait_xcnt 0x1
	v_perm_b32 v12, v0, v1, 0xc0c0400
	v_perm_b32 v13, v3, v2, 0x4000c0c
	s_wait_xcnt 0x0
	v_perm_b32 v11, v3, v2, 0x6020c0c
	v_perm_b32 v37, v3, v2, 0x7030c0c
	;; [unrolled: 1-line block ×4, first 2 shown]
	v_or_b32_e32 v3, v13, v12
	v_perm_b32 v36, v0, v1, 0xc0c0703
	v_perm_b32 v1, v0, v1, 0xc0c0501
	s_delay_alu instid0(VALU_DEP_4) | instskip(NEXT) | instid1(VALU_DEP_2)
	v_or_b32_e32 v0, v11, v10
	v_or_b32_e32 v11, v2, v1
	s_wait_loadcnt 0x2
	v_perm_b32 v38, v30, v31, 0xc0c0602
	v_perm_b32 v40, v30, v31, 0xc0c0400
	;; [unrolled: 1-line block ×8, first 2 shown]
	v_bfe_u32 v33, v35, 8, 4
	v_or_b32_e32 v13, v31, v30
	v_and_b32_e32 v31, 15, v35
	v_or_b32_e32 v2, v41, v40
	v_or_b32_e32 v12, v43, v42
	v_mul_lo_u32 v33, 0x1010101, v33
	v_lshrrev_b16 v32, 4, v35
	v_mul_lo_u32 v31, 0x1010101, v31
	v_lshrrev_b32_e32 v30, 8, v35
	s_delay_alu instid0(VALU_DEP_1)
	v_lshrrev_b16 v30, 4, v30
	v_bitop3_b32 v43, v33, 0x8040201, v33 bitop3:0xc
	v_bitop3_b32 v44, v33, 0x40000, v33 bitop3:0xc
	;; [unrolled: 1-line block ×7, first 2 shown]
	v_cmp_gt_u32_e32 vcc_lo, 0x1000000, v40
	v_bitop3_b32 v33, v33, 1, v33 bitop3:0xc
	v_cndmask_b32_e64 v40, 0, -1, vcc_lo
	v_cmp_eq_u32_e32 vcc_lo, 0, v41
	s_delay_alu instid0(VALU_DEP_2)
	v_lshlrev_b32_e32 v40, 24, v40
	v_cndmask_b32_e64 v41, 0, 0xff0000, vcc_lo
	v_cmp_eq_u32_e32 vcc_lo, 0, v42
	v_cndmask_b32_e64 v42, 0, 0xff00, vcc_lo
	v_cmp_eq_u32_e32 vcc_lo, 0, v31
	v_cndmask_b32_e64 v31, 0, 0xff, vcc_lo
	v_cmp_gt_u32_e32 vcc_lo, 0x1000000, v43
	s_delay_alu instid0(VALU_DEP_2)
	v_or3_b32 v58, v42, v31, v41
	v_cndmask_b32_e64 v43, 0, -1, vcc_lo
	v_or_b32_e32 v10, v37, v36
	v_bfe_u32 v36, v35, 16, 4
	v_bfe_u32 v37, v35, 20, 4
	v_cmp_eq_u32_e32 vcc_lo, 0, v44
	v_bitop3_b32 v20, v58, v20, v40 bitop3:0x36
	v_and_b32_e32 v32, 15, v32
	v_mul_lo_u32 v36, 0x1010101, v36
	v_mul_lo_u32 v37, 0x1010101, v37
	v_cndmask_b32_e64 v44, 0, 0xff0000, vcc_lo
	v_cmp_eq_u32_e32 vcc_lo, 0, v45
	v_sub_nc_u32_e32 v41, v20, v41
	v_and_b32_e32 v32, 0xffff, v32
	v_dual_sub_nc_u32 v40, v20, v40 :: v_dual_bitop2_b32 v30, 15, v30 bitop3:0x40
	v_cndmask_b32_e64 v45, 0, 0xff00, vcc_lo
	v_cmp_eq_u32_e32 vcc_lo, 0, v33
	s_delay_alu instid0(VALU_DEP_4)
	v_mul_lo_u32 v32, 0x1010101, v32
	v_bitop3_b32 v50, v36, 0x8040201, v36 bitop3:0xc
	v_bitop3_b32 v47, v37, 0x40000, v37 bitop3:0xc
	;; [unrolled: 1-line block ×5, first 2 shown]
	v_cndmask_b32_e64 v33, 0, 0xff, vcc_lo
	v_cmp_gt_u32_e32 vcc_lo, 0x1000000, v50
	v_bitop3_b32 v51, v36, 0x40000, v36 bitop3:0xc
	v_bitop3_b32 v46, v36, 1, v36 bitop3:0xc
	;; [unrolled: 1-line block ×4, first 2 shown]
	v_cndmask_b32_e64 v50, 0, -1, vcc_lo
	v_cmp_gt_u32_e32 vcc_lo, 0x1000000, v37
	v_bitop3_b32 v56, v32, 0x40000, v32 bitop3:0xc
	v_bitop3_b32 v57, v32, 0x200, v32 bitop3:0xc
	v_bitop3_b32 v32, v32, 1, v32 bitop3:0xc
	v_and_b32_e32 v30, 0xffff, v30
	v_cndmask_b32_e64 v37, 0, -1, vcc_lo
	v_cmp_eq_u32_e32 vcc_lo, 0, v51
	v_or_b32_e32 v1, v39, v38
	v_bfe_u32 v38, v35, 24, 4
	v_lshrrev_b32_e32 v35, 24, v35
	v_mul_lo_u32 v30, 0x1010101, v30
	v_cndmask_b32_e64 v51, 0, 0xff0000, vcc_lo
	v_cmp_eq_u32_e32 vcc_lo, 0, v36
	v_mul_lo_u32 v38, 0x1010101, v38
	v_lshrrev_b16 v35, 4, v35
	v_lshrrev_b16 v39, 4, v34
	v_lshlrev_b32_e32 v43, 24, v43
	v_cndmask_b32_e64 v36, 0, 0xff00, vcc_lo
	v_cmp_eq_u32_e32 vcc_lo, 0, v46
	v_and_b32_e32 v35, 0xffff, v35
	v_or3_b32 v59, v45, v33, v44
	v_bitop3_b32 v67, v30, 0x8040201, v30 bitop3:0xc
	v_bitop3_b32 v68, v30, 0x40000, v30 bitop3:0xc
	v_cndmask_b32_e64 v46, 0, 0xff, vcc_lo
	v_cmp_eq_u32_e32 vcc_lo, 0, v47
	v_bitop3_b32 v52, v38, 0x8040201, v38 bitop3:0xc
	v_bitop3_b32 v53, v38, 0x40000, v38 bitop3:0xc
	;; [unrolled: 1-line block ×4, first 2 shown]
	v_cndmask_b32_e64 v47, 0, 0xff0000, vcc_lo
	v_cmp_eq_u32_e32 vcc_lo, 0, v48
	v_mul_lo_u32 v35, 0x1010101, v35
	v_bitop3_b32 v66, v30, 1, v30 bitop3:0xc
	v_bitop3_b32 v30, v30, 0x200, v30 bitop3:0xc
	v_lshlrev_b32_e32 v50, 24, v50
	v_cndmask_b32_e64 v48, 0, 0xff00, vcc_lo
	v_cmp_eq_u32_e32 vcc_lo, 0, v49
	v_lshlrev_b32_e32 v37, 24, v37
	v_or3_b32 v60, v36, v46, v51
	v_bitop3_b32 v18, v59, v18, v43 bitop3:0x36
	v_dual_sub_nc_u32 v42, v20, v42 :: v_dual_sub_nc_u32 v20, v20, v31
	v_cndmask_b32_e64 v49, 0, 0xff, vcc_lo
	v_cmp_gt_u32_e32 vcc_lo, 0x1000000, v52
	v_bitop3_b32 v62, v35, 0x8040201, v35 bitop3:0xc
	v_bitop3_b32 v63, v35, 0x40000, v35 bitop3:0xc
	;; [unrolled: 1-line block ×4, first 2 shown]
	v_cndmask_b32_e64 v52, 0, -1, vcc_lo
	v_cmp_eq_u32_e32 vcc_lo, 0, v53
	v_or3_b32 v61, v48, v49, v47
	v_bitop3_b32 v16, v60, v16, v50 bitop3:0x36
	s_delay_alu instid0(VALU_DEP_4)
	v_lshlrev_b32_e32 v52, 24, v52
	v_cndmask_b32_e64 v53, 0, 0xff0000, vcc_lo
	v_cmp_eq_u32_e32 vcc_lo, 0, v54
	v_bitop3_b32 v17, v61, v17, v37 bitop3:0x36
	v_dual_sub_nc_u32 v50, v16, v50 :: v_dual_sub_nc_u32 v51, v16, v51
	v_sub_nc_u32_e32 v36, v16, v36
	v_cndmask_b32_e64 v54, 0, 0xff00, vcc_lo
	v_cmp_eq_u32_e32 vcc_lo, 0, v38
	v_dual_sub_nc_u32 v16, v16, v46 :: v_dual_sub_nc_u32 v46, v17, v47
	v_dual_sub_nc_u32 v37, v17, v37 :: v_dual_sub_nc_u32 v47, v17, v48
	v_sub_nc_u32_e32 v17, v17, v49
	v_cndmask_b32_e64 v38, 0, 0xff, vcc_lo
	v_cmp_gt_u32_e32 vcc_lo, 0x1000000, v55
	s_delay_alu instid0(VALU_DEP_4) | instskip(NEXT) | instid1(VALU_DEP_4)
	v_perm_b32 v36, v36, v47, 0xc0c0501
	v_perm_b32 v46, v46, v17, 0xc060c00
	s_delay_alu instid0(VALU_DEP_4) | instskip(SKIP_2) | instid1(VALU_DEP_3)
	v_or3_b32 v65, v54, v38, v53
	v_cndmask_b32_e64 v55, 0, -1, vcc_lo
	v_cmp_eq_u32_e32 vcc_lo, 0, v56
	v_bitop3_b32 v14, v65, v14, v52 bitop3:0x36
	s_delay_alu instid0(VALU_DEP_3) | instskip(SKIP_2) | instid1(VALU_DEP_4)
	v_lshlrev_b32_e32 v55, 24, v55
	v_cndmask_b32_e64 v56, 0, 0xff0000, vcc_lo
	v_cmp_eq_u32_e32 vcc_lo, 0, v57
	v_dual_sub_nc_u32 v48, v14, v52 :: v_dual_sub_nc_u32 v49, v14, v53
	v_cndmask_b32_e64 v57, 0, 0xff00, vcc_lo
	v_cmp_eq_u32_e32 vcc_lo, 0, v32
	v_cndmask_b32_e64 v32, 0, 0xff, vcc_lo
	v_cmp_gt_u32_e32 vcc_lo, 0x1000000, v62
	s_delay_alu instid0(VALU_DEP_2) | instskip(SKIP_2) | instid1(VALU_DEP_3)
	v_or3_b32 v69, v57, v32, v56
	v_cndmask_b32_e64 v62, 0, -1, vcc_lo
	v_cmp_eq_u32_e32 vcc_lo, 0, v63
	v_bitop3_b32 v21, v69, v21, v55 bitop3:0x36
	s_delay_alu instid0(VALU_DEP_3) | instskip(SKIP_2) | instid1(VALU_DEP_4)
	v_lshlrev_b32_e32 v62, 24, v62
	v_cndmask_b32_e64 v63, 0, 0xff0000, vcc_lo
	v_cmp_eq_u32_e32 vcc_lo, 0, v64
	v_dual_sub_nc_u32 v31, v21, v55 :: v_dual_sub_nc_u32 v55, v21, v56
	v_dual_sub_nc_u32 v56, v21, v57 :: v_dual_sub_nc_u32 v21, v21, v32
	v_cndmask_b32_e64 v64, 0, 0xff00, vcc_lo
	v_cmp_eq_u32_e32 vcc_lo, 0, v35
	v_dual_sub_nc_u32 v32, v18, v43 :: v_dual_sub_nc_u32 v43, v18, v44
	v_cndmask_b32_e64 v35, 0, 0xff, vcc_lo
	v_cmp_gt_u32_e32 vcc_lo, 0x1000000, v67
	s_delay_alu instid0(VALU_DEP_2) | instskip(SKIP_3) | instid1(VALU_DEP_4)
	v_or3_b32 v70, v64, v35, v63
	v_cndmask_b32_e64 v67, 0, -1, vcc_lo
	v_cmp_eq_u32_e32 vcc_lo, 0, v68
	v_and_b32_e32 v34, 15, v34
	v_bitop3_b32 v15, v70, v15, v62 bitop3:0x36
	s_delay_alu instid0(VALU_DEP_4) | instskip(SKIP_2) | instid1(VALU_DEP_4)
	v_lshlrev_b32_e32 v67, 24, v67
	v_cndmask_b32_e64 v68, 0, 0xff0000, vcc_lo
	v_cmp_eq_u32_e32 vcc_lo, 0, v30
	v_dual_sub_nc_u32 v52, v14, v54 :: v_dual_sub_nc_u32 v53, v15, v63
	v_dual_sub_nc_u32 v14, v14, v38 :: v_dual_sub_nc_u32 v54, v15, v64
	v_cndmask_b32_e64 v30, 0, 0xff00, vcc_lo
	v_cmp_eq_u32_e32 vcc_lo, 0, v66
	v_dual_sub_nc_u32 v38, v15, v62 :: v_dual_sub_nc_u32 v15, v15, v35
	v_perm_b32 v35, v51, v16, 0xc060c00
	v_perm_b32 v49, v49, v14, 0xc060c00
	v_cndmask_b32_e64 v66, 0, 0xff, vcc_lo
	v_perm_b32 v16, v16, v17, 0xc0c0400
	v_perm_b32 v51, v53, v15, 0xc060c00
	;; [unrolled: 1-line block ×4, first 2 shown]
	v_or3_b32 v71, v30, v66, v68
	v_perm_b32 v37, v38, v48, 0x7030c0c
	v_perm_b32 v17, v41, v20, 0xc060c00
	;; [unrolled: 1-line block ×4, first 2 shown]
	v_bitop3_b32 v19, v71, v19, v67 bitop3:0x36
	v_sub_nc_u32_e32 v44, v18, v45
	v_sub_nc_u32_e32 v18, v18, v33
	v_perm_b32 v20, v20, v21, 0xc0c0400
	v_or_b32_e32 v15, v37, v15
	v_dual_sub_nc_u32 v33, v19, v67 :: v_dual_sub_nc_u32 v45, v19, v68
	v_sub_nc_u32_e32 v30, v19, v30
	v_sub_nc_u32_e32 v19, v19, v66
	v_perm_b32 v43, v43, v18, 0xc060c00
	s_delay_alu instid0(VALU_DEP_4)
	v_perm_b32 v21, v33, v32, 0x7030c0c
	v_dot4_i32_iu8 v10, v15, v10, 0 neg_lo:[1,1,0]
	v_perm_b32 v30, v30, v44, 0x5010c0c
	v_perm_b32 v45, v45, v19, 0xc060c00
	v_perm_b32 v18, v19, v18, 0x4000c0c
	v_perm_b32 v19, v40, v31, 0xc0c0703
	v_perm_b32 v31, v42, v56, 0xc0c0501
	v_or_b32_e32 v14, v14, v16
	v_or_b32_e32 v16, v38, v36
	v_perm_b32 v32, v35, v46, 0xc0c0602
	v_or_b32_e32 v19, v21, v19
	v_perm_b32 v33, v51, v49, 0x6020c0c
	v_perm_b32 v17, v17, v41, 0xc0c0602
	v_perm_b32 v35, v45, v43, 0x6020c0c
	v_or_b32_e32 v18, v18, v20
	v_dot4_i32_iu8 v11, v16, v11, 0 neg_lo:[1,1,0]
	v_dot4_i32_iu8 v12, v19, v12, 0 neg_lo:[1,1,0]
	v_or_b32_e32 v20, v30, v31
	v_or_b32_e32 v21, v33, v32
	v_dot4_i32_iu8 v2, v18, v2, 0 neg_lo:[1,1,0]
	v_add_nc_u32_e32 v10, v11, v10
	v_dot4_i32_iu8 v3, v14, v3, 0 neg_lo:[1,1,0]
	v_or_b32_e32 v14, v35, v17
	v_dot4_i32_iu8 v13, v20, v13, 0 neg_lo:[1,1,0]
	v_dot4_i32_iu8 v15, v21, v0, 0 neg_lo:[1,1,0]
	v_cvt_f32_ubyte0_e32 v0, v34
	v_cmp_le_u32_e32 vcc_lo, s12, v24
	v_dot4_i32_iu8 v11, v14, v1, 0 neg_lo:[1,1,0]
	v_add_nc_u32_e32 v12, v13, v12
	v_cvt_f32_ubyte0_e32 v1, v39
	v_add3_u32 v3, v3, v15, v10
	s_wait_loadcnt 0x1
	v_cvt_f32_f16_e32 v10, v29
	s_or_b32 s1, vcc_lo, s1
	v_add3_u32 v2, v2, v11, v12
	s_wait_loadcnt 0x0
	v_cvt_f32_f16_e32 v11, v28
	v_pk_add_f32 v[0:1], v[0:1], 0.5 op_sel_hi:[1,0]
	v_cvt_f32_i32_e32 v3, v3
	v_cvt_f32_i32_e32 v2, v2
	s_delay_alu instid0(VALU_DEP_4) | instskip(NEXT) | instid1(VALU_DEP_2)
	v_mul_f32_e32 v10, v11, v10
	v_pk_mul_f32 v[0:1], v[0:1], v[2:3]
	s_delay_alu instid0(VALU_DEP_2) | instskip(NEXT) | instid1(VALU_DEP_2)
	v_mul_f32_e32 v2, 0x3e800000, v10
	v_add_f32_e32 v0, v0, v1
	s_delay_alu instid0(VALU_DEP_1)
	v_fmac_f32_e32 v25, v2, v0
	s_and_not1_b32 exec_lo, exec_lo, s1
	s_cbranch_execnz .LBB253_3
; %bb.4:
	s_or_b32 exec_lo, exec_lo, s1
.LBB253_5:
	s_delay_alu instid0(SALU_CYCLE_1) | instskip(SKIP_1) | instid1(VALU_DEP_1)
	s_or_b32 exec_lo, exec_lo, s11
	v_mbcnt_lo_u32_b32 v0, -1, 0
	v_xor_b32_e32 v2, 8, v0
	v_xor_b32_e32 v1, 16, v0
	;; [unrolled: 1-line block ×3, first 2 shown]
	s_delay_alu instid0(VALU_DEP_2) | instskip(SKIP_4) | instid1(VALU_DEP_2)
	v_cmp_gt_i32_e32 vcc_lo, 32, v1
	v_cndmask_b32_e32 v1, v0, v1, vcc_lo
	v_cmp_gt_i32_e32 vcc_lo, 32, v2
	v_cndmask_b32_e32 v2, v0, v2, vcc_lo
	v_cmp_gt_i32_e32 vcc_lo, 32, v3
	v_dual_lshlrev_b32 v2, 2, v2 :: v_dual_lshlrev_b32 v1, 2, v1
	ds_bpermute_b32 v1, v1, v25
	s_wait_dscnt 0x0
	v_add_f32_e32 v1, v25, v1
	ds_bpermute_b32 v2, v2, v1
	s_wait_dscnt 0x0
	v_dual_cndmask_b32 v3, v0, v3, vcc_lo :: v_dual_add_f32 v1, v1, v2
	s_delay_alu instid0(VALU_DEP_1) | instskip(SKIP_3) | instid1(VALU_DEP_1)
	v_lshlrev_b32_e32 v3, 2, v3
	ds_bpermute_b32 v2, v3, v1
	s_wait_dscnt 0x0
	v_dual_add_f32 v1, v1, v2 :: v_dual_bitop2_b32 v3, 2, v0 bitop3:0x14
	v_cmp_gt_i32_e32 vcc_lo, 32, v3
	v_cndmask_b32_e32 v3, v0, v3, vcc_lo
	s_delay_alu instid0(VALU_DEP_1) | instskip(SKIP_2) | instid1(VALU_DEP_1)
	v_lshlrev_b32_e32 v3, 2, v3
	ds_bpermute_b32 v2, v3, v1
	v_xor_b32_e32 v3, 1, v0
	v_cmp_gt_i32_e32 vcc_lo, 32, v3
	v_cndmask_b32_e32 v3, v0, v3, vcc_lo
	v_cmp_eq_u32_e32 vcc_lo, 0, v23
	s_wait_dscnt 0x0
	s_delay_alu instid0(VALU_DEP_2)
	v_dual_add_f32 v0, v1, v2 :: v_dual_lshlrev_b32 v1, 2, v3
	ds_bpermute_b32 v1, v1, v0
	s_and_b32 exec_lo, exec_lo, vcc_lo
	s_cbranch_execz .LBB253_7
; %bb.6:
	v_mad_u32 v2, s6, s10, v22
	s_wait_dscnt 0x0
	v_add_f32_e32 v0, v0, v1
	s_wait_kmcnt 0x0
	global_store_b32 v2, v0, s[2:3] scale_offset
.LBB253_7:
	s_sendmsg sendmsg(MSG_DEALLOC_VGPRS)
	s_endpgm
	.section	.rodata,"a",@progbits
	.p2align	6, 0x0
	.amdhsa_kernel _ZL9moe_vec_qIfLi256ELi8E11block_iq2_sLi1EXadL_ZL18vec_dot_iq2_s_q8_1PKvPK10block_q8_1RKiEEEvS2_S2_PT_PS6_iiii
		.amdhsa_group_segment_fixed_size 0
		.amdhsa_private_segment_fixed_size 0
		.amdhsa_kernarg_size 304
		.amdhsa_user_sgpr_count 2
		.amdhsa_user_sgpr_dispatch_ptr 0
		.amdhsa_user_sgpr_queue_ptr 0
		.amdhsa_user_sgpr_kernarg_segment_ptr 1
		.amdhsa_user_sgpr_dispatch_id 0
		.amdhsa_user_sgpr_kernarg_preload_length 0
		.amdhsa_user_sgpr_kernarg_preload_offset 0
		.amdhsa_user_sgpr_private_segment_size 0
		.amdhsa_wavefront_size32 1
		.amdhsa_uses_dynamic_stack 0
		.amdhsa_enable_private_segment 0
		.amdhsa_system_sgpr_workgroup_id_x 1
		.amdhsa_system_sgpr_workgroup_id_y 0
		.amdhsa_system_sgpr_workgroup_id_z 1
		.amdhsa_system_sgpr_workgroup_info 0
		.amdhsa_system_vgpr_workitem_id 1
		.amdhsa_next_free_vgpr 72
		.amdhsa_next_free_sgpr 20
		.amdhsa_named_barrier_count 0
		.amdhsa_reserve_vcc 1
		.amdhsa_float_round_mode_32 0
		.amdhsa_float_round_mode_16_64 0
		.amdhsa_float_denorm_mode_32 3
		.amdhsa_float_denorm_mode_16_64 3
		.amdhsa_fp16_overflow 0
		.amdhsa_memory_ordered 1
		.amdhsa_forward_progress 1
		.amdhsa_inst_pref_size 26
		.amdhsa_round_robin_scheduling 0
		.amdhsa_exception_fp_ieee_invalid_op 0
		.amdhsa_exception_fp_denorm_src 0
		.amdhsa_exception_fp_ieee_div_zero 0
		.amdhsa_exception_fp_ieee_overflow 0
		.amdhsa_exception_fp_ieee_underflow 0
		.amdhsa_exception_fp_ieee_inexact 0
		.amdhsa_exception_int_div_zero 0
	.end_amdhsa_kernel
	.section	.text._ZL9moe_vec_qIfLi256ELi8E11block_iq2_sLi1EXadL_ZL18vec_dot_iq2_s_q8_1PKvPK10block_q8_1RKiEEEvS2_S2_PT_PS6_iiii,"axG",@progbits,_ZL9moe_vec_qIfLi256ELi8E11block_iq2_sLi1EXadL_ZL18vec_dot_iq2_s_q8_1PKvPK10block_q8_1RKiEEEvS2_S2_PT_PS6_iiii,comdat
.Lfunc_end253:
	.size	_ZL9moe_vec_qIfLi256ELi8E11block_iq2_sLi1EXadL_ZL18vec_dot_iq2_s_q8_1PKvPK10block_q8_1RKiEEEvS2_S2_PT_PS6_iiii, .Lfunc_end253-_ZL9moe_vec_qIfLi256ELi8E11block_iq2_sLi1EXadL_ZL18vec_dot_iq2_s_q8_1PKvPK10block_q8_1RKiEEEvS2_S2_PT_PS6_iiii
                                        ; -- End function
	.set _ZL9moe_vec_qIfLi256ELi8E11block_iq2_sLi1EXadL_ZL18vec_dot_iq2_s_q8_1PKvPK10block_q8_1RKiEEEvS2_S2_PT_PS6_iiii.num_vgpr, 72
	.set _ZL9moe_vec_qIfLi256ELi8E11block_iq2_sLi1EXadL_ZL18vec_dot_iq2_s_q8_1PKvPK10block_q8_1RKiEEEvS2_S2_PT_PS6_iiii.num_agpr, 0
	.set _ZL9moe_vec_qIfLi256ELi8E11block_iq2_sLi1EXadL_ZL18vec_dot_iq2_s_q8_1PKvPK10block_q8_1RKiEEEvS2_S2_PT_PS6_iiii.numbered_sgpr, 20
	.set _ZL9moe_vec_qIfLi256ELi8E11block_iq2_sLi1EXadL_ZL18vec_dot_iq2_s_q8_1PKvPK10block_q8_1RKiEEEvS2_S2_PT_PS6_iiii.num_named_barrier, 0
	.set _ZL9moe_vec_qIfLi256ELi8E11block_iq2_sLi1EXadL_ZL18vec_dot_iq2_s_q8_1PKvPK10block_q8_1RKiEEEvS2_S2_PT_PS6_iiii.private_seg_size, 0
	.set _ZL9moe_vec_qIfLi256ELi8E11block_iq2_sLi1EXadL_ZL18vec_dot_iq2_s_q8_1PKvPK10block_q8_1RKiEEEvS2_S2_PT_PS6_iiii.uses_vcc, 1
	.set _ZL9moe_vec_qIfLi256ELi8E11block_iq2_sLi1EXadL_ZL18vec_dot_iq2_s_q8_1PKvPK10block_q8_1RKiEEEvS2_S2_PT_PS6_iiii.uses_flat_scratch, 0
	.set _ZL9moe_vec_qIfLi256ELi8E11block_iq2_sLi1EXadL_ZL18vec_dot_iq2_s_q8_1PKvPK10block_q8_1RKiEEEvS2_S2_PT_PS6_iiii.has_dyn_sized_stack, 0
	.set _ZL9moe_vec_qIfLi256ELi8E11block_iq2_sLi1EXadL_ZL18vec_dot_iq2_s_q8_1PKvPK10block_q8_1RKiEEEvS2_S2_PT_PS6_iiii.has_recursion, 0
	.set _ZL9moe_vec_qIfLi256ELi8E11block_iq2_sLi1EXadL_ZL18vec_dot_iq2_s_q8_1PKvPK10block_q8_1RKiEEEvS2_S2_PT_PS6_iiii.has_indirect_call, 0
	.section	.AMDGPU.csdata,"",@progbits
; Kernel info:
; codeLenInByte = 3252
; TotalNumSgprs: 22
; NumVgprs: 72
; ScratchSize: 0
; MemoryBound: 0
; FloatMode: 240
; IeeeMode: 1
; LDSByteSize: 0 bytes/workgroup (compile time only)
; SGPRBlocks: 0
; VGPRBlocks: 4
; NumSGPRsForWavesPerEU: 22
; NumVGPRsForWavesPerEU: 72
; NamedBarCnt: 0
; Occupancy: 12
; WaveLimiterHint : 1
; COMPUTE_PGM_RSRC2:SCRATCH_EN: 0
; COMPUTE_PGM_RSRC2:USER_SGPR: 2
; COMPUTE_PGM_RSRC2:TRAP_HANDLER: 0
; COMPUTE_PGM_RSRC2:TGID_X_EN: 1
; COMPUTE_PGM_RSRC2:TGID_Y_EN: 0
; COMPUTE_PGM_RSRC2:TGID_Z_EN: 1
; COMPUTE_PGM_RSRC2:TIDIG_COMP_CNT: 1
	.section	.text._ZL9moe_vec_qIfLi256ELi8E12block_iq4_xsLi1EXadL_ZL19vec_dot_iq4_xs_q8_1PKvPK10block_q8_1RKiEEEvS2_S2_PT_PS6_iiii,"axG",@progbits,_ZL9moe_vec_qIfLi256ELi8E12block_iq4_xsLi1EXadL_ZL19vec_dot_iq4_xs_q8_1PKvPK10block_q8_1RKiEEEvS2_S2_PT_PS6_iiii,comdat
	.globl	_ZL9moe_vec_qIfLi256ELi8E12block_iq4_xsLi1EXadL_ZL19vec_dot_iq4_xs_q8_1PKvPK10block_q8_1RKiEEEvS2_S2_PT_PS6_iiii ; -- Begin function _ZL9moe_vec_qIfLi256ELi8E12block_iq4_xsLi1EXadL_ZL19vec_dot_iq4_xs_q8_1PKvPK10block_q8_1RKiEEEvS2_S2_PT_PS6_iiii
	.p2align	8
	.type	_ZL9moe_vec_qIfLi256ELi8E12block_iq4_xsLi1EXadL_ZL19vec_dot_iq4_xs_q8_1PKvPK10block_q8_1RKiEEEvS2_S2_PT_PS6_iiii,@function
_ZL9moe_vec_qIfLi256ELi8E12block_iq4_xsLi1EXadL_ZL19vec_dot_iq4_xs_q8_1PKvPK10block_q8_1RKiEEEvS2_S2_PT_PS6_iiii: ; @_ZL9moe_vec_qIfLi256ELi8E12block_iq4_xsLi1EXadL_ZL19vec_dot_iq4_xs_q8_1PKvPK10block_q8_1RKiEEEvS2_S2_PT_PS6_iiii
; %bb.0:
	s_clause 0x1
	s_load_u16 s3, s[0:1], 0x3e
	s_load_b128 s[4:7], s[0:1], 0x20
	s_bfe_u32 s2, ttmp6, 0x4000c
	s_and_b32 s8, ttmp6, 15
	s_add_co_i32 s2, s2, 1
	v_bfe_u32 v1, v0, 10, 10
	s_mul_i32 s2, ttmp9, s2
	s_delay_alu instid0(SALU_CYCLE_1) | instskip(SKIP_1) | instid1(SALU_CYCLE_1)
	s_add_co_i32 s8, s8, s2
	s_getreg_b32 s2, hwreg(HW_REG_IB_STS2, 6, 4)
	s_cmp_eq_u32 s2, 0
	s_cselect_b32 s8, ttmp9, s8
	s_wait_kmcnt 0x0
	v_mad_u32 v14, s8, s3, v1
	s_mov_b32 s3, exec_lo
	s_delay_alu instid0(VALU_DEP_1)
	v_cmpx_gt_u32_e64 s6, v14
	s_cbranch_execz .LBB254_7
; %bb.1:
	s_load_b64 s[8:9], s[0:1], 0x10
	s_bfe_u32 s3, ttmp6, 0x40014
	s_lshr_b32 s10, ttmp7, 16
	s_add_co_i32 s3, s3, 1
	s_bfe_u32 s11, ttmp6, 0x40008
	s_mul_i32 s3, s10, s3
	v_bfe_u32 v16, v0, 3, 7
	s_add_co_i32 s11, s11, s3
	s_cmp_eq_u32 s2, 0
	v_and_b32_e32 v15, 0x3ff, v0
	s_cselect_b32 s10, s10, s11
	s_ashr_i32 s2, s5, 31
	v_mov_b32_e32 v18, 0
	s_lshr_b32 s2, s2, 24
	s_mov_b32 s11, exec_lo
	s_add_co_i32 s2, s5, s2
	s_delay_alu instid0(SALU_CYCLE_1) | instskip(NEXT) | instid1(SALU_CYCLE_1)
	s_ashr_i32 s12, s2, 8
	v_cmpx_gt_u32_e64 s12, v16
	s_cbranch_execz .LBB254_5
; %bb.2:
	s_load_b64 s[2:3], s[0:1], 0x18
	s_cvt_f32_u32 s5, s4
	v_dual_mov_b32 v9, 0 :: v_dual_bitop2_b32 v1, 7, v15 bitop3:0x40
	v_mul_lo_u32 v17, v14, s12
	s_delay_alu instid0(SALU_CYCLE_1) | instskip(SKIP_4) | instid1(TRANS32_DEP_1)
	v_rcp_iflag_f32_e32 v0, s5
	v_lshlrev_b32_e32 v2, 2, v15
	v_bfe_u32 v8, v15, 1, 2
	v_dual_lshlrev_b32 v21, 3, v16 :: v_dual_mov_b32 v13, v9
	v_dual_lshlrev_b32 v20, 1, v1 :: v_dual_mov_b32 v18, v9
	v_readfirstlane_b32 s5, v0
	v_dual_lshlrev_b32 v0, 2, v1 :: v_dual_bitop2_b32 v19, 4, v2 bitop3:0x40
	s_delay_alu instid0(VALU_DEP_1) | instskip(SKIP_4) | instid1(SALU_CYCLE_3)
	v_lshlrev_b32_e32 v12, 2, v0
	s_wait_kmcnt 0x0
	s_load_b32 s13, s[2:3], s10 offset:0x0 scale_offset
	s_wait_xcnt 0x0
	s_mul_f32 s2, s5, 0x4f7ffffe
	s_cvt_u32_f32 s5, s2
	s_sub_co_i32 s2, 0, s4
	s_delay_alu instid0(SALU_CYCLE_2) | instskip(NEXT) | instid1(SALU_CYCLE_1)
	s_mul_i32 s2, s2, s5
	s_mul_hi_u32 s14, s5, s2
	s_load_b128 s[0:3], s[0:1], 0x0
	s_add_co_i32 s5, s5, s14
	s_mul_i32 s14, s12, s6
	s_mul_hi_u32 s16, s10, s5
	s_mov_b32 s5, 0
	s_mul_i32 s15, s16, s4
	s_add_co_i32 s17, s16, 1
	s_sub_co_i32 s18, s10, s15
	s_wait_kmcnt 0x0
	s_mul_i32 s14, s14, s13
	s_sub_co_i32 s13, s18, s4
	s_ashr_i32 s15, s14, 31
	s_cmp_ge_u32 s18, s4
	s_mul_u64 s[14:15], s[14:15], 0x88
	s_cselect_b32 s16, s17, s16
	s_cselect_b32 s13, s13, s18
	s_add_co_i32 s17, s16, 1
	s_cmp_ge_u32 s13, s4
	s_cselect_b32 s4, s17, s16
	s_add_nc_u64 s[0:1], s[0:1], s[14:15]
	s_mul_i32 s4, s4, s7
	s_delay_alu instid0(SALU_CYCLE_1) | instskip(NEXT) | instid1(SALU_CYCLE_1)
	s_lshl_b64 s[16:17], s[4:5], 2
	s_add_nc_u64 s[2:3], s[2:3], s[16:17]
	s_delay_alu instid0(SALU_CYCLE_1)
	v_mad_nc_u64_u32 v[10:11], v1, 36, s[2:3]
	s_get_pc_i64 s[2:3]
	s_add_nc_u64 s[2:3], s[2:3], _ZL13kvalues_iq4nl@rel64+4
.LBB254_3:                              ; =>This Inner Loop Header: Depth=1
	v_add_nc_u32_e32 v0, v17, v16
	s_delay_alu instid0(VALU_DEP_2) | instskip(SKIP_1) | instid1(VALU_DEP_3)
	v_mad_nc_i64_i32 v[28:29], v21, 36, v[10:11]
	v_dual_add_nc_u32 v16, 4, v16 :: v_dual_add_nc_u32 v21, 32, v21
	v_mad_nc_i64_i32 v[26:27], 0x88, v0, s[0:1]
	s_delay_alu instid0(VALU_DEP_2) | instskip(SKIP_1) | instid1(VALU_DEP_2)
	v_cmp_le_u32_e32 vcc_lo, s12, v16
	s_or_b32 s5, vcc_lo, s5
	v_add_nc_u64_e32 v[0:1], v[26:27], v[12:13]
	v_add_nc_u64_e32 v[2:3], v[26:27], v[8:9]
	s_clause 0x1
	global_load_b128 v[22:25], v[0:1], off offset:8
	global_load_u8 v30, v[2:3], off offset:4
	s_clause 0x2
	global_load_b32 v31, v[28:29], off
	global_load_b128 v[0:3], v[28:29], off offset:4
	global_load_b128 v[4:7], v[28:29], off offset:20
	global_load_b32 v32, v[26:27], off
	s_wait_loadcnt 0x5
	s_wait_xcnt 0x0
	v_and_b32_e32 v27, 15, v22
	v_bfe_u32 v28, v22, 8, 4
	v_bfe_u32 v29, v22, 16, 4
	;; [unrolled: 1-line block ×5, first 2 shown]
	v_dual_lshrrev_b32 v34, 28, v22 :: v_dual_bitop2_b32 v37, 15, v23 bitop3:0x40
	v_bfe_u32 v22, v22, 12, 4
	v_bfe_u32 v36, v23, 24, 4
	;; [unrolled: 1-line block ×5, first 2 shown]
	v_dual_lshrrev_b32 v41, 28, v23 :: v_dual_bitop2_b32 v44, 15, v24 bitop3:0x40
	v_bfe_u32 v42, v23, 4, 4
	v_bfe_u32 v23, v23, 12, 4
	;; [unrolled: 1-line block ×6, first 2 shown]
	v_dual_lshrrev_b32 v48, 28, v24 :: v_dual_bitop2_b32 v51, 15, v25 bitop3:0x40
	v_bfe_u32 v49, v24, 4, 4
	v_bfe_u32 v24, v24, 12, 4
	;; [unrolled: 1-line block ×6, first 2 shown]
	v_lshrrev_b32_e32 v55, 28, v25
	v_bfe_u32 v56, v25, 4, 4
	v_bfe_u32 v25, v25, 12, 4
	s_clause 0x1f
	global_load_i8 v57, v27, s[2:3]
	global_load_i8 v58, v28, s[2:3]
	global_load_i8 v59, v29, s[2:3]
	global_load_i8 v60, v35, s[2:3]
	global_load_i8 v61, v22, s[2:3]
	global_load_i8 v62, v33, s[2:3]
	global_load_i8 v63, v34, s[2:3]
	; meta instruction
	; meta instruction
	; meta instruction
	; meta instruction
	; meta instruction
	; meta instruction
	; meta instruction
	global_load_i8 v22, v26, s[2:3]
	global_load_i8 v27, v37, s[2:3]
	global_load_i8 v28, v38, s[2:3]
	global_load_i8 v29, v39, s[2:3]
	global_load_i8 v33, v42, s[2:3]
	global_load_i8 v34, v23, s[2:3]
	global_load_i8 v35, v40, s[2:3]
	; meta instruction
	; meta instruction
	; meta instruction
	; meta instruction
	; meta instruction
	; meta instruction
	; meta instruction
	;; [unrolled: 14-line block ×4, first 2 shown]
	global_load_i8 v25, v54, s[2:3]
	global_load_i8 v43, v55, s[2:3]
	;; [unrolled: 1-line block ×4, first 2 shown]
	s_wait_loadcnt 0x20
	s_wait_xcnt 0x1
	v_lshrrev_b32_e32 v50, 16, v32
	v_bfe_u32 v30, v30, v19, 4
	v_perm_b32 v0, v0, v0, 0x3020001
	v_perm_b32 v4, v4, v4, 0x3020001
	s_wait_loadcnt 0x1b
	v_perm_b32 v51, v60, v61, 0xc0c0400
	s_wait_loadcnt 0x19
	;; [unrolled: 2-line block ×7, first 2 shown]
	v_perm_b32 v26, v26, v29, 0x4000c0c
	v_lshrrev_b32_e32 v50, v20, v50
	s_wait_loadcnt 0xe
	v_perm_b32 v29, v38, v37, 0xc0c0400
	v_or_b32_e32 v37, v52, v51
	v_or_b32_e32 v23, v23, v28
	v_dual_lshlrev_b32 v50, 4, v50 :: v_dual_bitop2_b32 v26, v26, v27 bitop3:0x54
	s_wait_loadcnt 0xb
	v_perm_b32 v34, v42, v40, 0xc0c0400
	v_dot4_i32_iu8 v4, v4, v37, 0 neg_lo:[1,1,0]
	s_delay_alu instid0(VALU_DEP_3)
	v_and_or_b32 v30, v50, 48, v30
	v_perm_b32 v50, v57, v58, 0xc0c0400
	s_wait_loadcnt 0x9
	v_perm_b32 v24, v36, v24, 0x4000c0c
	s_wait_loadcnt 0x8
	v_perm_b32 v33, v41, v39, 0x4000c0c
	v_or_b32_e32 v22, v22, v50
	s_wait_loadcnt 0x6
	v_perm_b32 v35, v45, v44, 0xc0c0400
	v_or_b32_e32 v24, v24, v34
	s_delay_alu instid0(VALU_DEP_3) | instskip(NEXT) | instid1(VALU_DEP_1)
	v_dot4_i32_iu8 v0, v0, v22, 0 neg_lo:[1,1,0]
	v_dot4_i32_iu8 v0, v1, v26, v0 neg_lo:[1,1,0]
	;; [unrolled: 1-line block ×3, first 2 shown]
	v_subrev_nc_u32_e32 v4, 32, v30
	s_wait_loadcnt 0x1
	v_perm_b32 v36, v47, v46, 0x4000c0c
	s_wait_loadcnt 0x0
	v_perm_b32 v38, v49, v48, 0xc0c0400
	v_perm_b32 v22, v43, v25, 0x4000c0c
	v_dot4_i32_iu8 v1, v6, v24, v1 neg_lo:[1,1,0]
	v_cvt_f32_i32_e32 v4, v4
	v_or_b32_e32 v25, v33, v29
	v_or_b32_e32 v5, v36, v35
	v_or_b32_e32 v22, v22, v38
	s_delay_alu instid0(VALU_DEP_3) | instskip(SKIP_1) | instid1(VALU_DEP_3)
	v_dot4_i32_iu8 v0, v2, v25, v0 neg_lo:[1,1,0]
	v_cvt_f32_f16_e32 v2, v32
	v_dot4_i32_iu8 v1, v7, v22, v1 neg_lo:[1,1,0]
	s_delay_alu instid0(VALU_DEP_3) | instskip(SKIP_1) | instid1(VALU_DEP_4)
	v_dot4_i32_iu8 v0, v3, v5, v0 neg_lo:[1,1,0]
	v_cvt_f32_f16_e32 v3, v31
	v_mul_f32_e32 v2, v2, v4
	s_delay_alu instid0(VALU_DEP_1) | instskip(NEXT) | instid1(VALU_DEP_1)
	v_dual_mul_f32 v1, v2, v3 :: v_dual_add_nc_u32 v0, v1, v0
	v_cvt_f32_i32_e32 v0, v0
	s_delay_alu instid0(VALU_DEP_1)
	v_fmac_f32_e32 v18, v1, v0
	s_and_not1_b32 exec_lo, exec_lo, s5
	s_cbranch_execnz .LBB254_3
; %bb.4:
	s_or_b32 exec_lo, exec_lo, s5
.LBB254_5:
	s_delay_alu instid0(SALU_CYCLE_1) | instskip(SKIP_1) | instid1(VALU_DEP_1)
	s_or_b32 exec_lo, exec_lo, s11
	v_mbcnt_lo_u32_b32 v0, -1, 0
	v_xor_b32_e32 v2, 8, v0
	v_xor_b32_e32 v1, 16, v0
	;; [unrolled: 1-line block ×3, first 2 shown]
	s_delay_alu instid0(VALU_DEP_2) | instskip(SKIP_4) | instid1(VALU_DEP_2)
	v_cmp_gt_i32_e32 vcc_lo, 32, v1
	v_cndmask_b32_e32 v1, v0, v1, vcc_lo
	v_cmp_gt_i32_e32 vcc_lo, 32, v2
	v_cndmask_b32_e32 v2, v0, v2, vcc_lo
	v_cmp_gt_i32_e32 vcc_lo, 32, v3
	v_dual_lshlrev_b32 v2, 2, v2 :: v_dual_lshlrev_b32 v1, 2, v1
	ds_bpermute_b32 v1, v1, v18
	s_wait_dscnt 0x0
	v_add_f32_e32 v1, v18, v1
	ds_bpermute_b32 v2, v2, v1
	s_wait_dscnt 0x0
	v_dual_cndmask_b32 v3, v0, v3, vcc_lo :: v_dual_add_f32 v1, v1, v2
	s_delay_alu instid0(VALU_DEP_1) | instskip(SKIP_3) | instid1(VALU_DEP_1)
	v_lshlrev_b32_e32 v3, 2, v3
	ds_bpermute_b32 v2, v3, v1
	s_wait_dscnt 0x0
	v_dual_add_f32 v1, v1, v2 :: v_dual_bitop2_b32 v3, 2, v0 bitop3:0x14
	v_cmp_gt_i32_e32 vcc_lo, 32, v3
	v_cndmask_b32_e32 v3, v0, v3, vcc_lo
	s_delay_alu instid0(VALU_DEP_1) | instskip(SKIP_2) | instid1(VALU_DEP_1)
	v_lshlrev_b32_e32 v3, 2, v3
	ds_bpermute_b32 v2, v3, v1
	v_xor_b32_e32 v3, 1, v0
	v_cmp_gt_i32_e32 vcc_lo, 32, v3
	v_cndmask_b32_e32 v3, v0, v3, vcc_lo
	v_cmp_eq_u32_e32 vcc_lo, 0, v15
	s_wait_dscnt 0x0
	s_delay_alu instid0(VALU_DEP_2)
	v_dual_add_f32 v0, v1, v2 :: v_dual_lshlrev_b32 v1, 2, v3
	ds_bpermute_b32 v1, v1, v0
	s_and_b32 exec_lo, exec_lo, vcc_lo
	s_cbranch_execz .LBB254_7
; %bb.6:
	v_mad_u32 v2, s6, s10, v14
	s_wait_dscnt 0x0
	v_add_f32_e32 v0, v0, v1
	s_wait_kmcnt 0x0
	global_store_b32 v2, v0, s[8:9] scale_offset
.LBB254_7:
	s_endpgm
	.section	.rodata,"a",@progbits
	.p2align	6, 0x0
	.amdhsa_kernel _ZL9moe_vec_qIfLi256ELi8E12block_iq4_xsLi1EXadL_ZL19vec_dot_iq4_xs_q8_1PKvPK10block_q8_1RKiEEEvS2_S2_PT_PS6_iiii
		.amdhsa_group_segment_fixed_size 0
		.amdhsa_private_segment_fixed_size 0
		.amdhsa_kernarg_size 304
		.amdhsa_user_sgpr_count 2
		.amdhsa_user_sgpr_dispatch_ptr 0
		.amdhsa_user_sgpr_queue_ptr 0
		.amdhsa_user_sgpr_kernarg_segment_ptr 1
		.amdhsa_user_sgpr_dispatch_id 0
		.amdhsa_user_sgpr_kernarg_preload_length 0
		.amdhsa_user_sgpr_kernarg_preload_offset 0
		.amdhsa_user_sgpr_private_segment_size 0
		.amdhsa_wavefront_size32 1
		.amdhsa_uses_dynamic_stack 0
		.amdhsa_enable_private_segment 0
		.amdhsa_system_sgpr_workgroup_id_x 1
		.amdhsa_system_sgpr_workgroup_id_y 0
		.amdhsa_system_sgpr_workgroup_id_z 1
		.amdhsa_system_sgpr_workgroup_info 0
		.amdhsa_system_vgpr_workitem_id 1
		.amdhsa_next_free_vgpr 64
		.amdhsa_next_free_sgpr 19
		.amdhsa_named_barrier_count 0
		.amdhsa_reserve_vcc 1
		.amdhsa_float_round_mode_32 0
		.amdhsa_float_round_mode_16_64 0
		.amdhsa_float_denorm_mode_32 3
		.amdhsa_float_denorm_mode_16_64 3
		.amdhsa_fp16_overflow 0
		.amdhsa_memory_ordered 1
		.amdhsa_forward_progress 1
		.amdhsa_inst_pref_size 16
		.amdhsa_round_robin_scheduling 0
		.amdhsa_exception_fp_ieee_invalid_op 0
		.amdhsa_exception_fp_denorm_src 0
		.amdhsa_exception_fp_ieee_div_zero 0
		.amdhsa_exception_fp_ieee_overflow 0
		.amdhsa_exception_fp_ieee_underflow 0
		.amdhsa_exception_fp_ieee_inexact 0
		.amdhsa_exception_int_div_zero 0
	.end_amdhsa_kernel
	.section	.text._ZL9moe_vec_qIfLi256ELi8E12block_iq4_xsLi1EXadL_ZL19vec_dot_iq4_xs_q8_1PKvPK10block_q8_1RKiEEEvS2_S2_PT_PS6_iiii,"axG",@progbits,_ZL9moe_vec_qIfLi256ELi8E12block_iq4_xsLi1EXadL_ZL19vec_dot_iq4_xs_q8_1PKvPK10block_q8_1RKiEEEvS2_S2_PT_PS6_iiii,comdat
.Lfunc_end254:
	.size	_ZL9moe_vec_qIfLi256ELi8E12block_iq4_xsLi1EXadL_ZL19vec_dot_iq4_xs_q8_1PKvPK10block_q8_1RKiEEEvS2_S2_PT_PS6_iiii, .Lfunc_end254-_ZL9moe_vec_qIfLi256ELi8E12block_iq4_xsLi1EXadL_ZL19vec_dot_iq4_xs_q8_1PKvPK10block_q8_1RKiEEEvS2_S2_PT_PS6_iiii
                                        ; -- End function
	.set _ZL9moe_vec_qIfLi256ELi8E12block_iq4_xsLi1EXadL_ZL19vec_dot_iq4_xs_q8_1PKvPK10block_q8_1RKiEEEvS2_S2_PT_PS6_iiii.num_vgpr, 64
	.set _ZL9moe_vec_qIfLi256ELi8E12block_iq4_xsLi1EXadL_ZL19vec_dot_iq4_xs_q8_1PKvPK10block_q8_1RKiEEEvS2_S2_PT_PS6_iiii.num_agpr, 0
	.set _ZL9moe_vec_qIfLi256ELi8E12block_iq4_xsLi1EXadL_ZL19vec_dot_iq4_xs_q8_1PKvPK10block_q8_1RKiEEEvS2_S2_PT_PS6_iiii.numbered_sgpr, 19
	.set _ZL9moe_vec_qIfLi256ELi8E12block_iq4_xsLi1EXadL_ZL19vec_dot_iq4_xs_q8_1PKvPK10block_q8_1RKiEEEvS2_S2_PT_PS6_iiii.num_named_barrier, 0
	.set _ZL9moe_vec_qIfLi256ELi8E12block_iq4_xsLi1EXadL_ZL19vec_dot_iq4_xs_q8_1PKvPK10block_q8_1RKiEEEvS2_S2_PT_PS6_iiii.private_seg_size, 0
	.set _ZL9moe_vec_qIfLi256ELi8E12block_iq4_xsLi1EXadL_ZL19vec_dot_iq4_xs_q8_1PKvPK10block_q8_1RKiEEEvS2_S2_PT_PS6_iiii.uses_vcc, 1
	.set _ZL9moe_vec_qIfLi256ELi8E12block_iq4_xsLi1EXadL_ZL19vec_dot_iq4_xs_q8_1PKvPK10block_q8_1RKiEEEvS2_S2_PT_PS6_iiii.uses_flat_scratch, 0
	.set _ZL9moe_vec_qIfLi256ELi8E12block_iq4_xsLi1EXadL_ZL19vec_dot_iq4_xs_q8_1PKvPK10block_q8_1RKiEEEvS2_S2_PT_PS6_iiii.has_dyn_sized_stack, 0
	.set _ZL9moe_vec_qIfLi256ELi8E12block_iq4_xsLi1EXadL_ZL19vec_dot_iq4_xs_q8_1PKvPK10block_q8_1RKiEEEvS2_S2_PT_PS6_iiii.has_recursion, 0
	.set _ZL9moe_vec_qIfLi256ELi8E12block_iq4_xsLi1EXadL_ZL19vec_dot_iq4_xs_q8_1PKvPK10block_q8_1RKiEEEvS2_S2_PT_PS6_iiii.has_indirect_call, 0
	.section	.AMDGPU.csdata,"",@progbits
; Kernel info:
; codeLenInByte = 1976
; TotalNumSgprs: 21
; NumVgprs: 64
; ScratchSize: 0
; MemoryBound: 0
; FloatMode: 240
; IeeeMode: 1
; LDSByteSize: 0 bytes/workgroup (compile time only)
; SGPRBlocks: 0
; VGPRBlocks: 3
; NumSGPRsForWavesPerEU: 21
; NumVGPRsForWavesPerEU: 64
; NamedBarCnt: 0
; Occupancy: 16
; WaveLimiterHint : 1
; COMPUTE_PGM_RSRC2:SCRATCH_EN: 0
; COMPUTE_PGM_RSRC2:USER_SGPR: 2
; COMPUTE_PGM_RSRC2:TRAP_HANDLER: 0
; COMPUTE_PGM_RSRC2:TGID_X_EN: 1
; COMPUTE_PGM_RSRC2:TGID_Y_EN: 0
; COMPUTE_PGM_RSRC2:TGID_Z_EN: 1
; COMPUTE_PGM_RSRC2:TIDIG_COMP_CNT: 1
	.section	.text._ZL9moe_vec_qIfLi256ELi8E11block_iq1_mLi1EXadL_ZL18vec_dot_iq1_m_q8_1PKvPK10block_q8_1RKiEEEvS2_S2_PT_PS6_iiii,"axG",@progbits,_ZL9moe_vec_qIfLi256ELi8E11block_iq1_mLi1EXadL_ZL18vec_dot_iq1_m_q8_1PKvPK10block_q8_1RKiEEEvS2_S2_PT_PS6_iiii,comdat
	.globl	_ZL9moe_vec_qIfLi256ELi8E11block_iq1_mLi1EXadL_ZL18vec_dot_iq1_m_q8_1PKvPK10block_q8_1RKiEEEvS2_S2_PT_PS6_iiii ; -- Begin function _ZL9moe_vec_qIfLi256ELi8E11block_iq1_mLi1EXadL_ZL18vec_dot_iq1_m_q8_1PKvPK10block_q8_1RKiEEEvS2_S2_PT_PS6_iiii
	.p2align	8
	.type	_ZL9moe_vec_qIfLi256ELi8E11block_iq1_mLi1EXadL_ZL18vec_dot_iq1_m_q8_1PKvPK10block_q8_1RKiEEEvS2_S2_PT_PS6_iiii,@function
_ZL9moe_vec_qIfLi256ELi8E11block_iq1_mLi1EXadL_ZL18vec_dot_iq1_m_q8_1PKvPK10block_q8_1RKiEEEvS2_S2_PT_PS6_iiii: ; @_ZL9moe_vec_qIfLi256ELi8E11block_iq1_mLi1EXadL_ZL18vec_dot_iq1_m_q8_1PKvPK10block_q8_1RKiEEEvS2_S2_PT_PS6_iiii
; %bb.0:
	s_clause 0x1
	s_load_u16 s3, s[0:1], 0x3e
	s_load_b128 s[4:7], s[0:1], 0x20
	s_bfe_u32 s2, ttmp6, 0x4000c
	s_and_b32 s8, ttmp6, 15
	s_add_co_i32 s2, s2, 1
	v_bfe_u32 v1, v0, 10, 10
	s_mul_i32 s2, ttmp9, s2
	s_delay_alu instid0(SALU_CYCLE_1) | instskip(SKIP_1) | instid1(SALU_CYCLE_1)
	s_add_co_i32 s8, s8, s2
	s_getreg_b32 s2, hwreg(HW_REG_IB_STS2, 6, 4)
	s_cmp_eq_u32 s2, 0
	s_cselect_b32 s8, ttmp9, s8
	s_wait_kmcnt 0x0
	v_mad_u32 v20, s8, s3, v1
	s_mov_b32 s3, exec_lo
	s_delay_alu instid0(VALU_DEP_1)
	v_cmpx_gt_u32_e64 s6, v20
	s_cbranch_execz .LBB255_7
; %bb.1:
	s_load_b64 s[8:9], s[0:1], 0x10
	s_bfe_u32 s3, ttmp6, 0x40014
	s_lshr_b32 s10, ttmp7, 16
	s_add_co_i32 s3, s3, 1
	s_bfe_u32 s11, ttmp6, 0x40008
	s_mul_i32 s3, s10, s3
	v_bfe_u32 v22, v0, 3, 7
	s_add_co_i32 s11, s11, s3
	s_cmp_eq_u32 s2, 0
	v_and_b32_e32 v21, 0x3ff, v0
	s_cselect_b32 s11, s10, s11
	s_ashr_i32 s2, s5, 31
	v_mov_b32_e32 v24, 0
	s_lshr_b32 s2, s2, 24
	s_mov_b32 s12, exec_lo
	s_add_co_i32 s2, s5, s2
	s_delay_alu instid0(SALU_CYCLE_1) | instskip(NEXT) | instid1(SALU_CYCLE_1)
	s_ashr_i32 s13, s2, 8
	v_cmpx_gt_u32_e64 s13, v22
	s_cbranch_execz .LBB255_5
; %bb.2:
	s_load_b64 s[2:3], s[0:1], 0x18
	s_cvt_f32_u32 s5, s4
	s_mul_i32 s15, s13, s6
	v_mul_lo_u32 v23, v20, s13
	v_bfe_u32 v2, v21, 1, 2
	v_rcp_iflag_f32_e32 v0, s5
	s_delay_alu instid0(VALU_DEP_1) | instskip(NEXT) | instid1(VALU_DEP_1)
	v_dual_mov_b32 v9, 0 :: v_dual_lshlrev_b32 v14, 1, v2
	v_mov_b32_e32 v13, v9
	s_delay_alu instid0(TRANS32_DEP_1) | instskip(SKIP_3) | instid1(VALU_DEP_3)
	v_readfirstlane_b32 s5, v0
	v_and_b32_e32 v0, 7, v21
	v_dual_lshlrev_b32 v26, 3, v22 :: v_dual_bitop2_b32 v1, 1, v21 bitop3:0x40
	v_dual_mov_b32 v15, v9 :: v_dual_mov_b32 v24, v9
	v_lshlrev_b32_e32 v8, 1, v0
	s_delay_alu instid0(VALU_DEP_3)
	v_cmp_eq_u32_e32 vcc_lo, 1, v1
	s_wait_kmcnt 0x0
	s_load_b32 s10, s[2:3], s11 offset:0x0 scale_offset
	s_wait_xcnt 0x0
	s_mul_f32 s2, s5, 0x4f7ffffe
	s_sub_co_i32 s5, 0, s4
	v_lshlrev_b32_e32 v12, 2, v0
	v_cndmask_b32_e64 v25, 0, 6, vcc_lo
	s_cvt_u32_f32 s14, s2
	s_load_b128 s[0:3], s[0:1], 0x0
	s_delay_alu instid0(SALU_CYCLE_2) | instskip(NEXT) | instid1(SALU_CYCLE_1)
	s_mul_i32 s5, s5, s14
	s_mul_hi_u32 s16, s14, s5
	s_mov_b32 s5, 0
	s_add_co_i32 s14, s14, s16
	s_delay_alu instid0(SALU_CYCLE_1) | instskip(NEXT) | instid1(SALU_CYCLE_1)
	s_mul_hi_u32 s16, s11, s14
	s_mul_i32 s14, s16, s4
	s_add_co_i32 s17, s16, 1
	s_sub_co_i32 s18, s11, s14
	s_wait_kmcnt 0x0
	s_mul_i32 s14, s15, s10
	s_sub_co_i32 s10, s18, s4
	s_ashr_i32 s15, s14, 31
	s_cmp_ge_u32 s18, s4
	s_mul_u64 s[14:15], s[14:15], 56
	s_cselect_b32 s16, s17, s16
	s_cselect_b32 s10, s10, s18
	s_add_co_i32 s17, s16, 1
	s_cmp_ge_u32 s10, s4
	s_add_nc_u64 s[0:1], s[0:1], s[14:15]
	s_cselect_b32 s4, s17, s16
	s_mov_b32 s10, 0xbf600000
	s_mul_i32 s4, s4, s7
	s_delay_alu instid0(SALU_CYCLE_1) | instskip(SKIP_2) | instid1(SALU_CYCLE_1)
	s_lshl_b64 s[16:17], s[4:5], 2
	s_mov_b32 s4, 0x3d000000
	s_add_nc_u64 s[2:3], s[2:3], s[16:17]
	v_mad_nc_u64_u32 v[10:11], v0, 36, s[2:3]
	s_get_pc_i64 s[2:3]
	s_add_nc_u64 s[2:3], s[2:3], _ZL13iq1s_grid_gpu@rel64+4
.LBB255_3:                              ; =>This Inner Loop Header: Depth=1
	v_add_nc_u32_e32 v0, v23, v22
	s_delay_alu instid0(VALU_DEP_2) | instskip(SKIP_2) | instid1(VALU_DEP_4)
	v_mad_nc_i64_i32 v[16:17], v26, 36, v[10:11]
	v_add_nc_u32_e32 v22, 4, v22
	v_add_nc_u32_e32 v26, 32, v26
	v_mad_nc_i64_i32 v[18:19], v0, 56, s[0:1]
	s_delay_alu instid0(VALU_DEP_3) | instskip(NEXT) | instid1(VALU_DEP_2)
	v_cmp_le_u32_e32 vcc_lo, s13, v22
	v_add_nc_u64_e32 v[0:1], v[18:19], v[8:9]
	v_add_nc_u64_e32 v[2:3], v[18:19], v[12:13]
	s_clause 0x1
	global_load_u16 v27, v[0:1], off offset:32
	global_load_b32 v32, v[2:3], off
	v_add_nc_u64_e32 v[28:29], v[18:19], v[14:15]
	s_clause 0x1
	global_load_b128 v[0:3], v[16:17], off offset:4
	global_load_b128 v[4:7], v[16:17], off offset:20
	s_clause 0x1
	global_load_b64 v[30:31], v[18:19], off offset:48
	global_load_u16 v33, v[28:29], off offset:48
	s_wait_loadcnt 0x5
	s_wait_xcnt 0x1
	v_lshrrev_b16 v19, 8, v27
	s_wait_loadcnt 0x4
	s_wait_xcnt 0x0
	v_and_b32_e32 v28, 0xff, v32
	v_dual_lshlrev_b32 v29, 8, v27 :: v_dual_lshlrev_b32 v35, 4, v27
	v_bfe_u32 v34, v32, 8, 8
	v_and_b32_e32 v19, 0xffff, v19
	v_lshrrev_b32_e32 v18, 24, v32
	v_bfe_u32 v32, v32, 16, 8
	v_and_or_b32 v28, 0x700, v29, v28
	v_and_or_b32 v29, 0x700, v35, v34
	v_dual_lshlrev_b32 v34, 8, v19 :: v_dual_lshlrev_b32 v35, 4, v19
	s_wait_loadcnt 0x3
	v_bfe_i32 v39, v0, 0, 8
	s_delay_alu instid0(VALU_DEP_3) | instskip(NEXT) | instid1(VALU_DEP_3)
	v_dual_lshlrev_b32 v28, 3, v28 :: v_dual_lshlrev_b32 v29, 3, v29
	v_and_or_b32 v32, 0x700, v34, v32
	v_and_or_b32 v18, 0x700, v35, v18
	s_clause 0x1
	global_load_b32 v34, v28, s[2:3]
	global_load_b32 v35, v29, s[2:3]
	v_dual_ashrrev_i32 v42, 24, v2 :: v_dual_ashrrev_i32 v45, 24, v3
	s_wait_xcnt 0x1
	v_dual_lshlrev_b32 v28, 3, v32 :: v_dual_lshlrev_b32 v18, 3, v18
	s_clause 0x1
	global_load_b32 v29, v28, s[2:3]
	global_load_b32 v32, v18, s[2:3]
	global_load_b32 v36, v[16:17], off
	s_wait_xcnt 0x0
	v_lshrrev_b16 v16, 8, v0
	v_lshrrev_b16 v28, 8, v3
	;; [unrolled: 1-line block ×3, first 2 shown]
	v_bfe_i32 v43, v2, 0, 8
	v_bfe_i32 v44, v2, 16, 8
	;; [unrolled: 1-line block ×4, first 2 shown]
	s_wait_loadcnt 0x7
	v_lshrrev_b16 v2, 8, v4
	v_lshrrev_b16 v3, 8, v5
	v_bfe_i32 v16, v16, 0, 8
	v_bfe_i32 v28, v28, 0, 8
	v_lshrrev_b16 v17, 8, v1
	v_dual_ashrrev_i32 v37, 24, v0 :: v_dual_ashrrev_i32 v40, 24, v1
	v_bfe_i32 v38, v0, 16, 8
	v_dual_ashrrev_i32 v50, 24, v4 :: v_dual_ashrrev_i32 v53, 24, v5
	v_bfe_i32 v51, v4, 16, 8
	v_bfe_i32 v52, v4, 0, 8
	;; [unrolled: 1-line block ×5, first 2 shown]
	v_bfe_u32 v4, v27, 4, 4
	v_and_b32_e32 v5, 0xff, v27
	v_add_nc_u32_e32 v3, v16, v39
	v_bfe_i32 v41, v1, 16, 8
	v_bfe_i32 v1, v1, 0, 8
	;; [unrolled: 1-line block ×4, first 2 shown]
	v_and_b32_e32 v4, 8, v4
	v_and_b32_e32 v5, 8, v5
	v_add3_u32 v3, v3, v38, v37
	v_lshrrev_b16 v48, 8, v6
	v_lshrrev_b16 v49, 8, v7
	v_dual_ashrrev_i32 v56, 24, v6 :: v_dual_ashrrev_i32 v59, 24, v7
	v_bfe_i32 v57, v6, 0, 8
	v_bfe_i32 v58, v6, 16, 8
	;; [unrolled: 1-line block ×4, first 2 shown]
	v_add3_u32 v7, v3, v17, v1
	v_cvt_f32_ubyte0_e32 v3, v4
	v_bfe_i32 v49, v49, 0, 8
	v_bfe_i32 v48, v48, 0, 8
	s_wait_loadcnt 0x5
	v_lshrrev_b32_e32 v27, v25, v33
	s_wait_loadcnt 0x0
	v_cvt_f32_f16_e32 v0, v36
	v_bfe_i32 v36, v2, 0, 8
	v_add_nc_u32_e32 v2, v28, v43
	s_delay_alu instid0(VALU_DEP_1) | instskip(NEXT) | instid1(VALU_DEP_1)
	v_add3_u32 v2, v2, v47, v46
	v_add3_u32 v6, v2, v45, v18
	v_cvt_f32_ubyte0_e32 v2, v5
	s_delay_alu instid0(VALU_DEP_2) | instskip(SKIP_1) | instid1(VALU_DEP_3)
	v_add3_u32 v4, v6, v44, v42
	v_add3_u32 v6, v7, v41, v40
	v_pk_fma_f32 v[2:3], v[2:3], s[4:5], s[10:11] op_sel_hi:[1,0,0] neg_lo:[1,0,0] neg_hi:[1,0,0]
	v_pk_lshrrev_b16 v7, 4, v31
	v_lshrrev_b32_e32 v31, 28, v34
	v_cvt_f32_i32_e32 v5, v4
	v_cvt_f32_i32_e32 v4, v6
	v_add_nc_u32_e32 v6, v62, v52
	s_delay_alu instid0(VALU_DEP_4) | instskip(SKIP_1) | instid1(VALU_DEP_4)
	v_mul_i32_i24_e32 v31, v31, v40
	v_and_b32_e32 v40, 0xf0000f00, v7
	v_pk_mul_f32 v[2:3], v[2:3], v[4:5]
	v_add_nc_u32_e32 v4, v49, v57
	v_add3_u32 v6, v6, v55, v54
	v_pk_lshrrev_b16 v5, 0x8000c, v30
	v_bfe_u32 v30, v34, 24, 4
	v_lshrrev_b32_e32 v33, 28, v35
	v_add3_u32 v4, v4, v61, v60
	v_add3_u32 v6, v6, v53, v36
	v_dual_lshrrev_b32 v7, 4, v19 :: v_dual_bitop2_b32 v19, 8, v19 bitop3:0x40
	v_mul_i32_i24_e32 v30, v30, v37
	s_delay_alu instid0(VALU_DEP_4)
	v_add3_u32 v4, v4, v59, v48
	v_lshrrev_b32_e32 v37, 16, v5
	v_mul_i32_i24_e32 v33, v33, v45
	v_add3_u32 v6, v6, v51, v50
	v_and_b32_e32 v7, 8, v7
	v_add3_u32 v4, v4, v58, v56
	v_add_f32_e32 v2, 0, v2
	v_add3_u32 v30, v30, v31, v33
	v_bitop3_b16 v33, v37, v5, 0xf0 bitop3:0xec
	v_bfe_u32 v37, v34, 20, 4
	v_cvt_f32_i32_e32 v5, v4
	v_cvt_f32_i32_e32 v4, v6
	v_cvt_f32_ubyte0_e32 v6, v19
	v_bfe_u32 v19, v34, 16, 4
	v_mul_i32_i24_e32 v37, v37, v41
	v_lshrrev_b32_e32 v41, 16, v40
	v_cvt_f32_ubyte0_e32 v7, v7
	v_bfe_u32 v45, v29, 20, 4
	v_mul_i32_i24_e32 v19, v19, v38
	v_bfe_u32 v38, v35, 20, 4
	v_dual_lshlrev_b32 v31, 1, v27 :: v_dual_lshrrev_b32 v27, 2, v27
	v_pk_fma_f32 v[6:7], v[6:7], s[4:5], s[10:11] op_sel_hi:[1,0,0] neg_lo:[1,0,0] neg_hi:[1,0,0]
	v_mul_i32_i24_e32 v45, v45, v54
	s_delay_alu instid0(VALU_DEP_4)
	v_mul_i32_i24_e32 v38, v38, v46
	v_bfe_u32 v46, v32, 24, 4
	v_and_or_b32 v31, v31, 14, 1
	v_pk_mul_f32 v[4:5], v[6:7], v[4:5]
	v_and_or_b32 v27, v27, 14, 1
	v_add3_u32 v19, v19, v37, v38
	v_and_b32_e32 v37, 15, v34
	v_bfe_u32 v38, v34, 4, 4
	v_add_f32_e32 v4, 0, v4
	s_or_b32 s5, vcc_lo, s5
	s_delay_alu instid0(VALU_DEP_3) | instskip(NEXT) | instid1(VALU_DEP_3)
	v_mul_i32_i24_e32 v37, v37, v39
	v_mul_i32_i24_e32 v1, v38, v1
	v_bfe_u32 v38, v35, 4, 4
	v_bfe_u32 v39, v35, 16, 4
	v_add_f32_e32 v4, v4, v5
	s_delay_alu instid0(VALU_DEP_3) | instskip(NEXT) | instid1(VALU_DEP_3)
	v_mul_i32_i24_e32 v38, v38, v47
	v_mad_i32_i24 v19, v44, v39, v19
	v_and_b32_e32 v44, 0xf0f0f0f, v35
	v_lshrrev_b32_e32 v39, 4, v35
	v_and_b32_e32 v47, 0xf0f0f0f, v32
	v_add3_u32 v1, v37, v1, v38
	v_and_b32_e32 v37, 0xf0f0f0f, v34
	v_lshrrev_b32_e32 v34, 4, v34
	v_lshrrev_b16 v44, 8, v44
	v_bfe_u32 v38, v35, 24, 4
	v_lshrrev_b16 v39, 8, v39
	v_and_b32_e32 v35, 15, v35
	v_lshrrev_b16 v34, 8, v34
	v_and_b32_e32 v44, 0xffff, v44
	v_mad_i32_i24 v30, v42, v38, v30
	v_and_b32_e32 v42, 15, v29
	v_lshrrev_b16 v37, 8, v37
	v_and_b32_e32 v34, 15, v34
	v_mul_i32_i24_e32 v18, v18, v44
	v_dual_lshrrev_b32 v44, 28, v29 :: v_dual_bitop2_b32 v39, 15, v39 bitop3:0x40
	v_lshrrev_b32_e32 v38, 4, v29
	v_and_b32_e32 v37, 0xffff, v37
	v_mad_i32_i24 v1, v43, v35, v1
	s_delay_alu instid0(VALU_DEP_4)
	v_mul_i32_i24_e32 v44, v44, v53
	v_lshrrev_b32_e32 v53, 28, v32
	v_mul_i32_i24_e32 v42, v52, v42
	v_lshrrev_b32_e32 v52, 4, v32
	v_and_b32_e32 v43, 0xf0f0f0f, v29
	v_and_b32_e32 v34, 0xffff, v34
	v_lshrrev_b16 v38, 8, v38
	v_bfe_u32 v35, v29, 24, 4
	v_lshrrev_b16 v52, 8, v52
	v_mul_i32_i24_e32 v16, v37, v16
	v_bfe_u32 v37, v29, 16, 4
	v_and_b32_e32 v39, 0xffff, v39
	v_lshrrev_b16 v43, 8, v43
	v_mul_i32_i24_e32 v17, v34, v17
	v_and_b32_e32 v34, 15, v38
	v_and_b32_e32 v38, 15, v52
	v_bfe_u32 v29, v29, 4, 4
	v_mul_i32_i24_e32 v37, v51, v37
	v_mul_i32_i24_e32 v35, v50, v35
	v_bfe_u32 v50, v32, 4, 4
	v_bfe_u32 v51, v32, 20, 4
	v_lshrrev_b16 v47, 8, v47
	v_mul_i32_i24_e32 v53, v53, v59
	v_mul_i32_i24_e32 v28, v39, v28
	v_and_b32_e32 v39, 0xffff, v43
	v_and_b32_e32 v34, 0xffff, v34
	;; [unrolled: 1-line block ×3, first 2 shown]
	v_mul_i32_i24_e32 v29, v29, v55
	v_mul_i32_i24_e32 v50, v50, v61
	;; [unrolled: 1-line block ×3, first 2 shown]
	v_and_b32_e32 v43, 0xffff, v47
	v_add3_u32 v35, v35, v44, v53
	v_add3_u32 v16, v16, v17, v28
	v_mul_i32_i24_e32 v17, v36, v39
	v_mul_i32_i24_e32 v28, v34, v62
	;; [unrolled: 1-line block ×3, first 2 shown]
	v_and_b32_e32 v54, 15, v32
	v_bfe_u32 v32, v32, 16, 4
	v_add3_u32 v29, v42, v29, v50
	v_add3_u32 v36, v37, v45, v51
	v_mul_i32_i24_e32 v37, v48, v43
	v_mad_i32_i24 v35, v56, v46, v35
	v_add3_u32 v16, v18, v16, v30
	v_add3_u32 v17, v17, v28, v34
	v_mad_i32_i24 v6, v58, v32, v36
	v_add_f32_e32 v18, v2, v3
	v_mad_i32_i24 v7, v57, v54, v29
	v_add3_u32 v1, v1, v19, v16
	v_add3_u32 v16, v37, v17, v35
	v_bitop3_b16 v17, v33, v41, v40 bitop3:0xfe
	v_cvt_f32_ubyte0_e32 v3, v31
	s_delay_alu instid0(VALU_DEP_4) | instskip(NEXT) | instid1(VALU_DEP_4)
	v_cvt_f32_i32_e32 v1, v1
	v_add3_u32 v6, v7, v6, v16
	s_delay_alu instid0(VALU_DEP_4) | instskip(NEXT) | instid1(VALU_DEP_3)
	v_cvt_f32_f16_e32 v2, v17
	v_add_f32_e32 v1, v18, v1
	s_delay_alu instid0(VALU_DEP_3) | instskip(SKIP_1) | instid1(VALU_DEP_3)
	v_cvt_f32_i32_e32 v5, v6
	v_cvt_f32_ubyte0_e32 v6, v27
	v_pk_mul_f32 v[0:1], v[0:1], v[2:3]
	s_delay_alu instid0(VALU_DEP_3) | instskip(NEXT) | instid1(VALU_DEP_1)
	v_add_f32_e32 v2, v4, v5
	v_fma_f32 v1, v2, v6, v1
	s_delay_alu instid0(VALU_DEP_1)
	v_fmac_f32_e32 v24, v0, v1
	s_and_not1_b32 exec_lo, exec_lo, s5
	s_cbranch_execnz .LBB255_3
; %bb.4:
	s_or_b32 exec_lo, exec_lo, s5
.LBB255_5:
	s_delay_alu instid0(SALU_CYCLE_1) | instskip(SKIP_1) | instid1(VALU_DEP_1)
	s_or_b32 exec_lo, exec_lo, s12
	v_mbcnt_lo_u32_b32 v0, -1, 0
	v_xor_b32_e32 v2, 8, v0
	v_xor_b32_e32 v1, 16, v0
	;; [unrolled: 1-line block ×3, first 2 shown]
	s_delay_alu instid0(VALU_DEP_2) | instskip(SKIP_4) | instid1(VALU_DEP_2)
	v_cmp_gt_i32_e32 vcc_lo, 32, v1
	v_cndmask_b32_e32 v1, v0, v1, vcc_lo
	v_cmp_gt_i32_e32 vcc_lo, 32, v2
	v_cndmask_b32_e32 v2, v0, v2, vcc_lo
	v_cmp_gt_i32_e32 vcc_lo, 32, v3
	v_dual_lshlrev_b32 v2, 2, v2 :: v_dual_lshlrev_b32 v1, 2, v1
	ds_bpermute_b32 v1, v1, v24
	s_wait_dscnt 0x0
	v_add_f32_e32 v1, v24, v1
	ds_bpermute_b32 v2, v2, v1
	s_wait_dscnt 0x0
	v_dual_cndmask_b32 v3, v0, v3, vcc_lo :: v_dual_add_f32 v1, v1, v2
	s_delay_alu instid0(VALU_DEP_1) | instskip(SKIP_3) | instid1(VALU_DEP_1)
	v_lshlrev_b32_e32 v3, 2, v3
	ds_bpermute_b32 v2, v3, v1
	s_wait_dscnt 0x0
	v_dual_add_f32 v1, v1, v2 :: v_dual_bitop2_b32 v3, 2, v0 bitop3:0x14
	v_cmp_gt_i32_e32 vcc_lo, 32, v3
	v_cndmask_b32_e32 v3, v0, v3, vcc_lo
	s_delay_alu instid0(VALU_DEP_1) | instskip(SKIP_2) | instid1(VALU_DEP_1)
	v_lshlrev_b32_e32 v3, 2, v3
	ds_bpermute_b32 v2, v3, v1
	v_xor_b32_e32 v3, 1, v0
	v_cmp_gt_i32_e32 vcc_lo, 32, v3
	v_cndmask_b32_e32 v3, v0, v3, vcc_lo
	v_cmp_eq_u32_e32 vcc_lo, 0, v21
	s_wait_dscnt 0x0
	s_delay_alu instid0(VALU_DEP_2)
	v_dual_add_f32 v0, v1, v2 :: v_dual_lshlrev_b32 v1, 2, v3
	ds_bpermute_b32 v1, v1, v0
	s_and_b32 exec_lo, exec_lo, vcc_lo
	s_cbranch_execz .LBB255_7
; %bb.6:
	v_mad_u32 v2, s6, s11, v20
	s_wait_dscnt 0x0
	v_add_f32_e32 v0, v0, v1
	s_wait_kmcnt 0x0
	global_store_b32 v2, v0, s[8:9] scale_offset
.LBB255_7:
	s_endpgm
	.section	.rodata,"a",@progbits
	.p2align	6, 0x0
	.amdhsa_kernel _ZL9moe_vec_qIfLi256ELi8E11block_iq1_mLi1EXadL_ZL18vec_dot_iq1_m_q8_1PKvPK10block_q8_1RKiEEEvS2_S2_PT_PS6_iiii
		.amdhsa_group_segment_fixed_size 0
		.amdhsa_private_segment_fixed_size 0
		.amdhsa_kernarg_size 304
		.amdhsa_user_sgpr_count 2
		.amdhsa_user_sgpr_dispatch_ptr 0
		.amdhsa_user_sgpr_queue_ptr 0
		.amdhsa_user_sgpr_kernarg_segment_ptr 1
		.amdhsa_user_sgpr_dispatch_id 0
		.amdhsa_user_sgpr_kernarg_preload_length 0
		.amdhsa_user_sgpr_kernarg_preload_offset 0
		.amdhsa_user_sgpr_private_segment_size 0
		.amdhsa_wavefront_size32 1
		.amdhsa_uses_dynamic_stack 0
		.amdhsa_enable_private_segment 0
		.amdhsa_system_sgpr_workgroup_id_x 1
		.amdhsa_system_sgpr_workgroup_id_y 0
		.amdhsa_system_sgpr_workgroup_id_z 1
		.amdhsa_system_sgpr_workgroup_info 0
		.amdhsa_system_vgpr_workitem_id 1
		.amdhsa_next_free_vgpr 63
		.amdhsa_next_free_sgpr 19
		.amdhsa_named_barrier_count 0
		.amdhsa_reserve_vcc 1
		.amdhsa_float_round_mode_32 0
		.amdhsa_float_round_mode_16_64 0
		.amdhsa_float_denorm_mode_32 3
		.amdhsa_float_denorm_mode_16_64 3
		.amdhsa_fp16_overflow 0
		.amdhsa_memory_ordered 1
		.amdhsa_forward_progress 1
		.amdhsa_inst_pref_size 20
		.amdhsa_round_robin_scheduling 0
		.amdhsa_exception_fp_ieee_invalid_op 0
		.amdhsa_exception_fp_denorm_src 0
		.amdhsa_exception_fp_ieee_div_zero 0
		.amdhsa_exception_fp_ieee_overflow 0
		.amdhsa_exception_fp_ieee_underflow 0
		.amdhsa_exception_fp_ieee_inexact 0
		.amdhsa_exception_int_div_zero 0
	.end_amdhsa_kernel
	.section	.text._ZL9moe_vec_qIfLi256ELi8E11block_iq1_mLi1EXadL_ZL18vec_dot_iq1_m_q8_1PKvPK10block_q8_1RKiEEEvS2_S2_PT_PS6_iiii,"axG",@progbits,_ZL9moe_vec_qIfLi256ELi8E11block_iq1_mLi1EXadL_ZL18vec_dot_iq1_m_q8_1PKvPK10block_q8_1RKiEEEvS2_S2_PT_PS6_iiii,comdat
.Lfunc_end255:
	.size	_ZL9moe_vec_qIfLi256ELi8E11block_iq1_mLi1EXadL_ZL18vec_dot_iq1_m_q8_1PKvPK10block_q8_1RKiEEEvS2_S2_PT_PS6_iiii, .Lfunc_end255-_ZL9moe_vec_qIfLi256ELi8E11block_iq1_mLi1EXadL_ZL18vec_dot_iq1_m_q8_1PKvPK10block_q8_1RKiEEEvS2_S2_PT_PS6_iiii
                                        ; -- End function
	.set _ZL9moe_vec_qIfLi256ELi8E11block_iq1_mLi1EXadL_ZL18vec_dot_iq1_m_q8_1PKvPK10block_q8_1RKiEEEvS2_S2_PT_PS6_iiii.num_vgpr, 63
	.set _ZL9moe_vec_qIfLi256ELi8E11block_iq1_mLi1EXadL_ZL18vec_dot_iq1_m_q8_1PKvPK10block_q8_1RKiEEEvS2_S2_PT_PS6_iiii.num_agpr, 0
	.set _ZL9moe_vec_qIfLi256ELi8E11block_iq1_mLi1EXadL_ZL18vec_dot_iq1_m_q8_1PKvPK10block_q8_1RKiEEEvS2_S2_PT_PS6_iiii.numbered_sgpr, 19
	.set _ZL9moe_vec_qIfLi256ELi8E11block_iq1_mLi1EXadL_ZL18vec_dot_iq1_m_q8_1PKvPK10block_q8_1RKiEEEvS2_S2_PT_PS6_iiii.num_named_barrier, 0
	.set _ZL9moe_vec_qIfLi256ELi8E11block_iq1_mLi1EXadL_ZL18vec_dot_iq1_m_q8_1PKvPK10block_q8_1RKiEEEvS2_S2_PT_PS6_iiii.private_seg_size, 0
	.set _ZL9moe_vec_qIfLi256ELi8E11block_iq1_mLi1EXadL_ZL18vec_dot_iq1_m_q8_1PKvPK10block_q8_1RKiEEEvS2_S2_PT_PS6_iiii.uses_vcc, 1
	.set _ZL9moe_vec_qIfLi256ELi8E11block_iq1_mLi1EXadL_ZL18vec_dot_iq1_m_q8_1PKvPK10block_q8_1RKiEEEvS2_S2_PT_PS6_iiii.uses_flat_scratch, 0
	.set _ZL9moe_vec_qIfLi256ELi8E11block_iq1_mLi1EXadL_ZL18vec_dot_iq1_m_q8_1PKvPK10block_q8_1RKiEEEvS2_S2_PT_PS6_iiii.has_dyn_sized_stack, 0
	.set _ZL9moe_vec_qIfLi256ELi8E11block_iq1_mLi1EXadL_ZL18vec_dot_iq1_m_q8_1PKvPK10block_q8_1RKiEEEvS2_S2_PT_PS6_iiii.has_recursion, 0
	.set _ZL9moe_vec_qIfLi256ELi8E11block_iq1_mLi1EXadL_ZL18vec_dot_iq1_m_q8_1PKvPK10block_q8_1RKiEEEvS2_S2_PT_PS6_iiii.has_indirect_call, 0
	.section	.AMDGPU.csdata,"",@progbits
; Kernel info:
; codeLenInByte = 2476
; TotalNumSgprs: 21
; NumVgprs: 63
; ScratchSize: 0
; MemoryBound: 0
; FloatMode: 240
; IeeeMode: 1
; LDSByteSize: 0 bytes/workgroup (compile time only)
; SGPRBlocks: 0
; VGPRBlocks: 3
; NumSGPRsForWavesPerEU: 21
; NumVGPRsForWavesPerEU: 63
; NamedBarCnt: 0
; Occupancy: 16
; WaveLimiterHint : 1
; COMPUTE_PGM_RSRC2:SCRATCH_EN: 0
; COMPUTE_PGM_RSRC2:USER_SGPR: 2
; COMPUTE_PGM_RSRC2:TRAP_HANDLER: 0
; COMPUTE_PGM_RSRC2:TGID_X_EN: 1
; COMPUTE_PGM_RSRC2:TGID_Y_EN: 0
; COMPUTE_PGM_RSRC2:TGID_Z_EN: 1
; COMPUTE_PGM_RSRC2:TIDIG_COMP_CNT: 1
	.section	.text._ZL9moe_vec_qIN3c104HalfELi32ELi4E10block_q4_0Li2EXadL_ZL17vec_dot_q4_0_q8_1PKvPK10block_q8_1RKiEEEvS4_S4_PT_PS8_iiii,"axG",@progbits,_ZL9moe_vec_qIN3c104HalfELi32ELi4E10block_q4_0Li2EXadL_ZL17vec_dot_q4_0_q8_1PKvPK10block_q8_1RKiEEEvS4_S4_PT_PS8_iiii,comdat
	.globl	_ZL9moe_vec_qIN3c104HalfELi32ELi4E10block_q4_0Li2EXadL_ZL17vec_dot_q4_0_q8_1PKvPK10block_q8_1RKiEEEvS4_S4_PT_PS8_iiii ; -- Begin function _ZL9moe_vec_qIN3c104HalfELi32ELi4E10block_q4_0Li2EXadL_ZL17vec_dot_q4_0_q8_1PKvPK10block_q8_1RKiEEEvS4_S4_PT_PS8_iiii
	.p2align	8
	.type	_ZL9moe_vec_qIN3c104HalfELi32ELi4E10block_q4_0Li2EXadL_ZL17vec_dot_q4_0_q8_1PKvPK10block_q8_1RKiEEEvS4_S4_PT_PS8_iiii,@function
_ZL9moe_vec_qIN3c104HalfELi32ELi4E10block_q4_0Li2EXadL_ZL17vec_dot_q4_0_q8_1PKvPK10block_q8_1RKiEEEvS4_S4_PT_PS8_iiii: ; @_ZL9moe_vec_qIN3c104HalfELi32ELi4E10block_q4_0Li2EXadL_ZL17vec_dot_q4_0_q8_1PKvPK10block_q8_1RKiEEEvS4_S4_PT_PS8_iiii
; %bb.0:
	s_clause 0x1
	s_load_u16 s3, s[0:1], 0x3e
	s_load_b128 s[4:7], s[0:1], 0x20
	s_bfe_u32 s2, ttmp6, 0x4000c
	s_and_b32 s8, ttmp6, 15
	s_add_co_i32 s2, s2, 1
	v_bfe_u32 v1, v0, 10, 10
	s_mul_i32 s2, ttmp9, s2
	s_mov_b32 s9, 0
	s_add_co_i32 s8, s8, s2
	s_getreg_b32 s2, hwreg(HW_REG_IB_STS2, 6, 4)
	s_delay_alu instid0(SALU_CYCLE_1) | instskip(SKIP_4) | instid1(VALU_DEP_1)
	s_cmp_eq_u32 s2, 0
	s_cselect_b32 s8, ttmp9, s8
	s_wait_kmcnt 0x0
	v_mad_u32 v4, s8, s3, v1
	s_mov_b32 s3, exec_lo
	v_cmpx_gt_u32_e64 s6, v4
	s_cbranch_execz .LBB256_7
; %bb.1:
	s_load_b64 s[10:11], s[0:1], 0x10
	s_bfe_u32 s3, ttmp6, 0x40014
	s_lshr_b32 s8, ttmp7, 16
	s_add_co_i32 s3, s3, 1
	s_cvt_f32_u32 s13, s4
	s_mul_i32 s3, s8, s3
	s_bfe_u32 s12, ttmp6, 0x40008
	v_bfe_u32 v6, v0, 1, 9
	s_add_co_i32 s12, s12, s3
	v_rcp_iflag_f32_e32 v1, s13
	s_cmp_eq_u32 s2, 0
	v_and_b32_e32 v5, 0x3ff, v0
	s_cselect_b32 s8, s8, s12
	s_ashr_i32 s2, s5, 31
	v_mov_b32_e32 v7, 0
	s_lshr_b32 s2, s2, 27
	s_mov_b32 s12, exec_lo
	s_add_co_i32 s3, s5, s2
	v_readfirstlane_b32 s2, v1
	s_ashr_i32 s13, s3, 5
	s_delay_alu instid0(SALU_CYCLE_1)
	v_cmpx_gt_u32_e64 s13, v6
	s_cbranch_execz .LBB256_5
; %bb.2:
	s_load_b64 s[14:15], s[0:1], 0x18
	s_mul_f32 s5, s2, 0x4f7ffffe
	s_sub_co_i32 s16, 0, s4
	s_mov_b32 s17, s9
	s_wait_xcnt 0x0
	s_load_b128 s[0:3], s[0:1], 0x0
	s_cvt_u32_f32 s18, s5
	v_mul_lo_u32 v8, v4, s13
	s_mul_i32 s19, s13, s6
	v_dual_mov_b32 v1, 0 :: v_dual_lshlrev_b32 v0, 3, v5
	s_mul_i32 s16, s16, s18
	s_mov_b32 s5, 0
	s_delay_alu instid0(VALU_DEP_1) | instskip(NEXT) | instid1(VALU_DEP_2)
	v_dual_mov_b32 v3, 4.0 :: v_dual_bitop2_b32 v0, 8, v0 bitop3:0x40
	v_mov_b32_e32 v7, v1
	s_wait_kmcnt 0x0
	s_load_b32 s20, s[14:15], s8 offset:0x0 scale_offset
	s_wait_xcnt 0x0
	s_mul_hi_u32 s14, s18, s16
	s_delay_alu instid0(SALU_CYCLE_1) | instskip(NEXT) | instid1(SALU_CYCLE_1)
	s_add_co_i32 s16, s18, s14
	s_mul_u64 s[14:15], s[8:9], s[16:17]
	s_delay_alu instid0(SALU_CYCLE_1) | instskip(SKIP_2) | instid1(SALU_CYCLE_1)
	s_mul_i32 s9, s15, s4
	s_add_co_i32 s14, s15, 1
	s_sub_co_i32 s9, s8, s9
	s_sub_co_i32 s16, s9, s4
	s_cmp_ge_u32 s9, s4
	s_cselect_b32 s15, s14, s15
	s_cselect_b32 s9, s16, s9
	s_add_co_i32 s16, s15, 1
	s_cmp_ge_u32 s9, s4
	s_cselect_b32 s4, s16, s15
	s_wait_kmcnt 0x0
	s_mul_i32 s14, s19, s20
	s_mul_i32 s4, s4, s7
	s_ashr_i32 s15, s14, 31
	s_lshl_b64 s[16:17], s[4:5], 2
	s_mul_u64 s[14:15], s[14:15], 18
	s_add_nc_u64 s[2:3], s[2:3], s[16:17]
	s_add_nc_u64 s[0:1], s[0:1], s[14:15]
.LBB256_3:                              ; =>This Inner Loop Header: Depth=1
	v_add_nc_u32_e32 v2, v8, v6
	v_mad_nc_i64_i32 v[10:11], v6, 36, s[2:3]
	v_add_nc_u32_e32 v6, 16, v6
	s_delay_alu instid0(VALU_DEP_3) | instskip(NEXT) | instid1(VALU_DEP_2)
	v_mad_nc_i64_i32 v[12:13], v2, 18, s[0:1]
	v_cmp_le_u32_e32 vcc_lo, s13, v6
	s_delay_alu instid0(VALU_DEP_4) | instskip(SKIP_1) | instid1(VALU_DEP_3)
	v_add_nc_u64_e32 v[14:15], v[10:11], v[0:1]
	s_or_b32 s5, vcc_lo, s5
	v_add_nc_u64_e32 v[16:17], v[12:13], v[0:1]
	global_load_b64 v[18:19], v[14:15], off offset:4
	global_load_b64 v[20:21], v[16:17], off offset:2
	s_clause 0x1
	global_load_b64 v[22:23], v[14:15], off offset:20
	global_load_b32 v2, v[10:11], off
	global_load_u16 v9, v[12:13], off
	s_wait_loadcnt 0x3
	s_wait_xcnt 0x2
	v_dual_ashrrev_i32 v14, 24, v18 :: v_dual_lshrrev_b32 v30, 4, v20
	s_wait_loadcnt 0x2
	v_ashrrev_i32_e32 v15, 24, v22
	v_bfe_i32 v17, v22, 0, 8
	v_ashrrev_i32_e32 v25, 24, v23
	v_bfe_i32 v26, v23, 16, 8
	v_bfe_i32 v27, v23, 8, 8
	v_bfe_i32 v23, v23, 0, 8
	v_bfe_u32 v28, v20, 24, 4
	v_and_b32_e32 v29, 0xf0f0f0f, v20
	v_dual_lshrrev_b32 v31, 28, v20 :: v_dual_bitop2_b32 v33, 15, v20 bitop3:0x40
	v_bfe_u32 v32, v20, 16, 4
	v_bfe_u32 v34, v20, 20, 4
	;; [unrolled: 1-line block ×4, first 2 shown]
	v_and_b32_e32 v36, 0xf0f0f0f, v21
	v_dual_lshrrev_b32 v37, 4, v21 :: v_dual_lshrrev_b32 v38, 28, v21
	v_bfe_u32 v39, v21, 16, 4
	v_and_b32_e32 v40, 15, v21
	v_bfe_u32 v41, v21, 20, 4
	v_bfe_u32 v21, v21, 4, 4
	v_lshrrev_b16 v30, 8, v30
	s_wait_xcnt 0x1
	v_lshrrev_b16 v10, 8, v18
	v_lshrrev_b16 v11, 8, v22
	;; [unrolled: 1-line block ×3, first 2 shown]
	v_mul_i32_i24_e32 v17, v20, v17
	v_mul_i32_i24_e32 v15, v31, v15
	v_lshrrev_b16 v20, 8, v36
	v_lshrrev_b16 v31, 8, v37
	v_mul_i32_i24_e32 v21, v23, v21
	v_mul_i32_i24_e32 v23, v26, v41
	v_and_b32_e32 v26, 15, v30
	s_wait_xcnt 0x0
	v_bfe_i32 v12, v18, 16, 8
	v_bfe_i32 v13, v18, 0, 8
	;; [unrolled: 1-line block ×3, first 2 shown]
	v_ashrrev_i32_e32 v18, 24, v19
	v_bfe_i32 v24, v19, 8, 8
	v_bfe_i32 v10, v10, 0, 8
	;; [unrolled: 1-line block ×3, first 2 shown]
	v_and_b32_e32 v29, 0xffff, v29
	v_and_b32_e32 v20, 0xffff, v20
	;; [unrolled: 1-line block ×4, first 2 shown]
	v_bfe_i32 v22, v19, 16, 8
	v_bfe_i32 v19, v19, 0, 8
	v_mul_i32_i24_e32 v16, v34, v16
	v_mul_i32_i24_e32 v18, v18, v35
	;; [unrolled: 1-line block ×3, first 2 shown]
	v_mad_i32_i24 v14, v28, v14, v15
	v_mul_i32_i24_e32 v10, v29, v10
	v_mul_i32_i24_e32 v15, v24, v20
	v_and_b32_e32 v20, 0xffff, v30
	v_mul_i32_i24_e32 v11, v26, v11
	v_mul_i32_i24_e32 v19, v19, v40
	;; [unrolled: 1-line block ×3, first 2 shown]
	v_mad_i32_i24 v13, v33, v13, v17
	v_mad_i32_i24 v12, v32, v12, v16
	v_add3_u32 v14, v14, v18, v25
	v_mul_i32_i24_e32 v16, v27, v20
	v_add3_u32 v10, v10, v11, v15
	s_delay_alu instid0(VALU_DEP_4) | instskip(SKIP_4) | instid1(VALU_DEP_1)
	v_add3_u32 v11, v12, v22, v23
	v_add3_u32 v12, v13, v19, v21
	s_wait_loadcnt 0x1
	v_lshrrev_b32_e32 v13, 16, v2
	v_add3_u32 v10, v10, v16, v14
	v_add3_u32 v12, v12, v11, v10
	v_cvt_f32_f16_e32 v10, v2
	s_delay_alu instid0(VALU_DEP_4) | instskip(NEXT) | instid1(VALU_DEP_3)
	v_cvt_f32_f16_e32 v11, v13
	v_cvt_f32_i32_e32 v2, v12
	s_delay_alu instid0(VALU_DEP_1) | instskip(NEXT) | instid1(VALU_DEP_1)
	v_pk_mul_f32 v[10:11], v[2:3], v[10:11]
	v_sub_f32_e32 v2, v10, v11
	s_wait_loadcnt 0x0
	s_delay_alu instid0(VALU_DEP_1)
	v_fma_mix_f32 v7, v2, v9, v7 op_sel_hi:[0,1,0]
	s_and_not1_b32 exec_lo, exec_lo, s5
	s_cbranch_execnz .LBB256_3
; %bb.4:
	s_or_b32 exec_lo, exec_lo, s5
.LBB256_5:
	s_delay_alu instid0(SALU_CYCLE_1) | instskip(SKIP_1) | instid1(VALU_DEP_1)
	s_or_b32 exec_lo, exec_lo, s12
	v_mbcnt_lo_u32_b32 v0, -1, 0
	v_xor_b32_e32 v2, 8, v0
	v_xor_b32_e32 v1, 16, v0
	;; [unrolled: 1-line block ×3, first 2 shown]
	s_delay_alu instid0(VALU_DEP_2) | instskip(SKIP_4) | instid1(VALU_DEP_2)
	v_cmp_gt_i32_e32 vcc_lo, 32, v1
	v_cndmask_b32_e32 v1, v0, v1, vcc_lo
	v_cmp_gt_i32_e32 vcc_lo, 32, v2
	v_cndmask_b32_e32 v2, v0, v2, vcc_lo
	v_cmp_gt_i32_e32 vcc_lo, 32, v3
	v_dual_lshlrev_b32 v2, 2, v2 :: v_dual_lshlrev_b32 v1, 2, v1
	ds_bpermute_b32 v1, v1, v7
	s_wait_dscnt 0x0
	v_add_f32_e32 v1, v7, v1
	ds_bpermute_b32 v2, v2, v1
	s_wait_dscnt 0x0
	v_dual_cndmask_b32 v3, v0, v3, vcc_lo :: v_dual_add_f32 v1, v1, v2
	s_delay_alu instid0(VALU_DEP_1) | instskip(SKIP_3) | instid1(VALU_DEP_1)
	v_lshlrev_b32_e32 v3, 2, v3
	ds_bpermute_b32 v2, v3, v1
	s_wait_dscnt 0x0
	v_dual_add_f32 v1, v1, v2 :: v_dual_bitop2_b32 v3, 2, v0 bitop3:0x14
	v_cmp_gt_i32_e32 vcc_lo, 32, v3
	v_cndmask_b32_e32 v3, v0, v3, vcc_lo
	s_delay_alu instid0(VALU_DEP_1) | instskip(SKIP_2) | instid1(VALU_DEP_1)
	v_lshlrev_b32_e32 v3, 2, v3
	ds_bpermute_b32 v2, v3, v1
	v_xor_b32_e32 v3, 1, v0
	v_cmp_gt_i32_e32 vcc_lo, 32, v3
	v_cndmask_b32_e32 v3, v0, v3, vcc_lo
	v_cmp_eq_u32_e32 vcc_lo, 0, v5
	s_wait_dscnt 0x0
	s_delay_alu instid0(VALU_DEP_2)
	v_dual_add_f32 v0, v1, v2 :: v_dual_lshlrev_b32 v1, 2, v3
	ds_bpermute_b32 v1, v1, v0
	s_and_b32 exec_lo, exec_lo, vcc_lo
	s_cbranch_execz .LBB256_7
; %bb.6:
	v_mad_u32 v2, s6, s8, v4
	s_wait_dscnt 0x0
	v_add_f32_e32 v0, v0, v1
	s_delay_alu instid0(VALU_DEP_1)
	v_cvt_f16_f32_e32 v0, v0
	s_wait_kmcnt 0x0
	global_store_b16 v2, v0, s[10:11] scale_offset
.LBB256_7:
	s_endpgm
	.section	.rodata,"a",@progbits
	.p2align	6, 0x0
	.amdhsa_kernel _ZL9moe_vec_qIN3c104HalfELi32ELi4E10block_q4_0Li2EXadL_ZL17vec_dot_q4_0_q8_1PKvPK10block_q8_1RKiEEEvS4_S4_PT_PS8_iiii
		.amdhsa_group_segment_fixed_size 0
		.amdhsa_private_segment_fixed_size 0
		.amdhsa_kernarg_size 304
		.amdhsa_user_sgpr_count 2
		.amdhsa_user_sgpr_dispatch_ptr 0
		.amdhsa_user_sgpr_queue_ptr 0
		.amdhsa_user_sgpr_kernarg_segment_ptr 1
		.amdhsa_user_sgpr_dispatch_id 0
		.amdhsa_user_sgpr_kernarg_preload_length 0
		.amdhsa_user_sgpr_kernarg_preload_offset 0
		.amdhsa_user_sgpr_private_segment_size 0
		.amdhsa_wavefront_size32 1
		.amdhsa_uses_dynamic_stack 0
		.amdhsa_enable_private_segment 0
		.amdhsa_system_sgpr_workgroup_id_x 1
		.amdhsa_system_sgpr_workgroup_id_y 0
		.amdhsa_system_sgpr_workgroup_id_z 1
		.amdhsa_system_sgpr_workgroup_info 0
		.amdhsa_system_vgpr_workitem_id 1
		.amdhsa_next_free_vgpr 42
		.amdhsa_next_free_sgpr 21
		.amdhsa_named_barrier_count 0
		.amdhsa_reserve_vcc 1
		.amdhsa_float_round_mode_32 0
		.amdhsa_float_round_mode_16_64 0
		.amdhsa_float_denorm_mode_32 3
		.amdhsa_float_denorm_mode_16_64 3
		.amdhsa_fp16_overflow 0
		.amdhsa_memory_ordered 1
		.amdhsa_forward_progress 1
		.amdhsa_inst_pref_size 11
		.amdhsa_round_robin_scheduling 0
		.amdhsa_exception_fp_ieee_invalid_op 0
		.amdhsa_exception_fp_denorm_src 0
		.amdhsa_exception_fp_ieee_div_zero 0
		.amdhsa_exception_fp_ieee_overflow 0
		.amdhsa_exception_fp_ieee_underflow 0
		.amdhsa_exception_fp_ieee_inexact 0
		.amdhsa_exception_int_div_zero 0
	.end_amdhsa_kernel
	.section	.text._ZL9moe_vec_qIN3c104HalfELi32ELi4E10block_q4_0Li2EXadL_ZL17vec_dot_q4_0_q8_1PKvPK10block_q8_1RKiEEEvS4_S4_PT_PS8_iiii,"axG",@progbits,_ZL9moe_vec_qIN3c104HalfELi32ELi4E10block_q4_0Li2EXadL_ZL17vec_dot_q4_0_q8_1PKvPK10block_q8_1RKiEEEvS4_S4_PT_PS8_iiii,comdat
.Lfunc_end256:
	.size	_ZL9moe_vec_qIN3c104HalfELi32ELi4E10block_q4_0Li2EXadL_ZL17vec_dot_q4_0_q8_1PKvPK10block_q8_1RKiEEEvS4_S4_PT_PS8_iiii, .Lfunc_end256-_ZL9moe_vec_qIN3c104HalfELi32ELi4E10block_q4_0Li2EXadL_ZL17vec_dot_q4_0_q8_1PKvPK10block_q8_1RKiEEEvS4_S4_PT_PS8_iiii
                                        ; -- End function
	.set _ZL9moe_vec_qIN3c104HalfELi32ELi4E10block_q4_0Li2EXadL_ZL17vec_dot_q4_0_q8_1PKvPK10block_q8_1RKiEEEvS4_S4_PT_PS8_iiii.num_vgpr, 42
	.set _ZL9moe_vec_qIN3c104HalfELi32ELi4E10block_q4_0Li2EXadL_ZL17vec_dot_q4_0_q8_1PKvPK10block_q8_1RKiEEEvS4_S4_PT_PS8_iiii.num_agpr, 0
	.set _ZL9moe_vec_qIN3c104HalfELi32ELi4E10block_q4_0Li2EXadL_ZL17vec_dot_q4_0_q8_1PKvPK10block_q8_1RKiEEEvS4_S4_PT_PS8_iiii.numbered_sgpr, 21
	.set _ZL9moe_vec_qIN3c104HalfELi32ELi4E10block_q4_0Li2EXadL_ZL17vec_dot_q4_0_q8_1PKvPK10block_q8_1RKiEEEvS4_S4_PT_PS8_iiii.num_named_barrier, 0
	.set _ZL9moe_vec_qIN3c104HalfELi32ELi4E10block_q4_0Li2EXadL_ZL17vec_dot_q4_0_q8_1PKvPK10block_q8_1RKiEEEvS4_S4_PT_PS8_iiii.private_seg_size, 0
	.set _ZL9moe_vec_qIN3c104HalfELi32ELi4E10block_q4_0Li2EXadL_ZL17vec_dot_q4_0_q8_1PKvPK10block_q8_1RKiEEEvS4_S4_PT_PS8_iiii.uses_vcc, 1
	.set _ZL9moe_vec_qIN3c104HalfELi32ELi4E10block_q4_0Li2EXadL_ZL17vec_dot_q4_0_q8_1PKvPK10block_q8_1RKiEEEvS4_S4_PT_PS8_iiii.uses_flat_scratch, 0
	.set _ZL9moe_vec_qIN3c104HalfELi32ELi4E10block_q4_0Li2EXadL_ZL17vec_dot_q4_0_q8_1PKvPK10block_q8_1RKiEEEvS4_S4_PT_PS8_iiii.has_dyn_sized_stack, 0
	.set _ZL9moe_vec_qIN3c104HalfELi32ELi4E10block_q4_0Li2EXadL_ZL17vec_dot_q4_0_q8_1PKvPK10block_q8_1RKiEEEvS4_S4_PT_PS8_iiii.has_recursion, 0
	.set _ZL9moe_vec_qIN3c104HalfELi32ELi4E10block_q4_0Li2EXadL_ZL17vec_dot_q4_0_q8_1PKvPK10block_q8_1RKiEEEvS4_S4_PT_PS8_iiii.has_indirect_call, 0
	.section	.AMDGPU.csdata,"",@progbits
; Kernel info:
; codeLenInByte = 1308
; TotalNumSgprs: 23
; NumVgprs: 42
; ScratchSize: 0
; MemoryBound: 0
; FloatMode: 240
; IeeeMode: 1
; LDSByteSize: 0 bytes/workgroup (compile time only)
; SGPRBlocks: 0
; VGPRBlocks: 2
; NumSGPRsForWavesPerEU: 23
; NumVGPRsForWavesPerEU: 42
; NamedBarCnt: 0
; Occupancy: 16
; WaveLimiterHint : 1
; COMPUTE_PGM_RSRC2:SCRATCH_EN: 0
; COMPUTE_PGM_RSRC2:USER_SGPR: 2
; COMPUTE_PGM_RSRC2:TRAP_HANDLER: 0
; COMPUTE_PGM_RSRC2:TGID_X_EN: 1
; COMPUTE_PGM_RSRC2:TGID_Y_EN: 0
; COMPUTE_PGM_RSRC2:TGID_Z_EN: 1
; COMPUTE_PGM_RSRC2:TIDIG_COMP_CNT: 1
	.section	.text._ZL9moe_vec_qIN3c104HalfELi32ELi4E10block_q4_1Li2EXadL_ZL17vec_dot_q4_1_q8_1PKvPK10block_q8_1RKiEEEvS4_S4_PT_PS8_iiii,"axG",@progbits,_ZL9moe_vec_qIN3c104HalfELi32ELi4E10block_q4_1Li2EXadL_ZL17vec_dot_q4_1_q8_1PKvPK10block_q8_1RKiEEEvS4_S4_PT_PS8_iiii,comdat
	.globl	_ZL9moe_vec_qIN3c104HalfELi32ELi4E10block_q4_1Li2EXadL_ZL17vec_dot_q4_1_q8_1PKvPK10block_q8_1RKiEEEvS4_S4_PT_PS8_iiii ; -- Begin function _ZL9moe_vec_qIN3c104HalfELi32ELi4E10block_q4_1Li2EXadL_ZL17vec_dot_q4_1_q8_1PKvPK10block_q8_1RKiEEEvS4_S4_PT_PS8_iiii
	.p2align	8
	.type	_ZL9moe_vec_qIN3c104HalfELi32ELi4E10block_q4_1Li2EXadL_ZL17vec_dot_q4_1_q8_1PKvPK10block_q8_1RKiEEEvS4_S4_PT_PS8_iiii,@function
_ZL9moe_vec_qIN3c104HalfELi32ELi4E10block_q4_1Li2EXadL_ZL17vec_dot_q4_1_q8_1PKvPK10block_q8_1RKiEEEvS4_S4_PT_PS8_iiii: ; @_ZL9moe_vec_qIN3c104HalfELi32ELi4E10block_q4_1Li2EXadL_ZL17vec_dot_q4_1_q8_1PKvPK10block_q8_1RKiEEEvS4_S4_PT_PS8_iiii
; %bb.0:
	s_clause 0x1
	s_load_u16 s3, s[0:1], 0x3e
	s_load_b128 s[4:7], s[0:1], 0x20
	s_bfe_u32 s2, ttmp6, 0x4000c
	s_and_b32 s8, ttmp6, 15
	s_add_co_i32 s2, s2, 1
	v_bfe_u32 v1, v0, 10, 10
	s_mul_i32 s2, ttmp9, s2
	s_mov_b32 s9, 0
	s_add_co_i32 s8, s8, s2
	s_getreg_b32 s2, hwreg(HW_REG_IB_STS2, 6, 4)
	s_delay_alu instid0(SALU_CYCLE_1) | instskip(SKIP_4) | instid1(VALU_DEP_1)
	s_cmp_eq_u32 s2, 0
	s_cselect_b32 s8, ttmp9, s8
	s_wait_kmcnt 0x0
	v_mad_u32 v4, s8, s3, v1
	s_mov_b32 s3, exec_lo
	v_cmpx_gt_u32_e64 s6, v4
	s_cbranch_execz .LBB257_7
; %bb.1:
	s_load_b64 s[10:11], s[0:1], 0x10
	s_bfe_u32 s3, ttmp6, 0x40014
	s_lshr_b32 s8, ttmp7, 16
	s_add_co_i32 s3, s3, 1
	s_cvt_f32_u32 s13, s4
	s_mul_i32 s3, s8, s3
	s_bfe_u32 s12, ttmp6, 0x40008
	v_bfe_u32 v6, v0, 1, 9
	s_add_co_i32 s12, s12, s3
	v_rcp_iflag_f32_e32 v1, s13
	s_cmp_eq_u32 s2, 0
	v_and_b32_e32 v5, 0x3ff, v0
	s_cselect_b32 s8, s8, s12
	s_ashr_i32 s2, s5, 31
	v_mov_b32_e32 v7, 0
	s_lshr_b32 s2, s2, 27
	s_mov_b32 s12, exec_lo
	s_add_co_i32 s3, s5, s2
	v_readfirstlane_b32 s2, v1
	s_ashr_i32 s13, s3, 5
	s_delay_alu instid0(SALU_CYCLE_1)
	v_cmpx_gt_u32_e64 s13, v6
	s_cbranch_execz .LBB257_5
; %bb.2:
	s_load_b64 s[14:15], s[0:1], 0x18
	s_mul_f32 s5, s2, 0x4f7ffffe
	s_sub_co_i32 s16, 0, s4
	s_mov_b32 s17, s9
	s_wait_xcnt 0x0
	s_load_b128 s[0:3], s[0:1], 0x0
	s_cvt_u32_f32 s18, s5
	v_mul_lo_u32 v8, v4, s13
	s_mul_i32 s19, s13, s6
	v_dual_mov_b32 v1, 0 :: v_dual_lshlrev_b32 v0, 3, v5
	s_mul_i32 s16, s16, s18
	s_mov_b32 s5, 0
	s_delay_alu instid0(VALU_DEP_1) | instskip(NEXT) | instid1(VALU_DEP_2)
	v_dual_mov_b32 v3, 0.5 :: v_dual_bitop2_b32 v0, 8, v0 bitop3:0x40
	v_mov_b32_e32 v7, v1
	s_wait_kmcnt 0x0
	s_load_b32 s20, s[14:15], s8 offset:0x0 scale_offset
	s_wait_xcnt 0x0
	s_mul_hi_u32 s14, s18, s16
	s_delay_alu instid0(SALU_CYCLE_1) | instskip(NEXT) | instid1(SALU_CYCLE_1)
	s_add_co_i32 s16, s18, s14
	s_mul_u64 s[14:15], s[8:9], s[16:17]
	s_delay_alu instid0(SALU_CYCLE_1) | instskip(SKIP_2) | instid1(SALU_CYCLE_1)
	s_mul_i32 s9, s15, s4
	s_add_co_i32 s14, s15, 1
	s_sub_co_i32 s9, s8, s9
	s_sub_co_i32 s16, s9, s4
	s_cmp_ge_u32 s9, s4
	s_cselect_b32 s15, s14, s15
	s_cselect_b32 s9, s16, s9
	s_add_co_i32 s16, s15, 1
	s_cmp_ge_u32 s9, s4
	s_cselect_b32 s4, s16, s15
	s_wait_kmcnt 0x0
	s_mul_i32 s14, s19, s20
	s_mul_i32 s4, s4, s7
	s_ashr_i32 s15, s14, 31
	s_lshl_b64 s[16:17], s[4:5], 2
	s_mul_u64 s[14:15], s[14:15], 20
	s_add_nc_u64 s[2:3], s[2:3], s[16:17]
	s_add_nc_u64 s[0:1], s[0:1], s[14:15]
.LBB257_3:                              ; =>This Inner Loop Header: Depth=1
	v_add_nc_u32_e32 v2, v8, v6
	v_mad_nc_i64_i32 v[10:11], v6, 36, s[2:3]
	v_add_nc_u32_e32 v6, 16, v6
	s_delay_alu instid0(VALU_DEP_3) | instskip(NEXT) | instid1(VALU_DEP_2)
	v_mad_nc_i64_i32 v[12:13], v2, 20, s[0:1]
	v_cmp_le_u32_e32 vcc_lo, s13, v6
	s_delay_alu instid0(VALU_DEP_4) | instskip(SKIP_1) | instid1(VALU_DEP_3)
	v_add_nc_u64_e32 v[14:15], v[10:11], v[0:1]
	s_or_b32 s5, vcc_lo, s5
	v_add_nc_u64_e32 v[16:17], v[12:13], v[0:1]
	global_load_b64 v[18:19], v[14:15], off offset:4
	global_load_b64 v[20:21], v[16:17], off offset:4
	s_clause 0x1
	global_load_b64 v[22:23], v[14:15], off offset:20
	global_load_b32 v2, v[10:11], off
	global_load_b32 v9, v[12:13], off
	s_wait_loadcnt 0x3
	s_wait_xcnt 0x2
	v_dual_ashrrev_i32 v14, 24, v18 :: v_dual_lshrrev_b32 v30, 4, v20
	s_wait_loadcnt 0x2
	v_ashrrev_i32_e32 v15, 24, v22
	v_bfe_i32 v17, v22, 0, 8
	v_ashrrev_i32_e32 v25, 24, v23
	v_bfe_i32 v26, v23, 16, 8
	v_bfe_i32 v27, v23, 8, 8
	;; [unrolled: 1-line block ×3, first 2 shown]
	v_bfe_u32 v28, v20, 24, 4
	v_and_b32_e32 v29, 0xf0f0f0f, v20
	v_dual_lshrrev_b32 v31, 28, v20 :: v_dual_bitop2_b32 v33, 15, v20 bitop3:0x40
	v_bfe_u32 v32, v20, 16, 4
	v_bfe_u32 v34, v20, 20, 4
	;; [unrolled: 1-line block ×4, first 2 shown]
	v_and_b32_e32 v36, 0xf0f0f0f, v21
	v_dual_lshrrev_b32 v37, 4, v21 :: v_dual_lshrrev_b32 v38, 28, v21
	v_bfe_u32 v39, v21, 16, 4
	v_bfe_u32 v41, v21, 20, 4
	v_lshrrev_b16 v30, 8, v30
	s_wait_loadcnt 0x0
	v_pk_mul_f16 v2, v9, v2
	v_and_b32_e32 v40, 15, v21
	v_bfe_u32 v21, v21, 4, 4
	v_lshrrev_b16 v10, 8, v18
	v_lshrrev_b16 v11, 8, v22
	v_bfe_i32 v16, v22, 16, 8
	v_lshrrev_b16 v29, 8, v29
	v_mul_i32_i24_e32 v17, v20, v17
	v_mul_i32_i24_e32 v15, v31, v15
	v_lshrrev_b16 v20, 8, v36
	v_lshrrev_b16 v31, 8, v37
	v_mul_i32_i24_e32 v21, v23, v21
	v_mul_i32_i24_e32 v23, v26, v41
	v_and_b32_e32 v26, 15, v30
	v_bfe_i32 v12, v18, 16, 8
	v_bfe_i32 v13, v18, 0, 8
	v_ashrrev_i32_e32 v18, 24, v19
	v_bfe_i32 v22, v19, 16, 8
	v_bfe_i32 v24, v19, 8, 8
	;; [unrolled: 1-line block ×4, first 2 shown]
	v_mul_i32_i24_e32 v16, v34, v16
	v_and_b32_e32 v29, 0xffff, v29
	v_and_b32_e32 v20, 0xffff, v20
	;; [unrolled: 1-line block ×4, first 2 shown]
	v_bfe_i32 v19, v19, 0, 8
	v_mul_i32_i24_e32 v22, v22, v39
	v_mul_i32_i24_e32 v18, v18, v35
	;; [unrolled: 1-line block ×3, first 2 shown]
	v_mad_i32_i24 v14, v28, v14, v15
	v_mul_i32_i24_e32 v10, v29, v10
	v_mul_i32_i24_e32 v15, v24, v20
	v_and_b32_e32 v20, 0xffff, v30
	v_mul_i32_i24_e32 v11, v26, v11
	v_mad_i32_i24 v12, v32, v12, v16
	v_mad_i32_i24 v13, v33, v13, v17
	v_add3_u32 v14, v14, v18, v25
	v_mul_i32_i24_e32 v16, v27, v20
	v_add3_u32 v10, v10, v11, v15
	v_add3_u32 v9, v12, v22, v23
	v_lshrrev_b32_e32 v12, 16, v2
	v_mul_i32_i24_e32 v19, v19, v40
	s_delay_alu instid0(VALU_DEP_4) | instskip(NEXT) | instid1(VALU_DEP_2)
	v_add3_u32 v10, v10, v16, v14
	v_add3_u32 v11, v13, v19, v21
	s_delay_alu instid0(VALU_DEP_1) | instskip(SKIP_2) | instid1(VALU_DEP_3)
	v_add3_u32 v9, v11, v9, v10
	v_cvt_f32_f16_e32 v10, v2
	v_cvt_f32_f16_e32 v11, v12
	v_cvt_f32_i32_e32 v2, v9
	s_delay_alu instid0(VALU_DEP_1) | instskip(NEXT) | instid1(VALU_DEP_1)
	v_pk_mul_f32 v[10:11], v[2:3], v[10:11]
	v_add_f32_e32 v2, v11, v10
	s_delay_alu instid0(VALU_DEP_1)
	v_add_f32_e32 v7, v7, v2
	s_and_not1_b32 exec_lo, exec_lo, s5
	s_cbranch_execnz .LBB257_3
; %bb.4:
	s_or_b32 exec_lo, exec_lo, s5
.LBB257_5:
	s_delay_alu instid0(SALU_CYCLE_1) | instskip(SKIP_1) | instid1(VALU_DEP_1)
	s_or_b32 exec_lo, exec_lo, s12
	v_mbcnt_lo_u32_b32 v0, -1, 0
	v_xor_b32_e32 v2, 8, v0
	v_xor_b32_e32 v1, 16, v0
	;; [unrolled: 1-line block ×3, first 2 shown]
	s_delay_alu instid0(VALU_DEP_2) | instskip(SKIP_4) | instid1(VALU_DEP_2)
	v_cmp_gt_i32_e32 vcc_lo, 32, v1
	v_cndmask_b32_e32 v1, v0, v1, vcc_lo
	v_cmp_gt_i32_e32 vcc_lo, 32, v2
	v_cndmask_b32_e32 v2, v0, v2, vcc_lo
	v_cmp_gt_i32_e32 vcc_lo, 32, v3
	v_dual_lshlrev_b32 v2, 2, v2 :: v_dual_lshlrev_b32 v1, 2, v1
	ds_bpermute_b32 v1, v1, v7
	s_wait_dscnt 0x0
	v_add_f32_e32 v1, v7, v1
	ds_bpermute_b32 v2, v2, v1
	s_wait_dscnt 0x0
	v_dual_cndmask_b32 v3, v0, v3, vcc_lo :: v_dual_add_f32 v1, v1, v2
	s_delay_alu instid0(VALU_DEP_1) | instskip(SKIP_3) | instid1(VALU_DEP_1)
	v_lshlrev_b32_e32 v3, 2, v3
	ds_bpermute_b32 v2, v3, v1
	s_wait_dscnt 0x0
	v_dual_add_f32 v1, v1, v2 :: v_dual_bitop2_b32 v3, 2, v0 bitop3:0x14
	v_cmp_gt_i32_e32 vcc_lo, 32, v3
	v_cndmask_b32_e32 v3, v0, v3, vcc_lo
	s_delay_alu instid0(VALU_DEP_1) | instskip(SKIP_2) | instid1(VALU_DEP_1)
	v_lshlrev_b32_e32 v3, 2, v3
	ds_bpermute_b32 v2, v3, v1
	v_xor_b32_e32 v3, 1, v0
	v_cmp_gt_i32_e32 vcc_lo, 32, v3
	v_cndmask_b32_e32 v3, v0, v3, vcc_lo
	v_cmp_eq_u32_e32 vcc_lo, 0, v5
	s_wait_dscnt 0x0
	s_delay_alu instid0(VALU_DEP_2)
	v_dual_add_f32 v0, v1, v2 :: v_dual_lshlrev_b32 v1, 2, v3
	ds_bpermute_b32 v1, v1, v0
	s_and_b32 exec_lo, exec_lo, vcc_lo
	s_cbranch_execz .LBB257_7
; %bb.6:
	v_mad_u32 v2, s6, s8, v4
	s_wait_dscnt 0x0
	v_add_f32_e32 v0, v0, v1
	s_delay_alu instid0(VALU_DEP_1)
	v_cvt_f16_f32_e32 v0, v0
	s_wait_kmcnt 0x0
	global_store_b16 v2, v0, s[10:11] scale_offset
.LBB257_7:
	s_endpgm
	.section	.rodata,"a",@progbits
	.p2align	6, 0x0
	.amdhsa_kernel _ZL9moe_vec_qIN3c104HalfELi32ELi4E10block_q4_1Li2EXadL_ZL17vec_dot_q4_1_q8_1PKvPK10block_q8_1RKiEEEvS4_S4_PT_PS8_iiii
		.amdhsa_group_segment_fixed_size 0
		.amdhsa_private_segment_fixed_size 0
		.amdhsa_kernarg_size 304
		.amdhsa_user_sgpr_count 2
		.amdhsa_user_sgpr_dispatch_ptr 0
		.amdhsa_user_sgpr_queue_ptr 0
		.amdhsa_user_sgpr_kernarg_segment_ptr 1
		.amdhsa_user_sgpr_dispatch_id 0
		.amdhsa_user_sgpr_kernarg_preload_length 0
		.amdhsa_user_sgpr_kernarg_preload_offset 0
		.amdhsa_user_sgpr_private_segment_size 0
		.amdhsa_wavefront_size32 1
		.amdhsa_uses_dynamic_stack 0
		.amdhsa_enable_private_segment 0
		.amdhsa_system_sgpr_workgroup_id_x 1
		.amdhsa_system_sgpr_workgroup_id_y 0
		.amdhsa_system_sgpr_workgroup_id_z 1
		.amdhsa_system_sgpr_workgroup_info 0
		.amdhsa_system_vgpr_workitem_id 1
		.amdhsa_next_free_vgpr 42
		.amdhsa_next_free_sgpr 21
		.amdhsa_named_barrier_count 0
		.amdhsa_reserve_vcc 1
		.amdhsa_float_round_mode_32 0
		.amdhsa_float_round_mode_16_64 0
		.amdhsa_float_denorm_mode_32 3
		.amdhsa_float_denorm_mode_16_64 3
		.amdhsa_fp16_overflow 0
		.amdhsa_memory_ordered 1
		.amdhsa_forward_progress 1
		.amdhsa_inst_pref_size 11
		.amdhsa_round_robin_scheduling 0
		.amdhsa_exception_fp_ieee_invalid_op 0
		.amdhsa_exception_fp_denorm_src 0
		.amdhsa_exception_fp_ieee_div_zero 0
		.amdhsa_exception_fp_ieee_overflow 0
		.amdhsa_exception_fp_ieee_underflow 0
		.amdhsa_exception_fp_ieee_inexact 0
		.amdhsa_exception_int_div_zero 0
	.end_amdhsa_kernel
	.section	.text._ZL9moe_vec_qIN3c104HalfELi32ELi4E10block_q4_1Li2EXadL_ZL17vec_dot_q4_1_q8_1PKvPK10block_q8_1RKiEEEvS4_S4_PT_PS8_iiii,"axG",@progbits,_ZL9moe_vec_qIN3c104HalfELi32ELi4E10block_q4_1Li2EXadL_ZL17vec_dot_q4_1_q8_1PKvPK10block_q8_1RKiEEEvS4_S4_PT_PS8_iiii,comdat
.Lfunc_end257:
	.size	_ZL9moe_vec_qIN3c104HalfELi32ELi4E10block_q4_1Li2EXadL_ZL17vec_dot_q4_1_q8_1PKvPK10block_q8_1RKiEEEvS4_S4_PT_PS8_iiii, .Lfunc_end257-_ZL9moe_vec_qIN3c104HalfELi32ELi4E10block_q4_1Li2EXadL_ZL17vec_dot_q4_1_q8_1PKvPK10block_q8_1RKiEEEvS4_S4_PT_PS8_iiii
                                        ; -- End function
	.set _ZL9moe_vec_qIN3c104HalfELi32ELi4E10block_q4_1Li2EXadL_ZL17vec_dot_q4_1_q8_1PKvPK10block_q8_1RKiEEEvS4_S4_PT_PS8_iiii.num_vgpr, 42
	.set _ZL9moe_vec_qIN3c104HalfELi32ELi4E10block_q4_1Li2EXadL_ZL17vec_dot_q4_1_q8_1PKvPK10block_q8_1RKiEEEvS4_S4_PT_PS8_iiii.num_agpr, 0
	.set _ZL9moe_vec_qIN3c104HalfELi32ELi4E10block_q4_1Li2EXadL_ZL17vec_dot_q4_1_q8_1PKvPK10block_q8_1RKiEEEvS4_S4_PT_PS8_iiii.numbered_sgpr, 21
	.set _ZL9moe_vec_qIN3c104HalfELi32ELi4E10block_q4_1Li2EXadL_ZL17vec_dot_q4_1_q8_1PKvPK10block_q8_1RKiEEEvS4_S4_PT_PS8_iiii.num_named_barrier, 0
	.set _ZL9moe_vec_qIN3c104HalfELi32ELi4E10block_q4_1Li2EXadL_ZL17vec_dot_q4_1_q8_1PKvPK10block_q8_1RKiEEEvS4_S4_PT_PS8_iiii.private_seg_size, 0
	.set _ZL9moe_vec_qIN3c104HalfELi32ELi4E10block_q4_1Li2EXadL_ZL17vec_dot_q4_1_q8_1PKvPK10block_q8_1RKiEEEvS4_S4_PT_PS8_iiii.uses_vcc, 1
	.set _ZL9moe_vec_qIN3c104HalfELi32ELi4E10block_q4_1Li2EXadL_ZL17vec_dot_q4_1_q8_1PKvPK10block_q8_1RKiEEEvS4_S4_PT_PS8_iiii.uses_flat_scratch, 0
	.set _ZL9moe_vec_qIN3c104HalfELi32ELi4E10block_q4_1Li2EXadL_ZL17vec_dot_q4_1_q8_1PKvPK10block_q8_1RKiEEEvS4_S4_PT_PS8_iiii.has_dyn_sized_stack, 0
	.set _ZL9moe_vec_qIN3c104HalfELi32ELi4E10block_q4_1Li2EXadL_ZL17vec_dot_q4_1_q8_1PKvPK10block_q8_1RKiEEEvS4_S4_PT_PS8_iiii.has_recursion, 0
	.set _ZL9moe_vec_qIN3c104HalfELi32ELi4E10block_q4_1Li2EXadL_ZL17vec_dot_q4_1_q8_1PKvPK10block_q8_1RKiEEEvS4_S4_PT_PS8_iiii.has_indirect_call, 0
	.section	.AMDGPU.csdata,"",@progbits
; Kernel info:
; codeLenInByte = 1300
; TotalNumSgprs: 23
; NumVgprs: 42
; ScratchSize: 0
; MemoryBound: 0
; FloatMode: 240
; IeeeMode: 1
; LDSByteSize: 0 bytes/workgroup (compile time only)
; SGPRBlocks: 0
; VGPRBlocks: 2
; NumSGPRsForWavesPerEU: 23
; NumVGPRsForWavesPerEU: 42
; NamedBarCnt: 0
; Occupancy: 16
; WaveLimiterHint : 1
; COMPUTE_PGM_RSRC2:SCRATCH_EN: 0
; COMPUTE_PGM_RSRC2:USER_SGPR: 2
; COMPUTE_PGM_RSRC2:TRAP_HANDLER: 0
; COMPUTE_PGM_RSRC2:TGID_X_EN: 1
; COMPUTE_PGM_RSRC2:TGID_Y_EN: 0
; COMPUTE_PGM_RSRC2:TGID_Z_EN: 1
; COMPUTE_PGM_RSRC2:TIDIG_COMP_CNT: 1
	.section	.text._ZL9moe_vec_qIN3c104HalfELi32ELi4E10block_q5_0Li2EXadL_ZL17vec_dot_q5_0_q8_1PKvPK10block_q8_1RKiEEEvS4_S4_PT_PS8_iiii,"axG",@progbits,_ZL9moe_vec_qIN3c104HalfELi32ELi4E10block_q5_0Li2EXadL_ZL17vec_dot_q5_0_q8_1PKvPK10block_q8_1RKiEEEvS4_S4_PT_PS8_iiii,comdat
	.globl	_ZL9moe_vec_qIN3c104HalfELi32ELi4E10block_q5_0Li2EXadL_ZL17vec_dot_q5_0_q8_1PKvPK10block_q8_1RKiEEEvS4_S4_PT_PS8_iiii ; -- Begin function _ZL9moe_vec_qIN3c104HalfELi32ELi4E10block_q5_0Li2EXadL_ZL17vec_dot_q5_0_q8_1PKvPK10block_q8_1RKiEEEvS4_S4_PT_PS8_iiii
	.p2align	8
	.type	_ZL9moe_vec_qIN3c104HalfELi32ELi4E10block_q5_0Li2EXadL_ZL17vec_dot_q5_0_q8_1PKvPK10block_q8_1RKiEEEvS4_S4_PT_PS8_iiii,@function
_ZL9moe_vec_qIN3c104HalfELi32ELi4E10block_q5_0Li2EXadL_ZL17vec_dot_q5_0_q8_1PKvPK10block_q8_1RKiEEEvS4_S4_PT_PS8_iiii: ; @_ZL9moe_vec_qIN3c104HalfELi32ELi4E10block_q5_0Li2EXadL_ZL17vec_dot_q5_0_q8_1PKvPK10block_q8_1RKiEEEvS4_S4_PT_PS8_iiii
; %bb.0:
	s_clause 0x1
	s_load_u16 s3, s[0:1], 0x3e
	s_load_b128 s[4:7], s[0:1], 0x20
	s_bfe_u32 s2, ttmp6, 0x4000c
	s_and_b32 s8, ttmp6, 15
	s_add_co_i32 s2, s2, 1
	v_bfe_u32 v1, v0, 10, 10
	s_mul_i32 s2, ttmp9, s2
	s_delay_alu instid0(SALU_CYCLE_1) | instskip(SKIP_1) | instid1(SALU_CYCLE_1)
	s_add_co_i32 s8, s8, s2
	s_getreg_b32 s2, hwreg(HW_REG_IB_STS2, 6, 4)
	s_cmp_eq_u32 s2, 0
	s_cselect_b32 s8, ttmp9, s8
	s_wait_kmcnt 0x0
	v_mad_u32 v4, s8, s3, v1
	s_mov_b32 s3, 0
	s_mov_b32 s8, exec_lo
	s_delay_alu instid0(VALU_DEP_1)
	v_cmpx_gt_u32_e64 s6, v4
	s_cbranch_execz .LBB258_7
; %bb.1:
	s_load_b64 s[12:13], s[0:1], 0x10
	s_bfe_u32 s8, ttmp6, 0x40014
	s_lshr_b32 s9, ttmp7, 16
	s_add_co_i32 s8, s8, 1
	s_cvt_f32_u32 s11, s4
	s_mul_i32 s8, s9, s8
	s_bfe_u32 s10, ttmp6, 0x40008
	v_bfe_u32 v6, v0, 1, 9
	s_add_co_i32 s10, s10, s8
	v_rcp_iflag_f32_e32 v1, s11
	s_cmp_eq_u32 s2, 0
	v_and_b32_e32 v5, 0x3ff, v0
	s_cselect_b32 s2, s9, s10
	s_ashr_i32 s8, s5, 31
	v_mov_b32_e32 v7, 0
	s_lshr_b32 s8, s8, 27
	s_mov_b32 s14, exec_lo
	s_add_co_i32 s8, s5, s8
	v_readfirstlane_b32 s5, v1
	s_ashr_i32 s15, s8, 5
	s_delay_alu instid0(SALU_CYCLE_1)
	v_cmpx_gt_u32_e64 s15, v6
	s_cbranch_execz .LBB258_5
; %bb.2:
	s_clause 0x1
	s_load_b64 s[16:17], s[0:1], 0x18
	s_load_b128 s[8:11], s[0:1], 0x0
	s_wait_xcnt 0x0
	s_mul_f32 s0, s5, 0x4f7ffffe
	s_sub_co_i32 s5, 0, s4
	s_mov_b32 s19, s3
	v_dual_mov_b32 v1, 0 :: v_dual_lshlrev_b32 v0, 3, v5
	s_cvt_u32_f32 s0, s0
	v_mul_lo_u32 v8, v4, s15
	s_mul_i32 s20, s15, s6
	s_delay_alu instid0(VALU_DEP_2)
	v_dual_mov_b32 v7, v1 :: v_dual_bitop2_b32 v0, 8, v0 bitop3:0x40
	s_mul_i32 s5, s5, s0
	s_mov_b32 s1, 0
	s_mul_hi_u32 s5, s0, s5
	v_mov_b32_e32 v3, 0x41000000
	s_add_co_i32 s18, s0, s5
	v_or_b32_e32 v9, 4, v0
	s_wait_kmcnt 0x0
	s_load_b32 s21, s[16:17], s2 offset:0x0 scale_offset
	s_wait_xcnt 0x0
	s_mul_u64 s[16:17], s[2:3], s[18:19]
	s_delay_alu instid0(SALU_CYCLE_1) | instskip(SKIP_2) | instid1(SALU_CYCLE_1)
	s_mul_i32 s0, s17, s4
	s_add_co_i32 s3, s17, 1
	s_sub_co_i32 s0, s2, s0
	s_sub_co_i32 s5, s0, s4
	s_cmp_ge_u32 s0, s4
	s_cselect_b32 s3, s3, s17
	s_cselect_b32 s0, s5, s0
	s_add_co_i32 s5, s3, 1
	s_cmp_ge_u32 s0, s4
	s_cselect_b32 s0, s5, s3
	s_delay_alu instid0(SALU_CYCLE_1) | instskip(NEXT) | instid1(SALU_CYCLE_1)
	s_mul_i32 s0, s0, s7
	s_lshl_b64 s[16:17], s[0:1], 2
	s_wait_kmcnt 0x0
	s_mul_i32 s4, s20, s21
	s_delay_alu instid0(SALU_CYCLE_1) | instskip(NEXT) | instid1(SALU_CYCLE_1)
	s_ashr_i32 s5, s4, 31
	s_mul_u64 s[4:5], s[4:5], 22
	s_delay_alu instid0(SALU_CYCLE_1)
	s_add_nc_u64 s[4:5], s[8:9], s[4:5]
	s_add_nc_u64 s[8:9], s[10:11], s[16:17]
.LBB258_3:                              ; =>This Inner Loop Header: Depth=1
	v_add_nc_u32_e32 v2, v8, v6
	v_mad_nc_i64_i32 v[10:11], v6, 36, s[8:9]
	v_add_nc_u32_e32 v6, 16, v6
	s_delay_alu instid0(VALU_DEP_3) | instskip(NEXT) | instid1(VALU_DEP_2)
	v_mad_nc_i64_i32 v[12:13], v2, 22, s[4:5]
	v_cmp_le_u32_e32 vcc_lo, s15, v6
	s_delay_alu instid0(VALU_DEP_4) | instskip(SKIP_1) | instid1(VALU_DEP_3)
	v_add_nc_u64_e32 v[14:15], v[10:11], v[0:1]
	s_or_b32 s1, vcc_lo, s1
	v_add_nc_u64_e32 v[16:17], v[12:13], v[0:1]
	global_load_b32 v2, v[12:13], off offset:2
	global_load_b64 v[18:19], v[14:15], off offset:4
	global_load_b64 v[20:21], v[16:17], off offset:6
	s_clause 0x1
	global_load_b64 v[22:23], v[14:15], off offset:20
	global_load_b32 v24, v[10:11], off
	global_load_u16 v25, v[12:13], off
	s_wait_loadcnt 0x5
	s_wait_xcnt 0x1
	v_dual_ashrrev_i32 v10, v0, v2 :: v_dual_ashrrev_i32 v2, v9, v2
	s_wait_loadcnt 0x3
	v_and_b32_e32 v45, 0xf0f0f0f, v20
	v_and_b32_e32 v46, 0xf0f0f0f, v21
	s_wait_loadcnt 0x2
	v_dual_ashrrev_i32 v16, 24, v22 :: v_dual_lshrrev_b32 v20, 4, v20
	v_dual_lshlrev_b32 v31, 4, v10 :: v_dual_lshlrev_b32 v32, 11, v10
	v_dual_lshlrev_b32 v33, 18, v10 :: v_dual_lshlrev_b32 v34, 25, v10
	v_dual_lshrrev_b32 v35, 12, v10 :: v_dual_lshrrev_b32 v36, 5, v10
	v_dual_lshrrev_b32 v42, 12, v2 :: v_dual_lshrrev_b32 v43, 5, v2
	v_dual_lshlrev_b32 v37, 2, v10 :: v_dual_lshlrev_b32 v10, 9, v10
	v_dual_lshlrev_b32 v38, 4, v2 :: v_dual_lshlrev_b32 v39, 11, v2
	;; [unrolled: 1-line block ×4, first 2 shown]
	v_dual_lshrrev_b32 v21, 4, v21 :: v_dual_bitop2_b32 v31, 16, v31 bitop3:0x40
	v_and_b32_e32 v32, 0x1000, v32
	v_and_b32_e32 v42, 16, v42
	v_and_or_b32 v34, 0x10000000, v34, v45
	v_and_b32_e32 v35, 16, v35
	v_and_b32_e32 v37, 0x100000, v37
	;; [unrolled: 1-line block ×5, first 2 shown]
	v_or3_b32 v31, v31, v45, v32
	v_lshrrev_b32_e32 v34, 24, v34
	v_and_or_b32 v32, 0x1000, v36, v35
	v_and_or_b32 v36, 0x1000, v43, v42
	v_and_b32_e32 v20, 0xf0f0f0f, v20
	v_and_b32_e32 v21, 0xf0f0f0f, v21
	;; [unrolled: 1-line block ×3, first 2 shown]
	v_or3_b32 v10, v32, v37, v10
	v_or3_b32 v2, v36, v44, v2
	v_and_b32_e32 v41, 0x10000000, v41
	v_lshrrev_b16 v11, 8, v18
	v_and_b32_e32 v33, 0x100000, v33
	s_wait_xcnt 0x0
	v_lshrrev_b16 v12, 8, v22
	v_or_b32_e32 v37, v2, v21
	v_or_b32_e32 v36, v10, v20
	v_and_b32_e32 v38, 16, v38
	v_bitop3_b32 v2, v2, 31, v21 bitop3:0xc8
	v_dual_ashrrev_i32 v13, 24, v18 :: v_dual_ashrrev_i32 v28, 24, v23
	s_delay_alu instid0(VALU_DEP_4) | instskip(NEXT) | instid1(VALU_DEP_4)
	v_lshrrev_b32_e32 v21, 24, v36
	v_and_or_b32 v35, 0x1000, v39, v38
	v_lshrrev_b16 v39, 8, v31
	v_bfe_i32 v14, v18, 0, 8
	v_bfe_i32 v15, v18, 16, 8
	;; [unrolled: 1-line block ×3, first 2 shown]
	v_or3_b32 v32, v35, v40, v41
	v_bfe_i32 v18, v22, 0, 8
	v_ashrrev_i32_e32 v22, 24, v19
	v_bfe_i32 v26, v19, 16, 8
	v_bfe_i32 v27, v19, 8, 8
	;; [unrolled: 1-line block ×4, first 2 shown]
	v_or_b32_e32 v38, v31, v33
	v_and_b32_e32 v35, 0xffff, v39
	v_bitop3_b32 v10, v10, 31, v20 bitop3:0xc8
	v_or_b32_e32 v20, v32, v46
	v_bitop3_b32 v32, v32, 31, v46 bitop3:0xc8
	v_bfe_i32 v29, v23, 16, 8
	v_bfe_i32 v30, v23, 8, 8
	;; [unrolled: 1-line block ×3, first 2 shown]
	v_bitop3_b32 v31, v31, 31, v33 bitop3:0xc8
	v_bfe_u32 v33, v38, 16, 5
	v_mul_i32_i24_e32 v11, v35, v11
	v_mul_i32_i24_e32 v10, v10, v18
	v_lshrrev_b32_e32 v18, 24, v20
	v_lshrrev_b16 v38, 8, v20
	v_bfe_u32 v20, v20, 16, 5
	v_mul_i32_i24_e32 v19, v19, v32
	v_lshrrev_b32_e32 v32, 24, v37
	v_lshrrev_b16 v35, 8, v36
	v_lshrrev_b16 v39, 8, v37
	v_bfe_i32 v12, v12, 0, 8
	v_bfe_u32 v36, v36, 16, 5
	v_mul_i32_i24_e32 v2, v23, v2
	v_and_b32_e32 v23, 0xffff, v35
	v_mul_i32_i24_e32 v16, v21, v16
	v_mul_i32_i24_e32 v20, v26, v20
	v_and_b32_e32 v26, 0xffff, v39
	v_bfe_u32 v37, v37, 16, 5
	v_mul_i32_i24_e32 v17, v36, v17
	v_and_b32_e32 v21, 0xffff, v38
	v_mul_i32_i24_e32 v18, v22, v18
	v_mul_i32_i24_e32 v28, v28, v32
	;; [unrolled: 1-line block ×4, first 2 shown]
	v_mad_i32_i24 v13, v34, v13, v16
	v_mul_i32_i24_e32 v22, v29, v37
	v_mad_i32_i24 v10, v31, v14, v10
	v_mul_i32_i24_e32 v14, v27, v21
	v_mad_i32_i24 v15, v33, v15, v17
	v_add3_u32 v11, v11, v12, v23
	v_add3_u32 v12, v13, v28, v18
	v_add3_u32 v2, v10, v2, v19
	s_delay_alu instid0(VALU_DEP_4) | instskip(NEXT) | instid1(VALU_DEP_3)
	v_add3_u32 v10, v15, v22, v20
	v_add3_u32 v11, v11, v14, v12
	s_wait_loadcnt 0x1
	v_lshrrev_b32_e32 v12, 16, v24
	s_delay_alu instid0(VALU_DEP_2) | instskip(SKIP_1) | instid1(VALU_DEP_3)
	v_add3_u32 v2, v2, v10, v11
	v_cvt_f32_f16_e32 v10, v24
	v_cvt_f32_f16_e32 v11, v12
	s_delay_alu instid0(VALU_DEP_3) | instskip(NEXT) | instid1(VALU_DEP_1)
	v_cvt_f32_i32_e32 v2, v2
	v_pk_mul_f32 v[10:11], v[2:3], v[10:11]
	s_delay_alu instid0(VALU_DEP_1) | instskip(SKIP_1) | instid1(VALU_DEP_1)
	v_sub_f32_e32 v2, v10, v11
	s_wait_loadcnt 0x0
	v_fma_mix_f32 v7, v2, v25, v7 op_sel_hi:[0,1,0]
	s_and_not1_b32 exec_lo, exec_lo, s1
	s_cbranch_execnz .LBB258_3
; %bb.4:
	s_or_b32 exec_lo, exec_lo, s1
.LBB258_5:
	s_delay_alu instid0(SALU_CYCLE_1) | instskip(SKIP_1) | instid1(VALU_DEP_1)
	s_or_b32 exec_lo, exec_lo, s14
	v_mbcnt_lo_u32_b32 v0, -1, 0
	v_xor_b32_e32 v2, 8, v0
	v_xor_b32_e32 v1, 16, v0
	;; [unrolled: 1-line block ×3, first 2 shown]
	s_delay_alu instid0(VALU_DEP_2) | instskip(SKIP_4) | instid1(VALU_DEP_2)
	v_cmp_gt_i32_e32 vcc_lo, 32, v1
	v_cndmask_b32_e32 v1, v0, v1, vcc_lo
	v_cmp_gt_i32_e32 vcc_lo, 32, v2
	v_cndmask_b32_e32 v2, v0, v2, vcc_lo
	v_cmp_gt_i32_e32 vcc_lo, 32, v3
	v_dual_lshlrev_b32 v2, 2, v2 :: v_dual_lshlrev_b32 v1, 2, v1
	ds_bpermute_b32 v1, v1, v7
	s_wait_dscnt 0x0
	v_add_f32_e32 v1, v7, v1
	ds_bpermute_b32 v2, v2, v1
	s_wait_dscnt 0x0
	v_dual_cndmask_b32 v3, v0, v3, vcc_lo :: v_dual_add_f32 v1, v1, v2
	s_delay_alu instid0(VALU_DEP_1) | instskip(SKIP_3) | instid1(VALU_DEP_1)
	v_lshlrev_b32_e32 v3, 2, v3
	ds_bpermute_b32 v2, v3, v1
	s_wait_dscnt 0x0
	v_dual_add_f32 v1, v1, v2 :: v_dual_bitop2_b32 v3, 2, v0 bitop3:0x14
	v_cmp_gt_i32_e32 vcc_lo, 32, v3
	v_cndmask_b32_e32 v3, v0, v3, vcc_lo
	s_delay_alu instid0(VALU_DEP_1) | instskip(SKIP_2) | instid1(VALU_DEP_1)
	v_lshlrev_b32_e32 v3, 2, v3
	ds_bpermute_b32 v2, v3, v1
	v_xor_b32_e32 v3, 1, v0
	v_cmp_gt_i32_e32 vcc_lo, 32, v3
	v_cndmask_b32_e32 v3, v0, v3, vcc_lo
	v_cmp_eq_u32_e32 vcc_lo, 0, v5
	s_wait_dscnt 0x0
	s_delay_alu instid0(VALU_DEP_2)
	v_dual_add_f32 v0, v1, v2 :: v_dual_lshlrev_b32 v1, 2, v3
	ds_bpermute_b32 v1, v1, v0
	s_and_b32 exec_lo, exec_lo, vcc_lo
	s_cbranch_execz .LBB258_7
; %bb.6:
	v_mad_u32 v2, s6, s2, v4
	s_wait_dscnt 0x0
	v_add_f32_e32 v0, v0, v1
	s_delay_alu instid0(VALU_DEP_1)
	v_cvt_f16_f32_e32 v0, v0
	s_wait_kmcnt 0x0
	global_store_b16 v2, v0, s[12:13] scale_offset
.LBB258_7:
	s_endpgm
	.section	.rodata,"a",@progbits
	.p2align	6, 0x0
	.amdhsa_kernel _ZL9moe_vec_qIN3c104HalfELi32ELi4E10block_q5_0Li2EXadL_ZL17vec_dot_q5_0_q8_1PKvPK10block_q8_1RKiEEEvS4_S4_PT_PS8_iiii
		.amdhsa_group_segment_fixed_size 0
		.amdhsa_private_segment_fixed_size 0
		.amdhsa_kernarg_size 304
		.amdhsa_user_sgpr_count 2
		.amdhsa_user_sgpr_dispatch_ptr 0
		.amdhsa_user_sgpr_queue_ptr 0
		.amdhsa_user_sgpr_kernarg_segment_ptr 1
		.amdhsa_user_sgpr_dispatch_id 0
		.amdhsa_user_sgpr_kernarg_preload_length 0
		.amdhsa_user_sgpr_kernarg_preload_offset 0
		.amdhsa_user_sgpr_private_segment_size 0
		.amdhsa_wavefront_size32 1
		.amdhsa_uses_dynamic_stack 0
		.amdhsa_enable_private_segment 0
		.amdhsa_system_sgpr_workgroup_id_x 1
		.amdhsa_system_sgpr_workgroup_id_y 0
		.amdhsa_system_sgpr_workgroup_id_z 1
		.amdhsa_system_sgpr_workgroup_info 0
		.amdhsa_system_vgpr_workitem_id 1
		.amdhsa_next_free_vgpr 47
		.amdhsa_next_free_sgpr 22
		.amdhsa_named_barrier_count 0
		.amdhsa_reserve_vcc 1
		.amdhsa_float_round_mode_32 0
		.amdhsa_float_round_mode_16_64 0
		.amdhsa_float_denorm_mode_32 3
		.amdhsa_float_denorm_mode_16_64 3
		.amdhsa_fp16_overflow 0
		.amdhsa_memory_ordered 1
		.amdhsa_forward_progress 1
		.amdhsa_inst_pref_size 13
		.amdhsa_round_robin_scheduling 0
		.amdhsa_exception_fp_ieee_invalid_op 0
		.amdhsa_exception_fp_denorm_src 0
		.amdhsa_exception_fp_ieee_div_zero 0
		.amdhsa_exception_fp_ieee_overflow 0
		.amdhsa_exception_fp_ieee_underflow 0
		.amdhsa_exception_fp_ieee_inexact 0
		.amdhsa_exception_int_div_zero 0
	.end_amdhsa_kernel
	.section	.text._ZL9moe_vec_qIN3c104HalfELi32ELi4E10block_q5_0Li2EXadL_ZL17vec_dot_q5_0_q8_1PKvPK10block_q8_1RKiEEEvS4_S4_PT_PS8_iiii,"axG",@progbits,_ZL9moe_vec_qIN3c104HalfELi32ELi4E10block_q5_0Li2EXadL_ZL17vec_dot_q5_0_q8_1PKvPK10block_q8_1RKiEEEvS4_S4_PT_PS8_iiii,comdat
.Lfunc_end258:
	.size	_ZL9moe_vec_qIN3c104HalfELi32ELi4E10block_q5_0Li2EXadL_ZL17vec_dot_q5_0_q8_1PKvPK10block_q8_1RKiEEEvS4_S4_PT_PS8_iiii, .Lfunc_end258-_ZL9moe_vec_qIN3c104HalfELi32ELi4E10block_q5_0Li2EXadL_ZL17vec_dot_q5_0_q8_1PKvPK10block_q8_1RKiEEEvS4_S4_PT_PS8_iiii
                                        ; -- End function
	.set _ZL9moe_vec_qIN3c104HalfELi32ELi4E10block_q5_0Li2EXadL_ZL17vec_dot_q5_0_q8_1PKvPK10block_q8_1RKiEEEvS4_S4_PT_PS8_iiii.num_vgpr, 47
	.set _ZL9moe_vec_qIN3c104HalfELi32ELi4E10block_q5_0Li2EXadL_ZL17vec_dot_q5_0_q8_1PKvPK10block_q8_1RKiEEEvS4_S4_PT_PS8_iiii.num_agpr, 0
	.set _ZL9moe_vec_qIN3c104HalfELi32ELi4E10block_q5_0Li2EXadL_ZL17vec_dot_q5_0_q8_1PKvPK10block_q8_1RKiEEEvS4_S4_PT_PS8_iiii.numbered_sgpr, 22
	.set _ZL9moe_vec_qIN3c104HalfELi32ELi4E10block_q5_0Li2EXadL_ZL17vec_dot_q5_0_q8_1PKvPK10block_q8_1RKiEEEvS4_S4_PT_PS8_iiii.num_named_barrier, 0
	.set _ZL9moe_vec_qIN3c104HalfELi32ELi4E10block_q5_0Li2EXadL_ZL17vec_dot_q5_0_q8_1PKvPK10block_q8_1RKiEEEvS4_S4_PT_PS8_iiii.private_seg_size, 0
	.set _ZL9moe_vec_qIN3c104HalfELi32ELi4E10block_q5_0Li2EXadL_ZL17vec_dot_q5_0_q8_1PKvPK10block_q8_1RKiEEEvS4_S4_PT_PS8_iiii.uses_vcc, 1
	.set _ZL9moe_vec_qIN3c104HalfELi32ELi4E10block_q5_0Li2EXadL_ZL17vec_dot_q5_0_q8_1PKvPK10block_q8_1RKiEEEvS4_S4_PT_PS8_iiii.uses_flat_scratch, 0
	.set _ZL9moe_vec_qIN3c104HalfELi32ELi4E10block_q5_0Li2EXadL_ZL17vec_dot_q5_0_q8_1PKvPK10block_q8_1RKiEEEvS4_S4_PT_PS8_iiii.has_dyn_sized_stack, 0
	.set _ZL9moe_vec_qIN3c104HalfELi32ELi4E10block_q5_0Li2EXadL_ZL17vec_dot_q5_0_q8_1PKvPK10block_q8_1RKiEEEvS4_S4_PT_PS8_iiii.has_recursion, 0
	.set _ZL9moe_vec_qIN3c104HalfELi32ELi4E10block_q5_0Li2EXadL_ZL17vec_dot_q5_0_q8_1PKvPK10block_q8_1RKiEEEvS4_S4_PT_PS8_iiii.has_indirect_call, 0
	.section	.AMDGPU.csdata,"",@progbits
; Kernel info:
; codeLenInByte = 1640
; TotalNumSgprs: 24
; NumVgprs: 47
; ScratchSize: 0
; MemoryBound: 0
; FloatMode: 240
; IeeeMode: 1
; LDSByteSize: 0 bytes/workgroup (compile time only)
; SGPRBlocks: 0
; VGPRBlocks: 2
; NumSGPRsForWavesPerEU: 24
; NumVGPRsForWavesPerEU: 47
; NamedBarCnt: 0
; Occupancy: 16
; WaveLimiterHint : 1
; COMPUTE_PGM_RSRC2:SCRATCH_EN: 0
; COMPUTE_PGM_RSRC2:USER_SGPR: 2
; COMPUTE_PGM_RSRC2:TRAP_HANDLER: 0
; COMPUTE_PGM_RSRC2:TGID_X_EN: 1
; COMPUTE_PGM_RSRC2:TGID_Y_EN: 0
; COMPUTE_PGM_RSRC2:TGID_Z_EN: 1
; COMPUTE_PGM_RSRC2:TIDIG_COMP_CNT: 1
	.section	.text._ZL9moe_vec_qIN3c104HalfELi32ELi4E10block_q5_1Li2EXadL_ZL17vec_dot_q5_1_q8_1PKvPK10block_q8_1RKiEEEvS4_S4_PT_PS8_iiii,"axG",@progbits,_ZL9moe_vec_qIN3c104HalfELi32ELi4E10block_q5_1Li2EXadL_ZL17vec_dot_q5_1_q8_1PKvPK10block_q8_1RKiEEEvS4_S4_PT_PS8_iiii,comdat
	.globl	_ZL9moe_vec_qIN3c104HalfELi32ELi4E10block_q5_1Li2EXadL_ZL17vec_dot_q5_1_q8_1PKvPK10block_q8_1RKiEEEvS4_S4_PT_PS8_iiii ; -- Begin function _ZL9moe_vec_qIN3c104HalfELi32ELi4E10block_q5_1Li2EXadL_ZL17vec_dot_q5_1_q8_1PKvPK10block_q8_1RKiEEEvS4_S4_PT_PS8_iiii
	.p2align	8
	.type	_ZL9moe_vec_qIN3c104HalfELi32ELi4E10block_q5_1Li2EXadL_ZL17vec_dot_q5_1_q8_1PKvPK10block_q8_1RKiEEEvS4_S4_PT_PS8_iiii,@function
_ZL9moe_vec_qIN3c104HalfELi32ELi4E10block_q5_1Li2EXadL_ZL17vec_dot_q5_1_q8_1PKvPK10block_q8_1RKiEEEvS4_S4_PT_PS8_iiii: ; @_ZL9moe_vec_qIN3c104HalfELi32ELi4E10block_q5_1Li2EXadL_ZL17vec_dot_q5_1_q8_1PKvPK10block_q8_1RKiEEEvS4_S4_PT_PS8_iiii
; %bb.0:
	s_clause 0x1
	s_load_u16 s3, s[0:1], 0x3e
	s_load_b128 s[4:7], s[0:1], 0x20
	s_bfe_u32 s2, ttmp6, 0x4000c
	s_and_b32 s8, ttmp6, 15
	s_add_co_i32 s2, s2, 1
	v_bfe_u32 v1, v0, 10, 10
	s_mul_i32 s2, ttmp9, s2
	s_delay_alu instid0(SALU_CYCLE_1) | instskip(SKIP_1) | instid1(SALU_CYCLE_1)
	s_add_co_i32 s8, s8, s2
	s_getreg_b32 s2, hwreg(HW_REG_IB_STS2, 6, 4)
	s_cmp_eq_u32 s2, 0
	s_cselect_b32 s8, ttmp9, s8
	s_wait_kmcnt 0x0
	v_mad_u32 v6, s8, s3, v1
	s_mov_b32 s3, 0
	s_mov_b32 s8, exec_lo
	s_delay_alu instid0(VALU_DEP_1)
	v_cmpx_gt_u32_e64 s6, v6
	s_cbranch_execz .LBB259_7
; %bb.1:
	s_load_b64 s[12:13], s[0:1], 0x10
	s_bfe_u32 s8, ttmp6, 0x40014
	s_lshr_b32 s9, ttmp7, 16
	s_add_co_i32 s8, s8, 1
	s_cvt_f32_u32 s11, s4
	s_mul_i32 s8, s9, s8
	s_bfe_u32 s10, ttmp6, 0x40008
	v_bfe_u32 v8, v0, 1, 9
	s_add_co_i32 s10, s10, s8
	v_rcp_iflag_f32_e32 v1, s11
	s_cmp_eq_u32 s2, 0
	v_and_b32_e32 v7, 0x3ff, v0
	s_cselect_b32 s2, s9, s10
	s_ashr_i32 s8, s5, 31
	v_mov_b32_e32 v9, 0
	s_lshr_b32 s8, s8, 27
	s_mov_b32 s14, exec_lo
	s_add_co_i32 s8, s5, s8
	v_readfirstlane_b32 s5, v1
	s_ashr_i32 s15, s8, 5
	s_delay_alu instid0(SALU_CYCLE_1)
	v_cmpx_gt_u32_e64 s15, v8
	s_cbranch_execz .LBB259_5
; %bb.2:
	s_clause 0x1
	s_load_b64 s[16:17], s[0:1], 0x18
	s_load_b128 s[8:11], s[0:1], 0x0
	s_wait_xcnt 0x0
	s_mul_f32 s0, s5, 0x4f7ffffe
	s_sub_co_i32 s5, 0, s4
	s_mov_b32 s19, s3
	v_dual_mov_b32 v1, 0 :: v_dual_lshlrev_b32 v0, 3, v7
	s_cvt_u32_f32 s0, s0
	v_mul_lo_u32 v10, v6, s15
	s_mul_i32 s20, s15, s6
	s_delay_alu instid0(VALU_DEP_2) | instskip(SKIP_3) | instid1(VALU_DEP_1)
	v_dual_mov_b32 v3, 0.5 :: v_dual_bitop2_b32 v0, 8, v0 bitop3:0x40
	s_mul_i32 s5, s5, s0
	s_mov_b32 s1, 0
	s_mul_hi_u32 s5, s0, s5
	v_dual_mov_b32 v9, v1 :: v_dual_bitop2_b32 v11, 4, v0 bitop3:0x54
	s_add_co_i32 s18, s0, s5
	s_wait_kmcnt 0x0
	s_load_b32 s21, s[16:17], s2 offset:0x0 scale_offset
	s_wait_xcnt 0x0
	s_mul_u64 s[16:17], s[2:3], s[18:19]
	s_delay_alu instid0(SALU_CYCLE_1) | instskip(SKIP_2) | instid1(SALU_CYCLE_1)
	s_mul_i32 s0, s17, s4
	s_add_co_i32 s3, s17, 1
	s_sub_co_i32 s0, s2, s0
	s_sub_co_i32 s5, s0, s4
	s_cmp_ge_u32 s0, s4
	s_cselect_b32 s3, s3, s17
	s_cselect_b32 s0, s5, s0
	s_add_co_i32 s5, s3, 1
	s_cmp_ge_u32 s0, s4
	s_cselect_b32 s0, s5, s3
	s_delay_alu instid0(SALU_CYCLE_1) | instskip(NEXT) | instid1(SALU_CYCLE_1)
	s_mul_i32 s0, s0, s7
	s_lshl_b64 s[16:17], s[0:1], 2
	s_wait_kmcnt 0x0
	s_mul_i32 s4, s20, s21
	s_delay_alu instid0(SALU_CYCLE_1) | instskip(NEXT) | instid1(SALU_CYCLE_1)
	s_ashr_i32 s5, s4, 31
	s_mul_u64 s[4:5], s[4:5], 24
	s_delay_alu instid0(SALU_CYCLE_1)
	s_add_nc_u64 s[4:5], s[8:9], s[4:5]
	s_add_nc_u64 s[8:9], s[10:11], s[16:17]
.LBB259_3:                              ; =>This Inner Loop Header: Depth=1
	v_add_nc_u32_e32 v2, v10, v8
	v_mad_nc_i64_i32 v[12:13], v8, 36, s[8:9]
	v_add_nc_u32_e32 v8, 16, v8
	s_delay_alu instid0(VALU_DEP_3) | instskip(NEXT) | instid1(VALU_DEP_2)
	v_mad_nc_i64_i32 v[14:15], v2, 24, s[4:5]
	v_cmp_le_u32_e32 vcc_lo, s15, v8
	s_delay_alu instid0(VALU_DEP_4) | instskip(SKIP_1) | instid1(VALU_DEP_3)
	v_add_nc_u64_e32 v[16:17], v[12:13], v[0:1]
	s_or_b32 s1, vcc_lo, s1
	v_add_nc_u64_e32 v[18:19], v[14:15], v[0:1]
	global_load_b64 v[4:5], v[14:15], off
	global_load_b64 v[20:21], v[16:17], off offset:4
	global_load_b64 v[22:23], v[18:19], off offset:8
	s_clause 0x1
	global_load_b64 v[24:25], v[16:17], off offset:20
	global_load_b32 v2, v[12:13], off
	s_wait_loadcnt 0x4
	s_wait_xcnt 0x0
	v_dual_ashrrev_i32 v12, v0, v5 :: v_dual_ashrrev_i32 v5, v11, v5
	s_wait_loadcnt 0x1
	v_dual_ashrrev_i32 v15, 24, v20 :: v_dual_ashrrev_i32 v28, 24, v25
	v_and_b32_e32 v45, 0xf0f0f0f, v22
	s_delay_alu instid0(VALU_DEP_3)
	v_dual_lshlrev_b32 v31, 4, v12 :: v_dual_lshlrev_b32 v32, 11, v12
	v_dual_lshlrev_b32 v33, 18, v12 :: v_dual_lshlrev_b32 v34, 25, v12
	v_dual_lshrrev_b32 v35, 12, v12 :: v_dual_lshrrev_b32 v36, 5, v12
	v_dual_lshlrev_b32 v37, 2, v12 :: v_dual_lshlrev_b32 v12, 9, v12
	v_dual_lshlrev_b32 v38, 4, v5 :: v_dual_lshlrev_b32 v41, 25, v5
	v_dual_lshrrev_b32 v42, 12, v5 :: v_dual_lshlrev_b32 v39, 11, v5
	v_dual_lshlrev_b32 v40, 18, v5 :: v_dual_lshrrev_b32 v43, 5, v5
	v_dual_lshlrev_b32 v44, 2, v5 :: v_dual_lshlrev_b32 v5, 9, v5
	v_lshrrev_b32_e32 v22, 4, v22
	v_and_b32_e32 v46, 0xf0f0f0f, v23
	v_dual_lshrrev_b32 v23, 4, v23 :: v_dual_bitop2_b32 v38, 16, v38 bitop3:0x40
	v_and_b32_e32 v32, 0x1000, v32
	v_and_b32_e32 v35, 16, v35
	;; [unrolled: 1-line block ×3, first 2 shown]
	v_and_or_b32 v34, 0x10000000, v34, v45
	v_and_b32_e32 v31, 16, v31
	v_and_b32_e32 v37, 0x100000, v37
	;; [unrolled: 1-line block ×7, first 2 shown]
	v_lshrrev_b32_e32 v34, 24, v34
	v_or3_b32 v31, v31, v45, v32
	v_and_or_b32 v32, 0x1000, v36, v35
	v_and_or_b32 v35, 0x1000, v39, v38
	v_and_or_b32 v36, 0x1000, v43, v42
	v_lshrrev_b16 v13, 8, v20
	v_and_b32_e32 v33, 0x100000, v33
	v_and_b32_e32 v22, 0xf0f0f0f, v22
	;; [unrolled: 1-line block ×3, first 2 shown]
	v_lshrrev_b16 v39, 8, v31
	v_or3_b32 v12, v32, v37, v12
	v_or3_b32 v32, v35, v40, v41
	;; [unrolled: 1-line block ×3, first 2 shown]
	v_bfe_i32 v16, v20, 0, 8
	v_bfe_i32 v17, v20, 16, 8
	;; [unrolled: 1-line block ×4, first 2 shown]
	v_and_b32_e32 v35, 0xffff, v39
	v_or_b32_e32 v36, v12, v22
	v_bitop3_b32 v12, v12, 31, v22 bitop3:0xc8
	v_or_b32_e32 v22, v32, v46
	v_or_b32_e32 v38, v31, v33
	s_wait_loadcnt 0x0
	v_pk_mul_f16 v2, v4, v2
	v_or_b32_e32 v37, v5, v23
	v_lshrrev_b16 v14, 8, v24
	v_ashrrev_i32_e32 v18, 24, v24
	v_bfe_i32 v19, v24, 16, 8
	v_ashrrev_i32_e32 v24, 24, v21
	v_bfe_i32 v26, v21, 16, 8
	v_bfe_i32 v27, v21, 8, 8
	;; [unrolled: 1-line block ×6, first 2 shown]
	v_bitop3_b32 v31, v31, 31, v33 bitop3:0xc8
	v_bitop3_b32 v32, v32, 31, v46 bitop3:0xc8
	;; [unrolled: 1-line block ×3, first 2 shown]
	v_mul_i32_i24_e32 v13, v35, v13
	v_lshrrev_b32_e32 v23, 24, v36
	v_lshrrev_b16 v35, 8, v36
	v_mul_i32_i24_e32 v12, v12, v20
	v_lshrrev_b32_e32 v20, 24, v22
	v_bfe_u32 v33, v38, 16, 5
	v_lshrrev_b16 v38, 8, v22
	v_bfe_u32 v22, v22, 16, 5
	v_lshrrev_b16 v39, 8, v37
	v_bfe_i32 v14, v14, 0, 8
	v_mul_i32_i24_e32 v21, v21, v32
	v_lshrrev_b32_e32 v32, 24, v37
	v_mul_i32_i24_e32 v5, v25, v5
	v_and_b32_e32 v25, 0xffff, v35
	v_mul_i32_i24_e32 v18, v23, v18
	v_mul_i32_i24_e32 v22, v26, v22
	v_and_b32_e32 v26, 0xffff, v39
	v_and_b32_e32 v23, 0xffff, v38
	v_mul_i32_i24_e32 v20, v24, v20
	v_mul_i32_i24_e32 v28, v28, v32
	;; [unrolled: 1-line block ×4, first 2 shown]
	v_mad_i32_i24 v15, v34, v15, v18
	v_bfe_u32 v36, v36, 16, 5
	v_mad_i32_i24 v12, v31, v16, v12
	v_mul_i32_i24_e32 v16, v27, v23
	v_add3_u32 v13, v13, v14, v25
	v_add3_u32 v14, v15, v28, v20
	v_mul_i32_i24_e32 v19, v36, v19
	v_add3_u32 v4, v12, v5, v21
	s_delay_alu instid0(VALU_DEP_3) | instskip(SKIP_3) | instid1(VALU_DEP_2)
	v_add3_u32 v12, v13, v16, v14
	v_lshrrev_b32_e32 v13, 16, v2
	v_bfe_u32 v37, v37, 16, 5
	v_mad_i32_i24 v17, v33, v17, v19
	v_mul_i32_i24_e32 v24, v29, v37
	s_delay_alu instid0(VALU_DEP_1) | instskip(NEXT) | instid1(VALU_DEP_1)
	v_add3_u32 v5, v17, v24, v22
	v_add3_u32 v12, v4, v5, v12
	v_cvt_f32_f16_e32 v4, v2
	v_cvt_f32_f16_e32 v5, v13
	s_delay_alu instid0(VALU_DEP_3) | instskip(NEXT) | instid1(VALU_DEP_1)
	v_cvt_f32_i32_e32 v2, v12
	v_pk_mul_f32 v[4:5], v[2:3], v[4:5]
	s_delay_alu instid0(VALU_DEP_1) | instskip(NEXT) | instid1(VALU_DEP_1)
	v_add_f32_e32 v2, v5, v4
	v_add_f32_e32 v9, v9, v2
	s_and_not1_b32 exec_lo, exec_lo, s1
	s_cbranch_execnz .LBB259_3
; %bb.4:
	s_or_b32 exec_lo, exec_lo, s1
.LBB259_5:
	s_delay_alu instid0(SALU_CYCLE_1) | instskip(SKIP_1) | instid1(VALU_DEP_1)
	s_or_b32 exec_lo, exec_lo, s14
	v_mbcnt_lo_u32_b32 v0, -1, 0
	v_xor_b32_e32 v2, 8, v0
	v_xor_b32_e32 v1, 16, v0
	;; [unrolled: 1-line block ×3, first 2 shown]
	s_delay_alu instid0(VALU_DEP_2) | instskip(SKIP_4) | instid1(VALU_DEP_2)
	v_cmp_gt_i32_e32 vcc_lo, 32, v1
	v_cndmask_b32_e32 v1, v0, v1, vcc_lo
	v_cmp_gt_i32_e32 vcc_lo, 32, v2
	v_cndmask_b32_e32 v2, v0, v2, vcc_lo
	v_cmp_gt_i32_e32 vcc_lo, 32, v3
	v_dual_lshlrev_b32 v2, 2, v2 :: v_dual_lshlrev_b32 v1, 2, v1
	ds_bpermute_b32 v1, v1, v9
	s_wait_dscnt 0x0
	v_add_f32_e32 v1, v9, v1
	ds_bpermute_b32 v2, v2, v1
	s_wait_dscnt 0x0
	v_dual_cndmask_b32 v3, v0, v3, vcc_lo :: v_dual_add_f32 v1, v1, v2
	s_delay_alu instid0(VALU_DEP_1) | instskip(SKIP_3) | instid1(VALU_DEP_1)
	v_lshlrev_b32_e32 v3, 2, v3
	ds_bpermute_b32 v2, v3, v1
	s_wait_dscnt 0x0
	v_dual_add_f32 v1, v1, v2 :: v_dual_bitop2_b32 v3, 2, v0 bitop3:0x14
	v_cmp_gt_i32_e32 vcc_lo, 32, v3
	v_cndmask_b32_e32 v3, v0, v3, vcc_lo
	s_delay_alu instid0(VALU_DEP_1) | instskip(SKIP_2) | instid1(VALU_DEP_1)
	v_lshlrev_b32_e32 v3, 2, v3
	ds_bpermute_b32 v2, v3, v1
	v_xor_b32_e32 v3, 1, v0
	v_cmp_gt_i32_e32 vcc_lo, 32, v3
	v_cndmask_b32_e32 v3, v0, v3, vcc_lo
	v_cmp_eq_u32_e32 vcc_lo, 0, v7
	s_wait_dscnt 0x0
	s_delay_alu instid0(VALU_DEP_2)
	v_dual_add_f32 v0, v1, v2 :: v_dual_lshlrev_b32 v1, 2, v3
	ds_bpermute_b32 v1, v1, v0
	s_and_b32 exec_lo, exec_lo, vcc_lo
	s_cbranch_execz .LBB259_7
; %bb.6:
	v_mad_u32 v2, s6, s2, v6
	s_wait_dscnt 0x0
	v_add_f32_e32 v0, v0, v1
	s_delay_alu instid0(VALU_DEP_1)
	v_cvt_f16_f32_e32 v0, v0
	s_wait_kmcnt 0x0
	global_store_b16 v2, v0, s[12:13] scale_offset
.LBB259_7:
	s_endpgm
	.section	.rodata,"a",@progbits
	.p2align	6, 0x0
	.amdhsa_kernel _ZL9moe_vec_qIN3c104HalfELi32ELi4E10block_q5_1Li2EXadL_ZL17vec_dot_q5_1_q8_1PKvPK10block_q8_1RKiEEEvS4_S4_PT_PS8_iiii
		.amdhsa_group_segment_fixed_size 0
		.amdhsa_private_segment_fixed_size 0
		.amdhsa_kernarg_size 304
		.amdhsa_user_sgpr_count 2
		.amdhsa_user_sgpr_dispatch_ptr 0
		.amdhsa_user_sgpr_queue_ptr 0
		.amdhsa_user_sgpr_kernarg_segment_ptr 1
		.amdhsa_user_sgpr_dispatch_id 0
		.amdhsa_user_sgpr_kernarg_preload_length 0
		.amdhsa_user_sgpr_kernarg_preload_offset 0
		.amdhsa_user_sgpr_private_segment_size 0
		.amdhsa_wavefront_size32 1
		.amdhsa_uses_dynamic_stack 0
		.amdhsa_enable_private_segment 0
		.amdhsa_system_sgpr_workgroup_id_x 1
		.amdhsa_system_sgpr_workgroup_id_y 0
		.amdhsa_system_sgpr_workgroup_id_z 1
		.amdhsa_system_sgpr_workgroup_info 0
		.amdhsa_system_vgpr_workitem_id 1
		.amdhsa_next_free_vgpr 47
		.amdhsa_next_free_sgpr 22
		.amdhsa_named_barrier_count 0
		.amdhsa_reserve_vcc 1
		.amdhsa_float_round_mode_32 0
		.amdhsa_float_round_mode_16_64 0
		.amdhsa_float_denorm_mode_32 3
		.amdhsa_float_denorm_mode_16_64 3
		.amdhsa_fp16_overflow 0
		.amdhsa_memory_ordered 1
		.amdhsa_forward_progress 1
		.amdhsa_inst_pref_size 13
		.amdhsa_round_robin_scheduling 0
		.amdhsa_exception_fp_ieee_invalid_op 0
		.amdhsa_exception_fp_denorm_src 0
		.amdhsa_exception_fp_ieee_div_zero 0
		.amdhsa_exception_fp_ieee_overflow 0
		.amdhsa_exception_fp_ieee_underflow 0
		.amdhsa_exception_fp_ieee_inexact 0
		.amdhsa_exception_int_div_zero 0
	.end_amdhsa_kernel
	.section	.text._ZL9moe_vec_qIN3c104HalfELi32ELi4E10block_q5_1Li2EXadL_ZL17vec_dot_q5_1_q8_1PKvPK10block_q8_1RKiEEEvS4_S4_PT_PS8_iiii,"axG",@progbits,_ZL9moe_vec_qIN3c104HalfELi32ELi4E10block_q5_1Li2EXadL_ZL17vec_dot_q5_1_q8_1PKvPK10block_q8_1RKiEEEvS4_S4_PT_PS8_iiii,comdat
.Lfunc_end259:
	.size	_ZL9moe_vec_qIN3c104HalfELi32ELi4E10block_q5_1Li2EXadL_ZL17vec_dot_q5_1_q8_1PKvPK10block_q8_1RKiEEEvS4_S4_PT_PS8_iiii, .Lfunc_end259-_ZL9moe_vec_qIN3c104HalfELi32ELi4E10block_q5_1Li2EXadL_ZL17vec_dot_q5_1_q8_1PKvPK10block_q8_1RKiEEEvS4_S4_PT_PS8_iiii
                                        ; -- End function
	.set _ZL9moe_vec_qIN3c104HalfELi32ELi4E10block_q5_1Li2EXadL_ZL17vec_dot_q5_1_q8_1PKvPK10block_q8_1RKiEEEvS4_S4_PT_PS8_iiii.num_vgpr, 47
	.set _ZL9moe_vec_qIN3c104HalfELi32ELi4E10block_q5_1Li2EXadL_ZL17vec_dot_q5_1_q8_1PKvPK10block_q8_1RKiEEEvS4_S4_PT_PS8_iiii.num_agpr, 0
	.set _ZL9moe_vec_qIN3c104HalfELi32ELi4E10block_q5_1Li2EXadL_ZL17vec_dot_q5_1_q8_1PKvPK10block_q8_1RKiEEEvS4_S4_PT_PS8_iiii.numbered_sgpr, 22
	.set _ZL9moe_vec_qIN3c104HalfELi32ELi4E10block_q5_1Li2EXadL_ZL17vec_dot_q5_1_q8_1PKvPK10block_q8_1RKiEEEvS4_S4_PT_PS8_iiii.num_named_barrier, 0
	.set _ZL9moe_vec_qIN3c104HalfELi32ELi4E10block_q5_1Li2EXadL_ZL17vec_dot_q5_1_q8_1PKvPK10block_q8_1RKiEEEvS4_S4_PT_PS8_iiii.private_seg_size, 0
	.set _ZL9moe_vec_qIN3c104HalfELi32ELi4E10block_q5_1Li2EXadL_ZL17vec_dot_q5_1_q8_1PKvPK10block_q8_1RKiEEEvS4_S4_PT_PS8_iiii.uses_vcc, 1
	.set _ZL9moe_vec_qIN3c104HalfELi32ELi4E10block_q5_1Li2EXadL_ZL17vec_dot_q5_1_q8_1PKvPK10block_q8_1RKiEEEvS4_S4_PT_PS8_iiii.uses_flat_scratch, 0
	.set _ZL9moe_vec_qIN3c104HalfELi32ELi4E10block_q5_1Li2EXadL_ZL17vec_dot_q5_1_q8_1PKvPK10block_q8_1RKiEEEvS4_S4_PT_PS8_iiii.has_dyn_sized_stack, 0
	.set _ZL9moe_vec_qIN3c104HalfELi32ELi4E10block_q5_1Li2EXadL_ZL17vec_dot_q5_1_q8_1PKvPK10block_q8_1RKiEEEvS4_S4_PT_PS8_iiii.has_recursion, 0
	.set _ZL9moe_vec_qIN3c104HalfELi32ELi4E10block_q5_1Li2EXadL_ZL17vec_dot_q5_1_q8_1PKvPK10block_q8_1RKiEEEvS4_S4_PT_PS8_iiii.has_indirect_call, 0
	.section	.AMDGPU.csdata,"",@progbits
; Kernel info:
; codeLenInByte = 1616
; TotalNumSgprs: 24
; NumVgprs: 47
; ScratchSize: 0
; MemoryBound: 0
; FloatMode: 240
; IeeeMode: 1
; LDSByteSize: 0 bytes/workgroup (compile time only)
; SGPRBlocks: 0
; VGPRBlocks: 2
; NumSGPRsForWavesPerEU: 24
; NumVGPRsForWavesPerEU: 47
; NamedBarCnt: 0
; Occupancy: 16
; WaveLimiterHint : 1
; COMPUTE_PGM_RSRC2:SCRATCH_EN: 0
; COMPUTE_PGM_RSRC2:USER_SGPR: 2
; COMPUTE_PGM_RSRC2:TRAP_HANDLER: 0
; COMPUTE_PGM_RSRC2:TGID_X_EN: 1
; COMPUTE_PGM_RSRC2:TGID_Y_EN: 0
; COMPUTE_PGM_RSRC2:TGID_Z_EN: 1
; COMPUTE_PGM_RSRC2:TIDIG_COMP_CNT: 1
	.section	.text._ZL9moe_vec_qIN3c104HalfELi32ELi8E10block_q8_0Li2EXadL_ZL17vec_dot_q8_0_q8_1PKvPK10block_q8_1RKiEEEvS4_S4_PT_PS8_iiii,"axG",@progbits,_ZL9moe_vec_qIN3c104HalfELi32ELi8E10block_q8_0Li2EXadL_ZL17vec_dot_q8_0_q8_1PKvPK10block_q8_1RKiEEEvS4_S4_PT_PS8_iiii,comdat
	.globl	_ZL9moe_vec_qIN3c104HalfELi32ELi8E10block_q8_0Li2EXadL_ZL17vec_dot_q8_0_q8_1PKvPK10block_q8_1RKiEEEvS4_S4_PT_PS8_iiii ; -- Begin function _ZL9moe_vec_qIN3c104HalfELi32ELi8E10block_q8_0Li2EXadL_ZL17vec_dot_q8_0_q8_1PKvPK10block_q8_1RKiEEEvS4_S4_PT_PS8_iiii
	.p2align	8
	.type	_ZL9moe_vec_qIN3c104HalfELi32ELi8E10block_q8_0Li2EXadL_ZL17vec_dot_q8_0_q8_1PKvPK10block_q8_1RKiEEEvS4_S4_PT_PS8_iiii,@function
_ZL9moe_vec_qIN3c104HalfELi32ELi8E10block_q8_0Li2EXadL_ZL17vec_dot_q8_0_q8_1PKvPK10block_q8_1RKiEEEvS4_S4_PT_PS8_iiii: ; @_ZL9moe_vec_qIN3c104HalfELi32ELi8E10block_q8_0Li2EXadL_ZL17vec_dot_q8_0_q8_1PKvPK10block_q8_1RKiEEEvS4_S4_PT_PS8_iiii
; %bb.0:
	s_clause 0x1
	s_load_u16 s3, s[0:1], 0x3e
	s_load_b128 s[4:7], s[0:1], 0x20
	s_bfe_u32 s2, ttmp6, 0x4000c
	s_and_b32 s8, ttmp6, 15
	s_add_co_i32 s2, s2, 1
	v_bfe_u32 v1, v0, 10, 10
	s_mul_i32 s2, ttmp9, s2
	s_mov_b32 s9, 0
	s_add_co_i32 s8, s8, s2
	s_getreg_b32 s2, hwreg(HW_REG_IB_STS2, 6, 4)
	s_delay_alu instid0(SALU_CYCLE_1) | instskip(SKIP_4) | instid1(VALU_DEP_1)
	s_cmp_eq_u32 s2, 0
	s_cselect_b32 s8, ttmp9, s8
	s_wait_kmcnt 0x0
	v_mad_u32 v2, s8, s3, v1
	s_mov_b32 s3, exec_lo
	v_cmpx_gt_u32_e64 s6, v2
	s_cbranch_execz .LBB260_7
; %bb.1:
	s_load_b64 s[10:11], s[0:1], 0x10
	s_bfe_u32 s3, ttmp6, 0x40014
	s_lshr_b32 s8, ttmp7, 16
	s_add_co_i32 s3, s3, 1
	s_cvt_f32_u32 s13, s4
	s_mul_i32 s3, s8, s3
	s_bfe_u32 s12, ttmp6, 0x40008
	v_bfe_u32 v4, v0, 2, 8
	s_add_co_i32 s12, s12, s3
	v_rcp_iflag_f32_e32 v1, s13
	s_cmp_eq_u32 s2, 0
	v_and_b32_e32 v3, 0x3ff, v0
	s_cselect_b32 s8, s8, s12
	s_ashr_i32 s2, s5, 31
	v_mov_b32_e32 v5, 0
	s_lshr_b32 s2, s2, 27
	s_mov_b32 s12, exec_lo
	s_add_co_i32 s3, s5, s2
	v_readfirstlane_b32 s2, v1
	s_ashr_i32 s13, s3, 5
	s_delay_alu instid0(SALU_CYCLE_1)
	v_cmpx_gt_u32_e64 s13, v4
	s_cbranch_execz .LBB260_5
; %bb.2:
	s_load_b64 s[14:15], s[0:1], 0x18
	s_mul_f32 s5, s2, 0x4f7ffffe
	s_sub_co_i32 s16, 0, s4
	s_mov_b32 s17, s9
	s_wait_xcnt 0x0
	s_load_b128 s[0:3], s[0:1], 0x0
	s_cvt_u32_f32 s18, s5
	v_mul_lo_u32 v6, v2, s13
	s_mul_i32 s19, s13, s6
	v_dual_mov_b32 v1, 0 :: v_dual_lshlrev_b32 v0, 3, v3
	s_mul_i32 s16, s16, s18
	s_mov_b32 s5, 0
	s_delay_alu instid0(VALU_DEP_1) | instskip(SKIP_4) | instid1(SALU_CYCLE_1)
	v_dual_mov_b32 v5, v1 :: v_dual_bitop2_b32 v0, 24, v0 bitop3:0x40
	s_wait_kmcnt 0x0
	s_load_b32 s20, s[14:15], s8 offset:0x0 scale_offset
	s_wait_xcnt 0x0
	s_mul_hi_u32 s14, s18, s16
	s_add_co_i32 s16, s18, s14
	s_delay_alu instid0(SALU_CYCLE_1) | instskip(NEXT) | instid1(SALU_CYCLE_1)
	s_mul_u64 s[14:15], s[8:9], s[16:17]
	s_mul_i32 s9, s15, s4
	s_add_co_i32 s14, s15, 1
	s_sub_co_i32 s9, s8, s9
	s_delay_alu instid0(SALU_CYCLE_1)
	s_sub_co_i32 s16, s9, s4
	s_cmp_ge_u32 s9, s4
	s_cselect_b32 s15, s14, s15
	s_cselect_b32 s9, s16, s9
	s_add_co_i32 s16, s15, 1
	s_cmp_ge_u32 s9, s4
	s_cselect_b32 s4, s16, s15
	s_wait_kmcnt 0x0
	s_mul_i32 s14, s19, s20
	s_mul_i32 s4, s4, s7
	s_ashr_i32 s15, s14, 31
	s_lshl_b64 s[16:17], s[4:5], 2
	s_mul_u64 s[14:15], s[14:15], 34
	s_add_nc_u64 s[2:3], s[2:3], s[16:17]
	s_add_nc_u64 s[0:1], s[0:1], s[14:15]
.LBB260_3:                              ; =>This Inner Loop Header: Depth=1
	v_add_nc_u32_e32 v7, v6, v4
	v_mad_nc_i64_i32 v[8:9], v4, 36, s[2:3]
	v_add_nc_u32_e32 v4, 8, v4
	s_delay_alu instid0(VALU_DEP_3) | instskip(NEXT) | instid1(VALU_DEP_2)
	v_mad_nc_i64_i32 v[10:11], v7, 34, s[0:1]
	v_cmp_le_u32_e32 vcc_lo, s13, v4
	s_delay_alu instid0(VALU_DEP_4) | instskip(SKIP_1) | instid1(VALU_DEP_3)
	v_add_nc_u64_e32 v[12:13], v[8:9], v[0:1]
	s_or_b32 s5, vcc_lo, s5
	v_add_nc_u64_e32 v[14:15], v[10:11], v[0:1]
	global_load_b64 v[16:17], v[12:13], off offset:4
	s_clause 0x1
	global_load_b32 v7, v[14:15], off offset:2
	global_load_b32 v18, v[14:15], off offset:6
	global_load_b32 v19, v[8:9], off
	global_load_u16 v20, v[10:11], off
	s_wait_loadcnt 0x4
	s_wait_xcnt 0x1
	v_lshrrev_b16 v8, 8, v16
	v_bfe_i32 v9, v16, 0, 8
	s_wait_loadcnt 0x3
	s_wait_xcnt 0x0
	v_dual_ashrrev_i32 v10, 24, v16 :: v_dual_ashrrev_i32 v21, 24, v7
	v_bfe_i32 v11, v16, 16, 8
	v_bfe_i32 v12, v17, 0, 8
	;; [unrolled: 1-line block ×4, first 2 shown]
	v_ashrrev_i32_e32 v15, 24, v17
	v_lshrrev_b16 v16, 8, v7
	v_bfe_i32 v17, v7, 0, 8
	v_bfe_i32 v7, v7, 16, 8
	;; [unrolled: 1-line block ×3, first 2 shown]
	s_wait_loadcnt 0x2
	v_bfe_i32 v23, v18, 8, 8
	v_ashrrev_i32_e32 v24, 24, v18
	v_bfe_i32 v16, v16, 0, 8
	v_mul_i32_i24_e32 v7, v11, v7
	v_mul_i32_i24_e32 v10, v10, v21
	v_bfe_i32 v22, v18, 0, 8
	v_bfe_i32 v11, v18, 16, 8
	v_mul_i32_i24_e32 v13, v13, v23
	v_mul_i32_i24_e32 v15, v15, v24
	v_mad_i32_i24 v7, v9, v17, v7
	v_mad_i32_i24 v8, v8, v16, v10
	v_mul_i32_i24_e32 v9, v14, v11
	v_mad_i32_i24 v10, v12, v22, v13
	s_wait_loadcnt 0x0
	v_cvt_f32_f16_e32 v11, v20
	v_add3_u32 v7, v7, v8, v15
	v_cvt_f32_f16_e32 v8, v19
	s_delay_alu instid0(VALU_DEP_2) | instskip(NEXT) | instid1(VALU_DEP_2)
	v_add3_u32 v7, v7, v10, v9
	v_mul_f32_e32 v8, v11, v8
	s_delay_alu instid0(VALU_DEP_2) | instskip(NEXT) | instid1(VALU_DEP_1)
	v_cvt_f32_i32_e32 v7, v7
	v_fmac_f32_e32 v5, v8, v7
	s_and_not1_b32 exec_lo, exec_lo, s5
	s_cbranch_execnz .LBB260_3
; %bb.4:
	s_or_b32 exec_lo, exec_lo, s5
.LBB260_5:
	s_delay_alu instid0(SALU_CYCLE_1) | instskip(SKIP_1) | instid1(VALU_DEP_1)
	s_or_b32 exec_lo, exec_lo, s12
	v_mbcnt_lo_u32_b32 v0, -1, 0
	v_xor_b32_e32 v1, 16, v0
	v_xor_b32_e32 v4, 8, v0
	s_delay_alu instid0(VALU_DEP_2) | instskip(SKIP_1) | instid1(VALU_DEP_3)
	v_cmp_gt_i32_e32 vcc_lo, 32, v1
	v_cndmask_b32_e32 v1, v0, v1, vcc_lo
	v_cmp_gt_i32_e32 vcc_lo, 32, v4
	s_delay_alu instid0(VALU_DEP_2)
	v_dual_cndmask_b32 v4, v0, v4 :: v_dual_lshlrev_b32 v1, 2, v1
	ds_bpermute_b32 v1, v1, v5
	s_wait_dscnt 0x0
	v_dual_add_f32 v1, v5, v1 :: v_dual_lshlrev_b32 v4, 2, v4
	v_xor_b32_e32 v5, 4, v0
	ds_bpermute_b32 v4, v4, v1
	v_cmp_gt_i32_e32 vcc_lo, 32, v5
	v_cndmask_b32_e32 v5, v0, v5, vcc_lo
	s_wait_dscnt 0x0
	s_delay_alu instid0(VALU_DEP_1) | instskip(SKIP_2) | instid1(VALU_DEP_1)
	v_dual_lshlrev_b32 v5, 2, v5 :: v_dual_add_f32 v1, v1, v4
	ds_bpermute_b32 v4, v5, v1
	v_xor_b32_e32 v5, 2, v0
	v_cmp_gt_i32_e32 vcc_lo, 32, v5
	s_wait_dscnt 0x0
	v_dual_cndmask_b32 v5, v0, v5, vcc_lo :: v_dual_add_f32 v1, v1, v4
	s_delay_alu instid0(VALU_DEP_1) | instskip(SKIP_2) | instid1(VALU_DEP_1)
	v_lshlrev_b32_e32 v5, 2, v5
	ds_bpermute_b32 v4, v5, v1
	v_xor_b32_e32 v5, 1, v0
	v_cmp_gt_i32_e32 vcc_lo, 32, v5
	v_cndmask_b32_e32 v5, v0, v5, vcc_lo
	v_cmp_eq_u32_e32 vcc_lo, 0, v3
	s_wait_dscnt 0x0
	s_delay_alu instid0(VALU_DEP_2)
	v_dual_add_f32 v0, v1, v4 :: v_dual_lshlrev_b32 v1, 2, v5
	ds_bpermute_b32 v1, v1, v0
	s_and_b32 exec_lo, exec_lo, vcc_lo
	s_cbranch_execz .LBB260_7
; %bb.6:
	v_mad_u32 v2, s6, s8, v2
	s_wait_dscnt 0x0
	v_add_f32_e32 v0, v0, v1
	s_delay_alu instid0(VALU_DEP_1)
	v_cvt_f16_f32_e32 v0, v0
	s_wait_kmcnt 0x0
	global_store_b16 v2, v0, s[10:11] scale_offset
.LBB260_7:
	s_endpgm
	.section	.rodata,"a",@progbits
	.p2align	6, 0x0
	.amdhsa_kernel _ZL9moe_vec_qIN3c104HalfELi32ELi8E10block_q8_0Li2EXadL_ZL17vec_dot_q8_0_q8_1PKvPK10block_q8_1RKiEEEvS4_S4_PT_PS8_iiii
		.amdhsa_group_segment_fixed_size 0
		.amdhsa_private_segment_fixed_size 0
		.amdhsa_kernarg_size 304
		.amdhsa_user_sgpr_count 2
		.amdhsa_user_sgpr_dispatch_ptr 0
		.amdhsa_user_sgpr_queue_ptr 0
		.amdhsa_user_sgpr_kernarg_segment_ptr 1
		.amdhsa_user_sgpr_dispatch_id 0
		.amdhsa_user_sgpr_kernarg_preload_length 0
		.amdhsa_user_sgpr_kernarg_preload_offset 0
		.amdhsa_user_sgpr_private_segment_size 0
		.amdhsa_wavefront_size32 1
		.amdhsa_uses_dynamic_stack 0
		.amdhsa_enable_private_segment 0
		.amdhsa_system_sgpr_workgroup_id_x 1
		.amdhsa_system_sgpr_workgroup_id_y 0
		.amdhsa_system_sgpr_workgroup_id_z 1
		.amdhsa_system_sgpr_workgroup_info 0
		.amdhsa_system_vgpr_workitem_id 1
		.amdhsa_next_free_vgpr 25
		.amdhsa_next_free_sgpr 21
		.amdhsa_named_barrier_count 0
		.amdhsa_reserve_vcc 1
		.amdhsa_float_round_mode_32 0
		.amdhsa_float_round_mode_16_64 0
		.amdhsa_float_denorm_mode_32 3
		.amdhsa_float_denorm_mode_16_64 3
		.amdhsa_fp16_overflow 0
		.amdhsa_memory_ordered 1
		.amdhsa_forward_progress 1
		.amdhsa_inst_pref_size 9
		.amdhsa_round_robin_scheduling 0
		.amdhsa_exception_fp_ieee_invalid_op 0
		.amdhsa_exception_fp_denorm_src 0
		.amdhsa_exception_fp_ieee_div_zero 0
		.amdhsa_exception_fp_ieee_overflow 0
		.amdhsa_exception_fp_ieee_underflow 0
		.amdhsa_exception_fp_ieee_inexact 0
		.amdhsa_exception_int_div_zero 0
	.end_amdhsa_kernel
	.section	.text._ZL9moe_vec_qIN3c104HalfELi32ELi8E10block_q8_0Li2EXadL_ZL17vec_dot_q8_0_q8_1PKvPK10block_q8_1RKiEEEvS4_S4_PT_PS8_iiii,"axG",@progbits,_ZL9moe_vec_qIN3c104HalfELi32ELi8E10block_q8_0Li2EXadL_ZL17vec_dot_q8_0_q8_1PKvPK10block_q8_1RKiEEEvS4_S4_PT_PS8_iiii,comdat
.Lfunc_end260:
	.size	_ZL9moe_vec_qIN3c104HalfELi32ELi8E10block_q8_0Li2EXadL_ZL17vec_dot_q8_0_q8_1PKvPK10block_q8_1RKiEEEvS4_S4_PT_PS8_iiii, .Lfunc_end260-_ZL9moe_vec_qIN3c104HalfELi32ELi8E10block_q8_0Li2EXadL_ZL17vec_dot_q8_0_q8_1PKvPK10block_q8_1RKiEEEvS4_S4_PT_PS8_iiii
                                        ; -- End function
	.set _ZL9moe_vec_qIN3c104HalfELi32ELi8E10block_q8_0Li2EXadL_ZL17vec_dot_q8_0_q8_1PKvPK10block_q8_1RKiEEEvS4_S4_PT_PS8_iiii.num_vgpr, 25
	.set _ZL9moe_vec_qIN3c104HalfELi32ELi8E10block_q8_0Li2EXadL_ZL17vec_dot_q8_0_q8_1PKvPK10block_q8_1RKiEEEvS4_S4_PT_PS8_iiii.num_agpr, 0
	.set _ZL9moe_vec_qIN3c104HalfELi32ELi8E10block_q8_0Li2EXadL_ZL17vec_dot_q8_0_q8_1PKvPK10block_q8_1RKiEEEvS4_S4_PT_PS8_iiii.numbered_sgpr, 21
	.set _ZL9moe_vec_qIN3c104HalfELi32ELi8E10block_q8_0Li2EXadL_ZL17vec_dot_q8_0_q8_1PKvPK10block_q8_1RKiEEEvS4_S4_PT_PS8_iiii.num_named_barrier, 0
	.set _ZL9moe_vec_qIN3c104HalfELi32ELi8E10block_q8_0Li2EXadL_ZL17vec_dot_q8_0_q8_1PKvPK10block_q8_1RKiEEEvS4_S4_PT_PS8_iiii.private_seg_size, 0
	.set _ZL9moe_vec_qIN3c104HalfELi32ELi8E10block_q8_0Li2EXadL_ZL17vec_dot_q8_0_q8_1PKvPK10block_q8_1RKiEEEvS4_S4_PT_PS8_iiii.uses_vcc, 1
	.set _ZL9moe_vec_qIN3c104HalfELi32ELi8E10block_q8_0Li2EXadL_ZL17vec_dot_q8_0_q8_1PKvPK10block_q8_1RKiEEEvS4_S4_PT_PS8_iiii.uses_flat_scratch, 0
	.set _ZL9moe_vec_qIN3c104HalfELi32ELi8E10block_q8_0Li2EXadL_ZL17vec_dot_q8_0_q8_1PKvPK10block_q8_1RKiEEEvS4_S4_PT_PS8_iiii.has_dyn_sized_stack, 0
	.set _ZL9moe_vec_qIN3c104HalfELi32ELi8E10block_q8_0Li2EXadL_ZL17vec_dot_q8_0_q8_1PKvPK10block_q8_1RKiEEEvS4_S4_PT_PS8_iiii.has_recursion, 0
	.set _ZL9moe_vec_qIN3c104HalfELi32ELi8E10block_q8_0Li2EXadL_ZL17vec_dot_q8_0_q8_1PKvPK10block_q8_1RKiEEEvS4_S4_PT_PS8_iiii.has_indirect_call, 0
	.section	.AMDGPU.csdata,"",@progbits
; Kernel info:
; codeLenInByte = 1028
; TotalNumSgprs: 23
; NumVgprs: 25
; ScratchSize: 0
; MemoryBound: 0
; FloatMode: 240
; IeeeMode: 1
; LDSByteSize: 0 bytes/workgroup (compile time only)
; SGPRBlocks: 0
; VGPRBlocks: 1
; NumSGPRsForWavesPerEU: 23
; NumVGPRsForWavesPerEU: 25
; NamedBarCnt: 0
; Occupancy: 16
; WaveLimiterHint : 1
; COMPUTE_PGM_RSRC2:SCRATCH_EN: 0
; COMPUTE_PGM_RSRC2:USER_SGPR: 2
; COMPUTE_PGM_RSRC2:TRAP_HANDLER: 0
; COMPUTE_PGM_RSRC2:TGID_X_EN: 1
; COMPUTE_PGM_RSRC2:TGID_Y_EN: 0
; COMPUTE_PGM_RSRC2:TGID_Z_EN: 1
; COMPUTE_PGM_RSRC2:TIDIG_COMP_CNT: 1
	.section	.text._ZL9moe_vec_qIN3c104HalfELi256ELi16E10block_q2_KLi1EXadL_ZL17vec_dot_q2_K_q8_1PKvPK10block_q8_1RKiEEEvS4_S4_PT_PS8_iiii,"axG",@progbits,_ZL9moe_vec_qIN3c104HalfELi256ELi16E10block_q2_KLi1EXadL_ZL17vec_dot_q2_K_q8_1PKvPK10block_q8_1RKiEEEvS4_S4_PT_PS8_iiii,comdat
	.globl	_ZL9moe_vec_qIN3c104HalfELi256ELi16E10block_q2_KLi1EXadL_ZL17vec_dot_q2_K_q8_1PKvPK10block_q8_1RKiEEEvS4_S4_PT_PS8_iiii ; -- Begin function _ZL9moe_vec_qIN3c104HalfELi256ELi16E10block_q2_KLi1EXadL_ZL17vec_dot_q2_K_q8_1PKvPK10block_q8_1RKiEEEvS4_S4_PT_PS8_iiii
	.p2align	8
	.type	_ZL9moe_vec_qIN3c104HalfELi256ELi16E10block_q2_KLi1EXadL_ZL17vec_dot_q2_K_q8_1PKvPK10block_q8_1RKiEEEvS4_S4_PT_PS8_iiii,@function
_ZL9moe_vec_qIN3c104HalfELi256ELi16E10block_q2_KLi1EXadL_ZL17vec_dot_q2_K_q8_1PKvPK10block_q8_1RKiEEEvS4_S4_PT_PS8_iiii: ; @_ZL9moe_vec_qIN3c104HalfELi256ELi16E10block_q2_KLi1EXadL_ZL17vec_dot_q2_K_q8_1PKvPK10block_q8_1RKiEEEvS4_S4_PT_PS8_iiii
; %bb.0:
	s_clause 0x1
	s_load_u16 s3, s[0:1], 0x3e
	s_load_b128 s[4:7], s[0:1], 0x20
	s_bfe_u32 s2, ttmp6, 0x4000c
	s_and_b32 s8, ttmp6, 15
	s_add_co_i32 s2, s2, 1
	v_bfe_u32 v1, v0, 10, 10
	s_mul_i32 s2, ttmp9, s2
	s_delay_alu instid0(SALU_CYCLE_1) | instskip(SKIP_1) | instid1(SALU_CYCLE_1)
	s_add_co_i32 s8, s8, s2
	s_getreg_b32 s2, hwreg(HW_REG_IB_STS2, 6, 4)
	s_cmp_eq_u32 s2, 0
	s_cselect_b32 s8, ttmp9, s8
	s_wait_kmcnt 0x0
	v_mad_u32 v12, s8, s3, v1
	s_mov_b32 s3, exec_lo
	s_delay_alu instid0(VALU_DEP_1)
	v_cmpx_gt_u32_e64 s6, v12
	s_cbranch_execz .LBB261_7
; %bb.1:
	s_load_b64 s[8:9], s[0:1], 0x10
	s_bfe_u32 s3, ttmp6, 0x40014
	s_lshr_b32 s10, ttmp7, 16
	s_add_co_i32 s3, s3, 1
	s_bfe_u32 s11, ttmp6, 0x40008
	s_mul_i32 s3, s10, s3
	v_bfe_u32 v14, v0, 4, 6
	s_add_co_i32 s11, s11, s3
	s_cmp_eq_u32 s2, 0
	v_and_b32_e32 v13, 0x3ff, v0
	s_cselect_b32 s10, s10, s11
	s_ashr_i32 s2, s5, 31
	v_mov_b32_e32 v16, 0
	s_lshr_b32 s2, s2, 24
	s_mov_b32 s11, exec_lo
	s_add_co_i32 s2, s5, s2
	s_delay_alu instid0(SALU_CYCLE_1) | instskip(NEXT) | instid1(SALU_CYCLE_1)
	s_ashr_i32 s12, s2, 8
	v_cmpx_gt_u32_e64 s12, v14
	s_cbranch_execz .LBB261_5
; %bb.2:
	s_load_b64 s[2:3], s[0:1], 0x18
	s_cvt_f32_u32 s5, s4
	s_mul_i32 s15, s12, s6
	v_mul_lo_u32 v15, v12, s12
	v_lshlrev_b32_e32 v17, 3, v14
	v_rcp_iflag_f32_e32 v0, s5
	v_lshrrev_b32_e32 v2, 1, v13
	s_delay_alu instid0(TRANS32_DEP_1) | instskip(SKIP_1) | instid1(VALU_DEP_1)
	v_readfirstlane_b32 s5, v0
	v_and_b32_e32 v0, 15, v13
	v_sub_co_u32 v1, vcc_lo, v0, 8
	s_wait_kmcnt 0x0
	s_load_b32 s13, s[2:3], s10 offset:0x0 scale_offset
	s_wait_xcnt 0x0
	s_mul_f32 s2, s5, 0x4f7ffffe
	s_sub_co_i32 s5, 0, s4
	v_dual_cndmask_b32 v6, v1, v0 :: v_dual_mov_b32 v1, 0
	s_delay_alu instid0(SALU_CYCLE_1) | instskip(SKIP_2) | instid1(VALU_DEP_2)
	s_cvt_u32_f32 s14, s2
	s_load_b128 s[0:3], s[0:1], 0x0
	v_and_b32_e32 v3, 4, v2
	v_dual_sub_nc_u32 v2, v0, v6 :: v_dual_lshlrev_b32 v0, 2, v0
	s_mul_i32 s16, s5, s14
	s_mov_b32 s5, 0
	s_mul_hi_u32 s16, s14, s16
	v_cmp_lt_u32_e32 vcc_lo, 3, v6
	s_add_co_i32 s14, s14, s16
	v_mov_b32_e32 v7, v1
	s_mul_hi_u32 s16, s10, s14
	v_mov_b32_e32 v16, v1
	s_mul_i32 s14, s16, s4
	s_add_co_i32 s17, s16, 1
	s_sub_co_i32 s18, s10, s14
	s_wait_kmcnt 0x0
	s_mul_i32 s14, s15, s13
	s_sub_co_i32 s13, s18, s4
	s_ashr_i32 s15, s14, 31
	s_cmp_ge_u32 s18, s4
	v_add_co_ci_u32_e64 v2, null, 0, v2, vcc_lo
	s_cselect_b32 s16, s17, s16
	s_cselect_b32 s13, s13, s18
	s_add_co_i32 s17, s16, 1
	s_cmp_ge_u32 s13, s4
	v_lshlrev_b64_e32 v[6:7], 2, v[6:7]
	s_cselect_b32 s4, s17, s16
	s_delay_alu instid0(SALU_CYCLE_1) | instskip(NEXT) | instid1(SALU_CYCLE_1)
	s_mul_i32 s4, s4, s7
	s_lshl_b64 s[16:17], s[4:5], 2
	s_delay_alu instid0(SALU_CYCLE_1) | instskip(NEXT) | instid1(SALU_CYCLE_1)
	s_add_nc_u64 s[2:3], s[2:3], s[16:17]
	v_mad_nc_u64_u32 v[4:5], v3, 36, s[2:3]
	v_ashrrev_i32_e32 v3, 31, v2
	s_mul_u64 s[2:3], s[14:15], 0x54
	s_delay_alu instid0(SALU_CYCLE_1)
	s_add_nc_u64 s[0:1], s[0:1], s[2:3]
.LBB261_3:                              ; =>This Inner Loop Header: Depth=1
	v_add_nc_u32_e32 v10, v15, v14
	s_delay_alu instid0(VALU_DEP_3)
	v_mad_nc_i64_i32 v[8:9], v17, 36, v[4:5]
	s_clause 0x2
	global_load_b32 v24, v[8:9], off
	global_load_b32 v25, v[8:9], off offset:36
	global_load_b32 v26, v[8:9], off offset:72
	v_mad_nc_i64_i32 v[10:11], 0x54, v10, s[0:1]
	v_add_nc_u64_e32 v[18:19], v[8:9], v[6:7]
	s_delay_alu instid0(VALU_DEP_2)
	v_add_nc_u64_e32 v[20:21], v[10:11], v[0:1]
	v_add_nc_u64_e32 v[22:23], v[10:11], v[2:3]
	s_clause 0x3
	global_load_b32 v27, v[18:19], off offset:4
	global_load_b32 v28, v[18:19], off offset:40
	;; [unrolled: 1-line block ×4, first 2 shown]
	s_clause 0x4
	global_load_b32 v31, v[20:21], off offset:16
	global_load_u8 v32, v[22:23], off
	global_load_u8 v33, v[22:23], off offset:2
	global_load_u8 v34, v[22:23], off offset:4
	;; [unrolled: 1-line block ×3, first 2 shown]
	global_load_b32 v36, v[8:9], off offset:108
	global_load_b32 v37, v[10:11], off offset:80
	s_wait_loadcnt 0xd
	s_wait_xcnt 0x0
	v_cvt_f32_f16_e32 v10, v24
	s_wait_loadcnt 0xc
	v_cvt_f32_f16_e32 v11, v25
	s_wait_loadcnt 0xb
	;; [unrolled: 2-line block ×3, first 2 shown]
	v_lshrrev_b16 v18, 8, v27
	s_wait_loadcnt 0x8
	v_dual_ashrrev_i32 v26, 24, v28 :: v_dual_lshlrev_b32 v38, 16, v29
	s_wait_loadcnt 0x7
	v_dual_lshlrev_b32 v39, 16, v30 :: v_dual_lshlrev_b32 v42, 8, v29
	s_wait_loadcnt 0x5
	v_lshrrev_b16 v46, 4, v32
	v_dual_lshlrev_b32 v22, 8, v28 :: v_dual_lshlrev_b32 v23, 16, v28
	v_bfe_i32 v21, v27, 0, 8
	s_wait_loadcnt 0x1
	v_cvt_f32_f16_e32 v9, v36
	v_and_b32_e32 v46, 0xffff, v46
	v_bfe_i32 v36, v29, 0, 8
	v_bfe_i32 v41, v29, 8, 8
	;; [unrolled: 1-line block ×3, first 2 shown]
	v_dual_ashrrev_i32 v29, 24, v29 :: v_dual_bitop2_b32 v48, 3, v31 bitop3:0x40
	v_mul_lo_u32 v46, 0x1010101, v46
	v_and_b32_e32 v55, 15, v33
	v_lshrrev_b16 v33, 4, v33
	v_perm_b32 v38, v42, v38, 0xc0c0703
	v_and_b32_e32 v42, 15, v35
	v_lshrrev_b16 v35, 4, v35
	v_ashrrev_i32_e32 v19, 24, v27
	v_and_b32_e32 v33, 0xffff, v33
	v_bfe_i32 v20, v27, 16, 8
	v_bfe_i32 v24, v28, 8, 8
	;; [unrolled: 1-line block ×6, first 2 shown]
	v_lshlrev_b32_e32 v43, 8, v30
	v_bfe_i32 v44, v30, 16, 8
	v_ashrrev_i32_e32 v30, 24, v30
	v_bfe_u32 v47, v31, 2, 2
	v_bfe_u32 v49, v31, 10, 2
	v_bfe_u32 v50, v31, 8, 2
	v_bfe_u32 v51, v31, 26, 2
	v_bfe_u32 v52, v31, 24, 2
	v_bfe_u32 v53, v31, 18, 2
	v_bfe_u32 v54, v31, 16, 2
	v_dual_lshrrev_b32 v59, 30, v31 :: v_dual_bitop2_b32 v32, 15, v32 bitop3:0x40
	v_perm_b32 v22, v22, v23, 0xc0c0703
	v_bfe_u32 v23, v31, 6, 2
	v_bfe_u32 v56, v31, 4, 2
	v_bfe_u32 v57, v31, 14, 2
	v_bfe_u32 v58, v31, 12, 2
	v_bfe_u32 v60, v31, 28, 2
	v_bfe_u32 v61, v31, 22, 2
	v_bfe_u32 v31, v31, 20, 2
	v_bfe_i32 v18, v18, 0, 8
	v_mul_i32_i24_e32 v48, v21, v48
	v_and_b32_e32 v35, 0xffff, v35
	v_mul_lo_u32 v33, 0x1010101, v33
	v_mul_i32_i24_e32 v47, v25, v47
	v_mul_i32_i24_e32 v27, v27, v53
	;; [unrolled: 1-line block ×5, first 2 shown]
	v_perm_b32 v39, v43, v39, 0xc0c0703
	v_and_b32_e32 v43, 15, v34
	v_lshrrev_b16 v34, 4, v34
	v_mul_i32_i24_e32 v54, v20, v54
	v_mul_i32_i24_e32 v52, v19, v52
	v_mad_i32_i24 v48, v18, v50, v48
	v_mul_lo_u32 v35, 0x1010101, v35
	v_mul_i32_i24_e32 v51, v26, v51
	v_mul_i32_i24_e32 v41, v41, v58
	;; [unrolled: 1-line block ×4, first 2 shown]
	v_mad_i32_i24 v24, v24, v49, v47
	v_mad_i32_i24 v45, v36, v56, v45
	;; [unrolled: 1-line block ×3, first 2 shown]
	v_and_b32_e32 v32, 0xffff, v32
	v_and_b32_e32 v34, 0xffff, v34
	v_add3_u32 v47, v48, v54, v52
	v_add3_u32 v24, v24, v27, v51
	v_add3_u32 v27, v45, v41, v31
	v_add3_u32 v23, v23, v40, v44
	v_lshrrev_b32_e32 v44, 24, v33
	v_and_b32_e32 v43, 0xffff, v43
	v_mul_lo_u32 v34, 0x1010101, v34
	v_mul_lo_u32 v31, v47, v32
	v_lshrrev_b32_e32 v32, 24, v46
	v_and_b32_e32 v55, 0xffff, v55
	v_mul_lo_u32 v27, v27, v43
	v_lshrrev_b16 v40, 8, v46
	v_bfe_i32 v43, v33, 0, 8
	v_lshrrev_b32_e32 v47, 24, v35
	v_and_b32_e32 v42, 0xffff, v42
	v_mul_lo_u32 v24, v24, v55
	v_bfe_i32 v41, v46, 16, 8
	v_perm_b32 v33, v33, v33, 0xc0c0201
	v_bfe_i32 v45, v35, 0, 8
	v_mul_lo_u32 v23, v23, v42
	v_bfe_i32 v42, v46, 0, 8
	v_bfe_i32 v40, v40, 0, 8
	v_mul_i32_i24_e32 v25, v25, v43
	v_mul_i32_i24_e32 v19, v32, v19
	v_bfe_i32 v46, v34, 0, 8
	v_perm_b32 v35, v35, v35, 0xc0c0201
	v_mul_i32_i24_e32 v21, v42, v21
	v_mul_i32_i24_e32 v20, v41, v20
	v_dot4_i32_iu8 v22, v22, v33, v25 neg_lo:[1,1,0]
	v_mad_i32_i24 v18, v40, v18, v19
	v_mul_i32_i24_e32 v28, v28, v45
	v_perm_b32 v32, v34, v34, 0xc0c0201
	v_mul_i32_i24_e32 v25, v36, v46
	v_cvt_f32_i32_e32 v19, v24
	v_mad_i32_i24 v22, v26, v44, v22
	v_add3_u32 v20, v21, v20, v18
	v_cvt_f32_i32_e32 v18, v31
	v_dot4_i32_iu8 v24, v39, v35, v28 neg_lo:[1,1,0]
	v_dot4_i32_iu8 v25, v38, v32, v25 neg_lo:[1,1,0]
	v_cvt_f32_i32_e32 v21, v22
	v_cvt_f32_i32_e32 v20, v20
	v_pk_mul_f32 v[18:19], v[10:11], v[18:19]
	v_lshrrev_b32_e32 v48, 24, v34
	v_mad_i32_i24 v24, v30, v47, v24
	v_cvt_f32_i32_e32 v23, v23
	v_pk_mul_f32 v[10:11], v[10:11], v[20:21]
	v_cvt_f32_i32_e32 v22, v27
	s_delay_alu instid0(VALU_DEP_4) | instskip(SKIP_2) | instid1(VALU_DEP_4)
	v_cvt_f32_i32_e32 v21, v24
	v_mov_b32_e32 v24, v18
	v_mad_i32_i24 v25, v29, v48, v25
	v_pk_mul_f32 v[22:23], v[8:9], v[22:23]
	s_delay_alu instid0(VALU_DEP_2) | instskip(SKIP_1) | instid1(VALU_DEP_2)
	v_cvt_f32_i32_e32 v20, v25
	v_dual_mov_b32 v25, v10 :: v_dual_mov_b32 v10, v19
	v_pk_mul_f32 v[8:9], v[8:9], v[20:21]
	s_delay_alu instid0(VALU_DEP_2) | instskip(NEXT) | instid1(VALU_DEP_2)
	v_pk_add_f32 v[18:19], v[24:25], 0 op_sel_hi:[1,0]
	v_dual_mov_b32 v20, v22 :: v_dual_mov_b32 v21, v8
	s_delay_alu instid0(VALU_DEP_2) | instskip(SKIP_3) | instid1(VALU_DEP_3)
	v_pk_add_f32 v[10:11], v[18:19], v[10:11]
	s_wait_loadcnt 0x0
	v_dual_mov_b32 v8, v23 :: v_dual_lshrrev_b32 v19, 16, v37
	v_cvt_f32_f16_e32 v18, v37
	v_pk_add_f32 v[10:11], v[10:11], v[20:21]
	s_delay_alu instid0(VALU_DEP_3) | instskip(NEXT) | instid1(VALU_DEP_2)
	v_cvt_f32_f16_e32 v19, v19
	v_pk_add_f32 v[8:9], v[10:11], v[8:9]
	s_delay_alu instid0(VALU_DEP_1) | instskip(NEXT) | instid1(VALU_DEP_1)
	v_pk_mul_f32 v[8:9], v[8:9], v[18:19]
	v_dual_add_nc_u32 v14, 2, v14 :: v_dual_sub_f32 v8, v8, v9
	s_delay_alu instid0(VALU_DEP_1) | instskip(NEXT) | instid1(VALU_DEP_2)
	v_cmp_le_u32_e32 vcc_lo, s12, v14
	v_dual_add_f32 v16, v16, v8 :: v_dual_add_nc_u32 v17, 16, v17
	s_or_b32 s5, vcc_lo, s5
	s_delay_alu instid0(SALU_CYCLE_1)
	s_and_not1_b32 exec_lo, exec_lo, s5
	s_cbranch_execnz .LBB261_3
; %bb.4:
	s_or_b32 exec_lo, exec_lo, s5
.LBB261_5:
	s_delay_alu instid0(SALU_CYCLE_1) | instskip(SKIP_1) | instid1(VALU_DEP_1)
	s_or_b32 exec_lo, exec_lo, s11
	v_mbcnt_lo_u32_b32 v0, -1, 0
	v_xor_b32_e32 v2, 8, v0
	v_xor_b32_e32 v1, 16, v0
	;; [unrolled: 1-line block ×3, first 2 shown]
	s_delay_alu instid0(VALU_DEP_2) | instskip(SKIP_4) | instid1(VALU_DEP_2)
	v_cmp_gt_i32_e32 vcc_lo, 32, v1
	v_cndmask_b32_e32 v1, v0, v1, vcc_lo
	v_cmp_gt_i32_e32 vcc_lo, 32, v2
	v_cndmask_b32_e32 v2, v0, v2, vcc_lo
	v_cmp_gt_i32_e32 vcc_lo, 32, v3
	v_dual_lshlrev_b32 v2, 2, v2 :: v_dual_lshlrev_b32 v1, 2, v1
	ds_bpermute_b32 v1, v1, v16
	s_wait_dscnt 0x0
	v_add_f32_e32 v1, v16, v1
	ds_bpermute_b32 v2, v2, v1
	s_wait_dscnt 0x0
	v_dual_cndmask_b32 v3, v0, v3, vcc_lo :: v_dual_add_f32 v1, v1, v2
	s_delay_alu instid0(VALU_DEP_1) | instskip(SKIP_3) | instid1(VALU_DEP_1)
	v_lshlrev_b32_e32 v3, 2, v3
	ds_bpermute_b32 v2, v3, v1
	s_wait_dscnt 0x0
	v_dual_add_f32 v1, v1, v2 :: v_dual_bitop2_b32 v3, 2, v0 bitop3:0x14
	v_cmp_gt_i32_e32 vcc_lo, 32, v3
	v_cndmask_b32_e32 v3, v0, v3, vcc_lo
	s_delay_alu instid0(VALU_DEP_1) | instskip(SKIP_2) | instid1(VALU_DEP_1)
	v_lshlrev_b32_e32 v3, 2, v3
	ds_bpermute_b32 v2, v3, v1
	v_xor_b32_e32 v3, 1, v0
	v_cmp_gt_i32_e32 vcc_lo, 32, v3
	v_cndmask_b32_e32 v3, v0, v3, vcc_lo
	v_cmp_eq_u32_e32 vcc_lo, 0, v13
	s_wait_dscnt 0x0
	s_delay_alu instid0(VALU_DEP_2)
	v_dual_add_f32 v0, v1, v2 :: v_dual_lshlrev_b32 v1, 2, v3
	ds_bpermute_b32 v1, v1, v0
	s_and_b32 exec_lo, exec_lo, vcc_lo
	s_cbranch_execz .LBB261_7
; %bb.6:
	v_mad_u32 v2, s6, s10, v12
	s_wait_dscnt 0x0
	v_add_f32_e32 v0, v0, v1
	s_delay_alu instid0(VALU_DEP_1)
	v_cvt_f16_f32_e32 v0, v0
	s_wait_kmcnt 0x0
	global_store_b16 v2, v0, s[8:9] scale_offset
.LBB261_7:
	s_endpgm
	.section	.rodata,"a",@progbits
	.p2align	6, 0x0
	.amdhsa_kernel _ZL9moe_vec_qIN3c104HalfELi256ELi16E10block_q2_KLi1EXadL_ZL17vec_dot_q2_K_q8_1PKvPK10block_q8_1RKiEEEvS4_S4_PT_PS8_iiii
		.amdhsa_group_segment_fixed_size 0
		.amdhsa_private_segment_fixed_size 0
		.amdhsa_kernarg_size 304
		.amdhsa_user_sgpr_count 2
		.amdhsa_user_sgpr_dispatch_ptr 0
		.amdhsa_user_sgpr_queue_ptr 0
		.amdhsa_user_sgpr_kernarg_segment_ptr 1
		.amdhsa_user_sgpr_dispatch_id 0
		.amdhsa_user_sgpr_kernarg_preload_length 0
		.amdhsa_user_sgpr_kernarg_preload_offset 0
		.amdhsa_user_sgpr_private_segment_size 0
		.amdhsa_wavefront_size32 1
		.amdhsa_uses_dynamic_stack 0
		.amdhsa_enable_private_segment 0
		.amdhsa_system_sgpr_workgroup_id_x 1
		.amdhsa_system_sgpr_workgroup_id_y 0
		.amdhsa_system_sgpr_workgroup_id_z 1
		.amdhsa_system_sgpr_workgroup_info 0
		.amdhsa_system_vgpr_workitem_id 1
		.amdhsa_next_free_vgpr 62
		.amdhsa_next_free_sgpr 19
		.amdhsa_named_barrier_count 0
		.amdhsa_reserve_vcc 1
		.amdhsa_float_round_mode_32 0
		.amdhsa_float_round_mode_16_64 0
		.amdhsa_float_denorm_mode_32 3
		.amdhsa_float_denorm_mode_16_64 3
		.amdhsa_fp16_overflow 0
		.amdhsa_memory_ordered 1
		.amdhsa_forward_progress 1
		.amdhsa_inst_pref_size 16
		.amdhsa_round_robin_scheduling 0
		.amdhsa_exception_fp_ieee_invalid_op 0
		.amdhsa_exception_fp_denorm_src 0
		.amdhsa_exception_fp_ieee_div_zero 0
		.amdhsa_exception_fp_ieee_overflow 0
		.amdhsa_exception_fp_ieee_underflow 0
		.amdhsa_exception_fp_ieee_inexact 0
		.amdhsa_exception_int_div_zero 0
	.end_amdhsa_kernel
	.section	.text._ZL9moe_vec_qIN3c104HalfELi256ELi16E10block_q2_KLi1EXadL_ZL17vec_dot_q2_K_q8_1PKvPK10block_q8_1RKiEEEvS4_S4_PT_PS8_iiii,"axG",@progbits,_ZL9moe_vec_qIN3c104HalfELi256ELi16E10block_q2_KLi1EXadL_ZL17vec_dot_q2_K_q8_1PKvPK10block_q8_1RKiEEEvS4_S4_PT_PS8_iiii,comdat
.Lfunc_end261:
	.size	_ZL9moe_vec_qIN3c104HalfELi256ELi16E10block_q2_KLi1EXadL_ZL17vec_dot_q2_K_q8_1PKvPK10block_q8_1RKiEEEvS4_S4_PT_PS8_iiii, .Lfunc_end261-_ZL9moe_vec_qIN3c104HalfELi256ELi16E10block_q2_KLi1EXadL_ZL17vec_dot_q2_K_q8_1PKvPK10block_q8_1RKiEEEvS4_S4_PT_PS8_iiii
                                        ; -- End function
	.set _ZL9moe_vec_qIN3c104HalfELi256ELi16E10block_q2_KLi1EXadL_ZL17vec_dot_q2_K_q8_1PKvPK10block_q8_1RKiEEEvS4_S4_PT_PS8_iiii.num_vgpr, 62
	.set _ZL9moe_vec_qIN3c104HalfELi256ELi16E10block_q2_KLi1EXadL_ZL17vec_dot_q2_K_q8_1PKvPK10block_q8_1RKiEEEvS4_S4_PT_PS8_iiii.num_agpr, 0
	.set _ZL9moe_vec_qIN3c104HalfELi256ELi16E10block_q2_KLi1EXadL_ZL17vec_dot_q2_K_q8_1PKvPK10block_q8_1RKiEEEvS4_S4_PT_PS8_iiii.numbered_sgpr, 19
	.set _ZL9moe_vec_qIN3c104HalfELi256ELi16E10block_q2_KLi1EXadL_ZL17vec_dot_q2_K_q8_1PKvPK10block_q8_1RKiEEEvS4_S4_PT_PS8_iiii.num_named_barrier, 0
	.set _ZL9moe_vec_qIN3c104HalfELi256ELi16E10block_q2_KLi1EXadL_ZL17vec_dot_q2_K_q8_1PKvPK10block_q8_1RKiEEEvS4_S4_PT_PS8_iiii.private_seg_size, 0
	.set _ZL9moe_vec_qIN3c104HalfELi256ELi16E10block_q2_KLi1EXadL_ZL17vec_dot_q2_K_q8_1PKvPK10block_q8_1RKiEEEvS4_S4_PT_PS8_iiii.uses_vcc, 1
	.set _ZL9moe_vec_qIN3c104HalfELi256ELi16E10block_q2_KLi1EXadL_ZL17vec_dot_q2_K_q8_1PKvPK10block_q8_1RKiEEEvS4_S4_PT_PS8_iiii.uses_flat_scratch, 0
	.set _ZL9moe_vec_qIN3c104HalfELi256ELi16E10block_q2_KLi1EXadL_ZL17vec_dot_q2_K_q8_1PKvPK10block_q8_1RKiEEEvS4_S4_PT_PS8_iiii.has_dyn_sized_stack, 0
	.set _ZL9moe_vec_qIN3c104HalfELi256ELi16E10block_q2_KLi1EXadL_ZL17vec_dot_q2_K_q8_1PKvPK10block_q8_1RKiEEEvS4_S4_PT_PS8_iiii.has_recursion, 0
	.set _ZL9moe_vec_qIN3c104HalfELi256ELi16E10block_q2_KLi1EXadL_ZL17vec_dot_q2_K_q8_1PKvPK10block_q8_1RKiEEEvS4_S4_PT_PS8_iiii.has_indirect_call, 0
	.section	.AMDGPU.csdata,"",@progbits
; Kernel info:
; codeLenInByte = 2036
; TotalNumSgprs: 21
; NumVgprs: 62
; ScratchSize: 0
; MemoryBound: 0
; FloatMode: 240
; IeeeMode: 1
; LDSByteSize: 0 bytes/workgroup (compile time only)
; SGPRBlocks: 0
; VGPRBlocks: 3
; NumSGPRsForWavesPerEU: 21
; NumVGPRsForWavesPerEU: 62
; NamedBarCnt: 0
; Occupancy: 16
; WaveLimiterHint : 1
; COMPUTE_PGM_RSRC2:SCRATCH_EN: 0
; COMPUTE_PGM_RSRC2:USER_SGPR: 2
; COMPUTE_PGM_RSRC2:TRAP_HANDLER: 0
; COMPUTE_PGM_RSRC2:TGID_X_EN: 1
; COMPUTE_PGM_RSRC2:TGID_Y_EN: 0
; COMPUTE_PGM_RSRC2:TGID_Z_EN: 1
; COMPUTE_PGM_RSRC2:TIDIG_COMP_CNT: 1
	.section	.text._ZL9moe_vec_qIN3c104HalfELi256ELi16E10block_q3_KLi1EXadL_ZL17vec_dot_q3_K_q8_1PKvPK10block_q8_1RKiEEEvS4_S4_PT_PS8_iiii,"axG",@progbits,_ZL9moe_vec_qIN3c104HalfELi256ELi16E10block_q3_KLi1EXadL_ZL17vec_dot_q3_K_q8_1PKvPK10block_q8_1RKiEEEvS4_S4_PT_PS8_iiii,comdat
	.globl	_ZL9moe_vec_qIN3c104HalfELi256ELi16E10block_q3_KLi1EXadL_ZL17vec_dot_q3_K_q8_1PKvPK10block_q8_1RKiEEEvS4_S4_PT_PS8_iiii ; -- Begin function _ZL9moe_vec_qIN3c104HalfELi256ELi16E10block_q3_KLi1EXadL_ZL17vec_dot_q3_K_q8_1PKvPK10block_q8_1RKiEEEvS4_S4_PT_PS8_iiii
	.p2align	8
	.type	_ZL9moe_vec_qIN3c104HalfELi256ELi16E10block_q3_KLi1EXadL_ZL17vec_dot_q3_K_q8_1PKvPK10block_q8_1RKiEEEvS4_S4_PT_PS8_iiii,@function
_ZL9moe_vec_qIN3c104HalfELi256ELi16E10block_q3_KLi1EXadL_ZL17vec_dot_q3_K_q8_1PKvPK10block_q8_1RKiEEEvS4_S4_PT_PS8_iiii: ; @_ZL9moe_vec_qIN3c104HalfELi256ELi16E10block_q3_KLi1EXadL_ZL17vec_dot_q3_K_q8_1PKvPK10block_q8_1RKiEEEvS4_S4_PT_PS8_iiii
; %bb.0:
	s_clause 0x1
	s_load_u16 s3, s[0:1], 0x3e
	s_load_b128 s[4:7], s[0:1], 0x20
	s_bfe_u32 s2, ttmp6, 0x4000c
	s_and_b32 s8, ttmp6, 15
	s_add_co_i32 s2, s2, 1
	v_bfe_u32 v1, v0, 10, 10
	s_mul_i32 s2, ttmp9, s2
	s_delay_alu instid0(SALU_CYCLE_1) | instskip(SKIP_1) | instid1(SALU_CYCLE_1)
	s_add_co_i32 s8, s8, s2
	s_getreg_b32 s2, hwreg(HW_REG_IB_STS2, 6, 4)
	s_cmp_eq_u32 s2, 0
	s_cselect_b32 s8, ttmp9, s8
	s_wait_kmcnt 0x0
	v_mad_u32 v32, s8, s3, v1
	s_mov_b32 s3, exec_lo
	s_delay_alu instid0(VALU_DEP_1)
	v_cmpx_gt_u32_e64 s6, v32
	s_cbranch_execz .LBB262_7
; %bb.1:
	s_load_b64 s[8:9], s[0:1], 0x10
	s_bfe_u32 s3, ttmp6, 0x40014
	s_lshr_b32 s10, ttmp7, 16
	s_add_co_i32 s3, s3, 1
	s_bfe_u32 s11, ttmp6, 0x40008
	s_mul_i32 s3, s10, s3
	v_bfe_u32 v34, v0, 4, 6
	s_add_co_i32 s11, s11, s3
	s_cmp_eq_u32 s2, 0
	v_and_b32_e32 v33, 0x3ff, v0
	s_cselect_b32 s12, s10, s11
	s_ashr_i32 s2, s5, 31
	v_mov_b32_e32 v42, 0
	s_lshr_b32 s2, s2, 24
	s_mov_b32 s13, exec_lo
	s_add_co_i32 s2, s5, s2
	s_delay_alu instid0(SALU_CYCLE_1) | instskip(NEXT) | instid1(SALU_CYCLE_1)
	s_ashr_i32 s14, s2, 8
	v_cmpx_gt_u32_e64 s14, v34
	s_cbranch_execz .LBB262_5
; %bb.2:
	v_dual_lshrrev_b32 v4, 1, v33 :: v_dual_bitop2_b32 v0, 15, v33 bitop3:0x40
	s_cvt_f32_u32 s5, s4
	s_load_b64 s[10:11], s[0:1], 0x18
	s_sub_co_i32 s16, 0, s4
	s_delay_alu instid0(VALU_DEP_1)
	v_sub_co_u32 v2, vcc_lo, v0, 8
	v_rcp_iflag_f32_e32 v1, s5
	s_wait_xcnt 0x0
	s_load_b128 s[0:3], s[0:1], 0x0
	s_mul_i32 s15, s14, s6
	v_cndmask_b32_e32 v2, v2, v0, vcc_lo
	s_mov_b32 s5, 0
	v_mul_lo_u32 v35, v32, s14
	v_and_b32_e32 v36, 4, v4
	v_readfirstlane_b32 s17, v1
	v_dual_mov_b32 v1, 0 :: v_dual_sub_nc_u32 v3, v0, v2
	v_cmp_lt_u32_e32 vcc_lo, 3, v2
	v_lshlrev_b32_e32 v0, 2, v0
	s_mul_f32 s17, s17, 0x4f7ffffe
	s_delay_alu instid0(VALU_DEP_3)
	v_dual_lshlrev_b32 v46, 3, v34 :: v_dual_mov_b32 v42, v1
	v_add_co_ci_u32_e64 v11, null, 0, v3, vcc_lo
	s_wait_kmcnt 0x0
	s_load_b32 s10, s[10:11], s12 offset:0x0 scale_offset
	s_wait_xcnt 0x0
	s_cvt_u32_f32 s11, s17
	v_mov_b32_e32 v3, v1
	v_bfe_i32 v4, v11, 0, 8
	v_add_nc_u16 v12, v11, 2
	v_add_nc_u16 v16, v11, 4
	s_mul_i32 s16, s16, s11
	v_lshlrev_b64_e32 v[2:3], 2, v[2:3]
	v_lshrrev_b16 v4, 7, v4
	v_bfe_i32 v5, v12, 0, 8
	v_bfe_i32 v14, v16, 0, 8
	s_mul_hi_u32 s16, s11, s16
	s_delay_alu instid0(VALU_DEP_3) | instskip(NEXT) | instid1(VALU_DEP_3)
	v_and_b32_e32 v4, 0xff, v4
	v_lshrrev_b16 v5, 7, v5
	s_delay_alu instid0(VALU_DEP_3) | instskip(SKIP_1) | instid1(VALU_DEP_3)
	v_lshrrev_b16 v14, 7, v14
	s_add_co_i32 s11, s11, s16
	v_lshrrev_b16 v6, 5, v4
	v_lshrrev_b16 v4, 6, v4
	v_and_b32_e32 v9, 0xff, v5
	v_and_b32_e32 v14, 0xff, v14
	s_mul_hi_u32 s16, s12, s11
	s_wait_kmcnt 0x0
	s_mul_i32 s10, s15, s10
	v_add_nc_u16 v8, v11, v4
	v_lshrrev_b16 v13, 5, v9
	v_lshrrev_b16 v9, 6, v9
	;; [unrolled: 1-line block ×4, first 2 shown]
	v_bfe_i32 v10, v8, 0, 8
	v_add_nc_u16 v13, v12, v13
	v_and_b32_e32 v8, 0xfc, v8
	v_add_nc_u16 v17, v16, v17
	s_mul_i32 s11, s16, s4
	v_ashrrev_i16 v10, 2, v10
	v_bfe_i32 v15, v13, 0, 8
	v_sub_nc_u16 v8, v11, v8
	v_bfe_i32 v19, v17, 0, 8
	v_and_b32_e32 v17, 0xf8, v17
	v_bfe_i32 v10, v10, 0, 16
	s_sub_co_i32 s18, s12, s11
	v_bfe_i32 v8, v8, 0, 8
	s_add_co_i32 s17, s16, 1
	s_sub_co_i32 s15, s18, s4
	v_lshlrev_b32_e32 v38, 1, v10
	v_lshrrev_b16 v10, 3, v15
	v_add_nc_u16 v15, v12, v9
	v_and_b32_e32 v9, 0xf8, v13
	s_ashr_i32 s11, s10, 31
	s_cmp_ge_u32 s18, s4
	v_and_b32_e32 v10, 0xff, v10
	v_bfe_i32 v13, v15, 0, 8
	v_sub_nc_u16 v18, v12, v9
	v_and_b32_e32 v15, 0xfc, v15
	v_add_nc_u16 v6, v11, v6
	v_lshlrev_b32_e32 v39, 2, v10
	v_ashrrev_i16 v13, 2, v13
	v_bfe_i32 v10, v18, 0, 8
	v_add_nc_u16 v18, v11, 6
	v_sub_nc_u16 v12, v12, v15
	s_cselect_b32 s16, s17, s16
	v_bfe_i32 v13, v13, 0, 16
	s_cselect_b32 s15, s15, s18
	v_bfe_i32 v20, v18, 0, 8
	v_bfe_i32 v12, v12, 0, 8
	s_add_co_i32 s17, s16, 1
	v_lshlrev_b32_e32 v40, 1, v13
	v_lshrrev_b16 v13, 3, v19
	v_lshrrev_b16 v15, 7, v20
	v_add_nc_u16 v20, v16, v14
	v_sub_nc_u16 v14, v16, v17
	s_cmp_ge_u32 s15, s4
	v_and_b32_e32 v19, 0xff, v13
	v_and_b32_e32 v15, 0xff, v15
	v_bfe_i32 v17, v20, 0, 8
	v_bfe_i32 v14, v14, 0, 8
	v_and_b32_e32 v20, 0xfc, v20
	v_lshlrev_b32_e32 v41, 2, v19
	v_lshrrev_b16 v19, 5, v15
	v_lshrrev_b16 v21, 6, v15
	;; [unrolled: 1-line block ×3, first 2 shown]
	v_bfe_i32 v7, v6, 0, 8
	v_and_b32_e32 v6, 0xf8, v6
	v_add_nc_u16 v19, v18, v19
	v_add_nc_u16 v21, v18, v21
	v_sub_nc_u16 v16, v16, v20
	v_and_b32_e32 v17, 0xff, v17
	s_cselect_b32 s4, s17, s16
	v_bfe_i32 v20, v19, 0, 8
	v_and_b32_e32 v19, 0xf8, v19
	v_bfe_i32 v22, v21, 0, 8
	v_and_b32_e32 v21, 0xfc, v21
	s_mul_i32 s4, s4, s7
	v_lshrrev_b16 v7, 3, v7
	s_lshl_b64 s[16:17], s[4:5], 2
	v_sub_nc_u16 v6, v11, v6
	v_sub_nc_u16 v19, v18, v19
	;; [unrolled: 1-line block ×3, first 2 shown]
	v_bfe_i32 v16, v16, 0, 8
	v_lshlrev_b32_e32 v43, 1, v17
	v_lshrrev_b16 v17, 3, v20
	v_lshrrev_b16 v20, 2, v22
	s_add_nc_u64 s[2:3], s[2:3], s[16:17]
	v_and_b32_e32 v7, 0xff, v7
	v_mad_nc_u64_u32 v[4:5], v36, 36, s[2:3]
	v_bfe_i32 v6, v6, 0, 8
	v_and_b32_e32 v22, 0xff, v17
	v_bfe_i32 v18, v19, 0, 8
	v_and_b32_e32 v23, 0xff, v20
	v_bfe_i32 v20, v21, 0, 8
	v_dual_lshlrev_b32 v37, 2, v7 :: v_dual_ashrrev_i32 v7, 31, v6
	v_dual_ashrrev_i32 v9, 31, v8 :: v_dual_ashrrev_i32 v11, 31, v10
	v_dual_ashrrev_i32 v13, 31, v12 :: v_dual_ashrrev_i32 v15, 31, v14
	v_dual_ashrrev_i32 v17, 31, v16 :: v_dual_lshlrev_b32 v44, 2, v22
	v_dual_lshlrev_b32 v45, 1, v23 :: v_dual_ashrrev_i32 v19, 31, v18
	v_ashrrev_i32_e32 v21, 31, v20
	s_mul_u64 s[2:3], s[10:11], 0x6e
	s_delay_alu instid0(SALU_CYCLE_1)
	s_add_nc_u64 s[0:1], s[0:1], s[2:3]
.LBB262_3:                              ; =>This Inner Loop Header: Depth=1
	v_add_nc_u32_e32 v24, v35, v34
	v_mad_nc_i64_i32 v[22:23], v46, 36, v[4:5]
	v_add_nc_u32_e32 v46, 16, v46
	v_add_nc_u32_e32 v34, 2, v34
	s_delay_alu instid0(VALU_DEP_4) | instskip(NEXT) | instid1(VALU_DEP_2)
	v_mad_nc_i64_i32 v[24:25], 0x6e, v24, s[0:1]
	v_cmp_le_u32_e32 vcc_lo, s14, v34
	v_add_nc_u64_e32 v[30:31], v[22:23], v[2:3]
	s_or_b32 s5, vcc_lo, s5
	s_delay_alu instid0(VALU_DEP_3)
	v_add_nc_u64_e32 v[28:29], v[24:25], v[2:3]
	v_add_nc_u64_e32 v[26:27], v[24:25], v[0:1]
	;; [unrolled: 1-line block ×5, first 2 shown]
	s_clause 0x4
	global_load_b32 v47, v[30:31], off offset:76
	global_load_b32 v54, v[30:31], off offset:4
	;; [unrolled: 1-line block ×5, first 2 shown]
	s_clause 0x5
	global_load_b32 v58, v[28:29], off
	global_load_b32 v59, v[26:27], off offset:32
	global_load_u8 v60, v[48:49], off offset:96
	global_load_u8 v61, v[50:51], off offset:104
	;; [unrolled: 1-line block ×3, first 2 shown]
	global_load_u16 v63, v[24:25], off offset:108
	s_wait_loadcnt 0x9
	s_wait_xcnt 0x4
	v_lshrrev_b16 v27, 8, v54
	s_wait_loadcnt 0x7
	v_bfe_i32 v28, v56, 0, 8
	s_wait_loadcnt 0x5
	v_ashrrev_i32_e32 v29, v36, v58
	s_wait_loadcnt 0x4
	v_bfe_u32 v31, v59, 24, 2
	v_and_b32_e32 v30, 0x3030303, v59
	s_wait_xcnt 0x3
	v_lshrrev_b32_e32 v48, 2, v59
	v_bfe_i32 v27, v27, 0, 8
	v_not_b32_e32 v49, v29
	v_ashrrev_i32_e32 v26, 24, v54
	s_wait_xcnt 0x2
	v_lshrrev_b16 v50, 8, v30
	s_delay_alu instid0(VALU_DEP_3) | instskip(NEXT) | instid1(VALU_DEP_1)
	v_lshlrev_b32_e32 v51, 2, v49
	v_and_b32_e32 v51, 0x4040404, v51
	s_wait_xcnt 0x1
	s_delay_alu instid0(VALU_DEP_1) | instskip(SKIP_1) | instid1(VALU_DEP_2)
	v_lshrrev_b32_e32 v52, 24, v51
	v_bitop3_b32 v29, v29, 0x4040404, v29 bitop3:0xc
	v_sub_nc_u16 v31, v31, v52
	v_lshrrev_b16 v52, 8, v51
	s_delay_alu instid0(VALU_DEP_2) | instskip(NEXT) | instid1(VALU_DEP_2)
	v_bfe_i32 v31, v31, 0, 16
	v_sub_nc_u16 v50, v50, v52
	v_and_b32_e32 v52, 0x3030303, v48
	v_bfe_u32 v48, v48, 24, 2
	s_delay_alu instid0(VALU_DEP_4) | instskip(SKIP_3) | instid1(VALU_DEP_3)
	v_mul_i32_i24_e32 v26, v31, v26
	v_lshlrev_b32_e32 v31, 1, v49
	v_bfe_i32 v50, v50, 0, 16
	v_lshrrev_b32_e32 v49, 1, v49
	v_and_b32_e32 v31, 0x4040404, v31
	s_delay_alu instid0(VALU_DEP_3) | instskip(SKIP_1) | instid1(VALU_DEP_4)
	v_mad_i32_i24 v50, v50, v27, v26
	v_lshrrev_b16 v26, 8, v52
	v_and_b32_e32 v49, 0x4040404, v49
	s_delay_alu instid0(VALU_DEP_4) | instskip(NEXT) | instid1(VALU_DEP_1)
	v_lshrrev_b16 v27, 8, v31
	v_sub_nc_u16 v26, v26, v27
	v_sub_nc_u16 v27, v52, v31
	v_lshrrev_b32_e32 v52, 16, v52
	s_delay_alu instid0(VALU_DEP_3) | instskip(NEXT) | instid1(VALU_DEP_3)
	v_lshlrev_b16 v26, 8, v26
	v_bfe_i32 v27, v27, 0, 8
	s_delay_alu instid0(VALU_DEP_2) | instskip(NEXT) | instid1(VALU_DEP_2)
	v_bfe_i32 v26, v26, 8, 8
	v_mul_i32_i24_e32 v27, v28, v27
	v_bfe_i32 v28, v56, 8, 8
	s_delay_alu instid0(VALU_DEP_1)
	v_mad_i32_i24 v28, v28, v26, v27
	v_add_nc_u64_e32 v[26:27], v[24:25], v[12:13]
	global_load_u8 v53, v[26:27], off offset:104
	s_wait_xcnt 0x0
	v_add_nc_u64_e32 v[26:27], v[24:25], v[14:15]
	global_load_u8 v58, v[26:27], off offset:96
	s_wait_xcnt 0x0
	;; [unrolled: 3-line block ×3, first 2 shown]
	v_add_nc_u64_e32 v[26:27], v[24:25], v[20:21]
	v_add_nc_u64_e32 v[24:25], v[24:25], v[18:19]
	s_clause 0x1
	global_load_u8 v26, v[26:27], off offset:104
	global_load_u8 v24, v[24:25], off offset:96
	s_wait_xcnt 0x0
	v_lshrrev_b32_e32 v25, 16, v30
	v_sub_nc_u16 v27, v30, v51
	v_lshrrev_b32_e32 v30, 16, v51
	v_lshlrev_b32_e32 v51, 8, v47
	s_delay_alu instid0(VALU_DEP_3) | instskip(NEXT) | instid1(VALU_DEP_3)
	v_bfe_i32 v27, v27, 0, 8
	v_sub_nc_u16 v25, v25, v30
	v_bfe_i32 v30, v54, 0, 8
	s_delay_alu instid0(VALU_DEP_2) | instskip(NEXT) | instid1(VALU_DEP_2)
	v_bfe_i32 v25, v25, 0, 8
	v_mul_i32_i24_e32 v27, v27, v30
	v_bfe_i32 v30, v54, 16, 8
	v_lshlrev_b32_e32 v54, 8, v55
	s_delay_alu instid0(VALU_DEP_2) | instskip(NEXT) | instid1(VALU_DEP_1)
	v_mul_i32_i24_e32 v25, v25, v30
	v_add3_u32 v25, v27, v25, v50
	s_clause 0x2
	global_load_b32 v27, v[22:23], off
	global_load_b32 v30, v[22:23], off offset:36
	global_load_b32 v50, v[22:23], off offset:72
	s_wait_xcnt 0x0
	v_dual_lshlrev_b32 v23, 16, v47 :: v_dual_lshlrev_b32 v22, 8, v56
	s_delay_alu instid0(VALU_DEP_1) | instskip(SKIP_1) | instid1(VALU_DEP_3)
	v_perm_b32 v23, v51, v23, 0xc0c0703
	v_lshlrev_b32_e32 v51, 16, v55
	v_perm_b32 v22, v56, v22, 0xc0c0703
	s_wait_loadcnt 0xb
	v_bfe_u32 v56, v60, v37, 4
	s_delay_alu instid0(VALU_DEP_3)
	v_perm_b32 v51, v54, v51, 0xc0c0703
	s_wait_loadcnt 0xa
	v_lshrrev_b32_e32 v54, v38, v61
	v_lshrrev_b16 v61, 8, v29
	s_wait_loadcnt 0x7
	v_lshrrev_b32_e32 v53, v40, v53
	s_delay_alu instid0(VALU_DEP_1) | instskip(SKIP_4) | instid1(VALU_DEP_1)
	v_lshlrev_b32_e32 v53, 4, v53
	s_wait_loadcnt 0x6
	v_bfe_u32 v58, v58, v41, 4
	s_wait_loadcnt 0x5
	v_dual_lshrrev_b32 v60, v43, v64 :: v_dual_lshlrev_b32 v54, 4, v54
	v_lshlrev_b32_e32 v60, 4, v60
	s_delay_alu instid0(VALU_DEP_2)
	v_and_or_b32 v54, v54, 48, v56
	v_bfe_u32 v56, v62, v39, 4
	s_wait_loadcnt 0x4
	v_lshrrev_b32_e32 v26, v45, v26
	s_wait_loadcnt 0x3
	v_bfe_u32 v24, v24, v44, 4
	v_and_or_b32 v58, v60, 48, v58
	v_lshrrev_b32_e32 v62, 16, v49
	v_and_or_b32 v53, v53, 48, v56
	v_lshrrev_b32_e32 v56, 4, v59
	v_subrev_nc_u32_e32 v54, 32, v54
	v_subrev_nc_u32_e32 v58, 32, v58
	s_delay_alu instid0(VALU_DEP_4) | instskip(NEXT) | instid1(VALU_DEP_4)
	v_subrev_nc_u32_e32 v53, 32, v53
	v_bfe_u32 v60, v56, 24, 2
	v_and_b32_e32 v56, 0x3030303, v56
	v_lshlrev_b32_e32 v26, 4, v26
	v_mul_lo_u32 v25, v54, v25
	s_delay_alu instid0(VALU_DEP_2) | instskip(SKIP_1) | instid1(VALU_DEP_2)
	v_and_or_b32 v24, v26, 48, v24
	v_lshrrev_b32_e32 v26, 24, v29
	v_subrev_nc_u32_e32 v24, 32, v24
	s_delay_alu instid0(VALU_DEP_2) | instskip(SKIP_2) | instid1(VALU_DEP_3)
	v_sub_nc_u16 v26, v60, v26
	v_lshrrev_b16 v60, 8, v56
	v_cvt_f32_i32_e32 v25, v25
	v_lshlrev_b16 v26, 8, v26
	s_delay_alu instid0(VALU_DEP_3) | instskip(SKIP_2) | instid1(VALU_DEP_4)
	v_sub_nc_u16 v60, v60, v61
	v_sub_nc_u16 v61, v56, v29
	v_dual_lshrrev_b32 v56, 16, v56 :: v_dual_lshrrev_b32 v29, 16, v29
	v_bfe_i32 v26, v26, 8, 8
	s_wait_loadcnt 0x2
	v_fma_mix_f32 v25, v27, v25, 0 op_sel_hi:[1,0,0]
	s_delay_alu instid0(VALU_DEP_3) | instskip(SKIP_1) | instid1(VALU_DEP_1)
	v_sub_nc_u16 v29, v56, v29
	v_dual_lshrrev_b32 v56, 24, v31 :: v_dual_lshrrev_b32 v31, 16, v31
	v_sub_nc_u16 v48, v48, v56
	s_delay_alu instid0(VALU_DEP_2)
	v_sub_nc_u16 v31, v52, v31
	v_lshrrev_b32_e32 v52, 6, v59
	v_lshlrev_b16 v56, 8, v60
	v_lshrrev_b16 v60, 8, v49
	v_lshrrev_b32_e32 v59, 30, v59
	v_lshlrev_b16 v48, 8, v48
	v_and_b32_e32 v52, 0x3030303, v52
	v_perm_b32 v29, v29, v56, 0xc0c0401
	s_delay_alu instid0(VALU_DEP_3) | instskip(NEXT) | instid1(VALU_DEP_3)
	v_bitop3_b16 v48, v31, v48, 0xff bitop3:0xec
	v_lshrrev_b16 v56, 8, v52
	s_delay_alu instid0(VALU_DEP_2) | instskip(NEXT) | instid1(VALU_DEP_2)
	v_perm_b32 v31, v48, v31, 0xc0c0500
	v_sub_nc_u16 v56, v56, v60
	v_lshrrev_b32_e32 v60, 16, v52
	v_sub_nc_u16 v52, v52, v49
	v_dual_lshrrev_b32 v49, 24, v49 :: v_dual_ashrrev_i32 v48, 24, v55
	v_bfe_i32 v55, v55, 0, 8
	s_delay_alu instid0(VALU_DEP_4) | instskip(NEXT) | instid1(VALU_DEP_4)
	v_sub_nc_u16 v60, v60, v62
	v_bfe_i32 v52, v52, 0, 8
	s_delay_alu instid0(VALU_DEP_4)
	v_sub_nc_u16 v49, v59, v49
	v_ashrrev_i32_e32 v59, 24, v47
	v_bfe_i32 v47, v47, 0, 8
	v_lshlrev_b16 v56, 8, v56
	v_dot4_i32_iu8 v22, v22, v31, v28 neg_lo:[1,1,0]
	v_lshlrev_b16 v49, 8, v49
	v_mul_i32_i24_e32 v26, v59, v26
	v_bfe_i32 v59, v61, 0, 8
	v_perm_b32 v28, v60, v56, 0xc0c0401
	v_mul_lo_u32 v22, v53, v22
	v_bfe_i32 v49, v49, 8, 8
	s_delay_alu instid0(VALU_DEP_4) | instskip(NEXT) | instid1(VALU_DEP_2)
	v_mad_i32_i24 v26, v47, v59, v26
	v_mul_i32_i24_e32 v47, v48, v49
	s_delay_alu instid0(VALU_DEP_2) | instskip(NEXT) | instid1(VALU_DEP_2)
	v_dot4_i32_iu8 v23, v23, v29, v26 neg_lo:[1,1,0]
	v_mad_i32_i24 v26, v55, v52, v47
	v_cvt_f32_i32_e32 v22, v22
	s_delay_alu instid0(VALU_DEP_3) | instskip(NEXT) | instid1(VALU_DEP_3)
	v_mul_lo_u32 v23, v58, v23
	v_dot4_i32_iu8 v26, v51, v28, v26 neg_lo:[1,1,0]
	s_wait_loadcnt 0x1
	s_delay_alu instid0(VALU_DEP_3) | instskip(NEXT) | instid1(VALU_DEP_2)
	v_fma_mix_f32 v22, v30, v22, v25 op_sel_hi:[1,0,0]
	v_mul_lo_u32 v24, v24, v26
	s_delay_alu instid0(VALU_DEP_4) | instskip(SKIP_1) | instid1(VALU_DEP_1)
	v_cvt_f32_i32_e32 v23, v23
	s_wait_loadcnt 0x0
	v_fma_mix_f32 v22, v50, v23, v22 op_sel_hi:[1,0,0]
	s_delay_alu instid0(VALU_DEP_3) | instskip(NEXT) | instid1(VALU_DEP_1)
	v_cvt_f32_i32_e32 v24, v24
	v_fma_mix_f32 v22, v57, v24, v22 op_sel_hi:[1,0,0]
	s_delay_alu instid0(VALU_DEP_1)
	v_fma_mix_f32 v42, v22, v63, v42 op_sel_hi:[0,1,0]
	s_and_not1_b32 exec_lo, exec_lo, s5
	s_cbranch_execnz .LBB262_3
; %bb.4:
	s_or_b32 exec_lo, exec_lo, s5
.LBB262_5:
	s_delay_alu instid0(SALU_CYCLE_1) | instskip(SKIP_1) | instid1(VALU_DEP_1)
	s_or_b32 exec_lo, exec_lo, s13
	v_mbcnt_lo_u32_b32 v0, -1, 0
	v_xor_b32_e32 v2, 8, v0
	v_xor_b32_e32 v1, 16, v0
	;; [unrolled: 1-line block ×3, first 2 shown]
	s_delay_alu instid0(VALU_DEP_2) | instskip(SKIP_4) | instid1(VALU_DEP_2)
	v_cmp_gt_i32_e32 vcc_lo, 32, v1
	v_cndmask_b32_e32 v1, v0, v1, vcc_lo
	v_cmp_gt_i32_e32 vcc_lo, 32, v2
	v_cndmask_b32_e32 v2, v0, v2, vcc_lo
	v_cmp_gt_i32_e32 vcc_lo, 32, v3
	v_dual_lshlrev_b32 v2, 2, v2 :: v_dual_lshlrev_b32 v1, 2, v1
	ds_bpermute_b32 v1, v1, v42
	s_wait_dscnt 0x0
	v_add_f32_e32 v1, v42, v1
	ds_bpermute_b32 v2, v2, v1
	s_wait_dscnt 0x0
	v_dual_cndmask_b32 v3, v0, v3, vcc_lo :: v_dual_add_f32 v1, v1, v2
	s_delay_alu instid0(VALU_DEP_1) | instskip(SKIP_3) | instid1(VALU_DEP_1)
	v_lshlrev_b32_e32 v3, 2, v3
	ds_bpermute_b32 v2, v3, v1
	s_wait_dscnt 0x0
	v_dual_add_f32 v1, v1, v2 :: v_dual_bitop2_b32 v3, 2, v0 bitop3:0x14
	v_cmp_gt_i32_e32 vcc_lo, 32, v3
	v_cndmask_b32_e32 v3, v0, v3, vcc_lo
	s_delay_alu instid0(VALU_DEP_1) | instskip(SKIP_2) | instid1(VALU_DEP_1)
	v_lshlrev_b32_e32 v3, 2, v3
	ds_bpermute_b32 v2, v3, v1
	v_xor_b32_e32 v3, 1, v0
	v_cmp_gt_i32_e32 vcc_lo, 32, v3
	v_cndmask_b32_e32 v3, v0, v3, vcc_lo
	v_cmp_eq_u32_e32 vcc_lo, 0, v33
	s_wait_dscnt 0x0
	s_delay_alu instid0(VALU_DEP_2)
	v_dual_add_f32 v0, v1, v2 :: v_dual_lshlrev_b32 v1, 2, v3
	ds_bpermute_b32 v1, v1, v0
	s_and_b32 exec_lo, exec_lo, vcc_lo
	s_cbranch_execz .LBB262_7
; %bb.6:
	v_mad_u32 v2, s6, s12, v32
	s_wait_dscnt 0x0
	v_add_f32_e32 v0, v0, v1
	s_delay_alu instid0(VALU_DEP_1)
	v_cvt_f16_f32_e32 v0, v0
	s_wait_kmcnt 0x0
	global_store_b16 v2, v0, s[8:9] scale_offset
.LBB262_7:
	s_sendmsg sendmsg(MSG_DEALLOC_VGPRS)
	s_endpgm
	.section	.rodata,"a",@progbits
	.p2align	6, 0x0
	.amdhsa_kernel _ZL9moe_vec_qIN3c104HalfELi256ELi16E10block_q3_KLi1EXadL_ZL17vec_dot_q3_K_q8_1PKvPK10block_q8_1RKiEEEvS4_S4_PT_PS8_iiii
		.amdhsa_group_segment_fixed_size 0
		.amdhsa_private_segment_fixed_size 0
		.amdhsa_kernarg_size 304
		.amdhsa_user_sgpr_count 2
		.amdhsa_user_sgpr_dispatch_ptr 0
		.amdhsa_user_sgpr_queue_ptr 0
		.amdhsa_user_sgpr_kernarg_segment_ptr 1
		.amdhsa_user_sgpr_dispatch_id 0
		.amdhsa_user_sgpr_kernarg_preload_length 0
		.amdhsa_user_sgpr_kernarg_preload_offset 0
		.amdhsa_user_sgpr_private_segment_size 0
		.amdhsa_wavefront_size32 1
		.amdhsa_uses_dynamic_stack 0
		.amdhsa_enable_private_segment 0
		.amdhsa_system_sgpr_workgroup_id_x 1
		.amdhsa_system_sgpr_workgroup_id_y 0
		.amdhsa_system_sgpr_workgroup_id_z 1
		.amdhsa_system_sgpr_workgroup_info 0
		.amdhsa_system_vgpr_workitem_id 1
		.amdhsa_next_free_vgpr 65
		.amdhsa_next_free_sgpr 19
		.amdhsa_named_barrier_count 0
		.amdhsa_reserve_vcc 1
		.amdhsa_float_round_mode_32 0
		.amdhsa_float_round_mode_16_64 0
		.amdhsa_float_denorm_mode_32 3
		.amdhsa_float_denorm_mode_16_64 3
		.amdhsa_fp16_overflow 0
		.amdhsa_memory_ordered 1
		.amdhsa_forward_progress 1
		.amdhsa_inst_pref_size 24
		.amdhsa_round_robin_scheduling 0
		.amdhsa_exception_fp_ieee_invalid_op 0
		.amdhsa_exception_fp_denorm_src 0
		.amdhsa_exception_fp_ieee_div_zero 0
		.amdhsa_exception_fp_ieee_overflow 0
		.amdhsa_exception_fp_ieee_underflow 0
		.amdhsa_exception_fp_ieee_inexact 0
		.amdhsa_exception_int_div_zero 0
	.end_amdhsa_kernel
	.section	.text._ZL9moe_vec_qIN3c104HalfELi256ELi16E10block_q3_KLi1EXadL_ZL17vec_dot_q3_K_q8_1PKvPK10block_q8_1RKiEEEvS4_S4_PT_PS8_iiii,"axG",@progbits,_ZL9moe_vec_qIN3c104HalfELi256ELi16E10block_q3_KLi1EXadL_ZL17vec_dot_q3_K_q8_1PKvPK10block_q8_1RKiEEEvS4_S4_PT_PS8_iiii,comdat
.Lfunc_end262:
	.size	_ZL9moe_vec_qIN3c104HalfELi256ELi16E10block_q3_KLi1EXadL_ZL17vec_dot_q3_K_q8_1PKvPK10block_q8_1RKiEEEvS4_S4_PT_PS8_iiii, .Lfunc_end262-_ZL9moe_vec_qIN3c104HalfELi256ELi16E10block_q3_KLi1EXadL_ZL17vec_dot_q3_K_q8_1PKvPK10block_q8_1RKiEEEvS4_S4_PT_PS8_iiii
                                        ; -- End function
	.set _ZL9moe_vec_qIN3c104HalfELi256ELi16E10block_q3_KLi1EXadL_ZL17vec_dot_q3_K_q8_1PKvPK10block_q8_1RKiEEEvS4_S4_PT_PS8_iiii.num_vgpr, 65
	.set _ZL9moe_vec_qIN3c104HalfELi256ELi16E10block_q3_KLi1EXadL_ZL17vec_dot_q3_K_q8_1PKvPK10block_q8_1RKiEEEvS4_S4_PT_PS8_iiii.num_agpr, 0
	.set _ZL9moe_vec_qIN3c104HalfELi256ELi16E10block_q3_KLi1EXadL_ZL17vec_dot_q3_K_q8_1PKvPK10block_q8_1RKiEEEvS4_S4_PT_PS8_iiii.numbered_sgpr, 19
	.set _ZL9moe_vec_qIN3c104HalfELi256ELi16E10block_q3_KLi1EXadL_ZL17vec_dot_q3_K_q8_1PKvPK10block_q8_1RKiEEEvS4_S4_PT_PS8_iiii.num_named_barrier, 0
	.set _ZL9moe_vec_qIN3c104HalfELi256ELi16E10block_q3_KLi1EXadL_ZL17vec_dot_q3_K_q8_1PKvPK10block_q8_1RKiEEEvS4_S4_PT_PS8_iiii.private_seg_size, 0
	.set _ZL9moe_vec_qIN3c104HalfELi256ELi16E10block_q3_KLi1EXadL_ZL17vec_dot_q3_K_q8_1PKvPK10block_q8_1RKiEEEvS4_S4_PT_PS8_iiii.uses_vcc, 1
	.set _ZL9moe_vec_qIN3c104HalfELi256ELi16E10block_q3_KLi1EXadL_ZL17vec_dot_q3_K_q8_1PKvPK10block_q8_1RKiEEEvS4_S4_PT_PS8_iiii.uses_flat_scratch, 0
	.set _ZL9moe_vec_qIN3c104HalfELi256ELi16E10block_q3_KLi1EXadL_ZL17vec_dot_q3_K_q8_1PKvPK10block_q8_1RKiEEEvS4_S4_PT_PS8_iiii.has_dyn_sized_stack, 0
	.set _ZL9moe_vec_qIN3c104HalfELi256ELi16E10block_q3_KLi1EXadL_ZL17vec_dot_q3_K_q8_1PKvPK10block_q8_1RKiEEEvS4_S4_PT_PS8_iiii.has_recursion, 0
	.set _ZL9moe_vec_qIN3c104HalfELi256ELi16E10block_q3_KLi1EXadL_ZL17vec_dot_q3_K_q8_1PKvPK10block_q8_1RKiEEEvS4_S4_PT_PS8_iiii.has_indirect_call, 0
	.section	.AMDGPU.csdata,"",@progbits
; Kernel info:
; codeLenInByte = 3008
; TotalNumSgprs: 21
; NumVgprs: 65
; ScratchSize: 0
; MemoryBound: 0
; FloatMode: 240
; IeeeMode: 1
; LDSByteSize: 0 bytes/workgroup (compile time only)
; SGPRBlocks: 0
; VGPRBlocks: 4
; NumSGPRsForWavesPerEU: 21
; NumVGPRsForWavesPerEU: 65
; NamedBarCnt: 0
; Occupancy: 12
; WaveLimiterHint : 1
; COMPUTE_PGM_RSRC2:SCRATCH_EN: 0
; COMPUTE_PGM_RSRC2:USER_SGPR: 2
; COMPUTE_PGM_RSRC2:TRAP_HANDLER: 0
; COMPUTE_PGM_RSRC2:TGID_X_EN: 1
; COMPUTE_PGM_RSRC2:TGID_Y_EN: 0
; COMPUTE_PGM_RSRC2:TGID_Z_EN: 1
; COMPUTE_PGM_RSRC2:TIDIG_COMP_CNT: 1
	.section	.text._ZL9moe_vec_qIN3c104HalfELi256ELi32E10block_q4_KLi2EXadL_ZL17vec_dot_q4_K_q8_1PKvPK10block_q8_1RKiEEEvS4_S4_PT_PS8_iiii,"axG",@progbits,_ZL9moe_vec_qIN3c104HalfELi256ELi32E10block_q4_KLi2EXadL_ZL17vec_dot_q4_K_q8_1PKvPK10block_q8_1RKiEEEvS4_S4_PT_PS8_iiii,comdat
	.globl	_ZL9moe_vec_qIN3c104HalfELi256ELi32E10block_q4_KLi2EXadL_ZL17vec_dot_q4_K_q8_1PKvPK10block_q8_1RKiEEEvS4_S4_PT_PS8_iiii ; -- Begin function _ZL9moe_vec_qIN3c104HalfELi256ELi32E10block_q4_KLi2EXadL_ZL17vec_dot_q4_K_q8_1PKvPK10block_q8_1RKiEEEvS4_S4_PT_PS8_iiii
	.p2align	8
	.type	_ZL9moe_vec_qIN3c104HalfELi256ELi32E10block_q4_KLi2EXadL_ZL17vec_dot_q4_K_q8_1PKvPK10block_q8_1RKiEEEvS4_S4_PT_PS8_iiii,@function
_ZL9moe_vec_qIN3c104HalfELi256ELi32E10block_q4_KLi2EXadL_ZL17vec_dot_q4_K_q8_1PKvPK10block_q8_1RKiEEEvS4_S4_PT_PS8_iiii: ; @_ZL9moe_vec_qIN3c104HalfELi256ELi32E10block_q4_KLi2EXadL_ZL17vec_dot_q4_K_q8_1PKvPK10block_q8_1RKiEEEvS4_S4_PT_PS8_iiii
; %bb.0:
	s_clause 0x1
	s_load_u16 s3, s[0:1], 0x3e
	s_load_b128 s[4:7], s[0:1], 0x20
	s_bfe_u32 s2, ttmp6, 0x4000c
	s_and_b32 s8, ttmp6, 15
	s_add_co_i32 s2, s2, 1
	v_bfe_u32 v1, v0, 10, 10
	s_mul_i32 s2, ttmp9, s2
	s_delay_alu instid0(SALU_CYCLE_1) | instskip(SKIP_1) | instid1(SALU_CYCLE_1)
	s_add_co_i32 s8, s8, s2
	s_getreg_b32 s2, hwreg(HW_REG_IB_STS2, 6, 4)
	s_cmp_eq_u32 s2, 0
	s_cselect_b32 s8, ttmp9, s8
	s_wait_kmcnt 0x0
	v_mad_u32 v14, s8, s3, v1
	s_mov_b32 s3, exec_lo
	s_delay_alu instid0(VALU_DEP_1)
	v_cmpx_gt_u32_e64 s6, v14
	s_cbranch_execz .LBB263_11
; %bb.1:
	s_load_b64 s[8:9], s[0:1], 0x10
	s_bfe_u32 s3, ttmp6, 0x40014
	s_lshr_b32 s10, ttmp7, 16
	s_add_co_i32 s3, s3, 1
	s_bfe_u32 s11, ttmp6, 0x40008
	s_mul_i32 s3, s10, s3
	v_bfe_u32 v16, v0, 4, 6
	s_add_co_i32 s11, s11, s3
	s_cmp_eq_u32 s2, 0
	v_and_b32_e32 v15, 0x3ff, v0
	s_cselect_b32 s10, s10, s11
	s_ashr_i32 s2, s5, 31
	v_mov_b32_e32 v18, 0
	s_lshr_b32 s2, s2, 24
	s_mov_b32 s11, exec_lo
	s_add_co_i32 s2, s5, s2
	s_delay_alu instid0(SALU_CYCLE_1) | instskip(NEXT) | instid1(SALU_CYCLE_1)
	s_ashr_i32 s12, s2, 8
	v_cmpx_gt_u32_e64 s12, v16
	s_cbranch_execz .LBB263_9
; %bb.2:
	s_load_b64 s[2:3], s[0:1], 0x18
	s_cvt_f32_u32 s5, s4
	s_sub_co_i32 s16, 0, s4
	s_mul_i32 s14, s12, s6
	v_mul_lo_u32 v17, v14, s12
	v_rcp_iflag_f32_e32 v0, s5
	v_mov_b32_e32 v1, 0
	s_delay_alu instid0(VALU_DEP_1) | instskip(NEXT) | instid1(TRANS32_DEP_1)
	v_dual_mov_b32 v9, v1 :: v_dual_mov_b32 v18, v1
	v_readfirstlane_b32 s5, v0
	v_dual_mov_b32 v3, v1 :: v_dual_lshlrev_b32 v0, 1, v15
	s_mul_f32 s5, s5, 0x4f7ffffe
	s_delay_alu instid0(VALU_DEP_1)
	v_bfe_u32 v6, v0, 3, 2
	s_wait_kmcnt 0x0
	s_load_b32 s13, s[2:3], s10 offset:0x0 scale_offset
	v_and_b32_e32 v4, 30, v0
	s_cvt_u32_f32 s15, s5
	s_wait_xcnt 0x0
	s_load_b128 s[0:3], s[0:1], 0x0
	s_mov_b32 s5, 0
	v_lshlrev_b32_e32 v5, 1, v6
	s_mul_i32 s16, s16, s15
	v_cmp_lt_u32_e32 vcc_lo, 15, v4
	s_mul_hi_u32 s16, s15, s16
	v_dual_lshlrev_b32 v0, 5, v6 :: v_dual_bitop2_b32 v8, 3, v15 bitop3:0x40
	s_add_co_i32 s15, s15, s16
	v_dual_lshlrev_b32 v19, 3, v16 :: v_dual_lshlrev_b32 v6, 1, v6
	s_mul_hi_u32 s16, s10, s15
	s_delay_alu instid0(VALU_DEP_2)
	v_lshlrev_b32_e32 v2, 2, v8
	s_mul_i32 s15, s16, s4
	s_add_co_i32 s17, s16, 1
	s_sub_co_i32 s18, s10, s15
	v_dual_mov_b32 v7, v1 :: v_dual_lshlrev_b32 v8, 2, v8
	s_wait_kmcnt 0x0
	s_mul_i32 s14, s14, s13
	s_sub_co_i32 s13, s18, s4
	s_ashr_i32 s15, s14, 31
	s_cmp_ge_u32 s18, s4
	s_mul_u64 s[14:15], s[14:15], 0x90
	s_cselect_b32 s16, s17, s16
	s_cselect_b32 s13, s13, s18
	s_add_co_i32 s17, s16, 1
	s_cmp_ge_u32 s13, s4
	s_cselect_b32 s4, s17, s16
	s_delay_alu instid0(SALU_CYCLE_1) | instskip(NEXT) | instid1(SALU_CYCLE_1)
	s_mul_i32 s4, s4, s7
	s_lshl_b64 s[16:17], s[4:5], 2
	s_delay_alu instid0(SALU_CYCLE_1) | instskip(NEXT) | instid1(SALU_CYCLE_1)
	s_add_nc_u64 s[2:3], s[2:3], s[16:17]
	v_mad_nc_u64_u32 v[4:5], v5, 36, s[2:3]
	s_add_nc_u64 s[2:3], s[0:1], s[14:15]
	s_movk_i32 s1, 0xff
	s_branch .LBB263_4
.LBB263_3:                              ;   in Loop: Header=BB263_4 Depth=1
	s_or_b32 exec_lo, exec_lo, s0
	v_mad_nc_i64_i32 v[12:13], v19, 36, v[4:5]
	s_wait_loadcnt 0x0
	v_bfe_u32 v34, v20, 16, 4
	v_bfe_u32 v39, v21, 4, 4
	;; [unrolled: 1-line block ×3, first 2 shown]
	v_dual_lshrrev_b32 v38, 28, v20 :: v_dual_bitop2_b32 v33, 15, v20 bitop3:0x40
	v_and_b32_e32 v35, 0xff00ff, v22
	v_bfe_u32 v41, v20, 4, 4
	v_bfe_u32 v40, v21, 12, 4
	;; [unrolled: 1-line block ×3, first 2 shown]
	v_lshrrev_b32_e32 v37, 4, v20
	v_add_nc_u64_e32 v[24:25], v[12:13], v[8:9]
	s_clause 0x4
	global_load_b32 v23, v[24:25], off offset:4
	global_load_b32 v26, v[24:25], off offset:20
	global_load_b32 v27, v[24:25], off offset:56
	global_load_b32 v28, v[24:25], off offset:40
	global_load_b32 v29, v[12:13], off
	global_load_b32 v30, v[10:11], off
	global_load_b32 v31, v[12:13], off offset:36
	s_wait_xcnt 0x1
	v_and_b32_e32 v11, 0xf0f0f0f, v21
	s_wait_xcnt 0x0
	v_and_b32_e32 v13, 0xf0f0f0f, v20
	v_and_b32_e32 v25, 15, v21
	v_bfe_u32 v24, v20, 24, 4
	v_lshrrev_b16 v37, 8, v37
	v_lshrrev_b16 v11, 8, v11
	;; [unrolled: 1-line block ×3, first 2 shown]
	v_bfe_u32 v12, v21, 24, 4
	v_bfe_u32 v20, v20, 20, 4
	v_dual_lshrrev_b32 v35, 16, v35 :: v_dual_bitop2_b32 v37, 15, v37 bitop3:0x40
	v_and_b32_e32 v11, 0xffff, v11
	v_and_b32_e32 v13, 0xffff, v13
	v_pk_lshrrev_b16 v10, 8, v22 op_sel_hi:[0,1]
	s_delay_alu instid0(VALU_DEP_4) | instskip(SKIP_2) | instid1(VALU_DEP_4)
	v_and_b32_e32 v37, 0xffff, v37
	v_lshrrev_b32_e32 v21, 28, v21
	v_bitop3_b32 v22, v22, s1, 0xff00ff bitop3:0x80
	v_dual_add_nc_u32 v16, 2, v16 :: v_dual_lshrrev_b32 v42, 16, v10
	v_and_b32_e32 v10, 0xff, v10
	v_add_nc_u32_e32 v19, 16, v19
	s_delay_alu instid0(VALU_DEP_3)
	v_cmp_le_u32_e64 s0, s12, v16
	s_or_b32 s5, s0, s5
	s_wait_loadcnt 0x6
	v_lshrrev_b16 v43, 8, v23
	s_wait_loadcnt 0x5
	v_lshrrev_b16 v44, 8, v26
	v_dual_ashrrev_i32 v46, 24, v23 :: v_dual_ashrrev_i32 v48, 24, v26
	v_bfe_i32 v47, v23, 0, 8
	v_bfe_i32 v49, v26, 16, 8
	s_wait_loadcnt 0x3
	v_bfe_i32 v50, v28, 0, 8
	v_bfe_i32 v51, v28, 8, 8
	;; [unrolled: 1-line block ×3, first 2 shown]
	v_dual_ashrrev_i32 v28, 24, v28 :: v_dual_ashrrev_i32 v54, 24, v27
	v_bfe_i32 v43, v43, 0, 8
	v_lshrrev_b16 v45, 8, v27
	v_bfe_i32 v23, v23, 16, 8
	v_bfe_i32 v26, v26, 0, 8
	;; [unrolled: 1-line block ×5, first 2 shown]
	v_mul_i32_i24_e32 v34, v49, v34
	v_mul_i32_i24_e32 v24, v48, v24
	;; [unrolled: 1-line block ×3, first 2 shown]
	v_add_nc_u32_e32 v50, v50, v28
	v_mul_i32_i24_e32 v11, v43, v11
	v_add_nc_u32_e32 v43, v43, v47
	v_mul_i32_i24_e32 v33, v26, v33
	v_bfe_i32 v45, v45, 0, 8
	v_mul_i32_i24_e32 v20, v27, v20
	v_mul_i32_i24_e32 v38, v54, v38
	;; [unrolled: 1-line block ×3, first 2 shown]
	v_mad_i32_i24 v32, v23, v32, v34
	v_mad_i32_i24 v12, v46, v12, v24
	v_add3_u32 v23, v43, v23, v46
	v_mul_i32_i24_e32 v40, v51, v40
	v_mad_i32_i24 v25, v47, v25, v33
	v_mad_i32_i24 v20, v53, v41, v20
	;; [unrolled: 1-line block ×3, first 2 shown]
	v_add3_u32 v33, v50, v51, v52
	v_add3_u32 v11, v11, v13, v12
	;; [unrolled: 1-line block ×3, first 2 shown]
	v_mul_i32_i24_e32 v36, v52, v36
	v_mad_i32_i24 v13, v28, v21, v40
	v_add3_u32 v20, v20, v24, v39
	v_add3_u32 v21, v33, v45, v53
	;; [unrolled: 1-line block ×4, first 2 shown]
	s_delay_alu instid0(VALU_DEP_4) | instskip(NEXT) | instid1(VALU_DEP_4)
	v_add3_u32 v13, v20, v13, v36
	v_add3_u32 v20, v21, v27, v54
	s_delay_alu instid0(VALU_DEP_4) | instskip(NEXT) | instid1(VALU_DEP_4)
	v_mul_lo_u32 v11, v11, v22
	v_mul_lo_u32 v21, v12, v35
	s_delay_alu instid0(VALU_DEP_4) | instskip(NEXT) | instid1(VALU_DEP_4)
	v_mul_lo_u32 v22, v13, v10
	v_mul_lo_u32 v23, v20, v42
	s_wait_loadcnt 0x2
	v_cvt_f32_f16_e32 v10, v29
	s_wait_loadcnt 0x0
	v_cvt_f32_f16_e32 v20, v31
	v_cvt_f32_i32_e32 v12, v11
	v_cvt_f32_i32_e32 v13, v21
	v_lshrrev_b32_e32 v21, 16, v30
	v_cvt_f32_i32_e32 v22, v22
	v_cvt_f32_i32_e32 v23, v23
	s_delay_alu instid0(VALU_DEP_4) | instskip(SKIP_2) | instid1(VALU_DEP_3)
	v_pk_fma_f32 v[10:11], v[10:11], v[12:13], 0 op_sel_hi:[0,1,0]
	v_cvt_f32_f16_e32 v12, v30
	v_cvt_f32_f16_e32 v13, v21
	v_pk_fma_f32 v[10:11], v[20:21], v[22:23], v[10:11] op_sel_hi:[0,1,1]
	s_delay_alu instid0(VALU_DEP_1) | instskip(NEXT) | instid1(VALU_DEP_1)
	v_pk_mul_f32 v[10:11], v[10:11], v[12:13]
	v_sub_f32_e32 v10, v10, v11
	s_delay_alu instid0(VALU_DEP_1)
	v_add_f32_e32 v18, v18, v10
	s_and_not1_b32 exec_lo, exec_lo, s5
	s_cbranch_execz .LBB263_8
.LBB263_4:                              ; =>This Inner Loop Header: Depth=1
	v_add_nc_u32_e32 v10, v17, v16
                                        ; implicit-def: $vgpr22
	s_delay_alu instid0(VALU_DEP_1) | instskip(NEXT) | instid1(VALU_DEP_1)
	v_mad_nc_i64_i32 v[10:11], 0x90, v10, s[2:3]
	v_add_nc_u64_e32 v[12:13], v[10:11], v[0:1]
	s_delay_alu instid0(VALU_DEP_1)
	v_add_nc_u64_e32 v[12:13], v[12:13], v[2:3]
	s_clause 0x1
	global_load_b32 v21, v[12:13], off offset:16
	global_load_b32 v20, v[12:13], off offset:32
	s_wait_xcnt 0x0
	v_add_nc_u64_e32 v[12:13], v[10:11], v[6:7]
	s_and_saveexec_b32 s0, vcc_lo
	s_delay_alu instid0(SALU_CYCLE_1)
	s_xor_b32 s0, exec_lo, s0
	s_cbranch_execz .LBB263_6
; %bb.5:                                ;   in Loop: Header=BB263_4 Depth=1
	s_clause 0x2
	global_load_u16 v22, v[12:13], off
	global_load_u16 v23, v[12:13], off offset:8
	global_load_u16 v24, v[12:13], off offset:4
	s_wait_loadcnt 0x1
	s_wait_xcnt 0x0
	v_pk_lshrrev_b16 v12, 4, v23 op_sel:[1,0] op_sel_hi:[0,0]
	s_wait_loadcnt 0x0
	v_perm_b32 v13, v24, v22, 0x5040100
	s_delay_alu instid0(VALU_DEP_2) | instskip(NEXT) | instid1(VALU_DEP_2)
	v_and_b32_e32 v12, 0xf0f0f0f, v12
	v_pk_lshrrev_b16 v13, 2, v13 op_sel_hi:[0,1]
	s_delay_alu instid0(VALU_DEP_1)
	v_and_or_b32 v22, 0x30303030, v13, v12
                                        ; implicit-def: $vgpr12_vgpr13
.LBB263_6:                              ;   in Loop: Header=BB263_4 Depth=1
	s_and_not1_saveexec_b32 s0, s0
	s_cbranch_execz .LBB263_3
; %bb.7:                                ;   in Loop: Header=BB263_4 Depth=1
	s_clause 0x1
	global_load_u16 v22, v[12:13], off offset:4
	global_load_u16 v23, v[12:13], off offset:8
	s_wait_loadcnt 0x0
	v_perm_b32 v12, v23, v22, 0x5040100
	s_delay_alu instid0(VALU_DEP_1)
	v_and_b32_e32 v22, 0x3f3f3f3f, v12
	s_branch .LBB263_3
.LBB263_8:
	s_or_b32 exec_lo, exec_lo, s5
.LBB263_9:
	s_delay_alu instid0(SALU_CYCLE_1) | instskip(SKIP_1) | instid1(VALU_DEP_1)
	s_or_b32 exec_lo, exec_lo, s11
	v_mbcnt_lo_u32_b32 v0, -1, 0
	v_xor_b32_e32 v2, 8, v0
	v_xor_b32_e32 v1, 16, v0
	;; [unrolled: 1-line block ×3, first 2 shown]
	s_delay_alu instid0(VALU_DEP_2) | instskip(SKIP_4) | instid1(VALU_DEP_2)
	v_cmp_gt_i32_e32 vcc_lo, 32, v1
	v_cndmask_b32_e32 v1, v0, v1, vcc_lo
	v_cmp_gt_i32_e32 vcc_lo, 32, v2
	v_cndmask_b32_e32 v2, v0, v2, vcc_lo
	v_cmp_gt_i32_e32 vcc_lo, 32, v3
	v_dual_lshlrev_b32 v2, 2, v2 :: v_dual_lshlrev_b32 v1, 2, v1
	ds_bpermute_b32 v1, v1, v18
	s_wait_dscnt 0x0
	v_add_f32_e32 v1, v18, v1
	ds_bpermute_b32 v2, v2, v1
	s_wait_dscnt 0x0
	v_dual_cndmask_b32 v3, v0, v3, vcc_lo :: v_dual_add_f32 v1, v1, v2
	s_delay_alu instid0(VALU_DEP_1) | instskip(SKIP_3) | instid1(VALU_DEP_1)
	v_lshlrev_b32_e32 v3, 2, v3
	ds_bpermute_b32 v2, v3, v1
	s_wait_dscnt 0x0
	v_dual_add_f32 v1, v1, v2 :: v_dual_bitop2_b32 v3, 2, v0 bitop3:0x14
	v_cmp_gt_i32_e32 vcc_lo, 32, v3
	v_cndmask_b32_e32 v3, v0, v3, vcc_lo
	s_delay_alu instid0(VALU_DEP_1) | instskip(SKIP_2) | instid1(VALU_DEP_1)
	v_lshlrev_b32_e32 v3, 2, v3
	ds_bpermute_b32 v2, v3, v1
	v_xor_b32_e32 v3, 1, v0
	v_cmp_gt_i32_e32 vcc_lo, 32, v3
	v_cndmask_b32_e32 v3, v0, v3, vcc_lo
	v_cmp_eq_u32_e32 vcc_lo, 0, v15
	s_wait_dscnt 0x0
	s_delay_alu instid0(VALU_DEP_2)
	v_dual_add_f32 v0, v1, v2 :: v_dual_lshlrev_b32 v1, 2, v3
	ds_bpermute_b32 v1, v1, v0
	s_and_b32 exec_lo, exec_lo, vcc_lo
	s_cbranch_execz .LBB263_11
; %bb.10:
	v_mad_u32 v2, s6, s10, v14
	s_wait_dscnt 0x0
	v_add_f32_e32 v0, v0, v1
	s_delay_alu instid0(VALU_DEP_1)
	v_cvt_f16_f32_e32 v0, v0
	s_wait_kmcnt 0x0
	global_store_b16 v2, v0, s[8:9] scale_offset
.LBB263_11:
	s_endpgm
	.section	.rodata,"a",@progbits
	.p2align	6, 0x0
	.amdhsa_kernel _ZL9moe_vec_qIN3c104HalfELi256ELi32E10block_q4_KLi2EXadL_ZL17vec_dot_q4_K_q8_1PKvPK10block_q8_1RKiEEEvS4_S4_PT_PS8_iiii
		.amdhsa_group_segment_fixed_size 0
		.amdhsa_private_segment_fixed_size 0
		.amdhsa_kernarg_size 304
		.amdhsa_user_sgpr_count 2
		.amdhsa_user_sgpr_dispatch_ptr 0
		.amdhsa_user_sgpr_queue_ptr 0
		.amdhsa_user_sgpr_kernarg_segment_ptr 1
		.amdhsa_user_sgpr_dispatch_id 0
		.amdhsa_user_sgpr_kernarg_preload_length 0
		.amdhsa_user_sgpr_kernarg_preload_offset 0
		.amdhsa_user_sgpr_private_segment_size 0
		.amdhsa_wavefront_size32 1
		.amdhsa_uses_dynamic_stack 0
		.amdhsa_enable_private_segment 0
		.amdhsa_system_sgpr_workgroup_id_x 1
		.amdhsa_system_sgpr_workgroup_id_y 0
		.amdhsa_system_sgpr_workgroup_id_z 1
		.amdhsa_system_sgpr_workgroup_info 0
		.amdhsa_system_vgpr_workitem_id 1
		.amdhsa_next_free_vgpr 55
		.amdhsa_next_free_sgpr 19
		.amdhsa_named_barrier_count 0
		.amdhsa_reserve_vcc 1
		.amdhsa_float_round_mode_32 0
		.amdhsa_float_round_mode_16_64 0
		.amdhsa_float_denorm_mode_32 3
		.amdhsa_float_denorm_mode_16_64 3
		.amdhsa_fp16_overflow 0
		.amdhsa_memory_ordered 1
		.amdhsa_forward_progress 1
		.amdhsa_inst_pref_size 15
		.amdhsa_round_robin_scheduling 0
		.amdhsa_exception_fp_ieee_invalid_op 0
		.amdhsa_exception_fp_denorm_src 0
		.amdhsa_exception_fp_ieee_div_zero 0
		.amdhsa_exception_fp_ieee_overflow 0
		.amdhsa_exception_fp_ieee_underflow 0
		.amdhsa_exception_fp_ieee_inexact 0
		.amdhsa_exception_int_div_zero 0
	.end_amdhsa_kernel
	.section	.text._ZL9moe_vec_qIN3c104HalfELi256ELi32E10block_q4_KLi2EXadL_ZL17vec_dot_q4_K_q8_1PKvPK10block_q8_1RKiEEEvS4_S4_PT_PS8_iiii,"axG",@progbits,_ZL9moe_vec_qIN3c104HalfELi256ELi32E10block_q4_KLi2EXadL_ZL17vec_dot_q4_K_q8_1PKvPK10block_q8_1RKiEEEvS4_S4_PT_PS8_iiii,comdat
.Lfunc_end263:
	.size	_ZL9moe_vec_qIN3c104HalfELi256ELi32E10block_q4_KLi2EXadL_ZL17vec_dot_q4_K_q8_1PKvPK10block_q8_1RKiEEEvS4_S4_PT_PS8_iiii, .Lfunc_end263-_ZL9moe_vec_qIN3c104HalfELi256ELi32E10block_q4_KLi2EXadL_ZL17vec_dot_q4_K_q8_1PKvPK10block_q8_1RKiEEEvS4_S4_PT_PS8_iiii
                                        ; -- End function
	.set _ZL9moe_vec_qIN3c104HalfELi256ELi32E10block_q4_KLi2EXadL_ZL17vec_dot_q4_K_q8_1PKvPK10block_q8_1RKiEEEvS4_S4_PT_PS8_iiii.num_vgpr, 55
	.set _ZL9moe_vec_qIN3c104HalfELi256ELi32E10block_q4_KLi2EXadL_ZL17vec_dot_q4_K_q8_1PKvPK10block_q8_1RKiEEEvS4_S4_PT_PS8_iiii.num_agpr, 0
	.set _ZL9moe_vec_qIN3c104HalfELi256ELi32E10block_q4_KLi2EXadL_ZL17vec_dot_q4_K_q8_1PKvPK10block_q8_1RKiEEEvS4_S4_PT_PS8_iiii.numbered_sgpr, 19
	.set _ZL9moe_vec_qIN3c104HalfELi256ELi32E10block_q4_KLi2EXadL_ZL17vec_dot_q4_K_q8_1PKvPK10block_q8_1RKiEEEvS4_S4_PT_PS8_iiii.num_named_barrier, 0
	.set _ZL9moe_vec_qIN3c104HalfELi256ELi32E10block_q4_KLi2EXadL_ZL17vec_dot_q4_K_q8_1PKvPK10block_q8_1RKiEEEvS4_S4_PT_PS8_iiii.private_seg_size, 0
	.set _ZL9moe_vec_qIN3c104HalfELi256ELi32E10block_q4_KLi2EXadL_ZL17vec_dot_q4_K_q8_1PKvPK10block_q8_1RKiEEEvS4_S4_PT_PS8_iiii.uses_vcc, 1
	.set _ZL9moe_vec_qIN3c104HalfELi256ELi32E10block_q4_KLi2EXadL_ZL17vec_dot_q4_K_q8_1PKvPK10block_q8_1RKiEEEvS4_S4_PT_PS8_iiii.uses_flat_scratch, 0
	.set _ZL9moe_vec_qIN3c104HalfELi256ELi32E10block_q4_KLi2EXadL_ZL17vec_dot_q4_K_q8_1PKvPK10block_q8_1RKiEEEvS4_S4_PT_PS8_iiii.has_dyn_sized_stack, 0
	.set _ZL9moe_vec_qIN3c104HalfELi256ELi32E10block_q4_KLi2EXadL_ZL17vec_dot_q4_K_q8_1PKvPK10block_q8_1RKiEEEvS4_S4_PT_PS8_iiii.has_recursion, 0
	.set _ZL9moe_vec_qIN3c104HalfELi256ELi32E10block_q4_KLi2EXadL_ZL17vec_dot_q4_K_q8_1PKvPK10block_q8_1RKiEEEvS4_S4_PT_PS8_iiii.has_indirect_call, 0
	.section	.AMDGPU.csdata,"",@progbits
; Kernel info:
; codeLenInByte = 1832
; TotalNumSgprs: 21
; NumVgprs: 55
; ScratchSize: 0
; MemoryBound: 0
; FloatMode: 240
; IeeeMode: 1
; LDSByteSize: 0 bytes/workgroup (compile time only)
; SGPRBlocks: 0
; VGPRBlocks: 3
; NumSGPRsForWavesPerEU: 21
; NumVGPRsForWavesPerEU: 55
; NamedBarCnt: 0
; Occupancy: 16
; WaveLimiterHint : 1
; COMPUTE_PGM_RSRC2:SCRATCH_EN: 0
; COMPUTE_PGM_RSRC2:USER_SGPR: 2
; COMPUTE_PGM_RSRC2:TRAP_HANDLER: 0
; COMPUTE_PGM_RSRC2:TGID_X_EN: 1
; COMPUTE_PGM_RSRC2:TGID_Y_EN: 0
; COMPUTE_PGM_RSRC2:TGID_Z_EN: 1
; COMPUTE_PGM_RSRC2:TIDIG_COMP_CNT: 1
	.section	.text._ZL9moe_vec_qIN3c104HalfELi256ELi32E10block_q5_KLi2EXadL_ZL17vec_dot_q5_K_q8_1PKvPK10block_q8_1RKiEEEvS4_S4_PT_PS8_iiii,"axG",@progbits,_ZL9moe_vec_qIN3c104HalfELi256ELi32E10block_q5_KLi2EXadL_ZL17vec_dot_q5_K_q8_1PKvPK10block_q8_1RKiEEEvS4_S4_PT_PS8_iiii,comdat
	.globl	_ZL9moe_vec_qIN3c104HalfELi256ELi32E10block_q5_KLi2EXadL_ZL17vec_dot_q5_K_q8_1PKvPK10block_q8_1RKiEEEvS4_S4_PT_PS8_iiii ; -- Begin function _ZL9moe_vec_qIN3c104HalfELi256ELi32E10block_q5_KLi2EXadL_ZL17vec_dot_q5_K_q8_1PKvPK10block_q8_1RKiEEEvS4_S4_PT_PS8_iiii
	.p2align	8
	.type	_ZL9moe_vec_qIN3c104HalfELi256ELi32E10block_q5_KLi2EXadL_ZL17vec_dot_q5_K_q8_1PKvPK10block_q8_1RKiEEEvS4_S4_PT_PS8_iiii,@function
_ZL9moe_vec_qIN3c104HalfELi256ELi32E10block_q5_KLi2EXadL_ZL17vec_dot_q5_K_q8_1PKvPK10block_q8_1RKiEEEvS4_S4_PT_PS8_iiii: ; @_ZL9moe_vec_qIN3c104HalfELi256ELi32E10block_q5_KLi2EXadL_ZL17vec_dot_q5_K_q8_1PKvPK10block_q8_1RKiEEEvS4_S4_PT_PS8_iiii
; %bb.0:
	s_clause 0x1
	s_load_u16 s3, s[0:1], 0x3e
	s_load_b128 s[4:7], s[0:1], 0x20
	s_bfe_u32 s2, ttmp6, 0x4000c
	s_and_b32 s8, ttmp6, 15
	s_add_co_i32 s2, s2, 1
	v_bfe_u32 v1, v0, 10, 10
	s_mul_i32 s2, ttmp9, s2
	s_delay_alu instid0(SALU_CYCLE_1) | instskip(SKIP_1) | instid1(SALU_CYCLE_1)
	s_add_co_i32 s8, s8, s2
	s_getreg_b32 s2, hwreg(HW_REG_IB_STS2, 6, 4)
	s_cmp_eq_u32 s2, 0
	s_cselect_b32 s8, ttmp9, s8
	s_wait_kmcnt 0x0
	v_mad_u32 v14, s8, s3, v1
	s_mov_b32 s3, exec_lo
	s_delay_alu instid0(VALU_DEP_1)
	v_cmpx_gt_u32_e64 s6, v14
	s_cbranch_execz .LBB264_11
; %bb.1:
	s_load_b64 s[8:9], s[0:1], 0x10
	s_bfe_u32 s3, ttmp6, 0x40014
	s_lshr_b32 s10, ttmp7, 16
	s_add_co_i32 s3, s3, 1
	s_bfe_u32 s11, ttmp6, 0x40008
	s_mul_i32 s3, s10, s3
	v_bfe_u32 v16, v0, 4, 6
	s_add_co_i32 s11, s11, s3
	s_cmp_eq_u32 s2, 0
	v_and_b32_e32 v15, 0x3ff, v0
	s_cselect_b32 s10, s10, s11
	s_ashr_i32 s2, s5, 31
	v_mov_b32_e32 v18, 0
	s_lshr_b32 s2, s2, 24
	s_mov_b32 s11, exec_lo
	s_add_co_i32 s2, s5, s2
	s_delay_alu instid0(SALU_CYCLE_1) | instskip(NEXT) | instid1(SALU_CYCLE_1)
	s_ashr_i32 s12, s2, 8
	v_cmpx_gt_u32_e64 s12, v16
	s_cbranch_execz .LBB264_9
; %bb.2:
	s_load_b64 s[2:3], s[0:1], 0x18
	s_cvt_f32_u32 s5, s4
	s_sub_co_i32 s16, 0, s4
	s_mul_i32 s14, s12, s6
	v_mul_lo_u32 v17, v14, s12
	v_rcp_iflag_f32_e32 v0, s5
	v_mov_b32_e32 v1, 0
	s_delay_alu instid0(VALU_DEP_1) | instskip(NEXT) | instid1(TRANS32_DEP_1)
	v_dual_mov_b32 v9, v1 :: v_dual_mov_b32 v18, v1
	v_readfirstlane_b32 s5, v0
	v_dual_mov_b32 v3, v1 :: v_dual_lshlrev_b32 v0, 1, v15
	s_mul_f32 s5, s5, 0x4f7ffffe
	s_delay_alu instid0(VALU_DEP_1)
	v_bfe_u32 v6, v0, 3, 2
	s_wait_kmcnt 0x0
	s_load_b32 s13, s[2:3], s10 offset:0x0 scale_offset
	v_and_b32_e32 v4, 30, v0
	s_cvt_u32_f32 s15, s5
	s_wait_xcnt 0x0
	s_load_b128 s[0:3], s[0:1], 0x0
	s_mov_b32 s5, 0
	v_lshlrev_b32_e32 v19, 1, v6
	s_mul_i32 s16, s16, s15
	v_cmp_lt_u32_e32 vcc_lo, 15, v4
	s_mul_hi_u32 s16, s15, s16
	v_dual_lshlrev_b32 v0, 5, v6 :: v_dual_bitop2_b32 v8, 3, v15 bitop3:0x40
	s_add_co_i32 s15, s15, s16
	v_dual_lshlrev_b32 v20, 3, v16 :: v_dual_lshlrev_b32 v6, 1, v6
	s_mul_hi_u32 s16, s10, s15
	s_delay_alu instid0(VALU_DEP_2)
	v_lshlrev_b32_e32 v2, 2, v8
	s_mul_i32 s15, s16, s4
	s_add_co_i32 s17, s16, 1
	s_sub_co_i32 s18, s10, s15
	v_dual_mov_b32 v7, v1 :: v_dual_lshlrev_b32 v8, 2, v8
	s_wait_kmcnt 0x0
	s_mul_i32 s14, s14, s13
	s_sub_co_i32 s13, s18, s4
	s_ashr_i32 s15, s14, 31
	s_cmp_ge_u32 s18, s4
	s_mul_u64 s[14:15], s[14:15], 0xb0
	s_cselect_b32 s16, s17, s16
	s_cselect_b32 s13, s13, s18
	s_add_co_i32 s17, s16, 1
	s_cmp_ge_u32 s13, s4
	s_cselect_b32 s4, s17, s16
	s_delay_alu instid0(SALU_CYCLE_1) | instskip(NEXT) | instid1(SALU_CYCLE_1)
	s_mul_i32 s4, s4, s7
	s_lshl_b64 s[16:17], s[4:5], 2
	s_delay_alu instid0(SALU_CYCLE_1) | instskip(NEXT) | instid1(SALU_CYCLE_1)
	s_add_nc_u64 s[2:3], s[2:3], s[16:17]
	v_mad_nc_u64_u32 v[4:5], v19, 36, s[2:3]
	s_add_nc_u64 s[2:3], s[0:1], s[14:15]
	s_movk_i32 s1, 0xff
	s_branch .LBB264_4
.LBB264_3:                              ;   in Loop: Header=BB264_4 Depth=1
	s_or_b32 exec_lo, exec_lo, s0
	v_mad_nc_i64_i32 v[12:13], v20, 36, v[4:5]
	v_add_nc_u32_e32 v16, 2, v16
	v_add_nc_u32_e32 v20, 16, v20
	s_delay_alu instid0(VALU_DEP_2) | instskip(NEXT) | instid1(VALU_DEP_4)
	v_cmp_le_u32_e64 s0, s12, v16
	v_add_nc_u64_e32 v[26:27], v[12:13], v[8:9]
	s_clause 0x4
	global_load_b32 v28, v[26:27], off offset:4
	global_load_b32 v29, v[26:27], off offset:20
	;; [unrolled: 1-line block ×4, first 2 shown]
	global_load_b32 v32, v[12:13], off
	global_load_b32 v33, v[10:11], off
	global_load_b32 v34, v[12:13], off offset:36
	s_wait_loadcnt 0x7
	s_wait_xcnt 0x0
	v_dual_ashrrev_i32 v11, v19, v25 :: v_dual_ashrrev_i32 v12, v19, v24
	v_and_b32_e32 v13, 0xf0f0f0f, v23
	v_and_b32_e32 v24, 0xf0f0f0f, v22
	v_dual_lshrrev_b32 v23, 4, v23 :: v_dual_lshrrev_b32 v22, 4, v22
	s_delay_alu instid0(VALU_DEP_4) | instskip(SKIP_1) | instid1(VALU_DEP_3)
	v_dual_lshlrev_b32 v26, 4, v12 :: v_dual_lshlrev_b32 v27, 4, v11
	v_dual_lshlrev_b32 v12, 3, v12 :: v_dual_lshlrev_b32 v11, 3, v11
	v_and_b32_e32 v22, 0xf0f0f0f, v22
	s_delay_alu instid0(VALU_DEP_4) | instskip(NEXT) | instid1(VALU_DEP_4)
	v_and_b32_e32 v23, 0xf0f0f0f, v23
	v_and_b32_e32 v27, 0x10101010, v27
	;; [unrolled: 1-line block ×5, first 2 shown]
	v_pk_lshrrev_b16 v10, 8, v21 op_sel_hi:[0,1]
	v_or_b32_e32 v37, v27, v24
	v_bitop3_b32 v24, v27, 31, v24 bitop3:0xc8
	v_or_b32_e32 v27, v11, v22
	v_or_b32_e32 v36, v26, v13
	v_bitop3_b32 v13, v26, 31, v13 bitop3:0xc8
	v_or_b32_e32 v26, v12, v23
	v_bitop3_b32 v11, v11, 31, v22 bitop3:0xc8
	v_dual_lshrrev_b32 v42, 24, v27 :: v_dual_lshrrev_b32 v38, 24, v37
	v_lshrrev_b16 v39, 8, v37
	v_bfe_u32 v37, v37, 16, 5
	v_bitop3_b32 v12, v12, 31, v23 bitop3:0xc8
	v_dual_lshrrev_b32 v40, 24, v26 :: v_dual_lshrrev_b32 v22, 24, v36
	v_lshrrev_b16 v23, 8, v36
	v_bfe_u32 v36, v36, 16, 5
	v_lshrrev_b16 v41, 8, v26
	v_lshrrev_b16 v43, 8, v27
	v_bfe_u32 v27, v27, 16, 5
	v_and_b32_e32 v39, 0xffff, v39
	v_and_b32_e32 v23, 0xffff, v23
	v_bfe_u32 v26, v26, 16, 5
	v_and_b32_e32 v43, 0xffff, v43
	v_and_b32_e32 v41, 0xffff, v41
	;; [unrolled: 1-line block ×3, first 2 shown]
	v_bitop3_b32 v21, v21, s1, 0xff00ff bitop3:0x80
	v_lshrrev_b32_e32 v35, 16, v10
	v_and_b32_e32 v10, 0xff, v10
	s_or_b32 s5, s0, s5
	v_lshrrev_b32_e32 v25, 16, v25
	s_wait_loadcnt 0x6
	v_lshrrev_b16 v44, 8, v28
	s_wait_loadcnt 0x5
	v_bfe_i32 v48, v29, 16, 8
	v_lshrrev_b16 v45, 8, v29
	s_wait_loadcnt 0x4
	v_lshrrev_b16 v46, 8, v30
	v_dual_ashrrev_i32 v47, 24, v29 :: v_dual_ashrrev_i32 v49, 24, v28
	v_bfe_i32 v29, v29, 0, 8
	v_bfe_i32 v50, v28, 0, 8
	;; [unrolled: 1-line block ×3, first 2 shown]
	v_mul_i32_i24_e32 v37, v48, v37
	v_bfe_i32 v44, v44, 0, 8
	s_wait_loadcnt 0x3
	v_dual_ashrrev_i32 v51, 24, v31 :: v_dual_ashrrev_i32 v54, 24, v30
	v_bfe_i32 v52, v31, 16, 8
	v_bfe_i32 v55, v30, 0, 8
	;; [unrolled: 1-line block ×3, first 2 shown]
	v_mul_i32_i24_e32 v24, v29, v24
	v_mul_i32_i24_e32 v38, v47, v38
	v_bfe_i32 v46, v46, 0, 8
	v_mad_i32_i24 v36, v28, v36, v37
	v_add_nc_u32_e32 v37, v50, v44
	v_bfe_i32 v53, v31, 8, 8
	v_bfe_i32 v31, v31, 0, 8
	;; [unrolled: 1-line block ×3, first 2 shown]
	v_mul_i32_i24_e32 v27, v52, v27
	v_mul_i32_i24_e32 v42, v51, v42
	;; [unrolled: 1-line block ×4, first 2 shown]
	v_mad_i32_i24 v13, v50, v13, v24
	v_mad_i32_i24 v22, v49, v22, v38
	v_add_nc_u32_e32 v24, v55, v46
	v_add3_u32 v28, v37, v28, v49
	v_mul_i32_i24_e32 v11, v31, v11
	v_mul_i32_i24_e32 v43, v53, v43
	;; [unrolled: 1-line block ×3, first 2 shown]
	v_mad_i32_i24 v26, v30, v26, v27
	v_mad_i32_i24 v27, v54, v40, v42
	v_add3_u32 v24, v24, v30, v54
	v_add3_u32 v22, v23, v39, v22
	;; [unrolled: 1-line block ×3, first 2 shown]
	v_mad_i32_i24 v11, v55, v12, v11
	v_add3_u32 v12, v38, v43, v27
	v_add3_u32 v24, v24, v51, v31
	;; [unrolled: 1-line block ×4, first 2 shown]
	s_delay_alu instid0(VALU_DEP_4) | instskip(NEXT) | instid1(VALU_DEP_4)
	v_add3_u32 v11, v11, v26, v12
	v_add3_u32 v12, v24, v53, v52
	s_delay_alu instid0(VALU_DEP_4) | instskip(NEXT) | instid1(VALU_DEP_4)
	v_mul_lo_u32 v13, v13, v21
	v_mul_lo_u32 v21, v22, v25
	s_wait_loadcnt 0x0
	v_cvt_f32_f16_e32 v22, v34
	v_mul_lo_u32 v11, v11, v10
	v_mul_lo_u32 v23, v12, v35
	v_cvt_f32_f16_e32 v10, v32
	v_cvt_f32_i32_e32 v12, v13
	v_cvt_f32_i32_e32 v13, v21
	v_lshrrev_b32_e32 v21, 16, v33
	v_cvt_f32_i32_e32 v24, v11
	v_cvt_f32_i32_e32 v25, v23
	s_delay_alu instid0(VALU_DEP_4) | instskip(SKIP_2) | instid1(VALU_DEP_3)
	v_pk_fma_f32 v[10:11], v[10:11], v[12:13], 0 op_sel_hi:[0,1,0]
	v_cvt_f32_f16_e32 v12, v33
	v_cvt_f32_f16_e32 v13, v21
	v_pk_fma_f32 v[10:11], v[22:23], v[24:25], v[10:11] op_sel_hi:[0,1,1]
	s_delay_alu instid0(VALU_DEP_1) | instskip(NEXT) | instid1(VALU_DEP_1)
	v_pk_mul_f32 v[10:11], v[10:11], v[12:13]
	v_sub_f32_e32 v10, v10, v11
	s_delay_alu instid0(VALU_DEP_1)
	v_add_f32_e32 v18, v18, v10
	s_and_not1_b32 exec_lo, exec_lo, s5
	s_cbranch_execz .LBB264_8
.LBB264_4:                              ; =>This Inner Loop Header: Depth=1
	v_add_nc_u32_e32 v10, v17, v16
                                        ; implicit-def: $vgpr21
	s_delay_alu instid0(VALU_DEP_1) | instskip(NEXT) | instid1(VALU_DEP_1)
	v_mad_nc_i64_i32 v[10:11], 0xb0, v10, s[2:3]
	v_add_nc_u64_e32 v[12:13], v[10:11], v[0:1]
	v_add_nc_u64_e32 v[26:27], v[10:11], v[2:3]
	s_delay_alu instid0(VALU_DEP_2)
	v_add_nc_u64_e32 v[12:13], v[12:13], v[2:3]
	s_clause 0x3
	global_load_b32 v23, v[12:13], off offset:48
	global_load_b32 v22, v[12:13], off offset:64
	global_load_b32 v24, v[26:27], off offset:16
	global_load_b32 v25, v[26:27], off offset:32
	s_wait_xcnt 0x2
	v_add_nc_u64_e32 v[12:13], v[10:11], v[6:7]
	s_wait_xcnt 0x0
	s_and_saveexec_b32 s0, vcc_lo
	s_delay_alu instid0(SALU_CYCLE_1)
	s_xor_b32 s0, exec_lo, s0
	s_cbranch_execz .LBB264_6
; %bb.5:                                ;   in Loop: Header=BB264_4 Depth=1
	s_clause 0x2
	global_load_u16 v21, v[12:13], off
	global_load_u16 v26, v[12:13], off offset:8
	global_load_u16 v27, v[12:13], off offset:4
	s_wait_loadcnt 0x1
	s_wait_xcnt 0x0
	v_pk_lshrrev_b16 v12, 4, v26 op_sel:[1,0] op_sel_hi:[0,0]
	s_wait_loadcnt 0x0
	v_perm_b32 v13, v27, v21, 0x5040100
	s_delay_alu instid0(VALU_DEP_2) | instskip(NEXT) | instid1(VALU_DEP_2)
	v_and_b32_e32 v12, 0xf0f0f0f, v12
	v_pk_lshrrev_b16 v13, 2, v13 op_sel_hi:[0,1]
	s_delay_alu instid0(VALU_DEP_1)
	v_and_or_b32 v21, 0x30303030, v13, v12
                                        ; implicit-def: $vgpr12_vgpr13
.LBB264_6:                              ;   in Loop: Header=BB264_4 Depth=1
	s_and_not1_saveexec_b32 s0, s0
	s_cbranch_execz .LBB264_3
; %bb.7:                                ;   in Loop: Header=BB264_4 Depth=1
	s_clause 0x1
	global_load_u16 v21, v[12:13], off offset:4
	global_load_u16 v26, v[12:13], off offset:8
	s_wait_loadcnt 0x0
	v_perm_b32 v12, v26, v21, 0x5040100
	s_delay_alu instid0(VALU_DEP_1)
	v_and_b32_e32 v21, 0x3f3f3f3f, v12
	s_branch .LBB264_3
.LBB264_8:
	s_or_b32 exec_lo, exec_lo, s5
.LBB264_9:
	s_delay_alu instid0(SALU_CYCLE_1) | instskip(SKIP_1) | instid1(VALU_DEP_1)
	s_or_b32 exec_lo, exec_lo, s11
	v_mbcnt_lo_u32_b32 v0, -1, 0
	v_xor_b32_e32 v2, 8, v0
	v_xor_b32_e32 v1, 16, v0
	;; [unrolled: 1-line block ×3, first 2 shown]
	s_delay_alu instid0(VALU_DEP_2) | instskip(SKIP_4) | instid1(VALU_DEP_2)
	v_cmp_gt_i32_e32 vcc_lo, 32, v1
	v_cndmask_b32_e32 v1, v0, v1, vcc_lo
	v_cmp_gt_i32_e32 vcc_lo, 32, v2
	v_cndmask_b32_e32 v2, v0, v2, vcc_lo
	v_cmp_gt_i32_e32 vcc_lo, 32, v3
	v_dual_lshlrev_b32 v2, 2, v2 :: v_dual_lshlrev_b32 v1, 2, v1
	ds_bpermute_b32 v1, v1, v18
	s_wait_dscnt 0x0
	v_add_f32_e32 v1, v18, v1
	ds_bpermute_b32 v2, v2, v1
	s_wait_dscnt 0x0
	v_dual_cndmask_b32 v3, v0, v3, vcc_lo :: v_dual_add_f32 v1, v1, v2
	s_delay_alu instid0(VALU_DEP_1) | instskip(SKIP_3) | instid1(VALU_DEP_1)
	v_lshlrev_b32_e32 v3, 2, v3
	ds_bpermute_b32 v2, v3, v1
	s_wait_dscnt 0x0
	v_dual_add_f32 v1, v1, v2 :: v_dual_bitop2_b32 v3, 2, v0 bitop3:0x14
	v_cmp_gt_i32_e32 vcc_lo, 32, v3
	v_cndmask_b32_e32 v3, v0, v3, vcc_lo
	s_delay_alu instid0(VALU_DEP_1) | instskip(SKIP_2) | instid1(VALU_DEP_1)
	v_lshlrev_b32_e32 v3, 2, v3
	ds_bpermute_b32 v2, v3, v1
	v_xor_b32_e32 v3, 1, v0
	v_cmp_gt_i32_e32 vcc_lo, 32, v3
	v_cndmask_b32_e32 v3, v0, v3, vcc_lo
	v_cmp_eq_u32_e32 vcc_lo, 0, v15
	s_wait_dscnt 0x0
	s_delay_alu instid0(VALU_DEP_2)
	v_dual_add_f32 v0, v1, v2 :: v_dual_lshlrev_b32 v1, 2, v3
	ds_bpermute_b32 v1, v1, v0
	s_and_b32 exec_lo, exec_lo, vcc_lo
	s_cbranch_execz .LBB264_11
; %bb.10:
	v_mad_u32 v2, s6, s10, v14
	s_wait_dscnt 0x0
	v_add_f32_e32 v0, v0, v1
	s_delay_alu instid0(VALU_DEP_1)
	v_cvt_f16_f32_e32 v0, v0
	s_wait_kmcnt 0x0
	global_store_b16 v2, v0, s[8:9] scale_offset
.LBB264_11:
	s_endpgm
	.section	.rodata,"a",@progbits
	.p2align	6, 0x0
	.amdhsa_kernel _ZL9moe_vec_qIN3c104HalfELi256ELi32E10block_q5_KLi2EXadL_ZL17vec_dot_q5_K_q8_1PKvPK10block_q8_1RKiEEEvS4_S4_PT_PS8_iiii
		.amdhsa_group_segment_fixed_size 0
		.amdhsa_private_segment_fixed_size 0
		.amdhsa_kernarg_size 304
		.amdhsa_user_sgpr_count 2
		.amdhsa_user_sgpr_dispatch_ptr 0
		.amdhsa_user_sgpr_queue_ptr 0
		.amdhsa_user_sgpr_kernarg_segment_ptr 1
		.amdhsa_user_sgpr_dispatch_id 0
		.amdhsa_user_sgpr_kernarg_preload_length 0
		.amdhsa_user_sgpr_kernarg_preload_offset 0
		.amdhsa_user_sgpr_private_segment_size 0
		.amdhsa_wavefront_size32 1
		.amdhsa_uses_dynamic_stack 0
		.amdhsa_enable_private_segment 0
		.amdhsa_system_sgpr_workgroup_id_x 1
		.amdhsa_system_sgpr_workgroup_id_y 0
		.amdhsa_system_sgpr_workgroup_id_z 1
		.amdhsa_system_sgpr_workgroup_info 0
		.amdhsa_system_vgpr_workitem_id 1
		.amdhsa_next_free_vgpr 56
		.amdhsa_next_free_sgpr 19
		.amdhsa_named_barrier_count 0
		.amdhsa_reserve_vcc 1
		.amdhsa_float_round_mode_32 0
		.amdhsa_float_round_mode_16_64 0
		.amdhsa_float_denorm_mode_32 3
		.amdhsa_float_denorm_mode_16_64 3
		.amdhsa_fp16_overflow 0
		.amdhsa_memory_ordered 1
		.amdhsa_forward_progress 1
		.amdhsa_inst_pref_size 16
		.amdhsa_round_robin_scheduling 0
		.amdhsa_exception_fp_ieee_invalid_op 0
		.amdhsa_exception_fp_denorm_src 0
		.amdhsa_exception_fp_ieee_div_zero 0
		.amdhsa_exception_fp_ieee_overflow 0
		.amdhsa_exception_fp_ieee_underflow 0
		.amdhsa_exception_fp_ieee_inexact 0
		.amdhsa_exception_int_div_zero 0
	.end_amdhsa_kernel
	.section	.text._ZL9moe_vec_qIN3c104HalfELi256ELi32E10block_q5_KLi2EXadL_ZL17vec_dot_q5_K_q8_1PKvPK10block_q8_1RKiEEEvS4_S4_PT_PS8_iiii,"axG",@progbits,_ZL9moe_vec_qIN3c104HalfELi256ELi32E10block_q5_KLi2EXadL_ZL17vec_dot_q5_K_q8_1PKvPK10block_q8_1RKiEEEvS4_S4_PT_PS8_iiii,comdat
.Lfunc_end264:
	.size	_ZL9moe_vec_qIN3c104HalfELi256ELi32E10block_q5_KLi2EXadL_ZL17vec_dot_q5_K_q8_1PKvPK10block_q8_1RKiEEEvS4_S4_PT_PS8_iiii, .Lfunc_end264-_ZL9moe_vec_qIN3c104HalfELi256ELi32E10block_q5_KLi2EXadL_ZL17vec_dot_q5_K_q8_1PKvPK10block_q8_1RKiEEEvS4_S4_PT_PS8_iiii
                                        ; -- End function
	.set _ZL9moe_vec_qIN3c104HalfELi256ELi32E10block_q5_KLi2EXadL_ZL17vec_dot_q5_K_q8_1PKvPK10block_q8_1RKiEEEvS4_S4_PT_PS8_iiii.num_vgpr, 56
	.set _ZL9moe_vec_qIN3c104HalfELi256ELi32E10block_q5_KLi2EXadL_ZL17vec_dot_q5_K_q8_1PKvPK10block_q8_1RKiEEEvS4_S4_PT_PS8_iiii.num_agpr, 0
	.set _ZL9moe_vec_qIN3c104HalfELi256ELi32E10block_q5_KLi2EXadL_ZL17vec_dot_q5_K_q8_1PKvPK10block_q8_1RKiEEEvS4_S4_PT_PS8_iiii.numbered_sgpr, 19
	.set _ZL9moe_vec_qIN3c104HalfELi256ELi32E10block_q5_KLi2EXadL_ZL17vec_dot_q5_K_q8_1PKvPK10block_q8_1RKiEEEvS4_S4_PT_PS8_iiii.num_named_barrier, 0
	.set _ZL9moe_vec_qIN3c104HalfELi256ELi32E10block_q5_KLi2EXadL_ZL17vec_dot_q5_K_q8_1PKvPK10block_q8_1RKiEEEvS4_S4_PT_PS8_iiii.private_seg_size, 0
	.set _ZL9moe_vec_qIN3c104HalfELi256ELi32E10block_q5_KLi2EXadL_ZL17vec_dot_q5_K_q8_1PKvPK10block_q8_1RKiEEEvS4_S4_PT_PS8_iiii.uses_vcc, 1
	.set _ZL9moe_vec_qIN3c104HalfELi256ELi32E10block_q5_KLi2EXadL_ZL17vec_dot_q5_K_q8_1PKvPK10block_q8_1RKiEEEvS4_S4_PT_PS8_iiii.uses_flat_scratch, 0
	.set _ZL9moe_vec_qIN3c104HalfELi256ELi32E10block_q5_KLi2EXadL_ZL17vec_dot_q5_K_q8_1PKvPK10block_q8_1RKiEEEvS4_S4_PT_PS8_iiii.has_dyn_sized_stack, 0
	.set _ZL9moe_vec_qIN3c104HalfELi256ELi32E10block_q5_KLi2EXadL_ZL17vec_dot_q5_K_q8_1PKvPK10block_q8_1RKiEEEvS4_S4_PT_PS8_iiii.has_recursion, 0
	.set _ZL9moe_vec_qIN3c104HalfELi256ELi32E10block_q5_KLi2EXadL_ZL17vec_dot_q5_K_q8_1PKvPK10block_q8_1RKiEEEvS4_S4_PT_PS8_iiii.has_indirect_call, 0
	.section	.AMDGPU.csdata,"",@progbits
; Kernel info:
; codeLenInByte = 1968
; TotalNumSgprs: 21
; NumVgprs: 56
; ScratchSize: 0
; MemoryBound: 0
; FloatMode: 240
; IeeeMode: 1
; LDSByteSize: 0 bytes/workgroup (compile time only)
; SGPRBlocks: 0
; VGPRBlocks: 3
; NumSGPRsForWavesPerEU: 21
; NumVGPRsForWavesPerEU: 56
; NamedBarCnt: 0
; Occupancy: 16
; WaveLimiterHint : 1
; COMPUTE_PGM_RSRC2:SCRATCH_EN: 0
; COMPUTE_PGM_RSRC2:USER_SGPR: 2
; COMPUTE_PGM_RSRC2:TRAP_HANDLER: 0
; COMPUTE_PGM_RSRC2:TGID_X_EN: 1
; COMPUTE_PGM_RSRC2:TGID_Y_EN: 0
; COMPUTE_PGM_RSRC2:TGID_Z_EN: 1
; COMPUTE_PGM_RSRC2:TIDIG_COMP_CNT: 1
	.section	.text._ZL9moe_vec_qIN3c104HalfELi256ELi32E10block_q6_KLi1EXadL_ZL17vec_dot_q6_K_q8_1PKvPK10block_q8_1RKiEEEvS4_S4_PT_PS8_iiii,"axG",@progbits,_ZL9moe_vec_qIN3c104HalfELi256ELi32E10block_q6_KLi1EXadL_ZL17vec_dot_q6_K_q8_1PKvPK10block_q8_1RKiEEEvS4_S4_PT_PS8_iiii,comdat
	.globl	_ZL9moe_vec_qIN3c104HalfELi256ELi32E10block_q6_KLi1EXadL_ZL17vec_dot_q6_K_q8_1PKvPK10block_q8_1RKiEEEvS4_S4_PT_PS8_iiii ; -- Begin function _ZL9moe_vec_qIN3c104HalfELi256ELi32E10block_q6_KLi1EXadL_ZL17vec_dot_q6_K_q8_1PKvPK10block_q8_1RKiEEEvS4_S4_PT_PS8_iiii
	.p2align	8
	.type	_ZL9moe_vec_qIN3c104HalfELi256ELi32E10block_q6_KLi1EXadL_ZL17vec_dot_q6_K_q8_1PKvPK10block_q8_1RKiEEEvS4_S4_PT_PS8_iiii,@function
_ZL9moe_vec_qIN3c104HalfELi256ELi32E10block_q6_KLi1EXadL_ZL17vec_dot_q6_K_q8_1PKvPK10block_q8_1RKiEEEvS4_S4_PT_PS8_iiii: ; @_ZL9moe_vec_qIN3c104HalfELi256ELi32E10block_q6_KLi1EXadL_ZL17vec_dot_q6_K_q8_1PKvPK10block_q8_1RKiEEEvS4_S4_PT_PS8_iiii
; %bb.0:
	s_clause 0x1
	s_load_u16 s2, s[0:1], 0x3e
	s_load_b128 s[4:7], s[0:1], 0x20
	s_bfe_u32 s3, ttmp6, 0x4000c
	s_and_b32 s8, ttmp6, 15
	s_add_co_i32 s3, s3, 1
	v_bfe_u32 v1, v0, 10, 10
	s_mul_i32 s3, ttmp9, s3
	s_delay_alu instid0(SALU_CYCLE_1) | instskip(SKIP_1) | instid1(SALU_CYCLE_1)
	s_add_co_i32 s3, s8, s3
	s_getreg_b32 s8, hwreg(HW_REG_IB_STS2, 6, 4)
	s_cmp_eq_u32 s8, 0
	s_cselect_b32 s3, ttmp9, s3
	s_wait_kmcnt 0x0
	v_mad_u32 v10, s3, s2, v1
	s_mov_b32 s2, exec_lo
	s_delay_alu instid0(VALU_DEP_1)
	v_cmpx_gt_u32_e64 s6, v10
	s_cbranch_execz .LBB265_7
; %bb.1:
	s_load_b64 s[2:3], s[0:1], 0x10
	s_bfe_u32 s9, ttmp6, 0x40014
	s_lshr_b32 s10, ttmp7, 16
	s_add_co_i32 s9, s9, 1
	s_bfe_u32 s11, ttmp6, 0x40008
	s_mul_i32 s9, s10, s9
	v_bfe_u32 v12, v0, 5, 5
	s_add_co_i32 s11, s11, s9
	s_cmp_eq_u32 s8, 0
	v_and_b32_e32 v11, 0x3ff, v0
	s_cselect_b32 s12, s10, s11
	s_ashr_i32 s8, s5, 31
	v_mov_b32_e32 v13, 0
	s_lshr_b32 s8, s8, 24
	s_mov_b32 s13, exec_lo
	s_add_co_i32 s5, s5, s8
	s_delay_alu instid0(SALU_CYCLE_1) | instskip(NEXT) | instid1(SALU_CYCLE_1)
	s_ashr_i32 s14, s5, 8
	v_cmpx_gt_u32_e64 s14, v12
	s_cbranch_execz .LBB265_5
; %bb.2:
	s_load_b64 s[8:9], s[0:1], 0x18
	s_cvt_f32_u32 s5, s4
	v_mul_lo_u32 v14, v10, s14
	v_dual_lshlrev_b32 v16, 3, v12 :: v_dual_bitop2_b32 v5, 7, v11 bitop3:0x40
	s_delay_alu instid0(SALU_CYCLE_1) | instskip(SKIP_1) | instid1(TRANS32_DEP_1)
	v_rcp_iflag_f32_e32 v0, s5
	v_nop
	v_readfirstlane_b32 s5, v0
	v_and_b32_e32 v0, 31, v11
	s_mul_f32 s5, s5, 0x4f7ffffe
	s_delay_alu instid0(VALU_DEP_1)
	v_add_nc_u32_e32 v1, 0xf0, v0
	v_cmp_lt_u32_e32 vcc_lo, 15, v0
	s_wait_kmcnt 0x0
	s_load_b32 s15, s[8:9], s12 offset:0x0 scale_offset
	s_cvt_u32_f32 s5, s5
	s_wait_xcnt 0x0
	s_sub_co_i32 s8, 0, s4
	v_cndmask_b32_e64 v8, 0, 8, vcc_lo
	s_mul_i32 s16, s8, s5
	s_load_b128 s[8:11], s[0:1], 0x0
	s_wait_xcnt 0x0
	s_mul_hi_u32 s0, s5, s16
	s_mul_i32 s16, s14, s6
	s_add_co_i32 s5, s5, s0
	s_mov_b32 s1, 0
	s_mul_hi_u32 s0, s12, s5
	s_delay_alu instid0(SALU_CYCLE_1)
	s_mul_i32 s5, s0, s4
	s_add_co_i32 s18, s0, 1
	s_sub_co_i32 s5, s12, s5
	s_wait_kmcnt 0x0
	s_mul_i32 s16, s16, s15
	s_sub_co_i32 s15, s5, s4
	s_ashr_i32 s17, s16, 31
	s_cmp_ge_u32 s5, s4
	s_cselect_b32 s0, s18, s0
	s_cselect_b32 s5, s15, s5
	s_add_co_i32 s15, s0, 1
	s_cmp_ge_u32 s5, s4
	s_cselect_b32 s4, s15, s0
	v_cmp_gt_u32_e64 s0, 16, v0
	s_delay_alu instid0(VALU_DEP_1) | instskip(SKIP_3) | instid1(VALU_DEP_2)
	v_cndmask_b32_e64 v4, v1, v0, s0
	s_mul_i32 s0, s4, s7
	v_cndmask_b32_e64 v1, 0, 4, vcc_lo
	s_lshl_b64 s[4:5], s[0:1], 2
	v_and_b32_e32 v2, 0xf8, v4
	s_add_nc_u64 s[4:5], s[10:11], s[4:5]
	v_bfe_u32 v13, v4, 2, 6
	v_mad_nc_u64_u32 v[6:7], v1, 36, s[4:5]
	v_mov_b32_e32 v1, 0
	v_cmp_ne_u32_e32 vcc_lo, 0, v2
	v_dual_lshlrev_b32 v0, 2, v0 :: v_dual_bitop2_b32 v3, v8, v5 bitop3:0x54
	s_delay_alu instid0(VALU_DEP_3) | instskip(SKIP_1) | instid1(VALU_DEP_3)
	v_dual_mov_b32 v5, v1 :: v_dual_lshlrev_b32 v4, 2, v5
	v_cndmask_b32_e64 v9, 0, 1, vcc_lo
	v_dual_mov_b32 v3, v1 :: v_dual_lshlrev_b32 v2, 2, v3
	v_cndmask_b32_e64 v15, 0, 2, vcc_lo
	v_add_nc_u32_e32 v8, v13, v8
	s_delay_alu instid0(VALU_DEP_4) | instskip(SKIP_2) | instid1(SALU_CYCLE_1)
	v_mad_nc_u64_u32 v[6:7], v9, 36, v[6:7]
	v_dual_mov_b32 v9, v1 :: v_dual_mov_b32 v13, v1
	s_mul_u64 s[4:5], s[16:17], 0xd2
	s_add_nc_u64 s[4:5], s[8:9], s[4:5]
.LBB265_3:                              ; =>This Inner Loop Header: Depth=1
	v_add_nc_u32_e32 v17, v14, v12
	s_delay_alu instid0(VALU_DEP_3) | instskip(SKIP_2) | instid1(VALU_DEP_4)
	v_mad_nc_i64_i32 v[18:19], v16, 36, v[6:7]
	v_add_nc_u32_e32 v12, 1, v12
	v_add_nc_u32_e32 v16, 8, v16
	v_mad_nc_i64_i32 v[20:21], 0xd2, v17, s[4:5]
	s_delay_alu instid0(VALU_DEP_3) | instskip(SKIP_2) | instid1(VALU_DEP_3)
	v_cmp_le_u32_e32 vcc_lo, s14, v12
	s_or_b32 s1, vcc_lo, s1
	v_add_nc_u64_e32 v[22:23], v[18:19], v[4:5]
	v_add_nc_u64_e32 v[24:25], v[20:21], v[0:1]
	;; [unrolled: 1-line block ×3, first 2 shown]
	global_load_b32 v17, v[22:23], off offset:4
	s_clause 0x1
	global_load_b32 v28, v[24:25], off
	global_load_b32 v29, v[26:27], off offset:128
	global_load_b32 v30, v[22:23], off offset:76
	s_wait_xcnt 0x0
	v_add_nc_u64_e32 v[22:23], v[20:21], v[8:9]
	s_clause 0x1
	global_load_i8 v24, v[22:23], off offset:192
	global_load_i8 v25, v[22:23], off offset:196
	s_clause 0x1
	global_load_b32 v26, v[18:19], off
	global_load_b32 v27, v[18:19], off offset:72
	global_load_u16 v31, v[20:21], off offset:208
	s_wait_loadcnt 0x8
	s_wait_xcnt 0x1
	v_ashrrev_i32_e32 v19, 24, v17
	s_wait_loadcnt 0x7
	v_and_b32_e32 v32, 0xf0f0f0f, v28
	s_wait_loadcnt 0x6
	v_dual_ashrrev_i32 v29, v15, v29 :: v_dual_lshrrev_b32 v28, 4, v28
	v_lshrrev_b16 v18, 8, v17
	s_wait_xcnt 0x0
	v_bfe_i32 v20, v17, 16, 8
	v_bfe_i32 v17, v17, 0, 8
	v_lshlrev_b32_e32 v33, 4, v29
	v_and_b32_e32 v28, 0xf0f0f0f, v28
	s_wait_loadcnt 0x5
	v_bfe_i32 v22, v30, 0, 8
	v_bfe_i32 v18, v18, 0, 8
	;; [unrolled: 1-line block ×3, first 2 shown]
	v_and_or_b32 v32, 0x30303030, v33, v32
	v_ashrrev_i32_e32 v23, 24, v30
	v_bfe_i32 v30, v30, 16, 8
	s_delay_alu instid0(VALU_DEP_3) | instskip(SKIP_3) | instid1(VALU_DEP_4)
	v_lshrrev_b32_e32 v33, 16, v32
	v_and_or_b32 v28, 0x30303030, v29, v28
	v_lshlrev_b16 v29, 8, v32
	v_and_b32_e32 v32, 0x3f00, v32
	v_lshlrev_b16 v36, 8, v33
	s_delay_alu instid0(VALU_DEP_4)
	v_lshrrev_b32_e32 v34, 16, v28
	v_lshlrev_b16 v35, 8, v28
	v_and_b32_e32 v33, 0x3f00, v33
	v_add_nc_u16 v29, 0xe000, v29
	v_add_nc_u16 v32, 0xe000, v32
	v_lshlrev_b16 v37, 8, v34
	v_add_nc_u16 v35, 0xe000, v35
	v_add_nc_u16 v33, 0xe000, v33
	v_ashrrev_i16 v29, 8, v29
	v_add_nc_u16 v36, 0xe000, v36
	v_add_nc_u16 v37, 0xe000, v37
	v_lshrrev_b16 v35, 8, v35
	v_ashrrev_i16 v33, 8, v33
	v_ashrrev_i16 v32, 8, v32
	;; [unrolled: 1-line block ×3, first 2 shown]
	v_lshrrev_b16 v37, 8, v37
	v_bitop3_b16 v28, v28, v35, 0x3f00 bitop3:0xec
	v_bfe_i32 v29, v29, 0, 16
	v_bfe_i32 v33, v33, 0, 16
	;; [unrolled: 1-line block ×3, first 2 shown]
	v_bitop3_b16 v34, v34, v37, 0x3f00 bitop3:0xec
	v_add_nc_u16 v28, 0xe000, v28
	v_bfe_i32 v35, v36, 0, 16
	v_mul_i32_i24_e32 v17, v29, v17
	v_mul_i32_i24_e32 v19, v33, v19
	v_add_nc_u16 v29, 0xe000, v34
	v_bfe_i32 v33, v28, 0, 8
	v_mul_i32_i24_e32 v20, v35, v20
	v_bfe_i32 v28, v28, 8, 8
	v_mad_i32_i24 v18, v32, v18, v19
	v_bfe_i32 v19, v29, 0, 8
	v_bfe_i32 v29, v29, 8, 8
	v_mul_i32_i24_e32 v22, v22, v33
	s_delay_alu instid0(VALU_DEP_4) | instskip(NEXT) | instid1(VALU_DEP_4)
	v_add3_u32 v17, v17, v20, v18
	v_mul_i32_i24_e32 v18, v30, v19
	s_delay_alu instid0(VALU_DEP_4) | instskip(NEXT) | instid1(VALU_DEP_4)
	v_mul_i32_i24_e32 v19, v23, v29
	v_mad_i32_i24 v20, v21, v28, v22
	s_wait_loadcnt 0x4
	v_mul_lo_u32 v17, v17, v24
	s_delay_alu instid0(VALU_DEP_2) | instskip(SKIP_1) | instid1(VALU_DEP_1)
	v_add3_u32 v18, v20, v18, v19
	s_wait_loadcnt 0x3
	v_mul_lo_u32 v18, v18, v25
	s_delay_alu instid0(VALU_DEP_3) | instskip(SKIP_1) | instid1(VALU_DEP_1)
	v_cvt_f32_i32_e32 v17, v17
	s_wait_loadcnt 0x2
	v_fma_mix_f32 v17, v26, v17, 0 op_sel_hi:[1,0,0]
	s_delay_alu instid0(VALU_DEP_3) | instskip(SKIP_1) | instid1(VALU_DEP_1)
	v_cvt_f32_i32_e32 v18, v18
	s_wait_loadcnt 0x1
	v_fma_mix_f32 v17, v27, v18, v17 op_sel_hi:[1,0,0]
	s_wait_loadcnt 0x0
	s_delay_alu instid0(VALU_DEP_1)
	v_fma_mix_f32 v13, v17, v31, v13 op_sel_hi:[0,1,0]
	s_and_not1_b32 exec_lo, exec_lo, s1
	s_cbranch_execnz .LBB265_3
; %bb.4:
	s_or_b32 exec_lo, exec_lo, s1
.LBB265_5:
	s_delay_alu instid0(SALU_CYCLE_1) | instskip(SKIP_1) | instid1(VALU_DEP_1)
	s_or_b32 exec_lo, exec_lo, s13
	v_mbcnt_lo_u32_b32 v0, -1, 0
	v_xor_b32_e32 v2, 8, v0
	v_xor_b32_e32 v1, 16, v0
	;; [unrolled: 1-line block ×3, first 2 shown]
	s_delay_alu instid0(VALU_DEP_2) | instskip(SKIP_4) | instid1(VALU_DEP_2)
	v_cmp_gt_i32_e32 vcc_lo, 32, v1
	v_cndmask_b32_e32 v1, v0, v1, vcc_lo
	v_cmp_gt_i32_e32 vcc_lo, 32, v2
	v_cndmask_b32_e32 v2, v0, v2, vcc_lo
	v_cmp_gt_i32_e32 vcc_lo, 32, v3
	v_dual_lshlrev_b32 v2, 2, v2 :: v_dual_lshlrev_b32 v1, 2, v1
	ds_bpermute_b32 v1, v1, v13
	s_wait_dscnt 0x0
	v_add_f32_e32 v1, v13, v1
	ds_bpermute_b32 v2, v2, v1
	s_wait_dscnt 0x0
	v_dual_cndmask_b32 v3, v0, v3, vcc_lo :: v_dual_add_f32 v1, v1, v2
	s_delay_alu instid0(VALU_DEP_1) | instskip(SKIP_3) | instid1(VALU_DEP_1)
	v_lshlrev_b32_e32 v3, 2, v3
	ds_bpermute_b32 v2, v3, v1
	s_wait_dscnt 0x0
	v_dual_add_f32 v1, v1, v2 :: v_dual_bitop2_b32 v3, 2, v0 bitop3:0x14
	v_cmp_gt_i32_e32 vcc_lo, 32, v3
	v_cndmask_b32_e32 v3, v0, v3, vcc_lo
	s_delay_alu instid0(VALU_DEP_1) | instskip(SKIP_2) | instid1(VALU_DEP_1)
	v_lshlrev_b32_e32 v3, 2, v3
	ds_bpermute_b32 v2, v3, v1
	v_xor_b32_e32 v3, 1, v0
	v_cmp_gt_i32_e32 vcc_lo, 32, v3
	v_cndmask_b32_e32 v3, v0, v3, vcc_lo
	v_cmp_eq_u32_e32 vcc_lo, 0, v11
	s_wait_dscnt 0x0
	s_delay_alu instid0(VALU_DEP_2)
	v_dual_add_f32 v0, v1, v2 :: v_dual_lshlrev_b32 v1, 2, v3
	ds_bpermute_b32 v1, v1, v0
	s_and_b32 exec_lo, exec_lo, vcc_lo
	s_cbranch_execz .LBB265_7
; %bb.6:
	v_mad_u32 v2, s6, s12, v10
	s_wait_dscnt 0x0
	v_add_f32_e32 v0, v0, v1
	s_delay_alu instid0(VALU_DEP_1)
	v_cvt_f16_f32_e32 v0, v0
	s_wait_kmcnt 0x0
	global_store_b16 v2, v0, s[2:3] scale_offset
.LBB265_7:
	s_endpgm
	.section	.rodata,"a",@progbits
	.p2align	6, 0x0
	.amdhsa_kernel _ZL9moe_vec_qIN3c104HalfELi256ELi32E10block_q6_KLi1EXadL_ZL17vec_dot_q6_K_q8_1PKvPK10block_q8_1RKiEEEvS4_S4_PT_PS8_iiii
		.amdhsa_group_segment_fixed_size 0
		.amdhsa_private_segment_fixed_size 0
		.amdhsa_kernarg_size 304
		.amdhsa_user_sgpr_count 2
		.amdhsa_user_sgpr_dispatch_ptr 0
		.amdhsa_user_sgpr_queue_ptr 0
		.amdhsa_user_sgpr_kernarg_segment_ptr 1
		.amdhsa_user_sgpr_dispatch_id 0
		.amdhsa_user_sgpr_kernarg_preload_length 0
		.amdhsa_user_sgpr_kernarg_preload_offset 0
		.amdhsa_user_sgpr_private_segment_size 0
		.amdhsa_wavefront_size32 1
		.amdhsa_uses_dynamic_stack 0
		.amdhsa_enable_private_segment 0
		.amdhsa_system_sgpr_workgroup_id_x 1
		.amdhsa_system_sgpr_workgroup_id_y 0
		.amdhsa_system_sgpr_workgroup_id_z 1
		.amdhsa_system_sgpr_workgroup_info 0
		.amdhsa_system_vgpr_workitem_id 1
		.amdhsa_next_free_vgpr 38
		.amdhsa_next_free_sgpr 19
		.amdhsa_named_barrier_count 0
		.amdhsa_reserve_vcc 1
		.amdhsa_float_round_mode_32 0
		.amdhsa_float_round_mode_16_64 0
		.amdhsa_float_denorm_mode_32 3
		.amdhsa_float_denorm_mode_16_64 3
		.amdhsa_fp16_overflow 0
		.amdhsa_memory_ordered 1
		.amdhsa_forward_progress 1
		.amdhsa_inst_pref_size 13
		.amdhsa_round_robin_scheduling 0
		.amdhsa_exception_fp_ieee_invalid_op 0
		.amdhsa_exception_fp_denorm_src 0
		.amdhsa_exception_fp_ieee_div_zero 0
		.amdhsa_exception_fp_ieee_overflow 0
		.amdhsa_exception_fp_ieee_underflow 0
		.amdhsa_exception_fp_ieee_inexact 0
		.amdhsa_exception_int_div_zero 0
	.end_amdhsa_kernel
	.section	.text._ZL9moe_vec_qIN3c104HalfELi256ELi32E10block_q6_KLi1EXadL_ZL17vec_dot_q6_K_q8_1PKvPK10block_q8_1RKiEEEvS4_S4_PT_PS8_iiii,"axG",@progbits,_ZL9moe_vec_qIN3c104HalfELi256ELi32E10block_q6_KLi1EXadL_ZL17vec_dot_q6_K_q8_1PKvPK10block_q8_1RKiEEEvS4_S4_PT_PS8_iiii,comdat
.Lfunc_end265:
	.size	_ZL9moe_vec_qIN3c104HalfELi256ELi32E10block_q6_KLi1EXadL_ZL17vec_dot_q6_K_q8_1PKvPK10block_q8_1RKiEEEvS4_S4_PT_PS8_iiii, .Lfunc_end265-_ZL9moe_vec_qIN3c104HalfELi256ELi32E10block_q6_KLi1EXadL_ZL17vec_dot_q6_K_q8_1PKvPK10block_q8_1RKiEEEvS4_S4_PT_PS8_iiii
                                        ; -- End function
	.set _ZL9moe_vec_qIN3c104HalfELi256ELi32E10block_q6_KLi1EXadL_ZL17vec_dot_q6_K_q8_1PKvPK10block_q8_1RKiEEEvS4_S4_PT_PS8_iiii.num_vgpr, 38
	.set _ZL9moe_vec_qIN3c104HalfELi256ELi32E10block_q6_KLi1EXadL_ZL17vec_dot_q6_K_q8_1PKvPK10block_q8_1RKiEEEvS4_S4_PT_PS8_iiii.num_agpr, 0
	.set _ZL9moe_vec_qIN3c104HalfELi256ELi32E10block_q6_KLi1EXadL_ZL17vec_dot_q6_K_q8_1PKvPK10block_q8_1RKiEEEvS4_S4_PT_PS8_iiii.numbered_sgpr, 19
	.set _ZL9moe_vec_qIN3c104HalfELi256ELi32E10block_q6_KLi1EXadL_ZL17vec_dot_q6_K_q8_1PKvPK10block_q8_1RKiEEEvS4_S4_PT_PS8_iiii.num_named_barrier, 0
	.set _ZL9moe_vec_qIN3c104HalfELi256ELi32E10block_q6_KLi1EXadL_ZL17vec_dot_q6_K_q8_1PKvPK10block_q8_1RKiEEEvS4_S4_PT_PS8_iiii.private_seg_size, 0
	.set _ZL9moe_vec_qIN3c104HalfELi256ELi32E10block_q6_KLi1EXadL_ZL17vec_dot_q6_K_q8_1PKvPK10block_q8_1RKiEEEvS4_S4_PT_PS8_iiii.uses_vcc, 1
	.set _ZL9moe_vec_qIN3c104HalfELi256ELi32E10block_q6_KLi1EXadL_ZL17vec_dot_q6_K_q8_1PKvPK10block_q8_1RKiEEEvS4_S4_PT_PS8_iiii.uses_flat_scratch, 0
	.set _ZL9moe_vec_qIN3c104HalfELi256ELi32E10block_q6_KLi1EXadL_ZL17vec_dot_q6_K_q8_1PKvPK10block_q8_1RKiEEEvS4_S4_PT_PS8_iiii.has_dyn_sized_stack, 0
	.set _ZL9moe_vec_qIN3c104HalfELi256ELi32E10block_q6_KLi1EXadL_ZL17vec_dot_q6_K_q8_1PKvPK10block_q8_1RKiEEEvS4_S4_PT_PS8_iiii.has_recursion, 0
	.set _ZL9moe_vec_qIN3c104HalfELi256ELi32E10block_q6_KLi1EXadL_ZL17vec_dot_q6_K_q8_1PKvPK10block_q8_1RKiEEEvS4_S4_PT_PS8_iiii.has_indirect_call, 0
	.section	.AMDGPU.csdata,"",@progbits
; Kernel info:
; codeLenInByte = 1604
; TotalNumSgprs: 21
; NumVgprs: 38
; ScratchSize: 0
; MemoryBound: 0
; FloatMode: 240
; IeeeMode: 1
; LDSByteSize: 0 bytes/workgroup (compile time only)
; SGPRBlocks: 0
; VGPRBlocks: 2
; NumSGPRsForWavesPerEU: 21
; NumVGPRsForWavesPerEU: 38
; NamedBarCnt: 0
; Occupancy: 16
; WaveLimiterHint : 1
; COMPUTE_PGM_RSRC2:SCRATCH_EN: 0
; COMPUTE_PGM_RSRC2:USER_SGPR: 2
; COMPUTE_PGM_RSRC2:TRAP_HANDLER: 0
; COMPUTE_PGM_RSRC2:TGID_X_EN: 1
; COMPUTE_PGM_RSRC2:TGID_Y_EN: 0
; COMPUTE_PGM_RSRC2:TGID_Z_EN: 1
; COMPUTE_PGM_RSRC2:TIDIG_COMP_CNT: 1
	.section	.text._ZL9moe_vec_qIN3c104HalfELi256ELi8E13block_iq2_xxsLi1EXadL_ZL20vec_dot_iq2_xxs_q8_1PKvPK10block_q8_1RKiEEEvS4_S4_PT_PS8_iiii,"axG",@progbits,_ZL9moe_vec_qIN3c104HalfELi256ELi8E13block_iq2_xxsLi1EXadL_ZL20vec_dot_iq2_xxs_q8_1PKvPK10block_q8_1RKiEEEvS4_S4_PT_PS8_iiii,comdat
	.globl	_ZL9moe_vec_qIN3c104HalfELi256ELi8E13block_iq2_xxsLi1EXadL_ZL20vec_dot_iq2_xxs_q8_1PKvPK10block_q8_1RKiEEEvS4_S4_PT_PS8_iiii ; -- Begin function _ZL9moe_vec_qIN3c104HalfELi256ELi8E13block_iq2_xxsLi1EXadL_ZL20vec_dot_iq2_xxs_q8_1PKvPK10block_q8_1RKiEEEvS4_S4_PT_PS8_iiii
	.p2align	8
	.type	_ZL9moe_vec_qIN3c104HalfELi256ELi8E13block_iq2_xxsLi1EXadL_ZL20vec_dot_iq2_xxs_q8_1PKvPK10block_q8_1RKiEEEvS4_S4_PT_PS8_iiii,@function
_ZL9moe_vec_qIN3c104HalfELi256ELi8E13block_iq2_xxsLi1EXadL_ZL20vec_dot_iq2_xxs_q8_1PKvPK10block_q8_1RKiEEEvS4_S4_PT_PS8_iiii: ; @_ZL9moe_vec_qIN3c104HalfELi256ELi8E13block_iq2_xxsLi1EXadL_ZL20vec_dot_iq2_xxs_q8_1PKvPK10block_q8_1RKiEEEvS4_S4_PT_PS8_iiii
; %bb.0:
	s_clause 0x1
	s_load_u16 s3, s[0:1], 0x3e
	s_load_b128 s[8:11], s[0:1], 0x20
	s_bfe_u32 s2, ttmp6, 0x4000c
	s_and_b32 s4, ttmp6, 15
	s_add_co_i32 s2, s2, 1
	v_bfe_u32 v1, v0, 10, 10
	s_mul_i32 s2, ttmp9, s2
	s_delay_alu instid0(SALU_CYCLE_1) | instskip(SKIP_1) | instid1(SALU_CYCLE_1)
	s_add_co_i32 s4, s4, s2
	s_getreg_b32 s2, hwreg(HW_REG_IB_STS2, 6, 4)
	s_cmp_eq_u32 s2, 0
	s_cselect_b32 s4, ttmp9, s4
	s_wait_kmcnt 0x0
	v_mad_u32 v16, s4, s3, v1
	s_mov_b32 s3, exec_lo
	s_delay_alu instid0(VALU_DEP_1)
	v_cmpx_gt_u32_e64 s10, v16
	s_cbranch_execz .LBB266_7
; %bb.1:
	s_load_b64 s[12:13], s[0:1], 0x10
	s_bfe_u32 s3, ttmp6, 0x40014
	s_lshr_b32 s4, ttmp7, 16
	s_add_co_i32 s3, s3, 1
	s_bfe_u32 s5, ttmp6, 0x40008
	s_mul_i32 s3, s4, s3
	v_bfe_u32 v18, v0, 3, 7
	s_add_co_i32 s5, s5, s3
	s_cmp_eq_u32 s2, 0
	v_and_b32_e32 v17, 0x3ff, v0
	s_cselect_b32 s20, s4, s5
	s_ashr_i32 s2, s9, 31
	v_mov_b32_e32 v19, 0
	s_lshr_b32 s2, s2, 24
	s_mov_b32 s21, exec_lo
	s_add_co_i32 s2, s9, s2
	s_delay_alu instid0(SALU_CYCLE_1) | instskip(NEXT) | instid1(SALU_CYCLE_1)
	s_ashr_i32 s22, s2, 8
	v_cmpx_gt_u32_e64 s22, v18
	s_cbranch_execz .LBB266_5
; %bb.2:
	s_load_b64 s[2:3], s[0:1], 0x18
	s_cvt_f32_u32 s4, s8
	v_dual_mov_b32 v11, 0 :: v_dual_bitop2_b32 v1, 7, v17 bitop3:0x40
	v_mul_lo_u32 v20, v16, s22
	s_delay_alu instid0(SALU_CYCLE_1) | instskip(SKIP_3) | instid1(TRANS32_DEP_1)
	v_rcp_iflag_f32_e32 v0, s4
	s_get_pc_i64 s[16:17]
	s_add_nc_u64 s[16:17], s[16:17], _ZL12ksigns_iq2xs@rel64+4
	v_dual_lshlrev_b32 v21, 3, v18 :: v_dual_mov_b32 v19, v11
	v_readfirstlane_b32 s4, v0
	v_lshlrev_b32_e32 v0, 2, v1
	s_delay_alu instid0(VALU_DEP_1)
	v_lshlrev_b32_e32 v10, 1, v0
	s_wait_kmcnt 0x0
	s_load_b32 s5, s[2:3], s20 offset:0x0 scale_offset
	s_wait_xcnt 0x0
	s_mul_f32 s2, s4, 0x4f7ffffe
	s_sub_co_i32 s3, 0, s8
	s_delay_alu instid0(SALU_CYCLE_2) | instskip(NEXT) | instid1(SALU_CYCLE_3)
	s_cvt_u32_f32 s2, s2
	s_mul_i32 s3, s3, s2
	s_delay_alu instid0(SALU_CYCLE_1) | instskip(NEXT) | instid1(SALU_CYCLE_1)
	s_mul_hi_u32 s3, s2, s3
	s_add_co_i32 s4, s2, s3
	s_load_b128 s[0:3], s[0:1], 0x0
	s_mul_hi_u32 s6, s20, s4
	s_mul_i32 s4, s22, s10
	s_mul_i32 s7, s6, s8
	s_add_co_i32 s9, s6, 1
	s_sub_co_i32 s7, s20, s7
	s_wait_kmcnt 0x0
	s_mul_i32 s4, s4, s5
	s_sub_co_i32 s14, s7, s8
	s_ashr_i32 s5, s4, 31
	s_cmp_ge_u32 s7, s8
	s_cselect_b32 s6, s9, s6
	s_cselect_b32 s7, s14, s7
	s_add_co_i32 s14, s6, 1
	s_cmp_ge_u32 s7, s8
	s_mov_b32 s9, 0
	s_cselect_b32 s6, s14, s6
	s_get_pc_i64 s[14:15]
	s_add_nc_u64 s[14:15], s[14:15], _ZL11iq2xxs_grid@rel64+4
	s_mul_i32 s8, s6, s11
	s_delay_alu instid0(SALU_CYCLE_1) | instskip(NEXT) | instid1(SALU_CYCLE_1)
	s_lshl_b64 s[6:7], s[8:9], 2
	s_add_nc_u64 s[2:3], s[2:3], s[6:7]
	s_delay_alu instid0(SALU_CYCLE_1) | instskip(SKIP_1) | instid1(SALU_CYCLE_1)
	v_mad_nc_u64_u32 v[8:9], v1, 36, s[2:3]
	s_mul_u64 s[2:3], s[4:5], 0x42
	s_add_nc_u64 s[18:19], s[0:1], s[2:3]
.LBB266_3:                              ; =>This Inner Loop Header: Depth=1
	v_add_nc_u32_e32 v0, v20, v18
	s_delay_alu instid0(VALU_DEP_2) | instskip(SKIP_1) | instid1(VALU_DEP_3)
	v_mad_nc_i64_i32 v[14:15], v21, 36, v[8:9]
	v_add_nc_u32_e32 v21, 32, v21
	v_mad_nc_i64_i32 v[12:13], 0x42, v0, s[18:19]
	s_clause 0x2
	global_load_b128 v[0:3], v[14:15], off offset:4
	global_load_b128 v[4:7], v[14:15], off offset:20
	global_load_u16 v22, v[14:15], off
	s_wait_xcnt 0x0
	v_add_nc_u64_e32 v[14:15], v[12:13], v[10:11]
	s_clause 0x2
	global_load_b32 v23, v[14:15], off offset:2
	global_load_b32 v24, v[14:15], off offset:6
	global_load_u16 v25, v[12:13], off
	s_wait_loadcnt 0x5
	s_wait_xcnt 0x1
	v_dual_ashrrev_i32 v15, 24, v0 :: v_dual_ashrrev_i32 v33, 24, v2
	v_bfe_i32 v30, v2, 0, 8
	v_bfe_i32 v31, v2, 8, 8
	;; [unrolled: 1-line block ×3, first 2 shown]
	s_wait_xcnt 0x0
	v_bfe_i32 v12, v0, 0, 8
	v_bfe_i32 v13, v0, 8, 8
	;; [unrolled: 1-line block ×6, first 2 shown]
	s_wait_loadcnt 0x2
	v_and_b32_e32 v2, 0xff, v23
	s_wait_loadcnt 0x1
	v_and_b32_e32 v50, 0x7f, v24
	v_ashrrev_i32_e32 v29, 24, v1
	global_load_b64 v[0:1], v2, s[14:15] scale_offset
	global_load_i8 v53, v50, s[16:17]
	v_bfe_i32 v47, v7, 0, 8
	v_bfe_i32 v48, v7, 8, 8
	;; [unrolled: 1-line block ×3, first 2 shown]
	v_dual_ashrrev_i32 v7, 24, v7 :: v_dual_lshrrev_b32 v52, 28, v24
	v_bfe_i32 v34, v3, 0, 8
	v_bfe_i32 v35, v3, 8, 8
	;; [unrolled: 1-line block ×3, first 2 shown]
	v_ashrrev_i32_e32 v37, 24, v3
	v_cvt_f32_ubyte0_e32 v52, v52
	v_dual_lshrrev_b32 v3, 5, v23 :: v_dual_lshrrev_b32 v51, 13, v23
	s_wait_loadcnt 0x2
	v_cvt_f32_f16_e32 v25, v25
	v_bfe_i32 v38, v4, 0, 8
	v_add_f32_e32 v52, 0.5, v52
	s_wait_xcnt 0x1
	v_and_b32_e32 v2, 0x7f8, v3
	v_and_b32_e32 v51, 0x7f8, v51
	v_bfe_i32 v39, v4, 8, 8
	v_bfe_i32 v40, v4, 16, 8
	v_ashrrev_i32_e32 v4, 24, v4
	global_load_b64 v[2:3], v2, s[14:15]
	v_bfe_i32 v41, v5, 0, 8
	v_bfe_i32 v42, v5, 8, 8
	;; [unrolled: 1-line block ×3, first 2 shown]
	v_ashrrev_i32_e32 v5, 24, v5
	v_bfe_i32 v44, v6, 0, 8
	v_bfe_i32 v45, v6, 8, 8
	;; [unrolled: 1-line block ×3, first 2 shown]
	v_ashrrev_i32_e32 v6, 24, v6
	v_cvt_f32_f16_e32 v22, v22
	s_wait_loadcnt 0x2
	v_lshrrev_b32_e32 v54, 24, v1
	v_dual_mul_f32 v25, v52, v25 :: v_dual_lshrrev_b32 v52, 24, v0
	v_and_b32_e32 v55, 0xff, v0
	v_bfe_u32 v57, v0, 8, 8
	v_bfe_u32 v0, v0, 16, 8
	v_and_b32_e32 v59, 0xff, v1
	v_bfe_u32 v60, v1, 8, 8
	v_bfe_u32 v1, v1, 16, 8
	v_mul_i32_i24_e32 v12, v55, v12
	v_mul_i32_i24_e32 v14, v0, v14
	;; [unrolled: 1-line block ×3, first 2 shown]
	s_wait_loadcnt 0x1
	v_and_b32_e32 v61, 4, v53
	v_mul_i32_i24_e32 v28, v1, v28
	global_load_b64 v[0:1], v51, s[14:15]
	v_and_b32_e32 v56, 1, v53
	v_and_b32_e32 v58, 2, v53
	;; [unrolled: 1-line block ×3, first 2 shown]
	v_mul_i32_i24_e32 v15, v52, v15
	v_sub_nc_u32_e32 v63, 0, v12
	v_cmp_eq_u16_e32 vcc_lo, 0, v56
	v_sub_nc_u32_e32 v56, 0, v13
	v_cmp_eq_u16_e64 s0, 0, v58
	v_sub_nc_u32_e32 v58, 0, v14
	v_cmp_eq_u16_e64 s1, 0, v61
	;; [unrolled: 2-line block ×3, first 2 shown]
	v_dual_cndmask_b32 v12, v63, v12, vcc_lo :: v_dual_cndmask_b32 v13, v56, v13, s0
	v_mul_i32_i24_e32 v27, v60, v27
	s_delay_alu instid0(VALU_DEP_3) | instskip(SKIP_1) | instid1(VALU_DEP_4)
	v_dual_cndmask_b32 v14, v58, v14, s1 :: v_dual_cndmask_b32 v15, v61, v15, s2
	v_mul_i32_i24_e32 v26, v59, v26
	v_add_nc_u32_e32 v12, v13, v12
	v_mul_i32_i24_e32 v29, v54, v29
	s_wait_loadcnt 0x0
	s_delay_alu instid0(VALU_DEP_3)
	v_dual_sub_nc_u32 v63, 0, v26 :: v_dual_lshrrev_b32 v51, 24, v0
	v_lshrrev_b32_e32 v55, 24, v1
	v_and_b32_e32 v56, 0xff, v0
	v_bfe_u32 v58, v0, 8, 8
	v_bfe_u32 v13, v0, 16, 8
	v_and_b32_e32 v0, 32, v53
	v_add3_u32 v12, v12, v14, v15
	v_and_b32_e32 v14, 0xff, v1
	v_bfe_u32 v15, v1, 8, 8
	v_bfe_u32 v61, v1, 16, 8
	v_sub_nc_u32_e32 v1, 0, v27
	v_cmp_eq_u16_e32 vcc_lo, 0, v0
	v_and_b32_e32 v0, 16, v53
	v_mul_i32_i24_e32 v38, v56, v38
	v_mul_i32_i24_e32 v39, v58, v39
	;; [unrolled: 1-line block ×4, first 2 shown]
	v_cmp_eq_u16_e64 s0, 0, v0
	v_lshrrev_b32_e32 v0, 21, v23
	v_cndmask_b32_e32 v23, v1, v27, vcc_lo
	v_cmp_gt_u32_e32 vcc_lo, 64, v50
	s_delay_alu instid0(VALU_DEP_4) | instskip(NEXT) | instid1(VALU_DEP_4)
	v_dual_sub_nc_u32 v27, 0, v29 :: v_dual_cndmask_b32 v26, v63, v26, s0
	v_and_b32_e32 v0, 0x7f8, v0
	v_cmp_gt_i16_e64 s0, 0, v53
	v_bfe_u32 v53, v24, 7, 7
	v_mul_i32_i24_e32 v15, v15, v42
	v_add3_u32 v12, v12, v26, v23
	global_load_b64 v[0:1], v0, s[14:15]
	v_lshrrev_b32_e32 v52, 24, v2
	v_and_b32_e32 v57, 0xff, v2
	v_bfe_u32 v59, v2, 8, 8
	v_bfe_u32 v2, v2, 16, 8
	v_lshrrev_b32_e32 v54, 24, v3
	v_mul_i32_i24_e32 v33, v52, v33
	v_mul_i32_i24_e32 v30, v57, v30
	v_bfe_u32 v57, v24, 14, 7
	v_mul_i32_i24_e32 v2, v2, v32
	global_load_i8 v32, v53, s[16:17]
	v_bfe_u32 v24, v24, 21, 7
	v_mul_i32_i24_e32 v31, v59, v31
	global_load_i8 v52, v57, s[16:17]
	v_and_b32_e32 v60, 0xff, v3
	v_bfe_u32 v62, v3, 8, 8
	global_load_i8 v59, v24, s[16:17]
	v_bfe_u32 v3, v3, 16, 8
	v_sub_nc_u32_e32 v26, 0, v28
	v_mul_i32_i24_e32 v34, v60, v34
	v_cndmask_b32_e64 v27, v29, v27, s0
	v_mul_i32_i24_e32 v37, v54, v37
	v_mul_i32_i24_e32 v3, v3, v36
	;; [unrolled: 1-line block ×6, first 2 shown]
	s_wait_loadcnt 0x3
	v_dual_lshrrev_b32 v23, 24, v0 :: v_dual_lshrrev_b32 v50, 24, v1
	v_cndmask_b32_e32 v26, v26, v28, vcc_lo
	v_and_b32_e32 v28, 0xff, v0
	v_bfe_u32 v29, v0, 8, 8
	v_bfe_u32 v0, v0, 16, 8
	v_mul_i32_i24_e32 v7, v50, v7
	v_sub_nc_u32_e32 v50, 0, v30
	v_add3_u32 v12, v12, v26, v27
	v_and_b32_e32 v26, 0xff, v1
	s_wait_loadcnt 0x2
	v_and_b32_e32 v60, 1, v32
	v_and_b32_e32 v36, 2, v32
	;; [unrolled: 1-line block ×4, first 2 shown]
	v_bfe_u32 v27, v1, 8, 8
	v_cmp_eq_u16_e32 vcc_lo, 0, v60
	v_sub_nc_u32_e32 v60, 0, v31
	v_cmp_eq_u16_e64 s0, 0, v36
	v_bfe_u32 v1, v1, 16, 8
	v_and_b32_e32 v58, 16, v32
	v_and_b32_e32 v40, 32, v32
	s_wait_loadcnt 0x1
	v_dual_cndmask_b32 v30, v50, v30, vcc_lo :: v_dual_bitop2_b32 v41, 2, v52 bitop3:0x40
	v_dual_sub_nc_u32 v50, 0, v3 :: v_dual_bitop2_b32 v61, 8, v52 bitop3:0x40
	v_dual_cndmask_b32 v31, v60, v31, s0 :: v_dual_bitop2_b32 v55, 16, v52 bitop3:0x40
	v_sub_nc_u32_e32 v36, 0, v2
	v_cmp_eq_u16_e64 s1, 0, v54
	v_sub_nc_u32_e32 v54, 0, v33
	v_cmp_eq_u16_e64 s2, 0, v56
	v_and_b32_e32 v42, 4, v52
	v_mul_i32_i24_e32 v1, v1, v49
	s_wait_loadcnt 0x0
	v_dual_cndmask_b32 v2, v36, v2, s1 :: v_dual_bitop2_b32 v49, 32, v59 bitop3:0x40
	v_sub_nc_u32_e32 v56, 0, v35
	v_cmp_gt_i16_e64 s4, 0, v32
	v_sub_nc_u32_e32 v32, 0, v39
	v_cmp_eq_u16_e64 s3, 0, v40
	v_cmp_eq_u16_e64 s5, 0, v41
	v_sub_nc_u32_e32 v41, 0, v34
	v_add3_u32 v12, v12, v30, v31
	v_cmp_eq_u16_e32 vcc_lo, 0, v61
	v_dual_sub_nc_u32 v61, 0, v15 :: v_dual_cndmask_b32 v33, v54, v33, s2
	v_cmp_eq_u16_e64 s1, 0, v58
	v_dual_sub_nc_u32 v40, 0, v37 :: v_dual_bitop2_b32 v51, 1, v52 bitop3:0x40
	v_mul_i32_i24_e32 v0, v0, v46
	s_delay_alu instid0(VALU_DEP_3)
	v_dual_cndmask_b32 v35, v56, v35, s3 :: v_dual_cndmask_b32 v34, v41, v34, s1
	v_add3_u32 v2, v12, v2, v33
	v_cmp_gt_u32_e64 s1, 64, v53
	v_mul_i32_i24_e32 v28, v28, v44
	v_dual_sub_nc_u32 v60, 0, v38 :: v_dual_bitop2_b32 v44, 32, v52 bitop3:0x40
	v_mul_i32_i24_e32 v6, v23, v6
	s_delay_alu instid0(VALU_DEP_4)
	v_dual_sub_nc_u32 v12, 0, v0 :: v_dual_cndmask_b32 v3, v50, v3, s1
	v_cndmask_b32_e64 v33, v37, v40, s4
	v_add3_u32 v2, v2, v34, v35
	v_cmp_eq_u16_e64 s1, 0, v51
	v_mul_i32_i24_e32 v29, v29, v45
	v_dual_sub_nc_u32 v30, 0, v13 :: v_dual_bitop2_b32 v45, 1, v59 bitop3:0x40
	v_dual_sub_nc_u32 v31, 0, v4 :: v_dual_bitop2_b32 v46, 2, v59 bitop3:0x40
	v_dual_sub_nc_u32 v34, 0, v6 :: v_dual_cndmask_b32 v32, v32, v39, s5
	v_add3_u32 v2, v2, v3, v33
	v_cmp_eq_u16_e64 s2, 0, v42
	v_cndmask_b32_e64 v35, v60, v38, s1
	v_mul_i32_i24_e32 v26, v26, v47
	v_mul_i32_i24_e32 v27, v27, v48
	v_and_b32_e32 v48, 16, v59
	v_cmp_eq_u16_e64 s0, 0, v44
	v_cmp_eq_u16_e64 s7, 0, v46
	v_dual_sub_nc_u32 v46, 0, v14 :: v_dual_cndmask_b32 v3, v30, v13, s2
	v_cndmask_b32_e32 v4, v31, v4, vcc_lo
	v_add3_u32 v2, v2, v35, v32
	v_cmp_eq_u16_e32 vcc_lo, 0, v55
	v_dual_sub_nc_u32 v44, 0, v5 :: v_dual_bitop2_b32 v23, 4, v59 bitop3:0x40
	v_cmp_gt_i16_e64 s6, 0, v52
	v_dual_sub_nc_u32 v36, 0, v43 :: v_dual_sub_nc_u32 v54, 0, v28
	v_dual_sub_nc_u32 v13, 0, v26 :: v_dual_cndmask_b32 v15, v61, v15, s0
	v_cndmask_b32_e32 v14, v46, v14, vcc_lo
	v_add3_u32 v2, v2, v3, v4
	v_cmp_gt_u32_e32 vcc_lo, 64, v57
	v_dual_sub_nc_u32 v52, 0, v29 :: v_dual_bitop2_b32 v47, 8, v59 bitop3:0x40
	v_dual_sub_nc_u32 v3, 0, v27 :: v_dual_cndmask_b32 v5, v5, v44, s6
	v_cndmask_b32_e32 v4, v36, v43, vcc_lo
	v_add3_u32 v2, v2, v14, v15
	v_cmp_eq_u16_e64 s0, 0, v45
	v_cmp_eq_u16_e64 s1, 0, v47
	v_cndmask_b32_e64 v15, v52, v29, s7
	v_cmp_eq_u16_e32 vcc_lo, 0, v49
	v_add3_u32 v2, v2, v4, v5
	v_cndmask_b32_e64 v14, v54, v28, s0
	v_cmp_eq_u16_e64 s0, 0, v23
	v_dual_sub_nc_u32 v4, 0, v1 :: v_dual_cndmask_b32 v5, v34, v6, s1
	v_sub_nc_u32_e32 v6, 0, v7
	s_delay_alu instid0(VALU_DEP_4) | instskip(NEXT) | instid1(VALU_DEP_4)
	v_add3_u32 v2, v2, v14, v15
	v_cndmask_b32_e64 v0, v12, v0, s0
	v_cmp_eq_u16_e64 s0, 0, v48
	v_cndmask_b32_e32 v3, v3, v27, vcc_lo
	v_cmp_gt_i16_e32 vcc_lo, 0, v59
	s_delay_alu instid0(VALU_DEP_4) | instskip(NEXT) | instid1(VALU_DEP_4)
	v_add3_u32 v0, v2, v0, v5
	v_cndmask_b32_e64 v12, v13, v26, s0
	v_cmp_gt_u32_e64 s0, 64, v24
	v_cndmask_b32_e32 v2, v7, v6, vcc_lo
	s_delay_alu instid0(VALU_DEP_3) | instskip(NEXT) | instid1(VALU_DEP_3)
	v_add3_u32 v0, v0, v12, v3
	v_dual_cndmask_b32 v1, v4, v1, s0 :: v_dual_mul_f32 v3, v25, v22
	v_add_nc_u32_e32 v18, 4, v18
	s_delay_alu instid0(VALU_DEP_2) | instskip(NEXT) | instid1(VALU_DEP_3)
	v_add3_u32 v0, v0, v1, v2
	v_mul_f32_e32 v1, 0x3e800000, v3
	s_delay_alu instid0(VALU_DEP_3) | instskip(NEXT) | instid1(VALU_DEP_3)
	v_cmp_le_u32_e32 vcc_lo, s22, v18
	v_cvt_f32_i32_e32 v0, v0
	s_or_b32 s9, vcc_lo, s9
	s_delay_alu instid0(VALU_DEP_1)
	v_fmac_f32_e32 v19, v1, v0
	s_and_not1_b32 exec_lo, exec_lo, s9
	s_cbranch_execnz .LBB266_3
; %bb.4:
	s_or_b32 exec_lo, exec_lo, s9
.LBB266_5:
	s_delay_alu instid0(SALU_CYCLE_1) | instskip(SKIP_1) | instid1(VALU_DEP_1)
	s_or_b32 exec_lo, exec_lo, s21
	v_mbcnt_lo_u32_b32 v0, -1, 0
	v_xor_b32_e32 v2, 8, v0
	v_xor_b32_e32 v1, 16, v0
	;; [unrolled: 1-line block ×3, first 2 shown]
	s_delay_alu instid0(VALU_DEP_2) | instskip(SKIP_4) | instid1(VALU_DEP_2)
	v_cmp_gt_i32_e32 vcc_lo, 32, v1
	v_cndmask_b32_e32 v1, v0, v1, vcc_lo
	v_cmp_gt_i32_e32 vcc_lo, 32, v2
	v_cndmask_b32_e32 v2, v0, v2, vcc_lo
	v_cmp_gt_i32_e32 vcc_lo, 32, v3
	v_dual_lshlrev_b32 v2, 2, v2 :: v_dual_lshlrev_b32 v1, 2, v1
	ds_bpermute_b32 v1, v1, v19
	s_wait_dscnt 0x0
	v_add_f32_e32 v1, v19, v1
	ds_bpermute_b32 v2, v2, v1
	s_wait_dscnt 0x0
	v_dual_cndmask_b32 v3, v0, v3, vcc_lo :: v_dual_add_f32 v1, v1, v2
	s_delay_alu instid0(VALU_DEP_1) | instskip(SKIP_3) | instid1(VALU_DEP_1)
	v_lshlrev_b32_e32 v3, 2, v3
	ds_bpermute_b32 v2, v3, v1
	s_wait_dscnt 0x0
	v_dual_add_f32 v1, v1, v2 :: v_dual_bitop2_b32 v3, 2, v0 bitop3:0x14
	v_cmp_gt_i32_e32 vcc_lo, 32, v3
	v_cndmask_b32_e32 v3, v0, v3, vcc_lo
	s_delay_alu instid0(VALU_DEP_1) | instskip(SKIP_2) | instid1(VALU_DEP_1)
	v_lshlrev_b32_e32 v3, 2, v3
	ds_bpermute_b32 v2, v3, v1
	v_xor_b32_e32 v3, 1, v0
	v_cmp_gt_i32_e32 vcc_lo, 32, v3
	v_cndmask_b32_e32 v3, v0, v3, vcc_lo
	v_cmp_eq_u32_e32 vcc_lo, 0, v17
	s_wait_dscnt 0x0
	s_delay_alu instid0(VALU_DEP_2)
	v_dual_add_f32 v0, v1, v2 :: v_dual_lshlrev_b32 v1, 2, v3
	ds_bpermute_b32 v1, v1, v0
	s_and_b32 exec_lo, exec_lo, vcc_lo
	s_cbranch_execz .LBB266_7
; %bb.6:
	v_mad_u32 v2, s10, s20, v16
	s_wait_dscnt 0x0
	v_add_f32_e32 v0, v0, v1
	s_delay_alu instid0(VALU_DEP_1)
	v_cvt_f16_f32_e32 v0, v0
	s_wait_kmcnt 0x0
	global_store_b16 v2, v0, s[12:13] scale_offset
.LBB266_7:
	s_endpgm
	.section	.rodata,"a",@progbits
	.p2align	6, 0x0
	.amdhsa_kernel _ZL9moe_vec_qIN3c104HalfELi256ELi8E13block_iq2_xxsLi1EXadL_ZL20vec_dot_iq2_xxs_q8_1PKvPK10block_q8_1RKiEEEvS4_S4_PT_PS8_iiii
		.amdhsa_group_segment_fixed_size 0
		.amdhsa_private_segment_fixed_size 0
		.amdhsa_kernarg_size 304
		.amdhsa_user_sgpr_count 2
		.amdhsa_user_sgpr_dispatch_ptr 0
		.amdhsa_user_sgpr_queue_ptr 0
		.amdhsa_user_sgpr_kernarg_segment_ptr 1
		.amdhsa_user_sgpr_dispatch_id 0
		.amdhsa_user_sgpr_kernarg_preload_length 0
		.amdhsa_user_sgpr_kernarg_preload_offset 0
		.amdhsa_user_sgpr_private_segment_size 0
		.amdhsa_wavefront_size32 1
		.amdhsa_uses_dynamic_stack 0
		.amdhsa_enable_private_segment 0
		.amdhsa_system_sgpr_workgroup_id_x 1
		.amdhsa_system_sgpr_workgroup_id_y 0
		.amdhsa_system_sgpr_workgroup_id_z 1
		.amdhsa_system_sgpr_workgroup_info 0
		.amdhsa_system_vgpr_workitem_id 1
		.amdhsa_next_free_vgpr 64
		.amdhsa_next_free_sgpr 23
		.amdhsa_named_barrier_count 0
		.amdhsa_reserve_vcc 1
		.amdhsa_float_round_mode_32 0
		.amdhsa_float_round_mode_16_64 0
		.amdhsa_float_denorm_mode_32 3
		.amdhsa_float_denorm_mode_16_64 3
		.amdhsa_fp16_overflow 0
		.amdhsa_memory_ordered 1
		.amdhsa_forward_progress 1
		.amdhsa_inst_pref_size 21
		.amdhsa_round_robin_scheduling 0
		.amdhsa_exception_fp_ieee_invalid_op 0
		.amdhsa_exception_fp_denorm_src 0
		.amdhsa_exception_fp_ieee_div_zero 0
		.amdhsa_exception_fp_ieee_overflow 0
		.amdhsa_exception_fp_ieee_underflow 0
		.amdhsa_exception_fp_ieee_inexact 0
		.amdhsa_exception_int_div_zero 0
	.end_amdhsa_kernel
	.section	.text._ZL9moe_vec_qIN3c104HalfELi256ELi8E13block_iq2_xxsLi1EXadL_ZL20vec_dot_iq2_xxs_q8_1PKvPK10block_q8_1RKiEEEvS4_S4_PT_PS8_iiii,"axG",@progbits,_ZL9moe_vec_qIN3c104HalfELi256ELi8E13block_iq2_xxsLi1EXadL_ZL20vec_dot_iq2_xxs_q8_1PKvPK10block_q8_1RKiEEEvS4_S4_PT_PS8_iiii,comdat
.Lfunc_end266:
	.size	_ZL9moe_vec_qIN3c104HalfELi256ELi8E13block_iq2_xxsLi1EXadL_ZL20vec_dot_iq2_xxs_q8_1PKvPK10block_q8_1RKiEEEvS4_S4_PT_PS8_iiii, .Lfunc_end266-_ZL9moe_vec_qIN3c104HalfELi256ELi8E13block_iq2_xxsLi1EXadL_ZL20vec_dot_iq2_xxs_q8_1PKvPK10block_q8_1RKiEEEvS4_S4_PT_PS8_iiii
                                        ; -- End function
	.set _ZL9moe_vec_qIN3c104HalfELi256ELi8E13block_iq2_xxsLi1EXadL_ZL20vec_dot_iq2_xxs_q8_1PKvPK10block_q8_1RKiEEEvS4_S4_PT_PS8_iiii.num_vgpr, 64
	.set _ZL9moe_vec_qIN3c104HalfELi256ELi8E13block_iq2_xxsLi1EXadL_ZL20vec_dot_iq2_xxs_q8_1PKvPK10block_q8_1RKiEEEvS4_S4_PT_PS8_iiii.num_agpr, 0
	.set _ZL9moe_vec_qIN3c104HalfELi256ELi8E13block_iq2_xxsLi1EXadL_ZL20vec_dot_iq2_xxs_q8_1PKvPK10block_q8_1RKiEEEvS4_S4_PT_PS8_iiii.numbered_sgpr, 23
	.set _ZL9moe_vec_qIN3c104HalfELi256ELi8E13block_iq2_xxsLi1EXadL_ZL20vec_dot_iq2_xxs_q8_1PKvPK10block_q8_1RKiEEEvS4_S4_PT_PS8_iiii.num_named_barrier, 0
	.set _ZL9moe_vec_qIN3c104HalfELi256ELi8E13block_iq2_xxsLi1EXadL_ZL20vec_dot_iq2_xxs_q8_1PKvPK10block_q8_1RKiEEEvS4_S4_PT_PS8_iiii.private_seg_size, 0
	.set _ZL9moe_vec_qIN3c104HalfELi256ELi8E13block_iq2_xxsLi1EXadL_ZL20vec_dot_iq2_xxs_q8_1PKvPK10block_q8_1RKiEEEvS4_S4_PT_PS8_iiii.uses_vcc, 1
	.set _ZL9moe_vec_qIN3c104HalfELi256ELi8E13block_iq2_xxsLi1EXadL_ZL20vec_dot_iq2_xxs_q8_1PKvPK10block_q8_1RKiEEEvS4_S4_PT_PS8_iiii.uses_flat_scratch, 0
	.set _ZL9moe_vec_qIN3c104HalfELi256ELi8E13block_iq2_xxsLi1EXadL_ZL20vec_dot_iq2_xxs_q8_1PKvPK10block_q8_1RKiEEEvS4_S4_PT_PS8_iiii.has_dyn_sized_stack, 0
	.set _ZL9moe_vec_qIN3c104HalfELi256ELi8E13block_iq2_xxsLi1EXadL_ZL20vec_dot_iq2_xxs_q8_1PKvPK10block_q8_1RKiEEEvS4_S4_PT_PS8_iiii.has_recursion, 0
	.set _ZL9moe_vec_qIN3c104HalfELi256ELi8E13block_iq2_xxsLi1EXadL_ZL20vec_dot_iq2_xxs_q8_1PKvPK10block_q8_1RKiEEEvS4_S4_PT_PS8_iiii.has_indirect_call, 0
	.section	.AMDGPU.csdata,"",@progbits
; Kernel info:
; codeLenInByte = 2592
; TotalNumSgprs: 25
; NumVgprs: 64
; ScratchSize: 0
; MemoryBound: 0
; FloatMode: 240
; IeeeMode: 1
; LDSByteSize: 0 bytes/workgroup (compile time only)
; SGPRBlocks: 0
; VGPRBlocks: 3
; NumSGPRsForWavesPerEU: 25
; NumVGPRsForWavesPerEU: 64
; NamedBarCnt: 0
; Occupancy: 16
; WaveLimiterHint : 1
; COMPUTE_PGM_RSRC2:SCRATCH_EN: 0
; COMPUTE_PGM_RSRC2:USER_SGPR: 2
; COMPUTE_PGM_RSRC2:TRAP_HANDLER: 0
; COMPUTE_PGM_RSRC2:TGID_X_EN: 1
; COMPUTE_PGM_RSRC2:TGID_Y_EN: 0
; COMPUTE_PGM_RSRC2:TGID_Z_EN: 1
; COMPUTE_PGM_RSRC2:TIDIG_COMP_CNT: 1
	.section	.text._ZL9moe_vec_qIN3c104HalfELi256ELi8E12block_iq2_xsLi1EXadL_ZL19vec_dot_iq2_xs_q8_1PKvPK10block_q8_1RKiEEEvS4_S4_PT_PS8_iiii,"axG",@progbits,_ZL9moe_vec_qIN3c104HalfELi256ELi8E12block_iq2_xsLi1EXadL_ZL19vec_dot_iq2_xs_q8_1PKvPK10block_q8_1RKiEEEvS4_S4_PT_PS8_iiii,comdat
	.globl	_ZL9moe_vec_qIN3c104HalfELi256ELi8E12block_iq2_xsLi1EXadL_ZL19vec_dot_iq2_xs_q8_1PKvPK10block_q8_1RKiEEEvS4_S4_PT_PS8_iiii ; -- Begin function _ZL9moe_vec_qIN3c104HalfELi256ELi8E12block_iq2_xsLi1EXadL_ZL19vec_dot_iq2_xs_q8_1PKvPK10block_q8_1RKiEEEvS4_S4_PT_PS8_iiii
	.p2align	8
	.type	_ZL9moe_vec_qIN3c104HalfELi256ELi8E12block_iq2_xsLi1EXadL_ZL19vec_dot_iq2_xs_q8_1PKvPK10block_q8_1RKiEEEvS4_S4_PT_PS8_iiii,@function
_ZL9moe_vec_qIN3c104HalfELi256ELi8E12block_iq2_xsLi1EXadL_ZL19vec_dot_iq2_xs_q8_1PKvPK10block_q8_1RKiEEEvS4_S4_PT_PS8_iiii: ; @_ZL9moe_vec_qIN3c104HalfELi256ELi8E12block_iq2_xsLi1EXadL_ZL19vec_dot_iq2_xs_q8_1PKvPK10block_q8_1RKiEEEvS4_S4_PT_PS8_iiii
; %bb.0:
	s_clause 0x1
	s_load_u16 s3, s[0:1], 0x3e
	s_load_b128 s[28:31], s[0:1], 0x20
	s_bfe_u32 s2, ttmp6, 0x4000c
	s_and_b32 s4, ttmp6, 15
	s_add_co_i32 s2, s2, 1
	v_bfe_u32 v1, v0, 10, 10
	s_mul_i32 s2, ttmp9, s2
	s_delay_alu instid0(SALU_CYCLE_1) | instskip(SKIP_1) | instid1(SALU_CYCLE_1)
	s_add_co_i32 s4, s4, s2
	s_getreg_b32 s2, hwreg(HW_REG_IB_STS2, 6, 4)
	s_cmp_eq_u32 s2, 0
	s_cselect_b32 s4, ttmp9, s4
	s_wait_kmcnt 0x0
	v_mad_u32 v18, s4, s3, v1
	s_mov_b32 s3, exec_lo
	s_delay_alu instid0(VALU_DEP_1)
	v_cmpx_gt_u32_e64 s30, v18
	s_cbranch_execz .LBB267_7
; %bb.1:
	s_load_b64 s[34:35], s[0:1], 0x10
	s_bfe_u32 s3, ttmp6, 0x40014
	s_lshr_b32 s4, ttmp7, 16
	s_add_co_i32 s3, s3, 1
	s_bfe_u32 s5, ttmp6, 0x40008
	s_mul_i32 s3, s4, s3
	v_bfe_u32 v20, v0, 3, 7
	s_add_co_i32 s5, s5, s3
	s_cmp_eq_u32 s2, 0
	v_and_b32_e32 v19, 0x3ff, v0
	s_cselect_b32 s33, s4, s5
	s_ashr_i32 s2, s29, 31
	v_mov_b32_e32 v21, 0
	s_lshr_b32 s2, s2, 24
	s_mov_b32 s42, exec_lo
	s_add_co_i32 s2, s29, s2
	s_delay_alu instid0(SALU_CYCLE_1) | instskip(NEXT) | instid1(SALU_CYCLE_1)
	s_ashr_i32 s43, s2, 8
	v_cmpx_gt_u32_e64 s43, v20
	s_cbranch_execz .LBB267_5
; %bb.2:
	s_load_b64 s[2:3], s[0:1], 0x18
	s_cvt_f32_u32 s4, s28
	s_mov_b32 s29, 0
	v_dual_mov_b32 v9, 0 :: v_dual_bitop2_b32 v8, 7, v19 bitop3:0x40
	s_delay_alu instid0(SALU_CYCLE_1)
	v_rcp_iflag_f32_e32 v0, s4
	v_mul_lo_u32 v22, v18, s43
	v_lshlrev_b32_e32 v23, 3, v20
	s_get_pc_i64 s[36:37]
	s_add_nc_u64 s[36:37], s[36:37], _ZL10iq2xs_grid@rel64+4
	v_mov_b32_e32 v21, v9
	s_get_pc_i64 s[38:39]
	s_add_nc_u64 s[38:39], s[38:39], _ZL12ksigns_iq2xs@rel64+4
	v_mov_b32_e32 v13, v9
	v_readfirstlane_b32 s4, v0
	v_lshlrev_b32_e32 v0, 2, v8
	s_delay_alu instid0(VALU_DEP_1)
	v_lshlrev_b32_e32 v12, 1, v0
	s_wait_kmcnt 0x0
	s_load_b32 s5, s[2:3], s33 offset:0x0 scale_offset
	s_wait_xcnt 0x0
	s_mul_f32 s2, s4, 0x4f7ffffe
	s_sub_co_i32 s3, 0, s28
	s_delay_alu instid0(SALU_CYCLE_2) | instskip(NEXT) | instid1(SALU_CYCLE_3)
	s_cvt_u32_f32 s2, s2
	s_mul_i32 s3, s3, s2
	s_delay_alu instid0(SALU_CYCLE_1) | instskip(NEXT) | instid1(SALU_CYCLE_1)
	s_mul_hi_u32 s3, s2, s3
	s_add_co_i32 s4, s2, s3
	s_load_b128 s[0:3], s[0:1], 0x0
	s_mul_hi_u32 s6, s33, s4
	s_mul_i32 s4, s43, s30
	s_mul_i32 s7, s6, s28
	s_add_co_i32 s8, s6, 1
	s_sub_co_i32 s7, s33, s7
	s_wait_kmcnt 0x0
	s_mul_i32 s4, s4, s5
	s_sub_co_i32 s9, s7, s28
	s_ashr_i32 s5, s4, 31
	s_cmp_ge_u32 s7, s28
	s_cselect_b32 s6, s8, s6
	s_cselect_b32 s7, s9, s7
	s_add_co_i32 s8, s6, 1
	s_cmp_ge_u32 s7, s28
	s_cselect_b32 s6, s8, s6
	s_delay_alu instid0(SALU_CYCLE_1) | instskip(NEXT) | instid1(SALU_CYCLE_1)
	s_mul_i32 s28, s6, s31
	s_lshl_b64 s[6:7], s[28:29], 2
	s_delay_alu instid0(SALU_CYCLE_1) | instskip(NEXT) | instid1(SALU_CYCLE_1)
	s_add_nc_u64 s[2:3], s[2:3], s[6:7]
	v_mad_nc_u64_u32 v[10:11], v8, 36, s[2:3]
	s_mul_u64 s[2:3], s[4:5], 0x4a
	s_delay_alu instid0(SALU_CYCLE_1)
	s_add_nc_u64 s[40:41], s[0:1], s[2:3]
.LBB267_3:                              ; =>This Inner Loop Header: Depth=1
	v_add_nc_u32_e32 v0, v22, v20
	s_delay_alu instid0(VALU_DEP_2) | instskip(SKIP_1) | instid1(VALU_DEP_3)
	v_mad_nc_i64_i32 v[14:15], v23, 36, v[10:11]
	v_dual_add_nc_u32 v20, 4, v20 :: v_dual_add_nc_u32 v23, 32, v23
	v_mad_nc_i64_i32 v[16:17], 0x4a, v0, s[40:41]
	s_clause 0x2
	global_load_b128 v[0:3], v[14:15], off offset:4
	global_load_b128 v[4:7], v[14:15], off offset:20
	global_load_u16 v25, v[14:15], off
	v_add_nc_u64_e32 v[28:29], v[16:17], v[12:13]
	v_add_nc_u64_e32 v[30:31], v[16:17], v[8:9]
	s_clause 0x2
	global_load_u16 v24, v[16:17], off
	global_load_b64 v[14:15], v[28:29], off offset:2
	global_load_u8 v26, v[30:31], off offset:66
	s_wait_loadcnt 0x5
	v_bfe_i32 v40, v1, 0, 8
	v_bfe_i32 v41, v1, 8, 8
	;; [unrolled: 1-line block ×3, first 2 shown]
	v_dual_ashrrev_i32 v42, 24, v1 :: v_dual_ashrrev_i32 v39, 24, v0
	s_wait_xcnt 0x0
	v_ashrrev_i32_e32 v30, 24, v2
	v_bfe_i32 v27, v2, 0, 8
	v_bfe_i32 v28, v2, 8, 8
	;; [unrolled: 1-line block ×5, first 2 shown]
	s_wait_loadcnt 0x1
	v_and_b32_e32 v56, 0x1ff, v14
	v_and_b32_e32 v57, 0x1ff, v15
	v_bfe_u32 v62, v15, 9, 7
	v_bfe_u32 v53, v14, 9, 7
	s_clause 0x1
	global_load_b64 v[58:59], v56, s[36:37] scale_offset
	global_load_b64 v[60:61], v57, s[36:37] scale_offset
	s_clause 0x1
	global_load_i8 v63, v62, s[38:39]
	; meta instruction
	; meta instruction
	;; [unrolled: 1-line block ×3, first 2 shown]
	global_load_i8 v62, v53, s[38:39]
	v_dual_lshrrev_b32 v1, 16, v15 :: v_dual_lshrrev_b32 v54, 13, v14
	v_bfe_i32 v16, v3, 16, 8
	v_dual_ashrrev_i32 v2, 24, v3 :: v_dual_ashrrev_i32 v50, 24, v4
	v_bfe_i32 v47, v4, 0, 8
	v_bfe_i32 v48, v4, 8, 8
	;; [unrolled: 1-line block ×6, first 2 shown]
	v_dual_ashrrev_i32 v46, 24, v5 :: v_dual_ashrrev_i32 v32, 24, v6
	v_bfe_i32 v35, v6, 0, 8
	v_bfe_i32 v34, v6, 8, 8
	;; [unrolled: 1-line block ×6, first 2 shown]
	v_dual_ashrrev_i32 v4, 24, v7 :: v_dual_lshrrev_b32 v7, 25, v14
	v_lshrrev_b32_e32 v55, 13, v15
	s_wait_xcnt 0x0
	v_and_b32_e32 v53, 0xff8, v54
	v_lshrrev_b32_e32 v36, 25, v15
	v_bfe_i32 v45, v0, 0, 8
	v_bfe_i32 v37, v0, 8, 8
	v_and_b32_e32 v56, 0xff8, v55
	s_clause 0x1
	global_load_b64 v[54:55], v53, s[36:37]
	global_load_b64 v[56:57], v56, s[36:37]
	v_bfe_i32 v38, v0, 16, 8
	v_cmp_gt_i16_e64 s0, 0, v15
	v_lshrrev_b32_e32 v0, 16, v14
	v_cmp_gt_i16_e32 vcc_lo, 0, v14
	v_cmp_gt_i16_e64 s15, 0, v1
	v_cvt_f32_f16_e32 v25, v25
	s_wait_loadcnt 0x5
	v_lshrrev_b32_e32 v64, 24, v58
	s_clause 0x1
	global_load_i8 v36, v36, s[38:39]
	global_load_i8 v7, v7, s[38:39]
	s_wait_xcnt 0x3
	v_bfe_u32 v53, v59, 16, 8
	v_and_b32_e32 v66, 0xff, v58
	v_bfe_u32 v67, v58, 8, 8
	s_wait_loadcnt 0x6
	v_bfe_u32 v69, v61, 16, 8
	v_bfe_u32 v58, v58, 16, 8
	s_wait_loadcnt 0x5
	v_dual_lshrrev_b32 v71, 24, v61 :: v_dual_bitop2_b32 v75, 2, v63 bitop3:0x40
	v_mul_i32_i24_e32 v53, v53, v51
	v_mul_i32_i24_e32 v51, v69, v52
	s_wait_loadcnt 0x4
	v_and_b32_e32 v52, 1, v62
	v_mul_i32_i24_e32 v45, v66, v45
	v_and_b32_e32 v66, 2, v62
	v_mul_i32_i24_e32 v67, v67, v37
	;; [unrolled: 2-line block ×3, first 2 shown]
	v_mul_i32_i24_e32 v46, v71, v46
	v_sub_nc_u32_e32 v71, 0, v53
	v_cmp_eq_u16_e64 s6, 0, v66
	v_dual_lshrrev_b32 v65, 24, v59 :: v_dual_bitop2_b32 v66, 4, v62 bitop3:0x40
	v_lshrrev_b32_e32 v70, 24, v60
	v_bfe_u32 v59, v59, 8, 8
	v_mul_i32_i24_e32 v40, v68, v40
	s_delay_alu instid0(VALU_DEP_4)
	v_cmp_eq_u16_e64 s7, 0, v66
	v_and_b32_e32 v66, 8, v62
	v_and_b32_e32 v72, 0xff, v60
	v_bfe_u32 v73, v60, 8, 8
	v_bfe_u32 v60, v60, 16, 8
	v_and_b32_e32 v74, 0xff, v61
	v_bfe_u32 v61, v61, 8, 8
	v_mul_i32_i24_e32 v41, v59, v41
	v_mul_i32_i24_e32 v37, v65, v42
	v_sub_nc_u32_e32 v80, 0, v40
	v_cmp_eq_u16_e64 s8, 0, v66
	s_wait_loadcnt 0x3
	v_lshrrev_b32_e32 v58, 24, v55
	v_cmp_eq_u16_e64 s5, 0, v52
	v_dual_sub_nc_u32 v52, 0, v67 :: v_dual_bitop2_b32 v66, 16, v62 bitop3:0x40
	v_dual_sub_nc_u32 v81, 0, v41 :: v_dual_bitop2_b32 v76, 4, v63 bitop3:0x40
	v_and_b32_e32 v77, 8, v63
	s_wait_loadcnt 0x2
	v_dual_lshrrev_b32 v68, 24, v57 :: v_dual_bitop2_b32 v78, 1, v63 bitop3:0x40
	v_mul_i32_i24_e32 v39, v64, v39
	v_mul_i32_i24_e32 v42, v72, v47
	;; [unrolled: 1-line block ×5, first 2 shown]
	v_lshrrev_b32_e32 v50, 24, v54
	v_and_b32_e32 v59, 0xff, v54
	v_bfe_u32 v60, v54, 8, 8
	v_bfe_u32 v54, v54, 16, 8
	v_and_b32_e32 v64, 0xff, v55
	v_bfe_u32 v65, v55, 8, 8
	v_bfe_u32 v55, v55, 16, 8
	v_mul_i32_i24_e32 v44, v61, v44
	v_lshrrev_b32_e32 v61, 24, v56
	v_and_b32_e32 v69, 0xff, v56
	v_bfe_u32 v70, v56, 8, 8
	v_bfe_u32 v56, v56, 16, 8
	v_and_b32_e32 v15, 0xff, v57
	v_bfe_u32 v72, v57, 8, 8
	v_bfe_u32 v57, v57, 16, 8
	v_cmp_eq_u16_e64 s9, 0, v66
	v_sub_nc_u32_e32 v66, 0, v37
	v_cmp_gt_i16_e64 s10, 0, v62
	v_dual_sub_nc_u32 v73, 0, v47 :: v_dual_bitop2_b32 v62, 32, v62 bitop3:0x40
	v_cmp_eq_u16_e64 s1, 0, v75
	v_cmp_eq_u16_e64 s2, 0, v76
	v_dual_sub_nc_u32 v75, 0, v49 :: v_dual_sub_nc_u32 v76, 0, v42
	v_cmp_eq_u16_e64 s4, 0, v78
	v_cmp_eq_u16_e64 s11, 0, v62
	v_dual_sub_nc_u32 v83, 0, v44 :: v_dual_bitop2_b32 v62, 16, v63 bitop3:0x40
	v_cmp_gt_i16_e64 s13, 0, v63
	v_mul_i32_i24_e32 v27, v59, v27
	v_mul_i32_i24_e32 v28, v60, v28
	v_and_b32_e32 v63, 32, v63
	v_mul_i32_i24_e32 v29, v54, v29
	v_mul_i32_i24_e32 v30, v50, v30
	;; [unrolled: 1-line block ×14, first 2 shown]
	v_dual_sub_nc_u32 v14, 0, v51 :: v_dual_sub_nc_u32 v74, 0, v48
	v_cmp_eq_u16_e64 s3, 0, v77
	v_dual_sub_nc_u32 v77, 0, v45 :: v_dual_sub_nc_u32 v1, 0, v28
	v_cmp_eq_u16_e64 s14, 0, v63
	v_dual_sub_nc_u32 v63, 0, v6 :: v_dual_cndmask_b32 v47, v73, v47, s1
	v_dual_sub_nc_u32 v78, 0, v38 :: v_dual_sub_nc_u32 v79, 0, v39
	v_sub_nc_u32_e32 v82, 0, v43
	v_cmp_eq_u16_e64 s12, 0, v62
	v_sub_nc_u32_e32 v62, 0, v46
	v_dual_sub_nc_u32 v65, 0, v2 :: v_dual_cndmask_b32 v48, v74, v48, s2
	v_cndmask_b32_e64 v49, v75, v49, s3
	v_dual_cndmask_b32 v45, v77, v45, s5 :: v_dual_cndmask_b32 v52, v52, v67, s6
	v_dual_cndmask_b32 v38, v78, v38, s7 :: v_dual_cndmask_b32 v39, v79, v39, s8
	v_dual_cndmask_b32 v53, v53, v71, vcc_lo :: v_dual_cndmask_b32 v44, v83, v44, s14
	v_dual_cndmask_b32 v37, v37, v66, s10 :: v_dual_cndmask_b32 v43, v82, v43, s12
	v_cndmask_b32_e64 v14, v51, v14, s0
	v_dual_cndmask_b32 v46, v46, v62, s13 :: v_dual_sub_nc_u32 v51, 0, v16
	v_add_nc_u32_e32 v45, v52, v45
	v_dual_cndmask_b32 v40, v80, v40, s9 :: v_dual_cndmask_b32 v41, v81, v41, s11
	v_sub_nc_u32_e32 v64, 0, v3
	v_mul_i32_i24_e32 v4, v68, v4
	s_wait_loadcnt 0x1
	v_and_b32_e32 v56, 1, v36
	s_wait_loadcnt 0x0
	v_and_b32_e32 v50, 2, v7
	v_and_b32_e32 v54, 4, v7
	;; [unrolled: 1-line block ×9, first 2 shown]
	v_cmp_gt_i16_e64 s26, 0, v36
	v_and_b32_e32 v36, 32, v36
	v_cmp_eq_u16_e64 s16, 0, v50
	v_sub_nc_u32_e32 v50, 0, v29
	v_cmp_eq_u16_e64 s17, 0, v54
	v_sub_nc_u32_e32 v54, 0, v30
	;; [unrolled: 2-line block ×8, first 2 shown]
	v_cmp_eq_u16_e64 s27, 0, v36
	v_cndmask_b32_e64 v36, v76, v42, s4
	v_cmp_gt_i16_e64 s1, 0, v7
	v_dual_cndmask_b32 v1, v1, v28, s16 :: v_dual_bitop2_b32 v7, 1, v7 bitop3:0x40
	v_cmp_eq_u16_e64 s24, 0, v57
	s_delay_alu instid0(VALU_DEP_4) | instskip(NEXT) | instid1(VALU_DEP_3)
	v_dual_add_nc_u32 v36, v47, v36 :: v_dual_sub_nc_u32 v47, 0, v27
	v_cmp_eq_u16_e32 vcc_lo, 0, v7
	v_dual_cndmask_b32 v29, v50, v29, s17 :: v_dual_cndmask_b32 v35, v59, v35, s21
	s_delay_alu instid0(VALU_DEP_3) | instskip(SKIP_3) | instid1(VALU_DEP_4)
	v_add3_u32 v36, v36, v48, v49
	v_dual_cndmask_b32 v34, v56, v34, s22 :: v_dual_cndmask_b32 v15, v15, v32, s24
	v_cndmask_b32_e32 v7, v47, v27, vcc_lo
	v_add3_u32 v27, v45, v38, v39
	v_add3_u32 v28, v36, v43, v44
	v_sub_nc_u32_e32 v57, 0, v5
	v_cmp_eq_u16_e64 s25, 0, v61
	v_sub_nc_u32_e32 v61, 0, v4
	v_add3_u32 v27, v27, v40, v41
	v_add3_u32 v14, v28, v14, v46
	v_dual_cndmask_b32 v28, v54, v30, s18 :: v_dual_cndmask_b32 v30, v60, v33, s23
	v_dual_cndmask_b32 v31, v55, v31, s19 :: v_dual_cndmask_b32 v5, v57, v5, s25
	s_delay_alu instid0(VALU_DEP_4) | instskip(NEXT) | instid1(VALU_DEP_4)
	v_add3_u32 v27, v27, v53, v37
	v_add3_u32 v14, v14, v35, v34
	v_cndmask_b32_e64 v3, v64, v3, s27
	v_lshrrev_b16 v42, 4, v26
	v_and_b32_e32 v26, 15, v26
	v_add3_u32 v1, v27, v7, v1
	v_add3_u32 v7, v14, v30, v15
	v_cndmask_b32_e64 v14, v58, v17, s20
	v_dual_cndmask_b32 v6, v6, v63, s15 :: v_dual_cndmask_b32 v4, v4, v61, s26
	s_delay_alu instid0(VALU_DEP_4) | instskip(NEXT) | instid1(VALU_DEP_4)
	v_add3_u32 v1, v1, v29, v28
	v_add3_u32 v3, v7, v5, v3
	v_cmp_gt_i16_e32 vcc_lo, 0, v0
	v_cvt_f32_ubyte0_e32 v42, v42
	v_cndmask_b32_e64 v2, v2, v65, s1
	v_add3_u32 v1, v1, v31, v14
	v_add3_u32 v3, v3, v6, v4
	v_cndmask_b32_e32 v0, v16, v51, vcc_lo
	v_cvt_f32_f16_e32 v4, v24
	v_cvt_f32_ubyte0_e32 v5, v26
	v_add_f32_e32 v6, 0.5, v42
	v_cmp_le_u32_e32 vcc_lo, s43, v20
	v_add3_u32 v0, v1, v0, v2
	v_cvt_f32_i32_e32 v1, v3
	v_mul_f32_e32 v2, v4, v25
	v_add_f32_e32 v3, 0.5, v5
	s_or_b32 s29, vcc_lo, s29
	v_cvt_f32_i32_e32 v0, v0
	s_delay_alu instid0(VALU_DEP_3) | instskip(NEXT) | instid1(VALU_DEP_1)
	v_dual_mul_f32 v1, v6, v1 :: v_dual_mul_f32 v2, 0x3e800000, v2
	v_fmac_f32_e32 v1, v3, v0
	s_delay_alu instid0(VALU_DEP_1)
	v_fmac_f32_e32 v21, v2, v1
	s_and_not1_b32 exec_lo, exec_lo, s29
	s_cbranch_execnz .LBB267_3
; %bb.4:
	s_or_b32 exec_lo, exec_lo, s29
.LBB267_5:
	s_delay_alu instid0(SALU_CYCLE_1) | instskip(SKIP_1) | instid1(VALU_DEP_1)
	s_or_b32 exec_lo, exec_lo, s42
	v_mbcnt_lo_u32_b32 v0, -1, 0
	v_xor_b32_e32 v2, 8, v0
	v_xor_b32_e32 v1, 16, v0
	v_xor_b32_e32 v3, 4, v0
	s_delay_alu instid0(VALU_DEP_2) | instskip(SKIP_4) | instid1(VALU_DEP_2)
	v_cmp_gt_i32_e32 vcc_lo, 32, v1
	v_cndmask_b32_e32 v1, v0, v1, vcc_lo
	v_cmp_gt_i32_e32 vcc_lo, 32, v2
	v_cndmask_b32_e32 v2, v0, v2, vcc_lo
	v_cmp_gt_i32_e32 vcc_lo, 32, v3
	v_dual_lshlrev_b32 v2, 2, v2 :: v_dual_lshlrev_b32 v1, 2, v1
	ds_bpermute_b32 v1, v1, v21
	s_wait_dscnt 0x0
	v_add_f32_e32 v1, v21, v1
	ds_bpermute_b32 v2, v2, v1
	s_wait_dscnt 0x0
	v_dual_cndmask_b32 v3, v0, v3, vcc_lo :: v_dual_add_f32 v1, v1, v2
	s_delay_alu instid0(VALU_DEP_1) | instskip(SKIP_3) | instid1(VALU_DEP_1)
	v_lshlrev_b32_e32 v3, 2, v3
	ds_bpermute_b32 v2, v3, v1
	s_wait_dscnt 0x0
	v_dual_add_f32 v1, v1, v2 :: v_dual_bitop2_b32 v3, 2, v0 bitop3:0x14
	v_cmp_gt_i32_e32 vcc_lo, 32, v3
	v_cndmask_b32_e32 v3, v0, v3, vcc_lo
	s_delay_alu instid0(VALU_DEP_1) | instskip(SKIP_2) | instid1(VALU_DEP_1)
	v_lshlrev_b32_e32 v3, 2, v3
	ds_bpermute_b32 v2, v3, v1
	v_xor_b32_e32 v3, 1, v0
	v_cmp_gt_i32_e32 vcc_lo, 32, v3
	v_cndmask_b32_e32 v3, v0, v3, vcc_lo
	v_cmp_eq_u32_e32 vcc_lo, 0, v19
	s_wait_dscnt 0x0
	s_delay_alu instid0(VALU_DEP_2)
	v_dual_add_f32 v0, v1, v2 :: v_dual_lshlrev_b32 v1, 2, v3
	ds_bpermute_b32 v1, v1, v0
	s_and_b32 exec_lo, exec_lo, vcc_lo
	s_cbranch_execz .LBB267_7
; %bb.6:
	v_mad_u32 v2, s30, s33, v18
	s_wait_dscnt 0x0
	v_add_f32_e32 v0, v0, v1
	s_delay_alu instid0(VALU_DEP_1)
	v_cvt_f16_f32_e32 v0, v0
	s_wait_kmcnt 0x0
	global_store_b16 v2, v0, s[34:35] scale_offset
.LBB267_7:
	s_sendmsg sendmsg(MSG_DEALLOC_VGPRS)
	s_endpgm
	.section	.rodata,"a",@progbits
	.p2align	6, 0x0
	.amdhsa_kernel _ZL9moe_vec_qIN3c104HalfELi256ELi8E12block_iq2_xsLi1EXadL_ZL19vec_dot_iq2_xs_q8_1PKvPK10block_q8_1RKiEEEvS4_S4_PT_PS8_iiii
		.amdhsa_group_segment_fixed_size 0
		.amdhsa_private_segment_fixed_size 0
		.amdhsa_kernarg_size 304
		.amdhsa_user_sgpr_count 2
		.amdhsa_user_sgpr_dispatch_ptr 0
		.amdhsa_user_sgpr_queue_ptr 0
		.amdhsa_user_sgpr_kernarg_segment_ptr 1
		.amdhsa_user_sgpr_dispatch_id 0
		.amdhsa_user_sgpr_kernarg_preload_length 0
		.amdhsa_user_sgpr_kernarg_preload_offset 0
		.amdhsa_user_sgpr_private_segment_size 0
		.amdhsa_wavefront_size32 1
		.amdhsa_uses_dynamic_stack 0
		.amdhsa_enable_private_segment 0
		.amdhsa_system_sgpr_workgroup_id_x 1
		.amdhsa_system_sgpr_workgroup_id_y 0
		.amdhsa_system_sgpr_workgroup_id_z 1
		.amdhsa_system_sgpr_workgroup_info 0
		.amdhsa_system_vgpr_workitem_id 1
		.amdhsa_next_free_vgpr 84
		.amdhsa_next_free_sgpr 44
		.amdhsa_named_barrier_count 0
		.amdhsa_reserve_vcc 1
		.amdhsa_float_round_mode_32 0
		.amdhsa_float_round_mode_16_64 0
		.amdhsa_float_denorm_mode_32 3
		.amdhsa_float_denorm_mode_16_64 3
		.amdhsa_fp16_overflow 0
		.amdhsa_memory_ordered 1
		.amdhsa_forward_progress 1
		.amdhsa_inst_pref_size 21
		.amdhsa_round_robin_scheduling 0
		.amdhsa_exception_fp_ieee_invalid_op 0
		.amdhsa_exception_fp_denorm_src 0
		.amdhsa_exception_fp_ieee_div_zero 0
		.amdhsa_exception_fp_ieee_overflow 0
		.amdhsa_exception_fp_ieee_underflow 0
		.amdhsa_exception_fp_ieee_inexact 0
		.amdhsa_exception_int_div_zero 0
	.end_amdhsa_kernel
	.section	.text._ZL9moe_vec_qIN3c104HalfELi256ELi8E12block_iq2_xsLi1EXadL_ZL19vec_dot_iq2_xs_q8_1PKvPK10block_q8_1RKiEEEvS4_S4_PT_PS8_iiii,"axG",@progbits,_ZL9moe_vec_qIN3c104HalfELi256ELi8E12block_iq2_xsLi1EXadL_ZL19vec_dot_iq2_xs_q8_1PKvPK10block_q8_1RKiEEEvS4_S4_PT_PS8_iiii,comdat
.Lfunc_end267:
	.size	_ZL9moe_vec_qIN3c104HalfELi256ELi8E12block_iq2_xsLi1EXadL_ZL19vec_dot_iq2_xs_q8_1PKvPK10block_q8_1RKiEEEvS4_S4_PT_PS8_iiii, .Lfunc_end267-_ZL9moe_vec_qIN3c104HalfELi256ELi8E12block_iq2_xsLi1EXadL_ZL19vec_dot_iq2_xs_q8_1PKvPK10block_q8_1RKiEEEvS4_S4_PT_PS8_iiii
                                        ; -- End function
	.set _ZL9moe_vec_qIN3c104HalfELi256ELi8E12block_iq2_xsLi1EXadL_ZL19vec_dot_iq2_xs_q8_1PKvPK10block_q8_1RKiEEEvS4_S4_PT_PS8_iiii.num_vgpr, 84
	.set _ZL9moe_vec_qIN3c104HalfELi256ELi8E12block_iq2_xsLi1EXadL_ZL19vec_dot_iq2_xs_q8_1PKvPK10block_q8_1RKiEEEvS4_S4_PT_PS8_iiii.num_agpr, 0
	.set _ZL9moe_vec_qIN3c104HalfELi256ELi8E12block_iq2_xsLi1EXadL_ZL19vec_dot_iq2_xs_q8_1PKvPK10block_q8_1RKiEEEvS4_S4_PT_PS8_iiii.numbered_sgpr, 44
	.set _ZL9moe_vec_qIN3c104HalfELi256ELi8E12block_iq2_xsLi1EXadL_ZL19vec_dot_iq2_xs_q8_1PKvPK10block_q8_1RKiEEEvS4_S4_PT_PS8_iiii.num_named_barrier, 0
	.set _ZL9moe_vec_qIN3c104HalfELi256ELi8E12block_iq2_xsLi1EXadL_ZL19vec_dot_iq2_xs_q8_1PKvPK10block_q8_1RKiEEEvS4_S4_PT_PS8_iiii.private_seg_size, 0
	.set _ZL9moe_vec_qIN3c104HalfELi256ELi8E12block_iq2_xsLi1EXadL_ZL19vec_dot_iq2_xs_q8_1PKvPK10block_q8_1RKiEEEvS4_S4_PT_PS8_iiii.uses_vcc, 1
	.set _ZL9moe_vec_qIN3c104HalfELi256ELi8E12block_iq2_xsLi1EXadL_ZL19vec_dot_iq2_xs_q8_1PKvPK10block_q8_1RKiEEEvS4_S4_PT_PS8_iiii.uses_flat_scratch, 0
	.set _ZL9moe_vec_qIN3c104HalfELi256ELi8E12block_iq2_xsLi1EXadL_ZL19vec_dot_iq2_xs_q8_1PKvPK10block_q8_1RKiEEEvS4_S4_PT_PS8_iiii.has_dyn_sized_stack, 0
	.set _ZL9moe_vec_qIN3c104HalfELi256ELi8E12block_iq2_xsLi1EXadL_ZL19vec_dot_iq2_xs_q8_1PKvPK10block_q8_1RKiEEEvS4_S4_PT_PS8_iiii.has_recursion, 0
	.set _ZL9moe_vec_qIN3c104HalfELi256ELi8E12block_iq2_xsLi1EXadL_ZL19vec_dot_iq2_xs_q8_1PKvPK10block_q8_1RKiEEEvS4_S4_PT_PS8_iiii.has_indirect_call, 0
	.section	.AMDGPU.csdata,"",@progbits
; Kernel info:
; codeLenInByte = 2648
; TotalNumSgprs: 46
; NumVgprs: 84
; ScratchSize: 0
; MemoryBound: 0
; FloatMode: 240
; IeeeMode: 1
; LDSByteSize: 0 bytes/workgroup (compile time only)
; SGPRBlocks: 0
; VGPRBlocks: 5
; NumSGPRsForWavesPerEU: 46
; NumVGPRsForWavesPerEU: 84
; NamedBarCnt: 0
; Occupancy: 10
; WaveLimiterHint : 1
; COMPUTE_PGM_RSRC2:SCRATCH_EN: 0
; COMPUTE_PGM_RSRC2:USER_SGPR: 2
; COMPUTE_PGM_RSRC2:TRAP_HANDLER: 0
; COMPUTE_PGM_RSRC2:TGID_X_EN: 1
; COMPUTE_PGM_RSRC2:TGID_Y_EN: 0
; COMPUTE_PGM_RSRC2:TGID_Z_EN: 1
; COMPUTE_PGM_RSRC2:TIDIG_COMP_CNT: 1
	.section	.text._ZL9moe_vec_qIN3c104HalfELi256ELi8E13block_iq3_xxsLi1EXadL_ZL20vec_dot_iq3_xxs_q8_1PKvPK10block_q8_1RKiEEEvS4_S4_PT_PS8_iiii,"axG",@progbits,_ZL9moe_vec_qIN3c104HalfELi256ELi8E13block_iq3_xxsLi1EXadL_ZL20vec_dot_iq3_xxs_q8_1PKvPK10block_q8_1RKiEEEvS4_S4_PT_PS8_iiii,comdat
	.globl	_ZL9moe_vec_qIN3c104HalfELi256ELi8E13block_iq3_xxsLi1EXadL_ZL20vec_dot_iq3_xxs_q8_1PKvPK10block_q8_1RKiEEEvS4_S4_PT_PS8_iiii ; -- Begin function _ZL9moe_vec_qIN3c104HalfELi256ELi8E13block_iq3_xxsLi1EXadL_ZL20vec_dot_iq3_xxs_q8_1PKvPK10block_q8_1RKiEEEvS4_S4_PT_PS8_iiii
	.p2align	8
	.type	_ZL9moe_vec_qIN3c104HalfELi256ELi8E13block_iq3_xxsLi1EXadL_ZL20vec_dot_iq3_xxs_q8_1PKvPK10block_q8_1RKiEEEvS4_S4_PT_PS8_iiii,@function
_ZL9moe_vec_qIN3c104HalfELi256ELi8E13block_iq3_xxsLi1EXadL_ZL20vec_dot_iq3_xxs_q8_1PKvPK10block_q8_1RKiEEEvS4_S4_PT_PS8_iiii: ; @_ZL9moe_vec_qIN3c104HalfELi256ELi8E13block_iq3_xxsLi1EXadL_ZL20vec_dot_iq3_xxs_q8_1PKvPK10block_q8_1RKiEEEvS4_S4_PT_PS8_iiii
; %bb.0:
	s_clause 0x1
	s_load_u16 s2, s[0:1], 0x3e
	s_load_b128 s[4:7], s[0:1], 0x20
	s_bfe_u32 s3, ttmp6, 0x4000c
	s_and_b32 s8, ttmp6, 15
	s_add_co_i32 s3, s3, 1
	v_bfe_u32 v1, v0, 10, 10
	s_mul_i32 s3, ttmp9, s3
	s_delay_alu instid0(SALU_CYCLE_1) | instskip(SKIP_1) | instid1(SALU_CYCLE_1)
	s_add_co_i32 s3, s8, s3
	s_getreg_b32 s8, hwreg(HW_REG_IB_STS2, 6, 4)
	s_cmp_eq_u32 s8, 0
	s_cselect_b32 s3, ttmp9, s3
	s_wait_kmcnt 0x0
	v_mad_u32 v14, s3, s2, v1
	s_mov_b32 s2, exec_lo
	s_delay_alu instid0(VALU_DEP_1)
	v_cmpx_gt_u32_e64 s6, v14
	s_cbranch_execz .LBB268_9
; %bb.1:
	s_load_b64 s[2:3], s[0:1], 0x10
	s_bfe_u32 s9, ttmp6, 0x40014
	s_lshr_b32 s10, ttmp7, 16
	s_add_co_i32 s9, s9, 1
	s_bfe_u32 s11, ttmp6, 0x40008
	s_mul_i32 s9, s10, s9
	v_bfe_u32 v16, v0, 3, 7
	s_add_co_i32 s11, s11, s9
	s_cmp_eq_u32 s8, 0
	v_and_b32_e32 v15, 0x3ff, v0
	s_cselect_b32 s14, s10, s11
	s_ashr_i32 s8, s5, 31
	v_mov_b32_e32 v18, 0
	s_lshr_b32 s8, s8, 24
	s_mov_b32 s15, exec_lo
	s_add_co_i32 s5, s5, s8
	s_delay_alu instid0(SALU_CYCLE_1) | instskip(NEXT) | instid1(SALU_CYCLE_1)
	s_ashr_i32 s16, s5, 8
	v_cmpx_gt_u32_e64 s16, v16
	s_cbranch_execz .LBB268_7
; %bb.2:
	s_load_b64 s[8:9], s[0:1], 0x18
	s_cvt_f32_u32 s5, s4
	v_dual_mov_b32 v1, 0 :: v_dual_bitop2_b32 v6, 7, v15 bitop3:0x40
	v_mul_lo_u32 v17, v14, s16
	s_delay_alu instid0(SALU_CYCLE_1) | instskip(NEXT) | instid1(VALU_DEP_2)
	v_rcp_iflag_f32_e32 v0, s5
	v_dual_mov_b32 v18, v1 :: v_dual_lshlrev_b32 v19, 3, v16
	s_delay_alu instid0(TRANS32_DEP_1) | instskip(NEXT) | instid1(VALU_DEP_3)
	v_readfirstlane_b32 s5, v0
	v_dual_lshlrev_b32 v0, 3, v6 :: v_dual_add_nc_u32 v20, v16, v17
	s_mul_f32 s5, s5, 0x4f7ffffe
	s_wait_kmcnt 0x0
	s_load_b32 s12, s[8:9], s14 offset:0x0 scale_offset
	s_delay_alu instid0(SALU_CYCLE_1) | instskip(SKIP_2) | instid1(SALU_CYCLE_1)
	s_cvt_u32_f32 s5, s5
	s_wait_xcnt 0x0
	s_sub_co_i32 s8, 0, s4
	s_mul_i32 s8, s8, s5
	s_delay_alu instid0(SALU_CYCLE_1) | instskip(NEXT) | instid1(SALU_CYCLE_1)
	s_mul_hi_u32 s8, s5, s8
	s_add_co_i32 s5, s5, s8
	s_load_b128 s[8:11], s[0:1], 0x0
	s_wait_xcnt 0x0
	s_mul_hi_u32 s0, s14, s5
	s_mul_i32 s1, s16, s6
	s_mul_i32 s5, s0, s4
	s_add_co_i32 s17, s0, 1
	s_sub_co_i32 s5, s14, s5
	s_delay_alu instid0(SALU_CYCLE_1)
	s_sub_co_i32 s18, s5, s4
	s_wait_kmcnt 0x0
	s_mul_i32 s12, s1, s12
	s_mov_b32 s1, 0
	s_ashr_i32 s13, s12, 31
	s_cmp_ge_u32 s5, s4
	s_cselect_b32 s0, s17, s0
	s_cselect_b32 s5, s18, s5
	s_add_co_i32 s17, s0, 1
	s_cmp_ge_u32 s5, s4
	s_cselect_b32 s0, s17, s0
	s_delay_alu instid0(SALU_CYCLE_1) | instskip(NEXT) | instid1(SALU_CYCLE_1)
	s_mul_i32 s0, s0, s7
	s_lshl_b64 s[4:5], s[0:1], 2
	s_delay_alu instid0(SALU_CYCLE_1)
	s_add_nc_u64 s[4:5], s[10:11], s[4:5]
	s_mul_u64 s[10:11], s[12:13], 0x62
	v_mad_nc_u64_u32 v[2:3], v6, 36, s[4:5]
	s_add_nc_u64 s[4:5], s[8:9], s[10:11]
	s_get_pc_i64 s[8:9]
	s_add_nc_u64 s[8:9], s[8:9], _ZL11iq3xxs_grid@rel64+4
	v_add_nc_u64_e32 v[4:5], s[4:5], v[0:1]
	v_lshlrev_b32_e32 v0, 1, v6
	s_get_pc_i64 s[10:11]
	s_add_nc_u64 s[10:11], s[10:11], _ZL8ksigns64@rel64+4
	s_delay_alu instid0(VALU_DEP_1) | instskip(NEXT) | instid1(VALU_DEP_3)
	v_lshlrev_b32_e32 v0, 1, v0
	v_add_nc_u64_e32 v[4:5], 2, v[4:5]
	v_add_nc_u64_e32 v[6:7], 4, v[2:3]
.LBB268_3:                              ; =>This Loop Header: Depth=1
                                        ;     Child Loop BB268_4 Depth 2
	v_dual_mov_b32 v21, 0 :: v_dual_add_nc_u32 v8, v16, v17
	s_delay_alu instid0(VALU_DEP_3) | instskip(SKIP_1) | instid1(VALU_DEP_2)
	v_mad_nc_i64_i32 v[12:13], 0x62, v20, v[4:5]
	s_mov_b64 s[12:13], 0
	v_mad_nc_i64_i32 v[8:9], 0x62, v8, s[4:5]
	s_delay_alu instid0(VALU_DEP_1)
	v_add_nc_u64_e32 v[10:11], v[8:9], v[0:1]
	global_load_b32 v22, v[10:11], off offset:66
	s_wait_xcnt 0x0
	v_mad_nc_i64_i32 v[10:11], v19, 36, v[6:7]
.LBB268_4:                              ;   Parent Loop BB268_3 Depth=1
                                        ; =>  This Inner Loop Header: Depth=2
	global_load_u16 v23, v[12:13], off
	s_wait_loadcnt 0x1
	v_and_b32_e32 v26, 0x7f, v22
	v_add_nc_u64_e32 v[24:25], s[12:13], v[10:11]
	s_wait_xcnt 0x0
	v_add_nc_u64_e32 v[12:13], 2, v[12:13]
	v_lshrrev_b32_e32 v22, 7, v22
	s_add_nc_u64 s[12:13], s[12:13], 8
	global_load_b64 v[26:27], v26, s[10:11] scale_offset
	s_cmp_lg_u32 s12, 32
	s_wait_loadcnt 0x1
	v_lshrrev_b16 v28, 8, v23
	v_and_b32_e32 v23, 0xff, v23
	s_delay_alu instid0(VALU_DEP_2)
	v_and_b32_e32 v30, 0xffff, v28
	s_wait_loadcnt 0x0
	v_and_b32_e32 v33, 0xff0000, v27
	v_and_b32_e32 v34, 0xff00, v27
	s_clause 0x1
	global_load_b32 v31, v23, s[8:9] scale_offset
	global_load_b32 v32, v30, s[8:9] scale_offset
	global_load_b64 v[28:29], v[24:25], off
	s_wait_xcnt 0x0
	v_and_b32_e32 v24, 0xff0000, v26
	v_and_b32_e32 v23, 0xff000000, v26
	;; [unrolled: 1-line block ×4, first 2 shown]
	s_wait_loadcnt 0x1
	v_xor_b32_e32 v32, v27, v32
	v_xor_b32_e32 v31, v26, v31
	s_wait_loadcnt 0x0
	v_lshrrev_b16 v35, 8, v28
	v_lshrrev_b16 v36, 8, v29
	v_dual_ashrrev_i32 v37, 24, v28 :: v_dual_ashrrev_i32 v39, 24, v29
	v_dual_sub_nc_u32 v24, v31, v24 :: v_dual_sub_nc_u32 v26, v31, v26
	v_bfe_i32 v38, v28, 16, 8
	v_bfe_i32 v28, v28, 0, 8
	;; [unrolled: 1-line block ×4, first 2 shown]
	v_perm_b32 v24, v24, v26, 0xc060c00
	v_dual_sub_nc_u32 v26, v32, v33 :: v_dual_sub_nc_u32 v23, v31, v23
	v_sub_nc_u32_e32 v25, v31, v25
	v_bfe_i32 v35, v35, 0, 8
	v_bfe_i32 v36, v36, 0, 8
	s_delay_alu instid0(VALU_DEP_4) | instskip(SKIP_3) | instid1(VALU_DEP_3)
	v_ashrrev_i32_e32 v23, 24, v23
	v_dual_sub_nc_u32 v27, v32, v27 :: v_dual_sub_nc_u32 v31, v32, v34
	v_sub_nc_u32_e32 v30, v32, v30
	v_lshrrev_b16 v25, 8, v25
	v_perm_b32 v26, v26, v27, 0xc060c00
	s_delay_alu instid0(VALU_DEP_4)
	v_lshrrev_b16 v27, 8, v31
	v_bfe_i32 v31, v24, 0, 8
	v_ashrrev_i32_e32 v30, 24, v30
	v_bfe_i32 v24, v24, 16, 8
	v_bfe_i32 v32, v26, 16, 8
	;; [unrolled: 1-line block ×3, first 2 shown]
	v_mul_i32_i24_e32 v28, v31, v28
	v_bfe_i32 v26, v26, 0, 8
	v_bfe_i32 v27, v27, 0, 8
	v_mul_i32_i24_e32 v30, v30, v39
	v_mul_i32_i24_e32 v31, v32, v40
	;; [unrolled: 1-line block ×5, first 2 shown]
	v_mad_i32_i24 v23, v23, v37, v30
	v_mad_i32_i24 v24, v24, v38, v31
	s_delay_alu instid0(VALU_DEP_2) | instskip(NEXT) | instid1(VALU_DEP_2)
	v_add3_u32 v23, v25, v27, v23
	v_add3_u32 v24, v28, v26, v24
	s_delay_alu instid0(VALU_DEP_1)
	v_add3_u32 v21, v24, v23, v21
	s_cbranch_scc1 .LBB268_4
; %bb.5:                                ;   in Loop: Header=BB268_3 Depth=1
	v_dual_lshlrev_b32 v10, 3, v16 :: v_dual_add_nc_u32 v19, 32, v19
	v_add_nc_u32_e32 v16, 4, v16
	v_add_nc_u32_e32 v20, 4, v20
	s_delay_alu instid0(VALU_DEP_3)
	v_mad_nc_i64_i32 v[10:11], v10, 36, v[2:3]
	global_load_u16 v12, v[8:9], off
	global_load_b32 v13, v[10:11], off
	s_wait_xcnt 0x1
	v_cvt_f32_u32_e32 v8, v22
	v_cmp_le_u32_e32 vcc_lo, s16, v16
	s_delay_alu instid0(VALU_DEP_2) | instskip(SKIP_3) | instid1(VALU_DEP_1)
	v_add_f32_e32 v8, 0.5, v8
	s_or_b32 s1, vcc_lo, s1
	s_wait_loadcnt 0x1
	v_cvt_f32_f16_e32 v9, v12
	v_mul_f32_e32 v8, v8, v9
	s_wait_loadcnt 0x0
	v_cvt_f32_f16_e32 v9, v13
	s_delay_alu instid0(VALU_DEP_1) | instskip(SKIP_1) | instid1(VALU_DEP_2)
	v_mul_f32_e32 v8, v8, v9
	v_cvt_f32_i32_e32 v9, v21
	v_mul_f32_e32 v8, 0.5, v8
	s_delay_alu instid0(VALU_DEP_1)
	v_fmac_f32_e32 v18, v8, v9
	s_and_not1_b32 exec_lo, exec_lo, s1
	s_cbranch_execnz .LBB268_3
; %bb.6:
	s_or_b32 exec_lo, exec_lo, s1
.LBB268_7:
	s_delay_alu instid0(SALU_CYCLE_1) | instskip(SKIP_1) | instid1(VALU_DEP_1)
	s_or_b32 exec_lo, exec_lo, s15
	v_mbcnt_lo_u32_b32 v0, -1, 0
	v_xor_b32_e32 v2, 8, v0
	v_xor_b32_e32 v1, 16, v0
	;; [unrolled: 1-line block ×3, first 2 shown]
	s_delay_alu instid0(VALU_DEP_2) | instskip(SKIP_4) | instid1(VALU_DEP_2)
	v_cmp_gt_i32_e32 vcc_lo, 32, v1
	v_cndmask_b32_e32 v1, v0, v1, vcc_lo
	v_cmp_gt_i32_e32 vcc_lo, 32, v2
	v_cndmask_b32_e32 v2, v0, v2, vcc_lo
	v_cmp_gt_i32_e32 vcc_lo, 32, v3
	v_dual_lshlrev_b32 v2, 2, v2 :: v_dual_lshlrev_b32 v1, 2, v1
	ds_bpermute_b32 v1, v1, v18
	s_wait_dscnt 0x0
	v_add_f32_e32 v1, v18, v1
	ds_bpermute_b32 v2, v2, v1
	s_wait_dscnt 0x0
	v_dual_cndmask_b32 v3, v0, v3, vcc_lo :: v_dual_add_f32 v1, v1, v2
	s_delay_alu instid0(VALU_DEP_1) | instskip(SKIP_3) | instid1(VALU_DEP_1)
	v_lshlrev_b32_e32 v3, 2, v3
	ds_bpermute_b32 v2, v3, v1
	s_wait_dscnt 0x0
	v_dual_add_f32 v1, v1, v2 :: v_dual_bitop2_b32 v3, 2, v0 bitop3:0x14
	v_cmp_gt_i32_e32 vcc_lo, 32, v3
	v_cndmask_b32_e32 v3, v0, v3, vcc_lo
	s_delay_alu instid0(VALU_DEP_1) | instskip(SKIP_2) | instid1(VALU_DEP_1)
	v_lshlrev_b32_e32 v3, 2, v3
	ds_bpermute_b32 v2, v3, v1
	v_xor_b32_e32 v3, 1, v0
	v_cmp_gt_i32_e32 vcc_lo, 32, v3
	v_cndmask_b32_e32 v3, v0, v3, vcc_lo
	v_cmp_eq_u32_e32 vcc_lo, 0, v15
	s_wait_dscnt 0x0
	s_delay_alu instid0(VALU_DEP_2)
	v_dual_add_f32 v0, v1, v2 :: v_dual_lshlrev_b32 v1, 2, v3
	ds_bpermute_b32 v1, v1, v0
	s_and_b32 exec_lo, exec_lo, vcc_lo
	s_cbranch_execz .LBB268_9
; %bb.8:
	v_mad_u32 v2, s6, s14, v14
	s_wait_dscnt 0x0
	v_add_f32_e32 v0, v0, v1
	s_delay_alu instid0(VALU_DEP_1)
	v_cvt_f16_f32_e32 v0, v0
	s_wait_kmcnt 0x0
	global_store_b16 v2, v0, s[2:3] scale_offset
.LBB268_9:
	s_endpgm
	.section	.rodata,"a",@progbits
	.p2align	6, 0x0
	.amdhsa_kernel _ZL9moe_vec_qIN3c104HalfELi256ELi8E13block_iq3_xxsLi1EXadL_ZL20vec_dot_iq3_xxs_q8_1PKvPK10block_q8_1RKiEEEvS4_S4_PT_PS8_iiii
		.amdhsa_group_segment_fixed_size 0
		.amdhsa_private_segment_fixed_size 0
		.amdhsa_kernarg_size 304
		.amdhsa_user_sgpr_count 2
		.amdhsa_user_sgpr_dispatch_ptr 0
		.amdhsa_user_sgpr_queue_ptr 0
		.amdhsa_user_sgpr_kernarg_segment_ptr 1
		.amdhsa_user_sgpr_dispatch_id 0
		.amdhsa_user_sgpr_kernarg_preload_length 0
		.amdhsa_user_sgpr_kernarg_preload_offset 0
		.amdhsa_user_sgpr_private_segment_size 0
		.amdhsa_wavefront_size32 1
		.amdhsa_uses_dynamic_stack 0
		.amdhsa_enable_private_segment 0
		.amdhsa_system_sgpr_workgroup_id_x 1
		.amdhsa_system_sgpr_workgroup_id_y 0
		.amdhsa_system_sgpr_workgroup_id_z 1
		.amdhsa_system_sgpr_workgroup_info 0
		.amdhsa_system_vgpr_workitem_id 1
		.amdhsa_next_free_vgpr 41
		.amdhsa_next_free_sgpr 19
		.amdhsa_named_barrier_count 0
		.amdhsa_reserve_vcc 1
		.amdhsa_float_round_mode_32 0
		.amdhsa_float_round_mode_16_64 0
		.amdhsa_float_denorm_mode_32 3
		.amdhsa_float_denorm_mode_16_64 3
		.amdhsa_fp16_overflow 0
		.amdhsa_memory_ordered 1
		.amdhsa_forward_progress 1
		.amdhsa_inst_pref_size 12
		.amdhsa_round_robin_scheduling 0
		.amdhsa_exception_fp_ieee_invalid_op 0
		.amdhsa_exception_fp_denorm_src 0
		.amdhsa_exception_fp_ieee_div_zero 0
		.amdhsa_exception_fp_ieee_overflow 0
		.amdhsa_exception_fp_ieee_underflow 0
		.amdhsa_exception_fp_ieee_inexact 0
		.amdhsa_exception_int_div_zero 0
	.end_amdhsa_kernel
	.section	.text._ZL9moe_vec_qIN3c104HalfELi256ELi8E13block_iq3_xxsLi1EXadL_ZL20vec_dot_iq3_xxs_q8_1PKvPK10block_q8_1RKiEEEvS4_S4_PT_PS8_iiii,"axG",@progbits,_ZL9moe_vec_qIN3c104HalfELi256ELi8E13block_iq3_xxsLi1EXadL_ZL20vec_dot_iq3_xxs_q8_1PKvPK10block_q8_1RKiEEEvS4_S4_PT_PS8_iiii,comdat
.Lfunc_end268:
	.size	_ZL9moe_vec_qIN3c104HalfELi256ELi8E13block_iq3_xxsLi1EXadL_ZL20vec_dot_iq3_xxs_q8_1PKvPK10block_q8_1RKiEEEvS4_S4_PT_PS8_iiii, .Lfunc_end268-_ZL9moe_vec_qIN3c104HalfELi256ELi8E13block_iq3_xxsLi1EXadL_ZL20vec_dot_iq3_xxs_q8_1PKvPK10block_q8_1RKiEEEvS4_S4_PT_PS8_iiii
                                        ; -- End function
	.set _ZL9moe_vec_qIN3c104HalfELi256ELi8E13block_iq3_xxsLi1EXadL_ZL20vec_dot_iq3_xxs_q8_1PKvPK10block_q8_1RKiEEEvS4_S4_PT_PS8_iiii.num_vgpr, 41
	.set _ZL9moe_vec_qIN3c104HalfELi256ELi8E13block_iq3_xxsLi1EXadL_ZL20vec_dot_iq3_xxs_q8_1PKvPK10block_q8_1RKiEEEvS4_S4_PT_PS8_iiii.num_agpr, 0
	.set _ZL9moe_vec_qIN3c104HalfELi256ELi8E13block_iq3_xxsLi1EXadL_ZL20vec_dot_iq3_xxs_q8_1PKvPK10block_q8_1RKiEEEvS4_S4_PT_PS8_iiii.numbered_sgpr, 19
	.set _ZL9moe_vec_qIN3c104HalfELi256ELi8E13block_iq3_xxsLi1EXadL_ZL20vec_dot_iq3_xxs_q8_1PKvPK10block_q8_1RKiEEEvS4_S4_PT_PS8_iiii.num_named_barrier, 0
	.set _ZL9moe_vec_qIN3c104HalfELi256ELi8E13block_iq3_xxsLi1EXadL_ZL20vec_dot_iq3_xxs_q8_1PKvPK10block_q8_1RKiEEEvS4_S4_PT_PS8_iiii.private_seg_size, 0
	.set _ZL9moe_vec_qIN3c104HalfELi256ELi8E13block_iq3_xxsLi1EXadL_ZL20vec_dot_iq3_xxs_q8_1PKvPK10block_q8_1RKiEEEvS4_S4_PT_PS8_iiii.uses_vcc, 1
	.set _ZL9moe_vec_qIN3c104HalfELi256ELi8E13block_iq3_xxsLi1EXadL_ZL20vec_dot_iq3_xxs_q8_1PKvPK10block_q8_1RKiEEEvS4_S4_PT_PS8_iiii.uses_flat_scratch, 0
	.set _ZL9moe_vec_qIN3c104HalfELi256ELi8E13block_iq3_xxsLi1EXadL_ZL20vec_dot_iq3_xxs_q8_1PKvPK10block_q8_1RKiEEEvS4_S4_PT_PS8_iiii.has_dyn_sized_stack, 0
	.set _ZL9moe_vec_qIN3c104HalfELi256ELi8E13block_iq3_xxsLi1EXadL_ZL20vec_dot_iq3_xxs_q8_1PKvPK10block_q8_1RKiEEEvS4_S4_PT_PS8_iiii.has_recursion, 0
	.set _ZL9moe_vec_qIN3c104HalfELi256ELi8E13block_iq3_xxsLi1EXadL_ZL20vec_dot_iq3_xxs_q8_1PKvPK10block_q8_1RKiEEEvS4_S4_PT_PS8_iiii.has_indirect_call, 0
	.section	.AMDGPU.csdata,"",@progbits
; Kernel info:
; codeLenInByte = 1464
; TotalNumSgprs: 21
; NumVgprs: 41
; ScratchSize: 0
; MemoryBound: 0
; FloatMode: 240
; IeeeMode: 1
; LDSByteSize: 0 bytes/workgroup (compile time only)
; SGPRBlocks: 0
; VGPRBlocks: 2
; NumSGPRsForWavesPerEU: 21
; NumVGPRsForWavesPerEU: 41
; NamedBarCnt: 0
; Occupancy: 16
; WaveLimiterHint : 1
; COMPUTE_PGM_RSRC2:SCRATCH_EN: 0
; COMPUTE_PGM_RSRC2:USER_SGPR: 2
; COMPUTE_PGM_RSRC2:TRAP_HANDLER: 0
; COMPUTE_PGM_RSRC2:TGID_X_EN: 1
; COMPUTE_PGM_RSRC2:TGID_Y_EN: 0
; COMPUTE_PGM_RSRC2:TGID_Z_EN: 1
; COMPUTE_PGM_RSRC2:TIDIG_COMP_CNT: 1
	.section	.text._ZL9moe_vec_qIN3c104HalfELi256ELi8E11block_iq1_sLi1EXadL_ZL18vec_dot_iq1_s_q8_1PKvPK10block_q8_1RKiEEEvS4_S4_PT_PS8_iiii,"axG",@progbits,_ZL9moe_vec_qIN3c104HalfELi256ELi8E11block_iq1_sLi1EXadL_ZL18vec_dot_iq1_s_q8_1PKvPK10block_q8_1RKiEEEvS4_S4_PT_PS8_iiii,comdat
	.globl	_ZL9moe_vec_qIN3c104HalfELi256ELi8E11block_iq1_sLi1EXadL_ZL18vec_dot_iq1_s_q8_1PKvPK10block_q8_1RKiEEEvS4_S4_PT_PS8_iiii ; -- Begin function _ZL9moe_vec_qIN3c104HalfELi256ELi8E11block_iq1_sLi1EXadL_ZL18vec_dot_iq1_s_q8_1PKvPK10block_q8_1RKiEEEvS4_S4_PT_PS8_iiii
	.p2align	8
	.type	_ZL9moe_vec_qIN3c104HalfELi256ELi8E11block_iq1_sLi1EXadL_ZL18vec_dot_iq1_s_q8_1PKvPK10block_q8_1RKiEEEvS4_S4_PT_PS8_iiii,@function
_ZL9moe_vec_qIN3c104HalfELi256ELi8E11block_iq1_sLi1EXadL_ZL18vec_dot_iq1_s_q8_1PKvPK10block_q8_1RKiEEEvS4_S4_PT_PS8_iiii: ; @_ZL9moe_vec_qIN3c104HalfELi256ELi8E11block_iq1_sLi1EXadL_ZL18vec_dot_iq1_s_q8_1PKvPK10block_q8_1RKiEEEvS4_S4_PT_PS8_iiii
; %bb.0:
	s_clause 0x1
	s_load_u16 s3, s[0:1], 0x3e
	s_load_b128 s[4:7], s[0:1], 0x20
	s_bfe_u32 s2, ttmp6, 0x4000c
	s_and_b32 s8, ttmp6, 15
	s_add_co_i32 s2, s2, 1
	v_bfe_u32 v1, v0, 10, 10
	s_mul_i32 s2, ttmp9, s2
	s_delay_alu instid0(SALU_CYCLE_1) | instskip(SKIP_1) | instid1(SALU_CYCLE_1)
	s_add_co_i32 s8, s8, s2
	s_getreg_b32 s2, hwreg(HW_REG_IB_STS2, 6, 4)
	s_cmp_eq_u32 s2, 0
	s_cselect_b32 s8, ttmp9, s8
	s_wait_kmcnt 0x0
	v_mad_u32 v18, s8, s3, v1
	s_mov_b32 s3, exec_lo
	s_delay_alu instid0(VALU_DEP_1)
	v_cmpx_gt_u32_e64 s6, v18
	s_cbranch_execz .LBB269_7
; %bb.1:
	s_load_b64 s[8:9], s[0:1], 0x10
	s_bfe_u32 s3, ttmp6, 0x40014
	s_lshr_b32 s10, ttmp7, 16
	s_add_co_i32 s3, s3, 1
	s_bfe_u32 s11, ttmp6, 0x40008
	s_mul_i32 s3, s10, s3
	v_bfe_u32 v20, v0, 3, 7
	s_add_co_i32 s11, s11, s3
	s_cmp_eq_u32 s2, 0
	v_and_b32_e32 v19, 0x3ff, v0
	s_cselect_b32 s10, s10, s11
	s_ashr_i32 s2, s5, 31
	v_mov_b32_e32 v21, 0
	s_lshr_b32 s2, s2, 24
	s_mov_b32 s11, exec_lo
	s_add_co_i32 s2, s5, s2
	s_delay_alu instid0(SALU_CYCLE_1) | instskip(NEXT) | instid1(SALU_CYCLE_1)
	s_ashr_i32 s12, s2, 8
	v_cmpx_gt_u32_e64 s12, v20
	s_cbranch_execz .LBB269_5
; %bb.2:
	s_load_b64 s[2:3], s[0:1], 0x18
	s_cvt_f32_u32 s5, s4
	s_mul_i32 s14, s12, s6
	v_mul_lo_u32 v22, v18, s12
	v_mov_b32_e32 v9, 0
	v_rcp_iflag_f32_e32 v0, s5
	s_delay_alu instid0(VALU_DEP_1) | instskip(NEXT) | instid1(TRANS32_DEP_1)
	v_dual_mov_b32 v13, v9 :: v_dual_mov_b32 v21, v9
	v_readfirstlane_b32 s5, v0
	v_and_b32_e32 v0, 7, v19
	s_delay_alu instid0(VALU_DEP_1)
	v_dual_lshlrev_b32 v2, 1, v0 :: v_dual_lshlrev_b32 v12, 1, v0
	s_wait_kmcnt 0x0
	s_load_b32 s13, s[2:3], s10 offset:0x0 scale_offset
	s_wait_xcnt 0x0
	s_mul_f32 s2, s5, 0x4f7ffffe
	s_sub_co_i32 s3, 0, s4
	v_dual_lshlrev_b32 v23, 3, v20 :: v_dual_lshlrev_b32 v8, 1, v2
	s_delay_alu instid0(SALU_CYCLE_1) | instskip(NEXT) | instid1(SALU_CYCLE_3)
	s_cvt_u32_f32 s2, s2
	s_mul_i32 s3, s3, s2
	s_delay_alu instid0(SALU_CYCLE_1) | instskip(NEXT) | instid1(SALU_CYCLE_1)
	s_mul_hi_u32 s3, s2, s3
	s_add_co_i32 s5, s2, s3
	s_load_b128 s[0:3], s[0:1], 0x0
	s_mul_hi_u32 s5, s10, s5
	s_delay_alu instid0(SALU_CYCLE_1)
	s_mul_i32 s15, s5, s4
	s_add_co_i32 s16, s5, 1
	s_sub_co_i32 s17, s10, s15
	s_wait_kmcnt 0x0
	s_mul_i32 s14, s14, s13
	s_sub_co_i32 s13, s17, s4
	s_ashr_i32 s15, s14, 31
	s_cmp_ge_u32 s17, s4
	s_mul_u64 s[14:15], s[14:15], 50
	s_cselect_b32 s5, s16, s5
	s_cselect_b32 s13, s13, s17
	s_add_co_i32 s16, s5, 1
	s_cmp_ge_u32 s13, s4
	s_cselect_b32 s4, s16, s5
	s_mov_b32 s5, 0
	s_mul_i32 s4, s4, s7
	s_add_nc_u64 s[0:1], s[0:1], s[14:15]
	s_lshl_b64 s[16:17], s[4:5], 2
	s_mov_b32 s4, 0xb7000000
	s_add_nc_u64 s[2:3], s[2:3], s[16:17]
	s_delay_alu instid0(SALU_CYCLE_1)
	v_mad_nc_u64_u32 v[10:11], v0, 36, s[2:3]
	s_get_pc_i64 s[2:3]
	s_add_nc_u64 s[2:3], s[2:3], _ZL13iq1s_grid_gpu@rel64+4
.LBB269_3:                              ; =>This Inner Loop Header: Depth=1
	v_add_nc_u32_e32 v0, v22, v20
	s_delay_alu instid0(VALU_DEP_2) | instskip(SKIP_1) | instid1(VALU_DEP_3)
	v_mad_nc_i64_i32 v[14:15], v23, 36, v[10:11]
	v_dual_add_nc_u32 v20, 4, v20 :: v_dual_add_nc_u32 v23, 32, v23
	v_mad_nc_i64_i32 v[16:17], v0, 50, s[0:1]
	s_delay_alu instid0(VALU_DEP_2) | instskip(SKIP_1) | instid1(VALU_DEP_2)
	v_cmp_le_u32_e32 vcc_lo, s12, v20
	s_or_b32 s5, vcc_lo, s5
	v_add_nc_u64_e32 v[0:1], v[16:17], v[8:9]
	v_add_nc_u64_e32 v[2:3], v[16:17], v[12:13]
	s_clause 0x1
	global_load_b32 v25, v[0:1], off offset:2
	global_load_u16 v24, v[2:3], off offset:34
	s_clause 0x1
	global_load_b128 v[0:3], v[14:15], off offset:4
	global_load_b128 v[4:7], v[14:15], off offset:20
	global_load_u16 v26, v[16:17], off
	s_wait_loadcnt 0x4
	s_wait_xcnt 0x0
	v_and_b32_e32 v17, 0xff, v25
	s_wait_loadcnt 0x3
	v_dual_lshlrev_b32 v27, 8, v24 :: v_dual_lshlrev_b32 v29, 5, v24
	v_bfe_u32 v28, v25, 8, 8
	v_lshrrev_b32_e32 v16, 24, v25
	v_bfe_u32 v25, v25, 16, 8
	v_dual_lshlrev_b32 v30, 2, v24 :: v_dual_lshrrev_b32 v31, 1, v24
	v_and_or_b32 v17, 0x700, v27, v17
	v_and_or_b32 v27, 0x700, v29, v28
	s_wait_loadcnt 0x2
	v_ashrrev_i32_e32 v33, 24, v1
	v_and_or_b32 v25, 0x700, v30, v25
	v_and_or_b32 v16, 0x700, v31, v16
	v_dual_lshlrev_b32 v17, 3, v17 :: v_dual_lshlrev_b32 v27, 3, v27
	v_bfe_i32 v34, v1, 16, 8
	s_delay_alu instid0(VALU_DEP_3)
	v_dual_lshlrev_b32 v25, 3, v25 :: v_dual_lshlrev_b32 v16, 3, v16
	s_clause 0x3
	global_load_b32 v28, v17, s[2:3]
	global_load_b32 v29, v27, s[2:3]
	;; [unrolled: 1-line block ×4, first 2 shown]
	global_load_b32 v32, v[14:15], off
	s_wait_xcnt 0x0
	v_lshrrev_b16 v14, 8, v0
	v_lshrrev_b16 v15, 8, v1
	v_bfe_i32 v25, v0, 16, 8
	v_bfe_i32 v27, v0, 0, 8
	v_ashrrev_i32_e32 v0, 24, v0
	v_bfe_i32 v1, v1, 0, 8
	v_lshrrev_b16 v17, 8, v3
	v_dual_ashrrev_i32 v35, 24, v2 :: v_dual_ashrrev_i32 v37, 24, v3
	v_bfe_i32 v38, v3, 16, 8
	v_bfe_i32 v3, v3, 0, 8
	v_lshrrev_b16 v16, 8, v2
	v_bfe_i32 v36, v2, 16, 8
	v_bfe_i32 v2, v2, 0, 8
	s_wait_loadcnt 0x6
	v_lshrrev_b16 v39, 8, v4
	v_dual_ashrrev_i32 v43, 24, v4 :: v_dual_ashrrev_i32 v45, 24, v5
	v_bfe_i32 v44, v4, 16, 8
	v_bfe_i32 v4, v4, 0, 8
	v_lshrrev_b16 v40, 8, v5
	v_bfe_i32 v46, v5, 16, 8
	v_bfe_i32 v5, v5, 0, 8
	v_lshrrev_b16 v41, 8, v6
	v_dual_ashrrev_i32 v47, 24, v6 :: v_dual_ashrrev_i32 v49, 24, v7
	v_bfe_i32 v48, v6, 16, 8
	v_bfe_i32 v6, v6, 0, 8
	v_lshrrev_b16 v42, 8, v7
	v_bfe_i32 v50, v7, 16, 8
	v_bfe_i32 v7, v7, 0, 8
	;; [unrolled: 1-line block ×10, first 2 shown]
	s_wait_loadcnt 0x4
	v_bfe_u32 v51, v28, 24, 4
	v_and_b32_e32 v52, 0xf0f0f0f, v28
	v_dual_lshrrev_b32 v53, 4, v28 :: v_dual_lshrrev_b32 v54, 28, v28
	v_bfe_u32 v55, v28, 16, 4
	s_wait_loadcnt 0x3
	v_dual_lshrrev_b32 v60, 4, v29 :: v_dual_bitop2_b32 v56, 15, v28 bitop3:0x40
	v_bfe_u32 v57, v28, 20, 4
	v_bfe_u32 v28, v28, 4, 4
	;; [unrolled: 1-line block ×3, first 2 shown]
	v_and_b32_e32 v59, 0xf0f0f0f, v29
	v_lshrrev_b32_e32 v61, 28, v29
	v_mul_i32_i24_e32 v34, v57, v34
	v_mul_i32_i24_e32 v1, v28, v1
	v_and_b32_e32 v28, 15, v29
	v_bfe_u32 v57, v29, 16, 4
	v_mul_i32_i24_e32 v33, v54, v33
	v_bfe_u32 v54, v29, 20, 4
	v_bfe_u32 v29, v29, 4, 4
	v_mul_i32_i24_e32 v35, v35, v58
	s_wait_loadcnt 0x2
	v_lshrrev_b32_e32 v58, 4, v30
	v_mul_i32_i24_e32 v2, v2, v28
	v_bfe_u32 v28, v30, 24, 4
	v_mul_i32_i24_e32 v3, v29, v3
	v_and_b32_e32 v29, 15, v30
	v_mul_i32_i24_e32 v36, v36, v57
	v_and_b32_e32 v57, 0xf0f0f0f, v30
	v_mul_i32_i24_e32 v38, v54, v38
	v_bfe_u32 v54, v30, 16, 4
	v_mul_i32_i24_e32 v37, v61, v37
	v_lshrrev_b32_e32 v61, 28, v30
	v_mul_i32_i24_e32 v4, v4, v29
	v_bfe_u32 v29, v30, 20, 4
	v_bfe_u32 v30, v30, 4, 4
	v_mul_i32_i24_e32 v44, v44, v54
	s_wait_loadcnt 0x1
	v_bfe_u32 v54, v31, 24, 4
	v_mul_i32_i24_e32 v28, v43, v28
	v_mul_i32_i24_e32 v29, v29, v46
	;; [unrolled: 1-line block ×3, first 2 shown]
	v_and_b32_e32 v30, 15, v31
	v_bfe_u32 v46, v31, 16, 4
	v_and_b32_e32 v43, 0xf0f0f0f, v31
	v_mul_i32_i24_e32 v45, v61, v45
	v_lshrrev_b32_e32 v61, 4, v31
	v_mul_i32_i24_e32 v6, v6, v30
	v_lshrrev_b32_e32 v30, 28, v31
	v_mul_i32_i24_e32 v46, v48, v46
	v_bfe_u32 v48, v31, 20, 4
	v_bfe_u32 v31, v31, 4, 4
	v_lshrrev_b16 v53, 8, v53
	v_lshrrev_b16 v52, 8, v52
	;; [unrolled: 1-line block ×4, first 2 shown]
	v_mul_i32_i24_e32 v7, v31, v7
	v_mul_i32_i24_e32 v31, v48, v50
	v_and_b32_e32 v48, 15, v53
	v_lshrrev_b16 v57, 8, v57
	v_lshrrev_b16 v58, 8, v58
	v_mul_i32_i24_e32 v30, v30, v49
	v_and_b32_e32 v49, 0xffff, v52
	v_and_b32_e32 v50, 15, v60
	;; [unrolled: 1-line block ×3, first 2 shown]
	v_mad_i32_i24 v1, v56, v27, v1
	v_and_b32_e32 v27, 0xffff, v48
	v_lshrrev_b16 v43, 8, v43
	v_lshrrev_b16 v61, 8, v61
	v_mul_i32_i24_e32 v47, v47, v54
	v_and_b32_e32 v53, 15, v58
	v_and_b32_e32 v54, 0xffff, v57
	v_mad_i32_i24 v0, v51, v0, v33
	v_mul_i32_i24_e32 v14, v49, v14
	v_mul_i32_i24_e32 v16, v16, v52
	v_and_b32_e32 v33, 0xffff, v50
	v_mul_i32_i24_e32 v15, v27, v15
	v_add3_u32 v1, v1, v2, v3
	v_and_b32_e32 v57, 15, v61
	v_and_b32_e32 v43, 0xffff, v43
	v_mad_i32_i24 v25, v55, v25, v34
	v_mul_i32_i24_e32 v34, v39, v54
	v_add3_u32 v0, v0, v35, v37
	v_mul_i32_i24_e32 v17, v33, v17
	v_add3_u32 v14, v14, v15, v16
	v_add3_u32 v1, v1, v4, v5
	v_lshrrev_b32_e32 v5, 11, v24
	v_and_b32_e32 v39, 0xffff, v53
	v_mul_i32_i24_e32 v27, v41, v43
	v_and_b32_e32 v41, 0xffff, v57
	v_add3_u32 v15, v25, v36, v38
	v_add3_u32 v0, v0, v28, v45
	v_mul_i32_i24_e32 v2, v39, v40
	v_add3_u32 v3, v14, v17, v34
	v_mul_i32_i24_e32 v14, v41, v42
	v_add3_u32 v4, v15, v44, v29
	v_add3_u32 v0, v0, v47, v30
	;; [unrolled: 1-line block ×4, first 2 shown]
	v_and_b32_e32 v3, 0x8000, v24
	v_add3_u32 v4, v4, v46, v31
	v_and_or_b32 v5, v5, 14, 1
	s_delay_alu instid0(VALU_DEP_4)
	v_add3_u32 v0, v2, v14, v0
	s_wait_loadcnt 0x0
	v_lshrrev_b32_e32 v2, 16, v32
	v_cvt_f32_u32_e32 v3, v3
	v_cvt_f32_ubyte0_e32 v5, v5
	v_add3_u32 v4, v1, v4, v0
	v_cvt_f32_f16_e32 v1, v32
	v_cvt_f32_f16_e32 v0, v2
	v_fmaak_f32 v2, s4, v3, 0xbf600000
	s_delay_alu instid0(VALU_DEP_4) | instskip(SKIP_1) | instid1(VALU_DEP_2)
	v_cvt_f32_i32_e32 v3, v4
	v_cvt_f32_f16_e32 v4, v26
	v_pk_mul_f32 v[0:1], v[2:3], v[0:1]
	s_delay_alu instid0(VALU_DEP_1) | instskip(NEXT) | instid1(VALU_DEP_1)
	v_dual_mul_f32 v2, v5, v4 :: v_dual_add_f32 v0, v0, v1
	v_fmac_f32_e32 v21, v2, v0
	s_and_not1_b32 exec_lo, exec_lo, s5
	s_cbranch_execnz .LBB269_3
; %bb.4:
	s_or_b32 exec_lo, exec_lo, s5
.LBB269_5:
	s_delay_alu instid0(SALU_CYCLE_1) | instskip(SKIP_1) | instid1(VALU_DEP_1)
	s_or_b32 exec_lo, exec_lo, s11
	v_mbcnt_lo_u32_b32 v0, -1, 0
	v_xor_b32_e32 v2, 8, v0
	v_xor_b32_e32 v1, 16, v0
	;; [unrolled: 1-line block ×3, first 2 shown]
	s_delay_alu instid0(VALU_DEP_2) | instskip(SKIP_4) | instid1(VALU_DEP_2)
	v_cmp_gt_i32_e32 vcc_lo, 32, v1
	v_cndmask_b32_e32 v1, v0, v1, vcc_lo
	v_cmp_gt_i32_e32 vcc_lo, 32, v2
	v_cndmask_b32_e32 v2, v0, v2, vcc_lo
	v_cmp_gt_i32_e32 vcc_lo, 32, v3
	v_dual_lshlrev_b32 v2, 2, v2 :: v_dual_lshlrev_b32 v1, 2, v1
	ds_bpermute_b32 v1, v1, v21
	s_wait_dscnt 0x0
	v_add_f32_e32 v1, v21, v1
	ds_bpermute_b32 v2, v2, v1
	s_wait_dscnt 0x0
	v_dual_cndmask_b32 v3, v0, v3, vcc_lo :: v_dual_add_f32 v1, v1, v2
	s_delay_alu instid0(VALU_DEP_1) | instskip(SKIP_3) | instid1(VALU_DEP_1)
	v_lshlrev_b32_e32 v3, 2, v3
	ds_bpermute_b32 v2, v3, v1
	s_wait_dscnt 0x0
	v_dual_add_f32 v1, v1, v2 :: v_dual_bitop2_b32 v3, 2, v0 bitop3:0x14
	v_cmp_gt_i32_e32 vcc_lo, 32, v3
	v_cndmask_b32_e32 v3, v0, v3, vcc_lo
	s_delay_alu instid0(VALU_DEP_1) | instskip(SKIP_2) | instid1(VALU_DEP_1)
	v_lshlrev_b32_e32 v3, 2, v3
	ds_bpermute_b32 v2, v3, v1
	v_xor_b32_e32 v3, 1, v0
	v_cmp_gt_i32_e32 vcc_lo, 32, v3
	v_cndmask_b32_e32 v3, v0, v3, vcc_lo
	v_cmp_eq_u32_e32 vcc_lo, 0, v19
	s_wait_dscnt 0x0
	s_delay_alu instid0(VALU_DEP_2)
	v_dual_add_f32 v0, v1, v2 :: v_dual_lshlrev_b32 v1, 2, v3
	ds_bpermute_b32 v1, v1, v0
	s_and_b32 exec_lo, exec_lo, vcc_lo
	s_cbranch_execz .LBB269_7
; %bb.6:
	v_mad_u32 v2, s6, s10, v18
	s_wait_dscnt 0x0
	v_add_f32_e32 v0, v0, v1
	s_delay_alu instid0(VALU_DEP_1)
	v_cvt_f16_f32_e32 v0, v0
	s_wait_kmcnt 0x0
	global_store_b16 v2, v0, s[8:9] scale_offset
.LBB269_7:
	s_endpgm
	.section	.rodata,"a",@progbits
	.p2align	6, 0x0
	.amdhsa_kernel _ZL9moe_vec_qIN3c104HalfELi256ELi8E11block_iq1_sLi1EXadL_ZL18vec_dot_iq1_s_q8_1PKvPK10block_q8_1RKiEEEvS4_S4_PT_PS8_iiii
		.amdhsa_group_segment_fixed_size 0
		.amdhsa_private_segment_fixed_size 0
		.amdhsa_kernarg_size 304
		.amdhsa_user_sgpr_count 2
		.amdhsa_user_sgpr_dispatch_ptr 0
		.amdhsa_user_sgpr_queue_ptr 0
		.amdhsa_user_sgpr_kernarg_segment_ptr 1
		.amdhsa_user_sgpr_dispatch_id 0
		.amdhsa_user_sgpr_kernarg_preload_length 0
		.amdhsa_user_sgpr_kernarg_preload_offset 0
		.amdhsa_user_sgpr_private_segment_size 0
		.amdhsa_wavefront_size32 1
		.amdhsa_uses_dynamic_stack 0
		.amdhsa_enable_private_segment 0
		.amdhsa_system_sgpr_workgroup_id_x 1
		.amdhsa_system_sgpr_workgroup_id_y 0
		.amdhsa_system_sgpr_workgroup_id_z 1
		.amdhsa_system_sgpr_workgroup_info 0
		.amdhsa_system_vgpr_workitem_id 1
		.amdhsa_next_free_vgpr 62
		.amdhsa_next_free_sgpr 18
		.amdhsa_named_barrier_count 0
		.amdhsa_reserve_vcc 1
		.amdhsa_float_round_mode_32 0
		.amdhsa_float_round_mode_16_64 0
		.amdhsa_float_denorm_mode_32 3
		.amdhsa_float_denorm_mode_16_64 3
		.amdhsa_fp16_overflow 0
		.amdhsa_memory_ordered 1
		.amdhsa_forward_progress 1
		.amdhsa_inst_pref_size 17
		.amdhsa_round_robin_scheduling 0
		.amdhsa_exception_fp_ieee_invalid_op 0
		.amdhsa_exception_fp_denorm_src 0
		.amdhsa_exception_fp_ieee_div_zero 0
		.amdhsa_exception_fp_ieee_overflow 0
		.amdhsa_exception_fp_ieee_underflow 0
		.amdhsa_exception_fp_ieee_inexact 0
		.amdhsa_exception_int_div_zero 0
	.end_amdhsa_kernel
	.section	.text._ZL9moe_vec_qIN3c104HalfELi256ELi8E11block_iq1_sLi1EXadL_ZL18vec_dot_iq1_s_q8_1PKvPK10block_q8_1RKiEEEvS4_S4_PT_PS8_iiii,"axG",@progbits,_ZL9moe_vec_qIN3c104HalfELi256ELi8E11block_iq1_sLi1EXadL_ZL18vec_dot_iq1_s_q8_1PKvPK10block_q8_1RKiEEEvS4_S4_PT_PS8_iiii,comdat
.Lfunc_end269:
	.size	_ZL9moe_vec_qIN3c104HalfELi256ELi8E11block_iq1_sLi1EXadL_ZL18vec_dot_iq1_s_q8_1PKvPK10block_q8_1RKiEEEvS4_S4_PT_PS8_iiii, .Lfunc_end269-_ZL9moe_vec_qIN3c104HalfELi256ELi8E11block_iq1_sLi1EXadL_ZL18vec_dot_iq1_s_q8_1PKvPK10block_q8_1RKiEEEvS4_S4_PT_PS8_iiii
                                        ; -- End function
	.set _ZL9moe_vec_qIN3c104HalfELi256ELi8E11block_iq1_sLi1EXadL_ZL18vec_dot_iq1_s_q8_1PKvPK10block_q8_1RKiEEEvS4_S4_PT_PS8_iiii.num_vgpr, 62
	.set _ZL9moe_vec_qIN3c104HalfELi256ELi8E11block_iq1_sLi1EXadL_ZL18vec_dot_iq1_s_q8_1PKvPK10block_q8_1RKiEEEvS4_S4_PT_PS8_iiii.num_agpr, 0
	.set _ZL9moe_vec_qIN3c104HalfELi256ELi8E11block_iq1_sLi1EXadL_ZL18vec_dot_iq1_s_q8_1PKvPK10block_q8_1RKiEEEvS4_S4_PT_PS8_iiii.numbered_sgpr, 18
	.set _ZL9moe_vec_qIN3c104HalfELi256ELi8E11block_iq1_sLi1EXadL_ZL18vec_dot_iq1_s_q8_1PKvPK10block_q8_1RKiEEEvS4_S4_PT_PS8_iiii.num_named_barrier, 0
	.set _ZL9moe_vec_qIN3c104HalfELi256ELi8E11block_iq1_sLi1EXadL_ZL18vec_dot_iq1_s_q8_1PKvPK10block_q8_1RKiEEEvS4_S4_PT_PS8_iiii.private_seg_size, 0
	.set _ZL9moe_vec_qIN3c104HalfELi256ELi8E11block_iq1_sLi1EXadL_ZL18vec_dot_iq1_s_q8_1PKvPK10block_q8_1RKiEEEvS4_S4_PT_PS8_iiii.uses_vcc, 1
	.set _ZL9moe_vec_qIN3c104HalfELi256ELi8E11block_iq1_sLi1EXadL_ZL18vec_dot_iq1_s_q8_1PKvPK10block_q8_1RKiEEEvS4_S4_PT_PS8_iiii.uses_flat_scratch, 0
	.set _ZL9moe_vec_qIN3c104HalfELi256ELi8E11block_iq1_sLi1EXadL_ZL18vec_dot_iq1_s_q8_1PKvPK10block_q8_1RKiEEEvS4_S4_PT_PS8_iiii.has_dyn_sized_stack, 0
	.set _ZL9moe_vec_qIN3c104HalfELi256ELi8E11block_iq1_sLi1EXadL_ZL18vec_dot_iq1_s_q8_1PKvPK10block_q8_1RKiEEEvS4_S4_PT_PS8_iiii.has_recursion, 0
	.set _ZL9moe_vec_qIN3c104HalfELi256ELi8E11block_iq1_sLi1EXadL_ZL18vec_dot_iq1_s_q8_1PKvPK10block_q8_1RKiEEEvS4_S4_PT_PS8_iiii.has_indirect_call, 0
	.section	.AMDGPU.csdata,"",@progbits
; Kernel info:
; codeLenInByte = 2096
; TotalNumSgprs: 20
; NumVgprs: 62
; ScratchSize: 0
; MemoryBound: 0
; FloatMode: 240
; IeeeMode: 1
; LDSByteSize: 0 bytes/workgroup (compile time only)
; SGPRBlocks: 0
; VGPRBlocks: 3
; NumSGPRsForWavesPerEU: 20
; NumVGPRsForWavesPerEU: 62
; NamedBarCnt: 0
; Occupancy: 16
; WaveLimiterHint : 1
; COMPUTE_PGM_RSRC2:SCRATCH_EN: 0
; COMPUTE_PGM_RSRC2:USER_SGPR: 2
; COMPUTE_PGM_RSRC2:TRAP_HANDLER: 0
; COMPUTE_PGM_RSRC2:TGID_X_EN: 1
; COMPUTE_PGM_RSRC2:TGID_Y_EN: 0
; COMPUTE_PGM_RSRC2:TGID_Z_EN: 1
; COMPUTE_PGM_RSRC2:TIDIG_COMP_CNT: 1
	.section	.text._ZL9moe_vec_qIN3c104HalfELi32ELi4E12block_iq4_nlLi2EXadL_ZL19vec_dot_iq4_nl_q8_1PKvPK10block_q8_1RKiEEEvS4_S4_PT_PS8_iiii,"axG",@progbits,_ZL9moe_vec_qIN3c104HalfELi32ELi4E12block_iq4_nlLi2EXadL_ZL19vec_dot_iq4_nl_q8_1PKvPK10block_q8_1RKiEEEvS4_S4_PT_PS8_iiii,comdat
	.globl	_ZL9moe_vec_qIN3c104HalfELi32ELi4E12block_iq4_nlLi2EXadL_ZL19vec_dot_iq4_nl_q8_1PKvPK10block_q8_1RKiEEEvS4_S4_PT_PS8_iiii ; -- Begin function _ZL9moe_vec_qIN3c104HalfELi32ELi4E12block_iq4_nlLi2EXadL_ZL19vec_dot_iq4_nl_q8_1PKvPK10block_q8_1RKiEEEvS4_S4_PT_PS8_iiii
	.p2align	8
	.type	_ZL9moe_vec_qIN3c104HalfELi32ELi4E12block_iq4_nlLi2EXadL_ZL19vec_dot_iq4_nl_q8_1PKvPK10block_q8_1RKiEEEvS4_S4_PT_PS8_iiii,@function
_ZL9moe_vec_qIN3c104HalfELi32ELi4E12block_iq4_nlLi2EXadL_ZL19vec_dot_iq4_nl_q8_1PKvPK10block_q8_1RKiEEEvS4_S4_PT_PS8_iiii: ; @_ZL9moe_vec_qIN3c104HalfELi32ELi4E12block_iq4_nlLi2EXadL_ZL19vec_dot_iq4_nl_q8_1PKvPK10block_q8_1RKiEEEvS4_S4_PT_PS8_iiii
; %bb.0:
	s_clause 0x1
	s_load_u16 s3, s[0:1], 0x3e
	s_load_b128 s[4:7], s[0:1], 0x20
	s_bfe_u32 s2, ttmp6, 0x4000c
	s_and_b32 s8, ttmp6, 15
	s_add_co_i32 s2, s2, 1
	v_bfe_u32 v1, v0, 10, 10
	s_mul_i32 s2, ttmp9, s2
	s_delay_alu instid0(SALU_CYCLE_1) | instskip(SKIP_1) | instid1(SALU_CYCLE_1)
	s_add_co_i32 s8, s8, s2
	s_getreg_b32 s2, hwreg(HW_REG_IB_STS2, 6, 4)
	s_cmp_eq_u32 s2, 0
	s_cselect_b32 s8, ttmp9, s8
	s_wait_kmcnt 0x0
	v_mad_u32 v4, s8, s3, v1
	s_mov_b32 s3, 0
	s_mov_b32 s8, exec_lo
	s_delay_alu instid0(VALU_DEP_1)
	v_cmpx_gt_u32_e64 s6, v4
	s_cbranch_execz .LBB270_7
; %bb.1:
	s_load_b64 s[12:13], s[0:1], 0x10
	s_bfe_u32 s8, ttmp6, 0x40014
	s_lshr_b32 s9, ttmp7, 16
	s_add_co_i32 s8, s8, 1
	s_cvt_f32_u32 s11, s4
	s_mul_i32 s8, s9, s8
	s_bfe_u32 s10, ttmp6, 0x40008
	v_bfe_u32 v6, v0, 1, 9
	s_add_co_i32 s10, s10, s8
	v_rcp_iflag_f32_e32 v1, s11
	s_cmp_eq_u32 s2, 0
	v_and_b32_e32 v5, 0x3ff, v0
	s_cselect_b32 s2, s9, s10
	s_ashr_i32 s8, s5, 31
	v_mov_b32_e32 v7, 0
	s_lshr_b32 s8, s8, 27
	s_mov_b32 s16, exec_lo
	s_add_co_i32 s8, s5, s8
	v_readfirstlane_b32 s5, v1
	s_ashr_i32 s17, s8, 5
	s_delay_alu instid0(SALU_CYCLE_1)
	v_cmpx_gt_u32_e64 s17, v6
	s_cbranch_execz .LBB270_5
; %bb.2:
	s_clause 0x1
	s_load_b64 s[18:19], s[0:1], 0x18
	s_load_b128 s[8:11], s[0:1], 0x0
	s_wait_xcnt 0x0
	s_mul_f32 s0, s5, 0x4f7ffffe
	s_sub_co_i32 s5, 0, s4
	s_mov_b32 s21, s3
	v_dual_mov_b32 v1, 0 :: v_dual_lshlrev_b32 v0, 1, v5
	s_cvt_u32_f32 s0, s0
	v_mul_lo_u32 v8, v4, s17
	s_mul_i32 s22, s17, s6
	s_delay_alu instid0(VALU_DEP_2) | instskip(SKIP_3) | instid1(VALU_DEP_2)
	v_dual_mov_b32 v3, v1 :: v_dual_bitop2_b32 v0, 2, v0 bitop3:0x40
	s_mul_i32 s5, s5, s0
	v_mov_b32_e32 v7, v1
	s_mul_hi_u32 s5, s0, s5
	v_lshlrev_b32_e32 v10, 1, v0
	s_add_co_i32 s20, s0, s5
	s_mov_b32 s1, 0
	v_lshlrev_b32_e32 v2, 2, v0
	s_get_pc_i64 s[14:15]
	s_add_nc_u64 s[14:15], s[14:15], _ZL13kvalues_iq4nl@rel64+4
	s_wait_kmcnt 0x0
	s_load_b32 s23, s[18:19], s2 offset:0x0 scale_offset
	s_wait_xcnt 0x0
	s_mul_u64 s[18:19], s[2:3], s[20:21]
	v_lshlrev_b32_e32 v0, 1, v10
	s_mul_i32 s0, s19, s4
	s_add_co_i32 s3, s19, 1
	s_sub_co_i32 s0, s2, s0
	s_delay_alu instid0(SALU_CYCLE_1)
	s_sub_co_i32 s5, s0, s4
	s_cmp_ge_u32 s0, s4
	s_cselect_b32 s3, s3, s19
	s_cselect_b32 s0, s5, s0
	s_add_co_i32 s5, s3, 1
	s_cmp_ge_u32 s0, s4
	s_cselect_b32 s0, s5, s3
	s_delay_alu instid0(SALU_CYCLE_1) | instskip(NEXT) | instid1(SALU_CYCLE_1)
	s_mul_i32 s0, s0, s7
	s_lshl_b64 s[18:19], s[0:1], 2
	s_wait_kmcnt 0x0
	s_mul_i32 s4, s22, s23
	s_delay_alu instid0(SALU_CYCLE_1) | instskip(NEXT) | instid1(SALU_CYCLE_1)
	s_ashr_i32 s5, s4, 31
	s_mul_u64 s[4:5], s[4:5], 18
	s_delay_alu instid0(SALU_CYCLE_1)
	s_add_nc_u64 s[4:5], s[8:9], s[4:5]
	s_add_nc_u64 s[8:9], s[10:11], s[18:19]
.LBB270_3:                              ; =>This Inner Loop Header: Depth=1
	v_add_nc_u32_e32 v9, v8, v6
	v_mad_nc_i64_i32 v[14:15], v6, 36, s[8:9]
	v_add_nc_u32_e32 v6, 16, v6
	s_delay_alu instid0(VALU_DEP_3) | instskip(NEXT) | instid1(VALU_DEP_2)
	v_mad_nc_i64_i32 v[10:11], v9, 18, s[4:5]
	v_cmp_le_u32_e32 vcc_lo, s17, v6
	s_delay_alu instid0(VALU_DEP_4) | instskip(SKIP_1) | instid1(VALU_DEP_3)
	v_add_nc_u64_e32 v[16:17], v[14:15], v[2:3]
	s_or_b32 s1, vcc_lo, s1
	v_add_nc_u64_e32 v[12:13], v[10:11], v[0:1]
	global_load_b64 v[18:19], v[16:17], off offset:4
	global_load_b64 v[12:13], v[12:13], off offset:2
	s_wait_loadcnt 0x0
	v_and_b32_e32 v20, 15, v12
	v_bfe_u32 v21, v12, 8, 4
	v_bfe_u32 v22, v12, 16, 4
	;; [unrolled: 1-line block ×5, first 2 shown]
	v_dual_lshrrev_b32 v25, 28, v12 :: v_dual_bitop2_b32 v27, 15, v13 bitop3:0x40
	v_bfe_u32 v12, v12, 4, 4
	s_clause 0x7
	global_load_i8 v33, v20, s[14:15]
	global_load_i8 v34, v21, s[14:15]
	;; [unrolled: 1-line block ×8, first 2 shown]
	v_bfe_u32 v28, v13, 8, 4
	v_bfe_u32 v29, v13, 16, 4
	;; [unrolled: 1-line block ×5, first 2 shown]
	v_lshrrev_b32_e32 v32, 28, v13
	s_wait_xcnt 0x0
	v_bfe_u32 v9, v13, 4, 4
	s_clause 0x7
	global_load_i8 v20, v27, s[14:15]
	global_load_i8 v21, v28, s[14:15]
	;; [unrolled: 1-line block ×8, first 2 shown]
	s_clause 0x1
	global_load_b64 v[12:13], v[16:17], off offset:20
	global_load_b32 v43, v[14:15], off
	global_load_u16 v44, v[10:11], off
	s_wait_loadcnt 0x11
	s_wait_xcnt 0x3
	v_perm_b32 v9, v34, v33, 0xc0c0400
	s_wait_loadcnt 0xe
	s_wait_xcnt 0x0
	v_perm_b32 v11, v37, v36, 0xc0c0400
	s_wait_loadcnt 0xc
	v_perm_b32 v14, v39, v38, 0x4000c0c
	s_wait_loadcnt 0xb
	;; [unrolled: 2-line block ×4, first 2 shown]
	v_perm_b32 v15, v41, v22, 0x4000c0c
	v_or_b32_e32 v9, v10, v9
	v_perm_b32 v10, v21, v20, 0xc0c0400
	v_or_b32_e32 v11, v14, v11
	s_wait_loadcnt 0x3
	v_perm_b32 v14, v23, v42, 0xc0c0400
	v_dot4_i32_iu8 v9, v18, v9, 0 neg_lo:[1,1,0]
	v_or_b32_e32 v10, v15, v10
	s_wait_loadcnt 0x2
	s_delay_alu instid0(VALU_DEP_2) | instskip(SKIP_2) | instid1(VALU_DEP_2)
	v_dot4_i32_iu8 v9, v12, v11, v9 neg_lo:[1,1,0]
	s_wait_loadcnt 0x0
	v_cvt_f32_f16_e32 v12, v44
	v_dot4_i32_iu8 v9, v19, v10, v9 neg_lo:[1,1,0]
	v_cvt_f32_f16_e32 v10, v43
	s_delay_alu instid0(VALU_DEP_1) | instskip(SKIP_1) | instid1(VALU_DEP_1)
	v_mul_f32_e32 v10, v12, v10
	v_or_b32_e32 v11, v16, v14
	v_dot4_i32_iu8 v9, v13, v11, v9 neg_lo:[1,1,0]
	s_delay_alu instid0(VALU_DEP_1) | instskip(NEXT) | instid1(VALU_DEP_1)
	v_cvt_f32_i32_e32 v9, v9
	v_fmac_f32_e32 v7, v10, v9
	s_and_not1_b32 exec_lo, exec_lo, s1
	s_cbranch_execnz .LBB270_3
; %bb.4:
	s_or_b32 exec_lo, exec_lo, s1
.LBB270_5:
	s_delay_alu instid0(SALU_CYCLE_1) | instskip(SKIP_1) | instid1(VALU_DEP_1)
	s_or_b32 exec_lo, exec_lo, s16
	v_mbcnt_lo_u32_b32 v0, -1, 0
	v_xor_b32_e32 v2, 8, v0
	v_xor_b32_e32 v1, 16, v0
	;; [unrolled: 1-line block ×3, first 2 shown]
	s_delay_alu instid0(VALU_DEP_2) | instskip(SKIP_4) | instid1(VALU_DEP_2)
	v_cmp_gt_i32_e32 vcc_lo, 32, v1
	v_cndmask_b32_e32 v1, v0, v1, vcc_lo
	v_cmp_gt_i32_e32 vcc_lo, 32, v2
	v_cndmask_b32_e32 v2, v0, v2, vcc_lo
	v_cmp_gt_i32_e32 vcc_lo, 32, v3
	v_dual_lshlrev_b32 v2, 2, v2 :: v_dual_lshlrev_b32 v1, 2, v1
	ds_bpermute_b32 v1, v1, v7
	s_wait_dscnt 0x0
	v_add_f32_e32 v1, v7, v1
	ds_bpermute_b32 v2, v2, v1
	s_wait_dscnt 0x0
	v_dual_cndmask_b32 v3, v0, v3, vcc_lo :: v_dual_add_f32 v1, v1, v2
	s_delay_alu instid0(VALU_DEP_1) | instskip(SKIP_3) | instid1(VALU_DEP_1)
	v_lshlrev_b32_e32 v3, 2, v3
	ds_bpermute_b32 v2, v3, v1
	s_wait_dscnt 0x0
	v_dual_add_f32 v1, v1, v2 :: v_dual_bitop2_b32 v3, 2, v0 bitop3:0x14
	v_cmp_gt_i32_e32 vcc_lo, 32, v3
	v_cndmask_b32_e32 v3, v0, v3, vcc_lo
	s_delay_alu instid0(VALU_DEP_1) | instskip(SKIP_2) | instid1(VALU_DEP_1)
	v_lshlrev_b32_e32 v3, 2, v3
	ds_bpermute_b32 v2, v3, v1
	v_xor_b32_e32 v3, 1, v0
	v_cmp_gt_i32_e32 vcc_lo, 32, v3
	v_cndmask_b32_e32 v3, v0, v3, vcc_lo
	v_cmp_eq_u32_e32 vcc_lo, 0, v5
	s_wait_dscnt 0x0
	s_delay_alu instid0(VALU_DEP_2)
	v_dual_add_f32 v0, v1, v2 :: v_dual_lshlrev_b32 v1, 2, v3
	ds_bpermute_b32 v1, v1, v0
	s_and_b32 exec_lo, exec_lo, vcc_lo
	s_cbranch_execz .LBB270_7
; %bb.6:
	v_mad_u32 v2, s6, s2, v4
	s_wait_dscnt 0x0
	v_add_f32_e32 v0, v0, v1
	s_delay_alu instid0(VALU_DEP_1)
	v_cvt_f16_f32_e32 v0, v0
	s_wait_kmcnt 0x0
	global_store_b16 v2, v0, s[12:13] scale_offset
.LBB270_7:
	s_endpgm
	.section	.rodata,"a",@progbits
	.p2align	6, 0x0
	.amdhsa_kernel _ZL9moe_vec_qIN3c104HalfELi32ELi4E12block_iq4_nlLi2EXadL_ZL19vec_dot_iq4_nl_q8_1PKvPK10block_q8_1RKiEEEvS4_S4_PT_PS8_iiii
		.amdhsa_group_segment_fixed_size 0
		.amdhsa_private_segment_fixed_size 0
		.amdhsa_kernarg_size 304
		.amdhsa_user_sgpr_count 2
		.amdhsa_user_sgpr_dispatch_ptr 0
		.amdhsa_user_sgpr_queue_ptr 0
		.amdhsa_user_sgpr_kernarg_segment_ptr 1
		.amdhsa_user_sgpr_dispatch_id 0
		.amdhsa_user_sgpr_kernarg_preload_length 0
		.amdhsa_user_sgpr_kernarg_preload_offset 0
		.amdhsa_user_sgpr_private_segment_size 0
		.amdhsa_wavefront_size32 1
		.amdhsa_uses_dynamic_stack 0
		.amdhsa_enable_private_segment 0
		.amdhsa_system_sgpr_workgroup_id_x 1
		.amdhsa_system_sgpr_workgroup_id_y 0
		.amdhsa_system_sgpr_workgroup_id_z 1
		.amdhsa_system_sgpr_workgroup_info 0
		.amdhsa_system_vgpr_workitem_id 1
		.amdhsa_next_free_vgpr 45
		.amdhsa_next_free_sgpr 24
		.amdhsa_named_barrier_count 0
		.amdhsa_reserve_vcc 1
		.amdhsa_float_round_mode_32 0
		.amdhsa_float_round_mode_16_64 0
		.amdhsa_float_denorm_mode_32 3
		.amdhsa_float_denorm_mode_16_64 3
		.amdhsa_fp16_overflow 0
		.amdhsa_memory_ordered 1
		.amdhsa_forward_progress 1
		.amdhsa_inst_pref_size 11
		.amdhsa_round_robin_scheduling 0
		.amdhsa_exception_fp_ieee_invalid_op 0
		.amdhsa_exception_fp_denorm_src 0
		.amdhsa_exception_fp_ieee_div_zero 0
		.amdhsa_exception_fp_ieee_overflow 0
		.amdhsa_exception_fp_ieee_underflow 0
		.amdhsa_exception_fp_ieee_inexact 0
		.amdhsa_exception_int_div_zero 0
	.end_amdhsa_kernel
	.section	.text._ZL9moe_vec_qIN3c104HalfELi32ELi4E12block_iq4_nlLi2EXadL_ZL19vec_dot_iq4_nl_q8_1PKvPK10block_q8_1RKiEEEvS4_S4_PT_PS8_iiii,"axG",@progbits,_ZL9moe_vec_qIN3c104HalfELi32ELi4E12block_iq4_nlLi2EXadL_ZL19vec_dot_iq4_nl_q8_1PKvPK10block_q8_1RKiEEEvS4_S4_PT_PS8_iiii,comdat
.Lfunc_end270:
	.size	_ZL9moe_vec_qIN3c104HalfELi32ELi4E12block_iq4_nlLi2EXadL_ZL19vec_dot_iq4_nl_q8_1PKvPK10block_q8_1RKiEEEvS4_S4_PT_PS8_iiii, .Lfunc_end270-_ZL9moe_vec_qIN3c104HalfELi32ELi4E12block_iq4_nlLi2EXadL_ZL19vec_dot_iq4_nl_q8_1PKvPK10block_q8_1RKiEEEvS4_S4_PT_PS8_iiii
                                        ; -- End function
	.set _ZL9moe_vec_qIN3c104HalfELi32ELi4E12block_iq4_nlLi2EXadL_ZL19vec_dot_iq4_nl_q8_1PKvPK10block_q8_1RKiEEEvS4_S4_PT_PS8_iiii.num_vgpr, 45
	.set _ZL9moe_vec_qIN3c104HalfELi32ELi4E12block_iq4_nlLi2EXadL_ZL19vec_dot_iq4_nl_q8_1PKvPK10block_q8_1RKiEEEvS4_S4_PT_PS8_iiii.num_agpr, 0
	.set _ZL9moe_vec_qIN3c104HalfELi32ELi4E12block_iq4_nlLi2EXadL_ZL19vec_dot_iq4_nl_q8_1PKvPK10block_q8_1RKiEEEvS4_S4_PT_PS8_iiii.numbered_sgpr, 24
	.set _ZL9moe_vec_qIN3c104HalfELi32ELi4E12block_iq4_nlLi2EXadL_ZL19vec_dot_iq4_nl_q8_1PKvPK10block_q8_1RKiEEEvS4_S4_PT_PS8_iiii.num_named_barrier, 0
	.set _ZL9moe_vec_qIN3c104HalfELi32ELi4E12block_iq4_nlLi2EXadL_ZL19vec_dot_iq4_nl_q8_1PKvPK10block_q8_1RKiEEEvS4_S4_PT_PS8_iiii.private_seg_size, 0
	.set _ZL9moe_vec_qIN3c104HalfELi32ELi4E12block_iq4_nlLi2EXadL_ZL19vec_dot_iq4_nl_q8_1PKvPK10block_q8_1RKiEEEvS4_S4_PT_PS8_iiii.uses_vcc, 1
	.set _ZL9moe_vec_qIN3c104HalfELi32ELi4E12block_iq4_nlLi2EXadL_ZL19vec_dot_iq4_nl_q8_1PKvPK10block_q8_1RKiEEEvS4_S4_PT_PS8_iiii.uses_flat_scratch, 0
	.set _ZL9moe_vec_qIN3c104HalfELi32ELi4E12block_iq4_nlLi2EXadL_ZL19vec_dot_iq4_nl_q8_1PKvPK10block_q8_1RKiEEEvS4_S4_PT_PS8_iiii.has_dyn_sized_stack, 0
	.set _ZL9moe_vec_qIN3c104HalfELi32ELi4E12block_iq4_nlLi2EXadL_ZL19vec_dot_iq4_nl_q8_1PKvPK10block_q8_1RKiEEEvS4_S4_PT_PS8_iiii.has_recursion, 0
	.set _ZL9moe_vec_qIN3c104HalfELi32ELi4E12block_iq4_nlLi2EXadL_ZL19vec_dot_iq4_nl_q8_1PKvPK10block_q8_1RKiEEEvS4_S4_PT_PS8_iiii.has_indirect_call, 0
	.section	.AMDGPU.csdata,"",@progbits
; Kernel info:
; codeLenInByte = 1376
; TotalNumSgprs: 26
; NumVgprs: 45
; ScratchSize: 0
; MemoryBound: 0
; FloatMode: 240
; IeeeMode: 1
; LDSByteSize: 0 bytes/workgroup (compile time only)
; SGPRBlocks: 0
; VGPRBlocks: 2
; NumSGPRsForWavesPerEU: 26
; NumVGPRsForWavesPerEU: 45
; NamedBarCnt: 0
; Occupancy: 16
; WaveLimiterHint : 1
; COMPUTE_PGM_RSRC2:SCRATCH_EN: 0
; COMPUTE_PGM_RSRC2:USER_SGPR: 2
; COMPUTE_PGM_RSRC2:TRAP_HANDLER: 0
; COMPUTE_PGM_RSRC2:TGID_X_EN: 1
; COMPUTE_PGM_RSRC2:TGID_Y_EN: 0
; COMPUTE_PGM_RSRC2:TGID_Z_EN: 1
; COMPUTE_PGM_RSRC2:TIDIG_COMP_CNT: 1
	.section	.text._ZL9moe_vec_qIN3c104HalfELi256ELi8E11block_iq3_sLi1EXadL_ZL18vec_dot_iq3_s_q8_1PKvPK10block_q8_1RKiEEEvS4_S4_PT_PS8_iiii,"axG",@progbits,_ZL9moe_vec_qIN3c104HalfELi256ELi8E11block_iq3_sLi1EXadL_ZL18vec_dot_iq3_s_q8_1PKvPK10block_q8_1RKiEEEvS4_S4_PT_PS8_iiii,comdat
	.globl	_ZL9moe_vec_qIN3c104HalfELi256ELi8E11block_iq3_sLi1EXadL_ZL18vec_dot_iq3_s_q8_1PKvPK10block_q8_1RKiEEEvS4_S4_PT_PS8_iiii ; -- Begin function _ZL9moe_vec_qIN3c104HalfELi256ELi8E11block_iq3_sLi1EXadL_ZL18vec_dot_iq3_s_q8_1PKvPK10block_q8_1RKiEEEvS4_S4_PT_PS8_iiii
	.p2align	8
	.type	_ZL9moe_vec_qIN3c104HalfELi256ELi8E11block_iq3_sLi1EXadL_ZL18vec_dot_iq3_s_q8_1PKvPK10block_q8_1RKiEEEvS4_S4_PT_PS8_iiii,@function
_ZL9moe_vec_qIN3c104HalfELi256ELi8E11block_iq3_sLi1EXadL_ZL18vec_dot_iq3_s_q8_1PKvPK10block_q8_1RKiEEEvS4_S4_PT_PS8_iiii: ; @_ZL9moe_vec_qIN3c104HalfELi256ELi8E11block_iq3_sLi1EXadL_ZL18vec_dot_iq3_s_q8_1PKvPK10block_q8_1RKiEEEvS4_S4_PT_PS8_iiii
; %bb.0:
	s_clause 0x1
	s_load_u16 s3, s[0:1], 0x3e
	s_load_b128 s[4:7], s[0:1], 0x20
	s_bfe_u32 s2, ttmp6, 0x4000c
	s_and_b32 s8, ttmp6, 15
	s_add_co_i32 s2, s2, 1
	v_bfe_u32 v1, v0, 10, 10
	s_mul_i32 s2, ttmp9, s2
	s_delay_alu instid0(SALU_CYCLE_1) | instskip(SKIP_1) | instid1(SALU_CYCLE_1)
	s_add_co_i32 s8, s8, s2
	s_getreg_b32 s2, hwreg(HW_REG_IB_STS2, 6, 4)
	s_cmp_eq_u32 s2, 0
	s_cselect_b32 s8, ttmp9, s8
	s_wait_kmcnt 0x0
	v_mad_u32 v22, s8, s3, v1
	s_mov_b32 s3, exec_lo
	s_delay_alu instid0(VALU_DEP_1)
	v_cmpx_gt_u32_e64 s6, v22
	s_cbranch_execz .LBB271_9
; %bb.1:
	s_load_b64 s[8:9], s[0:1], 0x10
	s_bfe_u32 s3, ttmp6, 0x40014
	s_lshr_b32 s10, ttmp7, 16
	s_add_co_i32 s3, s3, 1
	s_bfe_u32 s11, ttmp6, 0x40008
	s_mul_i32 s3, s10, s3
	v_bfe_u32 v24, v0, 3, 7
	s_add_co_i32 s11, s11, s3
	s_cmp_eq_u32 s2, 0
	v_and_b32_e32 v23, 0x3ff, v0
	s_cselect_b32 s10, s10, s11
	s_ashr_i32 s2, s5, 31
	v_mov_b32_e32 v1, 0
	s_lshr_b32 s2, s2, 24
	s_mov_b32 s11, exec_lo
	s_add_co_i32 s2, s5, s2
	s_delay_alu instid0(SALU_CYCLE_1) | instskip(NEXT) | instid1(SALU_CYCLE_1)
	s_ashr_i32 s12, s2, 8
	v_cmpx_gt_u32_e64 s12, v24
	s_cbranch_execz .LBB271_7
; %bb.2:
	s_load_b64 s[2:3], s[0:1], 0x18
	s_cvt_f32_u32 s5, s4
	s_sub_co_i32 s16, 0, s4
	s_mul_i32 s15, s12, s6
	v_dual_mov_b32 v1, 0 :: v_dual_bitop2_b32 v2, 7, v23 bitop3:0x40
	v_rcp_iflag_f32_e32 v0, s5
	v_lshlrev_b32_e32 v12, 2, v23
	v_mul_lo_u32 v25, v22, s12
	s_delay_alu instid0(VALU_DEP_3) | instskip(SKIP_1) | instid1(TRANS32_DEP_1)
	v_dual_mov_b32 v5, v1 :: v_dual_lshlrev_b32 v4, 2, v2
	v_dual_mov_b32 v3, v1 :: v_dual_mov_b32 v7, v1
	v_readfirstlane_b32 s5, v0
	v_lshlrev_b32_e32 v0, 3, v2
	v_bfe_u32 v6, v23, 1, 2
	s_mul_f32 s14, s5, 0x4f7ffffe
	s_mov_b32 s5, 0
	s_wait_kmcnt 0x0
	s_load_b32 s13, s[2:3], s10 offset:0x0 scale_offset
	v_add_nc_u32_e32 v26, v24, v25
	s_cvt_u32_f32 s14, s14
	s_wait_xcnt 0x0
	s_load_b128 s[0:3], s[0:1], 0x0
	s_delay_alu instid0(SALU_CYCLE_1) | instskip(NEXT) | instid1(SALU_CYCLE_1)
	s_mul_i32 s16, s16, s14
	s_mul_hi_u32 s16, s14, s16
	s_delay_alu instid0(SALU_CYCLE_1) | instskip(NEXT) | instid1(SALU_CYCLE_1)
	s_add_co_i32 s14, s14, s16
	s_mul_hi_u32 s16, s10, s14
	s_delay_alu instid0(SALU_CYCLE_1)
	s_mul_i32 s14, s16, s4
	s_add_co_i32 s17, s16, 1
	s_sub_co_i32 s18, s10, s14
	s_wait_kmcnt 0x0
	s_mul_i32 s14, s15, s13
	s_sub_co_i32 s13, s18, s4
	s_ashr_i32 s15, s14, 31
	s_cmp_ge_u32 s18, s4
	s_mul_u64 s[14:15], s[14:15], 0x6e
	s_cselect_b32 s16, s17, s16
	s_cselect_b32 s13, s13, s18
	s_add_co_i32 s17, s16, 1
	s_cmp_ge_u32 s13, s4
	s_add_nc_u64 s[0:1], s[0:1], s[14:15]
	s_cselect_b32 s4, s17, s16
	v_add_nc_u64_e32 v[8:9], s[0:1], v[4:5]
	s_mul_i32 s4, s4, s7
	v_add_nc_u64_e32 v[10:11], s[0:1], v[0:1]
	s_lshl_b64 s[14:15], s[4:5], 2
	v_and_b32_e32 v0, 4, v12
	s_add_nc_u64 s[2:3], s[2:3], s[14:15]
	s_delay_alu instid0(VALU_DEP_3) | instskip(SKIP_1) | instid1(VALU_DEP_4)
	v_add_nc_u64_e32 v[8:9], 0x4a, v[8:9]
	v_mad_nc_u64_u32 v[4:5], v2, 36, s[2:3]
	v_add_nc_u64_e32 v[10:11], 2, v[10:11]
	s_get_pc_i64 s[2:3]
	s_add_nc_u64 s[2:3], s[2:3], _ZL10iq3xs_grid@rel64+4
.LBB271_3:                              ; =>This Loop Header: Depth=1
                                        ;     Child Loop BB271_4 Depth 2
	v_add_nc_u32_e32 v12, v24, v25
	s_delay_alu instid0(VALU_DEP_4) | instskip(NEXT) | instid1(VALU_DEP_3)
	v_mad_nc_i64_i32 v[16:17], 0x6e, v26, v[8:9]
	v_mad_nc_i64_i32 v[18:19], 0x6e, v26, v[10:11]
	v_mov_b32_e32 v27, 0
	s_mov_b32 s4, 7
	v_mad_nc_i64_i32 v[12:13], 0x6e, v12, s[0:1]
	s_delay_alu instid0(VALU_DEP_1) | instskip(SKIP_3) | instid1(VALU_DEP_1)
	v_add_nc_u64_e32 v[14:15], v[12:13], v[2:3]
	global_load_u8 v28, v[14:15], off offset:66
	s_wait_xcnt 0x0
	v_lshlrev_b32_e32 v14, 3, v24
	v_mad_nc_i64_i32 v[14:15], v14, 36, v[4:5]
	s_delay_alu instid0(VALU_DEP_1)
	v_add_nc_u64_e32 v[20:21], 4, v[14:15]
.LBB271_4:                              ;   Parent Loop BB271_3 Depth=1
                                        ; =>  This Inner Loop Header: Depth=2
	global_load_u16 v29, v[18:19], off
	s_add_co_i32 s7, s4, 1
	s_wait_loadcnt 0x1
	v_dual_lshlrev_b32 v30, s4, v28 :: v_dual_lshlrev_b32 v31, s7, v28
	global_load_u8 v32, v[16:17], off
	s_wait_xcnt 0x0
	v_add_nc_u64_e32 v[16:17], 1, v[16:17]
	v_add_nc_u64_e32 v[18:19], 2, v[18:19]
	s_add_co_i32 s4, s4, -2
	s_delay_alu instid0(SALU_CYCLE_1) | instskip(SKIP_3) | instid1(VALU_DEP_2)
	s_cmp_lg_u32 s4, -1
	s_wait_loadcnt 0x1
	v_lshrrev_b16 v33, 8, v29
	v_and_b32_e32 v29, 0xff, v29
	v_and_b32_e32 v33, 0xffff, v33
	s_delay_alu instid0(VALU_DEP_2) | instskip(NEXT) | instid1(VALU_DEP_2)
	v_and_or_b32 v29, 0x100, v31, v29
	v_and_or_b32 v33, 0x100, v30, v33
	s_clause 0x1
	global_load_b32 v34, v29, s[2:3] scale_offset
	global_load_b32 v35, v33, s[2:3] scale_offset
	global_load_b64 v[30:31], v[20:21], off
	s_wait_loadcnt 0x3
	s_wait_xcnt 0x2
	v_and_b32_e32 v29, 15, v32
	v_lshrrev_b16 v32, 4, v32
	s_wait_xcnt 0x0
	v_add_nc_u64_e32 v[20:21], 8, v[20:21]
	s_delay_alu instid0(VALU_DEP_2) | instskip(NEXT) | instid1(VALU_DEP_1)
	v_and_b32_e32 v32, 0xffff, v32
	v_mul_lo_u32 v32, 0x1010101, v32
	s_delay_alu instid0(VALU_DEP_1)
	v_bitop3_b32 v44, v32, 0x8040201, v32 bitop3:0xc
	v_bitop3_b32 v45, v32, 0x40000, v32 bitop3:0xc
	;; [unrolled: 1-line block ×4, first 2 shown]
	s_wait_loadcnt 0x0
	v_ashrrev_i32_e32 v37, 24, v30
	v_and_b32_e32 v29, 0xffff, v29
	v_lshrrev_b16 v33, 8, v30
	v_lshrrev_b16 v36, 8, v31
	v_bfe_i32 v40, v31, 16, 8
	v_bfe_i32 v38, v30, 16, 8
	v_mul_lo_u32 v29, 0x1010101, v29
	v_bfe_i32 v30, v30, 0, 8
	v_bfe_i32 v33, v33, 0, 8
	v_bfe_i32 v36, v36, 0, 8
	s_delay_alu instid0(VALU_DEP_4) | instskip(SKIP_3) | instid1(VALU_DEP_4)
	v_bitop3_b32 v41, v29, 0x8040201, v29 bitop3:0xc
	v_bitop3_b32 v42, v29, 0x40000, v29 bitop3:0xc
	v_bitop3_b32 v43, v29, 0x200, v29 bitop3:0xc
	v_bitop3_b32 v29, v29, 1, v29 bitop3:0xc
	v_cmp_gt_u32_e32 vcc_lo, 0x1000000, v41
	v_cndmask_b32_e64 v41, 0, -1, vcc_lo
	v_cmp_eq_u32_e32 vcc_lo, 0, v42
	v_ashrrev_i32_e32 v39, 24, v31
	v_bfe_i32 v31, v31, 0, 8
	s_delay_alu instid0(VALU_DEP_4)
	v_lshlrev_b32_e32 v41, 24, v41
	v_cndmask_b32_e64 v42, 0, 0xff0000, vcc_lo
	v_cmp_eq_u32_e32 vcc_lo, 0, v43
	v_cndmask_b32_e64 v43, 0, 0xff00, vcc_lo
	v_cmp_eq_u32_e32 vcc_lo, 0, v29
	v_cndmask_b32_e64 v29, 0, 0xff, vcc_lo
	v_cmp_gt_u32_e32 vcc_lo, 0x1000000, v44
	s_delay_alu instid0(VALU_DEP_2) | instskip(SKIP_2) | instid1(VALU_DEP_3)
	v_or3_b32 v47, v43, v29, v42
	v_cndmask_b32_e64 v44, 0, -1, vcc_lo
	v_cmp_eq_u32_e32 vcc_lo, 0, v45
	v_bitop3_b32 v34, v47, v34, v41 bitop3:0x36
	s_delay_alu instid0(VALU_DEP_3) | instskip(SKIP_2) | instid1(VALU_DEP_4)
	v_lshlrev_b32_e32 v44, 24, v44
	v_cndmask_b32_e64 v45, 0, 0xff0000, vcc_lo
	v_cmp_eq_u32_e32 vcc_lo, 0, v46
	v_dual_sub_nc_u32 v42, v34, v42 :: v_dual_sub_nc_u32 v29, v34, v29
	v_cndmask_b32_e64 v46, 0, 0xff00, vcc_lo
	v_cmp_eq_u32_e32 vcc_lo, 0, v32
	v_cndmask_b32_e64 v32, 0, 0xff, vcc_lo
	s_delay_alu instid0(VALU_DEP_1) | instskip(NEXT) | instid1(VALU_DEP_1)
	v_or3_b32 v48, v46, v32, v45
	v_bitop3_b32 v35, v48, v35, v44 bitop3:0x36
	v_dual_sub_nc_u32 v41, v34, v41 :: v_dual_sub_nc_u32 v34, v34, v43
	v_perm_b32 v29, v42, v29, 0xc060c00
	s_delay_alu instid0(VALU_DEP_3) | instskip(SKIP_1) | instid1(VALU_DEP_4)
	v_dual_sub_nc_u32 v42, v35, v45 :: v_dual_sub_nc_u32 v43, v35, v46
	v_sub_nc_u32_e32 v32, v35, v32
	v_dual_sub_nc_u32 v35, v35, v44 :: v_dual_ashrrev_i32 v41, 24, v41
	v_lshrrev_b16 v34, 8, v34
	s_delay_alu instid0(VALU_DEP_3) | instskip(SKIP_1) | instid1(VALU_DEP_4)
	v_perm_b32 v32, v42, v32, 0xc060c00
	v_lshrrev_b16 v42, 8, v43
	v_ashrrev_i32_e32 v35, 24, v35
	v_bfe_i32 v43, v29, 0, 8
	v_bfe_i32 v29, v29, 16, 8
	;; [unrolled: 1-line block ×6, first 2 shown]
	v_mul_i32_i24_e32 v35, v35, v39
	v_mul_i32_i24_e32 v39, v44, v40
	;; [unrolled: 1-line block ×6, first 2 shown]
	v_mad_i32_i24 v34, v41, v37, v35
	v_mad_i32_i24 v29, v29, v38, v39
	s_delay_alu instid0(VALU_DEP_2) | instskip(NEXT) | instid1(VALU_DEP_2)
	v_add3_u32 v32, v33, v32, v34
	v_add3_u32 v29, v30, v31, v29
	s_delay_alu instid0(VALU_DEP_1)
	v_add3_u32 v27, v29, v32, v27
	s_cbranch_scc1 .LBB271_4
; %bb.5:                                ;   in Loop: Header=BB271_3 Depth=1
	v_add_nc_u64_e32 v[16:17], v[12:13], v[6:7]
	s_clause 0x1
	global_load_u8 v18, v[16:17], off offset:106
	global_load_u16 v19, v[12:13], off
	global_load_b32 v20, v[14:15], off
	v_dual_add_nc_u32 v26, 4, v26 :: v_dual_add_nc_u32 v24, 4, v24
	s_delay_alu instid0(VALU_DEP_1)
	v_cmp_le_u32_e32 vcc_lo, s12, v24
	s_or_b32 s5, vcc_lo, s5
	s_wait_loadcnt 0x2
	s_wait_xcnt 0x1
	v_bfe_u32 v12, v18, v0, 4
	s_wait_loadcnt 0x1
	v_cvt_f32_f16_e32 v13, v19
	s_wait_loadcnt 0x0
	v_cvt_f32_f16_e32 v14, v20
	v_cvt_f32_ubyte0_e32 v12, v12
	s_delay_alu instid0(VALU_DEP_1) | instskip(NEXT) | instid1(VALU_DEP_1)
	v_add_f32_e32 v12, 0.5, v12
	v_mul_f32_e32 v12, v12, v13
	v_cvt_f32_i32_e32 v13, v27
	s_delay_alu instid0(VALU_DEP_2) | instskip(NEXT) | instid1(VALU_DEP_1)
	v_mul_f32_e32 v12, v12, v14
	v_mul_f32_e32 v12, 0.5, v12
	s_delay_alu instid0(VALU_DEP_1)
	v_fmac_f32_e32 v1, v12, v13
	s_and_not1_b32 exec_lo, exec_lo, s5
	s_cbranch_execnz .LBB271_3
; %bb.6:
	s_or_b32 exec_lo, exec_lo, s5
.LBB271_7:
	s_delay_alu instid0(SALU_CYCLE_1) | instskip(SKIP_1) | instid1(VALU_DEP_1)
	s_or_b32 exec_lo, exec_lo, s11
	v_mbcnt_lo_u32_b32 v0, -1, 0
	v_xor_b32_e32 v3, 8, v0
	v_xor_b32_e32 v2, 16, v0
	s_delay_alu instid0(VALU_DEP_1) | instskip(SKIP_1) | instid1(VALU_DEP_4)
	v_cmp_gt_i32_e32 vcc_lo, 32, v2
	v_cndmask_b32_e32 v2, v0, v2, vcc_lo
	v_cmp_gt_i32_e32 vcc_lo, 32, v3
	v_cndmask_b32_e32 v3, v0, v3, vcc_lo
	s_delay_alu instid0(VALU_DEP_1)
	v_dual_lshlrev_b32 v3, 2, v3 :: v_dual_lshlrev_b32 v2, 2, v2
	ds_bpermute_b32 v2, v2, v1
	s_wait_dscnt 0x0
	v_add_f32_e32 v1, v1, v2
	ds_bpermute_b32 v2, v3, v1
	v_xor_b32_e32 v3, 4, v0
	s_delay_alu instid0(VALU_DEP_1) | instskip(SKIP_2) | instid1(VALU_DEP_1)
	v_cmp_gt_i32_e32 vcc_lo, 32, v3
	s_wait_dscnt 0x0
	v_dual_cndmask_b32 v3, v0, v3, vcc_lo :: v_dual_add_f32 v1, v1, v2
	v_lshlrev_b32_e32 v3, 2, v3
	ds_bpermute_b32 v2, v3, v1
	s_wait_dscnt 0x0
	v_dual_add_f32 v1, v1, v2 :: v_dual_bitop2_b32 v3, 2, v0 bitop3:0x14
	s_delay_alu instid0(VALU_DEP_1) | instskip(SKIP_1) | instid1(VALU_DEP_1)
	v_cmp_gt_i32_e32 vcc_lo, 32, v3
	v_cndmask_b32_e32 v3, v0, v3, vcc_lo
	v_lshlrev_b32_e32 v3, 2, v3
	ds_bpermute_b32 v2, v3, v1
	v_xor_b32_e32 v3, 1, v0
	s_delay_alu instid0(VALU_DEP_1) | instskip(SKIP_3) | instid1(VALU_DEP_2)
	v_cmp_gt_i32_e32 vcc_lo, 32, v3
	v_cndmask_b32_e32 v3, v0, v3, vcc_lo
	v_cmp_eq_u32_e32 vcc_lo, 0, v23
	s_wait_dscnt 0x0
	v_dual_add_f32 v0, v1, v2 :: v_dual_lshlrev_b32 v1, 2, v3
	ds_bpermute_b32 v1, v1, v0
	s_and_b32 exec_lo, exec_lo, vcc_lo
	s_cbranch_execz .LBB271_9
; %bb.8:
	v_mad_u32 v2, s6, s10, v22
	s_wait_dscnt 0x0
	v_add_f32_e32 v0, v0, v1
	s_delay_alu instid0(VALU_DEP_1)
	v_cvt_f16_f32_e32 v0, v0
	s_wait_kmcnt 0x0
	global_store_b16 v2, v0, s[8:9] scale_offset
.LBB271_9:
	s_endpgm
	.section	.rodata,"a",@progbits
	.p2align	6, 0x0
	.amdhsa_kernel _ZL9moe_vec_qIN3c104HalfELi256ELi8E11block_iq3_sLi1EXadL_ZL18vec_dot_iq3_s_q8_1PKvPK10block_q8_1RKiEEEvS4_S4_PT_PS8_iiii
		.amdhsa_group_segment_fixed_size 0
		.amdhsa_private_segment_fixed_size 0
		.amdhsa_kernarg_size 304
		.amdhsa_user_sgpr_count 2
		.amdhsa_user_sgpr_dispatch_ptr 0
		.amdhsa_user_sgpr_queue_ptr 0
		.amdhsa_user_sgpr_kernarg_segment_ptr 1
		.amdhsa_user_sgpr_dispatch_id 0
		.amdhsa_user_sgpr_kernarg_preload_length 0
		.amdhsa_user_sgpr_kernarg_preload_offset 0
		.amdhsa_user_sgpr_private_segment_size 0
		.amdhsa_wavefront_size32 1
		.amdhsa_uses_dynamic_stack 0
		.amdhsa_enable_private_segment 0
		.amdhsa_system_sgpr_workgroup_id_x 1
		.amdhsa_system_sgpr_workgroup_id_y 0
		.amdhsa_system_sgpr_workgroup_id_z 1
		.amdhsa_system_sgpr_workgroup_info 0
		.amdhsa_system_vgpr_workitem_id 1
		.amdhsa_next_free_vgpr 49
		.amdhsa_next_free_sgpr 19
		.amdhsa_named_barrier_count 0
		.amdhsa_reserve_vcc 1
		.amdhsa_float_round_mode_32 0
		.amdhsa_float_round_mode_16_64 0
		.amdhsa_float_denorm_mode_32 3
		.amdhsa_float_denorm_mode_16_64 3
		.amdhsa_fp16_overflow 0
		.amdhsa_memory_ordered 1
		.amdhsa_forward_progress 1
		.amdhsa_inst_pref_size 15
		.amdhsa_round_robin_scheduling 0
		.amdhsa_exception_fp_ieee_invalid_op 0
		.amdhsa_exception_fp_denorm_src 0
		.amdhsa_exception_fp_ieee_div_zero 0
		.amdhsa_exception_fp_ieee_overflow 0
		.amdhsa_exception_fp_ieee_underflow 0
		.amdhsa_exception_fp_ieee_inexact 0
		.amdhsa_exception_int_div_zero 0
	.end_amdhsa_kernel
	.section	.text._ZL9moe_vec_qIN3c104HalfELi256ELi8E11block_iq3_sLi1EXadL_ZL18vec_dot_iq3_s_q8_1PKvPK10block_q8_1RKiEEEvS4_S4_PT_PS8_iiii,"axG",@progbits,_ZL9moe_vec_qIN3c104HalfELi256ELi8E11block_iq3_sLi1EXadL_ZL18vec_dot_iq3_s_q8_1PKvPK10block_q8_1RKiEEEvS4_S4_PT_PS8_iiii,comdat
.Lfunc_end271:
	.size	_ZL9moe_vec_qIN3c104HalfELi256ELi8E11block_iq3_sLi1EXadL_ZL18vec_dot_iq3_s_q8_1PKvPK10block_q8_1RKiEEEvS4_S4_PT_PS8_iiii, .Lfunc_end271-_ZL9moe_vec_qIN3c104HalfELi256ELi8E11block_iq3_sLi1EXadL_ZL18vec_dot_iq3_s_q8_1PKvPK10block_q8_1RKiEEEvS4_S4_PT_PS8_iiii
                                        ; -- End function
	.set _ZL9moe_vec_qIN3c104HalfELi256ELi8E11block_iq3_sLi1EXadL_ZL18vec_dot_iq3_s_q8_1PKvPK10block_q8_1RKiEEEvS4_S4_PT_PS8_iiii.num_vgpr, 49
	.set _ZL9moe_vec_qIN3c104HalfELi256ELi8E11block_iq3_sLi1EXadL_ZL18vec_dot_iq3_s_q8_1PKvPK10block_q8_1RKiEEEvS4_S4_PT_PS8_iiii.num_agpr, 0
	.set _ZL9moe_vec_qIN3c104HalfELi256ELi8E11block_iq3_sLi1EXadL_ZL18vec_dot_iq3_s_q8_1PKvPK10block_q8_1RKiEEEvS4_S4_PT_PS8_iiii.numbered_sgpr, 19
	.set _ZL9moe_vec_qIN3c104HalfELi256ELi8E11block_iq3_sLi1EXadL_ZL18vec_dot_iq3_s_q8_1PKvPK10block_q8_1RKiEEEvS4_S4_PT_PS8_iiii.num_named_barrier, 0
	.set _ZL9moe_vec_qIN3c104HalfELi256ELi8E11block_iq3_sLi1EXadL_ZL18vec_dot_iq3_s_q8_1PKvPK10block_q8_1RKiEEEvS4_S4_PT_PS8_iiii.private_seg_size, 0
	.set _ZL9moe_vec_qIN3c104HalfELi256ELi8E11block_iq3_sLi1EXadL_ZL18vec_dot_iq3_s_q8_1PKvPK10block_q8_1RKiEEEvS4_S4_PT_PS8_iiii.uses_vcc, 1
	.set _ZL9moe_vec_qIN3c104HalfELi256ELi8E11block_iq3_sLi1EXadL_ZL18vec_dot_iq3_s_q8_1PKvPK10block_q8_1RKiEEEvS4_S4_PT_PS8_iiii.uses_flat_scratch, 0
	.set _ZL9moe_vec_qIN3c104HalfELi256ELi8E11block_iq3_sLi1EXadL_ZL18vec_dot_iq3_s_q8_1PKvPK10block_q8_1RKiEEEvS4_S4_PT_PS8_iiii.has_dyn_sized_stack, 0
	.set _ZL9moe_vec_qIN3c104HalfELi256ELi8E11block_iq3_sLi1EXadL_ZL18vec_dot_iq3_s_q8_1PKvPK10block_q8_1RKiEEEvS4_S4_PT_PS8_iiii.has_recursion, 0
	.set _ZL9moe_vec_qIN3c104HalfELi256ELi8E11block_iq3_sLi1EXadL_ZL18vec_dot_iq3_s_q8_1PKvPK10block_q8_1RKiEEEvS4_S4_PT_PS8_iiii.has_indirect_call, 0
	.section	.AMDGPU.csdata,"",@progbits
; Kernel info:
; codeLenInByte = 1816
; TotalNumSgprs: 21
; NumVgprs: 49
; ScratchSize: 0
; MemoryBound: 0
; FloatMode: 240
; IeeeMode: 1
; LDSByteSize: 0 bytes/workgroup (compile time only)
; SGPRBlocks: 0
; VGPRBlocks: 3
; NumSGPRsForWavesPerEU: 21
; NumVGPRsForWavesPerEU: 49
; NamedBarCnt: 0
; Occupancy: 16
; WaveLimiterHint : 1
; COMPUTE_PGM_RSRC2:SCRATCH_EN: 0
; COMPUTE_PGM_RSRC2:USER_SGPR: 2
; COMPUTE_PGM_RSRC2:TRAP_HANDLER: 0
; COMPUTE_PGM_RSRC2:TGID_X_EN: 1
; COMPUTE_PGM_RSRC2:TGID_Y_EN: 0
; COMPUTE_PGM_RSRC2:TGID_Z_EN: 1
; COMPUTE_PGM_RSRC2:TIDIG_COMP_CNT: 1
	.section	.text._ZL9moe_vec_qIN3c104HalfELi256ELi8E11block_iq2_sLi1EXadL_ZL18vec_dot_iq2_s_q8_1PKvPK10block_q8_1RKiEEEvS4_S4_PT_PS8_iiii,"axG",@progbits,_ZL9moe_vec_qIN3c104HalfELi256ELi8E11block_iq2_sLi1EXadL_ZL18vec_dot_iq2_s_q8_1PKvPK10block_q8_1RKiEEEvS4_S4_PT_PS8_iiii,comdat
	.globl	_ZL9moe_vec_qIN3c104HalfELi256ELi8E11block_iq2_sLi1EXadL_ZL18vec_dot_iq2_s_q8_1PKvPK10block_q8_1RKiEEEvS4_S4_PT_PS8_iiii ; -- Begin function _ZL9moe_vec_qIN3c104HalfELi256ELi8E11block_iq2_sLi1EXadL_ZL18vec_dot_iq2_s_q8_1PKvPK10block_q8_1RKiEEEvS4_S4_PT_PS8_iiii
	.p2align	8
	.type	_ZL9moe_vec_qIN3c104HalfELi256ELi8E11block_iq2_sLi1EXadL_ZL18vec_dot_iq2_s_q8_1PKvPK10block_q8_1RKiEEEvS4_S4_PT_PS8_iiii,@function
_ZL9moe_vec_qIN3c104HalfELi256ELi8E11block_iq2_sLi1EXadL_ZL18vec_dot_iq2_s_q8_1PKvPK10block_q8_1RKiEEEvS4_S4_PT_PS8_iiii: ; @_ZL9moe_vec_qIN3c104HalfELi256ELi8E11block_iq2_sLi1EXadL_ZL18vec_dot_iq2_s_q8_1PKvPK10block_q8_1RKiEEEvS4_S4_PT_PS8_iiii
; %bb.0:
	s_clause 0x1
	s_load_u16 s2, s[0:1], 0x3e
	s_load_b128 s[4:7], s[0:1], 0x20
	s_bfe_u32 s3, ttmp6, 0x4000c
	s_and_b32 s8, ttmp6, 15
	s_add_co_i32 s3, s3, 1
	v_bfe_u32 v1, v0, 10, 10
	s_mul_i32 s3, ttmp9, s3
	s_delay_alu instid0(SALU_CYCLE_1) | instskip(SKIP_1) | instid1(SALU_CYCLE_1)
	s_add_co_i32 s3, s8, s3
	s_getreg_b32 s8, hwreg(HW_REG_IB_STS2, 6, 4)
	s_cmp_eq_u32 s8, 0
	s_cselect_b32 s3, ttmp9, s3
	s_wait_kmcnt 0x0
	v_mad_u32 v22, s3, s2, v1
	s_mov_b32 s2, exec_lo
	s_delay_alu instid0(VALU_DEP_1)
	v_cmpx_gt_u32_e64 s6, v22
	s_cbranch_execz .LBB272_7
; %bb.1:
	s_load_b64 s[2:3], s[0:1], 0x10
	s_bfe_u32 s9, ttmp6, 0x40014
	s_lshr_b32 s10, ttmp7, 16
	s_add_co_i32 s9, s9, 1
	s_bfe_u32 s11, ttmp6, 0x40008
	s_mul_i32 s9, s10, s9
	v_bfe_u32 v24, v0, 3, 7
	s_add_co_i32 s11, s11, s9
	s_cmp_eq_u32 s8, 0
	v_and_b32_e32 v23, 0x3ff, v0
	s_cselect_b32 s10, s10, s11
	s_ashr_i32 s8, s5, 31
	v_mov_b32_e32 v25, 0
	s_lshr_b32 s8, s8, 24
	s_mov_b32 s11, exec_lo
	s_add_co_i32 s5, s5, s8
	s_delay_alu instid0(SALU_CYCLE_1) | instskip(NEXT) | instid1(SALU_CYCLE_1)
	s_ashr_i32 s12, s5, 8
	v_cmpx_gt_u32_e64 s12, v24
	s_cbranch_execz .LBB272_5
; %bb.2:
	s_clause 0x1
	s_load_b64 s[8:9], s[0:1], 0x18
	s_load_b128 s[16:19], s[0:1], 0x0
	s_cvt_f32_u32 s5, s4
	s_wait_xcnt 0x0
	s_mul_i32 s1, s12, s6
	v_dual_mov_b32 v5, 0 :: v_dual_bitop2_b32 v4, 7, v23 bitop3:0x40
	v_rcp_iflag_f32_e32 v0, s5
	v_mul_lo_u32 v26, v22, s12
	v_lshlrev_b32_e32 v27, 3, v24
	s_delay_alu instid0(VALU_DEP_3) | instskip(SKIP_1) | instid1(TRANS32_DEP_1)
	v_dual_mov_b32 v9, v5 :: v_dual_lshlrev_b32 v8, 2, v4
	v_mov_b32_e32 v25, v5
	v_readfirstlane_b32 s5, v0
	s_mul_f32 s5, s5, 0x4f7ffffe
	s_wait_kmcnt 0x0
	s_load_b32 s8, s[8:9], s10 offset:0x0 scale_offset
	s_wait_xcnt 0x0
	s_sub_co_i32 s9, 0, s4
	s_cvt_u32_f32 s5, s5
	s_delay_alu instid0(SALU_CYCLE_3) | instskip(NEXT) | instid1(SALU_CYCLE_1)
	s_mul_i32 s9, s9, s5
	s_mul_hi_u32 s9, s5, s9
	s_delay_alu instid0(SALU_CYCLE_1) | instskip(NEXT) | instid1(SALU_CYCLE_1)
	s_add_co_i32 s5, s5, s9
	s_mul_hi_u32 s0, s10, s5
	s_delay_alu instid0(SALU_CYCLE_1)
	s_mul_i32 s5, s0, s4
	s_add_co_i32 s13, s0, 1
	s_sub_co_i32 s5, s10, s5
	s_wait_kmcnt 0x0
	s_mul_i32 s8, s1, s8
	s_sub_co_i32 s1, s5, s4
	s_ashr_i32 s9, s8, 31
	s_cmp_ge_u32 s5, s4
	s_mul_u64 s[8:9], s[8:9], 0x52
	s_cselect_b32 s0, s13, s0
	s_cselect_b32 s1, s1, s5
	s_add_co_i32 s5, s0, 1
	s_cmp_ge_u32 s1, s4
	s_mov_b32 s1, 0
	s_cselect_b32 s0, s5, s0
	s_add_nc_u64 s[8:9], s[16:17], s[8:9]
	s_mul_i32 s0, s0, s7
	s_delay_alu instid0(SALU_CYCLE_1) | instskip(NEXT) | instid1(SALU_CYCLE_1)
	s_lshl_b64 s[4:5], s[0:1], 2
	s_add_nc_u64 s[4:5], s[18:19], s[4:5]
	s_delay_alu instid0(SALU_CYCLE_1)
	v_mad_nc_u64_u32 v[6:7], v4, 36, s[4:5]
	s_get_pc_i64 s[4:5]
	s_add_nc_u64 s[4:5], s[4:5], _ZL9iq2s_grid@rel64+4
.LBB272_3:                              ; =>This Inner Loop Header: Depth=1
	v_add_nc_u32_e32 v0, v26, v24
	s_delay_alu instid0(VALU_DEP_2) | instskip(SKIP_1) | instid1(VALU_DEP_3)
	v_mad_nc_i64_i32 v[12:13], v27, 36, v[6:7]
	v_dual_add_nc_u32 v24, 4, v24 :: v_dual_add_nc_u32 v27, 32, v27
	v_mad_nc_i64_i32 v[10:11], 0x52, v0, s[8:9]
	s_delay_alu instid0(VALU_DEP_1)
	v_add_nc_u64_e32 v[14:15], v[10:11], v[8:9]
	v_add_nc_u64_e32 v[16:17], v[10:11], v[4:5]
	s_clause 0x1
	global_load_b32 v18, v[14:15], off offset:2
	global_load_u8 v19, v[16:17], off offset:66
	global_load_b128 v[0:3], v[12:13], off offset:20
	s_clause 0x1
	global_load_u8 v34, v[16:17], off offset:74
	global_load_b32 v35, v[14:15], off offset:34
	s_wait_loadcnt 0x4
	s_wait_xcnt 0x0
	v_and_b32_e32 v14, 0xff, v18
	s_wait_loadcnt 0x3
	v_lshlrev_b32_e32 v15, 8, v19
	v_bfe_u32 v16, v18, 8, 8
	v_dual_lshlrev_b32 v17, 6, v19 :: v_dual_lshlrev_b32 v21, 4, v19
	v_bfe_u32 v20, v18, 16, 8
	v_dual_lshrrev_b32 v18, 24, v18 :: v_dual_lshlrev_b32 v19, 2, v19
	v_and_or_b32 v36, 0x300, v15, v14
	s_delay_alu instid0(VALU_DEP_4) | instskip(NEXT) | instid1(VALU_DEP_4)
	v_and_or_b32 v37, 0x300, v17, v16
	v_and_or_b32 v38, 0x300, v21, v20
	s_delay_alu instid0(VALU_DEP_4)
	v_and_or_b32 v39, 0x300, v19, v18
	s_clause 0x3
	global_load_b64 v[20:21], v36, s[4:5] scale_offset
	global_load_b64 v[18:19], v37, s[4:5] scale_offset
	;; [unrolled: 1-line block ×4, first 2 shown]
	s_clause 0x1
	global_load_b128 v[30:33], v[12:13], off offset:4
	global_load_b32 v29, v[12:13], off
	global_load_u16 v28, v[10:11], off
	s_wait_loadcnt 0x9
	s_wait_xcnt 0x1
	v_perm_b32 v12, v0, v1, 0xc0c0400
	v_perm_b32 v13, v3, v2, 0x4000c0c
	s_wait_xcnt 0x0
	v_perm_b32 v11, v3, v2, 0x6020c0c
	v_perm_b32 v37, v3, v2, 0x7030c0c
	;; [unrolled: 1-line block ×4, first 2 shown]
	v_or_b32_e32 v3, v13, v12
	v_perm_b32 v36, v0, v1, 0xc0c0703
	v_perm_b32 v1, v0, v1, 0xc0c0501
	s_delay_alu instid0(VALU_DEP_4) | instskip(NEXT) | instid1(VALU_DEP_2)
	v_or_b32_e32 v0, v11, v10
	v_or_b32_e32 v11, v2, v1
	s_wait_loadcnt 0x2
	v_perm_b32 v38, v30, v31, 0xc0c0602
	v_perm_b32 v40, v30, v31, 0xc0c0400
	;; [unrolled: 1-line block ×8, first 2 shown]
	v_bfe_u32 v33, v35, 8, 4
	v_or_b32_e32 v13, v31, v30
	v_and_b32_e32 v31, 15, v35
	v_or_b32_e32 v2, v41, v40
	v_or_b32_e32 v12, v43, v42
	v_mul_lo_u32 v33, 0x1010101, v33
	v_lshrrev_b16 v32, 4, v35
	v_mul_lo_u32 v31, 0x1010101, v31
	v_lshrrev_b32_e32 v30, 8, v35
	s_delay_alu instid0(VALU_DEP_1)
	v_lshrrev_b16 v30, 4, v30
	v_bitop3_b32 v43, v33, 0x8040201, v33 bitop3:0xc
	v_bitop3_b32 v44, v33, 0x40000, v33 bitop3:0xc
	v_bitop3_b32 v40, v31, 0x8040201, v31 bitop3:0xc
	v_bitop3_b32 v41, v31, 0x40000, v31 bitop3:0xc
	v_bitop3_b32 v42, v31, 0x200, v31 bitop3:0xc
	v_bitop3_b32 v31, v31, 1, v31 bitop3:0xc
	v_bitop3_b32 v45, v33, 0x200, v33 bitop3:0xc
	v_cmp_gt_u32_e32 vcc_lo, 0x1000000, v40
	v_bitop3_b32 v33, v33, 1, v33 bitop3:0xc
	v_cndmask_b32_e64 v40, 0, -1, vcc_lo
	v_cmp_eq_u32_e32 vcc_lo, 0, v41
	s_delay_alu instid0(VALU_DEP_2)
	v_lshlrev_b32_e32 v40, 24, v40
	v_cndmask_b32_e64 v41, 0, 0xff0000, vcc_lo
	v_cmp_eq_u32_e32 vcc_lo, 0, v42
	v_cndmask_b32_e64 v42, 0, 0xff00, vcc_lo
	v_cmp_eq_u32_e32 vcc_lo, 0, v31
	v_cndmask_b32_e64 v31, 0, 0xff, vcc_lo
	v_cmp_gt_u32_e32 vcc_lo, 0x1000000, v43
	s_delay_alu instid0(VALU_DEP_2)
	v_or3_b32 v58, v42, v31, v41
	v_cndmask_b32_e64 v43, 0, -1, vcc_lo
	v_or_b32_e32 v10, v37, v36
	v_bfe_u32 v36, v35, 16, 4
	v_bfe_u32 v37, v35, 20, 4
	v_cmp_eq_u32_e32 vcc_lo, 0, v44
	v_bitop3_b32 v20, v58, v20, v40 bitop3:0x36
	v_and_b32_e32 v32, 15, v32
	v_mul_lo_u32 v36, 0x1010101, v36
	v_mul_lo_u32 v37, 0x1010101, v37
	v_cndmask_b32_e64 v44, 0, 0xff0000, vcc_lo
	v_cmp_eq_u32_e32 vcc_lo, 0, v45
	v_sub_nc_u32_e32 v41, v20, v41
	v_and_b32_e32 v32, 0xffff, v32
	v_dual_sub_nc_u32 v40, v20, v40 :: v_dual_bitop2_b32 v30, 15, v30 bitop3:0x40
	v_cndmask_b32_e64 v45, 0, 0xff00, vcc_lo
	v_cmp_eq_u32_e32 vcc_lo, 0, v33
	s_delay_alu instid0(VALU_DEP_4)
	v_mul_lo_u32 v32, 0x1010101, v32
	v_bitop3_b32 v50, v36, 0x8040201, v36 bitop3:0xc
	v_bitop3_b32 v47, v37, 0x40000, v37 bitop3:0xc
	v_bitop3_b32 v48, v37, 0x200, v37 bitop3:0xc
	v_bitop3_b32 v49, v37, 1, v37 bitop3:0xc
	v_bitop3_b32 v37, v37, 0x8040201, v37 bitop3:0xc
	v_cndmask_b32_e64 v33, 0, 0xff, vcc_lo
	v_cmp_gt_u32_e32 vcc_lo, 0x1000000, v50
	v_bitop3_b32 v51, v36, 0x40000, v36 bitop3:0xc
	v_bitop3_b32 v46, v36, 1, v36 bitop3:0xc
	;; [unrolled: 1-line block ×4, first 2 shown]
	v_cndmask_b32_e64 v50, 0, -1, vcc_lo
	v_cmp_gt_u32_e32 vcc_lo, 0x1000000, v37
	v_bitop3_b32 v56, v32, 0x40000, v32 bitop3:0xc
	v_bitop3_b32 v57, v32, 0x200, v32 bitop3:0xc
	;; [unrolled: 1-line block ×3, first 2 shown]
	v_and_b32_e32 v30, 0xffff, v30
	v_cndmask_b32_e64 v37, 0, -1, vcc_lo
	v_cmp_eq_u32_e32 vcc_lo, 0, v51
	v_or_b32_e32 v1, v39, v38
	v_bfe_u32 v38, v35, 24, 4
	v_lshrrev_b32_e32 v35, 24, v35
	v_mul_lo_u32 v30, 0x1010101, v30
	v_cndmask_b32_e64 v51, 0, 0xff0000, vcc_lo
	v_cmp_eq_u32_e32 vcc_lo, 0, v36
	v_mul_lo_u32 v38, 0x1010101, v38
	v_lshrrev_b16 v35, 4, v35
	v_lshrrev_b16 v39, 4, v34
	v_lshlrev_b32_e32 v43, 24, v43
	v_cndmask_b32_e64 v36, 0, 0xff00, vcc_lo
	v_cmp_eq_u32_e32 vcc_lo, 0, v46
	v_and_b32_e32 v35, 0xffff, v35
	v_or3_b32 v59, v45, v33, v44
	v_bitop3_b32 v67, v30, 0x8040201, v30 bitop3:0xc
	v_bitop3_b32 v68, v30, 0x40000, v30 bitop3:0xc
	v_cndmask_b32_e64 v46, 0, 0xff, vcc_lo
	v_cmp_eq_u32_e32 vcc_lo, 0, v47
	v_bitop3_b32 v52, v38, 0x8040201, v38 bitop3:0xc
	v_bitop3_b32 v53, v38, 0x40000, v38 bitop3:0xc
	;; [unrolled: 1-line block ×4, first 2 shown]
	v_cndmask_b32_e64 v47, 0, 0xff0000, vcc_lo
	v_cmp_eq_u32_e32 vcc_lo, 0, v48
	v_mul_lo_u32 v35, 0x1010101, v35
	v_bitop3_b32 v66, v30, 1, v30 bitop3:0xc
	v_bitop3_b32 v30, v30, 0x200, v30 bitop3:0xc
	v_lshlrev_b32_e32 v50, 24, v50
	v_cndmask_b32_e64 v48, 0, 0xff00, vcc_lo
	v_cmp_eq_u32_e32 vcc_lo, 0, v49
	v_lshlrev_b32_e32 v37, 24, v37
	v_or3_b32 v60, v36, v46, v51
	v_bitop3_b32 v18, v59, v18, v43 bitop3:0x36
	v_dual_sub_nc_u32 v42, v20, v42 :: v_dual_sub_nc_u32 v20, v20, v31
	v_cndmask_b32_e64 v49, 0, 0xff, vcc_lo
	v_cmp_gt_u32_e32 vcc_lo, 0x1000000, v52
	v_bitop3_b32 v62, v35, 0x8040201, v35 bitop3:0xc
	v_bitop3_b32 v63, v35, 0x40000, v35 bitop3:0xc
	v_bitop3_b32 v64, v35, 0x200, v35 bitop3:0xc
	v_bitop3_b32 v35, v35, 1, v35 bitop3:0xc
	v_cndmask_b32_e64 v52, 0, -1, vcc_lo
	v_cmp_eq_u32_e32 vcc_lo, 0, v53
	v_or3_b32 v61, v48, v49, v47
	v_bitop3_b32 v16, v60, v16, v50 bitop3:0x36
	s_delay_alu instid0(VALU_DEP_4)
	v_lshlrev_b32_e32 v52, 24, v52
	v_cndmask_b32_e64 v53, 0, 0xff0000, vcc_lo
	v_cmp_eq_u32_e32 vcc_lo, 0, v54
	v_bitop3_b32 v17, v61, v17, v37 bitop3:0x36
	v_dual_sub_nc_u32 v50, v16, v50 :: v_dual_sub_nc_u32 v51, v16, v51
	v_sub_nc_u32_e32 v36, v16, v36
	v_cndmask_b32_e64 v54, 0, 0xff00, vcc_lo
	v_cmp_eq_u32_e32 vcc_lo, 0, v38
	v_dual_sub_nc_u32 v16, v16, v46 :: v_dual_sub_nc_u32 v46, v17, v47
	v_dual_sub_nc_u32 v37, v17, v37 :: v_dual_sub_nc_u32 v47, v17, v48
	v_sub_nc_u32_e32 v17, v17, v49
	v_cndmask_b32_e64 v38, 0, 0xff, vcc_lo
	v_cmp_gt_u32_e32 vcc_lo, 0x1000000, v55
	s_delay_alu instid0(VALU_DEP_4) | instskip(NEXT) | instid1(VALU_DEP_4)
	v_perm_b32 v36, v36, v47, 0xc0c0501
	v_perm_b32 v46, v46, v17, 0xc060c00
	s_delay_alu instid0(VALU_DEP_4) | instskip(SKIP_2) | instid1(VALU_DEP_3)
	v_or3_b32 v65, v54, v38, v53
	v_cndmask_b32_e64 v55, 0, -1, vcc_lo
	v_cmp_eq_u32_e32 vcc_lo, 0, v56
	v_bitop3_b32 v14, v65, v14, v52 bitop3:0x36
	s_delay_alu instid0(VALU_DEP_3) | instskip(SKIP_2) | instid1(VALU_DEP_4)
	v_lshlrev_b32_e32 v55, 24, v55
	v_cndmask_b32_e64 v56, 0, 0xff0000, vcc_lo
	v_cmp_eq_u32_e32 vcc_lo, 0, v57
	v_dual_sub_nc_u32 v48, v14, v52 :: v_dual_sub_nc_u32 v49, v14, v53
	v_cndmask_b32_e64 v57, 0, 0xff00, vcc_lo
	v_cmp_eq_u32_e32 vcc_lo, 0, v32
	v_cndmask_b32_e64 v32, 0, 0xff, vcc_lo
	v_cmp_gt_u32_e32 vcc_lo, 0x1000000, v62
	s_delay_alu instid0(VALU_DEP_2) | instskip(SKIP_2) | instid1(VALU_DEP_3)
	v_or3_b32 v69, v57, v32, v56
	v_cndmask_b32_e64 v62, 0, -1, vcc_lo
	v_cmp_eq_u32_e32 vcc_lo, 0, v63
	v_bitop3_b32 v21, v69, v21, v55 bitop3:0x36
	s_delay_alu instid0(VALU_DEP_3) | instskip(SKIP_2) | instid1(VALU_DEP_4)
	v_lshlrev_b32_e32 v62, 24, v62
	v_cndmask_b32_e64 v63, 0, 0xff0000, vcc_lo
	v_cmp_eq_u32_e32 vcc_lo, 0, v64
	v_dual_sub_nc_u32 v31, v21, v55 :: v_dual_sub_nc_u32 v55, v21, v56
	v_dual_sub_nc_u32 v56, v21, v57 :: v_dual_sub_nc_u32 v21, v21, v32
	v_cndmask_b32_e64 v64, 0, 0xff00, vcc_lo
	v_cmp_eq_u32_e32 vcc_lo, 0, v35
	v_dual_sub_nc_u32 v32, v18, v43 :: v_dual_sub_nc_u32 v43, v18, v44
	v_cndmask_b32_e64 v35, 0, 0xff, vcc_lo
	v_cmp_gt_u32_e32 vcc_lo, 0x1000000, v67
	s_delay_alu instid0(VALU_DEP_2) | instskip(SKIP_3) | instid1(VALU_DEP_4)
	v_or3_b32 v70, v64, v35, v63
	v_cndmask_b32_e64 v67, 0, -1, vcc_lo
	v_cmp_eq_u32_e32 vcc_lo, 0, v68
	v_and_b32_e32 v34, 15, v34
	v_bitop3_b32 v15, v70, v15, v62 bitop3:0x36
	s_delay_alu instid0(VALU_DEP_4) | instskip(SKIP_2) | instid1(VALU_DEP_4)
	v_lshlrev_b32_e32 v67, 24, v67
	v_cndmask_b32_e64 v68, 0, 0xff0000, vcc_lo
	v_cmp_eq_u32_e32 vcc_lo, 0, v30
	v_dual_sub_nc_u32 v52, v14, v54 :: v_dual_sub_nc_u32 v53, v15, v63
	v_dual_sub_nc_u32 v14, v14, v38 :: v_dual_sub_nc_u32 v54, v15, v64
	v_cndmask_b32_e64 v30, 0, 0xff00, vcc_lo
	v_cmp_eq_u32_e32 vcc_lo, 0, v66
	v_dual_sub_nc_u32 v38, v15, v62 :: v_dual_sub_nc_u32 v15, v15, v35
	v_perm_b32 v35, v51, v16, 0xc060c00
	v_perm_b32 v49, v49, v14, 0xc060c00
	v_cndmask_b32_e64 v66, 0, 0xff, vcc_lo
	v_perm_b32 v16, v16, v17, 0xc0c0400
	v_perm_b32 v51, v53, v15, 0xc060c00
	;; [unrolled: 1-line block ×4, first 2 shown]
	v_or3_b32 v71, v30, v66, v68
	v_perm_b32 v37, v38, v48, 0x7030c0c
	v_perm_b32 v17, v41, v20, 0xc060c00
	;; [unrolled: 1-line block ×4, first 2 shown]
	v_bitop3_b32 v19, v71, v19, v67 bitop3:0x36
	v_sub_nc_u32_e32 v44, v18, v45
	v_sub_nc_u32_e32 v18, v18, v33
	v_perm_b32 v20, v20, v21, 0xc0c0400
	v_or_b32_e32 v15, v37, v15
	v_dual_sub_nc_u32 v33, v19, v67 :: v_dual_sub_nc_u32 v45, v19, v68
	v_sub_nc_u32_e32 v30, v19, v30
	v_sub_nc_u32_e32 v19, v19, v66
	v_perm_b32 v43, v43, v18, 0xc060c00
	s_delay_alu instid0(VALU_DEP_4)
	v_perm_b32 v21, v33, v32, 0x7030c0c
	v_dot4_i32_iu8 v10, v15, v10, 0 neg_lo:[1,1,0]
	v_perm_b32 v30, v30, v44, 0x5010c0c
	v_perm_b32 v45, v45, v19, 0xc060c00
	;; [unrolled: 1-line block ×5, first 2 shown]
	v_or_b32_e32 v14, v14, v16
	v_or_b32_e32 v16, v38, v36
	v_perm_b32 v32, v35, v46, 0xc0c0602
	v_or_b32_e32 v19, v21, v19
	v_perm_b32 v33, v51, v49, 0x6020c0c
	v_perm_b32 v17, v17, v41, 0xc0c0602
	;; [unrolled: 1-line block ×3, first 2 shown]
	v_or_b32_e32 v18, v18, v20
	v_dot4_i32_iu8 v11, v16, v11, 0 neg_lo:[1,1,0]
	v_dot4_i32_iu8 v12, v19, v12, 0 neg_lo:[1,1,0]
	v_or_b32_e32 v20, v30, v31
	v_or_b32_e32 v21, v33, v32
	v_dot4_i32_iu8 v2, v18, v2, 0 neg_lo:[1,1,0]
	v_add_nc_u32_e32 v10, v11, v10
	v_dot4_i32_iu8 v3, v14, v3, 0 neg_lo:[1,1,0]
	v_or_b32_e32 v14, v35, v17
	v_dot4_i32_iu8 v13, v20, v13, 0 neg_lo:[1,1,0]
	v_dot4_i32_iu8 v15, v21, v0, 0 neg_lo:[1,1,0]
	v_cvt_f32_ubyte0_e32 v0, v34
	v_cmp_le_u32_e32 vcc_lo, s12, v24
	v_dot4_i32_iu8 v11, v14, v1, 0 neg_lo:[1,1,0]
	v_add_nc_u32_e32 v12, v13, v12
	v_cvt_f32_ubyte0_e32 v1, v39
	v_add3_u32 v3, v3, v15, v10
	s_wait_loadcnt 0x1
	v_cvt_f32_f16_e32 v10, v29
	s_or_b32 s1, vcc_lo, s1
	v_add3_u32 v2, v2, v11, v12
	s_wait_loadcnt 0x0
	v_cvt_f32_f16_e32 v11, v28
	v_pk_add_f32 v[0:1], v[0:1], 0.5 op_sel_hi:[1,0]
	v_cvt_f32_i32_e32 v3, v3
	v_cvt_f32_i32_e32 v2, v2
	s_delay_alu instid0(VALU_DEP_4) | instskip(NEXT) | instid1(VALU_DEP_2)
	v_mul_f32_e32 v10, v11, v10
	v_pk_mul_f32 v[0:1], v[0:1], v[2:3]
	s_delay_alu instid0(VALU_DEP_2) | instskip(NEXT) | instid1(VALU_DEP_2)
	v_mul_f32_e32 v2, 0x3e800000, v10
	v_add_f32_e32 v0, v0, v1
	s_delay_alu instid0(VALU_DEP_1)
	v_fmac_f32_e32 v25, v2, v0
	s_and_not1_b32 exec_lo, exec_lo, s1
	s_cbranch_execnz .LBB272_3
; %bb.4:
	s_or_b32 exec_lo, exec_lo, s1
.LBB272_5:
	s_delay_alu instid0(SALU_CYCLE_1) | instskip(SKIP_1) | instid1(VALU_DEP_1)
	s_or_b32 exec_lo, exec_lo, s11
	v_mbcnt_lo_u32_b32 v0, -1, 0
	v_xor_b32_e32 v2, 8, v0
	v_xor_b32_e32 v1, 16, v0
	;; [unrolled: 1-line block ×3, first 2 shown]
	s_delay_alu instid0(VALU_DEP_2) | instskip(SKIP_4) | instid1(VALU_DEP_2)
	v_cmp_gt_i32_e32 vcc_lo, 32, v1
	v_cndmask_b32_e32 v1, v0, v1, vcc_lo
	v_cmp_gt_i32_e32 vcc_lo, 32, v2
	v_cndmask_b32_e32 v2, v0, v2, vcc_lo
	v_cmp_gt_i32_e32 vcc_lo, 32, v3
	v_dual_lshlrev_b32 v2, 2, v2 :: v_dual_lshlrev_b32 v1, 2, v1
	ds_bpermute_b32 v1, v1, v25
	s_wait_dscnt 0x0
	v_add_f32_e32 v1, v25, v1
	ds_bpermute_b32 v2, v2, v1
	s_wait_dscnt 0x0
	v_dual_cndmask_b32 v3, v0, v3, vcc_lo :: v_dual_add_f32 v1, v1, v2
	s_delay_alu instid0(VALU_DEP_1) | instskip(SKIP_3) | instid1(VALU_DEP_1)
	v_lshlrev_b32_e32 v3, 2, v3
	ds_bpermute_b32 v2, v3, v1
	s_wait_dscnt 0x0
	v_dual_add_f32 v1, v1, v2 :: v_dual_bitop2_b32 v3, 2, v0 bitop3:0x14
	v_cmp_gt_i32_e32 vcc_lo, 32, v3
	v_cndmask_b32_e32 v3, v0, v3, vcc_lo
	s_delay_alu instid0(VALU_DEP_1) | instskip(SKIP_2) | instid1(VALU_DEP_1)
	v_lshlrev_b32_e32 v3, 2, v3
	ds_bpermute_b32 v2, v3, v1
	v_xor_b32_e32 v3, 1, v0
	v_cmp_gt_i32_e32 vcc_lo, 32, v3
	v_cndmask_b32_e32 v3, v0, v3, vcc_lo
	v_cmp_eq_u32_e32 vcc_lo, 0, v23
	s_wait_dscnt 0x0
	s_delay_alu instid0(VALU_DEP_2)
	v_dual_add_f32 v0, v1, v2 :: v_dual_lshlrev_b32 v1, 2, v3
	ds_bpermute_b32 v1, v1, v0
	s_and_b32 exec_lo, exec_lo, vcc_lo
	s_cbranch_execz .LBB272_7
; %bb.6:
	v_mad_u32 v2, s6, s10, v22
	s_wait_dscnt 0x0
	v_add_f32_e32 v0, v0, v1
	s_delay_alu instid0(VALU_DEP_1)
	v_cvt_f16_f32_e32 v0, v0
	s_wait_kmcnt 0x0
	global_store_b16 v2, v0, s[2:3] scale_offset
.LBB272_7:
	s_sendmsg sendmsg(MSG_DEALLOC_VGPRS)
	s_endpgm
	.section	.rodata,"a",@progbits
	.p2align	6, 0x0
	.amdhsa_kernel _ZL9moe_vec_qIN3c104HalfELi256ELi8E11block_iq2_sLi1EXadL_ZL18vec_dot_iq2_s_q8_1PKvPK10block_q8_1RKiEEEvS4_S4_PT_PS8_iiii
		.amdhsa_group_segment_fixed_size 0
		.amdhsa_private_segment_fixed_size 0
		.amdhsa_kernarg_size 304
		.amdhsa_user_sgpr_count 2
		.amdhsa_user_sgpr_dispatch_ptr 0
		.amdhsa_user_sgpr_queue_ptr 0
		.amdhsa_user_sgpr_kernarg_segment_ptr 1
		.amdhsa_user_sgpr_dispatch_id 0
		.amdhsa_user_sgpr_kernarg_preload_length 0
		.amdhsa_user_sgpr_kernarg_preload_offset 0
		.amdhsa_user_sgpr_private_segment_size 0
		.amdhsa_wavefront_size32 1
		.amdhsa_uses_dynamic_stack 0
		.amdhsa_enable_private_segment 0
		.amdhsa_system_sgpr_workgroup_id_x 1
		.amdhsa_system_sgpr_workgroup_id_y 0
		.amdhsa_system_sgpr_workgroup_id_z 1
		.amdhsa_system_sgpr_workgroup_info 0
		.amdhsa_system_vgpr_workitem_id 1
		.amdhsa_next_free_vgpr 72
		.amdhsa_next_free_sgpr 20
		.amdhsa_named_barrier_count 0
		.amdhsa_reserve_vcc 1
		.amdhsa_float_round_mode_32 0
		.amdhsa_float_round_mode_16_64 0
		.amdhsa_float_denorm_mode_32 3
		.amdhsa_float_denorm_mode_16_64 3
		.amdhsa_fp16_overflow 0
		.amdhsa_memory_ordered 1
		.amdhsa_forward_progress 1
		.amdhsa_inst_pref_size 26
		.amdhsa_round_robin_scheduling 0
		.amdhsa_exception_fp_ieee_invalid_op 0
		.amdhsa_exception_fp_denorm_src 0
		.amdhsa_exception_fp_ieee_div_zero 0
		.amdhsa_exception_fp_ieee_overflow 0
		.amdhsa_exception_fp_ieee_underflow 0
		.amdhsa_exception_fp_ieee_inexact 0
		.amdhsa_exception_int_div_zero 0
	.end_amdhsa_kernel
	.section	.text._ZL9moe_vec_qIN3c104HalfELi256ELi8E11block_iq2_sLi1EXadL_ZL18vec_dot_iq2_s_q8_1PKvPK10block_q8_1RKiEEEvS4_S4_PT_PS8_iiii,"axG",@progbits,_ZL9moe_vec_qIN3c104HalfELi256ELi8E11block_iq2_sLi1EXadL_ZL18vec_dot_iq2_s_q8_1PKvPK10block_q8_1RKiEEEvS4_S4_PT_PS8_iiii,comdat
.Lfunc_end272:
	.size	_ZL9moe_vec_qIN3c104HalfELi256ELi8E11block_iq2_sLi1EXadL_ZL18vec_dot_iq2_s_q8_1PKvPK10block_q8_1RKiEEEvS4_S4_PT_PS8_iiii, .Lfunc_end272-_ZL9moe_vec_qIN3c104HalfELi256ELi8E11block_iq2_sLi1EXadL_ZL18vec_dot_iq2_s_q8_1PKvPK10block_q8_1RKiEEEvS4_S4_PT_PS8_iiii
                                        ; -- End function
	.set _ZL9moe_vec_qIN3c104HalfELi256ELi8E11block_iq2_sLi1EXadL_ZL18vec_dot_iq2_s_q8_1PKvPK10block_q8_1RKiEEEvS4_S4_PT_PS8_iiii.num_vgpr, 72
	.set _ZL9moe_vec_qIN3c104HalfELi256ELi8E11block_iq2_sLi1EXadL_ZL18vec_dot_iq2_s_q8_1PKvPK10block_q8_1RKiEEEvS4_S4_PT_PS8_iiii.num_agpr, 0
	.set _ZL9moe_vec_qIN3c104HalfELi256ELi8E11block_iq2_sLi1EXadL_ZL18vec_dot_iq2_s_q8_1PKvPK10block_q8_1RKiEEEvS4_S4_PT_PS8_iiii.numbered_sgpr, 20
	.set _ZL9moe_vec_qIN3c104HalfELi256ELi8E11block_iq2_sLi1EXadL_ZL18vec_dot_iq2_s_q8_1PKvPK10block_q8_1RKiEEEvS4_S4_PT_PS8_iiii.num_named_barrier, 0
	.set _ZL9moe_vec_qIN3c104HalfELi256ELi8E11block_iq2_sLi1EXadL_ZL18vec_dot_iq2_s_q8_1PKvPK10block_q8_1RKiEEEvS4_S4_PT_PS8_iiii.private_seg_size, 0
	.set _ZL9moe_vec_qIN3c104HalfELi256ELi8E11block_iq2_sLi1EXadL_ZL18vec_dot_iq2_s_q8_1PKvPK10block_q8_1RKiEEEvS4_S4_PT_PS8_iiii.uses_vcc, 1
	.set _ZL9moe_vec_qIN3c104HalfELi256ELi8E11block_iq2_sLi1EXadL_ZL18vec_dot_iq2_s_q8_1PKvPK10block_q8_1RKiEEEvS4_S4_PT_PS8_iiii.uses_flat_scratch, 0
	.set _ZL9moe_vec_qIN3c104HalfELi256ELi8E11block_iq2_sLi1EXadL_ZL18vec_dot_iq2_s_q8_1PKvPK10block_q8_1RKiEEEvS4_S4_PT_PS8_iiii.has_dyn_sized_stack, 0
	.set _ZL9moe_vec_qIN3c104HalfELi256ELi8E11block_iq2_sLi1EXadL_ZL18vec_dot_iq2_s_q8_1PKvPK10block_q8_1RKiEEEvS4_S4_PT_PS8_iiii.has_recursion, 0
	.set _ZL9moe_vec_qIN3c104HalfELi256ELi8E11block_iq2_sLi1EXadL_ZL18vec_dot_iq2_s_q8_1PKvPK10block_q8_1RKiEEEvS4_S4_PT_PS8_iiii.has_indirect_call, 0
	.section	.AMDGPU.csdata,"",@progbits
; Kernel info:
; codeLenInByte = 3260
; TotalNumSgprs: 22
; NumVgprs: 72
; ScratchSize: 0
; MemoryBound: 0
; FloatMode: 240
; IeeeMode: 1
; LDSByteSize: 0 bytes/workgroup (compile time only)
; SGPRBlocks: 0
; VGPRBlocks: 4
; NumSGPRsForWavesPerEU: 22
; NumVGPRsForWavesPerEU: 72
; NamedBarCnt: 0
; Occupancy: 12
; WaveLimiterHint : 1
; COMPUTE_PGM_RSRC2:SCRATCH_EN: 0
; COMPUTE_PGM_RSRC2:USER_SGPR: 2
; COMPUTE_PGM_RSRC2:TRAP_HANDLER: 0
; COMPUTE_PGM_RSRC2:TGID_X_EN: 1
; COMPUTE_PGM_RSRC2:TGID_Y_EN: 0
; COMPUTE_PGM_RSRC2:TGID_Z_EN: 1
; COMPUTE_PGM_RSRC2:TIDIG_COMP_CNT: 1
	.section	.text._ZL9moe_vec_qIN3c104HalfELi256ELi8E12block_iq4_xsLi1EXadL_ZL19vec_dot_iq4_xs_q8_1PKvPK10block_q8_1RKiEEEvS4_S4_PT_PS8_iiii,"axG",@progbits,_ZL9moe_vec_qIN3c104HalfELi256ELi8E12block_iq4_xsLi1EXadL_ZL19vec_dot_iq4_xs_q8_1PKvPK10block_q8_1RKiEEEvS4_S4_PT_PS8_iiii,comdat
	.globl	_ZL9moe_vec_qIN3c104HalfELi256ELi8E12block_iq4_xsLi1EXadL_ZL19vec_dot_iq4_xs_q8_1PKvPK10block_q8_1RKiEEEvS4_S4_PT_PS8_iiii ; -- Begin function _ZL9moe_vec_qIN3c104HalfELi256ELi8E12block_iq4_xsLi1EXadL_ZL19vec_dot_iq4_xs_q8_1PKvPK10block_q8_1RKiEEEvS4_S4_PT_PS8_iiii
	.p2align	8
	.type	_ZL9moe_vec_qIN3c104HalfELi256ELi8E12block_iq4_xsLi1EXadL_ZL19vec_dot_iq4_xs_q8_1PKvPK10block_q8_1RKiEEEvS4_S4_PT_PS8_iiii,@function
_ZL9moe_vec_qIN3c104HalfELi256ELi8E12block_iq4_xsLi1EXadL_ZL19vec_dot_iq4_xs_q8_1PKvPK10block_q8_1RKiEEEvS4_S4_PT_PS8_iiii: ; @_ZL9moe_vec_qIN3c104HalfELi256ELi8E12block_iq4_xsLi1EXadL_ZL19vec_dot_iq4_xs_q8_1PKvPK10block_q8_1RKiEEEvS4_S4_PT_PS8_iiii
; %bb.0:
	s_clause 0x1
	s_load_u16 s3, s[0:1], 0x3e
	s_load_b128 s[4:7], s[0:1], 0x20
	s_bfe_u32 s2, ttmp6, 0x4000c
	s_and_b32 s8, ttmp6, 15
	s_add_co_i32 s2, s2, 1
	v_bfe_u32 v1, v0, 10, 10
	s_mul_i32 s2, ttmp9, s2
	s_delay_alu instid0(SALU_CYCLE_1) | instskip(SKIP_1) | instid1(SALU_CYCLE_1)
	s_add_co_i32 s8, s8, s2
	s_getreg_b32 s2, hwreg(HW_REG_IB_STS2, 6, 4)
	s_cmp_eq_u32 s2, 0
	s_cselect_b32 s8, ttmp9, s8
	s_wait_kmcnt 0x0
	v_mad_u32 v14, s8, s3, v1
	s_mov_b32 s3, exec_lo
	s_delay_alu instid0(VALU_DEP_1)
	v_cmpx_gt_u32_e64 s6, v14
	s_cbranch_execz .LBB273_7
; %bb.1:
	s_load_b64 s[8:9], s[0:1], 0x10
	s_bfe_u32 s3, ttmp6, 0x40014
	s_lshr_b32 s10, ttmp7, 16
	s_add_co_i32 s3, s3, 1
	s_bfe_u32 s11, ttmp6, 0x40008
	s_mul_i32 s3, s10, s3
	v_bfe_u32 v16, v0, 3, 7
	s_add_co_i32 s11, s11, s3
	s_cmp_eq_u32 s2, 0
	v_and_b32_e32 v15, 0x3ff, v0
	s_cselect_b32 s10, s10, s11
	s_ashr_i32 s2, s5, 31
	v_mov_b32_e32 v18, 0
	s_lshr_b32 s2, s2, 24
	s_mov_b32 s11, exec_lo
	s_add_co_i32 s2, s5, s2
	s_delay_alu instid0(SALU_CYCLE_1) | instskip(NEXT) | instid1(SALU_CYCLE_1)
	s_ashr_i32 s12, s2, 8
	v_cmpx_gt_u32_e64 s12, v16
	s_cbranch_execz .LBB273_5
; %bb.2:
	s_load_b64 s[2:3], s[0:1], 0x18
	s_cvt_f32_u32 s5, s4
	v_dual_mov_b32 v9, 0 :: v_dual_bitop2_b32 v1, 7, v15 bitop3:0x40
	v_mul_lo_u32 v17, v14, s12
	s_delay_alu instid0(SALU_CYCLE_1) | instskip(SKIP_4) | instid1(TRANS32_DEP_1)
	v_rcp_iflag_f32_e32 v0, s5
	v_lshlrev_b32_e32 v2, 2, v15
	v_bfe_u32 v8, v15, 1, 2
	v_dual_lshlrev_b32 v21, 3, v16 :: v_dual_mov_b32 v13, v9
	v_dual_lshlrev_b32 v20, 1, v1 :: v_dual_mov_b32 v18, v9
	v_readfirstlane_b32 s5, v0
	v_dual_lshlrev_b32 v0, 2, v1 :: v_dual_bitop2_b32 v19, 4, v2 bitop3:0x40
	s_delay_alu instid0(VALU_DEP_1) | instskip(SKIP_4) | instid1(SALU_CYCLE_3)
	v_lshlrev_b32_e32 v12, 2, v0
	s_wait_kmcnt 0x0
	s_load_b32 s13, s[2:3], s10 offset:0x0 scale_offset
	s_wait_xcnt 0x0
	s_mul_f32 s2, s5, 0x4f7ffffe
	s_cvt_u32_f32 s5, s2
	s_sub_co_i32 s2, 0, s4
	s_delay_alu instid0(SALU_CYCLE_2) | instskip(NEXT) | instid1(SALU_CYCLE_1)
	s_mul_i32 s2, s2, s5
	s_mul_hi_u32 s14, s5, s2
	s_load_b128 s[0:3], s[0:1], 0x0
	s_add_co_i32 s5, s5, s14
	s_mul_i32 s14, s12, s6
	s_mul_hi_u32 s16, s10, s5
	s_mov_b32 s5, 0
	s_mul_i32 s15, s16, s4
	s_add_co_i32 s17, s16, 1
	s_sub_co_i32 s18, s10, s15
	s_wait_kmcnt 0x0
	s_mul_i32 s14, s14, s13
	s_sub_co_i32 s13, s18, s4
	s_ashr_i32 s15, s14, 31
	s_cmp_ge_u32 s18, s4
	s_mul_u64 s[14:15], s[14:15], 0x88
	s_cselect_b32 s16, s17, s16
	s_cselect_b32 s13, s13, s18
	s_add_co_i32 s17, s16, 1
	s_cmp_ge_u32 s13, s4
	s_cselect_b32 s4, s17, s16
	s_add_nc_u64 s[0:1], s[0:1], s[14:15]
	s_mul_i32 s4, s4, s7
	s_delay_alu instid0(SALU_CYCLE_1) | instskip(NEXT) | instid1(SALU_CYCLE_1)
	s_lshl_b64 s[16:17], s[4:5], 2
	s_add_nc_u64 s[2:3], s[2:3], s[16:17]
	s_delay_alu instid0(SALU_CYCLE_1)
	v_mad_nc_u64_u32 v[10:11], v1, 36, s[2:3]
	s_get_pc_i64 s[2:3]
	s_add_nc_u64 s[2:3], s[2:3], _ZL13kvalues_iq4nl@rel64+4
.LBB273_3:                              ; =>This Inner Loop Header: Depth=1
	v_add_nc_u32_e32 v0, v17, v16
	s_delay_alu instid0(VALU_DEP_2) | instskip(SKIP_1) | instid1(VALU_DEP_3)
	v_mad_nc_i64_i32 v[28:29], v21, 36, v[10:11]
	v_dual_add_nc_u32 v16, 4, v16 :: v_dual_add_nc_u32 v21, 32, v21
	v_mad_nc_i64_i32 v[26:27], 0x88, v0, s[0:1]
	s_delay_alu instid0(VALU_DEP_2) | instskip(SKIP_1) | instid1(VALU_DEP_2)
	v_cmp_le_u32_e32 vcc_lo, s12, v16
	s_or_b32 s5, vcc_lo, s5
	v_add_nc_u64_e32 v[0:1], v[26:27], v[12:13]
	v_add_nc_u64_e32 v[2:3], v[26:27], v[8:9]
	s_clause 0x1
	global_load_b128 v[22:25], v[0:1], off offset:8
	global_load_u8 v30, v[2:3], off offset:4
	s_clause 0x2
	global_load_b32 v31, v[28:29], off
	global_load_b128 v[0:3], v[28:29], off offset:4
	global_load_b128 v[4:7], v[28:29], off offset:20
	global_load_b32 v32, v[26:27], off
	s_wait_loadcnt 0x5
	s_wait_xcnt 0x0
	v_and_b32_e32 v27, 15, v22
	v_bfe_u32 v28, v22, 8, 4
	v_bfe_u32 v29, v22, 16, 4
	;; [unrolled: 1-line block ×5, first 2 shown]
	v_dual_lshrrev_b32 v34, 28, v22 :: v_dual_bitop2_b32 v37, 15, v23 bitop3:0x40
	v_bfe_u32 v22, v22, 12, 4
	v_bfe_u32 v36, v23, 24, 4
	;; [unrolled: 1-line block ×5, first 2 shown]
	v_dual_lshrrev_b32 v41, 28, v23 :: v_dual_bitop2_b32 v44, 15, v24 bitop3:0x40
	v_bfe_u32 v42, v23, 4, 4
	v_bfe_u32 v23, v23, 12, 4
	;; [unrolled: 1-line block ×6, first 2 shown]
	v_dual_lshrrev_b32 v48, 28, v24 :: v_dual_bitop2_b32 v51, 15, v25 bitop3:0x40
	v_bfe_u32 v49, v24, 4, 4
	v_bfe_u32 v24, v24, 12, 4
	;; [unrolled: 1-line block ×6, first 2 shown]
	v_lshrrev_b32_e32 v55, 28, v25
	v_bfe_u32 v56, v25, 4, 4
	v_bfe_u32 v25, v25, 12, 4
	s_clause 0x1f
	global_load_i8 v57, v27, s[2:3]
	global_load_i8 v58, v28, s[2:3]
	global_load_i8 v59, v29, s[2:3]
	global_load_i8 v60, v35, s[2:3]
	global_load_i8 v61, v22, s[2:3]
	global_load_i8 v62, v33, s[2:3]
	global_load_i8 v63, v34, s[2:3]
	; meta instruction
	; meta instruction
	; meta instruction
	; meta instruction
	; meta instruction
	; meta instruction
	; meta instruction
	global_load_i8 v22, v26, s[2:3]
	global_load_i8 v27, v37, s[2:3]
	global_load_i8 v28, v38, s[2:3]
	global_load_i8 v29, v39, s[2:3]
	global_load_i8 v33, v42, s[2:3]
	global_load_i8 v34, v23, s[2:3]
	global_load_i8 v35, v40, s[2:3]
	; meta instruction
	; meta instruction
	; meta instruction
	; meta instruction
	; meta instruction
	; meta instruction
	; meta instruction
	;; [unrolled: 14-line block ×4, first 2 shown]
	global_load_i8 v25, v54, s[2:3]
	global_load_i8 v43, v55, s[2:3]
	;; [unrolled: 1-line block ×4, first 2 shown]
	s_wait_loadcnt 0x20
	s_wait_xcnt 0x1
	v_lshrrev_b32_e32 v50, 16, v32
	v_bfe_u32 v30, v30, v19, 4
	v_perm_b32 v0, v0, v0, 0x3020001
	v_perm_b32 v4, v4, v4, 0x3020001
	s_wait_loadcnt 0x1b
	v_perm_b32 v51, v60, v61, 0xc0c0400
	s_wait_loadcnt 0x19
	v_perm_b32 v52, v63, v62, 0x4000c0c
	s_wait_loadcnt 0x18
	v_perm_b32 v22, v22, v59, 0x4000c0c
	s_wait_loadcnt 0x16
	v_perm_b32 v27, v28, v27, 0xc0c0400
	s_wait_loadcnt 0x13
	v_perm_b32 v28, v34, v33, 0xc0c0400
	s_wait_loadcnt 0x11
	v_perm_b32 v23, v23, v35, 0x4000c0c
	s_wait_loadcnt 0x10
	v_perm_b32 v26, v26, v29, 0x4000c0c
	v_lshrrev_b32_e32 v50, v20, v50
	s_wait_loadcnt 0xe
	v_perm_b32 v29, v38, v37, 0xc0c0400
	v_or_b32_e32 v37, v52, v51
	v_or_b32_e32 v23, v23, v28
	v_dual_lshlrev_b32 v50, 4, v50 :: v_dual_bitop2_b32 v26, v26, v27 bitop3:0x54
	s_wait_loadcnt 0xb
	v_perm_b32 v34, v42, v40, 0xc0c0400
	v_dot4_i32_iu8 v4, v4, v37, 0 neg_lo:[1,1,0]
	s_delay_alu instid0(VALU_DEP_3)
	v_and_or_b32 v30, v50, 48, v30
	v_perm_b32 v50, v57, v58, 0xc0c0400
	s_wait_loadcnt 0x9
	v_perm_b32 v24, v36, v24, 0x4000c0c
	s_wait_loadcnt 0x8
	v_perm_b32 v33, v41, v39, 0x4000c0c
	v_or_b32_e32 v22, v22, v50
	s_wait_loadcnt 0x6
	v_perm_b32 v35, v45, v44, 0xc0c0400
	v_or_b32_e32 v24, v24, v34
	s_delay_alu instid0(VALU_DEP_3) | instskip(NEXT) | instid1(VALU_DEP_1)
	v_dot4_i32_iu8 v0, v0, v22, 0 neg_lo:[1,1,0]
	v_dot4_i32_iu8 v0, v1, v26, v0 neg_lo:[1,1,0]
	;; [unrolled: 1-line block ×3, first 2 shown]
	v_subrev_nc_u32_e32 v4, 32, v30
	s_wait_loadcnt 0x1
	v_perm_b32 v36, v47, v46, 0x4000c0c
	s_wait_loadcnt 0x0
	v_perm_b32 v38, v49, v48, 0xc0c0400
	v_perm_b32 v22, v43, v25, 0x4000c0c
	v_dot4_i32_iu8 v1, v6, v24, v1 neg_lo:[1,1,0]
	v_cvt_f32_i32_e32 v4, v4
	v_or_b32_e32 v25, v33, v29
	v_or_b32_e32 v5, v36, v35
	;; [unrolled: 1-line block ×3, first 2 shown]
	s_delay_alu instid0(VALU_DEP_3) | instskip(SKIP_1) | instid1(VALU_DEP_3)
	v_dot4_i32_iu8 v0, v2, v25, v0 neg_lo:[1,1,0]
	v_cvt_f32_f16_e32 v2, v32
	v_dot4_i32_iu8 v1, v7, v22, v1 neg_lo:[1,1,0]
	s_delay_alu instid0(VALU_DEP_3) | instskip(SKIP_1) | instid1(VALU_DEP_4)
	v_dot4_i32_iu8 v0, v3, v5, v0 neg_lo:[1,1,0]
	v_cvt_f32_f16_e32 v3, v31
	v_mul_f32_e32 v2, v2, v4
	s_delay_alu instid0(VALU_DEP_1) | instskip(NEXT) | instid1(VALU_DEP_1)
	v_dual_mul_f32 v1, v2, v3 :: v_dual_add_nc_u32 v0, v1, v0
	v_cvt_f32_i32_e32 v0, v0
	s_delay_alu instid0(VALU_DEP_1)
	v_fmac_f32_e32 v18, v1, v0
	s_and_not1_b32 exec_lo, exec_lo, s5
	s_cbranch_execnz .LBB273_3
; %bb.4:
	s_or_b32 exec_lo, exec_lo, s5
.LBB273_5:
	s_delay_alu instid0(SALU_CYCLE_1) | instskip(SKIP_1) | instid1(VALU_DEP_1)
	s_or_b32 exec_lo, exec_lo, s11
	v_mbcnt_lo_u32_b32 v0, -1, 0
	v_xor_b32_e32 v2, 8, v0
	v_xor_b32_e32 v1, 16, v0
	;; [unrolled: 1-line block ×3, first 2 shown]
	s_delay_alu instid0(VALU_DEP_2) | instskip(SKIP_4) | instid1(VALU_DEP_2)
	v_cmp_gt_i32_e32 vcc_lo, 32, v1
	v_cndmask_b32_e32 v1, v0, v1, vcc_lo
	v_cmp_gt_i32_e32 vcc_lo, 32, v2
	v_cndmask_b32_e32 v2, v0, v2, vcc_lo
	v_cmp_gt_i32_e32 vcc_lo, 32, v3
	v_dual_lshlrev_b32 v2, 2, v2 :: v_dual_lshlrev_b32 v1, 2, v1
	ds_bpermute_b32 v1, v1, v18
	s_wait_dscnt 0x0
	v_add_f32_e32 v1, v18, v1
	ds_bpermute_b32 v2, v2, v1
	s_wait_dscnt 0x0
	v_dual_cndmask_b32 v3, v0, v3, vcc_lo :: v_dual_add_f32 v1, v1, v2
	s_delay_alu instid0(VALU_DEP_1) | instskip(SKIP_3) | instid1(VALU_DEP_1)
	v_lshlrev_b32_e32 v3, 2, v3
	ds_bpermute_b32 v2, v3, v1
	s_wait_dscnt 0x0
	v_dual_add_f32 v1, v1, v2 :: v_dual_bitop2_b32 v3, 2, v0 bitop3:0x14
	v_cmp_gt_i32_e32 vcc_lo, 32, v3
	v_cndmask_b32_e32 v3, v0, v3, vcc_lo
	s_delay_alu instid0(VALU_DEP_1) | instskip(SKIP_2) | instid1(VALU_DEP_1)
	v_lshlrev_b32_e32 v3, 2, v3
	ds_bpermute_b32 v2, v3, v1
	v_xor_b32_e32 v3, 1, v0
	v_cmp_gt_i32_e32 vcc_lo, 32, v3
	v_cndmask_b32_e32 v3, v0, v3, vcc_lo
	v_cmp_eq_u32_e32 vcc_lo, 0, v15
	s_wait_dscnt 0x0
	s_delay_alu instid0(VALU_DEP_2)
	v_dual_add_f32 v0, v1, v2 :: v_dual_lshlrev_b32 v1, 2, v3
	ds_bpermute_b32 v1, v1, v0
	s_and_b32 exec_lo, exec_lo, vcc_lo
	s_cbranch_execz .LBB273_7
; %bb.6:
	v_mad_u32 v2, s6, s10, v14
	s_wait_dscnt 0x0
	v_add_f32_e32 v0, v0, v1
	s_delay_alu instid0(VALU_DEP_1)
	v_cvt_f16_f32_e32 v0, v0
	s_wait_kmcnt 0x0
	global_store_b16 v2, v0, s[8:9] scale_offset
.LBB273_7:
	s_endpgm
	.section	.rodata,"a",@progbits
	.p2align	6, 0x0
	.amdhsa_kernel _ZL9moe_vec_qIN3c104HalfELi256ELi8E12block_iq4_xsLi1EXadL_ZL19vec_dot_iq4_xs_q8_1PKvPK10block_q8_1RKiEEEvS4_S4_PT_PS8_iiii
		.amdhsa_group_segment_fixed_size 0
		.amdhsa_private_segment_fixed_size 0
		.amdhsa_kernarg_size 304
		.amdhsa_user_sgpr_count 2
		.amdhsa_user_sgpr_dispatch_ptr 0
		.amdhsa_user_sgpr_queue_ptr 0
		.amdhsa_user_sgpr_kernarg_segment_ptr 1
		.amdhsa_user_sgpr_dispatch_id 0
		.amdhsa_user_sgpr_kernarg_preload_length 0
		.amdhsa_user_sgpr_kernarg_preload_offset 0
		.amdhsa_user_sgpr_private_segment_size 0
		.amdhsa_wavefront_size32 1
		.amdhsa_uses_dynamic_stack 0
		.amdhsa_enable_private_segment 0
		.amdhsa_system_sgpr_workgroup_id_x 1
		.amdhsa_system_sgpr_workgroup_id_y 0
		.amdhsa_system_sgpr_workgroup_id_z 1
		.amdhsa_system_sgpr_workgroup_info 0
		.amdhsa_system_vgpr_workitem_id 1
		.amdhsa_next_free_vgpr 64
		.amdhsa_next_free_sgpr 19
		.amdhsa_named_barrier_count 0
		.amdhsa_reserve_vcc 1
		.amdhsa_float_round_mode_32 0
		.amdhsa_float_round_mode_16_64 0
		.amdhsa_float_denorm_mode_32 3
		.amdhsa_float_denorm_mode_16_64 3
		.amdhsa_fp16_overflow 0
		.amdhsa_memory_ordered 1
		.amdhsa_forward_progress 1
		.amdhsa_inst_pref_size 16
		.amdhsa_round_robin_scheduling 0
		.amdhsa_exception_fp_ieee_invalid_op 0
		.amdhsa_exception_fp_denorm_src 0
		.amdhsa_exception_fp_ieee_div_zero 0
		.amdhsa_exception_fp_ieee_overflow 0
		.amdhsa_exception_fp_ieee_underflow 0
		.amdhsa_exception_fp_ieee_inexact 0
		.amdhsa_exception_int_div_zero 0
	.end_amdhsa_kernel
	.section	.text._ZL9moe_vec_qIN3c104HalfELi256ELi8E12block_iq4_xsLi1EXadL_ZL19vec_dot_iq4_xs_q8_1PKvPK10block_q8_1RKiEEEvS4_S4_PT_PS8_iiii,"axG",@progbits,_ZL9moe_vec_qIN3c104HalfELi256ELi8E12block_iq4_xsLi1EXadL_ZL19vec_dot_iq4_xs_q8_1PKvPK10block_q8_1RKiEEEvS4_S4_PT_PS8_iiii,comdat
.Lfunc_end273:
	.size	_ZL9moe_vec_qIN3c104HalfELi256ELi8E12block_iq4_xsLi1EXadL_ZL19vec_dot_iq4_xs_q8_1PKvPK10block_q8_1RKiEEEvS4_S4_PT_PS8_iiii, .Lfunc_end273-_ZL9moe_vec_qIN3c104HalfELi256ELi8E12block_iq4_xsLi1EXadL_ZL19vec_dot_iq4_xs_q8_1PKvPK10block_q8_1RKiEEEvS4_S4_PT_PS8_iiii
                                        ; -- End function
	.set _ZL9moe_vec_qIN3c104HalfELi256ELi8E12block_iq4_xsLi1EXadL_ZL19vec_dot_iq4_xs_q8_1PKvPK10block_q8_1RKiEEEvS4_S4_PT_PS8_iiii.num_vgpr, 64
	.set _ZL9moe_vec_qIN3c104HalfELi256ELi8E12block_iq4_xsLi1EXadL_ZL19vec_dot_iq4_xs_q8_1PKvPK10block_q8_1RKiEEEvS4_S4_PT_PS8_iiii.num_agpr, 0
	.set _ZL9moe_vec_qIN3c104HalfELi256ELi8E12block_iq4_xsLi1EXadL_ZL19vec_dot_iq4_xs_q8_1PKvPK10block_q8_1RKiEEEvS4_S4_PT_PS8_iiii.numbered_sgpr, 19
	.set _ZL9moe_vec_qIN3c104HalfELi256ELi8E12block_iq4_xsLi1EXadL_ZL19vec_dot_iq4_xs_q8_1PKvPK10block_q8_1RKiEEEvS4_S4_PT_PS8_iiii.num_named_barrier, 0
	.set _ZL9moe_vec_qIN3c104HalfELi256ELi8E12block_iq4_xsLi1EXadL_ZL19vec_dot_iq4_xs_q8_1PKvPK10block_q8_1RKiEEEvS4_S4_PT_PS8_iiii.private_seg_size, 0
	.set _ZL9moe_vec_qIN3c104HalfELi256ELi8E12block_iq4_xsLi1EXadL_ZL19vec_dot_iq4_xs_q8_1PKvPK10block_q8_1RKiEEEvS4_S4_PT_PS8_iiii.uses_vcc, 1
	.set _ZL9moe_vec_qIN3c104HalfELi256ELi8E12block_iq4_xsLi1EXadL_ZL19vec_dot_iq4_xs_q8_1PKvPK10block_q8_1RKiEEEvS4_S4_PT_PS8_iiii.uses_flat_scratch, 0
	.set _ZL9moe_vec_qIN3c104HalfELi256ELi8E12block_iq4_xsLi1EXadL_ZL19vec_dot_iq4_xs_q8_1PKvPK10block_q8_1RKiEEEvS4_S4_PT_PS8_iiii.has_dyn_sized_stack, 0
	.set _ZL9moe_vec_qIN3c104HalfELi256ELi8E12block_iq4_xsLi1EXadL_ZL19vec_dot_iq4_xs_q8_1PKvPK10block_q8_1RKiEEEvS4_S4_PT_PS8_iiii.has_recursion, 0
	.set _ZL9moe_vec_qIN3c104HalfELi256ELi8E12block_iq4_xsLi1EXadL_ZL19vec_dot_iq4_xs_q8_1PKvPK10block_q8_1RKiEEEvS4_S4_PT_PS8_iiii.has_indirect_call, 0
	.section	.AMDGPU.csdata,"",@progbits
; Kernel info:
; codeLenInByte = 1984
; TotalNumSgprs: 21
; NumVgprs: 64
; ScratchSize: 0
; MemoryBound: 0
; FloatMode: 240
; IeeeMode: 1
; LDSByteSize: 0 bytes/workgroup (compile time only)
; SGPRBlocks: 0
; VGPRBlocks: 3
; NumSGPRsForWavesPerEU: 21
; NumVGPRsForWavesPerEU: 64
; NamedBarCnt: 0
; Occupancy: 16
; WaveLimiterHint : 1
; COMPUTE_PGM_RSRC2:SCRATCH_EN: 0
; COMPUTE_PGM_RSRC2:USER_SGPR: 2
; COMPUTE_PGM_RSRC2:TRAP_HANDLER: 0
; COMPUTE_PGM_RSRC2:TGID_X_EN: 1
; COMPUTE_PGM_RSRC2:TGID_Y_EN: 0
; COMPUTE_PGM_RSRC2:TGID_Z_EN: 1
; COMPUTE_PGM_RSRC2:TIDIG_COMP_CNT: 1
	.section	.text._ZL9moe_vec_qIN3c104HalfELi256ELi8E11block_iq1_mLi1EXadL_ZL18vec_dot_iq1_m_q8_1PKvPK10block_q8_1RKiEEEvS4_S4_PT_PS8_iiii,"axG",@progbits,_ZL9moe_vec_qIN3c104HalfELi256ELi8E11block_iq1_mLi1EXadL_ZL18vec_dot_iq1_m_q8_1PKvPK10block_q8_1RKiEEEvS4_S4_PT_PS8_iiii,comdat
	.globl	_ZL9moe_vec_qIN3c104HalfELi256ELi8E11block_iq1_mLi1EXadL_ZL18vec_dot_iq1_m_q8_1PKvPK10block_q8_1RKiEEEvS4_S4_PT_PS8_iiii ; -- Begin function _ZL9moe_vec_qIN3c104HalfELi256ELi8E11block_iq1_mLi1EXadL_ZL18vec_dot_iq1_m_q8_1PKvPK10block_q8_1RKiEEEvS4_S4_PT_PS8_iiii
	.p2align	8
	.type	_ZL9moe_vec_qIN3c104HalfELi256ELi8E11block_iq1_mLi1EXadL_ZL18vec_dot_iq1_m_q8_1PKvPK10block_q8_1RKiEEEvS4_S4_PT_PS8_iiii,@function
_ZL9moe_vec_qIN3c104HalfELi256ELi8E11block_iq1_mLi1EXadL_ZL18vec_dot_iq1_m_q8_1PKvPK10block_q8_1RKiEEEvS4_S4_PT_PS8_iiii: ; @_ZL9moe_vec_qIN3c104HalfELi256ELi8E11block_iq1_mLi1EXadL_ZL18vec_dot_iq1_m_q8_1PKvPK10block_q8_1RKiEEEvS4_S4_PT_PS8_iiii
; %bb.0:
	s_clause 0x1
	s_load_u16 s3, s[0:1], 0x3e
	s_load_b128 s[4:7], s[0:1], 0x20
	s_bfe_u32 s2, ttmp6, 0x4000c
	s_and_b32 s8, ttmp6, 15
	s_add_co_i32 s2, s2, 1
	v_bfe_u32 v1, v0, 10, 10
	s_mul_i32 s2, ttmp9, s2
	s_delay_alu instid0(SALU_CYCLE_1) | instskip(SKIP_1) | instid1(SALU_CYCLE_1)
	s_add_co_i32 s8, s8, s2
	s_getreg_b32 s2, hwreg(HW_REG_IB_STS2, 6, 4)
	s_cmp_eq_u32 s2, 0
	s_cselect_b32 s8, ttmp9, s8
	s_wait_kmcnt 0x0
	v_mad_u32 v20, s8, s3, v1
	s_mov_b32 s3, exec_lo
	s_delay_alu instid0(VALU_DEP_1)
	v_cmpx_gt_u32_e64 s6, v20
	s_cbranch_execz .LBB274_7
; %bb.1:
	s_load_b64 s[8:9], s[0:1], 0x10
	s_bfe_u32 s3, ttmp6, 0x40014
	s_lshr_b32 s10, ttmp7, 16
	s_add_co_i32 s3, s3, 1
	s_bfe_u32 s11, ttmp6, 0x40008
	s_mul_i32 s3, s10, s3
	v_bfe_u32 v22, v0, 3, 7
	s_add_co_i32 s11, s11, s3
	s_cmp_eq_u32 s2, 0
	v_and_b32_e32 v21, 0x3ff, v0
	s_cselect_b32 s11, s10, s11
	s_ashr_i32 s2, s5, 31
	v_mov_b32_e32 v24, 0
	s_lshr_b32 s2, s2, 24
	s_mov_b32 s12, exec_lo
	s_add_co_i32 s2, s5, s2
	s_delay_alu instid0(SALU_CYCLE_1) | instskip(NEXT) | instid1(SALU_CYCLE_1)
	s_ashr_i32 s13, s2, 8
	v_cmpx_gt_u32_e64 s13, v22
	s_cbranch_execz .LBB274_5
; %bb.2:
	s_load_b64 s[2:3], s[0:1], 0x18
	s_cvt_f32_u32 s5, s4
	s_mul_i32 s15, s13, s6
	v_mul_lo_u32 v23, v20, s13
	v_bfe_u32 v2, v21, 1, 2
	v_rcp_iflag_f32_e32 v0, s5
	s_delay_alu instid0(VALU_DEP_1) | instskip(NEXT) | instid1(VALU_DEP_1)
	v_dual_mov_b32 v9, 0 :: v_dual_lshlrev_b32 v14, 1, v2
	v_mov_b32_e32 v13, v9
	s_delay_alu instid0(TRANS32_DEP_1) | instskip(SKIP_3) | instid1(VALU_DEP_3)
	v_readfirstlane_b32 s5, v0
	v_and_b32_e32 v0, 7, v21
	v_dual_lshlrev_b32 v26, 3, v22 :: v_dual_bitop2_b32 v1, 1, v21 bitop3:0x40
	v_dual_mov_b32 v15, v9 :: v_dual_mov_b32 v24, v9
	v_lshlrev_b32_e32 v8, 1, v0
	s_delay_alu instid0(VALU_DEP_3)
	v_cmp_eq_u32_e32 vcc_lo, 1, v1
	s_wait_kmcnt 0x0
	s_load_b32 s10, s[2:3], s11 offset:0x0 scale_offset
	s_wait_xcnt 0x0
	s_mul_f32 s2, s5, 0x4f7ffffe
	s_sub_co_i32 s5, 0, s4
	v_lshlrev_b32_e32 v12, 2, v0
	v_cndmask_b32_e64 v25, 0, 6, vcc_lo
	s_cvt_u32_f32 s14, s2
	s_load_b128 s[0:3], s[0:1], 0x0
	s_delay_alu instid0(SALU_CYCLE_2) | instskip(NEXT) | instid1(SALU_CYCLE_1)
	s_mul_i32 s5, s5, s14
	s_mul_hi_u32 s16, s14, s5
	s_mov_b32 s5, 0
	s_add_co_i32 s14, s14, s16
	s_delay_alu instid0(SALU_CYCLE_1) | instskip(NEXT) | instid1(SALU_CYCLE_1)
	s_mul_hi_u32 s16, s11, s14
	s_mul_i32 s14, s16, s4
	s_add_co_i32 s17, s16, 1
	s_sub_co_i32 s18, s11, s14
	s_wait_kmcnt 0x0
	s_mul_i32 s14, s15, s10
	s_sub_co_i32 s10, s18, s4
	s_ashr_i32 s15, s14, 31
	s_cmp_ge_u32 s18, s4
	s_mul_u64 s[14:15], s[14:15], 56
	s_cselect_b32 s16, s17, s16
	s_cselect_b32 s10, s10, s18
	s_add_co_i32 s17, s16, 1
	s_cmp_ge_u32 s10, s4
	s_add_nc_u64 s[0:1], s[0:1], s[14:15]
	s_cselect_b32 s4, s17, s16
	s_mov_b32 s10, 0xbf600000
	s_mul_i32 s4, s4, s7
	s_delay_alu instid0(SALU_CYCLE_1) | instskip(SKIP_2) | instid1(SALU_CYCLE_1)
	s_lshl_b64 s[16:17], s[4:5], 2
	s_mov_b32 s4, 0x3d000000
	s_add_nc_u64 s[2:3], s[2:3], s[16:17]
	v_mad_nc_u64_u32 v[10:11], v0, 36, s[2:3]
	s_get_pc_i64 s[2:3]
	s_add_nc_u64 s[2:3], s[2:3], _ZL13iq1s_grid_gpu@rel64+4
.LBB274_3:                              ; =>This Inner Loop Header: Depth=1
	v_add_nc_u32_e32 v0, v23, v22
	s_delay_alu instid0(VALU_DEP_2) | instskip(SKIP_2) | instid1(VALU_DEP_4)
	v_mad_nc_i64_i32 v[16:17], v26, 36, v[10:11]
	v_add_nc_u32_e32 v22, 4, v22
	v_add_nc_u32_e32 v26, 32, v26
	v_mad_nc_i64_i32 v[18:19], v0, 56, s[0:1]
	s_delay_alu instid0(VALU_DEP_3) | instskip(NEXT) | instid1(VALU_DEP_2)
	v_cmp_le_u32_e32 vcc_lo, s13, v22
	v_add_nc_u64_e32 v[0:1], v[18:19], v[8:9]
	v_add_nc_u64_e32 v[2:3], v[18:19], v[12:13]
	s_clause 0x1
	global_load_u16 v27, v[0:1], off offset:32
	global_load_b32 v32, v[2:3], off
	v_add_nc_u64_e32 v[28:29], v[18:19], v[14:15]
	s_clause 0x1
	global_load_b128 v[0:3], v[16:17], off offset:4
	global_load_b128 v[4:7], v[16:17], off offset:20
	s_clause 0x1
	global_load_b64 v[30:31], v[18:19], off offset:48
	global_load_u16 v33, v[28:29], off offset:48
	s_wait_loadcnt 0x5
	s_wait_xcnt 0x1
	v_lshrrev_b16 v19, 8, v27
	s_wait_loadcnt 0x4
	s_wait_xcnt 0x0
	v_and_b32_e32 v28, 0xff, v32
	v_dual_lshlrev_b32 v29, 8, v27 :: v_dual_lshlrev_b32 v35, 4, v27
	v_bfe_u32 v34, v32, 8, 8
	v_and_b32_e32 v19, 0xffff, v19
	v_lshrrev_b32_e32 v18, 24, v32
	v_bfe_u32 v32, v32, 16, 8
	v_and_or_b32 v28, 0x700, v29, v28
	v_and_or_b32 v29, 0x700, v35, v34
	v_dual_lshlrev_b32 v34, 8, v19 :: v_dual_lshlrev_b32 v35, 4, v19
	s_wait_loadcnt 0x3
	v_bfe_i32 v39, v0, 0, 8
	s_delay_alu instid0(VALU_DEP_3) | instskip(NEXT) | instid1(VALU_DEP_3)
	v_dual_lshlrev_b32 v28, 3, v28 :: v_dual_lshlrev_b32 v29, 3, v29
	v_and_or_b32 v32, 0x700, v34, v32
	v_and_or_b32 v18, 0x700, v35, v18
	s_clause 0x1
	global_load_b32 v34, v28, s[2:3]
	global_load_b32 v35, v29, s[2:3]
	v_dual_ashrrev_i32 v42, 24, v2 :: v_dual_ashrrev_i32 v45, 24, v3
	s_wait_xcnt 0x1
	v_dual_lshlrev_b32 v28, 3, v32 :: v_dual_lshlrev_b32 v18, 3, v18
	s_clause 0x1
	global_load_b32 v29, v28, s[2:3]
	global_load_b32 v32, v18, s[2:3]
	global_load_b32 v36, v[16:17], off
	s_wait_xcnt 0x0
	v_lshrrev_b16 v16, 8, v0
	v_lshrrev_b16 v28, 8, v3
	;; [unrolled: 1-line block ×3, first 2 shown]
	v_bfe_i32 v43, v2, 0, 8
	v_bfe_i32 v44, v2, 16, 8
	v_bfe_i32 v46, v3, 16, 8
	v_bfe_i32 v47, v3, 0, 8
	s_wait_loadcnt 0x7
	v_lshrrev_b16 v2, 8, v4
	v_lshrrev_b16 v3, 8, v5
	v_bfe_i32 v16, v16, 0, 8
	v_bfe_i32 v28, v28, 0, 8
	v_lshrrev_b16 v17, 8, v1
	v_dual_ashrrev_i32 v37, 24, v0 :: v_dual_ashrrev_i32 v40, 24, v1
	v_bfe_i32 v38, v0, 16, 8
	v_dual_ashrrev_i32 v50, 24, v4 :: v_dual_ashrrev_i32 v53, 24, v5
	v_bfe_i32 v51, v4, 16, 8
	v_bfe_i32 v52, v4, 0, 8
	;; [unrolled: 1-line block ×5, first 2 shown]
	v_bfe_u32 v4, v27, 4, 4
	v_and_b32_e32 v5, 0xff, v27
	v_add_nc_u32_e32 v3, v16, v39
	v_bfe_i32 v41, v1, 16, 8
	v_bfe_i32 v1, v1, 0, 8
	;; [unrolled: 1-line block ×4, first 2 shown]
	v_and_b32_e32 v4, 8, v4
	v_and_b32_e32 v5, 8, v5
	v_add3_u32 v3, v3, v38, v37
	v_lshrrev_b16 v48, 8, v6
	v_lshrrev_b16 v49, 8, v7
	v_dual_ashrrev_i32 v56, 24, v6 :: v_dual_ashrrev_i32 v59, 24, v7
	v_bfe_i32 v57, v6, 0, 8
	v_bfe_i32 v58, v6, 16, 8
	;; [unrolled: 1-line block ×4, first 2 shown]
	v_add3_u32 v7, v3, v17, v1
	v_cvt_f32_ubyte0_e32 v3, v4
	v_bfe_i32 v49, v49, 0, 8
	v_bfe_i32 v48, v48, 0, 8
	s_wait_loadcnt 0x5
	v_lshrrev_b32_e32 v27, v25, v33
	s_wait_loadcnt 0x0
	v_cvt_f32_f16_e32 v0, v36
	v_bfe_i32 v36, v2, 0, 8
	v_add_nc_u32_e32 v2, v28, v43
	s_delay_alu instid0(VALU_DEP_1) | instskip(NEXT) | instid1(VALU_DEP_1)
	v_add3_u32 v2, v2, v47, v46
	v_add3_u32 v6, v2, v45, v18
	v_cvt_f32_ubyte0_e32 v2, v5
	s_delay_alu instid0(VALU_DEP_2) | instskip(SKIP_1) | instid1(VALU_DEP_3)
	v_add3_u32 v4, v6, v44, v42
	v_add3_u32 v6, v7, v41, v40
	v_pk_fma_f32 v[2:3], v[2:3], s[4:5], s[10:11] op_sel_hi:[1,0,0] neg_lo:[1,0,0] neg_hi:[1,0,0]
	v_pk_lshrrev_b16 v7, 4, v31
	v_lshrrev_b32_e32 v31, 28, v34
	v_cvt_f32_i32_e32 v5, v4
	v_cvt_f32_i32_e32 v4, v6
	v_add_nc_u32_e32 v6, v62, v52
	s_delay_alu instid0(VALU_DEP_4) | instskip(SKIP_1) | instid1(VALU_DEP_4)
	v_mul_i32_i24_e32 v31, v31, v40
	v_and_b32_e32 v40, 0xf0000f00, v7
	v_pk_mul_f32 v[2:3], v[2:3], v[4:5]
	v_add_nc_u32_e32 v4, v49, v57
	v_add3_u32 v6, v6, v55, v54
	v_pk_lshrrev_b16 v5, 0x8000c, v30
	v_bfe_u32 v30, v34, 24, 4
	v_lshrrev_b32_e32 v33, 28, v35
	v_add3_u32 v4, v4, v61, v60
	v_add3_u32 v6, v6, v53, v36
	v_dual_lshrrev_b32 v7, 4, v19 :: v_dual_bitop2_b32 v19, 8, v19 bitop3:0x40
	v_mul_i32_i24_e32 v30, v30, v37
	s_delay_alu instid0(VALU_DEP_4)
	v_add3_u32 v4, v4, v59, v48
	v_lshrrev_b32_e32 v37, 16, v5
	v_mul_i32_i24_e32 v33, v33, v45
	v_add3_u32 v6, v6, v51, v50
	v_and_b32_e32 v7, 8, v7
	v_add3_u32 v4, v4, v58, v56
	v_add_f32_e32 v2, 0, v2
	v_add3_u32 v30, v30, v31, v33
	v_bitop3_b16 v33, v37, v5, 0xf0 bitop3:0xec
	v_bfe_u32 v37, v34, 20, 4
	v_cvt_f32_i32_e32 v5, v4
	v_cvt_f32_i32_e32 v4, v6
	v_cvt_f32_ubyte0_e32 v6, v19
	v_bfe_u32 v19, v34, 16, 4
	v_mul_i32_i24_e32 v37, v37, v41
	v_lshrrev_b32_e32 v41, 16, v40
	v_cvt_f32_ubyte0_e32 v7, v7
	v_bfe_u32 v45, v29, 20, 4
	v_mul_i32_i24_e32 v19, v19, v38
	v_bfe_u32 v38, v35, 20, 4
	v_dual_lshlrev_b32 v31, 1, v27 :: v_dual_lshrrev_b32 v27, 2, v27
	v_pk_fma_f32 v[6:7], v[6:7], s[4:5], s[10:11] op_sel_hi:[1,0,0] neg_lo:[1,0,0] neg_hi:[1,0,0]
	v_mul_i32_i24_e32 v45, v45, v54
	s_delay_alu instid0(VALU_DEP_4)
	v_mul_i32_i24_e32 v38, v38, v46
	v_bfe_u32 v46, v32, 24, 4
	v_and_or_b32 v31, v31, 14, 1
	v_pk_mul_f32 v[4:5], v[6:7], v[4:5]
	v_and_or_b32 v27, v27, 14, 1
	v_add3_u32 v19, v19, v37, v38
	v_and_b32_e32 v37, 15, v34
	v_bfe_u32 v38, v34, 4, 4
	v_add_f32_e32 v4, 0, v4
	s_or_b32 s5, vcc_lo, s5
	s_delay_alu instid0(VALU_DEP_3) | instskip(NEXT) | instid1(VALU_DEP_3)
	v_mul_i32_i24_e32 v37, v37, v39
	v_mul_i32_i24_e32 v1, v38, v1
	v_bfe_u32 v38, v35, 4, 4
	v_bfe_u32 v39, v35, 16, 4
	v_add_f32_e32 v4, v4, v5
	s_delay_alu instid0(VALU_DEP_3) | instskip(NEXT) | instid1(VALU_DEP_3)
	v_mul_i32_i24_e32 v38, v38, v47
	v_mad_i32_i24 v19, v44, v39, v19
	v_and_b32_e32 v44, 0xf0f0f0f, v35
	v_lshrrev_b32_e32 v39, 4, v35
	v_and_b32_e32 v47, 0xf0f0f0f, v32
	v_add3_u32 v1, v37, v1, v38
	v_and_b32_e32 v37, 0xf0f0f0f, v34
	v_lshrrev_b32_e32 v34, 4, v34
	v_lshrrev_b16 v44, 8, v44
	v_bfe_u32 v38, v35, 24, 4
	v_lshrrev_b16 v39, 8, v39
	v_and_b32_e32 v35, 15, v35
	v_lshrrev_b16 v34, 8, v34
	v_and_b32_e32 v44, 0xffff, v44
	v_mad_i32_i24 v30, v42, v38, v30
	v_and_b32_e32 v42, 15, v29
	v_lshrrev_b16 v37, 8, v37
	v_and_b32_e32 v34, 15, v34
	v_mul_i32_i24_e32 v18, v18, v44
	v_dual_lshrrev_b32 v44, 28, v29 :: v_dual_bitop2_b32 v39, 15, v39 bitop3:0x40
	v_lshrrev_b32_e32 v38, 4, v29
	v_and_b32_e32 v37, 0xffff, v37
	v_mad_i32_i24 v1, v43, v35, v1
	s_delay_alu instid0(VALU_DEP_4)
	v_mul_i32_i24_e32 v44, v44, v53
	v_lshrrev_b32_e32 v53, 28, v32
	v_mul_i32_i24_e32 v42, v52, v42
	v_lshrrev_b32_e32 v52, 4, v32
	v_and_b32_e32 v43, 0xf0f0f0f, v29
	v_and_b32_e32 v34, 0xffff, v34
	v_lshrrev_b16 v38, 8, v38
	v_bfe_u32 v35, v29, 24, 4
	v_lshrrev_b16 v52, 8, v52
	v_mul_i32_i24_e32 v16, v37, v16
	v_bfe_u32 v37, v29, 16, 4
	v_and_b32_e32 v39, 0xffff, v39
	v_lshrrev_b16 v43, 8, v43
	v_mul_i32_i24_e32 v17, v34, v17
	v_and_b32_e32 v34, 15, v38
	v_and_b32_e32 v38, 15, v52
	v_bfe_u32 v29, v29, 4, 4
	v_mul_i32_i24_e32 v37, v51, v37
	v_mul_i32_i24_e32 v35, v50, v35
	v_bfe_u32 v50, v32, 4, 4
	v_bfe_u32 v51, v32, 20, 4
	v_lshrrev_b16 v47, 8, v47
	v_mul_i32_i24_e32 v53, v53, v59
	v_mul_i32_i24_e32 v28, v39, v28
	v_and_b32_e32 v39, 0xffff, v43
	v_and_b32_e32 v34, 0xffff, v34
	v_and_b32_e32 v38, 0xffff, v38
	v_mul_i32_i24_e32 v29, v29, v55
	v_mul_i32_i24_e32 v50, v50, v61
	;; [unrolled: 1-line block ×3, first 2 shown]
	v_and_b32_e32 v43, 0xffff, v47
	v_add3_u32 v35, v35, v44, v53
	v_add3_u32 v16, v16, v17, v28
	v_mul_i32_i24_e32 v17, v36, v39
	v_mul_i32_i24_e32 v28, v34, v62
	;; [unrolled: 1-line block ×3, first 2 shown]
	v_and_b32_e32 v54, 15, v32
	v_bfe_u32 v32, v32, 16, 4
	v_add3_u32 v29, v42, v29, v50
	v_add3_u32 v36, v37, v45, v51
	v_mul_i32_i24_e32 v37, v48, v43
	v_mad_i32_i24 v35, v56, v46, v35
	v_add3_u32 v16, v18, v16, v30
	v_add3_u32 v17, v17, v28, v34
	v_mad_i32_i24 v6, v58, v32, v36
	v_add_f32_e32 v18, v2, v3
	v_mad_i32_i24 v7, v57, v54, v29
	v_add3_u32 v1, v1, v19, v16
	v_add3_u32 v16, v37, v17, v35
	v_bitop3_b16 v17, v33, v41, v40 bitop3:0xfe
	v_cvt_f32_ubyte0_e32 v3, v31
	s_delay_alu instid0(VALU_DEP_4) | instskip(NEXT) | instid1(VALU_DEP_4)
	v_cvt_f32_i32_e32 v1, v1
	v_add3_u32 v6, v7, v6, v16
	s_delay_alu instid0(VALU_DEP_4) | instskip(NEXT) | instid1(VALU_DEP_3)
	v_cvt_f32_f16_e32 v2, v17
	v_add_f32_e32 v1, v18, v1
	s_delay_alu instid0(VALU_DEP_3) | instskip(SKIP_1) | instid1(VALU_DEP_3)
	v_cvt_f32_i32_e32 v5, v6
	v_cvt_f32_ubyte0_e32 v6, v27
	v_pk_mul_f32 v[0:1], v[0:1], v[2:3]
	s_delay_alu instid0(VALU_DEP_3) | instskip(NEXT) | instid1(VALU_DEP_1)
	v_add_f32_e32 v2, v4, v5
	v_fma_f32 v1, v2, v6, v1
	s_delay_alu instid0(VALU_DEP_1)
	v_fmac_f32_e32 v24, v0, v1
	s_and_not1_b32 exec_lo, exec_lo, s5
	s_cbranch_execnz .LBB274_3
; %bb.4:
	s_or_b32 exec_lo, exec_lo, s5
.LBB274_5:
	s_delay_alu instid0(SALU_CYCLE_1) | instskip(SKIP_1) | instid1(VALU_DEP_1)
	s_or_b32 exec_lo, exec_lo, s12
	v_mbcnt_lo_u32_b32 v0, -1, 0
	v_xor_b32_e32 v2, 8, v0
	v_xor_b32_e32 v1, 16, v0
	;; [unrolled: 1-line block ×3, first 2 shown]
	s_delay_alu instid0(VALU_DEP_2) | instskip(SKIP_4) | instid1(VALU_DEP_2)
	v_cmp_gt_i32_e32 vcc_lo, 32, v1
	v_cndmask_b32_e32 v1, v0, v1, vcc_lo
	v_cmp_gt_i32_e32 vcc_lo, 32, v2
	v_cndmask_b32_e32 v2, v0, v2, vcc_lo
	v_cmp_gt_i32_e32 vcc_lo, 32, v3
	v_dual_lshlrev_b32 v2, 2, v2 :: v_dual_lshlrev_b32 v1, 2, v1
	ds_bpermute_b32 v1, v1, v24
	s_wait_dscnt 0x0
	v_add_f32_e32 v1, v24, v1
	ds_bpermute_b32 v2, v2, v1
	s_wait_dscnt 0x0
	v_dual_cndmask_b32 v3, v0, v3, vcc_lo :: v_dual_add_f32 v1, v1, v2
	s_delay_alu instid0(VALU_DEP_1) | instskip(SKIP_3) | instid1(VALU_DEP_1)
	v_lshlrev_b32_e32 v3, 2, v3
	ds_bpermute_b32 v2, v3, v1
	s_wait_dscnt 0x0
	v_dual_add_f32 v1, v1, v2 :: v_dual_bitop2_b32 v3, 2, v0 bitop3:0x14
	v_cmp_gt_i32_e32 vcc_lo, 32, v3
	v_cndmask_b32_e32 v3, v0, v3, vcc_lo
	s_delay_alu instid0(VALU_DEP_1) | instskip(SKIP_2) | instid1(VALU_DEP_1)
	v_lshlrev_b32_e32 v3, 2, v3
	ds_bpermute_b32 v2, v3, v1
	v_xor_b32_e32 v3, 1, v0
	v_cmp_gt_i32_e32 vcc_lo, 32, v3
	v_cndmask_b32_e32 v3, v0, v3, vcc_lo
	v_cmp_eq_u32_e32 vcc_lo, 0, v21
	s_wait_dscnt 0x0
	s_delay_alu instid0(VALU_DEP_2)
	v_dual_add_f32 v0, v1, v2 :: v_dual_lshlrev_b32 v1, 2, v3
	ds_bpermute_b32 v1, v1, v0
	s_and_b32 exec_lo, exec_lo, vcc_lo
	s_cbranch_execz .LBB274_7
; %bb.6:
	v_mad_u32 v2, s6, s11, v20
	s_wait_dscnt 0x0
	v_add_f32_e32 v0, v0, v1
	s_delay_alu instid0(VALU_DEP_1)
	v_cvt_f16_f32_e32 v0, v0
	s_wait_kmcnt 0x0
	global_store_b16 v2, v0, s[8:9] scale_offset
.LBB274_7:
	s_endpgm
	.section	.rodata,"a",@progbits
	.p2align	6, 0x0
	.amdhsa_kernel _ZL9moe_vec_qIN3c104HalfELi256ELi8E11block_iq1_mLi1EXadL_ZL18vec_dot_iq1_m_q8_1PKvPK10block_q8_1RKiEEEvS4_S4_PT_PS8_iiii
		.amdhsa_group_segment_fixed_size 0
		.amdhsa_private_segment_fixed_size 0
		.amdhsa_kernarg_size 304
		.amdhsa_user_sgpr_count 2
		.amdhsa_user_sgpr_dispatch_ptr 0
		.amdhsa_user_sgpr_queue_ptr 0
		.amdhsa_user_sgpr_kernarg_segment_ptr 1
		.amdhsa_user_sgpr_dispatch_id 0
		.amdhsa_user_sgpr_kernarg_preload_length 0
		.amdhsa_user_sgpr_kernarg_preload_offset 0
		.amdhsa_user_sgpr_private_segment_size 0
		.amdhsa_wavefront_size32 1
		.amdhsa_uses_dynamic_stack 0
		.amdhsa_enable_private_segment 0
		.amdhsa_system_sgpr_workgroup_id_x 1
		.amdhsa_system_sgpr_workgroup_id_y 0
		.amdhsa_system_sgpr_workgroup_id_z 1
		.amdhsa_system_sgpr_workgroup_info 0
		.amdhsa_system_vgpr_workitem_id 1
		.amdhsa_next_free_vgpr 63
		.amdhsa_next_free_sgpr 19
		.amdhsa_named_barrier_count 0
		.amdhsa_reserve_vcc 1
		.amdhsa_float_round_mode_32 0
		.amdhsa_float_round_mode_16_64 0
		.amdhsa_float_denorm_mode_32 3
		.amdhsa_float_denorm_mode_16_64 3
		.amdhsa_fp16_overflow 0
		.amdhsa_memory_ordered 1
		.amdhsa_forward_progress 1
		.amdhsa_inst_pref_size 20
		.amdhsa_round_robin_scheduling 0
		.amdhsa_exception_fp_ieee_invalid_op 0
		.amdhsa_exception_fp_denorm_src 0
		.amdhsa_exception_fp_ieee_div_zero 0
		.amdhsa_exception_fp_ieee_overflow 0
		.amdhsa_exception_fp_ieee_underflow 0
		.amdhsa_exception_fp_ieee_inexact 0
		.amdhsa_exception_int_div_zero 0
	.end_amdhsa_kernel
	.section	.text._ZL9moe_vec_qIN3c104HalfELi256ELi8E11block_iq1_mLi1EXadL_ZL18vec_dot_iq1_m_q8_1PKvPK10block_q8_1RKiEEEvS4_S4_PT_PS8_iiii,"axG",@progbits,_ZL9moe_vec_qIN3c104HalfELi256ELi8E11block_iq1_mLi1EXadL_ZL18vec_dot_iq1_m_q8_1PKvPK10block_q8_1RKiEEEvS4_S4_PT_PS8_iiii,comdat
.Lfunc_end274:
	.size	_ZL9moe_vec_qIN3c104HalfELi256ELi8E11block_iq1_mLi1EXadL_ZL18vec_dot_iq1_m_q8_1PKvPK10block_q8_1RKiEEEvS4_S4_PT_PS8_iiii, .Lfunc_end274-_ZL9moe_vec_qIN3c104HalfELi256ELi8E11block_iq1_mLi1EXadL_ZL18vec_dot_iq1_m_q8_1PKvPK10block_q8_1RKiEEEvS4_S4_PT_PS8_iiii
                                        ; -- End function
	.set _ZL9moe_vec_qIN3c104HalfELi256ELi8E11block_iq1_mLi1EXadL_ZL18vec_dot_iq1_m_q8_1PKvPK10block_q8_1RKiEEEvS4_S4_PT_PS8_iiii.num_vgpr, 63
	.set _ZL9moe_vec_qIN3c104HalfELi256ELi8E11block_iq1_mLi1EXadL_ZL18vec_dot_iq1_m_q8_1PKvPK10block_q8_1RKiEEEvS4_S4_PT_PS8_iiii.num_agpr, 0
	.set _ZL9moe_vec_qIN3c104HalfELi256ELi8E11block_iq1_mLi1EXadL_ZL18vec_dot_iq1_m_q8_1PKvPK10block_q8_1RKiEEEvS4_S4_PT_PS8_iiii.numbered_sgpr, 19
	.set _ZL9moe_vec_qIN3c104HalfELi256ELi8E11block_iq1_mLi1EXadL_ZL18vec_dot_iq1_m_q8_1PKvPK10block_q8_1RKiEEEvS4_S4_PT_PS8_iiii.num_named_barrier, 0
	.set _ZL9moe_vec_qIN3c104HalfELi256ELi8E11block_iq1_mLi1EXadL_ZL18vec_dot_iq1_m_q8_1PKvPK10block_q8_1RKiEEEvS4_S4_PT_PS8_iiii.private_seg_size, 0
	.set _ZL9moe_vec_qIN3c104HalfELi256ELi8E11block_iq1_mLi1EXadL_ZL18vec_dot_iq1_m_q8_1PKvPK10block_q8_1RKiEEEvS4_S4_PT_PS8_iiii.uses_vcc, 1
	.set _ZL9moe_vec_qIN3c104HalfELi256ELi8E11block_iq1_mLi1EXadL_ZL18vec_dot_iq1_m_q8_1PKvPK10block_q8_1RKiEEEvS4_S4_PT_PS8_iiii.uses_flat_scratch, 0
	.set _ZL9moe_vec_qIN3c104HalfELi256ELi8E11block_iq1_mLi1EXadL_ZL18vec_dot_iq1_m_q8_1PKvPK10block_q8_1RKiEEEvS4_S4_PT_PS8_iiii.has_dyn_sized_stack, 0
	.set _ZL9moe_vec_qIN3c104HalfELi256ELi8E11block_iq1_mLi1EXadL_ZL18vec_dot_iq1_m_q8_1PKvPK10block_q8_1RKiEEEvS4_S4_PT_PS8_iiii.has_recursion, 0
	.set _ZL9moe_vec_qIN3c104HalfELi256ELi8E11block_iq1_mLi1EXadL_ZL18vec_dot_iq1_m_q8_1PKvPK10block_q8_1RKiEEEvS4_S4_PT_PS8_iiii.has_indirect_call, 0
	.section	.AMDGPU.csdata,"",@progbits
; Kernel info:
; codeLenInByte = 2484
; TotalNumSgprs: 21
; NumVgprs: 63
; ScratchSize: 0
; MemoryBound: 0
; FloatMode: 240
; IeeeMode: 1
; LDSByteSize: 0 bytes/workgroup (compile time only)
; SGPRBlocks: 0
; VGPRBlocks: 3
; NumSGPRsForWavesPerEU: 21
; NumVGPRsForWavesPerEU: 63
; NamedBarCnt: 0
; Occupancy: 16
; WaveLimiterHint : 1
; COMPUTE_PGM_RSRC2:SCRATCH_EN: 0
; COMPUTE_PGM_RSRC2:USER_SGPR: 2
; COMPUTE_PGM_RSRC2:TRAP_HANDLER: 0
; COMPUTE_PGM_RSRC2:TGID_X_EN: 1
; COMPUTE_PGM_RSRC2:TGID_Y_EN: 0
; COMPUTE_PGM_RSRC2:TGID_Z_EN: 1
; COMPUTE_PGM_RSRC2:TIDIG_COMP_CNT: 1
	.section	.text._ZL9moe_vec_qIN3c108BFloat16ELi32ELi4E10block_q4_0Li2EXadL_ZL17vec_dot_q4_0_q8_1PKvPK10block_q8_1RKiEEEvS4_S4_PT_PS8_iiii,"axG",@progbits,_ZL9moe_vec_qIN3c108BFloat16ELi32ELi4E10block_q4_0Li2EXadL_ZL17vec_dot_q4_0_q8_1PKvPK10block_q8_1RKiEEEvS4_S4_PT_PS8_iiii,comdat
	.globl	_ZL9moe_vec_qIN3c108BFloat16ELi32ELi4E10block_q4_0Li2EXadL_ZL17vec_dot_q4_0_q8_1PKvPK10block_q8_1RKiEEEvS4_S4_PT_PS8_iiii ; -- Begin function _ZL9moe_vec_qIN3c108BFloat16ELi32ELi4E10block_q4_0Li2EXadL_ZL17vec_dot_q4_0_q8_1PKvPK10block_q8_1RKiEEEvS4_S4_PT_PS8_iiii
	.p2align	8
	.type	_ZL9moe_vec_qIN3c108BFloat16ELi32ELi4E10block_q4_0Li2EXadL_ZL17vec_dot_q4_0_q8_1PKvPK10block_q8_1RKiEEEvS4_S4_PT_PS8_iiii,@function
_ZL9moe_vec_qIN3c108BFloat16ELi32ELi4E10block_q4_0Li2EXadL_ZL17vec_dot_q4_0_q8_1PKvPK10block_q8_1RKiEEEvS4_S4_PT_PS8_iiii: ; @_ZL9moe_vec_qIN3c108BFloat16ELi32ELi4E10block_q4_0Li2EXadL_ZL17vec_dot_q4_0_q8_1PKvPK10block_q8_1RKiEEEvS4_S4_PT_PS8_iiii
; %bb.0:
	s_clause 0x1
	s_load_u16 s3, s[0:1], 0x3e
	s_load_b128 s[4:7], s[0:1], 0x20
	s_bfe_u32 s2, ttmp6, 0x4000c
	s_and_b32 s8, ttmp6, 15
	s_add_co_i32 s2, s2, 1
	v_bfe_u32 v1, v0, 10, 10
	s_mul_i32 s2, ttmp9, s2
	s_mov_b32 s9, 0
	s_add_co_i32 s8, s8, s2
	s_getreg_b32 s2, hwreg(HW_REG_IB_STS2, 6, 4)
	s_delay_alu instid0(SALU_CYCLE_1) | instskip(SKIP_4) | instid1(VALU_DEP_1)
	s_cmp_eq_u32 s2, 0
	s_cselect_b32 s8, ttmp9, s8
	s_wait_kmcnt 0x0
	v_mad_u32 v4, s8, s3, v1
	s_mov_b32 s3, exec_lo
	v_cmpx_gt_u32_e64 s6, v4
	s_cbranch_execz .LBB275_7
; %bb.1:
	s_load_b64 s[10:11], s[0:1], 0x10
	s_bfe_u32 s3, ttmp6, 0x40014
	s_lshr_b32 s8, ttmp7, 16
	s_add_co_i32 s3, s3, 1
	s_cvt_f32_u32 s13, s4
	s_mul_i32 s3, s8, s3
	s_bfe_u32 s12, ttmp6, 0x40008
	v_bfe_u32 v6, v0, 1, 9
	s_add_co_i32 s12, s12, s3
	v_rcp_iflag_f32_e32 v1, s13
	s_cmp_eq_u32 s2, 0
	v_and_b32_e32 v5, 0x3ff, v0
	s_cselect_b32 s8, s8, s12
	s_ashr_i32 s2, s5, 31
	v_mov_b32_e32 v7, 0
	s_lshr_b32 s2, s2, 27
	s_mov_b32 s12, exec_lo
	s_add_co_i32 s3, s5, s2
	v_readfirstlane_b32 s2, v1
	s_ashr_i32 s13, s3, 5
	s_delay_alu instid0(SALU_CYCLE_1)
	v_cmpx_gt_u32_e64 s13, v6
	s_cbranch_execz .LBB275_5
; %bb.2:
	s_load_b64 s[14:15], s[0:1], 0x18
	s_mul_f32 s5, s2, 0x4f7ffffe
	s_sub_co_i32 s16, 0, s4
	s_mov_b32 s17, s9
	s_wait_xcnt 0x0
	s_load_b128 s[0:3], s[0:1], 0x0
	s_cvt_u32_f32 s18, s5
	v_mul_lo_u32 v8, v4, s13
	s_mul_i32 s19, s13, s6
	v_dual_mov_b32 v1, 0 :: v_dual_lshlrev_b32 v0, 3, v5
	s_mul_i32 s16, s16, s18
	s_mov_b32 s5, 0
	s_delay_alu instid0(VALU_DEP_1) | instskip(NEXT) | instid1(VALU_DEP_2)
	v_dual_mov_b32 v3, 4.0 :: v_dual_bitop2_b32 v0, 8, v0 bitop3:0x40
	v_mov_b32_e32 v7, v1
	s_wait_kmcnt 0x0
	s_load_b32 s20, s[14:15], s8 offset:0x0 scale_offset
	s_wait_xcnt 0x0
	s_mul_hi_u32 s14, s18, s16
	s_delay_alu instid0(SALU_CYCLE_1) | instskip(NEXT) | instid1(SALU_CYCLE_1)
	s_add_co_i32 s16, s18, s14
	s_mul_u64 s[14:15], s[8:9], s[16:17]
	s_delay_alu instid0(SALU_CYCLE_1) | instskip(SKIP_2) | instid1(SALU_CYCLE_1)
	s_mul_i32 s9, s15, s4
	s_add_co_i32 s14, s15, 1
	s_sub_co_i32 s9, s8, s9
	s_sub_co_i32 s16, s9, s4
	s_cmp_ge_u32 s9, s4
	s_cselect_b32 s15, s14, s15
	s_cselect_b32 s9, s16, s9
	s_add_co_i32 s16, s15, 1
	s_cmp_ge_u32 s9, s4
	s_cselect_b32 s4, s16, s15
	s_wait_kmcnt 0x0
	s_mul_i32 s14, s19, s20
	s_mul_i32 s4, s4, s7
	s_ashr_i32 s15, s14, 31
	s_lshl_b64 s[16:17], s[4:5], 2
	s_mul_u64 s[14:15], s[14:15], 18
	s_add_nc_u64 s[2:3], s[2:3], s[16:17]
	s_add_nc_u64 s[0:1], s[0:1], s[14:15]
.LBB275_3:                              ; =>This Inner Loop Header: Depth=1
	v_add_nc_u32_e32 v2, v8, v6
	v_mad_nc_i64_i32 v[10:11], v6, 36, s[2:3]
	v_add_nc_u32_e32 v6, 16, v6
	s_delay_alu instid0(VALU_DEP_3) | instskip(NEXT) | instid1(VALU_DEP_2)
	v_mad_nc_i64_i32 v[12:13], v2, 18, s[0:1]
	v_cmp_le_u32_e32 vcc_lo, s13, v6
	s_delay_alu instid0(VALU_DEP_4) | instskip(SKIP_1) | instid1(VALU_DEP_3)
	v_add_nc_u64_e32 v[14:15], v[10:11], v[0:1]
	s_or_b32 s5, vcc_lo, s5
	v_add_nc_u64_e32 v[16:17], v[12:13], v[0:1]
	global_load_b64 v[18:19], v[14:15], off offset:4
	global_load_b64 v[20:21], v[16:17], off offset:2
	s_clause 0x1
	global_load_b64 v[22:23], v[14:15], off offset:20
	global_load_b32 v2, v[10:11], off
	global_load_u16 v9, v[12:13], off
	s_wait_loadcnt 0x3
	s_wait_xcnt 0x2
	v_dual_ashrrev_i32 v14, 24, v18 :: v_dual_lshrrev_b32 v30, 4, v20
	s_wait_loadcnt 0x2
	v_ashrrev_i32_e32 v15, 24, v22
	v_bfe_i32 v17, v22, 0, 8
	v_ashrrev_i32_e32 v25, 24, v23
	v_bfe_i32 v26, v23, 16, 8
	v_bfe_i32 v27, v23, 8, 8
	;; [unrolled: 1-line block ×3, first 2 shown]
	v_bfe_u32 v28, v20, 24, 4
	v_and_b32_e32 v29, 0xf0f0f0f, v20
	v_dual_lshrrev_b32 v31, 28, v20 :: v_dual_bitop2_b32 v33, 15, v20 bitop3:0x40
	v_bfe_u32 v32, v20, 16, 4
	v_bfe_u32 v34, v20, 20, 4
	;; [unrolled: 1-line block ×4, first 2 shown]
	v_and_b32_e32 v36, 0xf0f0f0f, v21
	v_dual_lshrrev_b32 v37, 4, v21 :: v_dual_lshrrev_b32 v38, 28, v21
	v_bfe_u32 v39, v21, 16, 4
	v_and_b32_e32 v40, 15, v21
	v_bfe_u32 v41, v21, 20, 4
	v_bfe_u32 v21, v21, 4, 4
	v_lshrrev_b16 v30, 8, v30
	s_wait_xcnt 0x1
	v_lshrrev_b16 v10, 8, v18
	v_lshrrev_b16 v11, 8, v22
	v_lshrrev_b16 v29, 8, v29
	v_mul_i32_i24_e32 v17, v20, v17
	v_mul_i32_i24_e32 v15, v31, v15
	v_lshrrev_b16 v20, 8, v36
	v_lshrrev_b16 v31, 8, v37
	v_mul_i32_i24_e32 v21, v23, v21
	v_mul_i32_i24_e32 v23, v26, v41
	v_and_b32_e32 v26, 15, v30
	s_wait_xcnt 0x0
	v_bfe_i32 v12, v18, 16, 8
	v_bfe_i32 v13, v18, 0, 8
	;; [unrolled: 1-line block ×3, first 2 shown]
	v_ashrrev_i32_e32 v18, 24, v19
	v_bfe_i32 v24, v19, 8, 8
	v_bfe_i32 v10, v10, 0, 8
	;; [unrolled: 1-line block ×3, first 2 shown]
	v_and_b32_e32 v29, 0xffff, v29
	v_and_b32_e32 v20, 0xffff, v20
	;; [unrolled: 1-line block ×4, first 2 shown]
	v_bfe_i32 v22, v19, 16, 8
	v_bfe_i32 v19, v19, 0, 8
	v_mul_i32_i24_e32 v16, v34, v16
	v_mul_i32_i24_e32 v18, v18, v35
	;; [unrolled: 1-line block ×3, first 2 shown]
	v_mad_i32_i24 v14, v28, v14, v15
	v_mul_i32_i24_e32 v10, v29, v10
	v_mul_i32_i24_e32 v15, v24, v20
	v_and_b32_e32 v20, 0xffff, v30
	v_mul_i32_i24_e32 v11, v26, v11
	v_mul_i32_i24_e32 v19, v19, v40
	v_mul_i32_i24_e32 v22, v22, v39
	v_mad_i32_i24 v13, v33, v13, v17
	v_mad_i32_i24 v12, v32, v12, v16
	v_add3_u32 v14, v14, v18, v25
	v_mul_i32_i24_e32 v16, v27, v20
	v_add3_u32 v10, v10, v11, v15
	s_delay_alu instid0(VALU_DEP_4) | instskip(SKIP_4) | instid1(VALU_DEP_1)
	v_add3_u32 v11, v12, v22, v23
	v_add3_u32 v12, v13, v19, v21
	s_wait_loadcnt 0x1
	v_lshrrev_b32_e32 v13, 16, v2
	v_add3_u32 v10, v10, v16, v14
	v_add3_u32 v12, v12, v11, v10
	v_cvt_f32_f16_e32 v10, v2
	s_delay_alu instid0(VALU_DEP_4) | instskip(NEXT) | instid1(VALU_DEP_3)
	v_cvt_f32_f16_e32 v11, v13
	v_cvt_f32_i32_e32 v2, v12
	s_delay_alu instid0(VALU_DEP_1) | instskip(NEXT) | instid1(VALU_DEP_1)
	v_pk_mul_f32 v[10:11], v[2:3], v[10:11]
	v_sub_f32_e32 v2, v10, v11
	s_wait_loadcnt 0x0
	s_delay_alu instid0(VALU_DEP_1)
	v_fma_mix_f32 v7, v2, v9, v7 op_sel_hi:[0,1,0]
	s_and_not1_b32 exec_lo, exec_lo, s5
	s_cbranch_execnz .LBB275_3
; %bb.4:
	s_or_b32 exec_lo, exec_lo, s5
.LBB275_5:
	s_delay_alu instid0(SALU_CYCLE_1) | instskip(SKIP_1) | instid1(VALU_DEP_1)
	s_or_b32 exec_lo, exec_lo, s12
	v_mbcnt_lo_u32_b32 v0, -1, 0
	v_xor_b32_e32 v2, 8, v0
	v_xor_b32_e32 v1, 16, v0
	v_xor_b32_e32 v3, 4, v0
	s_delay_alu instid0(VALU_DEP_2) | instskip(SKIP_4) | instid1(VALU_DEP_2)
	v_cmp_gt_i32_e32 vcc_lo, 32, v1
	v_cndmask_b32_e32 v1, v0, v1, vcc_lo
	v_cmp_gt_i32_e32 vcc_lo, 32, v2
	v_cndmask_b32_e32 v2, v0, v2, vcc_lo
	v_cmp_gt_i32_e32 vcc_lo, 32, v3
	v_dual_lshlrev_b32 v2, 2, v2 :: v_dual_lshlrev_b32 v1, 2, v1
	ds_bpermute_b32 v1, v1, v7
	s_wait_dscnt 0x0
	v_add_f32_e32 v1, v7, v1
	ds_bpermute_b32 v2, v2, v1
	s_wait_dscnt 0x0
	v_dual_cndmask_b32 v3, v0, v3, vcc_lo :: v_dual_add_f32 v1, v1, v2
	s_delay_alu instid0(VALU_DEP_1) | instskip(SKIP_3) | instid1(VALU_DEP_1)
	v_lshlrev_b32_e32 v3, 2, v3
	ds_bpermute_b32 v2, v3, v1
	s_wait_dscnt 0x0
	v_dual_add_f32 v1, v1, v2 :: v_dual_bitop2_b32 v3, 2, v0 bitop3:0x14
	v_cmp_gt_i32_e32 vcc_lo, 32, v3
	v_cndmask_b32_e32 v3, v0, v3, vcc_lo
	s_delay_alu instid0(VALU_DEP_1) | instskip(SKIP_2) | instid1(VALU_DEP_1)
	v_lshlrev_b32_e32 v3, 2, v3
	ds_bpermute_b32 v2, v3, v1
	v_xor_b32_e32 v3, 1, v0
	v_cmp_gt_i32_e32 vcc_lo, 32, v3
	v_cndmask_b32_e32 v3, v0, v3, vcc_lo
	v_cmp_eq_u32_e32 vcc_lo, 0, v5
	s_wait_dscnt 0x0
	s_delay_alu instid0(VALU_DEP_2)
	v_dual_add_f32 v0, v1, v2 :: v_dual_lshlrev_b32 v1, 2, v3
	ds_bpermute_b32 v1, v1, v0
	s_and_b32 exec_lo, exec_lo, vcc_lo
	s_cbranch_execz .LBB275_7
; %bb.6:
	s_wait_dscnt 0x0
	v_add_f32_e32 v0, v0, v1
	v_mad_u32 v2, s6, s8, v4
	s_delay_alu instid0(VALU_DEP_2) | instskip(NEXT) | instid1(VALU_DEP_1)
	v_bfe_u32 v1, v0, 16, 1
	v_add3_u32 v1, v0, v1, 0x7fff
	s_delay_alu instid0(VALU_DEP_1) | instskip(SKIP_1) | instid1(VALU_DEP_2)
	v_lshrrev_b32_e32 v1, 16, v1
	v_cmp_o_f32_e32 vcc_lo, v0, v0
	v_cndmask_b32_e32 v0, 0x7fc0, v1, vcc_lo
	s_wait_kmcnt 0x0
	global_store_b16 v2, v0, s[10:11] scale_offset
.LBB275_7:
	s_endpgm
	.section	.rodata,"a",@progbits
	.p2align	6, 0x0
	.amdhsa_kernel _ZL9moe_vec_qIN3c108BFloat16ELi32ELi4E10block_q4_0Li2EXadL_ZL17vec_dot_q4_0_q8_1PKvPK10block_q8_1RKiEEEvS4_S4_PT_PS8_iiii
		.amdhsa_group_segment_fixed_size 0
		.amdhsa_private_segment_fixed_size 0
		.amdhsa_kernarg_size 304
		.amdhsa_user_sgpr_count 2
		.amdhsa_user_sgpr_dispatch_ptr 0
		.amdhsa_user_sgpr_queue_ptr 0
		.amdhsa_user_sgpr_kernarg_segment_ptr 1
		.amdhsa_user_sgpr_dispatch_id 0
		.amdhsa_user_sgpr_kernarg_preload_length 0
		.amdhsa_user_sgpr_kernarg_preload_offset 0
		.amdhsa_user_sgpr_private_segment_size 0
		.amdhsa_wavefront_size32 1
		.amdhsa_uses_dynamic_stack 0
		.amdhsa_enable_private_segment 0
		.amdhsa_system_sgpr_workgroup_id_x 1
		.amdhsa_system_sgpr_workgroup_id_y 0
		.amdhsa_system_sgpr_workgroup_id_z 1
		.amdhsa_system_sgpr_workgroup_info 0
		.amdhsa_system_vgpr_workitem_id 1
		.amdhsa_next_free_vgpr 42
		.amdhsa_next_free_sgpr 21
		.amdhsa_named_barrier_count 0
		.amdhsa_reserve_vcc 1
		.amdhsa_float_round_mode_32 0
		.amdhsa_float_round_mode_16_64 0
		.amdhsa_float_denorm_mode_32 3
		.amdhsa_float_denorm_mode_16_64 3
		.amdhsa_fp16_overflow 0
		.amdhsa_memory_ordered 1
		.amdhsa_forward_progress 1
		.amdhsa_inst_pref_size 11
		.amdhsa_round_robin_scheduling 0
		.amdhsa_exception_fp_ieee_invalid_op 0
		.amdhsa_exception_fp_denorm_src 0
		.amdhsa_exception_fp_ieee_div_zero 0
		.amdhsa_exception_fp_ieee_overflow 0
		.amdhsa_exception_fp_ieee_underflow 0
		.amdhsa_exception_fp_ieee_inexact 0
		.amdhsa_exception_int_div_zero 0
	.end_amdhsa_kernel
	.section	.text._ZL9moe_vec_qIN3c108BFloat16ELi32ELi4E10block_q4_0Li2EXadL_ZL17vec_dot_q4_0_q8_1PKvPK10block_q8_1RKiEEEvS4_S4_PT_PS8_iiii,"axG",@progbits,_ZL9moe_vec_qIN3c108BFloat16ELi32ELi4E10block_q4_0Li2EXadL_ZL17vec_dot_q4_0_q8_1PKvPK10block_q8_1RKiEEEvS4_S4_PT_PS8_iiii,comdat
.Lfunc_end275:
	.size	_ZL9moe_vec_qIN3c108BFloat16ELi32ELi4E10block_q4_0Li2EXadL_ZL17vec_dot_q4_0_q8_1PKvPK10block_q8_1RKiEEEvS4_S4_PT_PS8_iiii, .Lfunc_end275-_ZL9moe_vec_qIN3c108BFloat16ELi32ELi4E10block_q4_0Li2EXadL_ZL17vec_dot_q4_0_q8_1PKvPK10block_q8_1RKiEEEvS4_S4_PT_PS8_iiii
                                        ; -- End function
	.set _ZL9moe_vec_qIN3c108BFloat16ELi32ELi4E10block_q4_0Li2EXadL_ZL17vec_dot_q4_0_q8_1PKvPK10block_q8_1RKiEEEvS4_S4_PT_PS8_iiii.num_vgpr, 42
	.set _ZL9moe_vec_qIN3c108BFloat16ELi32ELi4E10block_q4_0Li2EXadL_ZL17vec_dot_q4_0_q8_1PKvPK10block_q8_1RKiEEEvS4_S4_PT_PS8_iiii.num_agpr, 0
	.set _ZL9moe_vec_qIN3c108BFloat16ELi32ELi4E10block_q4_0Li2EXadL_ZL17vec_dot_q4_0_q8_1PKvPK10block_q8_1RKiEEEvS4_S4_PT_PS8_iiii.numbered_sgpr, 21
	.set _ZL9moe_vec_qIN3c108BFloat16ELi32ELi4E10block_q4_0Li2EXadL_ZL17vec_dot_q4_0_q8_1PKvPK10block_q8_1RKiEEEvS4_S4_PT_PS8_iiii.num_named_barrier, 0
	.set _ZL9moe_vec_qIN3c108BFloat16ELi32ELi4E10block_q4_0Li2EXadL_ZL17vec_dot_q4_0_q8_1PKvPK10block_q8_1RKiEEEvS4_S4_PT_PS8_iiii.private_seg_size, 0
	.set _ZL9moe_vec_qIN3c108BFloat16ELi32ELi4E10block_q4_0Li2EXadL_ZL17vec_dot_q4_0_q8_1PKvPK10block_q8_1RKiEEEvS4_S4_PT_PS8_iiii.uses_vcc, 1
	.set _ZL9moe_vec_qIN3c108BFloat16ELi32ELi4E10block_q4_0Li2EXadL_ZL17vec_dot_q4_0_q8_1PKvPK10block_q8_1RKiEEEvS4_S4_PT_PS8_iiii.uses_flat_scratch, 0
	.set _ZL9moe_vec_qIN3c108BFloat16ELi32ELi4E10block_q4_0Li2EXadL_ZL17vec_dot_q4_0_q8_1PKvPK10block_q8_1RKiEEEvS4_S4_PT_PS8_iiii.has_dyn_sized_stack, 0
	.set _ZL9moe_vec_qIN3c108BFloat16ELi32ELi4E10block_q4_0Li2EXadL_ZL17vec_dot_q4_0_q8_1PKvPK10block_q8_1RKiEEEvS4_S4_PT_PS8_iiii.has_recursion, 0
	.set _ZL9moe_vec_qIN3c108BFloat16ELi32ELi4E10block_q4_0Li2EXadL_ZL17vec_dot_q4_0_q8_1PKvPK10block_q8_1RKiEEEvS4_S4_PT_PS8_iiii.has_indirect_call, 0
	.section	.AMDGPU.csdata,"",@progbits
; Kernel info:
; codeLenInByte = 1344
; TotalNumSgprs: 23
; NumVgprs: 42
; ScratchSize: 0
; MemoryBound: 0
; FloatMode: 240
; IeeeMode: 1
; LDSByteSize: 0 bytes/workgroup (compile time only)
; SGPRBlocks: 0
; VGPRBlocks: 2
; NumSGPRsForWavesPerEU: 23
; NumVGPRsForWavesPerEU: 42
; NamedBarCnt: 0
; Occupancy: 16
; WaveLimiterHint : 1
; COMPUTE_PGM_RSRC2:SCRATCH_EN: 0
; COMPUTE_PGM_RSRC2:USER_SGPR: 2
; COMPUTE_PGM_RSRC2:TRAP_HANDLER: 0
; COMPUTE_PGM_RSRC2:TGID_X_EN: 1
; COMPUTE_PGM_RSRC2:TGID_Y_EN: 0
; COMPUTE_PGM_RSRC2:TGID_Z_EN: 1
; COMPUTE_PGM_RSRC2:TIDIG_COMP_CNT: 1
	.section	.text._ZL9moe_vec_qIN3c108BFloat16ELi32ELi4E10block_q4_1Li2EXadL_ZL17vec_dot_q4_1_q8_1PKvPK10block_q8_1RKiEEEvS4_S4_PT_PS8_iiii,"axG",@progbits,_ZL9moe_vec_qIN3c108BFloat16ELi32ELi4E10block_q4_1Li2EXadL_ZL17vec_dot_q4_1_q8_1PKvPK10block_q8_1RKiEEEvS4_S4_PT_PS8_iiii,comdat
	.globl	_ZL9moe_vec_qIN3c108BFloat16ELi32ELi4E10block_q4_1Li2EXadL_ZL17vec_dot_q4_1_q8_1PKvPK10block_q8_1RKiEEEvS4_S4_PT_PS8_iiii ; -- Begin function _ZL9moe_vec_qIN3c108BFloat16ELi32ELi4E10block_q4_1Li2EXadL_ZL17vec_dot_q4_1_q8_1PKvPK10block_q8_1RKiEEEvS4_S4_PT_PS8_iiii
	.p2align	8
	.type	_ZL9moe_vec_qIN3c108BFloat16ELi32ELi4E10block_q4_1Li2EXadL_ZL17vec_dot_q4_1_q8_1PKvPK10block_q8_1RKiEEEvS4_S4_PT_PS8_iiii,@function
_ZL9moe_vec_qIN3c108BFloat16ELi32ELi4E10block_q4_1Li2EXadL_ZL17vec_dot_q4_1_q8_1PKvPK10block_q8_1RKiEEEvS4_S4_PT_PS8_iiii: ; @_ZL9moe_vec_qIN3c108BFloat16ELi32ELi4E10block_q4_1Li2EXadL_ZL17vec_dot_q4_1_q8_1PKvPK10block_q8_1RKiEEEvS4_S4_PT_PS8_iiii
; %bb.0:
	s_clause 0x1
	s_load_u16 s3, s[0:1], 0x3e
	s_load_b128 s[4:7], s[0:1], 0x20
	s_bfe_u32 s2, ttmp6, 0x4000c
	s_and_b32 s8, ttmp6, 15
	s_add_co_i32 s2, s2, 1
	v_bfe_u32 v1, v0, 10, 10
	s_mul_i32 s2, ttmp9, s2
	s_mov_b32 s9, 0
	s_add_co_i32 s8, s8, s2
	s_getreg_b32 s2, hwreg(HW_REG_IB_STS2, 6, 4)
	s_delay_alu instid0(SALU_CYCLE_1) | instskip(SKIP_4) | instid1(VALU_DEP_1)
	s_cmp_eq_u32 s2, 0
	s_cselect_b32 s8, ttmp9, s8
	s_wait_kmcnt 0x0
	v_mad_u32 v4, s8, s3, v1
	s_mov_b32 s3, exec_lo
	v_cmpx_gt_u32_e64 s6, v4
	s_cbranch_execz .LBB276_7
; %bb.1:
	s_load_b64 s[10:11], s[0:1], 0x10
	s_bfe_u32 s3, ttmp6, 0x40014
	s_lshr_b32 s8, ttmp7, 16
	s_add_co_i32 s3, s3, 1
	s_cvt_f32_u32 s13, s4
	s_mul_i32 s3, s8, s3
	s_bfe_u32 s12, ttmp6, 0x40008
	v_bfe_u32 v6, v0, 1, 9
	s_add_co_i32 s12, s12, s3
	v_rcp_iflag_f32_e32 v1, s13
	s_cmp_eq_u32 s2, 0
	v_and_b32_e32 v5, 0x3ff, v0
	s_cselect_b32 s8, s8, s12
	s_ashr_i32 s2, s5, 31
	v_mov_b32_e32 v7, 0
	s_lshr_b32 s2, s2, 27
	s_mov_b32 s12, exec_lo
	s_add_co_i32 s3, s5, s2
	v_readfirstlane_b32 s2, v1
	s_ashr_i32 s13, s3, 5
	s_delay_alu instid0(SALU_CYCLE_1)
	v_cmpx_gt_u32_e64 s13, v6
	s_cbranch_execz .LBB276_5
; %bb.2:
	s_load_b64 s[14:15], s[0:1], 0x18
	s_mul_f32 s5, s2, 0x4f7ffffe
	s_sub_co_i32 s16, 0, s4
	s_mov_b32 s17, s9
	s_wait_xcnt 0x0
	s_load_b128 s[0:3], s[0:1], 0x0
	s_cvt_u32_f32 s18, s5
	v_mul_lo_u32 v8, v4, s13
	s_mul_i32 s19, s13, s6
	v_dual_mov_b32 v1, 0 :: v_dual_lshlrev_b32 v0, 3, v5
	s_mul_i32 s16, s16, s18
	s_mov_b32 s5, 0
	s_delay_alu instid0(VALU_DEP_1) | instskip(NEXT) | instid1(VALU_DEP_2)
	v_dual_mov_b32 v3, 0.5 :: v_dual_bitop2_b32 v0, 8, v0 bitop3:0x40
	v_mov_b32_e32 v7, v1
	s_wait_kmcnt 0x0
	s_load_b32 s20, s[14:15], s8 offset:0x0 scale_offset
	s_wait_xcnt 0x0
	s_mul_hi_u32 s14, s18, s16
	s_delay_alu instid0(SALU_CYCLE_1) | instskip(NEXT) | instid1(SALU_CYCLE_1)
	s_add_co_i32 s16, s18, s14
	s_mul_u64 s[14:15], s[8:9], s[16:17]
	s_delay_alu instid0(SALU_CYCLE_1) | instskip(SKIP_2) | instid1(SALU_CYCLE_1)
	s_mul_i32 s9, s15, s4
	s_add_co_i32 s14, s15, 1
	s_sub_co_i32 s9, s8, s9
	s_sub_co_i32 s16, s9, s4
	s_cmp_ge_u32 s9, s4
	s_cselect_b32 s15, s14, s15
	s_cselect_b32 s9, s16, s9
	s_add_co_i32 s16, s15, 1
	s_cmp_ge_u32 s9, s4
	s_cselect_b32 s4, s16, s15
	s_wait_kmcnt 0x0
	s_mul_i32 s14, s19, s20
	s_mul_i32 s4, s4, s7
	s_ashr_i32 s15, s14, 31
	s_lshl_b64 s[16:17], s[4:5], 2
	s_mul_u64 s[14:15], s[14:15], 20
	s_add_nc_u64 s[2:3], s[2:3], s[16:17]
	s_add_nc_u64 s[0:1], s[0:1], s[14:15]
.LBB276_3:                              ; =>This Inner Loop Header: Depth=1
	v_add_nc_u32_e32 v2, v8, v6
	v_mad_nc_i64_i32 v[10:11], v6, 36, s[2:3]
	v_add_nc_u32_e32 v6, 16, v6
	s_delay_alu instid0(VALU_DEP_3) | instskip(NEXT) | instid1(VALU_DEP_2)
	v_mad_nc_i64_i32 v[12:13], v2, 20, s[0:1]
	v_cmp_le_u32_e32 vcc_lo, s13, v6
	s_delay_alu instid0(VALU_DEP_4) | instskip(SKIP_1) | instid1(VALU_DEP_3)
	v_add_nc_u64_e32 v[14:15], v[10:11], v[0:1]
	s_or_b32 s5, vcc_lo, s5
	v_add_nc_u64_e32 v[16:17], v[12:13], v[0:1]
	global_load_b64 v[18:19], v[14:15], off offset:4
	global_load_b64 v[20:21], v[16:17], off offset:4
	s_clause 0x1
	global_load_b64 v[22:23], v[14:15], off offset:20
	global_load_b32 v2, v[10:11], off
	global_load_b32 v9, v[12:13], off
	s_wait_loadcnt 0x3
	s_wait_xcnt 0x2
	v_dual_ashrrev_i32 v14, 24, v18 :: v_dual_lshrrev_b32 v30, 4, v20
	s_wait_loadcnt 0x2
	v_ashrrev_i32_e32 v15, 24, v22
	v_bfe_i32 v17, v22, 0, 8
	v_ashrrev_i32_e32 v25, 24, v23
	v_bfe_i32 v26, v23, 16, 8
	v_bfe_i32 v27, v23, 8, 8
	;; [unrolled: 1-line block ×3, first 2 shown]
	v_bfe_u32 v28, v20, 24, 4
	v_and_b32_e32 v29, 0xf0f0f0f, v20
	v_dual_lshrrev_b32 v31, 28, v20 :: v_dual_bitop2_b32 v33, 15, v20 bitop3:0x40
	v_bfe_u32 v32, v20, 16, 4
	v_bfe_u32 v34, v20, 20, 4
	;; [unrolled: 1-line block ×4, first 2 shown]
	v_and_b32_e32 v36, 0xf0f0f0f, v21
	v_dual_lshrrev_b32 v37, 4, v21 :: v_dual_lshrrev_b32 v38, 28, v21
	v_bfe_u32 v39, v21, 16, 4
	v_bfe_u32 v41, v21, 20, 4
	v_lshrrev_b16 v30, 8, v30
	s_wait_loadcnt 0x0
	v_pk_mul_f16 v2, v9, v2
	v_and_b32_e32 v40, 15, v21
	v_bfe_u32 v21, v21, 4, 4
	v_lshrrev_b16 v10, 8, v18
	v_lshrrev_b16 v11, 8, v22
	v_bfe_i32 v16, v22, 16, 8
	v_lshrrev_b16 v29, 8, v29
	v_mul_i32_i24_e32 v17, v20, v17
	v_mul_i32_i24_e32 v15, v31, v15
	v_lshrrev_b16 v20, 8, v36
	v_lshrrev_b16 v31, 8, v37
	v_mul_i32_i24_e32 v21, v23, v21
	v_mul_i32_i24_e32 v23, v26, v41
	v_and_b32_e32 v26, 15, v30
	v_bfe_i32 v12, v18, 16, 8
	v_bfe_i32 v13, v18, 0, 8
	v_ashrrev_i32_e32 v18, 24, v19
	v_bfe_i32 v22, v19, 16, 8
	v_bfe_i32 v24, v19, 8, 8
	;; [unrolled: 1-line block ×4, first 2 shown]
	v_mul_i32_i24_e32 v16, v34, v16
	v_and_b32_e32 v29, 0xffff, v29
	v_and_b32_e32 v20, 0xffff, v20
	;; [unrolled: 1-line block ×4, first 2 shown]
	v_bfe_i32 v19, v19, 0, 8
	v_mul_i32_i24_e32 v22, v22, v39
	v_mul_i32_i24_e32 v18, v18, v35
	;; [unrolled: 1-line block ×3, first 2 shown]
	v_mad_i32_i24 v14, v28, v14, v15
	v_mul_i32_i24_e32 v10, v29, v10
	v_mul_i32_i24_e32 v15, v24, v20
	v_and_b32_e32 v20, 0xffff, v30
	v_mul_i32_i24_e32 v11, v26, v11
	v_mad_i32_i24 v12, v32, v12, v16
	v_mad_i32_i24 v13, v33, v13, v17
	v_add3_u32 v14, v14, v18, v25
	v_mul_i32_i24_e32 v16, v27, v20
	v_add3_u32 v10, v10, v11, v15
	v_add3_u32 v9, v12, v22, v23
	v_lshrrev_b32_e32 v12, 16, v2
	v_mul_i32_i24_e32 v19, v19, v40
	s_delay_alu instid0(VALU_DEP_4) | instskip(NEXT) | instid1(VALU_DEP_2)
	v_add3_u32 v10, v10, v16, v14
	v_add3_u32 v11, v13, v19, v21
	s_delay_alu instid0(VALU_DEP_1) | instskip(SKIP_2) | instid1(VALU_DEP_3)
	v_add3_u32 v9, v11, v9, v10
	v_cvt_f32_f16_e32 v10, v2
	v_cvt_f32_f16_e32 v11, v12
	v_cvt_f32_i32_e32 v2, v9
	s_delay_alu instid0(VALU_DEP_1) | instskip(NEXT) | instid1(VALU_DEP_1)
	v_pk_mul_f32 v[10:11], v[2:3], v[10:11]
	v_add_f32_e32 v2, v11, v10
	s_delay_alu instid0(VALU_DEP_1)
	v_add_f32_e32 v7, v7, v2
	s_and_not1_b32 exec_lo, exec_lo, s5
	s_cbranch_execnz .LBB276_3
; %bb.4:
	s_or_b32 exec_lo, exec_lo, s5
.LBB276_5:
	s_delay_alu instid0(SALU_CYCLE_1) | instskip(SKIP_1) | instid1(VALU_DEP_1)
	s_or_b32 exec_lo, exec_lo, s12
	v_mbcnt_lo_u32_b32 v0, -1, 0
	v_xor_b32_e32 v2, 8, v0
	v_xor_b32_e32 v1, 16, v0
	;; [unrolled: 1-line block ×3, first 2 shown]
	s_delay_alu instid0(VALU_DEP_2) | instskip(SKIP_4) | instid1(VALU_DEP_2)
	v_cmp_gt_i32_e32 vcc_lo, 32, v1
	v_cndmask_b32_e32 v1, v0, v1, vcc_lo
	v_cmp_gt_i32_e32 vcc_lo, 32, v2
	v_cndmask_b32_e32 v2, v0, v2, vcc_lo
	v_cmp_gt_i32_e32 vcc_lo, 32, v3
	v_dual_lshlrev_b32 v2, 2, v2 :: v_dual_lshlrev_b32 v1, 2, v1
	ds_bpermute_b32 v1, v1, v7
	s_wait_dscnt 0x0
	v_add_f32_e32 v1, v7, v1
	ds_bpermute_b32 v2, v2, v1
	s_wait_dscnt 0x0
	v_dual_cndmask_b32 v3, v0, v3, vcc_lo :: v_dual_add_f32 v1, v1, v2
	s_delay_alu instid0(VALU_DEP_1) | instskip(SKIP_3) | instid1(VALU_DEP_1)
	v_lshlrev_b32_e32 v3, 2, v3
	ds_bpermute_b32 v2, v3, v1
	s_wait_dscnt 0x0
	v_dual_add_f32 v1, v1, v2 :: v_dual_bitop2_b32 v3, 2, v0 bitop3:0x14
	v_cmp_gt_i32_e32 vcc_lo, 32, v3
	v_cndmask_b32_e32 v3, v0, v3, vcc_lo
	s_delay_alu instid0(VALU_DEP_1) | instskip(SKIP_2) | instid1(VALU_DEP_1)
	v_lshlrev_b32_e32 v3, 2, v3
	ds_bpermute_b32 v2, v3, v1
	v_xor_b32_e32 v3, 1, v0
	v_cmp_gt_i32_e32 vcc_lo, 32, v3
	v_cndmask_b32_e32 v3, v0, v3, vcc_lo
	v_cmp_eq_u32_e32 vcc_lo, 0, v5
	s_wait_dscnt 0x0
	s_delay_alu instid0(VALU_DEP_2)
	v_dual_add_f32 v0, v1, v2 :: v_dual_lshlrev_b32 v1, 2, v3
	ds_bpermute_b32 v1, v1, v0
	s_and_b32 exec_lo, exec_lo, vcc_lo
	s_cbranch_execz .LBB276_7
; %bb.6:
	s_wait_dscnt 0x0
	v_add_f32_e32 v0, v0, v1
	v_mad_u32 v2, s6, s8, v4
	s_delay_alu instid0(VALU_DEP_2) | instskip(NEXT) | instid1(VALU_DEP_1)
	v_bfe_u32 v1, v0, 16, 1
	v_add3_u32 v1, v0, v1, 0x7fff
	s_delay_alu instid0(VALU_DEP_1) | instskip(SKIP_1) | instid1(VALU_DEP_2)
	v_lshrrev_b32_e32 v1, 16, v1
	v_cmp_o_f32_e32 vcc_lo, v0, v0
	v_cndmask_b32_e32 v0, 0x7fc0, v1, vcc_lo
	s_wait_kmcnt 0x0
	global_store_b16 v2, v0, s[10:11] scale_offset
.LBB276_7:
	s_endpgm
	.section	.rodata,"a",@progbits
	.p2align	6, 0x0
	.amdhsa_kernel _ZL9moe_vec_qIN3c108BFloat16ELi32ELi4E10block_q4_1Li2EXadL_ZL17vec_dot_q4_1_q8_1PKvPK10block_q8_1RKiEEEvS4_S4_PT_PS8_iiii
		.amdhsa_group_segment_fixed_size 0
		.amdhsa_private_segment_fixed_size 0
		.amdhsa_kernarg_size 304
		.amdhsa_user_sgpr_count 2
		.amdhsa_user_sgpr_dispatch_ptr 0
		.amdhsa_user_sgpr_queue_ptr 0
		.amdhsa_user_sgpr_kernarg_segment_ptr 1
		.amdhsa_user_sgpr_dispatch_id 0
		.amdhsa_user_sgpr_kernarg_preload_length 0
		.amdhsa_user_sgpr_kernarg_preload_offset 0
		.amdhsa_user_sgpr_private_segment_size 0
		.amdhsa_wavefront_size32 1
		.amdhsa_uses_dynamic_stack 0
		.amdhsa_enable_private_segment 0
		.amdhsa_system_sgpr_workgroup_id_x 1
		.amdhsa_system_sgpr_workgroup_id_y 0
		.amdhsa_system_sgpr_workgroup_id_z 1
		.amdhsa_system_sgpr_workgroup_info 0
		.amdhsa_system_vgpr_workitem_id 1
		.amdhsa_next_free_vgpr 42
		.amdhsa_next_free_sgpr 21
		.amdhsa_named_barrier_count 0
		.amdhsa_reserve_vcc 1
		.amdhsa_float_round_mode_32 0
		.amdhsa_float_round_mode_16_64 0
		.amdhsa_float_denorm_mode_32 3
		.amdhsa_float_denorm_mode_16_64 3
		.amdhsa_fp16_overflow 0
		.amdhsa_memory_ordered 1
		.amdhsa_forward_progress 1
		.amdhsa_inst_pref_size 11
		.amdhsa_round_robin_scheduling 0
		.amdhsa_exception_fp_ieee_invalid_op 0
		.amdhsa_exception_fp_denorm_src 0
		.amdhsa_exception_fp_ieee_div_zero 0
		.amdhsa_exception_fp_ieee_overflow 0
		.amdhsa_exception_fp_ieee_underflow 0
		.amdhsa_exception_fp_ieee_inexact 0
		.amdhsa_exception_int_div_zero 0
	.end_amdhsa_kernel
	.section	.text._ZL9moe_vec_qIN3c108BFloat16ELi32ELi4E10block_q4_1Li2EXadL_ZL17vec_dot_q4_1_q8_1PKvPK10block_q8_1RKiEEEvS4_S4_PT_PS8_iiii,"axG",@progbits,_ZL9moe_vec_qIN3c108BFloat16ELi32ELi4E10block_q4_1Li2EXadL_ZL17vec_dot_q4_1_q8_1PKvPK10block_q8_1RKiEEEvS4_S4_PT_PS8_iiii,comdat
.Lfunc_end276:
	.size	_ZL9moe_vec_qIN3c108BFloat16ELi32ELi4E10block_q4_1Li2EXadL_ZL17vec_dot_q4_1_q8_1PKvPK10block_q8_1RKiEEEvS4_S4_PT_PS8_iiii, .Lfunc_end276-_ZL9moe_vec_qIN3c108BFloat16ELi32ELi4E10block_q4_1Li2EXadL_ZL17vec_dot_q4_1_q8_1PKvPK10block_q8_1RKiEEEvS4_S4_PT_PS8_iiii
                                        ; -- End function
	.set _ZL9moe_vec_qIN3c108BFloat16ELi32ELi4E10block_q4_1Li2EXadL_ZL17vec_dot_q4_1_q8_1PKvPK10block_q8_1RKiEEEvS4_S4_PT_PS8_iiii.num_vgpr, 42
	.set _ZL9moe_vec_qIN3c108BFloat16ELi32ELi4E10block_q4_1Li2EXadL_ZL17vec_dot_q4_1_q8_1PKvPK10block_q8_1RKiEEEvS4_S4_PT_PS8_iiii.num_agpr, 0
	.set _ZL9moe_vec_qIN3c108BFloat16ELi32ELi4E10block_q4_1Li2EXadL_ZL17vec_dot_q4_1_q8_1PKvPK10block_q8_1RKiEEEvS4_S4_PT_PS8_iiii.numbered_sgpr, 21
	.set _ZL9moe_vec_qIN3c108BFloat16ELi32ELi4E10block_q4_1Li2EXadL_ZL17vec_dot_q4_1_q8_1PKvPK10block_q8_1RKiEEEvS4_S4_PT_PS8_iiii.num_named_barrier, 0
	.set _ZL9moe_vec_qIN3c108BFloat16ELi32ELi4E10block_q4_1Li2EXadL_ZL17vec_dot_q4_1_q8_1PKvPK10block_q8_1RKiEEEvS4_S4_PT_PS8_iiii.private_seg_size, 0
	.set _ZL9moe_vec_qIN3c108BFloat16ELi32ELi4E10block_q4_1Li2EXadL_ZL17vec_dot_q4_1_q8_1PKvPK10block_q8_1RKiEEEvS4_S4_PT_PS8_iiii.uses_vcc, 1
	.set _ZL9moe_vec_qIN3c108BFloat16ELi32ELi4E10block_q4_1Li2EXadL_ZL17vec_dot_q4_1_q8_1PKvPK10block_q8_1RKiEEEvS4_S4_PT_PS8_iiii.uses_flat_scratch, 0
	.set _ZL9moe_vec_qIN3c108BFloat16ELi32ELi4E10block_q4_1Li2EXadL_ZL17vec_dot_q4_1_q8_1PKvPK10block_q8_1RKiEEEvS4_S4_PT_PS8_iiii.has_dyn_sized_stack, 0
	.set _ZL9moe_vec_qIN3c108BFloat16ELi32ELi4E10block_q4_1Li2EXadL_ZL17vec_dot_q4_1_q8_1PKvPK10block_q8_1RKiEEEvS4_S4_PT_PS8_iiii.has_recursion, 0
	.set _ZL9moe_vec_qIN3c108BFloat16ELi32ELi4E10block_q4_1Li2EXadL_ZL17vec_dot_q4_1_q8_1PKvPK10block_q8_1RKiEEEvS4_S4_PT_PS8_iiii.has_indirect_call, 0
	.section	.AMDGPU.csdata,"",@progbits
; Kernel info:
; codeLenInByte = 1336
; TotalNumSgprs: 23
; NumVgprs: 42
; ScratchSize: 0
; MemoryBound: 0
; FloatMode: 240
; IeeeMode: 1
; LDSByteSize: 0 bytes/workgroup (compile time only)
; SGPRBlocks: 0
; VGPRBlocks: 2
; NumSGPRsForWavesPerEU: 23
; NumVGPRsForWavesPerEU: 42
; NamedBarCnt: 0
; Occupancy: 16
; WaveLimiterHint : 1
; COMPUTE_PGM_RSRC2:SCRATCH_EN: 0
; COMPUTE_PGM_RSRC2:USER_SGPR: 2
; COMPUTE_PGM_RSRC2:TRAP_HANDLER: 0
; COMPUTE_PGM_RSRC2:TGID_X_EN: 1
; COMPUTE_PGM_RSRC2:TGID_Y_EN: 0
; COMPUTE_PGM_RSRC2:TGID_Z_EN: 1
; COMPUTE_PGM_RSRC2:TIDIG_COMP_CNT: 1
	.section	.text._ZL9moe_vec_qIN3c108BFloat16ELi32ELi4E10block_q5_0Li2EXadL_ZL17vec_dot_q5_0_q8_1PKvPK10block_q8_1RKiEEEvS4_S4_PT_PS8_iiii,"axG",@progbits,_ZL9moe_vec_qIN3c108BFloat16ELi32ELi4E10block_q5_0Li2EXadL_ZL17vec_dot_q5_0_q8_1PKvPK10block_q8_1RKiEEEvS4_S4_PT_PS8_iiii,comdat
	.globl	_ZL9moe_vec_qIN3c108BFloat16ELi32ELi4E10block_q5_0Li2EXadL_ZL17vec_dot_q5_0_q8_1PKvPK10block_q8_1RKiEEEvS4_S4_PT_PS8_iiii ; -- Begin function _ZL9moe_vec_qIN3c108BFloat16ELi32ELi4E10block_q5_0Li2EXadL_ZL17vec_dot_q5_0_q8_1PKvPK10block_q8_1RKiEEEvS4_S4_PT_PS8_iiii
	.p2align	8
	.type	_ZL9moe_vec_qIN3c108BFloat16ELi32ELi4E10block_q5_0Li2EXadL_ZL17vec_dot_q5_0_q8_1PKvPK10block_q8_1RKiEEEvS4_S4_PT_PS8_iiii,@function
_ZL9moe_vec_qIN3c108BFloat16ELi32ELi4E10block_q5_0Li2EXadL_ZL17vec_dot_q5_0_q8_1PKvPK10block_q8_1RKiEEEvS4_S4_PT_PS8_iiii: ; @_ZL9moe_vec_qIN3c108BFloat16ELi32ELi4E10block_q5_0Li2EXadL_ZL17vec_dot_q5_0_q8_1PKvPK10block_q8_1RKiEEEvS4_S4_PT_PS8_iiii
; %bb.0:
	s_clause 0x1
	s_load_u16 s3, s[0:1], 0x3e
	s_load_b128 s[4:7], s[0:1], 0x20
	s_bfe_u32 s2, ttmp6, 0x4000c
	s_and_b32 s8, ttmp6, 15
	s_add_co_i32 s2, s2, 1
	v_bfe_u32 v1, v0, 10, 10
	s_mul_i32 s2, ttmp9, s2
	s_delay_alu instid0(SALU_CYCLE_1) | instskip(SKIP_1) | instid1(SALU_CYCLE_1)
	s_add_co_i32 s8, s8, s2
	s_getreg_b32 s2, hwreg(HW_REG_IB_STS2, 6, 4)
	s_cmp_eq_u32 s2, 0
	s_cselect_b32 s8, ttmp9, s8
	s_wait_kmcnt 0x0
	v_mad_u32 v4, s8, s3, v1
	s_mov_b32 s3, 0
	s_mov_b32 s8, exec_lo
	s_delay_alu instid0(VALU_DEP_1)
	v_cmpx_gt_u32_e64 s6, v4
	s_cbranch_execz .LBB277_7
; %bb.1:
	s_load_b64 s[12:13], s[0:1], 0x10
	s_bfe_u32 s8, ttmp6, 0x40014
	s_lshr_b32 s9, ttmp7, 16
	s_add_co_i32 s8, s8, 1
	s_cvt_f32_u32 s11, s4
	s_mul_i32 s8, s9, s8
	s_bfe_u32 s10, ttmp6, 0x40008
	v_bfe_u32 v6, v0, 1, 9
	s_add_co_i32 s10, s10, s8
	v_rcp_iflag_f32_e32 v1, s11
	s_cmp_eq_u32 s2, 0
	v_and_b32_e32 v5, 0x3ff, v0
	s_cselect_b32 s2, s9, s10
	s_ashr_i32 s8, s5, 31
	v_mov_b32_e32 v7, 0
	s_lshr_b32 s8, s8, 27
	s_mov_b32 s14, exec_lo
	s_add_co_i32 s8, s5, s8
	v_readfirstlane_b32 s5, v1
	s_ashr_i32 s15, s8, 5
	s_delay_alu instid0(SALU_CYCLE_1)
	v_cmpx_gt_u32_e64 s15, v6
	s_cbranch_execz .LBB277_5
; %bb.2:
	s_clause 0x1
	s_load_b64 s[16:17], s[0:1], 0x18
	s_load_b128 s[8:11], s[0:1], 0x0
	s_wait_xcnt 0x0
	s_mul_f32 s0, s5, 0x4f7ffffe
	s_sub_co_i32 s5, 0, s4
	s_mov_b32 s19, s3
	v_dual_mov_b32 v1, 0 :: v_dual_lshlrev_b32 v0, 3, v5
	s_cvt_u32_f32 s0, s0
	v_mul_lo_u32 v8, v4, s15
	s_mul_i32 s20, s15, s6
	s_delay_alu instid0(VALU_DEP_2)
	v_dual_mov_b32 v7, v1 :: v_dual_bitop2_b32 v0, 8, v0 bitop3:0x40
	s_mul_i32 s5, s5, s0
	s_mov_b32 s1, 0
	s_mul_hi_u32 s5, s0, s5
	v_mov_b32_e32 v3, 0x41000000
	s_add_co_i32 s18, s0, s5
	v_or_b32_e32 v9, 4, v0
	s_wait_kmcnt 0x0
	s_load_b32 s21, s[16:17], s2 offset:0x0 scale_offset
	s_wait_xcnt 0x0
	s_mul_u64 s[16:17], s[2:3], s[18:19]
	s_delay_alu instid0(SALU_CYCLE_1) | instskip(SKIP_2) | instid1(SALU_CYCLE_1)
	s_mul_i32 s0, s17, s4
	s_add_co_i32 s3, s17, 1
	s_sub_co_i32 s0, s2, s0
	s_sub_co_i32 s5, s0, s4
	s_cmp_ge_u32 s0, s4
	s_cselect_b32 s3, s3, s17
	s_cselect_b32 s0, s5, s0
	s_add_co_i32 s5, s3, 1
	s_cmp_ge_u32 s0, s4
	s_cselect_b32 s0, s5, s3
	s_delay_alu instid0(SALU_CYCLE_1) | instskip(NEXT) | instid1(SALU_CYCLE_1)
	s_mul_i32 s0, s0, s7
	s_lshl_b64 s[16:17], s[0:1], 2
	s_wait_kmcnt 0x0
	s_mul_i32 s4, s20, s21
	s_delay_alu instid0(SALU_CYCLE_1) | instskip(NEXT) | instid1(SALU_CYCLE_1)
	s_ashr_i32 s5, s4, 31
	s_mul_u64 s[4:5], s[4:5], 22
	s_delay_alu instid0(SALU_CYCLE_1)
	s_add_nc_u64 s[4:5], s[8:9], s[4:5]
	s_add_nc_u64 s[8:9], s[10:11], s[16:17]
.LBB277_3:                              ; =>This Inner Loop Header: Depth=1
	v_add_nc_u32_e32 v2, v8, v6
	v_mad_nc_i64_i32 v[10:11], v6, 36, s[8:9]
	v_add_nc_u32_e32 v6, 16, v6
	s_delay_alu instid0(VALU_DEP_3) | instskip(NEXT) | instid1(VALU_DEP_2)
	v_mad_nc_i64_i32 v[12:13], v2, 22, s[4:5]
	v_cmp_le_u32_e32 vcc_lo, s15, v6
	s_delay_alu instid0(VALU_DEP_4) | instskip(SKIP_1) | instid1(VALU_DEP_3)
	v_add_nc_u64_e32 v[14:15], v[10:11], v[0:1]
	s_or_b32 s1, vcc_lo, s1
	v_add_nc_u64_e32 v[16:17], v[12:13], v[0:1]
	global_load_b32 v2, v[12:13], off offset:2
	global_load_b64 v[18:19], v[14:15], off offset:4
	global_load_b64 v[20:21], v[16:17], off offset:6
	s_clause 0x1
	global_load_b64 v[22:23], v[14:15], off offset:20
	global_load_b32 v24, v[10:11], off
	global_load_u16 v25, v[12:13], off
	s_wait_loadcnt 0x5
	s_wait_xcnt 0x1
	v_dual_ashrrev_i32 v10, v0, v2 :: v_dual_ashrrev_i32 v2, v9, v2
	s_wait_loadcnt 0x3
	v_and_b32_e32 v45, 0xf0f0f0f, v20
	v_and_b32_e32 v46, 0xf0f0f0f, v21
	s_wait_loadcnt 0x2
	v_dual_ashrrev_i32 v16, 24, v22 :: v_dual_lshrrev_b32 v20, 4, v20
	v_dual_lshlrev_b32 v31, 4, v10 :: v_dual_lshlrev_b32 v32, 11, v10
	v_dual_lshlrev_b32 v33, 18, v10 :: v_dual_lshlrev_b32 v34, 25, v10
	v_dual_lshrrev_b32 v35, 12, v10 :: v_dual_lshrrev_b32 v36, 5, v10
	v_dual_lshrrev_b32 v42, 12, v2 :: v_dual_lshrrev_b32 v43, 5, v2
	v_dual_lshlrev_b32 v37, 2, v10 :: v_dual_lshlrev_b32 v10, 9, v10
	v_dual_lshlrev_b32 v38, 4, v2 :: v_dual_lshlrev_b32 v39, 11, v2
	v_dual_lshlrev_b32 v40, 18, v2 :: v_dual_lshlrev_b32 v41, 25, v2
	v_dual_lshlrev_b32 v44, 2, v2 :: v_dual_lshlrev_b32 v2, 9, v2
	v_dual_lshrrev_b32 v21, 4, v21 :: v_dual_bitop2_b32 v31, 16, v31 bitop3:0x40
	v_and_b32_e32 v32, 0x1000, v32
	v_and_b32_e32 v42, 16, v42
	v_and_or_b32 v34, 0x10000000, v34, v45
	v_and_b32_e32 v35, 16, v35
	v_and_b32_e32 v37, 0x100000, v37
	;; [unrolled: 1-line block ×5, first 2 shown]
	v_or3_b32 v31, v31, v45, v32
	v_lshrrev_b32_e32 v34, 24, v34
	v_and_or_b32 v32, 0x1000, v36, v35
	v_and_or_b32 v36, 0x1000, v43, v42
	v_and_b32_e32 v20, 0xf0f0f0f, v20
	v_and_b32_e32 v21, 0xf0f0f0f, v21
	;; [unrolled: 1-line block ×3, first 2 shown]
	v_or3_b32 v10, v32, v37, v10
	v_or3_b32 v2, v36, v44, v2
	v_and_b32_e32 v41, 0x10000000, v41
	v_lshrrev_b16 v11, 8, v18
	v_and_b32_e32 v33, 0x100000, v33
	s_wait_xcnt 0x0
	v_lshrrev_b16 v12, 8, v22
	v_or_b32_e32 v37, v2, v21
	v_or_b32_e32 v36, v10, v20
	v_and_b32_e32 v38, 16, v38
	v_bitop3_b32 v2, v2, 31, v21 bitop3:0xc8
	v_dual_ashrrev_i32 v13, 24, v18 :: v_dual_ashrrev_i32 v28, 24, v23
	s_delay_alu instid0(VALU_DEP_4) | instskip(NEXT) | instid1(VALU_DEP_4)
	v_lshrrev_b32_e32 v21, 24, v36
	v_and_or_b32 v35, 0x1000, v39, v38
	v_lshrrev_b16 v39, 8, v31
	v_bfe_i32 v14, v18, 0, 8
	v_bfe_i32 v15, v18, 16, 8
	;; [unrolled: 1-line block ×3, first 2 shown]
	v_or3_b32 v32, v35, v40, v41
	v_bfe_i32 v18, v22, 0, 8
	v_ashrrev_i32_e32 v22, 24, v19
	v_bfe_i32 v26, v19, 16, 8
	v_bfe_i32 v27, v19, 8, 8
	;; [unrolled: 1-line block ×4, first 2 shown]
	v_or_b32_e32 v38, v31, v33
	v_and_b32_e32 v35, 0xffff, v39
	v_bitop3_b32 v10, v10, 31, v20 bitop3:0xc8
	v_or_b32_e32 v20, v32, v46
	v_bitop3_b32 v32, v32, 31, v46 bitop3:0xc8
	v_bfe_i32 v29, v23, 16, 8
	v_bfe_i32 v30, v23, 8, 8
	;; [unrolled: 1-line block ×3, first 2 shown]
	v_bitop3_b32 v31, v31, 31, v33 bitop3:0xc8
	v_bfe_u32 v33, v38, 16, 5
	v_mul_i32_i24_e32 v11, v35, v11
	v_mul_i32_i24_e32 v10, v10, v18
	v_lshrrev_b32_e32 v18, 24, v20
	v_lshrrev_b16 v38, 8, v20
	v_bfe_u32 v20, v20, 16, 5
	v_mul_i32_i24_e32 v19, v19, v32
	v_lshrrev_b32_e32 v32, 24, v37
	v_lshrrev_b16 v35, 8, v36
	v_lshrrev_b16 v39, 8, v37
	v_bfe_i32 v12, v12, 0, 8
	v_bfe_u32 v36, v36, 16, 5
	v_mul_i32_i24_e32 v2, v23, v2
	v_and_b32_e32 v23, 0xffff, v35
	v_mul_i32_i24_e32 v16, v21, v16
	v_mul_i32_i24_e32 v20, v26, v20
	v_and_b32_e32 v26, 0xffff, v39
	v_bfe_u32 v37, v37, 16, 5
	v_mul_i32_i24_e32 v17, v36, v17
	v_and_b32_e32 v21, 0xffff, v38
	v_mul_i32_i24_e32 v18, v22, v18
	v_mul_i32_i24_e32 v28, v28, v32
	;; [unrolled: 1-line block ×4, first 2 shown]
	v_mad_i32_i24 v13, v34, v13, v16
	v_mul_i32_i24_e32 v22, v29, v37
	v_mad_i32_i24 v10, v31, v14, v10
	v_mul_i32_i24_e32 v14, v27, v21
	v_mad_i32_i24 v15, v33, v15, v17
	v_add3_u32 v11, v11, v12, v23
	v_add3_u32 v12, v13, v28, v18
	;; [unrolled: 1-line block ×3, first 2 shown]
	s_delay_alu instid0(VALU_DEP_4) | instskip(NEXT) | instid1(VALU_DEP_3)
	v_add3_u32 v10, v15, v22, v20
	v_add3_u32 v11, v11, v14, v12
	s_wait_loadcnt 0x1
	v_lshrrev_b32_e32 v12, 16, v24
	s_delay_alu instid0(VALU_DEP_2) | instskip(SKIP_1) | instid1(VALU_DEP_3)
	v_add3_u32 v2, v2, v10, v11
	v_cvt_f32_f16_e32 v10, v24
	v_cvt_f32_f16_e32 v11, v12
	s_delay_alu instid0(VALU_DEP_3) | instskip(NEXT) | instid1(VALU_DEP_1)
	v_cvt_f32_i32_e32 v2, v2
	v_pk_mul_f32 v[10:11], v[2:3], v[10:11]
	s_delay_alu instid0(VALU_DEP_1) | instskip(SKIP_1) | instid1(VALU_DEP_1)
	v_sub_f32_e32 v2, v10, v11
	s_wait_loadcnt 0x0
	v_fma_mix_f32 v7, v2, v25, v7 op_sel_hi:[0,1,0]
	s_and_not1_b32 exec_lo, exec_lo, s1
	s_cbranch_execnz .LBB277_3
; %bb.4:
	s_or_b32 exec_lo, exec_lo, s1
.LBB277_5:
	s_delay_alu instid0(SALU_CYCLE_1) | instskip(SKIP_1) | instid1(VALU_DEP_1)
	s_or_b32 exec_lo, exec_lo, s14
	v_mbcnt_lo_u32_b32 v0, -1, 0
	v_xor_b32_e32 v2, 8, v0
	v_xor_b32_e32 v1, 16, v0
	v_xor_b32_e32 v3, 4, v0
	s_delay_alu instid0(VALU_DEP_2) | instskip(SKIP_4) | instid1(VALU_DEP_2)
	v_cmp_gt_i32_e32 vcc_lo, 32, v1
	v_cndmask_b32_e32 v1, v0, v1, vcc_lo
	v_cmp_gt_i32_e32 vcc_lo, 32, v2
	v_cndmask_b32_e32 v2, v0, v2, vcc_lo
	v_cmp_gt_i32_e32 vcc_lo, 32, v3
	v_dual_lshlrev_b32 v2, 2, v2 :: v_dual_lshlrev_b32 v1, 2, v1
	ds_bpermute_b32 v1, v1, v7
	s_wait_dscnt 0x0
	v_add_f32_e32 v1, v7, v1
	ds_bpermute_b32 v2, v2, v1
	s_wait_dscnt 0x0
	v_dual_cndmask_b32 v3, v0, v3, vcc_lo :: v_dual_add_f32 v1, v1, v2
	s_delay_alu instid0(VALU_DEP_1) | instskip(SKIP_3) | instid1(VALU_DEP_1)
	v_lshlrev_b32_e32 v3, 2, v3
	ds_bpermute_b32 v2, v3, v1
	s_wait_dscnt 0x0
	v_dual_add_f32 v1, v1, v2 :: v_dual_bitop2_b32 v3, 2, v0 bitop3:0x14
	v_cmp_gt_i32_e32 vcc_lo, 32, v3
	v_cndmask_b32_e32 v3, v0, v3, vcc_lo
	s_delay_alu instid0(VALU_DEP_1) | instskip(SKIP_2) | instid1(VALU_DEP_1)
	v_lshlrev_b32_e32 v3, 2, v3
	ds_bpermute_b32 v2, v3, v1
	v_xor_b32_e32 v3, 1, v0
	v_cmp_gt_i32_e32 vcc_lo, 32, v3
	v_cndmask_b32_e32 v3, v0, v3, vcc_lo
	v_cmp_eq_u32_e32 vcc_lo, 0, v5
	s_wait_dscnt 0x0
	s_delay_alu instid0(VALU_DEP_2)
	v_dual_add_f32 v0, v1, v2 :: v_dual_lshlrev_b32 v1, 2, v3
	ds_bpermute_b32 v1, v1, v0
	s_and_b32 exec_lo, exec_lo, vcc_lo
	s_cbranch_execz .LBB277_7
; %bb.6:
	s_wait_dscnt 0x0
	v_add_f32_e32 v0, v0, v1
	v_mad_u32 v2, s6, s2, v4
	s_delay_alu instid0(VALU_DEP_2) | instskip(NEXT) | instid1(VALU_DEP_1)
	v_bfe_u32 v1, v0, 16, 1
	v_add3_u32 v1, v0, v1, 0x7fff
	s_delay_alu instid0(VALU_DEP_1) | instskip(SKIP_1) | instid1(VALU_DEP_2)
	v_lshrrev_b32_e32 v1, 16, v1
	v_cmp_o_f32_e32 vcc_lo, v0, v0
	v_cndmask_b32_e32 v0, 0x7fc0, v1, vcc_lo
	s_wait_kmcnt 0x0
	global_store_b16 v2, v0, s[12:13] scale_offset
.LBB277_7:
	s_endpgm
	.section	.rodata,"a",@progbits
	.p2align	6, 0x0
	.amdhsa_kernel _ZL9moe_vec_qIN3c108BFloat16ELi32ELi4E10block_q5_0Li2EXadL_ZL17vec_dot_q5_0_q8_1PKvPK10block_q8_1RKiEEEvS4_S4_PT_PS8_iiii
		.amdhsa_group_segment_fixed_size 0
		.amdhsa_private_segment_fixed_size 0
		.amdhsa_kernarg_size 304
		.amdhsa_user_sgpr_count 2
		.amdhsa_user_sgpr_dispatch_ptr 0
		.amdhsa_user_sgpr_queue_ptr 0
		.amdhsa_user_sgpr_kernarg_segment_ptr 1
		.amdhsa_user_sgpr_dispatch_id 0
		.amdhsa_user_sgpr_kernarg_preload_length 0
		.amdhsa_user_sgpr_kernarg_preload_offset 0
		.amdhsa_user_sgpr_private_segment_size 0
		.amdhsa_wavefront_size32 1
		.amdhsa_uses_dynamic_stack 0
		.amdhsa_enable_private_segment 0
		.amdhsa_system_sgpr_workgroup_id_x 1
		.amdhsa_system_sgpr_workgroup_id_y 0
		.amdhsa_system_sgpr_workgroup_id_z 1
		.amdhsa_system_sgpr_workgroup_info 0
		.amdhsa_system_vgpr_workitem_id 1
		.amdhsa_next_free_vgpr 47
		.amdhsa_next_free_sgpr 22
		.amdhsa_named_barrier_count 0
		.amdhsa_reserve_vcc 1
		.amdhsa_float_round_mode_32 0
		.amdhsa_float_round_mode_16_64 0
		.amdhsa_float_denorm_mode_32 3
		.amdhsa_float_denorm_mode_16_64 3
		.amdhsa_fp16_overflow 0
		.amdhsa_memory_ordered 1
		.amdhsa_forward_progress 1
		.amdhsa_inst_pref_size 14
		.amdhsa_round_robin_scheduling 0
		.amdhsa_exception_fp_ieee_invalid_op 0
		.amdhsa_exception_fp_denorm_src 0
		.amdhsa_exception_fp_ieee_div_zero 0
		.amdhsa_exception_fp_ieee_overflow 0
		.amdhsa_exception_fp_ieee_underflow 0
		.amdhsa_exception_fp_ieee_inexact 0
		.amdhsa_exception_int_div_zero 0
	.end_amdhsa_kernel
	.section	.text._ZL9moe_vec_qIN3c108BFloat16ELi32ELi4E10block_q5_0Li2EXadL_ZL17vec_dot_q5_0_q8_1PKvPK10block_q8_1RKiEEEvS4_S4_PT_PS8_iiii,"axG",@progbits,_ZL9moe_vec_qIN3c108BFloat16ELi32ELi4E10block_q5_0Li2EXadL_ZL17vec_dot_q5_0_q8_1PKvPK10block_q8_1RKiEEEvS4_S4_PT_PS8_iiii,comdat
.Lfunc_end277:
	.size	_ZL9moe_vec_qIN3c108BFloat16ELi32ELi4E10block_q5_0Li2EXadL_ZL17vec_dot_q5_0_q8_1PKvPK10block_q8_1RKiEEEvS4_S4_PT_PS8_iiii, .Lfunc_end277-_ZL9moe_vec_qIN3c108BFloat16ELi32ELi4E10block_q5_0Li2EXadL_ZL17vec_dot_q5_0_q8_1PKvPK10block_q8_1RKiEEEvS4_S4_PT_PS8_iiii
                                        ; -- End function
	.set _ZL9moe_vec_qIN3c108BFloat16ELi32ELi4E10block_q5_0Li2EXadL_ZL17vec_dot_q5_0_q8_1PKvPK10block_q8_1RKiEEEvS4_S4_PT_PS8_iiii.num_vgpr, 47
	.set _ZL9moe_vec_qIN3c108BFloat16ELi32ELi4E10block_q5_0Li2EXadL_ZL17vec_dot_q5_0_q8_1PKvPK10block_q8_1RKiEEEvS4_S4_PT_PS8_iiii.num_agpr, 0
	.set _ZL9moe_vec_qIN3c108BFloat16ELi32ELi4E10block_q5_0Li2EXadL_ZL17vec_dot_q5_0_q8_1PKvPK10block_q8_1RKiEEEvS4_S4_PT_PS8_iiii.numbered_sgpr, 22
	.set _ZL9moe_vec_qIN3c108BFloat16ELi32ELi4E10block_q5_0Li2EXadL_ZL17vec_dot_q5_0_q8_1PKvPK10block_q8_1RKiEEEvS4_S4_PT_PS8_iiii.num_named_barrier, 0
	.set _ZL9moe_vec_qIN3c108BFloat16ELi32ELi4E10block_q5_0Li2EXadL_ZL17vec_dot_q5_0_q8_1PKvPK10block_q8_1RKiEEEvS4_S4_PT_PS8_iiii.private_seg_size, 0
	.set _ZL9moe_vec_qIN3c108BFloat16ELi32ELi4E10block_q5_0Li2EXadL_ZL17vec_dot_q5_0_q8_1PKvPK10block_q8_1RKiEEEvS4_S4_PT_PS8_iiii.uses_vcc, 1
	.set _ZL9moe_vec_qIN3c108BFloat16ELi32ELi4E10block_q5_0Li2EXadL_ZL17vec_dot_q5_0_q8_1PKvPK10block_q8_1RKiEEEvS4_S4_PT_PS8_iiii.uses_flat_scratch, 0
	.set _ZL9moe_vec_qIN3c108BFloat16ELi32ELi4E10block_q5_0Li2EXadL_ZL17vec_dot_q5_0_q8_1PKvPK10block_q8_1RKiEEEvS4_S4_PT_PS8_iiii.has_dyn_sized_stack, 0
	.set _ZL9moe_vec_qIN3c108BFloat16ELi32ELi4E10block_q5_0Li2EXadL_ZL17vec_dot_q5_0_q8_1PKvPK10block_q8_1RKiEEEvS4_S4_PT_PS8_iiii.has_recursion, 0
	.set _ZL9moe_vec_qIN3c108BFloat16ELi32ELi4E10block_q5_0Li2EXadL_ZL17vec_dot_q5_0_q8_1PKvPK10block_q8_1RKiEEEvS4_S4_PT_PS8_iiii.has_indirect_call, 0
	.section	.AMDGPU.csdata,"",@progbits
; Kernel info:
; codeLenInByte = 1676
; TotalNumSgprs: 24
; NumVgprs: 47
; ScratchSize: 0
; MemoryBound: 0
; FloatMode: 240
; IeeeMode: 1
; LDSByteSize: 0 bytes/workgroup (compile time only)
; SGPRBlocks: 0
; VGPRBlocks: 2
; NumSGPRsForWavesPerEU: 24
; NumVGPRsForWavesPerEU: 47
; NamedBarCnt: 0
; Occupancy: 16
; WaveLimiterHint : 1
; COMPUTE_PGM_RSRC2:SCRATCH_EN: 0
; COMPUTE_PGM_RSRC2:USER_SGPR: 2
; COMPUTE_PGM_RSRC2:TRAP_HANDLER: 0
; COMPUTE_PGM_RSRC2:TGID_X_EN: 1
; COMPUTE_PGM_RSRC2:TGID_Y_EN: 0
; COMPUTE_PGM_RSRC2:TGID_Z_EN: 1
; COMPUTE_PGM_RSRC2:TIDIG_COMP_CNT: 1
	.section	.text._ZL9moe_vec_qIN3c108BFloat16ELi32ELi4E10block_q5_1Li2EXadL_ZL17vec_dot_q5_1_q8_1PKvPK10block_q8_1RKiEEEvS4_S4_PT_PS8_iiii,"axG",@progbits,_ZL9moe_vec_qIN3c108BFloat16ELi32ELi4E10block_q5_1Li2EXadL_ZL17vec_dot_q5_1_q8_1PKvPK10block_q8_1RKiEEEvS4_S4_PT_PS8_iiii,comdat
	.globl	_ZL9moe_vec_qIN3c108BFloat16ELi32ELi4E10block_q5_1Li2EXadL_ZL17vec_dot_q5_1_q8_1PKvPK10block_q8_1RKiEEEvS4_S4_PT_PS8_iiii ; -- Begin function _ZL9moe_vec_qIN3c108BFloat16ELi32ELi4E10block_q5_1Li2EXadL_ZL17vec_dot_q5_1_q8_1PKvPK10block_q8_1RKiEEEvS4_S4_PT_PS8_iiii
	.p2align	8
	.type	_ZL9moe_vec_qIN3c108BFloat16ELi32ELi4E10block_q5_1Li2EXadL_ZL17vec_dot_q5_1_q8_1PKvPK10block_q8_1RKiEEEvS4_S4_PT_PS8_iiii,@function
_ZL9moe_vec_qIN3c108BFloat16ELi32ELi4E10block_q5_1Li2EXadL_ZL17vec_dot_q5_1_q8_1PKvPK10block_q8_1RKiEEEvS4_S4_PT_PS8_iiii: ; @_ZL9moe_vec_qIN3c108BFloat16ELi32ELi4E10block_q5_1Li2EXadL_ZL17vec_dot_q5_1_q8_1PKvPK10block_q8_1RKiEEEvS4_S4_PT_PS8_iiii
; %bb.0:
	s_clause 0x1
	s_load_u16 s3, s[0:1], 0x3e
	s_load_b128 s[4:7], s[0:1], 0x20
	s_bfe_u32 s2, ttmp6, 0x4000c
	s_and_b32 s8, ttmp6, 15
	s_add_co_i32 s2, s2, 1
	v_bfe_u32 v1, v0, 10, 10
	s_mul_i32 s2, ttmp9, s2
	s_delay_alu instid0(SALU_CYCLE_1) | instskip(SKIP_1) | instid1(SALU_CYCLE_1)
	s_add_co_i32 s8, s8, s2
	s_getreg_b32 s2, hwreg(HW_REG_IB_STS2, 6, 4)
	s_cmp_eq_u32 s2, 0
	s_cselect_b32 s8, ttmp9, s8
	s_wait_kmcnt 0x0
	v_mad_u32 v6, s8, s3, v1
	s_mov_b32 s3, 0
	s_mov_b32 s8, exec_lo
	s_delay_alu instid0(VALU_DEP_1)
	v_cmpx_gt_u32_e64 s6, v6
	s_cbranch_execz .LBB278_7
; %bb.1:
	s_load_b64 s[12:13], s[0:1], 0x10
	s_bfe_u32 s8, ttmp6, 0x40014
	s_lshr_b32 s9, ttmp7, 16
	s_add_co_i32 s8, s8, 1
	s_cvt_f32_u32 s11, s4
	s_mul_i32 s8, s9, s8
	s_bfe_u32 s10, ttmp6, 0x40008
	v_bfe_u32 v8, v0, 1, 9
	s_add_co_i32 s10, s10, s8
	v_rcp_iflag_f32_e32 v1, s11
	s_cmp_eq_u32 s2, 0
	v_and_b32_e32 v7, 0x3ff, v0
	s_cselect_b32 s2, s9, s10
	s_ashr_i32 s8, s5, 31
	v_mov_b32_e32 v9, 0
	s_lshr_b32 s8, s8, 27
	s_mov_b32 s14, exec_lo
	s_add_co_i32 s8, s5, s8
	v_readfirstlane_b32 s5, v1
	s_ashr_i32 s15, s8, 5
	s_delay_alu instid0(SALU_CYCLE_1)
	v_cmpx_gt_u32_e64 s15, v8
	s_cbranch_execz .LBB278_5
; %bb.2:
	s_clause 0x1
	s_load_b64 s[16:17], s[0:1], 0x18
	s_load_b128 s[8:11], s[0:1], 0x0
	s_wait_xcnt 0x0
	s_mul_f32 s0, s5, 0x4f7ffffe
	s_sub_co_i32 s5, 0, s4
	s_mov_b32 s19, s3
	v_dual_mov_b32 v1, 0 :: v_dual_lshlrev_b32 v0, 3, v7
	s_cvt_u32_f32 s0, s0
	v_mul_lo_u32 v10, v6, s15
	s_mul_i32 s20, s15, s6
	s_delay_alu instid0(VALU_DEP_2) | instskip(SKIP_3) | instid1(VALU_DEP_1)
	v_dual_mov_b32 v3, 0.5 :: v_dual_bitop2_b32 v0, 8, v0 bitop3:0x40
	s_mul_i32 s5, s5, s0
	s_mov_b32 s1, 0
	s_mul_hi_u32 s5, s0, s5
	v_dual_mov_b32 v9, v1 :: v_dual_bitop2_b32 v11, 4, v0 bitop3:0x54
	s_add_co_i32 s18, s0, s5
	s_wait_kmcnt 0x0
	s_load_b32 s21, s[16:17], s2 offset:0x0 scale_offset
	s_wait_xcnt 0x0
	s_mul_u64 s[16:17], s[2:3], s[18:19]
	s_delay_alu instid0(SALU_CYCLE_1) | instskip(SKIP_2) | instid1(SALU_CYCLE_1)
	s_mul_i32 s0, s17, s4
	s_add_co_i32 s3, s17, 1
	s_sub_co_i32 s0, s2, s0
	s_sub_co_i32 s5, s0, s4
	s_cmp_ge_u32 s0, s4
	s_cselect_b32 s3, s3, s17
	s_cselect_b32 s0, s5, s0
	s_add_co_i32 s5, s3, 1
	s_cmp_ge_u32 s0, s4
	s_cselect_b32 s0, s5, s3
	s_delay_alu instid0(SALU_CYCLE_1) | instskip(NEXT) | instid1(SALU_CYCLE_1)
	s_mul_i32 s0, s0, s7
	s_lshl_b64 s[16:17], s[0:1], 2
	s_wait_kmcnt 0x0
	s_mul_i32 s4, s20, s21
	s_delay_alu instid0(SALU_CYCLE_1) | instskip(NEXT) | instid1(SALU_CYCLE_1)
	s_ashr_i32 s5, s4, 31
	s_mul_u64 s[4:5], s[4:5], 24
	s_delay_alu instid0(SALU_CYCLE_1)
	s_add_nc_u64 s[4:5], s[8:9], s[4:5]
	s_add_nc_u64 s[8:9], s[10:11], s[16:17]
.LBB278_3:                              ; =>This Inner Loop Header: Depth=1
	v_add_nc_u32_e32 v2, v10, v8
	v_mad_nc_i64_i32 v[12:13], v8, 36, s[8:9]
	v_add_nc_u32_e32 v8, 16, v8
	s_delay_alu instid0(VALU_DEP_3) | instskip(NEXT) | instid1(VALU_DEP_2)
	v_mad_nc_i64_i32 v[14:15], v2, 24, s[4:5]
	v_cmp_le_u32_e32 vcc_lo, s15, v8
	s_delay_alu instid0(VALU_DEP_4) | instskip(SKIP_1) | instid1(VALU_DEP_3)
	v_add_nc_u64_e32 v[16:17], v[12:13], v[0:1]
	s_or_b32 s1, vcc_lo, s1
	v_add_nc_u64_e32 v[18:19], v[14:15], v[0:1]
	global_load_b64 v[4:5], v[14:15], off
	global_load_b64 v[20:21], v[16:17], off offset:4
	global_load_b64 v[22:23], v[18:19], off offset:8
	s_clause 0x1
	global_load_b64 v[24:25], v[16:17], off offset:20
	global_load_b32 v2, v[12:13], off
	s_wait_loadcnt 0x4
	s_wait_xcnt 0x0
	v_dual_ashrrev_i32 v12, v0, v5 :: v_dual_ashrrev_i32 v5, v11, v5
	s_wait_loadcnt 0x1
	v_dual_ashrrev_i32 v15, 24, v20 :: v_dual_ashrrev_i32 v28, 24, v25
	v_and_b32_e32 v45, 0xf0f0f0f, v22
	s_delay_alu instid0(VALU_DEP_3)
	v_dual_lshlrev_b32 v31, 4, v12 :: v_dual_lshlrev_b32 v32, 11, v12
	v_dual_lshlrev_b32 v33, 18, v12 :: v_dual_lshlrev_b32 v34, 25, v12
	v_dual_lshrrev_b32 v35, 12, v12 :: v_dual_lshrrev_b32 v36, 5, v12
	v_dual_lshlrev_b32 v37, 2, v12 :: v_dual_lshlrev_b32 v12, 9, v12
	v_dual_lshlrev_b32 v38, 4, v5 :: v_dual_lshlrev_b32 v41, 25, v5
	v_dual_lshrrev_b32 v42, 12, v5 :: v_dual_lshlrev_b32 v39, 11, v5
	v_dual_lshlrev_b32 v40, 18, v5 :: v_dual_lshrrev_b32 v43, 5, v5
	v_dual_lshlrev_b32 v44, 2, v5 :: v_dual_lshlrev_b32 v5, 9, v5
	v_lshrrev_b32_e32 v22, 4, v22
	v_and_b32_e32 v46, 0xf0f0f0f, v23
	v_dual_lshrrev_b32 v23, 4, v23 :: v_dual_bitop2_b32 v38, 16, v38 bitop3:0x40
	v_and_b32_e32 v32, 0x1000, v32
	v_and_b32_e32 v35, 16, v35
	;; [unrolled: 1-line block ×3, first 2 shown]
	v_and_or_b32 v34, 0x10000000, v34, v45
	v_and_b32_e32 v31, 16, v31
	v_and_b32_e32 v37, 0x100000, v37
	;; [unrolled: 1-line block ×7, first 2 shown]
	v_lshrrev_b32_e32 v34, 24, v34
	v_or3_b32 v31, v31, v45, v32
	v_and_or_b32 v32, 0x1000, v36, v35
	v_and_or_b32 v35, 0x1000, v39, v38
	v_and_or_b32 v36, 0x1000, v43, v42
	v_lshrrev_b16 v13, 8, v20
	v_and_b32_e32 v33, 0x100000, v33
	v_and_b32_e32 v22, 0xf0f0f0f, v22
	;; [unrolled: 1-line block ×3, first 2 shown]
	v_lshrrev_b16 v39, 8, v31
	v_or3_b32 v12, v32, v37, v12
	v_or3_b32 v32, v35, v40, v41
	;; [unrolled: 1-line block ×3, first 2 shown]
	v_bfe_i32 v16, v20, 0, 8
	v_bfe_i32 v17, v20, 16, 8
	;; [unrolled: 1-line block ×4, first 2 shown]
	v_and_b32_e32 v35, 0xffff, v39
	v_or_b32_e32 v36, v12, v22
	v_bitop3_b32 v12, v12, 31, v22 bitop3:0xc8
	v_or_b32_e32 v22, v32, v46
	v_or_b32_e32 v38, v31, v33
	s_wait_loadcnt 0x0
	v_pk_mul_f16 v2, v4, v2
	v_or_b32_e32 v37, v5, v23
	v_lshrrev_b16 v14, 8, v24
	v_ashrrev_i32_e32 v18, 24, v24
	v_bfe_i32 v19, v24, 16, 8
	v_ashrrev_i32_e32 v24, 24, v21
	v_bfe_i32 v26, v21, 16, 8
	v_bfe_i32 v27, v21, 8, 8
	;; [unrolled: 1-line block ×6, first 2 shown]
	v_bitop3_b32 v31, v31, 31, v33 bitop3:0xc8
	v_bitop3_b32 v32, v32, 31, v46 bitop3:0xc8
	;; [unrolled: 1-line block ×3, first 2 shown]
	v_mul_i32_i24_e32 v13, v35, v13
	v_lshrrev_b32_e32 v23, 24, v36
	v_lshrrev_b16 v35, 8, v36
	v_mul_i32_i24_e32 v12, v12, v20
	v_lshrrev_b32_e32 v20, 24, v22
	v_bfe_u32 v33, v38, 16, 5
	v_lshrrev_b16 v38, 8, v22
	v_bfe_u32 v22, v22, 16, 5
	v_lshrrev_b16 v39, 8, v37
	v_bfe_i32 v14, v14, 0, 8
	v_mul_i32_i24_e32 v21, v21, v32
	v_lshrrev_b32_e32 v32, 24, v37
	v_mul_i32_i24_e32 v5, v25, v5
	v_and_b32_e32 v25, 0xffff, v35
	v_mul_i32_i24_e32 v18, v23, v18
	v_mul_i32_i24_e32 v22, v26, v22
	v_and_b32_e32 v26, 0xffff, v39
	v_and_b32_e32 v23, 0xffff, v38
	v_mul_i32_i24_e32 v20, v24, v20
	v_mul_i32_i24_e32 v28, v28, v32
	;; [unrolled: 1-line block ×4, first 2 shown]
	v_mad_i32_i24 v15, v34, v15, v18
	v_bfe_u32 v36, v36, 16, 5
	v_mad_i32_i24 v12, v31, v16, v12
	v_mul_i32_i24_e32 v16, v27, v23
	v_add3_u32 v13, v13, v14, v25
	v_add3_u32 v14, v15, v28, v20
	v_mul_i32_i24_e32 v19, v36, v19
	v_add3_u32 v4, v12, v5, v21
	s_delay_alu instid0(VALU_DEP_3) | instskip(SKIP_3) | instid1(VALU_DEP_2)
	v_add3_u32 v12, v13, v16, v14
	v_lshrrev_b32_e32 v13, 16, v2
	v_bfe_u32 v37, v37, 16, 5
	v_mad_i32_i24 v17, v33, v17, v19
	v_mul_i32_i24_e32 v24, v29, v37
	s_delay_alu instid0(VALU_DEP_1) | instskip(NEXT) | instid1(VALU_DEP_1)
	v_add3_u32 v5, v17, v24, v22
	v_add3_u32 v12, v4, v5, v12
	v_cvt_f32_f16_e32 v4, v2
	v_cvt_f32_f16_e32 v5, v13
	s_delay_alu instid0(VALU_DEP_3) | instskip(NEXT) | instid1(VALU_DEP_1)
	v_cvt_f32_i32_e32 v2, v12
	v_pk_mul_f32 v[4:5], v[2:3], v[4:5]
	s_delay_alu instid0(VALU_DEP_1) | instskip(NEXT) | instid1(VALU_DEP_1)
	v_add_f32_e32 v2, v5, v4
	v_add_f32_e32 v9, v9, v2
	s_and_not1_b32 exec_lo, exec_lo, s1
	s_cbranch_execnz .LBB278_3
; %bb.4:
	s_or_b32 exec_lo, exec_lo, s1
.LBB278_5:
	s_delay_alu instid0(SALU_CYCLE_1) | instskip(SKIP_1) | instid1(VALU_DEP_1)
	s_or_b32 exec_lo, exec_lo, s14
	v_mbcnt_lo_u32_b32 v0, -1, 0
	v_xor_b32_e32 v2, 8, v0
	v_xor_b32_e32 v1, 16, v0
	;; [unrolled: 1-line block ×3, first 2 shown]
	s_delay_alu instid0(VALU_DEP_2) | instskip(SKIP_4) | instid1(VALU_DEP_2)
	v_cmp_gt_i32_e32 vcc_lo, 32, v1
	v_cndmask_b32_e32 v1, v0, v1, vcc_lo
	v_cmp_gt_i32_e32 vcc_lo, 32, v2
	v_cndmask_b32_e32 v2, v0, v2, vcc_lo
	v_cmp_gt_i32_e32 vcc_lo, 32, v3
	v_dual_lshlrev_b32 v2, 2, v2 :: v_dual_lshlrev_b32 v1, 2, v1
	ds_bpermute_b32 v1, v1, v9
	s_wait_dscnt 0x0
	v_add_f32_e32 v1, v9, v1
	ds_bpermute_b32 v2, v2, v1
	s_wait_dscnt 0x0
	v_dual_cndmask_b32 v3, v0, v3, vcc_lo :: v_dual_add_f32 v1, v1, v2
	s_delay_alu instid0(VALU_DEP_1) | instskip(SKIP_3) | instid1(VALU_DEP_1)
	v_lshlrev_b32_e32 v3, 2, v3
	ds_bpermute_b32 v2, v3, v1
	s_wait_dscnt 0x0
	v_dual_add_f32 v1, v1, v2 :: v_dual_bitop2_b32 v3, 2, v0 bitop3:0x14
	v_cmp_gt_i32_e32 vcc_lo, 32, v3
	v_cndmask_b32_e32 v3, v0, v3, vcc_lo
	s_delay_alu instid0(VALU_DEP_1) | instskip(SKIP_2) | instid1(VALU_DEP_1)
	v_lshlrev_b32_e32 v3, 2, v3
	ds_bpermute_b32 v2, v3, v1
	v_xor_b32_e32 v3, 1, v0
	v_cmp_gt_i32_e32 vcc_lo, 32, v3
	v_cndmask_b32_e32 v3, v0, v3, vcc_lo
	v_cmp_eq_u32_e32 vcc_lo, 0, v7
	s_wait_dscnt 0x0
	s_delay_alu instid0(VALU_DEP_2)
	v_dual_add_f32 v0, v1, v2 :: v_dual_lshlrev_b32 v1, 2, v3
	ds_bpermute_b32 v1, v1, v0
	s_and_b32 exec_lo, exec_lo, vcc_lo
	s_cbranch_execz .LBB278_7
; %bb.6:
	s_wait_dscnt 0x0
	v_add_f32_e32 v0, v0, v1
	v_mad_u32 v2, s6, s2, v6
	s_delay_alu instid0(VALU_DEP_2) | instskip(NEXT) | instid1(VALU_DEP_1)
	v_bfe_u32 v1, v0, 16, 1
	v_add3_u32 v1, v0, v1, 0x7fff
	s_delay_alu instid0(VALU_DEP_1) | instskip(SKIP_1) | instid1(VALU_DEP_2)
	v_lshrrev_b32_e32 v1, 16, v1
	v_cmp_o_f32_e32 vcc_lo, v0, v0
	v_cndmask_b32_e32 v0, 0x7fc0, v1, vcc_lo
	s_wait_kmcnt 0x0
	global_store_b16 v2, v0, s[12:13] scale_offset
.LBB278_7:
	s_endpgm
	.section	.rodata,"a",@progbits
	.p2align	6, 0x0
	.amdhsa_kernel _ZL9moe_vec_qIN3c108BFloat16ELi32ELi4E10block_q5_1Li2EXadL_ZL17vec_dot_q5_1_q8_1PKvPK10block_q8_1RKiEEEvS4_S4_PT_PS8_iiii
		.amdhsa_group_segment_fixed_size 0
		.amdhsa_private_segment_fixed_size 0
		.amdhsa_kernarg_size 304
		.amdhsa_user_sgpr_count 2
		.amdhsa_user_sgpr_dispatch_ptr 0
		.amdhsa_user_sgpr_queue_ptr 0
		.amdhsa_user_sgpr_kernarg_segment_ptr 1
		.amdhsa_user_sgpr_dispatch_id 0
		.amdhsa_user_sgpr_kernarg_preload_length 0
		.amdhsa_user_sgpr_kernarg_preload_offset 0
		.amdhsa_user_sgpr_private_segment_size 0
		.amdhsa_wavefront_size32 1
		.amdhsa_uses_dynamic_stack 0
		.amdhsa_enable_private_segment 0
		.amdhsa_system_sgpr_workgroup_id_x 1
		.amdhsa_system_sgpr_workgroup_id_y 0
		.amdhsa_system_sgpr_workgroup_id_z 1
		.amdhsa_system_sgpr_workgroup_info 0
		.amdhsa_system_vgpr_workitem_id 1
		.amdhsa_next_free_vgpr 47
		.amdhsa_next_free_sgpr 22
		.amdhsa_named_barrier_count 0
		.amdhsa_reserve_vcc 1
		.amdhsa_float_round_mode_32 0
		.amdhsa_float_round_mode_16_64 0
		.amdhsa_float_denorm_mode_32 3
		.amdhsa_float_denorm_mode_16_64 3
		.amdhsa_fp16_overflow 0
		.amdhsa_memory_ordered 1
		.amdhsa_forward_progress 1
		.amdhsa_inst_pref_size 13
		.amdhsa_round_robin_scheduling 0
		.amdhsa_exception_fp_ieee_invalid_op 0
		.amdhsa_exception_fp_denorm_src 0
		.amdhsa_exception_fp_ieee_div_zero 0
		.amdhsa_exception_fp_ieee_overflow 0
		.amdhsa_exception_fp_ieee_underflow 0
		.amdhsa_exception_fp_ieee_inexact 0
		.amdhsa_exception_int_div_zero 0
	.end_amdhsa_kernel
	.section	.text._ZL9moe_vec_qIN3c108BFloat16ELi32ELi4E10block_q5_1Li2EXadL_ZL17vec_dot_q5_1_q8_1PKvPK10block_q8_1RKiEEEvS4_S4_PT_PS8_iiii,"axG",@progbits,_ZL9moe_vec_qIN3c108BFloat16ELi32ELi4E10block_q5_1Li2EXadL_ZL17vec_dot_q5_1_q8_1PKvPK10block_q8_1RKiEEEvS4_S4_PT_PS8_iiii,comdat
.Lfunc_end278:
	.size	_ZL9moe_vec_qIN3c108BFloat16ELi32ELi4E10block_q5_1Li2EXadL_ZL17vec_dot_q5_1_q8_1PKvPK10block_q8_1RKiEEEvS4_S4_PT_PS8_iiii, .Lfunc_end278-_ZL9moe_vec_qIN3c108BFloat16ELi32ELi4E10block_q5_1Li2EXadL_ZL17vec_dot_q5_1_q8_1PKvPK10block_q8_1RKiEEEvS4_S4_PT_PS8_iiii
                                        ; -- End function
	.set _ZL9moe_vec_qIN3c108BFloat16ELi32ELi4E10block_q5_1Li2EXadL_ZL17vec_dot_q5_1_q8_1PKvPK10block_q8_1RKiEEEvS4_S4_PT_PS8_iiii.num_vgpr, 47
	.set _ZL9moe_vec_qIN3c108BFloat16ELi32ELi4E10block_q5_1Li2EXadL_ZL17vec_dot_q5_1_q8_1PKvPK10block_q8_1RKiEEEvS4_S4_PT_PS8_iiii.num_agpr, 0
	.set _ZL9moe_vec_qIN3c108BFloat16ELi32ELi4E10block_q5_1Li2EXadL_ZL17vec_dot_q5_1_q8_1PKvPK10block_q8_1RKiEEEvS4_S4_PT_PS8_iiii.numbered_sgpr, 22
	.set _ZL9moe_vec_qIN3c108BFloat16ELi32ELi4E10block_q5_1Li2EXadL_ZL17vec_dot_q5_1_q8_1PKvPK10block_q8_1RKiEEEvS4_S4_PT_PS8_iiii.num_named_barrier, 0
	.set _ZL9moe_vec_qIN3c108BFloat16ELi32ELi4E10block_q5_1Li2EXadL_ZL17vec_dot_q5_1_q8_1PKvPK10block_q8_1RKiEEEvS4_S4_PT_PS8_iiii.private_seg_size, 0
	.set _ZL9moe_vec_qIN3c108BFloat16ELi32ELi4E10block_q5_1Li2EXadL_ZL17vec_dot_q5_1_q8_1PKvPK10block_q8_1RKiEEEvS4_S4_PT_PS8_iiii.uses_vcc, 1
	.set _ZL9moe_vec_qIN3c108BFloat16ELi32ELi4E10block_q5_1Li2EXadL_ZL17vec_dot_q5_1_q8_1PKvPK10block_q8_1RKiEEEvS4_S4_PT_PS8_iiii.uses_flat_scratch, 0
	.set _ZL9moe_vec_qIN3c108BFloat16ELi32ELi4E10block_q5_1Li2EXadL_ZL17vec_dot_q5_1_q8_1PKvPK10block_q8_1RKiEEEvS4_S4_PT_PS8_iiii.has_dyn_sized_stack, 0
	.set _ZL9moe_vec_qIN3c108BFloat16ELi32ELi4E10block_q5_1Li2EXadL_ZL17vec_dot_q5_1_q8_1PKvPK10block_q8_1RKiEEEvS4_S4_PT_PS8_iiii.has_recursion, 0
	.set _ZL9moe_vec_qIN3c108BFloat16ELi32ELi4E10block_q5_1Li2EXadL_ZL17vec_dot_q5_1_q8_1PKvPK10block_q8_1RKiEEEvS4_S4_PT_PS8_iiii.has_indirect_call, 0
	.section	.AMDGPU.csdata,"",@progbits
; Kernel info:
; codeLenInByte = 1652
; TotalNumSgprs: 24
; NumVgprs: 47
; ScratchSize: 0
; MemoryBound: 0
; FloatMode: 240
; IeeeMode: 1
; LDSByteSize: 0 bytes/workgroup (compile time only)
; SGPRBlocks: 0
; VGPRBlocks: 2
; NumSGPRsForWavesPerEU: 24
; NumVGPRsForWavesPerEU: 47
; NamedBarCnt: 0
; Occupancy: 16
; WaveLimiterHint : 1
; COMPUTE_PGM_RSRC2:SCRATCH_EN: 0
; COMPUTE_PGM_RSRC2:USER_SGPR: 2
; COMPUTE_PGM_RSRC2:TRAP_HANDLER: 0
; COMPUTE_PGM_RSRC2:TGID_X_EN: 1
; COMPUTE_PGM_RSRC2:TGID_Y_EN: 0
; COMPUTE_PGM_RSRC2:TGID_Z_EN: 1
; COMPUTE_PGM_RSRC2:TIDIG_COMP_CNT: 1
	.section	.text._ZL9moe_vec_qIN3c108BFloat16ELi32ELi8E10block_q8_0Li2EXadL_ZL17vec_dot_q8_0_q8_1PKvPK10block_q8_1RKiEEEvS4_S4_PT_PS8_iiii,"axG",@progbits,_ZL9moe_vec_qIN3c108BFloat16ELi32ELi8E10block_q8_0Li2EXadL_ZL17vec_dot_q8_0_q8_1PKvPK10block_q8_1RKiEEEvS4_S4_PT_PS8_iiii,comdat
	.globl	_ZL9moe_vec_qIN3c108BFloat16ELi32ELi8E10block_q8_0Li2EXadL_ZL17vec_dot_q8_0_q8_1PKvPK10block_q8_1RKiEEEvS4_S4_PT_PS8_iiii ; -- Begin function _ZL9moe_vec_qIN3c108BFloat16ELi32ELi8E10block_q8_0Li2EXadL_ZL17vec_dot_q8_0_q8_1PKvPK10block_q8_1RKiEEEvS4_S4_PT_PS8_iiii
	.p2align	8
	.type	_ZL9moe_vec_qIN3c108BFloat16ELi32ELi8E10block_q8_0Li2EXadL_ZL17vec_dot_q8_0_q8_1PKvPK10block_q8_1RKiEEEvS4_S4_PT_PS8_iiii,@function
_ZL9moe_vec_qIN3c108BFloat16ELi32ELi8E10block_q8_0Li2EXadL_ZL17vec_dot_q8_0_q8_1PKvPK10block_q8_1RKiEEEvS4_S4_PT_PS8_iiii: ; @_ZL9moe_vec_qIN3c108BFloat16ELi32ELi8E10block_q8_0Li2EXadL_ZL17vec_dot_q8_0_q8_1PKvPK10block_q8_1RKiEEEvS4_S4_PT_PS8_iiii
; %bb.0:
	s_clause 0x1
	s_load_u16 s3, s[0:1], 0x3e
	s_load_b128 s[4:7], s[0:1], 0x20
	s_bfe_u32 s2, ttmp6, 0x4000c
	s_and_b32 s8, ttmp6, 15
	s_add_co_i32 s2, s2, 1
	v_bfe_u32 v1, v0, 10, 10
	s_mul_i32 s2, ttmp9, s2
	s_mov_b32 s9, 0
	s_add_co_i32 s8, s8, s2
	s_getreg_b32 s2, hwreg(HW_REG_IB_STS2, 6, 4)
	s_delay_alu instid0(SALU_CYCLE_1) | instskip(SKIP_4) | instid1(VALU_DEP_1)
	s_cmp_eq_u32 s2, 0
	s_cselect_b32 s8, ttmp9, s8
	s_wait_kmcnt 0x0
	v_mad_u32 v2, s8, s3, v1
	s_mov_b32 s3, exec_lo
	v_cmpx_gt_u32_e64 s6, v2
	s_cbranch_execz .LBB279_7
; %bb.1:
	s_load_b64 s[10:11], s[0:1], 0x10
	s_bfe_u32 s3, ttmp6, 0x40014
	s_lshr_b32 s8, ttmp7, 16
	s_add_co_i32 s3, s3, 1
	s_cvt_f32_u32 s13, s4
	s_mul_i32 s3, s8, s3
	s_bfe_u32 s12, ttmp6, 0x40008
	v_bfe_u32 v4, v0, 2, 8
	s_add_co_i32 s12, s12, s3
	v_rcp_iflag_f32_e32 v1, s13
	s_cmp_eq_u32 s2, 0
	v_and_b32_e32 v3, 0x3ff, v0
	s_cselect_b32 s8, s8, s12
	s_ashr_i32 s2, s5, 31
	v_mov_b32_e32 v5, 0
	s_lshr_b32 s2, s2, 27
	s_mov_b32 s12, exec_lo
	s_add_co_i32 s3, s5, s2
	v_readfirstlane_b32 s2, v1
	s_ashr_i32 s13, s3, 5
	s_delay_alu instid0(SALU_CYCLE_1)
	v_cmpx_gt_u32_e64 s13, v4
	s_cbranch_execz .LBB279_5
; %bb.2:
	s_load_b64 s[14:15], s[0:1], 0x18
	s_mul_f32 s5, s2, 0x4f7ffffe
	s_sub_co_i32 s16, 0, s4
	s_mov_b32 s17, s9
	s_wait_xcnt 0x0
	s_load_b128 s[0:3], s[0:1], 0x0
	s_cvt_u32_f32 s18, s5
	v_mul_lo_u32 v6, v2, s13
	s_mul_i32 s19, s13, s6
	v_dual_mov_b32 v1, 0 :: v_dual_lshlrev_b32 v0, 3, v3
	s_mul_i32 s16, s16, s18
	s_mov_b32 s5, 0
	s_delay_alu instid0(VALU_DEP_1) | instskip(SKIP_4) | instid1(SALU_CYCLE_1)
	v_dual_mov_b32 v5, v1 :: v_dual_bitop2_b32 v0, 24, v0 bitop3:0x40
	s_wait_kmcnt 0x0
	s_load_b32 s20, s[14:15], s8 offset:0x0 scale_offset
	s_wait_xcnt 0x0
	s_mul_hi_u32 s14, s18, s16
	s_add_co_i32 s16, s18, s14
	s_delay_alu instid0(SALU_CYCLE_1) | instskip(NEXT) | instid1(SALU_CYCLE_1)
	s_mul_u64 s[14:15], s[8:9], s[16:17]
	s_mul_i32 s9, s15, s4
	s_add_co_i32 s14, s15, 1
	s_sub_co_i32 s9, s8, s9
	s_delay_alu instid0(SALU_CYCLE_1)
	s_sub_co_i32 s16, s9, s4
	s_cmp_ge_u32 s9, s4
	s_cselect_b32 s15, s14, s15
	s_cselect_b32 s9, s16, s9
	s_add_co_i32 s16, s15, 1
	s_cmp_ge_u32 s9, s4
	s_cselect_b32 s4, s16, s15
	s_wait_kmcnt 0x0
	s_mul_i32 s14, s19, s20
	s_mul_i32 s4, s4, s7
	s_ashr_i32 s15, s14, 31
	s_lshl_b64 s[16:17], s[4:5], 2
	s_mul_u64 s[14:15], s[14:15], 34
	s_add_nc_u64 s[2:3], s[2:3], s[16:17]
	s_add_nc_u64 s[0:1], s[0:1], s[14:15]
.LBB279_3:                              ; =>This Inner Loop Header: Depth=1
	v_add_nc_u32_e32 v7, v6, v4
	v_mad_nc_i64_i32 v[8:9], v4, 36, s[2:3]
	v_add_nc_u32_e32 v4, 8, v4
	s_delay_alu instid0(VALU_DEP_3) | instskip(NEXT) | instid1(VALU_DEP_2)
	v_mad_nc_i64_i32 v[10:11], v7, 34, s[0:1]
	v_cmp_le_u32_e32 vcc_lo, s13, v4
	s_delay_alu instid0(VALU_DEP_4) | instskip(SKIP_1) | instid1(VALU_DEP_3)
	v_add_nc_u64_e32 v[12:13], v[8:9], v[0:1]
	s_or_b32 s5, vcc_lo, s5
	v_add_nc_u64_e32 v[14:15], v[10:11], v[0:1]
	global_load_b64 v[16:17], v[12:13], off offset:4
	s_clause 0x1
	global_load_b32 v7, v[14:15], off offset:2
	global_load_b32 v18, v[14:15], off offset:6
	global_load_b32 v19, v[8:9], off
	global_load_u16 v20, v[10:11], off
	s_wait_loadcnt 0x4
	s_wait_xcnt 0x1
	v_lshrrev_b16 v8, 8, v16
	v_bfe_i32 v9, v16, 0, 8
	s_wait_loadcnt 0x3
	s_wait_xcnt 0x0
	v_dual_ashrrev_i32 v10, 24, v16 :: v_dual_ashrrev_i32 v21, 24, v7
	v_bfe_i32 v11, v16, 16, 8
	v_bfe_i32 v12, v17, 0, 8
	;; [unrolled: 1-line block ×4, first 2 shown]
	v_ashrrev_i32_e32 v15, 24, v17
	v_lshrrev_b16 v16, 8, v7
	v_bfe_i32 v17, v7, 0, 8
	v_bfe_i32 v7, v7, 16, 8
	;; [unrolled: 1-line block ×3, first 2 shown]
	s_wait_loadcnt 0x2
	v_bfe_i32 v23, v18, 8, 8
	v_ashrrev_i32_e32 v24, 24, v18
	v_bfe_i32 v16, v16, 0, 8
	v_mul_i32_i24_e32 v7, v11, v7
	v_mul_i32_i24_e32 v10, v10, v21
	v_bfe_i32 v22, v18, 0, 8
	v_bfe_i32 v11, v18, 16, 8
	v_mul_i32_i24_e32 v13, v13, v23
	v_mul_i32_i24_e32 v15, v15, v24
	v_mad_i32_i24 v7, v9, v17, v7
	v_mad_i32_i24 v8, v8, v16, v10
	v_mul_i32_i24_e32 v9, v14, v11
	v_mad_i32_i24 v10, v12, v22, v13
	s_wait_loadcnt 0x0
	v_cvt_f32_f16_e32 v11, v20
	v_add3_u32 v7, v7, v8, v15
	v_cvt_f32_f16_e32 v8, v19
	s_delay_alu instid0(VALU_DEP_2) | instskip(NEXT) | instid1(VALU_DEP_2)
	v_add3_u32 v7, v7, v10, v9
	v_mul_f32_e32 v8, v11, v8
	s_delay_alu instid0(VALU_DEP_2) | instskip(NEXT) | instid1(VALU_DEP_1)
	v_cvt_f32_i32_e32 v7, v7
	v_fmac_f32_e32 v5, v8, v7
	s_and_not1_b32 exec_lo, exec_lo, s5
	s_cbranch_execnz .LBB279_3
; %bb.4:
	s_or_b32 exec_lo, exec_lo, s5
.LBB279_5:
	s_delay_alu instid0(SALU_CYCLE_1) | instskip(SKIP_1) | instid1(VALU_DEP_1)
	s_or_b32 exec_lo, exec_lo, s12
	v_mbcnt_lo_u32_b32 v0, -1, 0
	v_xor_b32_e32 v1, 16, v0
	v_xor_b32_e32 v4, 8, v0
	s_delay_alu instid0(VALU_DEP_2) | instskip(SKIP_1) | instid1(VALU_DEP_3)
	v_cmp_gt_i32_e32 vcc_lo, 32, v1
	v_cndmask_b32_e32 v1, v0, v1, vcc_lo
	v_cmp_gt_i32_e32 vcc_lo, 32, v4
	s_delay_alu instid0(VALU_DEP_2)
	v_dual_cndmask_b32 v4, v0, v4 :: v_dual_lshlrev_b32 v1, 2, v1
	ds_bpermute_b32 v1, v1, v5
	s_wait_dscnt 0x0
	v_dual_add_f32 v1, v5, v1 :: v_dual_lshlrev_b32 v4, 2, v4
	v_xor_b32_e32 v5, 4, v0
	ds_bpermute_b32 v4, v4, v1
	v_cmp_gt_i32_e32 vcc_lo, 32, v5
	v_cndmask_b32_e32 v5, v0, v5, vcc_lo
	s_wait_dscnt 0x0
	s_delay_alu instid0(VALU_DEP_1) | instskip(SKIP_2) | instid1(VALU_DEP_1)
	v_dual_lshlrev_b32 v5, 2, v5 :: v_dual_add_f32 v1, v1, v4
	ds_bpermute_b32 v4, v5, v1
	v_xor_b32_e32 v5, 2, v0
	v_cmp_gt_i32_e32 vcc_lo, 32, v5
	s_wait_dscnt 0x0
	v_dual_cndmask_b32 v5, v0, v5, vcc_lo :: v_dual_add_f32 v1, v1, v4
	s_delay_alu instid0(VALU_DEP_1) | instskip(SKIP_2) | instid1(VALU_DEP_1)
	v_lshlrev_b32_e32 v5, 2, v5
	ds_bpermute_b32 v4, v5, v1
	v_xor_b32_e32 v5, 1, v0
	v_cmp_gt_i32_e32 vcc_lo, 32, v5
	v_cndmask_b32_e32 v5, v0, v5, vcc_lo
	v_cmp_eq_u32_e32 vcc_lo, 0, v3
	s_wait_dscnt 0x0
	s_delay_alu instid0(VALU_DEP_2)
	v_dual_add_f32 v0, v1, v4 :: v_dual_lshlrev_b32 v1, 2, v5
	ds_bpermute_b32 v1, v1, v0
	s_and_b32 exec_lo, exec_lo, vcc_lo
	s_cbranch_execz .LBB279_7
; %bb.6:
	s_wait_dscnt 0x0
	v_add_f32_e32 v0, v0, v1
	v_mad_u32 v2, s6, s8, v2
	s_delay_alu instid0(VALU_DEP_2) | instskip(NEXT) | instid1(VALU_DEP_1)
	v_bfe_u32 v1, v0, 16, 1
	v_add3_u32 v1, v0, v1, 0x7fff
	s_delay_alu instid0(VALU_DEP_1) | instskip(SKIP_1) | instid1(VALU_DEP_2)
	v_lshrrev_b32_e32 v1, 16, v1
	v_cmp_o_f32_e32 vcc_lo, v0, v0
	v_cndmask_b32_e32 v0, 0x7fc0, v1, vcc_lo
	s_wait_kmcnt 0x0
	global_store_b16 v2, v0, s[10:11] scale_offset
.LBB279_7:
	s_endpgm
	.section	.rodata,"a",@progbits
	.p2align	6, 0x0
	.amdhsa_kernel _ZL9moe_vec_qIN3c108BFloat16ELi32ELi8E10block_q8_0Li2EXadL_ZL17vec_dot_q8_0_q8_1PKvPK10block_q8_1RKiEEEvS4_S4_PT_PS8_iiii
		.amdhsa_group_segment_fixed_size 0
		.amdhsa_private_segment_fixed_size 0
		.amdhsa_kernarg_size 304
		.amdhsa_user_sgpr_count 2
		.amdhsa_user_sgpr_dispatch_ptr 0
		.amdhsa_user_sgpr_queue_ptr 0
		.amdhsa_user_sgpr_kernarg_segment_ptr 1
		.amdhsa_user_sgpr_dispatch_id 0
		.amdhsa_user_sgpr_kernarg_preload_length 0
		.amdhsa_user_sgpr_kernarg_preload_offset 0
		.amdhsa_user_sgpr_private_segment_size 0
		.amdhsa_wavefront_size32 1
		.amdhsa_uses_dynamic_stack 0
		.amdhsa_enable_private_segment 0
		.amdhsa_system_sgpr_workgroup_id_x 1
		.amdhsa_system_sgpr_workgroup_id_y 0
		.amdhsa_system_sgpr_workgroup_id_z 1
		.amdhsa_system_sgpr_workgroup_info 0
		.amdhsa_system_vgpr_workitem_id 1
		.amdhsa_next_free_vgpr 25
		.amdhsa_next_free_sgpr 21
		.amdhsa_named_barrier_count 0
		.amdhsa_reserve_vcc 1
		.amdhsa_float_round_mode_32 0
		.amdhsa_float_round_mode_16_64 0
		.amdhsa_float_denorm_mode_32 3
		.amdhsa_float_denorm_mode_16_64 3
		.amdhsa_fp16_overflow 0
		.amdhsa_memory_ordered 1
		.amdhsa_forward_progress 1
		.amdhsa_inst_pref_size 9
		.amdhsa_round_robin_scheduling 0
		.amdhsa_exception_fp_ieee_invalid_op 0
		.amdhsa_exception_fp_denorm_src 0
		.amdhsa_exception_fp_ieee_div_zero 0
		.amdhsa_exception_fp_ieee_overflow 0
		.amdhsa_exception_fp_ieee_underflow 0
		.amdhsa_exception_fp_ieee_inexact 0
		.amdhsa_exception_int_div_zero 0
	.end_amdhsa_kernel
	.section	.text._ZL9moe_vec_qIN3c108BFloat16ELi32ELi8E10block_q8_0Li2EXadL_ZL17vec_dot_q8_0_q8_1PKvPK10block_q8_1RKiEEEvS4_S4_PT_PS8_iiii,"axG",@progbits,_ZL9moe_vec_qIN3c108BFloat16ELi32ELi8E10block_q8_0Li2EXadL_ZL17vec_dot_q8_0_q8_1PKvPK10block_q8_1RKiEEEvS4_S4_PT_PS8_iiii,comdat
.Lfunc_end279:
	.size	_ZL9moe_vec_qIN3c108BFloat16ELi32ELi8E10block_q8_0Li2EXadL_ZL17vec_dot_q8_0_q8_1PKvPK10block_q8_1RKiEEEvS4_S4_PT_PS8_iiii, .Lfunc_end279-_ZL9moe_vec_qIN3c108BFloat16ELi32ELi8E10block_q8_0Li2EXadL_ZL17vec_dot_q8_0_q8_1PKvPK10block_q8_1RKiEEEvS4_S4_PT_PS8_iiii
                                        ; -- End function
	.set _ZL9moe_vec_qIN3c108BFloat16ELi32ELi8E10block_q8_0Li2EXadL_ZL17vec_dot_q8_0_q8_1PKvPK10block_q8_1RKiEEEvS4_S4_PT_PS8_iiii.num_vgpr, 25
	.set _ZL9moe_vec_qIN3c108BFloat16ELi32ELi8E10block_q8_0Li2EXadL_ZL17vec_dot_q8_0_q8_1PKvPK10block_q8_1RKiEEEvS4_S4_PT_PS8_iiii.num_agpr, 0
	.set _ZL9moe_vec_qIN3c108BFloat16ELi32ELi8E10block_q8_0Li2EXadL_ZL17vec_dot_q8_0_q8_1PKvPK10block_q8_1RKiEEEvS4_S4_PT_PS8_iiii.numbered_sgpr, 21
	.set _ZL9moe_vec_qIN3c108BFloat16ELi32ELi8E10block_q8_0Li2EXadL_ZL17vec_dot_q8_0_q8_1PKvPK10block_q8_1RKiEEEvS4_S4_PT_PS8_iiii.num_named_barrier, 0
	.set _ZL9moe_vec_qIN3c108BFloat16ELi32ELi8E10block_q8_0Li2EXadL_ZL17vec_dot_q8_0_q8_1PKvPK10block_q8_1RKiEEEvS4_S4_PT_PS8_iiii.private_seg_size, 0
	.set _ZL9moe_vec_qIN3c108BFloat16ELi32ELi8E10block_q8_0Li2EXadL_ZL17vec_dot_q8_0_q8_1PKvPK10block_q8_1RKiEEEvS4_S4_PT_PS8_iiii.uses_vcc, 1
	.set _ZL9moe_vec_qIN3c108BFloat16ELi32ELi8E10block_q8_0Li2EXadL_ZL17vec_dot_q8_0_q8_1PKvPK10block_q8_1RKiEEEvS4_S4_PT_PS8_iiii.uses_flat_scratch, 0
	.set _ZL9moe_vec_qIN3c108BFloat16ELi32ELi8E10block_q8_0Li2EXadL_ZL17vec_dot_q8_0_q8_1PKvPK10block_q8_1RKiEEEvS4_S4_PT_PS8_iiii.has_dyn_sized_stack, 0
	.set _ZL9moe_vec_qIN3c108BFloat16ELi32ELi8E10block_q8_0Li2EXadL_ZL17vec_dot_q8_0_q8_1PKvPK10block_q8_1RKiEEEvS4_S4_PT_PS8_iiii.has_recursion, 0
	.set _ZL9moe_vec_qIN3c108BFloat16ELi32ELi8E10block_q8_0Li2EXadL_ZL17vec_dot_q8_0_q8_1PKvPK10block_q8_1RKiEEEvS4_S4_PT_PS8_iiii.has_indirect_call, 0
	.section	.AMDGPU.csdata,"",@progbits
; Kernel info:
; codeLenInByte = 1064
; TotalNumSgprs: 23
; NumVgprs: 25
; ScratchSize: 0
; MemoryBound: 0
; FloatMode: 240
; IeeeMode: 1
; LDSByteSize: 0 bytes/workgroup (compile time only)
; SGPRBlocks: 0
; VGPRBlocks: 1
; NumSGPRsForWavesPerEU: 23
; NumVGPRsForWavesPerEU: 25
; NamedBarCnt: 0
; Occupancy: 16
; WaveLimiterHint : 1
; COMPUTE_PGM_RSRC2:SCRATCH_EN: 0
; COMPUTE_PGM_RSRC2:USER_SGPR: 2
; COMPUTE_PGM_RSRC2:TRAP_HANDLER: 0
; COMPUTE_PGM_RSRC2:TGID_X_EN: 1
; COMPUTE_PGM_RSRC2:TGID_Y_EN: 0
; COMPUTE_PGM_RSRC2:TGID_Z_EN: 1
; COMPUTE_PGM_RSRC2:TIDIG_COMP_CNT: 1
	.section	.text._ZL9moe_vec_qIN3c108BFloat16ELi256ELi16E10block_q2_KLi1EXadL_ZL17vec_dot_q2_K_q8_1PKvPK10block_q8_1RKiEEEvS4_S4_PT_PS8_iiii,"axG",@progbits,_ZL9moe_vec_qIN3c108BFloat16ELi256ELi16E10block_q2_KLi1EXadL_ZL17vec_dot_q2_K_q8_1PKvPK10block_q8_1RKiEEEvS4_S4_PT_PS8_iiii,comdat
	.globl	_ZL9moe_vec_qIN3c108BFloat16ELi256ELi16E10block_q2_KLi1EXadL_ZL17vec_dot_q2_K_q8_1PKvPK10block_q8_1RKiEEEvS4_S4_PT_PS8_iiii ; -- Begin function _ZL9moe_vec_qIN3c108BFloat16ELi256ELi16E10block_q2_KLi1EXadL_ZL17vec_dot_q2_K_q8_1PKvPK10block_q8_1RKiEEEvS4_S4_PT_PS8_iiii
	.p2align	8
	.type	_ZL9moe_vec_qIN3c108BFloat16ELi256ELi16E10block_q2_KLi1EXadL_ZL17vec_dot_q2_K_q8_1PKvPK10block_q8_1RKiEEEvS4_S4_PT_PS8_iiii,@function
_ZL9moe_vec_qIN3c108BFloat16ELi256ELi16E10block_q2_KLi1EXadL_ZL17vec_dot_q2_K_q8_1PKvPK10block_q8_1RKiEEEvS4_S4_PT_PS8_iiii: ; @_ZL9moe_vec_qIN3c108BFloat16ELi256ELi16E10block_q2_KLi1EXadL_ZL17vec_dot_q2_K_q8_1PKvPK10block_q8_1RKiEEEvS4_S4_PT_PS8_iiii
; %bb.0:
	s_clause 0x1
	s_load_u16 s3, s[0:1], 0x3e
	s_load_b128 s[4:7], s[0:1], 0x20
	s_bfe_u32 s2, ttmp6, 0x4000c
	s_and_b32 s8, ttmp6, 15
	s_add_co_i32 s2, s2, 1
	v_bfe_u32 v1, v0, 10, 10
	s_mul_i32 s2, ttmp9, s2
	s_delay_alu instid0(SALU_CYCLE_1) | instskip(SKIP_1) | instid1(SALU_CYCLE_1)
	s_add_co_i32 s8, s8, s2
	s_getreg_b32 s2, hwreg(HW_REG_IB_STS2, 6, 4)
	s_cmp_eq_u32 s2, 0
	s_cselect_b32 s8, ttmp9, s8
	s_wait_kmcnt 0x0
	v_mad_u32 v12, s8, s3, v1
	s_mov_b32 s3, exec_lo
	s_delay_alu instid0(VALU_DEP_1)
	v_cmpx_gt_u32_e64 s6, v12
	s_cbranch_execz .LBB280_7
; %bb.1:
	s_load_b64 s[8:9], s[0:1], 0x10
	s_bfe_u32 s3, ttmp6, 0x40014
	s_lshr_b32 s10, ttmp7, 16
	s_add_co_i32 s3, s3, 1
	s_bfe_u32 s11, ttmp6, 0x40008
	s_mul_i32 s3, s10, s3
	v_bfe_u32 v14, v0, 4, 6
	s_add_co_i32 s11, s11, s3
	s_cmp_eq_u32 s2, 0
	v_and_b32_e32 v13, 0x3ff, v0
	s_cselect_b32 s10, s10, s11
	s_ashr_i32 s2, s5, 31
	v_mov_b32_e32 v16, 0
	s_lshr_b32 s2, s2, 24
	s_mov_b32 s11, exec_lo
	s_add_co_i32 s2, s5, s2
	s_delay_alu instid0(SALU_CYCLE_1) | instskip(NEXT) | instid1(SALU_CYCLE_1)
	s_ashr_i32 s12, s2, 8
	v_cmpx_gt_u32_e64 s12, v14
	s_cbranch_execz .LBB280_5
; %bb.2:
	s_load_b64 s[2:3], s[0:1], 0x18
	s_cvt_f32_u32 s5, s4
	s_mul_i32 s15, s12, s6
	v_mul_lo_u32 v15, v12, s12
	v_lshlrev_b32_e32 v17, 3, v14
	v_rcp_iflag_f32_e32 v0, s5
	v_lshrrev_b32_e32 v2, 1, v13
	s_delay_alu instid0(TRANS32_DEP_1) | instskip(SKIP_1) | instid1(VALU_DEP_1)
	v_readfirstlane_b32 s5, v0
	v_and_b32_e32 v0, 15, v13
	v_sub_co_u32 v1, vcc_lo, v0, 8
	s_wait_kmcnt 0x0
	s_load_b32 s13, s[2:3], s10 offset:0x0 scale_offset
	s_wait_xcnt 0x0
	s_mul_f32 s2, s5, 0x4f7ffffe
	s_sub_co_i32 s5, 0, s4
	v_dual_cndmask_b32 v6, v1, v0 :: v_dual_mov_b32 v1, 0
	s_delay_alu instid0(SALU_CYCLE_1) | instskip(SKIP_2) | instid1(VALU_DEP_2)
	s_cvt_u32_f32 s14, s2
	s_load_b128 s[0:3], s[0:1], 0x0
	v_and_b32_e32 v3, 4, v2
	v_dual_sub_nc_u32 v2, v0, v6 :: v_dual_lshlrev_b32 v0, 2, v0
	s_mul_i32 s16, s5, s14
	s_mov_b32 s5, 0
	s_mul_hi_u32 s16, s14, s16
	v_cmp_lt_u32_e32 vcc_lo, 3, v6
	s_add_co_i32 s14, s14, s16
	v_mov_b32_e32 v7, v1
	s_mul_hi_u32 s16, s10, s14
	v_mov_b32_e32 v16, v1
	s_mul_i32 s14, s16, s4
	s_add_co_i32 s17, s16, 1
	s_sub_co_i32 s18, s10, s14
	s_wait_kmcnt 0x0
	s_mul_i32 s14, s15, s13
	s_sub_co_i32 s13, s18, s4
	s_ashr_i32 s15, s14, 31
	s_cmp_ge_u32 s18, s4
	v_add_co_ci_u32_e64 v2, null, 0, v2, vcc_lo
	s_cselect_b32 s16, s17, s16
	s_cselect_b32 s13, s13, s18
	s_add_co_i32 s17, s16, 1
	s_cmp_ge_u32 s13, s4
	v_lshlrev_b64_e32 v[6:7], 2, v[6:7]
	s_cselect_b32 s4, s17, s16
	s_delay_alu instid0(SALU_CYCLE_1) | instskip(NEXT) | instid1(SALU_CYCLE_1)
	s_mul_i32 s4, s4, s7
	s_lshl_b64 s[16:17], s[4:5], 2
	s_delay_alu instid0(SALU_CYCLE_1) | instskip(NEXT) | instid1(SALU_CYCLE_1)
	s_add_nc_u64 s[2:3], s[2:3], s[16:17]
	v_mad_nc_u64_u32 v[4:5], v3, 36, s[2:3]
	v_ashrrev_i32_e32 v3, 31, v2
	s_mul_u64 s[2:3], s[14:15], 0x54
	s_delay_alu instid0(SALU_CYCLE_1)
	s_add_nc_u64 s[0:1], s[0:1], s[2:3]
.LBB280_3:                              ; =>This Inner Loop Header: Depth=1
	v_add_nc_u32_e32 v10, v15, v14
	s_delay_alu instid0(VALU_DEP_3)
	v_mad_nc_i64_i32 v[8:9], v17, 36, v[4:5]
	s_clause 0x2
	global_load_b32 v24, v[8:9], off
	global_load_b32 v25, v[8:9], off offset:36
	global_load_b32 v26, v[8:9], off offset:72
	v_mad_nc_i64_i32 v[10:11], 0x54, v10, s[0:1]
	v_add_nc_u64_e32 v[18:19], v[8:9], v[6:7]
	s_delay_alu instid0(VALU_DEP_2)
	v_add_nc_u64_e32 v[20:21], v[10:11], v[0:1]
	v_add_nc_u64_e32 v[22:23], v[10:11], v[2:3]
	s_clause 0x3
	global_load_b32 v27, v[18:19], off offset:4
	global_load_b32 v28, v[18:19], off offset:40
	;; [unrolled: 1-line block ×4, first 2 shown]
	s_clause 0x4
	global_load_b32 v31, v[20:21], off offset:16
	global_load_u8 v32, v[22:23], off
	global_load_u8 v33, v[22:23], off offset:2
	global_load_u8 v34, v[22:23], off offset:4
	global_load_u8 v35, v[22:23], off offset:6
	global_load_b32 v36, v[8:9], off offset:108
	global_load_b32 v37, v[10:11], off offset:80
	s_wait_loadcnt 0xd
	s_wait_xcnt 0x0
	v_cvt_f32_f16_e32 v10, v24
	s_wait_loadcnt 0xc
	v_cvt_f32_f16_e32 v11, v25
	s_wait_loadcnt 0xb
	;; [unrolled: 2-line block ×3, first 2 shown]
	v_lshrrev_b16 v18, 8, v27
	s_wait_loadcnt 0x8
	v_dual_ashrrev_i32 v26, 24, v28 :: v_dual_lshlrev_b32 v38, 16, v29
	s_wait_loadcnt 0x7
	v_dual_lshlrev_b32 v39, 16, v30 :: v_dual_lshlrev_b32 v42, 8, v29
	s_wait_loadcnt 0x5
	v_lshrrev_b16 v46, 4, v32
	v_dual_lshlrev_b32 v22, 8, v28 :: v_dual_lshlrev_b32 v23, 16, v28
	v_bfe_i32 v21, v27, 0, 8
	s_wait_loadcnt 0x1
	v_cvt_f32_f16_e32 v9, v36
	v_and_b32_e32 v46, 0xffff, v46
	v_bfe_i32 v36, v29, 0, 8
	v_bfe_i32 v41, v29, 8, 8
	;; [unrolled: 1-line block ×3, first 2 shown]
	v_dual_ashrrev_i32 v29, 24, v29 :: v_dual_bitop2_b32 v48, 3, v31 bitop3:0x40
	v_mul_lo_u32 v46, 0x1010101, v46
	v_and_b32_e32 v55, 15, v33
	v_lshrrev_b16 v33, 4, v33
	v_perm_b32 v38, v42, v38, 0xc0c0703
	v_and_b32_e32 v42, 15, v35
	v_lshrrev_b16 v35, 4, v35
	v_ashrrev_i32_e32 v19, 24, v27
	v_and_b32_e32 v33, 0xffff, v33
	v_bfe_i32 v20, v27, 16, 8
	v_bfe_i32 v24, v28, 8, 8
	;; [unrolled: 1-line block ×6, first 2 shown]
	v_lshlrev_b32_e32 v43, 8, v30
	v_bfe_i32 v44, v30, 16, 8
	v_ashrrev_i32_e32 v30, 24, v30
	v_bfe_u32 v47, v31, 2, 2
	v_bfe_u32 v49, v31, 10, 2
	;; [unrolled: 1-line block ×7, first 2 shown]
	v_dual_lshrrev_b32 v59, 30, v31 :: v_dual_bitop2_b32 v32, 15, v32 bitop3:0x40
	v_perm_b32 v22, v22, v23, 0xc0c0703
	v_bfe_u32 v23, v31, 6, 2
	v_bfe_u32 v56, v31, 4, 2
	v_bfe_u32 v57, v31, 14, 2
	v_bfe_u32 v58, v31, 12, 2
	v_bfe_u32 v60, v31, 28, 2
	v_bfe_u32 v61, v31, 22, 2
	v_bfe_u32 v31, v31, 20, 2
	v_bfe_i32 v18, v18, 0, 8
	v_mul_i32_i24_e32 v48, v21, v48
	v_and_b32_e32 v35, 0xffff, v35
	v_mul_lo_u32 v33, 0x1010101, v33
	v_mul_i32_i24_e32 v47, v25, v47
	v_mul_i32_i24_e32 v27, v27, v53
	;; [unrolled: 1-line block ×5, first 2 shown]
	v_perm_b32 v39, v43, v39, 0xc0c0703
	v_and_b32_e32 v43, 15, v34
	v_lshrrev_b16 v34, 4, v34
	v_mul_i32_i24_e32 v54, v20, v54
	v_mul_i32_i24_e32 v52, v19, v52
	v_mad_i32_i24 v48, v18, v50, v48
	v_mul_lo_u32 v35, 0x1010101, v35
	v_mul_i32_i24_e32 v51, v26, v51
	v_mul_i32_i24_e32 v41, v41, v58
	;; [unrolled: 1-line block ×4, first 2 shown]
	v_mad_i32_i24 v24, v24, v49, v47
	v_mad_i32_i24 v45, v36, v56, v45
	;; [unrolled: 1-line block ×3, first 2 shown]
	v_and_b32_e32 v32, 0xffff, v32
	v_and_b32_e32 v34, 0xffff, v34
	v_add3_u32 v47, v48, v54, v52
	v_add3_u32 v24, v24, v27, v51
	;; [unrolled: 1-line block ×4, first 2 shown]
	v_lshrrev_b32_e32 v44, 24, v33
	v_and_b32_e32 v43, 0xffff, v43
	v_mul_lo_u32 v34, 0x1010101, v34
	v_mul_lo_u32 v31, v47, v32
	v_lshrrev_b32_e32 v32, 24, v46
	v_and_b32_e32 v55, 0xffff, v55
	v_mul_lo_u32 v27, v27, v43
	v_lshrrev_b16 v40, 8, v46
	v_bfe_i32 v43, v33, 0, 8
	v_lshrrev_b32_e32 v47, 24, v35
	v_and_b32_e32 v42, 0xffff, v42
	v_mul_lo_u32 v24, v24, v55
	v_bfe_i32 v41, v46, 16, 8
	v_perm_b32 v33, v33, v33, 0xc0c0201
	v_bfe_i32 v45, v35, 0, 8
	v_mul_lo_u32 v23, v23, v42
	v_bfe_i32 v42, v46, 0, 8
	v_bfe_i32 v40, v40, 0, 8
	v_mul_i32_i24_e32 v25, v25, v43
	v_mul_i32_i24_e32 v19, v32, v19
	v_bfe_i32 v46, v34, 0, 8
	v_perm_b32 v35, v35, v35, 0xc0c0201
	v_mul_i32_i24_e32 v21, v42, v21
	v_mul_i32_i24_e32 v20, v41, v20
	v_dot4_i32_iu8 v22, v22, v33, v25 neg_lo:[1,1,0]
	v_mad_i32_i24 v18, v40, v18, v19
	v_mul_i32_i24_e32 v28, v28, v45
	v_perm_b32 v32, v34, v34, 0xc0c0201
	v_mul_i32_i24_e32 v25, v36, v46
	v_cvt_f32_i32_e32 v19, v24
	v_mad_i32_i24 v22, v26, v44, v22
	v_add3_u32 v20, v21, v20, v18
	v_cvt_f32_i32_e32 v18, v31
	v_dot4_i32_iu8 v24, v39, v35, v28 neg_lo:[1,1,0]
	v_dot4_i32_iu8 v25, v38, v32, v25 neg_lo:[1,1,0]
	v_cvt_f32_i32_e32 v21, v22
	v_cvt_f32_i32_e32 v20, v20
	v_pk_mul_f32 v[18:19], v[10:11], v[18:19]
	v_lshrrev_b32_e32 v48, 24, v34
	v_mad_i32_i24 v24, v30, v47, v24
	v_cvt_f32_i32_e32 v23, v23
	v_pk_mul_f32 v[10:11], v[10:11], v[20:21]
	v_cvt_f32_i32_e32 v22, v27
	s_delay_alu instid0(VALU_DEP_4) | instskip(SKIP_2) | instid1(VALU_DEP_4)
	v_cvt_f32_i32_e32 v21, v24
	v_mov_b32_e32 v24, v18
	v_mad_i32_i24 v25, v29, v48, v25
	v_pk_mul_f32 v[22:23], v[8:9], v[22:23]
	s_delay_alu instid0(VALU_DEP_2) | instskip(SKIP_1) | instid1(VALU_DEP_2)
	v_cvt_f32_i32_e32 v20, v25
	v_dual_mov_b32 v25, v10 :: v_dual_mov_b32 v10, v19
	v_pk_mul_f32 v[8:9], v[8:9], v[20:21]
	s_delay_alu instid0(VALU_DEP_2) | instskip(NEXT) | instid1(VALU_DEP_2)
	v_pk_add_f32 v[18:19], v[24:25], 0 op_sel_hi:[1,0]
	v_dual_mov_b32 v20, v22 :: v_dual_mov_b32 v21, v8
	s_delay_alu instid0(VALU_DEP_2) | instskip(SKIP_3) | instid1(VALU_DEP_3)
	v_pk_add_f32 v[10:11], v[18:19], v[10:11]
	s_wait_loadcnt 0x0
	v_dual_mov_b32 v8, v23 :: v_dual_lshrrev_b32 v19, 16, v37
	v_cvt_f32_f16_e32 v18, v37
	v_pk_add_f32 v[10:11], v[10:11], v[20:21]
	s_delay_alu instid0(VALU_DEP_3) | instskip(NEXT) | instid1(VALU_DEP_2)
	v_cvt_f32_f16_e32 v19, v19
	v_pk_add_f32 v[8:9], v[10:11], v[8:9]
	s_delay_alu instid0(VALU_DEP_1) | instskip(NEXT) | instid1(VALU_DEP_1)
	v_pk_mul_f32 v[8:9], v[8:9], v[18:19]
	v_dual_add_nc_u32 v14, 2, v14 :: v_dual_sub_f32 v8, v8, v9
	s_delay_alu instid0(VALU_DEP_1) | instskip(NEXT) | instid1(VALU_DEP_2)
	v_cmp_le_u32_e32 vcc_lo, s12, v14
	v_dual_add_f32 v16, v16, v8 :: v_dual_add_nc_u32 v17, 16, v17
	s_or_b32 s5, vcc_lo, s5
	s_delay_alu instid0(SALU_CYCLE_1)
	s_and_not1_b32 exec_lo, exec_lo, s5
	s_cbranch_execnz .LBB280_3
; %bb.4:
	s_or_b32 exec_lo, exec_lo, s5
.LBB280_5:
	s_delay_alu instid0(SALU_CYCLE_1) | instskip(SKIP_1) | instid1(VALU_DEP_1)
	s_or_b32 exec_lo, exec_lo, s11
	v_mbcnt_lo_u32_b32 v0, -1, 0
	v_xor_b32_e32 v2, 8, v0
	v_xor_b32_e32 v1, 16, v0
	;; [unrolled: 1-line block ×3, first 2 shown]
	s_delay_alu instid0(VALU_DEP_2) | instskip(SKIP_4) | instid1(VALU_DEP_2)
	v_cmp_gt_i32_e32 vcc_lo, 32, v1
	v_cndmask_b32_e32 v1, v0, v1, vcc_lo
	v_cmp_gt_i32_e32 vcc_lo, 32, v2
	v_cndmask_b32_e32 v2, v0, v2, vcc_lo
	v_cmp_gt_i32_e32 vcc_lo, 32, v3
	v_dual_lshlrev_b32 v2, 2, v2 :: v_dual_lshlrev_b32 v1, 2, v1
	ds_bpermute_b32 v1, v1, v16
	s_wait_dscnt 0x0
	v_add_f32_e32 v1, v16, v1
	ds_bpermute_b32 v2, v2, v1
	s_wait_dscnt 0x0
	v_dual_cndmask_b32 v3, v0, v3, vcc_lo :: v_dual_add_f32 v1, v1, v2
	s_delay_alu instid0(VALU_DEP_1) | instskip(SKIP_3) | instid1(VALU_DEP_1)
	v_lshlrev_b32_e32 v3, 2, v3
	ds_bpermute_b32 v2, v3, v1
	s_wait_dscnt 0x0
	v_dual_add_f32 v1, v1, v2 :: v_dual_bitop2_b32 v3, 2, v0 bitop3:0x14
	v_cmp_gt_i32_e32 vcc_lo, 32, v3
	v_cndmask_b32_e32 v3, v0, v3, vcc_lo
	s_delay_alu instid0(VALU_DEP_1) | instskip(SKIP_2) | instid1(VALU_DEP_1)
	v_lshlrev_b32_e32 v3, 2, v3
	ds_bpermute_b32 v2, v3, v1
	v_xor_b32_e32 v3, 1, v0
	v_cmp_gt_i32_e32 vcc_lo, 32, v3
	v_cndmask_b32_e32 v3, v0, v3, vcc_lo
	v_cmp_eq_u32_e32 vcc_lo, 0, v13
	s_wait_dscnt 0x0
	s_delay_alu instid0(VALU_DEP_2)
	v_dual_add_f32 v0, v1, v2 :: v_dual_lshlrev_b32 v1, 2, v3
	ds_bpermute_b32 v1, v1, v0
	s_and_b32 exec_lo, exec_lo, vcc_lo
	s_cbranch_execz .LBB280_7
; %bb.6:
	s_wait_dscnt 0x0
	v_add_f32_e32 v0, v0, v1
	v_mad_u32 v2, s6, s10, v12
	s_delay_alu instid0(VALU_DEP_2) | instskip(NEXT) | instid1(VALU_DEP_1)
	v_bfe_u32 v1, v0, 16, 1
	v_add3_u32 v1, v0, v1, 0x7fff
	s_delay_alu instid0(VALU_DEP_1) | instskip(SKIP_1) | instid1(VALU_DEP_2)
	v_lshrrev_b32_e32 v1, 16, v1
	v_cmp_o_f32_e32 vcc_lo, v0, v0
	v_cndmask_b32_e32 v0, 0x7fc0, v1, vcc_lo
	s_wait_kmcnt 0x0
	global_store_b16 v2, v0, s[8:9] scale_offset
.LBB280_7:
	s_endpgm
	.section	.rodata,"a",@progbits
	.p2align	6, 0x0
	.amdhsa_kernel _ZL9moe_vec_qIN3c108BFloat16ELi256ELi16E10block_q2_KLi1EXadL_ZL17vec_dot_q2_K_q8_1PKvPK10block_q8_1RKiEEEvS4_S4_PT_PS8_iiii
		.amdhsa_group_segment_fixed_size 0
		.amdhsa_private_segment_fixed_size 0
		.amdhsa_kernarg_size 304
		.amdhsa_user_sgpr_count 2
		.amdhsa_user_sgpr_dispatch_ptr 0
		.amdhsa_user_sgpr_queue_ptr 0
		.amdhsa_user_sgpr_kernarg_segment_ptr 1
		.amdhsa_user_sgpr_dispatch_id 0
		.amdhsa_user_sgpr_kernarg_preload_length 0
		.amdhsa_user_sgpr_kernarg_preload_offset 0
		.amdhsa_user_sgpr_private_segment_size 0
		.amdhsa_wavefront_size32 1
		.amdhsa_uses_dynamic_stack 0
		.amdhsa_enable_private_segment 0
		.amdhsa_system_sgpr_workgroup_id_x 1
		.amdhsa_system_sgpr_workgroup_id_y 0
		.amdhsa_system_sgpr_workgroup_id_z 1
		.amdhsa_system_sgpr_workgroup_info 0
		.amdhsa_system_vgpr_workitem_id 1
		.amdhsa_next_free_vgpr 62
		.amdhsa_next_free_sgpr 19
		.amdhsa_named_barrier_count 0
		.amdhsa_reserve_vcc 1
		.amdhsa_float_round_mode_32 0
		.amdhsa_float_round_mode_16_64 0
		.amdhsa_float_denorm_mode_32 3
		.amdhsa_float_denorm_mode_16_64 3
		.amdhsa_fp16_overflow 0
		.amdhsa_memory_ordered 1
		.amdhsa_forward_progress 1
		.amdhsa_inst_pref_size 17
		.amdhsa_round_robin_scheduling 0
		.amdhsa_exception_fp_ieee_invalid_op 0
		.amdhsa_exception_fp_denorm_src 0
		.amdhsa_exception_fp_ieee_div_zero 0
		.amdhsa_exception_fp_ieee_overflow 0
		.amdhsa_exception_fp_ieee_underflow 0
		.amdhsa_exception_fp_ieee_inexact 0
		.amdhsa_exception_int_div_zero 0
	.end_amdhsa_kernel
	.section	.text._ZL9moe_vec_qIN3c108BFloat16ELi256ELi16E10block_q2_KLi1EXadL_ZL17vec_dot_q2_K_q8_1PKvPK10block_q8_1RKiEEEvS4_S4_PT_PS8_iiii,"axG",@progbits,_ZL9moe_vec_qIN3c108BFloat16ELi256ELi16E10block_q2_KLi1EXadL_ZL17vec_dot_q2_K_q8_1PKvPK10block_q8_1RKiEEEvS4_S4_PT_PS8_iiii,comdat
.Lfunc_end280:
	.size	_ZL9moe_vec_qIN3c108BFloat16ELi256ELi16E10block_q2_KLi1EXadL_ZL17vec_dot_q2_K_q8_1PKvPK10block_q8_1RKiEEEvS4_S4_PT_PS8_iiii, .Lfunc_end280-_ZL9moe_vec_qIN3c108BFloat16ELi256ELi16E10block_q2_KLi1EXadL_ZL17vec_dot_q2_K_q8_1PKvPK10block_q8_1RKiEEEvS4_S4_PT_PS8_iiii
                                        ; -- End function
	.set _ZL9moe_vec_qIN3c108BFloat16ELi256ELi16E10block_q2_KLi1EXadL_ZL17vec_dot_q2_K_q8_1PKvPK10block_q8_1RKiEEEvS4_S4_PT_PS8_iiii.num_vgpr, 62
	.set _ZL9moe_vec_qIN3c108BFloat16ELi256ELi16E10block_q2_KLi1EXadL_ZL17vec_dot_q2_K_q8_1PKvPK10block_q8_1RKiEEEvS4_S4_PT_PS8_iiii.num_agpr, 0
	.set _ZL9moe_vec_qIN3c108BFloat16ELi256ELi16E10block_q2_KLi1EXadL_ZL17vec_dot_q2_K_q8_1PKvPK10block_q8_1RKiEEEvS4_S4_PT_PS8_iiii.numbered_sgpr, 19
	.set _ZL9moe_vec_qIN3c108BFloat16ELi256ELi16E10block_q2_KLi1EXadL_ZL17vec_dot_q2_K_q8_1PKvPK10block_q8_1RKiEEEvS4_S4_PT_PS8_iiii.num_named_barrier, 0
	.set _ZL9moe_vec_qIN3c108BFloat16ELi256ELi16E10block_q2_KLi1EXadL_ZL17vec_dot_q2_K_q8_1PKvPK10block_q8_1RKiEEEvS4_S4_PT_PS8_iiii.private_seg_size, 0
	.set _ZL9moe_vec_qIN3c108BFloat16ELi256ELi16E10block_q2_KLi1EXadL_ZL17vec_dot_q2_K_q8_1PKvPK10block_q8_1RKiEEEvS4_S4_PT_PS8_iiii.uses_vcc, 1
	.set _ZL9moe_vec_qIN3c108BFloat16ELi256ELi16E10block_q2_KLi1EXadL_ZL17vec_dot_q2_K_q8_1PKvPK10block_q8_1RKiEEEvS4_S4_PT_PS8_iiii.uses_flat_scratch, 0
	.set _ZL9moe_vec_qIN3c108BFloat16ELi256ELi16E10block_q2_KLi1EXadL_ZL17vec_dot_q2_K_q8_1PKvPK10block_q8_1RKiEEEvS4_S4_PT_PS8_iiii.has_dyn_sized_stack, 0
	.set _ZL9moe_vec_qIN3c108BFloat16ELi256ELi16E10block_q2_KLi1EXadL_ZL17vec_dot_q2_K_q8_1PKvPK10block_q8_1RKiEEEvS4_S4_PT_PS8_iiii.has_recursion, 0
	.set _ZL9moe_vec_qIN3c108BFloat16ELi256ELi16E10block_q2_KLi1EXadL_ZL17vec_dot_q2_K_q8_1PKvPK10block_q8_1RKiEEEvS4_S4_PT_PS8_iiii.has_indirect_call, 0
	.section	.AMDGPU.csdata,"",@progbits
; Kernel info:
; codeLenInByte = 2072
; TotalNumSgprs: 21
; NumVgprs: 62
; ScratchSize: 0
; MemoryBound: 0
; FloatMode: 240
; IeeeMode: 1
; LDSByteSize: 0 bytes/workgroup (compile time only)
; SGPRBlocks: 0
; VGPRBlocks: 3
; NumSGPRsForWavesPerEU: 21
; NumVGPRsForWavesPerEU: 62
; NamedBarCnt: 0
; Occupancy: 16
; WaveLimiterHint : 1
; COMPUTE_PGM_RSRC2:SCRATCH_EN: 0
; COMPUTE_PGM_RSRC2:USER_SGPR: 2
; COMPUTE_PGM_RSRC2:TRAP_HANDLER: 0
; COMPUTE_PGM_RSRC2:TGID_X_EN: 1
; COMPUTE_PGM_RSRC2:TGID_Y_EN: 0
; COMPUTE_PGM_RSRC2:TGID_Z_EN: 1
; COMPUTE_PGM_RSRC2:TIDIG_COMP_CNT: 1
	.section	.text._ZL9moe_vec_qIN3c108BFloat16ELi256ELi16E10block_q3_KLi1EXadL_ZL17vec_dot_q3_K_q8_1PKvPK10block_q8_1RKiEEEvS4_S4_PT_PS8_iiii,"axG",@progbits,_ZL9moe_vec_qIN3c108BFloat16ELi256ELi16E10block_q3_KLi1EXadL_ZL17vec_dot_q3_K_q8_1PKvPK10block_q8_1RKiEEEvS4_S4_PT_PS8_iiii,comdat
	.globl	_ZL9moe_vec_qIN3c108BFloat16ELi256ELi16E10block_q3_KLi1EXadL_ZL17vec_dot_q3_K_q8_1PKvPK10block_q8_1RKiEEEvS4_S4_PT_PS8_iiii ; -- Begin function _ZL9moe_vec_qIN3c108BFloat16ELi256ELi16E10block_q3_KLi1EXadL_ZL17vec_dot_q3_K_q8_1PKvPK10block_q8_1RKiEEEvS4_S4_PT_PS8_iiii
	.p2align	8
	.type	_ZL9moe_vec_qIN3c108BFloat16ELi256ELi16E10block_q3_KLi1EXadL_ZL17vec_dot_q3_K_q8_1PKvPK10block_q8_1RKiEEEvS4_S4_PT_PS8_iiii,@function
_ZL9moe_vec_qIN3c108BFloat16ELi256ELi16E10block_q3_KLi1EXadL_ZL17vec_dot_q3_K_q8_1PKvPK10block_q8_1RKiEEEvS4_S4_PT_PS8_iiii: ; @_ZL9moe_vec_qIN3c108BFloat16ELi256ELi16E10block_q3_KLi1EXadL_ZL17vec_dot_q3_K_q8_1PKvPK10block_q8_1RKiEEEvS4_S4_PT_PS8_iiii
; %bb.0:
	s_clause 0x1
	s_load_u16 s3, s[0:1], 0x3e
	s_load_b128 s[4:7], s[0:1], 0x20
	s_bfe_u32 s2, ttmp6, 0x4000c
	s_and_b32 s8, ttmp6, 15
	s_add_co_i32 s2, s2, 1
	v_bfe_u32 v1, v0, 10, 10
	s_mul_i32 s2, ttmp9, s2
	s_delay_alu instid0(SALU_CYCLE_1) | instskip(SKIP_1) | instid1(SALU_CYCLE_1)
	s_add_co_i32 s8, s8, s2
	s_getreg_b32 s2, hwreg(HW_REG_IB_STS2, 6, 4)
	s_cmp_eq_u32 s2, 0
	s_cselect_b32 s8, ttmp9, s8
	s_wait_kmcnt 0x0
	v_mad_u32 v32, s8, s3, v1
	s_mov_b32 s3, exec_lo
	s_delay_alu instid0(VALU_DEP_1)
	v_cmpx_gt_u32_e64 s6, v32
	s_cbranch_execz .LBB281_7
; %bb.1:
	s_load_b64 s[8:9], s[0:1], 0x10
	s_bfe_u32 s3, ttmp6, 0x40014
	s_lshr_b32 s10, ttmp7, 16
	s_add_co_i32 s3, s3, 1
	s_bfe_u32 s11, ttmp6, 0x40008
	s_mul_i32 s3, s10, s3
	v_bfe_u32 v34, v0, 4, 6
	s_add_co_i32 s11, s11, s3
	s_cmp_eq_u32 s2, 0
	v_and_b32_e32 v33, 0x3ff, v0
	s_cselect_b32 s12, s10, s11
	s_ashr_i32 s2, s5, 31
	v_mov_b32_e32 v42, 0
	s_lshr_b32 s2, s2, 24
	s_mov_b32 s13, exec_lo
	s_add_co_i32 s2, s5, s2
	s_delay_alu instid0(SALU_CYCLE_1) | instskip(NEXT) | instid1(SALU_CYCLE_1)
	s_ashr_i32 s14, s2, 8
	v_cmpx_gt_u32_e64 s14, v34
	s_cbranch_execz .LBB281_5
; %bb.2:
	v_dual_lshrrev_b32 v4, 1, v33 :: v_dual_bitop2_b32 v0, 15, v33 bitop3:0x40
	s_cvt_f32_u32 s5, s4
	s_load_b64 s[10:11], s[0:1], 0x18
	s_sub_co_i32 s16, 0, s4
	s_delay_alu instid0(VALU_DEP_1)
	v_sub_co_u32 v2, vcc_lo, v0, 8
	v_rcp_iflag_f32_e32 v1, s5
	s_wait_xcnt 0x0
	s_load_b128 s[0:3], s[0:1], 0x0
	s_mul_i32 s15, s14, s6
	v_cndmask_b32_e32 v2, v2, v0, vcc_lo
	s_mov_b32 s5, 0
	v_mul_lo_u32 v35, v32, s14
	v_and_b32_e32 v36, 4, v4
	v_readfirstlane_b32 s17, v1
	v_dual_mov_b32 v1, 0 :: v_dual_sub_nc_u32 v3, v0, v2
	v_cmp_lt_u32_e32 vcc_lo, 3, v2
	v_lshlrev_b32_e32 v0, 2, v0
	s_mul_f32 s17, s17, 0x4f7ffffe
	s_delay_alu instid0(VALU_DEP_3)
	v_dual_lshlrev_b32 v46, 3, v34 :: v_dual_mov_b32 v42, v1
	v_add_co_ci_u32_e64 v11, null, 0, v3, vcc_lo
	s_wait_kmcnt 0x0
	s_load_b32 s10, s[10:11], s12 offset:0x0 scale_offset
	s_wait_xcnt 0x0
	s_cvt_u32_f32 s11, s17
	v_mov_b32_e32 v3, v1
	v_bfe_i32 v4, v11, 0, 8
	v_add_nc_u16 v12, v11, 2
	v_add_nc_u16 v16, v11, 4
	s_mul_i32 s16, s16, s11
	v_lshlrev_b64_e32 v[2:3], 2, v[2:3]
	v_lshrrev_b16 v4, 7, v4
	v_bfe_i32 v5, v12, 0, 8
	v_bfe_i32 v14, v16, 0, 8
	s_mul_hi_u32 s16, s11, s16
	s_delay_alu instid0(VALU_DEP_3) | instskip(NEXT) | instid1(VALU_DEP_3)
	v_and_b32_e32 v4, 0xff, v4
	v_lshrrev_b16 v5, 7, v5
	s_delay_alu instid0(VALU_DEP_3) | instskip(SKIP_1) | instid1(VALU_DEP_3)
	v_lshrrev_b16 v14, 7, v14
	s_add_co_i32 s11, s11, s16
	v_lshrrev_b16 v6, 5, v4
	v_lshrrev_b16 v4, 6, v4
	v_and_b32_e32 v9, 0xff, v5
	v_and_b32_e32 v14, 0xff, v14
	s_mul_hi_u32 s16, s12, s11
	s_wait_kmcnt 0x0
	s_mul_i32 s10, s15, s10
	v_add_nc_u16 v8, v11, v4
	v_lshrrev_b16 v13, 5, v9
	v_lshrrev_b16 v9, 6, v9
	;; [unrolled: 1-line block ×4, first 2 shown]
	v_bfe_i32 v10, v8, 0, 8
	v_add_nc_u16 v13, v12, v13
	v_and_b32_e32 v8, 0xfc, v8
	v_add_nc_u16 v17, v16, v17
	s_mul_i32 s11, s16, s4
	v_ashrrev_i16 v10, 2, v10
	v_bfe_i32 v15, v13, 0, 8
	v_sub_nc_u16 v8, v11, v8
	v_bfe_i32 v19, v17, 0, 8
	v_and_b32_e32 v17, 0xf8, v17
	v_bfe_i32 v10, v10, 0, 16
	s_sub_co_i32 s18, s12, s11
	v_bfe_i32 v8, v8, 0, 8
	s_add_co_i32 s17, s16, 1
	s_sub_co_i32 s15, s18, s4
	v_lshlrev_b32_e32 v38, 1, v10
	v_lshrrev_b16 v10, 3, v15
	v_add_nc_u16 v15, v12, v9
	v_and_b32_e32 v9, 0xf8, v13
	s_ashr_i32 s11, s10, 31
	s_cmp_ge_u32 s18, s4
	v_and_b32_e32 v10, 0xff, v10
	v_bfe_i32 v13, v15, 0, 8
	v_sub_nc_u16 v18, v12, v9
	v_and_b32_e32 v15, 0xfc, v15
	v_add_nc_u16 v6, v11, v6
	v_lshlrev_b32_e32 v39, 2, v10
	v_ashrrev_i16 v13, 2, v13
	v_bfe_i32 v10, v18, 0, 8
	v_add_nc_u16 v18, v11, 6
	v_sub_nc_u16 v12, v12, v15
	s_cselect_b32 s16, s17, s16
	v_bfe_i32 v13, v13, 0, 16
	s_cselect_b32 s15, s15, s18
	v_bfe_i32 v20, v18, 0, 8
	v_bfe_i32 v12, v12, 0, 8
	s_add_co_i32 s17, s16, 1
	v_lshlrev_b32_e32 v40, 1, v13
	v_lshrrev_b16 v13, 3, v19
	v_lshrrev_b16 v15, 7, v20
	v_add_nc_u16 v20, v16, v14
	v_sub_nc_u16 v14, v16, v17
	s_cmp_ge_u32 s15, s4
	v_and_b32_e32 v19, 0xff, v13
	v_and_b32_e32 v15, 0xff, v15
	v_bfe_i32 v17, v20, 0, 8
	v_bfe_i32 v14, v14, 0, 8
	v_and_b32_e32 v20, 0xfc, v20
	v_lshlrev_b32_e32 v41, 2, v19
	v_lshrrev_b16 v19, 5, v15
	v_lshrrev_b16 v21, 6, v15
	;; [unrolled: 1-line block ×3, first 2 shown]
	v_bfe_i32 v7, v6, 0, 8
	v_and_b32_e32 v6, 0xf8, v6
	v_add_nc_u16 v19, v18, v19
	v_add_nc_u16 v21, v18, v21
	v_sub_nc_u16 v16, v16, v20
	v_and_b32_e32 v17, 0xff, v17
	s_cselect_b32 s4, s17, s16
	v_bfe_i32 v20, v19, 0, 8
	v_and_b32_e32 v19, 0xf8, v19
	v_bfe_i32 v22, v21, 0, 8
	v_and_b32_e32 v21, 0xfc, v21
	s_mul_i32 s4, s4, s7
	v_lshrrev_b16 v7, 3, v7
	s_lshl_b64 s[16:17], s[4:5], 2
	v_sub_nc_u16 v6, v11, v6
	v_sub_nc_u16 v19, v18, v19
	;; [unrolled: 1-line block ×3, first 2 shown]
	v_bfe_i32 v16, v16, 0, 8
	v_lshlrev_b32_e32 v43, 1, v17
	v_lshrrev_b16 v17, 3, v20
	v_lshrrev_b16 v20, 2, v22
	s_add_nc_u64 s[2:3], s[2:3], s[16:17]
	v_and_b32_e32 v7, 0xff, v7
	v_mad_nc_u64_u32 v[4:5], v36, 36, s[2:3]
	v_bfe_i32 v6, v6, 0, 8
	v_and_b32_e32 v22, 0xff, v17
	v_bfe_i32 v18, v19, 0, 8
	v_and_b32_e32 v23, 0xff, v20
	v_bfe_i32 v20, v21, 0, 8
	v_dual_lshlrev_b32 v37, 2, v7 :: v_dual_ashrrev_i32 v7, 31, v6
	v_dual_ashrrev_i32 v9, 31, v8 :: v_dual_ashrrev_i32 v11, 31, v10
	v_dual_ashrrev_i32 v13, 31, v12 :: v_dual_ashrrev_i32 v15, 31, v14
	v_dual_ashrrev_i32 v17, 31, v16 :: v_dual_lshlrev_b32 v44, 2, v22
	v_dual_lshlrev_b32 v45, 1, v23 :: v_dual_ashrrev_i32 v19, 31, v18
	v_ashrrev_i32_e32 v21, 31, v20
	s_mul_u64 s[2:3], s[10:11], 0x6e
	s_delay_alu instid0(SALU_CYCLE_1)
	s_add_nc_u64 s[0:1], s[0:1], s[2:3]
.LBB281_3:                              ; =>This Inner Loop Header: Depth=1
	v_add_nc_u32_e32 v24, v35, v34
	v_mad_nc_i64_i32 v[22:23], v46, 36, v[4:5]
	v_add_nc_u32_e32 v46, 16, v46
	v_add_nc_u32_e32 v34, 2, v34
	s_delay_alu instid0(VALU_DEP_4) | instskip(NEXT) | instid1(VALU_DEP_2)
	v_mad_nc_i64_i32 v[24:25], 0x6e, v24, s[0:1]
	v_cmp_le_u32_e32 vcc_lo, s14, v34
	v_add_nc_u64_e32 v[30:31], v[22:23], v[2:3]
	s_or_b32 s5, vcc_lo, s5
	s_delay_alu instid0(VALU_DEP_3)
	v_add_nc_u64_e32 v[28:29], v[24:25], v[2:3]
	v_add_nc_u64_e32 v[26:27], v[24:25], v[0:1]
	;; [unrolled: 1-line block ×5, first 2 shown]
	s_clause 0x4
	global_load_b32 v47, v[30:31], off offset:76
	global_load_b32 v54, v[30:31], off offset:4
	;; [unrolled: 1-line block ×5, first 2 shown]
	s_clause 0x5
	global_load_b32 v58, v[28:29], off
	global_load_b32 v59, v[26:27], off offset:32
	global_load_u8 v60, v[48:49], off offset:96
	global_load_u8 v61, v[50:51], off offset:104
	;; [unrolled: 1-line block ×3, first 2 shown]
	global_load_u16 v63, v[24:25], off offset:108
	s_wait_loadcnt 0x9
	s_wait_xcnt 0x4
	v_lshrrev_b16 v27, 8, v54
	s_wait_loadcnt 0x7
	v_bfe_i32 v28, v56, 0, 8
	s_wait_loadcnt 0x5
	v_ashrrev_i32_e32 v29, v36, v58
	s_wait_loadcnt 0x4
	v_bfe_u32 v31, v59, 24, 2
	v_and_b32_e32 v30, 0x3030303, v59
	s_wait_xcnt 0x3
	v_lshrrev_b32_e32 v48, 2, v59
	v_bfe_i32 v27, v27, 0, 8
	v_not_b32_e32 v49, v29
	v_ashrrev_i32_e32 v26, 24, v54
	s_wait_xcnt 0x2
	v_lshrrev_b16 v50, 8, v30
	s_delay_alu instid0(VALU_DEP_3) | instskip(NEXT) | instid1(VALU_DEP_1)
	v_lshlrev_b32_e32 v51, 2, v49
	v_and_b32_e32 v51, 0x4040404, v51
	s_wait_xcnt 0x1
	s_delay_alu instid0(VALU_DEP_1) | instskip(SKIP_1) | instid1(VALU_DEP_2)
	v_lshrrev_b32_e32 v52, 24, v51
	v_bitop3_b32 v29, v29, 0x4040404, v29 bitop3:0xc
	v_sub_nc_u16 v31, v31, v52
	v_lshrrev_b16 v52, 8, v51
	s_delay_alu instid0(VALU_DEP_2) | instskip(NEXT) | instid1(VALU_DEP_2)
	v_bfe_i32 v31, v31, 0, 16
	v_sub_nc_u16 v50, v50, v52
	v_and_b32_e32 v52, 0x3030303, v48
	v_bfe_u32 v48, v48, 24, 2
	s_delay_alu instid0(VALU_DEP_4) | instskip(SKIP_3) | instid1(VALU_DEP_3)
	v_mul_i32_i24_e32 v26, v31, v26
	v_lshlrev_b32_e32 v31, 1, v49
	v_bfe_i32 v50, v50, 0, 16
	v_lshrrev_b32_e32 v49, 1, v49
	v_and_b32_e32 v31, 0x4040404, v31
	s_delay_alu instid0(VALU_DEP_3) | instskip(SKIP_1) | instid1(VALU_DEP_4)
	v_mad_i32_i24 v50, v50, v27, v26
	v_lshrrev_b16 v26, 8, v52
	v_and_b32_e32 v49, 0x4040404, v49
	s_delay_alu instid0(VALU_DEP_4) | instskip(NEXT) | instid1(VALU_DEP_1)
	v_lshrrev_b16 v27, 8, v31
	v_sub_nc_u16 v26, v26, v27
	v_sub_nc_u16 v27, v52, v31
	v_lshrrev_b32_e32 v52, 16, v52
	s_delay_alu instid0(VALU_DEP_3) | instskip(NEXT) | instid1(VALU_DEP_3)
	v_lshlrev_b16 v26, 8, v26
	v_bfe_i32 v27, v27, 0, 8
	s_delay_alu instid0(VALU_DEP_2) | instskip(NEXT) | instid1(VALU_DEP_2)
	v_bfe_i32 v26, v26, 8, 8
	v_mul_i32_i24_e32 v27, v28, v27
	v_bfe_i32 v28, v56, 8, 8
	s_delay_alu instid0(VALU_DEP_1)
	v_mad_i32_i24 v28, v28, v26, v27
	v_add_nc_u64_e32 v[26:27], v[24:25], v[12:13]
	global_load_u8 v53, v[26:27], off offset:104
	s_wait_xcnt 0x0
	v_add_nc_u64_e32 v[26:27], v[24:25], v[14:15]
	global_load_u8 v58, v[26:27], off offset:96
	s_wait_xcnt 0x0
	;; [unrolled: 3-line block ×3, first 2 shown]
	v_add_nc_u64_e32 v[26:27], v[24:25], v[20:21]
	v_add_nc_u64_e32 v[24:25], v[24:25], v[18:19]
	s_clause 0x1
	global_load_u8 v26, v[26:27], off offset:104
	global_load_u8 v24, v[24:25], off offset:96
	s_wait_xcnt 0x0
	v_lshrrev_b32_e32 v25, 16, v30
	v_sub_nc_u16 v27, v30, v51
	v_lshrrev_b32_e32 v30, 16, v51
	v_lshlrev_b32_e32 v51, 8, v47
	s_delay_alu instid0(VALU_DEP_3) | instskip(NEXT) | instid1(VALU_DEP_3)
	v_bfe_i32 v27, v27, 0, 8
	v_sub_nc_u16 v25, v25, v30
	v_bfe_i32 v30, v54, 0, 8
	s_delay_alu instid0(VALU_DEP_2) | instskip(NEXT) | instid1(VALU_DEP_2)
	v_bfe_i32 v25, v25, 0, 8
	v_mul_i32_i24_e32 v27, v27, v30
	v_bfe_i32 v30, v54, 16, 8
	v_lshlrev_b32_e32 v54, 8, v55
	s_delay_alu instid0(VALU_DEP_2) | instskip(NEXT) | instid1(VALU_DEP_1)
	v_mul_i32_i24_e32 v25, v25, v30
	v_add3_u32 v25, v27, v25, v50
	s_clause 0x2
	global_load_b32 v27, v[22:23], off
	global_load_b32 v30, v[22:23], off offset:36
	global_load_b32 v50, v[22:23], off offset:72
	s_wait_xcnt 0x0
	v_dual_lshlrev_b32 v23, 16, v47 :: v_dual_lshlrev_b32 v22, 8, v56
	s_delay_alu instid0(VALU_DEP_1) | instskip(SKIP_1) | instid1(VALU_DEP_3)
	v_perm_b32 v23, v51, v23, 0xc0c0703
	v_lshlrev_b32_e32 v51, 16, v55
	v_perm_b32 v22, v56, v22, 0xc0c0703
	s_wait_loadcnt 0xb
	v_bfe_u32 v56, v60, v37, 4
	s_delay_alu instid0(VALU_DEP_3)
	v_perm_b32 v51, v54, v51, 0xc0c0703
	s_wait_loadcnt 0xa
	v_lshrrev_b32_e32 v54, v38, v61
	v_lshrrev_b16 v61, 8, v29
	s_wait_loadcnt 0x7
	v_lshrrev_b32_e32 v53, v40, v53
	s_delay_alu instid0(VALU_DEP_1) | instskip(SKIP_4) | instid1(VALU_DEP_1)
	v_lshlrev_b32_e32 v53, 4, v53
	s_wait_loadcnt 0x6
	v_bfe_u32 v58, v58, v41, 4
	s_wait_loadcnt 0x5
	v_dual_lshrrev_b32 v60, v43, v64 :: v_dual_lshlrev_b32 v54, 4, v54
	v_lshlrev_b32_e32 v60, 4, v60
	s_delay_alu instid0(VALU_DEP_2)
	v_and_or_b32 v54, v54, 48, v56
	v_bfe_u32 v56, v62, v39, 4
	s_wait_loadcnt 0x4
	v_lshrrev_b32_e32 v26, v45, v26
	s_wait_loadcnt 0x3
	v_bfe_u32 v24, v24, v44, 4
	v_and_or_b32 v58, v60, 48, v58
	v_lshrrev_b32_e32 v62, 16, v49
	v_and_or_b32 v53, v53, 48, v56
	v_lshrrev_b32_e32 v56, 4, v59
	v_subrev_nc_u32_e32 v54, 32, v54
	v_subrev_nc_u32_e32 v58, 32, v58
	s_delay_alu instid0(VALU_DEP_4) | instskip(NEXT) | instid1(VALU_DEP_4)
	v_subrev_nc_u32_e32 v53, 32, v53
	v_bfe_u32 v60, v56, 24, 2
	v_and_b32_e32 v56, 0x3030303, v56
	v_lshlrev_b32_e32 v26, 4, v26
	v_mul_lo_u32 v25, v54, v25
	s_delay_alu instid0(VALU_DEP_2) | instskip(SKIP_1) | instid1(VALU_DEP_2)
	v_and_or_b32 v24, v26, 48, v24
	v_lshrrev_b32_e32 v26, 24, v29
	v_subrev_nc_u32_e32 v24, 32, v24
	s_delay_alu instid0(VALU_DEP_2) | instskip(SKIP_2) | instid1(VALU_DEP_3)
	v_sub_nc_u16 v26, v60, v26
	v_lshrrev_b16 v60, 8, v56
	v_cvt_f32_i32_e32 v25, v25
	v_lshlrev_b16 v26, 8, v26
	s_delay_alu instid0(VALU_DEP_3) | instskip(SKIP_2) | instid1(VALU_DEP_4)
	v_sub_nc_u16 v60, v60, v61
	v_sub_nc_u16 v61, v56, v29
	v_dual_lshrrev_b32 v56, 16, v56 :: v_dual_lshrrev_b32 v29, 16, v29
	v_bfe_i32 v26, v26, 8, 8
	s_wait_loadcnt 0x2
	v_fma_mix_f32 v25, v27, v25, 0 op_sel_hi:[1,0,0]
	s_delay_alu instid0(VALU_DEP_3) | instskip(SKIP_1) | instid1(VALU_DEP_1)
	v_sub_nc_u16 v29, v56, v29
	v_dual_lshrrev_b32 v56, 24, v31 :: v_dual_lshrrev_b32 v31, 16, v31
	v_sub_nc_u16 v48, v48, v56
	s_delay_alu instid0(VALU_DEP_2)
	v_sub_nc_u16 v31, v52, v31
	v_lshrrev_b32_e32 v52, 6, v59
	v_lshlrev_b16 v56, 8, v60
	v_lshrrev_b16 v60, 8, v49
	v_lshrrev_b32_e32 v59, 30, v59
	v_lshlrev_b16 v48, 8, v48
	v_and_b32_e32 v52, 0x3030303, v52
	v_perm_b32 v29, v29, v56, 0xc0c0401
	s_delay_alu instid0(VALU_DEP_3) | instskip(NEXT) | instid1(VALU_DEP_3)
	v_bitop3_b16 v48, v31, v48, 0xff bitop3:0xec
	v_lshrrev_b16 v56, 8, v52
	s_delay_alu instid0(VALU_DEP_2) | instskip(NEXT) | instid1(VALU_DEP_2)
	v_perm_b32 v31, v48, v31, 0xc0c0500
	v_sub_nc_u16 v56, v56, v60
	v_lshrrev_b32_e32 v60, 16, v52
	v_sub_nc_u16 v52, v52, v49
	v_dual_lshrrev_b32 v49, 24, v49 :: v_dual_ashrrev_i32 v48, 24, v55
	v_bfe_i32 v55, v55, 0, 8
	s_delay_alu instid0(VALU_DEP_4) | instskip(NEXT) | instid1(VALU_DEP_4)
	v_sub_nc_u16 v60, v60, v62
	v_bfe_i32 v52, v52, 0, 8
	s_delay_alu instid0(VALU_DEP_4)
	v_sub_nc_u16 v49, v59, v49
	v_ashrrev_i32_e32 v59, 24, v47
	v_bfe_i32 v47, v47, 0, 8
	v_lshlrev_b16 v56, 8, v56
	v_dot4_i32_iu8 v22, v22, v31, v28 neg_lo:[1,1,0]
	v_lshlrev_b16 v49, 8, v49
	v_mul_i32_i24_e32 v26, v59, v26
	v_bfe_i32 v59, v61, 0, 8
	v_perm_b32 v28, v60, v56, 0xc0c0401
	v_mul_lo_u32 v22, v53, v22
	v_bfe_i32 v49, v49, 8, 8
	s_delay_alu instid0(VALU_DEP_4) | instskip(NEXT) | instid1(VALU_DEP_2)
	v_mad_i32_i24 v26, v47, v59, v26
	v_mul_i32_i24_e32 v47, v48, v49
	s_delay_alu instid0(VALU_DEP_2) | instskip(NEXT) | instid1(VALU_DEP_2)
	v_dot4_i32_iu8 v23, v23, v29, v26 neg_lo:[1,1,0]
	v_mad_i32_i24 v26, v55, v52, v47
	v_cvt_f32_i32_e32 v22, v22
	s_delay_alu instid0(VALU_DEP_3) | instskip(NEXT) | instid1(VALU_DEP_3)
	v_mul_lo_u32 v23, v58, v23
	v_dot4_i32_iu8 v26, v51, v28, v26 neg_lo:[1,1,0]
	s_wait_loadcnt 0x1
	s_delay_alu instid0(VALU_DEP_3) | instskip(NEXT) | instid1(VALU_DEP_2)
	v_fma_mix_f32 v22, v30, v22, v25 op_sel_hi:[1,0,0]
	v_mul_lo_u32 v24, v24, v26
	s_delay_alu instid0(VALU_DEP_4) | instskip(SKIP_1) | instid1(VALU_DEP_1)
	v_cvt_f32_i32_e32 v23, v23
	s_wait_loadcnt 0x0
	v_fma_mix_f32 v22, v50, v23, v22 op_sel_hi:[1,0,0]
	s_delay_alu instid0(VALU_DEP_3) | instskip(NEXT) | instid1(VALU_DEP_1)
	v_cvt_f32_i32_e32 v24, v24
	v_fma_mix_f32 v22, v57, v24, v22 op_sel_hi:[1,0,0]
	s_delay_alu instid0(VALU_DEP_1)
	v_fma_mix_f32 v42, v22, v63, v42 op_sel_hi:[0,1,0]
	s_and_not1_b32 exec_lo, exec_lo, s5
	s_cbranch_execnz .LBB281_3
; %bb.4:
	s_or_b32 exec_lo, exec_lo, s5
.LBB281_5:
	s_delay_alu instid0(SALU_CYCLE_1) | instskip(SKIP_1) | instid1(VALU_DEP_1)
	s_or_b32 exec_lo, exec_lo, s13
	v_mbcnt_lo_u32_b32 v0, -1, 0
	v_xor_b32_e32 v2, 8, v0
	v_xor_b32_e32 v1, 16, v0
	;; [unrolled: 1-line block ×3, first 2 shown]
	s_delay_alu instid0(VALU_DEP_2) | instskip(SKIP_4) | instid1(VALU_DEP_2)
	v_cmp_gt_i32_e32 vcc_lo, 32, v1
	v_cndmask_b32_e32 v1, v0, v1, vcc_lo
	v_cmp_gt_i32_e32 vcc_lo, 32, v2
	v_cndmask_b32_e32 v2, v0, v2, vcc_lo
	v_cmp_gt_i32_e32 vcc_lo, 32, v3
	v_dual_lshlrev_b32 v2, 2, v2 :: v_dual_lshlrev_b32 v1, 2, v1
	ds_bpermute_b32 v1, v1, v42
	s_wait_dscnt 0x0
	v_add_f32_e32 v1, v42, v1
	ds_bpermute_b32 v2, v2, v1
	s_wait_dscnt 0x0
	v_dual_cndmask_b32 v3, v0, v3, vcc_lo :: v_dual_add_f32 v1, v1, v2
	s_delay_alu instid0(VALU_DEP_1) | instskip(SKIP_3) | instid1(VALU_DEP_1)
	v_lshlrev_b32_e32 v3, 2, v3
	ds_bpermute_b32 v2, v3, v1
	s_wait_dscnt 0x0
	v_dual_add_f32 v1, v1, v2 :: v_dual_bitop2_b32 v3, 2, v0 bitop3:0x14
	v_cmp_gt_i32_e32 vcc_lo, 32, v3
	v_cndmask_b32_e32 v3, v0, v3, vcc_lo
	s_delay_alu instid0(VALU_DEP_1) | instskip(SKIP_2) | instid1(VALU_DEP_1)
	v_lshlrev_b32_e32 v3, 2, v3
	ds_bpermute_b32 v2, v3, v1
	v_xor_b32_e32 v3, 1, v0
	v_cmp_gt_i32_e32 vcc_lo, 32, v3
	v_cndmask_b32_e32 v3, v0, v3, vcc_lo
	v_cmp_eq_u32_e32 vcc_lo, 0, v33
	s_wait_dscnt 0x0
	s_delay_alu instid0(VALU_DEP_2)
	v_dual_add_f32 v0, v1, v2 :: v_dual_lshlrev_b32 v1, 2, v3
	ds_bpermute_b32 v1, v1, v0
	s_and_b32 exec_lo, exec_lo, vcc_lo
	s_cbranch_execz .LBB281_7
; %bb.6:
	s_wait_dscnt 0x0
	v_add_f32_e32 v0, v0, v1
	v_mad_u32 v2, s6, s12, v32
	s_delay_alu instid0(VALU_DEP_2) | instskip(NEXT) | instid1(VALU_DEP_1)
	v_bfe_u32 v1, v0, 16, 1
	v_add3_u32 v1, v0, v1, 0x7fff
	s_delay_alu instid0(VALU_DEP_1) | instskip(SKIP_1) | instid1(VALU_DEP_2)
	v_lshrrev_b32_e32 v1, 16, v1
	v_cmp_o_f32_e32 vcc_lo, v0, v0
	v_cndmask_b32_e32 v0, 0x7fc0, v1, vcc_lo
	s_wait_kmcnt 0x0
	global_store_b16 v2, v0, s[8:9] scale_offset
.LBB281_7:
	s_sendmsg sendmsg(MSG_DEALLOC_VGPRS)
	s_endpgm
	.section	.rodata,"a",@progbits
	.p2align	6, 0x0
	.amdhsa_kernel _ZL9moe_vec_qIN3c108BFloat16ELi256ELi16E10block_q3_KLi1EXadL_ZL17vec_dot_q3_K_q8_1PKvPK10block_q8_1RKiEEEvS4_S4_PT_PS8_iiii
		.amdhsa_group_segment_fixed_size 0
		.amdhsa_private_segment_fixed_size 0
		.amdhsa_kernarg_size 304
		.amdhsa_user_sgpr_count 2
		.amdhsa_user_sgpr_dispatch_ptr 0
		.amdhsa_user_sgpr_queue_ptr 0
		.amdhsa_user_sgpr_kernarg_segment_ptr 1
		.amdhsa_user_sgpr_dispatch_id 0
		.amdhsa_user_sgpr_kernarg_preload_length 0
		.amdhsa_user_sgpr_kernarg_preload_offset 0
		.amdhsa_user_sgpr_private_segment_size 0
		.amdhsa_wavefront_size32 1
		.amdhsa_uses_dynamic_stack 0
		.amdhsa_enable_private_segment 0
		.amdhsa_system_sgpr_workgroup_id_x 1
		.amdhsa_system_sgpr_workgroup_id_y 0
		.amdhsa_system_sgpr_workgroup_id_z 1
		.amdhsa_system_sgpr_workgroup_info 0
		.amdhsa_system_vgpr_workitem_id 1
		.amdhsa_next_free_vgpr 65
		.amdhsa_next_free_sgpr 19
		.amdhsa_named_barrier_count 0
		.amdhsa_reserve_vcc 1
		.amdhsa_float_round_mode_32 0
		.amdhsa_float_round_mode_16_64 0
		.amdhsa_float_denorm_mode_32 3
		.amdhsa_float_denorm_mode_16_64 3
		.amdhsa_fp16_overflow 0
		.amdhsa_memory_ordered 1
		.amdhsa_forward_progress 1
		.amdhsa_inst_pref_size 24
		.amdhsa_round_robin_scheduling 0
		.amdhsa_exception_fp_ieee_invalid_op 0
		.amdhsa_exception_fp_denorm_src 0
		.amdhsa_exception_fp_ieee_div_zero 0
		.amdhsa_exception_fp_ieee_overflow 0
		.amdhsa_exception_fp_ieee_underflow 0
		.amdhsa_exception_fp_ieee_inexact 0
		.amdhsa_exception_int_div_zero 0
	.end_amdhsa_kernel
	.section	.text._ZL9moe_vec_qIN3c108BFloat16ELi256ELi16E10block_q3_KLi1EXadL_ZL17vec_dot_q3_K_q8_1PKvPK10block_q8_1RKiEEEvS4_S4_PT_PS8_iiii,"axG",@progbits,_ZL9moe_vec_qIN3c108BFloat16ELi256ELi16E10block_q3_KLi1EXadL_ZL17vec_dot_q3_K_q8_1PKvPK10block_q8_1RKiEEEvS4_S4_PT_PS8_iiii,comdat
.Lfunc_end281:
	.size	_ZL9moe_vec_qIN3c108BFloat16ELi256ELi16E10block_q3_KLi1EXadL_ZL17vec_dot_q3_K_q8_1PKvPK10block_q8_1RKiEEEvS4_S4_PT_PS8_iiii, .Lfunc_end281-_ZL9moe_vec_qIN3c108BFloat16ELi256ELi16E10block_q3_KLi1EXadL_ZL17vec_dot_q3_K_q8_1PKvPK10block_q8_1RKiEEEvS4_S4_PT_PS8_iiii
                                        ; -- End function
	.set _ZL9moe_vec_qIN3c108BFloat16ELi256ELi16E10block_q3_KLi1EXadL_ZL17vec_dot_q3_K_q8_1PKvPK10block_q8_1RKiEEEvS4_S4_PT_PS8_iiii.num_vgpr, 65
	.set _ZL9moe_vec_qIN3c108BFloat16ELi256ELi16E10block_q3_KLi1EXadL_ZL17vec_dot_q3_K_q8_1PKvPK10block_q8_1RKiEEEvS4_S4_PT_PS8_iiii.num_agpr, 0
	.set _ZL9moe_vec_qIN3c108BFloat16ELi256ELi16E10block_q3_KLi1EXadL_ZL17vec_dot_q3_K_q8_1PKvPK10block_q8_1RKiEEEvS4_S4_PT_PS8_iiii.numbered_sgpr, 19
	.set _ZL9moe_vec_qIN3c108BFloat16ELi256ELi16E10block_q3_KLi1EXadL_ZL17vec_dot_q3_K_q8_1PKvPK10block_q8_1RKiEEEvS4_S4_PT_PS8_iiii.num_named_barrier, 0
	.set _ZL9moe_vec_qIN3c108BFloat16ELi256ELi16E10block_q3_KLi1EXadL_ZL17vec_dot_q3_K_q8_1PKvPK10block_q8_1RKiEEEvS4_S4_PT_PS8_iiii.private_seg_size, 0
	.set _ZL9moe_vec_qIN3c108BFloat16ELi256ELi16E10block_q3_KLi1EXadL_ZL17vec_dot_q3_K_q8_1PKvPK10block_q8_1RKiEEEvS4_S4_PT_PS8_iiii.uses_vcc, 1
	.set _ZL9moe_vec_qIN3c108BFloat16ELi256ELi16E10block_q3_KLi1EXadL_ZL17vec_dot_q3_K_q8_1PKvPK10block_q8_1RKiEEEvS4_S4_PT_PS8_iiii.uses_flat_scratch, 0
	.set _ZL9moe_vec_qIN3c108BFloat16ELi256ELi16E10block_q3_KLi1EXadL_ZL17vec_dot_q3_K_q8_1PKvPK10block_q8_1RKiEEEvS4_S4_PT_PS8_iiii.has_dyn_sized_stack, 0
	.set _ZL9moe_vec_qIN3c108BFloat16ELi256ELi16E10block_q3_KLi1EXadL_ZL17vec_dot_q3_K_q8_1PKvPK10block_q8_1RKiEEEvS4_S4_PT_PS8_iiii.has_recursion, 0
	.set _ZL9moe_vec_qIN3c108BFloat16ELi256ELi16E10block_q3_KLi1EXadL_ZL17vec_dot_q3_K_q8_1PKvPK10block_q8_1RKiEEEvS4_S4_PT_PS8_iiii.has_indirect_call, 0
	.section	.AMDGPU.csdata,"",@progbits
; Kernel info:
; codeLenInByte = 3044
; TotalNumSgprs: 21
; NumVgprs: 65
; ScratchSize: 0
; MemoryBound: 0
; FloatMode: 240
; IeeeMode: 1
; LDSByteSize: 0 bytes/workgroup (compile time only)
; SGPRBlocks: 0
; VGPRBlocks: 4
; NumSGPRsForWavesPerEU: 21
; NumVGPRsForWavesPerEU: 65
; NamedBarCnt: 0
; Occupancy: 12
; WaveLimiterHint : 1
; COMPUTE_PGM_RSRC2:SCRATCH_EN: 0
; COMPUTE_PGM_RSRC2:USER_SGPR: 2
; COMPUTE_PGM_RSRC2:TRAP_HANDLER: 0
; COMPUTE_PGM_RSRC2:TGID_X_EN: 1
; COMPUTE_PGM_RSRC2:TGID_Y_EN: 0
; COMPUTE_PGM_RSRC2:TGID_Z_EN: 1
; COMPUTE_PGM_RSRC2:TIDIG_COMP_CNT: 1
	.section	.text._ZL9moe_vec_qIN3c108BFloat16ELi256ELi32E10block_q4_KLi2EXadL_ZL17vec_dot_q4_K_q8_1PKvPK10block_q8_1RKiEEEvS4_S4_PT_PS8_iiii,"axG",@progbits,_ZL9moe_vec_qIN3c108BFloat16ELi256ELi32E10block_q4_KLi2EXadL_ZL17vec_dot_q4_K_q8_1PKvPK10block_q8_1RKiEEEvS4_S4_PT_PS8_iiii,comdat
	.globl	_ZL9moe_vec_qIN3c108BFloat16ELi256ELi32E10block_q4_KLi2EXadL_ZL17vec_dot_q4_K_q8_1PKvPK10block_q8_1RKiEEEvS4_S4_PT_PS8_iiii ; -- Begin function _ZL9moe_vec_qIN3c108BFloat16ELi256ELi32E10block_q4_KLi2EXadL_ZL17vec_dot_q4_K_q8_1PKvPK10block_q8_1RKiEEEvS4_S4_PT_PS8_iiii
	.p2align	8
	.type	_ZL9moe_vec_qIN3c108BFloat16ELi256ELi32E10block_q4_KLi2EXadL_ZL17vec_dot_q4_K_q8_1PKvPK10block_q8_1RKiEEEvS4_S4_PT_PS8_iiii,@function
_ZL9moe_vec_qIN3c108BFloat16ELi256ELi32E10block_q4_KLi2EXadL_ZL17vec_dot_q4_K_q8_1PKvPK10block_q8_1RKiEEEvS4_S4_PT_PS8_iiii: ; @_ZL9moe_vec_qIN3c108BFloat16ELi256ELi32E10block_q4_KLi2EXadL_ZL17vec_dot_q4_K_q8_1PKvPK10block_q8_1RKiEEEvS4_S4_PT_PS8_iiii
; %bb.0:
	s_clause 0x1
	s_load_u16 s3, s[0:1], 0x3e
	s_load_b128 s[4:7], s[0:1], 0x20
	s_bfe_u32 s2, ttmp6, 0x4000c
	s_and_b32 s8, ttmp6, 15
	s_add_co_i32 s2, s2, 1
	v_bfe_u32 v1, v0, 10, 10
	s_mul_i32 s2, ttmp9, s2
	s_delay_alu instid0(SALU_CYCLE_1) | instskip(SKIP_1) | instid1(SALU_CYCLE_1)
	s_add_co_i32 s8, s8, s2
	s_getreg_b32 s2, hwreg(HW_REG_IB_STS2, 6, 4)
	s_cmp_eq_u32 s2, 0
	s_cselect_b32 s8, ttmp9, s8
	s_wait_kmcnt 0x0
	v_mad_u32 v14, s8, s3, v1
	s_mov_b32 s3, exec_lo
	s_delay_alu instid0(VALU_DEP_1)
	v_cmpx_gt_u32_e64 s6, v14
	s_cbranch_execz .LBB282_11
; %bb.1:
	s_load_b64 s[8:9], s[0:1], 0x10
	s_bfe_u32 s3, ttmp6, 0x40014
	s_lshr_b32 s10, ttmp7, 16
	s_add_co_i32 s3, s3, 1
	s_bfe_u32 s11, ttmp6, 0x40008
	s_mul_i32 s3, s10, s3
	v_bfe_u32 v16, v0, 4, 6
	s_add_co_i32 s11, s11, s3
	s_cmp_eq_u32 s2, 0
	v_and_b32_e32 v15, 0x3ff, v0
	s_cselect_b32 s10, s10, s11
	s_ashr_i32 s2, s5, 31
	v_mov_b32_e32 v18, 0
	s_lshr_b32 s2, s2, 24
	s_mov_b32 s11, exec_lo
	s_add_co_i32 s2, s5, s2
	s_delay_alu instid0(SALU_CYCLE_1) | instskip(NEXT) | instid1(SALU_CYCLE_1)
	s_ashr_i32 s12, s2, 8
	v_cmpx_gt_u32_e64 s12, v16
	s_cbranch_execz .LBB282_9
; %bb.2:
	s_load_b64 s[2:3], s[0:1], 0x18
	s_cvt_f32_u32 s5, s4
	s_sub_co_i32 s16, 0, s4
	s_mul_i32 s14, s12, s6
	v_mul_lo_u32 v17, v14, s12
	v_rcp_iflag_f32_e32 v0, s5
	v_mov_b32_e32 v1, 0
	s_delay_alu instid0(VALU_DEP_1) | instskip(NEXT) | instid1(TRANS32_DEP_1)
	v_dual_mov_b32 v9, v1 :: v_dual_mov_b32 v18, v1
	v_readfirstlane_b32 s5, v0
	v_dual_mov_b32 v3, v1 :: v_dual_lshlrev_b32 v0, 1, v15
	s_mul_f32 s5, s5, 0x4f7ffffe
	s_delay_alu instid0(VALU_DEP_1)
	v_bfe_u32 v6, v0, 3, 2
	s_wait_kmcnt 0x0
	s_load_b32 s13, s[2:3], s10 offset:0x0 scale_offset
	v_and_b32_e32 v4, 30, v0
	s_cvt_u32_f32 s15, s5
	s_wait_xcnt 0x0
	s_load_b128 s[0:3], s[0:1], 0x0
	s_mov_b32 s5, 0
	v_lshlrev_b32_e32 v5, 1, v6
	s_mul_i32 s16, s16, s15
	v_cmp_lt_u32_e32 vcc_lo, 15, v4
	s_mul_hi_u32 s16, s15, s16
	v_dual_lshlrev_b32 v0, 5, v6 :: v_dual_bitop2_b32 v8, 3, v15 bitop3:0x40
	s_add_co_i32 s15, s15, s16
	v_dual_lshlrev_b32 v19, 3, v16 :: v_dual_lshlrev_b32 v6, 1, v6
	s_mul_hi_u32 s16, s10, s15
	s_delay_alu instid0(VALU_DEP_2)
	v_lshlrev_b32_e32 v2, 2, v8
	s_mul_i32 s15, s16, s4
	s_add_co_i32 s17, s16, 1
	s_sub_co_i32 s18, s10, s15
	v_dual_mov_b32 v7, v1 :: v_dual_lshlrev_b32 v8, 2, v8
	s_wait_kmcnt 0x0
	s_mul_i32 s14, s14, s13
	s_sub_co_i32 s13, s18, s4
	s_ashr_i32 s15, s14, 31
	s_cmp_ge_u32 s18, s4
	s_mul_u64 s[14:15], s[14:15], 0x90
	s_cselect_b32 s16, s17, s16
	s_cselect_b32 s13, s13, s18
	s_add_co_i32 s17, s16, 1
	s_cmp_ge_u32 s13, s4
	s_cselect_b32 s4, s17, s16
	s_delay_alu instid0(SALU_CYCLE_1) | instskip(NEXT) | instid1(SALU_CYCLE_1)
	s_mul_i32 s4, s4, s7
	s_lshl_b64 s[16:17], s[4:5], 2
	s_delay_alu instid0(SALU_CYCLE_1) | instskip(NEXT) | instid1(SALU_CYCLE_1)
	s_add_nc_u64 s[2:3], s[2:3], s[16:17]
	v_mad_nc_u64_u32 v[4:5], v5, 36, s[2:3]
	s_add_nc_u64 s[2:3], s[0:1], s[14:15]
	s_movk_i32 s1, 0xff
	s_branch .LBB282_4
.LBB282_3:                              ;   in Loop: Header=BB282_4 Depth=1
	s_or_b32 exec_lo, exec_lo, s0
	v_mad_nc_i64_i32 v[12:13], v19, 36, v[4:5]
	s_wait_loadcnt 0x0
	v_bfe_u32 v34, v20, 16, 4
	v_bfe_u32 v39, v21, 4, 4
	;; [unrolled: 1-line block ×3, first 2 shown]
	v_dual_lshrrev_b32 v38, 28, v20 :: v_dual_bitop2_b32 v33, 15, v20 bitop3:0x40
	v_and_b32_e32 v35, 0xff00ff, v22
	v_bfe_u32 v41, v20, 4, 4
	v_bfe_u32 v40, v21, 12, 4
	;; [unrolled: 1-line block ×3, first 2 shown]
	v_lshrrev_b32_e32 v37, 4, v20
	v_add_nc_u64_e32 v[24:25], v[12:13], v[8:9]
	s_clause 0x4
	global_load_b32 v23, v[24:25], off offset:4
	global_load_b32 v26, v[24:25], off offset:20
	;; [unrolled: 1-line block ×4, first 2 shown]
	global_load_b32 v29, v[12:13], off
	global_load_b32 v30, v[10:11], off
	global_load_b32 v31, v[12:13], off offset:36
	s_wait_xcnt 0x1
	v_and_b32_e32 v11, 0xf0f0f0f, v21
	s_wait_xcnt 0x0
	v_and_b32_e32 v13, 0xf0f0f0f, v20
	v_and_b32_e32 v25, 15, v21
	v_bfe_u32 v24, v20, 24, 4
	v_lshrrev_b16 v37, 8, v37
	v_lshrrev_b16 v11, 8, v11
	v_lshrrev_b16 v13, 8, v13
	v_bfe_u32 v12, v21, 24, 4
	v_bfe_u32 v20, v20, 20, 4
	v_dual_lshrrev_b32 v35, 16, v35 :: v_dual_bitop2_b32 v37, 15, v37 bitop3:0x40
	v_and_b32_e32 v11, 0xffff, v11
	v_and_b32_e32 v13, 0xffff, v13
	v_pk_lshrrev_b16 v10, 8, v22 op_sel_hi:[0,1]
	s_delay_alu instid0(VALU_DEP_4) | instskip(SKIP_2) | instid1(VALU_DEP_4)
	v_and_b32_e32 v37, 0xffff, v37
	v_lshrrev_b32_e32 v21, 28, v21
	v_bitop3_b32 v22, v22, s1, 0xff00ff bitop3:0x80
	v_dual_add_nc_u32 v16, 2, v16 :: v_dual_lshrrev_b32 v42, 16, v10
	v_and_b32_e32 v10, 0xff, v10
	v_add_nc_u32_e32 v19, 16, v19
	s_delay_alu instid0(VALU_DEP_3)
	v_cmp_le_u32_e64 s0, s12, v16
	s_or_b32 s5, s0, s5
	s_wait_loadcnt 0x6
	v_lshrrev_b16 v43, 8, v23
	s_wait_loadcnt 0x5
	v_lshrrev_b16 v44, 8, v26
	v_dual_ashrrev_i32 v46, 24, v23 :: v_dual_ashrrev_i32 v48, 24, v26
	v_bfe_i32 v47, v23, 0, 8
	v_bfe_i32 v49, v26, 16, 8
	s_wait_loadcnt 0x3
	v_bfe_i32 v50, v28, 0, 8
	v_bfe_i32 v51, v28, 8, 8
	;; [unrolled: 1-line block ×3, first 2 shown]
	v_dual_ashrrev_i32 v28, 24, v28 :: v_dual_ashrrev_i32 v54, 24, v27
	v_bfe_i32 v43, v43, 0, 8
	v_lshrrev_b16 v45, 8, v27
	v_bfe_i32 v23, v23, 16, 8
	v_bfe_i32 v26, v26, 0, 8
	;; [unrolled: 1-line block ×5, first 2 shown]
	v_mul_i32_i24_e32 v34, v49, v34
	v_mul_i32_i24_e32 v24, v48, v24
	;; [unrolled: 1-line block ×3, first 2 shown]
	v_add_nc_u32_e32 v50, v50, v28
	v_mul_i32_i24_e32 v11, v43, v11
	v_add_nc_u32_e32 v43, v43, v47
	v_mul_i32_i24_e32 v33, v26, v33
	v_bfe_i32 v45, v45, 0, 8
	v_mul_i32_i24_e32 v20, v27, v20
	v_mul_i32_i24_e32 v38, v54, v38
	;; [unrolled: 1-line block ×3, first 2 shown]
	v_mad_i32_i24 v32, v23, v32, v34
	v_mad_i32_i24 v12, v46, v12, v24
	v_add3_u32 v23, v43, v23, v46
	v_mul_i32_i24_e32 v40, v51, v40
	v_mad_i32_i24 v25, v47, v25, v33
	v_mad_i32_i24 v20, v53, v41, v20
	;; [unrolled: 1-line block ×3, first 2 shown]
	v_add3_u32 v33, v50, v51, v52
	v_add3_u32 v11, v11, v13, v12
	;; [unrolled: 1-line block ×3, first 2 shown]
	v_mul_i32_i24_e32 v36, v52, v36
	v_mad_i32_i24 v13, v28, v21, v40
	v_add3_u32 v20, v20, v24, v39
	v_add3_u32 v21, v33, v45, v53
	;; [unrolled: 1-line block ×4, first 2 shown]
	s_delay_alu instid0(VALU_DEP_4) | instskip(NEXT) | instid1(VALU_DEP_4)
	v_add3_u32 v13, v20, v13, v36
	v_add3_u32 v20, v21, v27, v54
	s_delay_alu instid0(VALU_DEP_4) | instskip(NEXT) | instid1(VALU_DEP_4)
	v_mul_lo_u32 v11, v11, v22
	v_mul_lo_u32 v21, v12, v35
	s_delay_alu instid0(VALU_DEP_4) | instskip(NEXT) | instid1(VALU_DEP_4)
	v_mul_lo_u32 v22, v13, v10
	v_mul_lo_u32 v23, v20, v42
	s_wait_loadcnt 0x2
	v_cvt_f32_f16_e32 v10, v29
	s_wait_loadcnt 0x0
	v_cvt_f32_f16_e32 v20, v31
	v_cvt_f32_i32_e32 v12, v11
	v_cvt_f32_i32_e32 v13, v21
	v_lshrrev_b32_e32 v21, 16, v30
	v_cvt_f32_i32_e32 v22, v22
	v_cvt_f32_i32_e32 v23, v23
	s_delay_alu instid0(VALU_DEP_4) | instskip(SKIP_2) | instid1(VALU_DEP_3)
	v_pk_fma_f32 v[10:11], v[10:11], v[12:13], 0 op_sel_hi:[0,1,0]
	v_cvt_f32_f16_e32 v12, v30
	v_cvt_f32_f16_e32 v13, v21
	v_pk_fma_f32 v[10:11], v[20:21], v[22:23], v[10:11] op_sel_hi:[0,1,1]
	s_delay_alu instid0(VALU_DEP_1) | instskip(NEXT) | instid1(VALU_DEP_1)
	v_pk_mul_f32 v[10:11], v[10:11], v[12:13]
	v_sub_f32_e32 v10, v10, v11
	s_delay_alu instid0(VALU_DEP_1)
	v_add_f32_e32 v18, v18, v10
	s_and_not1_b32 exec_lo, exec_lo, s5
	s_cbranch_execz .LBB282_8
.LBB282_4:                              ; =>This Inner Loop Header: Depth=1
	v_add_nc_u32_e32 v10, v17, v16
                                        ; implicit-def: $vgpr22
	s_delay_alu instid0(VALU_DEP_1) | instskip(NEXT) | instid1(VALU_DEP_1)
	v_mad_nc_i64_i32 v[10:11], 0x90, v10, s[2:3]
	v_add_nc_u64_e32 v[12:13], v[10:11], v[0:1]
	s_delay_alu instid0(VALU_DEP_1)
	v_add_nc_u64_e32 v[12:13], v[12:13], v[2:3]
	s_clause 0x1
	global_load_b32 v21, v[12:13], off offset:16
	global_load_b32 v20, v[12:13], off offset:32
	s_wait_xcnt 0x0
	v_add_nc_u64_e32 v[12:13], v[10:11], v[6:7]
	s_and_saveexec_b32 s0, vcc_lo
	s_delay_alu instid0(SALU_CYCLE_1)
	s_xor_b32 s0, exec_lo, s0
	s_cbranch_execz .LBB282_6
; %bb.5:                                ;   in Loop: Header=BB282_4 Depth=1
	s_clause 0x2
	global_load_u16 v22, v[12:13], off
	global_load_u16 v23, v[12:13], off offset:8
	global_load_u16 v24, v[12:13], off offset:4
	s_wait_loadcnt 0x1
	s_wait_xcnt 0x0
	v_pk_lshrrev_b16 v12, 4, v23 op_sel:[1,0] op_sel_hi:[0,0]
	s_wait_loadcnt 0x0
	v_perm_b32 v13, v24, v22, 0x5040100
	s_delay_alu instid0(VALU_DEP_2) | instskip(NEXT) | instid1(VALU_DEP_2)
	v_and_b32_e32 v12, 0xf0f0f0f, v12
	v_pk_lshrrev_b16 v13, 2, v13 op_sel_hi:[0,1]
	s_delay_alu instid0(VALU_DEP_1)
	v_and_or_b32 v22, 0x30303030, v13, v12
                                        ; implicit-def: $vgpr12_vgpr13
.LBB282_6:                              ;   in Loop: Header=BB282_4 Depth=1
	s_and_not1_saveexec_b32 s0, s0
	s_cbranch_execz .LBB282_3
; %bb.7:                                ;   in Loop: Header=BB282_4 Depth=1
	s_clause 0x1
	global_load_u16 v22, v[12:13], off offset:4
	global_load_u16 v23, v[12:13], off offset:8
	s_wait_loadcnt 0x0
	v_perm_b32 v12, v23, v22, 0x5040100
	s_delay_alu instid0(VALU_DEP_1)
	v_and_b32_e32 v22, 0x3f3f3f3f, v12
	s_branch .LBB282_3
.LBB282_8:
	s_or_b32 exec_lo, exec_lo, s5
.LBB282_9:
	s_delay_alu instid0(SALU_CYCLE_1) | instskip(SKIP_1) | instid1(VALU_DEP_1)
	s_or_b32 exec_lo, exec_lo, s11
	v_mbcnt_lo_u32_b32 v0, -1, 0
	v_xor_b32_e32 v2, 8, v0
	v_xor_b32_e32 v1, 16, v0
	;; [unrolled: 1-line block ×3, first 2 shown]
	s_delay_alu instid0(VALU_DEP_2) | instskip(SKIP_4) | instid1(VALU_DEP_2)
	v_cmp_gt_i32_e32 vcc_lo, 32, v1
	v_cndmask_b32_e32 v1, v0, v1, vcc_lo
	v_cmp_gt_i32_e32 vcc_lo, 32, v2
	v_cndmask_b32_e32 v2, v0, v2, vcc_lo
	v_cmp_gt_i32_e32 vcc_lo, 32, v3
	v_dual_lshlrev_b32 v2, 2, v2 :: v_dual_lshlrev_b32 v1, 2, v1
	ds_bpermute_b32 v1, v1, v18
	s_wait_dscnt 0x0
	v_add_f32_e32 v1, v18, v1
	ds_bpermute_b32 v2, v2, v1
	s_wait_dscnt 0x0
	v_dual_cndmask_b32 v3, v0, v3, vcc_lo :: v_dual_add_f32 v1, v1, v2
	s_delay_alu instid0(VALU_DEP_1) | instskip(SKIP_3) | instid1(VALU_DEP_1)
	v_lshlrev_b32_e32 v3, 2, v3
	ds_bpermute_b32 v2, v3, v1
	s_wait_dscnt 0x0
	v_dual_add_f32 v1, v1, v2 :: v_dual_bitop2_b32 v3, 2, v0 bitop3:0x14
	v_cmp_gt_i32_e32 vcc_lo, 32, v3
	v_cndmask_b32_e32 v3, v0, v3, vcc_lo
	s_delay_alu instid0(VALU_DEP_1) | instskip(SKIP_2) | instid1(VALU_DEP_1)
	v_lshlrev_b32_e32 v3, 2, v3
	ds_bpermute_b32 v2, v3, v1
	v_xor_b32_e32 v3, 1, v0
	v_cmp_gt_i32_e32 vcc_lo, 32, v3
	v_cndmask_b32_e32 v3, v0, v3, vcc_lo
	v_cmp_eq_u32_e32 vcc_lo, 0, v15
	s_wait_dscnt 0x0
	s_delay_alu instid0(VALU_DEP_2)
	v_dual_add_f32 v0, v1, v2 :: v_dual_lshlrev_b32 v1, 2, v3
	ds_bpermute_b32 v1, v1, v0
	s_and_b32 exec_lo, exec_lo, vcc_lo
	s_cbranch_execz .LBB282_11
; %bb.10:
	s_wait_dscnt 0x0
	v_add_f32_e32 v0, v0, v1
	v_mad_u32 v2, s6, s10, v14
	s_delay_alu instid0(VALU_DEP_2) | instskip(NEXT) | instid1(VALU_DEP_1)
	v_bfe_u32 v1, v0, 16, 1
	v_add3_u32 v1, v0, v1, 0x7fff
	s_delay_alu instid0(VALU_DEP_1) | instskip(SKIP_1) | instid1(VALU_DEP_2)
	v_lshrrev_b32_e32 v1, 16, v1
	v_cmp_o_f32_e32 vcc_lo, v0, v0
	v_cndmask_b32_e32 v0, 0x7fc0, v1, vcc_lo
	s_wait_kmcnt 0x0
	global_store_b16 v2, v0, s[8:9] scale_offset
.LBB282_11:
	s_endpgm
	.section	.rodata,"a",@progbits
	.p2align	6, 0x0
	.amdhsa_kernel _ZL9moe_vec_qIN3c108BFloat16ELi256ELi32E10block_q4_KLi2EXadL_ZL17vec_dot_q4_K_q8_1PKvPK10block_q8_1RKiEEEvS4_S4_PT_PS8_iiii
		.amdhsa_group_segment_fixed_size 0
		.amdhsa_private_segment_fixed_size 0
		.amdhsa_kernarg_size 304
		.amdhsa_user_sgpr_count 2
		.amdhsa_user_sgpr_dispatch_ptr 0
		.amdhsa_user_sgpr_queue_ptr 0
		.amdhsa_user_sgpr_kernarg_segment_ptr 1
		.amdhsa_user_sgpr_dispatch_id 0
		.amdhsa_user_sgpr_kernarg_preload_length 0
		.amdhsa_user_sgpr_kernarg_preload_offset 0
		.amdhsa_user_sgpr_private_segment_size 0
		.amdhsa_wavefront_size32 1
		.amdhsa_uses_dynamic_stack 0
		.amdhsa_enable_private_segment 0
		.amdhsa_system_sgpr_workgroup_id_x 1
		.amdhsa_system_sgpr_workgroup_id_y 0
		.amdhsa_system_sgpr_workgroup_id_z 1
		.amdhsa_system_sgpr_workgroup_info 0
		.amdhsa_system_vgpr_workitem_id 1
		.amdhsa_next_free_vgpr 55
		.amdhsa_next_free_sgpr 19
		.amdhsa_named_barrier_count 0
		.amdhsa_reserve_vcc 1
		.amdhsa_float_round_mode_32 0
		.amdhsa_float_round_mode_16_64 0
		.amdhsa_float_denorm_mode_32 3
		.amdhsa_float_denorm_mode_16_64 3
		.amdhsa_fp16_overflow 0
		.amdhsa_memory_ordered 1
		.amdhsa_forward_progress 1
		.amdhsa_inst_pref_size 15
		.amdhsa_round_robin_scheduling 0
		.amdhsa_exception_fp_ieee_invalid_op 0
		.amdhsa_exception_fp_denorm_src 0
		.amdhsa_exception_fp_ieee_div_zero 0
		.amdhsa_exception_fp_ieee_overflow 0
		.amdhsa_exception_fp_ieee_underflow 0
		.amdhsa_exception_fp_ieee_inexact 0
		.amdhsa_exception_int_div_zero 0
	.end_amdhsa_kernel
	.section	.text._ZL9moe_vec_qIN3c108BFloat16ELi256ELi32E10block_q4_KLi2EXadL_ZL17vec_dot_q4_K_q8_1PKvPK10block_q8_1RKiEEEvS4_S4_PT_PS8_iiii,"axG",@progbits,_ZL9moe_vec_qIN3c108BFloat16ELi256ELi32E10block_q4_KLi2EXadL_ZL17vec_dot_q4_K_q8_1PKvPK10block_q8_1RKiEEEvS4_S4_PT_PS8_iiii,comdat
.Lfunc_end282:
	.size	_ZL9moe_vec_qIN3c108BFloat16ELi256ELi32E10block_q4_KLi2EXadL_ZL17vec_dot_q4_K_q8_1PKvPK10block_q8_1RKiEEEvS4_S4_PT_PS8_iiii, .Lfunc_end282-_ZL9moe_vec_qIN3c108BFloat16ELi256ELi32E10block_q4_KLi2EXadL_ZL17vec_dot_q4_K_q8_1PKvPK10block_q8_1RKiEEEvS4_S4_PT_PS8_iiii
                                        ; -- End function
	.set _ZL9moe_vec_qIN3c108BFloat16ELi256ELi32E10block_q4_KLi2EXadL_ZL17vec_dot_q4_K_q8_1PKvPK10block_q8_1RKiEEEvS4_S4_PT_PS8_iiii.num_vgpr, 55
	.set _ZL9moe_vec_qIN3c108BFloat16ELi256ELi32E10block_q4_KLi2EXadL_ZL17vec_dot_q4_K_q8_1PKvPK10block_q8_1RKiEEEvS4_S4_PT_PS8_iiii.num_agpr, 0
	.set _ZL9moe_vec_qIN3c108BFloat16ELi256ELi32E10block_q4_KLi2EXadL_ZL17vec_dot_q4_K_q8_1PKvPK10block_q8_1RKiEEEvS4_S4_PT_PS8_iiii.numbered_sgpr, 19
	.set _ZL9moe_vec_qIN3c108BFloat16ELi256ELi32E10block_q4_KLi2EXadL_ZL17vec_dot_q4_K_q8_1PKvPK10block_q8_1RKiEEEvS4_S4_PT_PS8_iiii.num_named_barrier, 0
	.set _ZL9moe_vec_qIN3c108BFloat16ELi256ELi32E10block_q4_KLi2EXadL_ZL17vec_dot_q4_K_q8_1PKvPK10block_q8_1RKiEEEvS4_S4_PT_PS8_iiii.private_seg_size, 0
	.set _ZL9moe_vec_qIN3c108BFloat16ELi256ELi32E10block_q4_KLi2EXadL_ZL17vec_dot_q4_K_q8_1PKvPK10block_q8_1RKiEEEvS4_S4_PT_PS8_iiii.uses_vcc, 1
	.set _ZL9moe_vec_qIN3c108BFloat16ELi256ELi32E10block_q4_KLi2EXadL_ZL17vec_dot_q4_K_q8_1PKvPK10block_q8_1RKiEEEvS4_S4_PT_PS8_iiii.uses_flat_scratch, 0
	.set _ZL9moe_vec_qIN3c108BFloat16ELi256ELi32E10block_q4_KLi2EXadL_ZL17vec_dot_q4_K_q8_1PKvPK10block_q8_1RKiEEEvS4_S4_PT_PS8_iiii.has_dyn_sized_stack, 0
	.set _ZL9moe_vec_qIN3c108BFloat16ELi256ELi32E10block_q4_KLi2EXadL_ZL17vec_dot_q4_K_q8_1PKvPK10block_q8_1RKiEEEvS4_S4_PT_PS8_iiii.has_recursion, 0
	.set _ZL9moe_vec_qIN3c108BFloat16ELi256ELi32E10block_q4_KLi2EXadL_ZL17vec_dot_q4_K_q8_1PKvPK10block_q8_1RKiEEEvS4_S4_PT_PS8_iiii.has_indirect_call, 0
	.section	.AMDGPU.csdata,"",@progbits
; Kernel info:
; codeLenInByte = 1868
; TotalNumSgprs: 21
; NumVgprs: 55
; ScratchSize: 0
; MemoryBound: 0
; FloatMode: 240
; IeeeMode: 1
; LDSByteSize: 0 bytes/workgroup (compile time only)
; SGPRBlocks: 0
; VGPRBlocks: 3
; NumSGPRsForWavesPerEU: 21
; NumVGPRsForWavesPerEU: 55
; NamedBarCnt: 0
; Occupancy: 16
; WaveLimiterHint : 1
; COMPUTE_PGM_RSRC2:SCRATCH_EN: 0
; COMPUTE_PGM_RSRC2:USER_SGPR: 2
; COMPUTE_PGM_RSRC2:TRAP_HANDLER: 0
; COMPUTE_PGM_RSRC2:TGID_X_EN: 1
; COMPUTE_PGM_RSRC2:TGID_Y_EN: 0
; COMPUTE_PGM_RSRC2:TGID_Z_EN: 1
; COMPUTE_PGM_RSRC2:TIDIG_COMP_CNT: 1
	.section	.text._ZL9moe_vec_qIN3c108BFloat16ELi256ELi32E10block_q5_KLi2EXadL_ZL17vec_dot_q5_K_q8_1PKvPK10block_q8_1RKiEEEvS4_S4_PT_PS8_iiii,"axG",@progbits,_ZL9moe_vec_qIN3c108BFloat16ELi256ELi32E10block_q5_KLi2EXadL_ZL17vec_dot_q5_K_q8_1PKvPK10block_q8_1RKiEEEvS4_S4_PT_PS8_iiii,comdat
	.globl	_ZL9moe_vec_qIN3c108BFloat16ELi256ELi32E10block_q5_KLi2EXadL_ZL17vec_dot_q5_K_q8_1PKvPK10block_q8_1RKiEEEvS4_S4_PT_PS8_iiii ; -- Begin function _ZL9moe_vec_qIN3c108BFloat16ELi256ELi32E10block_q5_KLi2EXadL_ZL17vec_dot_q5_K_q8_1PKvPK10block_q8_1RKiEEEvS4_S4_PT_PS8_iiii
	.p2align	8
	.type	_ZL9moe_vec_qIN3c108BFloat16ELi256ELi32E10block_q5_KLi2EXadL_ZL17vec_dot_q5_K_q8_1PKvPK10block_q8_1RKiEEEvS4_S4_PT_PS8_iiii,@function
_ZL9moe_vec_qIN3c108BFloat16ELi256ELi32E10block_q5_KLi2EXadL_ZL17vec_dot_q5_K_q8_1PKvPK10block_q8_1RKiEEEvS4_S4_PT_PS8_iiii: ; @_ZL9moe_vec_qIN3c108BFloat16ELi256ELi32E10block_q5_KLi2EXadL_ZL17vec_dot_q5_K_q8_1PKvPK10block_q8_1RKiEEEvS4_S4_PT_PS8_iiii
; %bb.0:
	s_clause 0x1
	s_load_u16 s3, s[0:1], 0x3e
	s_load_b128 s[4:7], s[0:1], 0x20
	s_bfe_u32 s2, ttmp6, 0x4000c
	s_and_b32 s8, ttmp6, 15
	s_add_co_i32 s2, s2, 1
	v_bfe_u32 v1, v0, 10, 10
	s_mul_i32 s2, ttmp9, s2
	s_delay_alu instid0(SALU_CYCLE_1) | instskip(SKIP_1) | instid1(SALU_CYCLE_1)
	s_add_co_i32 s8, s8, s2
	s_getreg_b32 s2, hwreg(HW_REG_IB_STS2, 6, 4)
	s_cmp_eq_u32 s2, 0
	s_cselect_b32 s8, ttmp9, s8
	s_wait_kmcnt 0x0
	v_mad_u32 v14, s8, s3, v1
	s_mov_b32 s3, exec_lo
	s_delay_alu instid0(VALU_DEP_1)
	v_cmpx_gt_u32_e64 s6, v14
	s_cbranch_execz .LBB283_11
; %bb.1:
	s_load_b64 s[8:9], s[0:1], 0x10
	s_bfe_u32 s3, ttmp6, 0x40014
	s_lshr_b32 s10, ttmp7, 16
	s_add_co_i32 s3, s3, 1
	s_bfe_u32 s11, ttmp6, 0x40008
	s_mul_i32 s3, s10, s3
	v_bfe_u32 v16, v0, 4, 6
	s_add_co_i32 s11, s11, s3
	s_cmp_eq_u32 s2, 0
	v_and_b32_e32 v15, 0x3ff, v0
	s_cselect_b32 s10, s10, s11
	s_ashr_i32 s2, s5, 31
	v_mov_b32_e32 v18, 0
	s_lshr_b32 s2, s2, 24
	s_mov_b32 s11, exec_lo
	s_add_co_i32 s2, s5, s2
	s_delay_alu instid0(SALU_CYCLE_1) | instskip(NEXT) | instid1(SALU_CYCLE_1)
	s_ashr_i32 s12, s2, 8
	v_cmpx_gt_u32_e64 s12, v16
	s_cbranch_execz .LBB283_9
; %bb.2:
	s_load_b64 s[2:3], s[0:1], 0x18
	s_cvt_f32_u32 s5, s4
	s_sub_co_i32 s16, 0, s4
	s_mul_i32 s14, s12, s6
	v_mul_lo_u32 v17, v14, s12
	v_rcp_iflag_f32_e32 v0, s5
	v_mov_b32_e32 v1, 0
	s_delay_alu instid0(VALU_DEP_1) | instskip(NEXT) | instid1(TRANS32_DEP_1)
	v_dual_mov_b32 v9, v1 :: v_dual_mov_b32 v18, v1
	v_readfirstlane_b32 s5, v0
	v_dual_mov_b32 v3, v1 :: v_dual_lshlrev_b32 v0, 1, v15
	s_mul_f32 s5, s5, 0x4f7ffffe
	s_delay_alu instid0(VALU_DEP_1)
	v_bfe_u32 v6, v0, 3, 2
	s_wait_kmcnt 0x0
	s_load_b32 s13, s[2:3], s10 offset:0x0 scale_offset
	v_and_b32_e32 v4, 30, v0
	s_cvt_u32_f32 s15, s5
	s_wait_xcnt 0x0
	s_load_b128 s[0:3], s[0:1], 0x0
	s_mov_b32 s5, 0
	v_lshlrev_b32_e32 v19, 1, v6
	s_mul_i32 s16, s16, s15
	v_cmp_lt_u32_e32 vcc_lo, 15, v4
	s_mul_hi_u32 s16, s15, s16
	v_dual_lshlrev_b32 v0, 5, v6 :: v_dual_bitop2_b32 v8, 3, v15 bitop3:0x40
	s_add_co_i32 s15, s15, s16
	v_dual_lshlrev_b32 v20, 3, v16 :: v_dual_lshlrev_b32 v6, 1, v6
	s_mul_hi_u32 s16, s10, s15
	s_delay_alu instid0(VALU_DEP_2)
	v_lshlrev_b32_e32 v2, 2, v8
	s_mul_i32 s15, s16, s4
	s_add_co_i32 s17, s16, 1
	s_sub_co_i32 s18, s10, s15
	v_dual_mov_b32 v7, v1 :: v_dual_lshlrev_b32 v8, 2, v8
	s_wait_kmcnt 0x0
	s_mul_i32 s14, s14, s13
	s_sub_co_i32 s13, s18, s4
	s_ashr_i32 s15, s14, 31
	s_cmp_ge_u32 s18, s4
	s_mul_u64 s[14:15], s[14:15], 0xb0
	s_cselect_b32 s16, s17, s16
	s_cselect_b32 s13, s13, s18
	s_add_co_i32 s17, s16, 1
	s_cmp_ge_u32 s13, s4
	s_cselect_b32 s4, s17, s16
	s_delay_alu instid0(SALU_CYCLE_1) | instskip(NEXT) | instid1(SALU_CYCLE_1)
	s_mul_i32 s4, s4, s7
	s_lshl_b64 s[16:17], s[4:5], 2
	s_delay_alu instid0(SALU_CYCLE_1) | instskip(NEXT) | instid1(SALU_CYCLE_1)
	s_add_nc_u64 s[2:3], s[2:3], s[16:17]
	v_mad_nc_u64_u32 v[4:5], v19, 36, s[2:3]
	s_add_nc_u64 s[2:3], s[0:1], s[14:15]
	s_movk_i32 s1, 0xff
	s_branch .LBB283_4
.LBB283_3:                              ;   in Loop: Header=BB283_4 Depth=1
	s_or_b32 exec_lo, exec_lo, s0
	v_mad_nc_i64_i32 v[12:13], v20, 36, v[4:5]
	v_add_nc_u32_e32 v16, 2, v16
	v_add_nc_u32_e32 v20, 16, v20
	s_delay_alu instid0(VALU_DEP_2) | instskip(NEXT) | instid1(VALU_DEP_4)
	v_cmp_le_u32_e64 s0, s12, v16
	v_add_nc_u64_e32 v[26:27], v[12:13], v[8:9]
	s_clause 0x4
	global_load_b32 v28, v[26:27], off offset:4
	global_load_b32 v29, v[26:27], off offset:20
	;; [unrolled: 1-line block ×4, first 2 shown]
	global_load_b32 v32, v[12:13], off
	global_load_b32 v33, v[10:11], off
	global_load_b32 v34, v[12:13], off offset:36
	s_wait_loadcnt 0x7
	s_wait_xcnt 0x0
	v_dual_ashrrev_i32 v11, v19, v25 :: v_dual_ashrrev_i32 v12, v19, v24
	v_and_b32_e32 v13, 0xf0f0f0f, v23
	v_and_b32_e32 v24, 0xf0f0f0f, v22
	v_dual_lshrrev_b32 v23, 4, v23 :: v_dual_lshrrev_b32 v22, 4, v22
	s_delay_alu instid0(VALU_DEP_4) | instskip(SKIP_1) | instid1(VALU_DEP_3)
	v_dual_lshlrev_b32 v26, 4, v12 :: v_dual_lshlrev_b32 v27, 4, v11
	v_dual_lshlrev_b32 v12, 3, v12 :: v_dual_lshlrev_b32 v11, 3, v11
	v_and_b32_e32 v22, 0xf0f0f0f, v22
	s_delay_alu instid0(VALU_DEP_4) | instskip(NEXT) | instid1(VALU_DEP_4)
	v_and_b32_e32 v23, 0xf0f0f0f, v23
	v_and_b32_e32 v27, 0x10101010, v27
	;; [unrolled: 1-line block ×5, first 2 shown]
	v_pk_lshrrev_b16 v10, 8, v21 op_sel_hi:[0,1]
	v_or_b32_e32 v37, v27, v24
	v_bitop3_b32 v24, v27, 31, v24 bitop3:0xc8
	v_or_b32_e32 v27, v11, v22
	v_or_b32_e32 v36, v26, v13
	v_bitop3_b32 v13, v26, 31, v13 bitop3:0xc8
	v_or_b32_e32 v26, v12, v23
	v_bitop3_b32 v11, v11, 31, v22 bitop3:0xc8
	v_dual_lshrrev_b32 v42, 24, v27 :: v_dual_lshrrev_b32 v38, 24, v37
	v_lshrrev_b16 v39, 8, v37
	v_bfe_u32 v37, v37, 16, 5
	v_bitop3_b32 v12, v12, 31, v23 bitop3:0xc8
	v_dual_lshrrev_b32 v40, 24, v26 :: v_dual_lshrrev_b32 v22, 24, v36
	v_lshrrev_b16 v23, 8, v36
	v_bfe_u32 v36, v36, 16, 5
	v_lshrrev_b16 v41, 8, v26
	v_lshrrev_b16 v43, 8, v27
	v_bfe_u32 v27, v27, 16, 5
	v_and_b32_e32 v39, 0xffff, v39
	v_and_b32_e32 v23, 0xffff, v23
	v_bfe_u32 v26, v26, 16, 5
	v_and_b32_e32 v43, 0xffff, v43
	v_and_b32_e32 v41, 0xffff, v41
	;; [unrolled: 1-line block ×3, first 2 shown]
	v_bitop3_b32 v21, v21, s1, 0xff00ff bitop3:0x80
	v_lshrrev_b32_e32 v35, 16, v10
	v_and_b32_e32 v10, 0xff, v10
	s_or_b32 s5, s0, s5
	v_lshrrev_b32_e32 v25, 16, v25
	s_wait_loadcnt 0x6
	v_lshrrev_b16 v44, 8, v28
	s_wait_loadcnt 0x5
	v_bfe_i32 v48, v29, 16, 8
	v_lshrrev_b16 v45, 8, v29
	s_wait_loadcnt 0x4
	v_lshrrev_b16 v46, 8, v30
	v_dual_ashrrev_i32 v47, 24, v29 :: v_dual_ashrrev_i32 v49, 24, v28
	v_bfe_i32 v29, v29, 0, 8
	v_bfe_i32 v50, v28, 0, 8
	;; [unrolled: 1-line block ×3, first 2 shown]
	v_mul_i32_i24_e32 v37, v48, v37
	v_bfe_i32 v44, v44, 0, 8
	s_wait_loadcnt 0x3
	v_dual_ashrrev_i32 v51, 24, v31 :: v_dual_ashrrev_i32 v54, 24, v30
	v_bfe_i32 v52, v31, 16, 8
	v_bfe_i32 v55, v30, 0, 8
	v_bfe_i32 v45, v45, 0, 8
	v_mul_i32_i24_e32 v24, v29, v24
	v_mul_i32_i24_e32 v38, v47, v38
	v_bfe_i32 v46, v46, 0, 8
	v_mad_i32_i24 v36, v28, v36, v37
	v_add_nc_u32_e32 v37, v50, v44
	v_bfe_i32 v53, v31, 8, 8
	v_bfe_i32 v31, v31, 0, 8
	;; [unrolled: 1-line block ×3, first 2 shown]
	v_mul_i32_i24_e32 v27, v52, v27
	v_mul_i32_i24_e32 v42, v51, v42
	;; [unrolled: 1-line block ×4, first 2 shown]
	v_mad_i32_i24 v13, v50, v13, v24
	v_mad_i32_i24 v22, v49, v22, v38
	v_add_nc_u32_e32 v24, v55, v46
	v_add3_u32 v28, v37, v28, v49
	v_mul_i32_i24_e32 v11, v31, v11
	v_mul_i32_i24_e32 v43, v53, v43
	;; [unrolled: 1-line block ×3, first 2 shown]
	v_mad_i32_i24 v26, v30, v26, v27
	v_mad_i32_i24 v27, v54, v40, v42
	v_add3_u32 v24, v24, v30, v54
	v_add3_u32 v22, v23, v39, v22
	;; [unrolled: 1-line block ×3, first 2 shown]
	v_mad_i32_i24 v11, v55, v12, v11
	v_add3_u32 v12, v38, v43, v27
	v_add3_u32 v24, v24, v51, v31
	;; [unrolled: 1-line block ×4, first 2 shown]
	s_delay_alu instid0(VALU_DEP_4) | instskip(NEXT) | instid1(VALU_DEP_4)
	v_add3_u32 v11, v11, v26, v12
	v_add3_u32 v12, v24, v53, v52
	s_delay_alu instid0(VALU_DEP_4) | instskip(NEXT) | instid1(VALU_DEP_4)
	v_mul_lo_u32 v13, v13, v21
	v_mul_lo_u32 v21, v22, v25
	s_wait_loadcnt 0x0
	v_cvt_f32_f16_e32 v22, v34
	v_mul_lo_u32 v11, v11, v10
	v_mul_lo_u32 v23, v12, v35
	v_cvt_f32_f16_e32 v10, v32
	v_cvt_f32_i32_e32 v12, v13
	v_cvt_f32_i32_e32 v13, v21
	v_lshrrev_b32_e32 v21, 16, v33
	v_cvt_f32_i32_e32 v24, v11
	v_cvt_f32_i32_e32 v25, v23
	s_delay_alu instid0(VALU_DEP_4) | instskip(SKIP_2) | instid1(VALU_DEP_3)
	v_pk_fma_f32 v[10:11], v[10:11], v[12:13], 0 op_sel_hi:[0,1,0]
	v_cvt_f32_f16_e32 v12, v33
	v_cvt_f32_f16_e32 v13, v21
	v_pk_fma_f32 v[10:11], v[22:23], v[24:25], v[10:11] op_sel_hi:[0,1,1]
	s_delay_alu instid0(VALU_DEP_1) | instskip(NEXT) | instid1(VALU_DEP_1)
	v_pk_mul_f32 v[10:11], v[10:11], v[12:13]
	v_sub_f32_e32 v10, v10, v11
	s_delay_alu instid0(VALU_DEP_1)
	v_add_f32_e32 v18, v18, v10
	s_and_not1_b32 exec_lo, exec_lo, s5
	s_cbranch_execz .LBB283_8
.LBB283_4:                              ; =>This Inner Loop Header: Depth=1
	v_add_nc_u32_e32 v10, v17, v16
                                        ; implicit-def: $vgpr21
	s_delay_alu instid0(VALU_DEP_1) | instskip(NEXT) | instid1(VALU_DEP_1)
	v_mad_nc_i64_i32 v[10:11], 0xb0, v10, s[2:3]
	v_add_nc_u64_e32 v[12:13], v[10:11], v[0:1]
	v_add_nc_u64_e32 v[26:27], v[10:11], v[2:3]
	s_delay_alu instid0(VALU_DEP_2)
	v_add_nc_u64_e32 v[12:13], v[12:13], v[2:3]
	s_clause 0x3
	global_load_b32 v23, v[12:13], off offset:48
	global_load_b32 v22, v[12:13], off offset:64
	;; [unrolled: 1-line block ×4, first 2 shown]
	s_wait_xcnt 0x2
	v_add_nc_u64_e32 v[12:13], v[10:11], v[6:7]
	s_wait_xcnt 0x0
	s_and_saveexec_b32 s0, vcc_lo
	s_delay_alu instid0(SALU_CYCLE_1)
	s_xor_b32 s0, exec_lo, s0
	s_cbranch_execz .LBB283_6
; %bb.5:                                ;   in Loop: Header=BB283_4 Depth=1
	s_clause 0x2
	global_load_u16 v21, v[12:13], off
	global_load_u16 v26, v[12:13], off offset:8
	global_load_u16 v27, v[12:13], off offset:4
	s_wait_loadcnt 0x1
	s_wait_xcnt 0x0
	v_pk_lshrrev_b16 v12, 4, v26 op_sel:[1,0] op_sel_hi:[0,0]
	s_wait_loadcnt 0x0
	v_perm_b32 v13, v27, v21, 0x5040100
	s_delay_alu instid0(VALU_DEP_2) | instskip(NEXT) | instid1(VALU_DEP_2)
	v_and_b32_e32 v12, 0xf0f0f0f, v12
	v_pk_lshrrev_b16 v13, 2, v13 op_sel_hi:[0,1]
	s_delay_alu instid0(VALU_DEP_1)
	v_and_or_b32 v21, 0x30303030, v13, v12
                                        ; implicit-def: $vgpr12_vgpr13
.LBB283_6:                              ;   in Loop: Header=BB283_4 Depth=1
	s_and_not1_saveexec_b32 s0, s0
	s_cbranch_execz .LBB283_3
; %bb.7:                                ;   in Loop: Header=BB283_4 Depth=1
	s_clause 0x1
	global_load_u16 v21, v[12:13], off offset:4
	global_load_u16 v26, v[12:13], off offset:8
	s_wait_loadcnt 0x0
	v_perm_b32 v12, v26, v21, 0x5040100
	s_delay_alu instid0(VALU_DEP_1)
	v_and_b32_e32 v21, 0x3f3f3f3f, v12
	s_branch .LBB283_3
.LBB283_8:
	s_or_b32 exec_lo, exec_lo, s5
.LBB283_9:
	s_delay_alu instid0(SALU_CYCLE_1) | instskip(SKIP_1) | instid1(VALU_DEP_1)
	s_or_b32 exec_lo, exec_lo, s11
	v_mbcnt_lo_u32_b32 v0, -1, 0
	v_xor_b32_e32 v2, 8, v0
	v_xor_b32_e32 v1, 16, v0
	;; [unrolled: 1-line block ×3, first 2 shown]
	s_delay_alu instid0(VALU_DEP_2) | instskip(SKIP_4) | instid1(VALU_DEP_2)
	v_cmp_gt_i32_e32 vcc_lo, 32, v1
	v_cndmask_b32_e32 v1, v0, v1, vcc_lo
	v_cmp_gt_i32_e32 vcc_lo, 32, v2
	v_cndmask_b32_e32 v2, v0, v2, vcc_lo
	v_cmp_gt_i32_e32 vcc_lo, 32, v3
	v_dual_lshlrev_b32 v2, 2, v2 :: v_dual_lshlrev_b32 v1, 2, v1
	ds_bpermute_b32 v1, v1, v18
	s_wait_dscnt 0x0
	v_add_f32_e32 v1, v18, v1
	ds_bpermute_b32 v2, v2, v1
	s_wait_dscnt 0x0
	v_dual_cndmask_b32 v3, v0, v3, vcc_lo :: v_dual_add_f32 v1, v1, v2
	s_delay_alu instid0(VALU_DEP_1) | instskip(SKIP_3) | instid1(VALU_DEP_1)
	v_lshlrev_b32_e32 v3, 2, v3
	ds_bpermute_b32 v2, v3, v1
	s_wait_dscnt 0x0
	v_dual_add_f32 v1, v1, v2 :: v_dual_bitop2_b32 v3, 2, v0 bitop3:0x14
	v_cmp_gt_i32_e32 vcc_lo, 32, v3
	v_cndmask_b32_e32 v3, v0, v3, vcc_lo
	s_delay_alu instid0(VALU_DEP_1) | instskip(SKIP_2) | instid1(VALU_DEP_1)
	v_lshlrev_b32_e32 v3, 2, v3
	ds_bpermute_b32 v2, v3, v1
	v_xor_b32_e32 v3, 1, v0
	v_cmp_gt_i32_e32 vcc_lo, 32, v3
	v_cndmask_b32_e32 v3, v0, v3, vcc_lo
	v_cmp_eq_u32_e32 vcc_lo, 0, v15
	s_wait_dscnt 0x0
	s_delay_alu instid0(VALU_DEP_2)
	v_dual_add_f32 v0, v1, v2 :: v_dual_lshlrev_b32 v1, 2, v3
	ds_bpermute_b32 v1, v1, v0
	s_and_b32 exec_lo, exec_lo, vcc_lo
	s_cbranch_execz .LBB283_11
; %bb.10:
	s_wait_dscnt 0x0
	v_add_f32_e32 v0, v0, v1
	v_mad_u32 v2, s6, s10, v14
	s_delay_alu instid0(VALU_DEP_2) | instskip(NEXT) | instid1(VALU_DEP_1)
	v_bfe_u32 v1, v0, 16, 1
	v_add3_u32 v1, v0, v1, 0x7fff
	s_delay_alu instid0(VALU_DEP_1) | instskip(SKIP_1) | instid1(VALU_DEP_2)
	v_lshrrev_b32_e32 v1, 16, v1
	v_cmp_o_f32_e32 vcc_lo, v0, v0
	v_cndmask_b32_e32 v0, 0x7fc0, v1, vcc_lo
	s_wait_kmcnt 0x0
	global_store_b16 v2, v0, s[8:9] scale_offset
.LBB283_11:
	s_endpgm
	.section	.rodata,"a",@progbits
	.p2align	6, 0x0
	.amdhsa_kernel _ZL9moe_vec_qIN3c108BFloat16ELi256ELi32E10block_q5_KLi2EXadL_ZL17vec_dot_q5_K_q8_1PKvPK10block_q8_1RKiEEEvS4_S4_PT_PS8_iiii
		.amdhsa_group_segment_fixed_size 0
		.amdhsa_private_segment_fixed_size 0
		.amdhsa_kernarg_size 304
		.amdhsa_user_sgpr_count 2
		.amdhsa_user_sgpr_dispatch_ptr 0
		.amdhsa_user_sgpr_queue_ptr 0
		.amdhsa_user_sgpr_kernarg_segment_ptr 1
		.amdhsa_user_sgpr_dispatch_id 0
		.amdhsa_user_sgpr_kernarg_preload_length 0
		.amdhsa_user_sgpr_kernarg_preload_offset 0
		.amdhsa_user_sgpr_private_segment_size 0
		.amdhsa_wavefront_size32 1
		.amdhsa_uses_dynamic_stack 0
		.amdhsa_enable_private_segment 0
		.amdhsa_system_sgpr_workgroup_id_x 1
		.amdhsa_system_sgpr_workgroup_id_y 0
		.amdhsa_system_sgpr_workgroup_id_z 1
		.amdhsa_system_sgpr_workgroup_info 0
		.amdhsa_system_vgpr_workitem_id 1
		.amdhsa_next_free_vgpr 56
		.amdhsa_next_free_sgpr 19
		.amdhsa_named_barrier_count 0
		.amdhsa_reserve_vcc 1
		.amdhsa_float_round_mode_32 0
		.amdhsa_float_round_mode_16_64 0
		.amdhsa_float_denorm_mode_32 3
		.amdhsa_float_denorm_mode_16_64 3
		.amdhsa_fp16_overflow 0
		.amdhsa_memory_ordered 1
		.amdhsa_forward_progress 1
		.amdhsa_inst_pref_size 16
		.amdhsa_round_robin_scheduling 0
		.amdhsa_exception_fp_ieee_invalid_op 0
		.amdhsa_exception_fp_denorm_src 0
		.amdhsa_exception_fp_ieee_div_zero 0
		.amdhsa_exception_fp_ieee_overflow 0
		.amdhsa_exception_fp_ieee_underflow 0
		.amdhsa_exception_fp_ieee_inexact 0
		.amdhsa_exception_int_div_zero 0
	.end_amdhsa_kernel
	.section	.text._ZL9moe_vec_qIN3c108BFloat16ELi256ELi32E10block_q5_KLi2EXadL_ZL17vec_dot_q5_K_q8_1PKvPK10block_q8_1RKiEEEvS4_S4_PT_PS8_iiii,"axG",@progbits,_ZL9moe_vec_qIN3c108BFloat16ELi256ELi32E10block_q5_KLi2EXadL_ZL17vec_dot_q5_K_q8_1PKvPK10block_q8_1RKiEEEvS4_S4_PT_PS8_iiii,comdat
.Lfunc_end283:
	.size	_ZL9moe_vec_qIN3c108BFloat16ELi256ELi32E10block_q5_KLi2EXadL_ZL17vec_dot_q5_K_q8_1PKvPK10block_q8_1RKiEEEvS4_S4_PT_PS8_iiii, .Lfunc_end283-_ZL9moe_vec_qIN3c108BFloat16ELi256ELi32E10block_q5_KLi2EXadL_ZL17vec_dot_q5_K_q8_1PKvPK10block_q8_1RKiEEEvS4_S4_PT_PS8_iiii
                                        ; -- End function
	.set _ZL9moe_vec_qIN3c108BFloat16ELi256ELi32E10block_q5_KLi2EXadL_ZL17vec_dot_q5_K_q8_1PKvPK10block_q8_1RKiEEEvS4_S4_PT_PS8_iiii.num_vgpr, 56
	.set _ZL9moe_vec_qIN3c108BFloat16ELi256ELi32E10block_q5_KLi2EXadL_ZL17vec_dot_q5_K_q8_1PKvPK10block_q8_1RKiEEEvS4_S4_PT_PS8_iiii.num_agpr, 0
	.set _ZL9moe_vec_qIN3c108BFloat16ELi256ELi32E10block_q5_KLi2EXadL_ZL17vec_dot_q5_K_q8_1PKvPK10block_q8_1RKiEEEvS4_S4_PT_PS8_iiii.numbered_sgpr, 19
	.set _ZL9moe_vec_qIN3c108BFloat16ELi256ELi32E10block_q5_KLi2EXadL_ZL17vec_dot_q5_K_q8_1PKvPK10block_q8_1RKiEEEvS4_S4_PT_PS8_iiii.num_named_barrier, 0
	.set _ZL9moe_vec_qIN3c108BFloat16ELi256ELi32E10block_q5_KLi2EXadL_ZL17vec_dot_q5_K_q8_1PKvPK10block_q8_1RKiEEEvS4_S4_PT_PS8_iiii.private_seg_size, 0
	.set _ZL9moe_vec_qIN3c108BFloat16ELi256ELi32E10block_q5_KLi2EXadL_ZL17vec_dot_q5_K_q8_1PKvPK10block_q8_1RKiEEEvS4_S4_PT_PS8_iiii.uses_vcc, 1
	.set _ZL9moe_vec_qIN3c108BFloat16ELi256ELi32E10block_q5_KLi2EXadL_ZL17vec_dot_q5_K_q8_1PKvPK10block_q8_1RKiEEEvS4_S4_PT_PS8_iiii.uses_flat_scratch, 0
	.set _ZL9moe_vec_qIN3c108BFloat16ELi256ELi32E10block_q5_KLi2EXadL_ZL17vec_dot_q5_K_q8_1PKvPK10block_q8_1RKiEEEvS4_S4_PT_PS8_iiii.has_dyn_sized_stack, 0
	.set _ZL9moe_vec_qIN3c108BFloat16ELi256ELi32E10block_q5_KLi2EXadL_ZL17vec_dot_q5_K_q8_1PKvPK10block_q8_1RKiEEEvS4_S4_PT_PS8_iiii.has_recursion, 0
	.set _ZL9moe_vec_qIN3c108BFloat16ELi256ELi32E10block_q5_KLi2EXadL_ZL17vec_dot_q5_K_q8_1PKvPK10block_q8_1RKiEEEvS4_S4_PT_PS8_iiii.has_indirect_call, 0
	.section	.AMDGPU.csdata,"",@progbits
; Kernel info:
; codeLenInByte = 2004
; TotalNumSgprs: 21
; NumVgprs: 56
; ScratchSize: 0
; MemoryBound: 0
; FloatMode: 240
; IeeeMode: 1
; LDSByteSize: 0 bytes/workgroup (compile time only)
; SGPRBlocks: 0
; VGPRBlocks: 3
; NumSGPRsForWavesPerEU: 21
; NumVGPRsForWavesPerEU: 56
; NamedBarCnt: 0
; Occupancy: 16
; WaveLimiterHint : 1
; COMPUTE_PGM_RSRC2:SCRATCH_EN: 0
; COMPUTE_PGM_RSRC2:USER_SGPR: 2
; COMPUTE_PGM_RSRC2:TRAP_HANDLER: 0
; COMPUTE_PGM_RSRC2:TGID_X_EN: 1
; COMPUTE_PGM_RSRC2:TGID_Y_EN: 0
; COMPUTE_PGM_RSRC2:TGID_Z_EN: 1
; COMPUTE_PGM_RSRC2:TIDIG_COMP_CNT: 1
	.section	.text._ZL9moe_vec_qIN3c108BFloat16ELi256ELi32E10block_q6_KLi1EXadL_ZL17vec_dot_q6_K_q8_1PKvPK10block_q8_1RKiEEEvS4_S4_PT_PS8_iiii,"axG",@progbits,_ZL9moe_vec_qIN3c108BFloat16ELi256ELi32E10block_q6_KLi1EXadL_ZL17vec_dot_q6_K_q8_1PKvPK10block_q8_1RKiEEEvS4_S4_PT_PS8_iiii,comdat
	.globl	_ZL9moe_vec_qIN3c108BFloat16ELi256ELi32E10block_q6_KLi1EXadL_ZL17vec_dot_q6_K_q8_1PKvPK10block_q8_1RKiEEEvS4_S4_PT_PS8_iiii ; -- Begin function _ZL9moe_vec_qIN3c108BFloat16ELi256ELi32E10block_q6_KLi1EXadL_ZL17vec_dot_q6_K_q8_1PKvPK10block_q8_1RKiEEEvS4_S4_PT_PS8_iiii
	.p2align	8
	.type	_ZL9moe_vec_qIN3c108BFloat16ELi256ELi32E10block_q6_KLi1EXadL_ZL17vec_dot_q6_K_q8_1PKvPK10block_q8_1RKiEEEvS4_S4_PT_PS8_iiii,@function
_ZL9moe_vec_qIN3c108BFloat16ELi256ELi32E10block_q6_KLi1EXadL_ZL17vec_dot_q6_K_q8_1PKvPK10block_q8_1RKiEEEvS4_S4_PT_PS8_iiii: ; @_ZL9moe_vec_qIN3c108BFloat16ELi256ELi32E10block_q6_KLi1EXadL_ZL17vec_dot_q6_K_q8_1PKvPK10block_q8_1RKiEEEvS4_S4_PT_PS8_iiii
; %bb.0:
	s_clause 0x1
	s_load_u16 s2, s[0:1], 0x3e
	s_load_b128 s[4:7], s[0:1], 0x20
	s_bfe_u32 s3, ttmp6, 0x4000c
	s_and_b32 s8, ttmp6, 15
	s_add_co_i32 s3, s3, 1
	v_bfe_u32 v1, v0, 10, 10
	s_mul_i32 s3, ttmp9, s3
	s_delay_alu instid0(SALU_CYCLE_1) | instskip(SKIP_1) | instid1(SALU_CYCLE_1)
	s_add_co_i32 s3, s8, s3
	s_getreg_b32 s8, hwreg(HW_REG_IB_STS2, 6, 4)
	s_cmp_eq_u32 s8, 0
	s_cselect_b32 s3, ttmp9, s3
	s_wait_kmcnt 0x0
	v_mad_u32 v10, s3, s2, v1
	s_mov_b32 s2, exec_lo
	s_delay_alu instid0(VALU_DEP_1)
	v_cmpx_gt_u32_e64 s6, v10
	s_cbranch_execz .LBB284_7
; %bb.1:
	s_load_b64 s[2:3], s[0:1], 0x10
	s_bfe_u32 s9, ttmp6, 0x40014
	s_lshr_b32 s10, ttmp7, 16
	s_add_co_i32 s9, s9, 1
	s_bfe_u32 s11, ttmp6, 0x40008
	s_mul_i32 s9, s10, s9
	v_bfe_u32 v12, v0, 5, 5
	s_add_co_i32 s11, s11, s9
	s_cmp_eq_u32 s8, 0
	v_and_b32_e32 v11, 0x3ff, v0
	s_cselect_b32 s12, s10, s11
	s_ashr_i32 s8, s5, 31
	v_mov_b32_e32 v13, 0
	s_lshr_b32 s8, s8, 24
	s_mov_b32 s13, exec_lo
	s_add_co_i32 s5, s5, s8
	s_delay_alu instid0(SALU_CYCLE_1) | instskip(NEXT) | instid1(SALU_CYCLE_1)
	s_ashr_i32 s14, s5, 8
	v_cmpx_gt_u32_e64 s14, v12
	s_cbranch_execz .LBB284_5
; %bb.2:
	s_load_b64 s[8:9], s[0:1], 0x18
	s_cvt_f32_u32 s5, s4
	v_mul_lo_u32 v14, v10, s14
	v_dual_lshlrev_b32 v16, 3, v12 :: v_dual_bitop2_b32 v5, 7, v11 bitop3:0x40
	s_delay_alu instid0(SALU_CYCLE_1) | instskip(SKIP_1) | instid1(TRANS32_DEP_1)
	v_rcp_iflag_f32_e32 v0, s5
	v_nop
	v_readfirstlane_b32 s5, v0
	v_and_b32_e32 v0, 31, v11
	s_mul_f32 s5, s5, 0x4f7ffffe
	s_delay_alu instid0(VALU_DEP_1)
	v_add_nc_u32_e32 v1, 0xf0, v0
	v_cmp_lt_u32_e32 vcc_lo, 15, v0
	s_wait_kmcnt 0x0
	s_load_b32 s15, s[8:9], s12 offset:0x0 scale_offset
	s_cvt_u32_f32 s5, s5
	s_wait_xcnt 0x0
	s_sub_co_i32 s8, 0, s4
	v_cndmask_b32_e64 v8, 0, 8, vcc_lo
	s_mul_i32 s16, s8, s5
	s_load_b128 s[8:11], s[0:1], 0x0
	s_wait_xcnt 0x0
	s_mul_hi_u32 s0, s5, s16
	s_mul_i32 s16, s14, s6
	s_add_co_i32 s5, s5, s0
	s_mov_b32 s1, 0
	s_mul_hi_u32 s0, s12, s5
	s_delay_alu instid0(SALU_CYCLE_1)
	s_mul_i32 s5, s0, s4
	s_add_co_i32 s18, s0, 1
	s_sub_co_i32 s5, s12, s5
	s_wait_kmcnt 0x0
	s_mul_i32 s16, s16, s15
	s_sub_co_i32 s15, s5, s4
	s_ashr_i32 s17, s16, 31
	s_cmp_ge_u32 s5, s4
	s_cselect_b32 s0, s18, s0
	s_cselect_b32 s5, s15, s5
	s_add_co_i32 s15, s0, 1
	s_cmp_ge_u32 s5, s4
	s_cselect_b32 s4, s15, s0
	v_cmp_gt_u32_e64 s0, 16, v0
	s_delay_alu instid0(VALU_DEP_1) | instskip(SKIP_3) | instid1(VALU_DEP_2)
	v_cndmask_b32_e64 v4, v1, v0, s0
	s_mul_i32 s0, s4, s7
	v_cndmask_b32_e64 v1, 0, 4, vcc_lo
	s_lshl_b64 s[4:5], s[0:1], 2
	v_and_b32_e32 v2, 0xf8, v4
	s_add_nc_u64 s[4:5], s[10:11], s[4:5]
	v_bfe_u32 v13, v4, 2, 6
	v_mad_nc_u64_u32 v[6:7], v1, 36, s[4:5]
	v_mov_b32_e32 v1, 0
	v_cmp_ne_u32_e32 vcc_lo, 0, v2
	v_dual_lshlrev_b32 v0, 2, v0 :: v_dual_bitop2_b32 v3, v8, v5 bitop3:0x54
	s_delay_alu instid0(VALU_DEP_3) | instskip(SKIP_1) | instid1(VALU_DEP_3)
	v_dual_mov_b32 v5, v1 :: v_dual_lshlrev_b32 v4, 2, v5
	v_cndmask_b32_e64 v9, 0, 1, vcc_lo
	v_dual_mov_b32 v3, v1 :: v_dual_lshlrev_b32 v2, 2, v3
	v_cndmask_b32_e64 v15, 0, 2, vcc_lo
	v_add_nc_u32_e32 v8, v13, v8
	s_delay_alu instid0(VALU_DEP_4) | instskip(SKIP_2) | instid1(SALU_CYCLE_1)
	v_mad_nc_u64_u32 v[6:7], v9, 36, v[6:7]
	v_dual_mov_b32 v9, v1 :: v_dual_mov_b32 v13, v1
	s_mul_u64 s[4:5], s[16:17], 0xd2
	s_add_nc_u64 s[4:5], s[8:9], s[4:5]
.LBB284_3:                              ; =>This Inner Loop Header: Depth=1
	v_add_nc_u32_e32 v17, v14, v12
	s_delay_alu instid0(VALU_DEP_3) | instskip(SKIP_2) | instid1(VALU_DEP_4)
	v_mad_nc_i64_i32 v[18:19], v16, 36, v[6:7]
	v_add_nc_u32_e32 v12, 1, v12
	v_add_nc_u32_e32 v16, 8, v16
	v_mad_nc_i64_i32 v[20:21], 0xd2, v17, s[4:5]
	s_delay_alu instid0(VALU_DEP_3) | instskip(SKIP_2) | instid1(VALU_DEP_3)
	v_cmp_le_u32_e32 vcc_lo, s14, v12
	s_or_b32 s1, vcc_lo, s1
	v_add_nc_u64_e32 v[22:23], v[18:19], v[4:5]
	v_add_nc_u64_e32 v[24:25], v[20:21], v[0:1]
	;; [unrolled: 1-line block ×3, first 2 shown]
	global_load_b32 v17, v[22:23], off offset:4
	s_clause 0x1
	global_load_b32 v28, v[24:25], off
	global_load_b32 v29, v[26:27], off offset:128
	global_load_b32 v30, v[22:23], off offset:76
	s_wait_xcnt 0x0
	v_add_nc_u64_e32 v[22:23], v[20:21], v[8:9]
	s_clause 0x1
	global_load_i8 v24, v[22:23], off offset:192
	global_load_i8 v25, v[22:23], off offset:196
	s_clause 0x1
	global_load_b32 v26, v[18:19], off
	global_load_b32 v27, v[18:19], off offset:72
	global_load_u16 v31, v[20:21], off offset:208
	s_wait_loadcnt 0x8
	s_wait_xcnt 0x1
	v_ashrrev_i32_e32 v19, 24, v17
	s_wait_loadcnt 0x7
	v_and_b32_e32 v32, 0xf0f0f0f, v28
	s_wait_loadcnt 0x6
	v_dual_ashrrev_i32 v29, v15, v29 :: v_dual_lshrrev_b32 v28, 4, v28
	v_lshrrev_b16 v18, 8, v17
	s_wait_xcnt 0x0
	v_bfe_i32 v20, v17, 16, 8
	v_bfe_i32 v17, v17, 0, 8
	v_lshlrev_b32_e32 v33, 4, v29
	v_and_b32_e32 v28, 0xf0f0f0f, v28
	s_wait_loadcnt 0x5
	v_bfe_i32 v22, v30, 0, 8
	v_bfe_i32 v18, v18, 0, 8
	;; [unrolled: 1-line block ×3, first 2 shown]
	v_and_or_b32 v32, 0x30303030, v33, v32
	v_ashrrev_i32_e32 v23, 24, v30
	v_bfe_i32 v30, v30, 16, 8
	s_delay_alu instid0(VALU_DEP_3) | instskip(SKIP_3) | instid1(VALU_DEP_4)
	v_lshrrev_b32_e32 v33, 16, v32
	v_and_or_b32 v28, 0x30303030, v29, v28
	v_lshlrev_b16 v29, 8, v32
	v_and_b32_e32 v32, 0x3f00, v32
	v_lshlrev_b16 v36, 8, v33
	s_delay_alu instid0(VALU_DEP_4)
	v_lshrrev_b32_e32 v34, 16, v28
	v_lshlrev_b16 v35, 8, v28
	v_and_b32_e32 v33, 0x3f00, v33
	v_add_nc_u16 v29, 0xe000, v29
	v_add_nc_u16 v32, 0xe000, v32
	v_lshlrev_b16 v37, 8, v34
	v_add_nc_u16 v35, 0xe000, v35
	v_add_nc_u16 v33, 0xe000, v33
	v_ashrrev_i16 v29, 8, v29
	v_add_nc_u16 v36, 0xe000, v36
	v_add_nc_u16 v37, 0xe000, v37
	v_lshrrev_b16 v35, 8, v35
	v_ashrrev_i16 v33, 8, v33
	v_ashrrev_i16 v32, 8, v32
	;; [unrolled: 1-line block ×3, first 2 shown]
	v_lshrrev_b16 v37, 8, v37
	v_bitop3_b16 v28, v28, v35, 0x3f00 bitop3:0xec
	v_bfe_i32 v29, v29, 0, 16
	v_bfe_i32 v33, v33, 0, 16
	;; [unrolled: 1-line block ×3, first 2 shown]
	v_bitop3_b16 v34, v34, v37, 0x3f00 bitop3:0xec
	v_add_nc_u16 v28, 0xe000, v28
	v_bfe_i32 v35, v36, 0, 16
	v_mul_i32_i24_e32 v17, v29, v17
	v_mul_i32_i24_e32 v19, v33, v19
	v_add_nc_u16 v29, 0xe000, v34
	v_bfe_i32 v33, v28, 0, 8
	v_mul_i32_i24_e32 v20, v35, v20
	v_bfe_i32 v28, v28, 8, 8
	v_mad_i32_i24 v18, v32, v18, v19
	v_bfe_i32 v19, v29, 0, 8
	v_bfe_i32 v29, v29, 8, 8
	v_mul_i32_i24_e32 v22, v22, v33
	s_delay_alu instid0(VALU_DEP_4) | instskip(NEXT) | instid1(VALU_DEP_4)
	v_add3_u32 v17, v17, v20, v18
	v_mul_i32_i24_e32 v18, v30, v19
	s_delay_alu instid0(VALU_DEP_4) | instskip(NEXT) | instid1(VALU_DEP_4)
	v_mul_i32_i24_e32 v19, v23, v29
	v_mad_i32_i24 v20, v21, v28, v22
	s_wait_loadcnt 0x4
	v_mul_lo_u32 v17, v17, v24
	s_delay_alu instid0(VALU_DEP_2) | instskip(SKIP_1) | instid1(VALU_DEP_1)
	v_add3_u32 v18, v20, v18, v19
	s_wait_loadcnt 0x3
	v_mul_lo_u32 v18, v18, v25
	s_delay_alu instid0(VALU_DEP_3) | instskip(SKIP_1) | instid1(VALU_DEP_1)
	v_cvt_f32_i32_e32 v17, v17
	s_wait_loadcnt 0x2
	v_fma_mix_f32 v17, v26, v17, 0 op_sel_hi:[1,0,0]
	s_delay_alu instid0(VALU_DEP_3) | instskip(SKIP_1) | instid1(VALU_DEP_1)
	v_cvt_f32_i32_e32 v18, v18
	s_wait_loadcnt 0x1
	v_fma_mix_f32 v17, v27, v18, v17 op_sel_hi:[1,0,0]
	s_wait_loadcnt 0x0
	s_delay_alu instid0(VALU_DEP_1)
	v_fma_mix_f32 v13, v17, v31, v13 op_sel_hi:[0,1,0]
	s_and_not1_b32 exec_lo, exec_lo, s1
	s_cbranch_execnz .LBB284_3
; %bb.4:
	s_or_b32 exec_lo, exec_lo, s1
.LBB284_5:
	s_delay_alu instid0(SALU_CYCLE_1) | instskip(SKIP_1) | instid1(VALU_DEP_1)
	s_or_b32 exec_lo, exec_lo, s13
	v_mbcnt_lo_u32_b32 v0, -1, 0
	v_xor_b32_e32 v2, 8, v0
	v_xor_b32_e32 v1, 16, v0
	;; [unrolled: 1-line block ×3, first 2 shown]
	s_delay_alu instid0(VALU_DEP_2) | instskip(SKIP_4) | instid1(VALU_DEP_2)
	v_cmp_gt_i32_e32 vcc_lo, 32, v1
	v_cndmask_b32_e32 v1, v0, v1, vcc_lo
	v_cmp_gt_i32_e32 vcc_lo, 32, v2
	v_cndmask_b32_e32 v2, v0, v2, vcc_lo
	v_cmp_gt_i32_e32 vcc_lo, 32, v3
	v_dual_lshlrev_b32 v2, 2, v2 :: v_dual_lshlrev_b32 v1, 2, v1
	ds_bpermute_b32 v1, v1, v13
	s_wait_dscnt 0x0
	v_add_f32_e32 v1, v13, v1
	ds_bpermute_b32 v2, v2, v1
	s_wait_dscnt 0x0
	v_dual_cndmask_b32 v3, v0, v3, vcc_lo :: v_dual_add_f32 v1, v1, v2
	s_delay_alu instid0(VALU_DEP_1) | instskip(SKIP_3) | instid1(VALU_DEP_1)
	v_lshlrev_b32_e32 v3, 2, v3
	ds_bpermute_b32 v2, v3, v1
	s_wait_dscnt 0x0
	v_dual_add_f32 v1, v1, v2 :: v_dual_bitop2_b32 v3, 2, v0 bitop3:0x14
	v_cmp_gt_i32_e32 vcc_lo, 32, v3
	v_cndmask_b32_e32 v3, v0, v3, vcc_lo
	s_delay_alu instid0(VALU_DEP_1) | instskip(SKIP_2) | instid1(VALU_DEP_1)
	v_lshlrev_b32_e32 v3, 2, v3
	ds_bpermute_b32 v2, v3, v1
	v_xor_b32_e32 v3, 1, v0
	v_cmp_gt_i32_e32 vcc_lo, 32, v3
	v_cndmask_b32_e32 v3, v0, v3, vcc_lo
	v_cmp_eq_u32_e32 vcc_lo, 0, v11
	s_wait_dscnt 0x0
	s_delay_alu instid0(VALU_DEP_2)
	v_dual_add_f32 v0, v1, v2 :: v_dual_lshlrev_b32 v1, 2, v3
	ds_bpermute_b32 v1, v1, v0
	s_and_b32 exec_lo, exec_lo, vcc_lo
	s_cbranch_execz .LBB284_7
; %bb.6:
	s_wait_dscnt 0x0
	v_add_f32_e32 v0, v0, v1
	v_mad_u32 v2, s6, s12, v10
	s_delay_alu instid0(VALU_DEP_2) | instskip(NEXT) | instid1(VALU_DEP_1)
	v_bfe_u32 v1, v0, 16, 1
	v_add3_u32 v1, v0, v1, 0x7fff
	s_delay_alu instid0(VALU_DEP_1) | instskip(SKIP_1) | instid1(VALU_DEP_2)
	v_lshrrev_b32_e32 v1, 16, v1
	v_cmp_o_f32_e32 vcc_lo, v0, v0
	v_cndmask_b32_e32 v0, 0x7fc0, v1, vcc_lo
	s_wait_kmcnt 0x0
	global_store_b16 v2, v0, s[2:3] scale_offset
.LBB284_7:
	s_endpgm
	.section	.rodata,"a",@progbits
	.p2align	6, 0x0
	.amdhsa_kernel _ZL9moe_vec_qIN3c108BFloat16ELi256ELi32E10block_q6_KLi1EXadL_ZL17vec_dot_q6_K_q8_1PKvPK10block_q8_1RKiEEEvS4_S4_PT_PS8_iiii
		.amdhsa_group_segment_fixed_size 0
		.amdhsa_private_segment_fixed_size 0
		.amdhsa_kernarg_size 304
		.amdhsa_user_sgpr_count 2
		.amdhsa_user_sgpr_dispatch_ptr 0
		.amdhsa_user_sgpr_queue_ptr 0
		.amdhsa_user_sgpr_kernarg_segment_ptr 1
		.amdhsa_user_sgpr_dispatch_id 0
		.amdhsa_user_sgpr_kernarg_preload_length 0
		.amdhsa_user_sgpr_kernarg_preload_offset 0
		.amdhsa_user_sgpr_private_segment_size 0
		.amdhsa_wavefront_size32 1
		.amdhsa_uses_dynamic_stack 0
		.amdhsa_enable_private_segment 0
		.amdhsa_system_sgpr_workgroup_id_x 1
		.amdhsa_system_sgpr_workgroup_id_y 0
		.amdhsa_system_sgpr_workgroup_id_z 1
		.amdhsa_system_sgpr_workgroup_info 0
		.amdhsa_system_vgpr_workitem_id 1
		.amdhsa_next_free_vgpr 38
		.amdhsa_next_free_sgpr 19
		.amdhsa_named_barrier_count 0
		.amdhsa_reserve_vcc 1
		.amdhsa_float_round_mode_32 0
		.amdhsa_float_round_mode_16_64 0
		.amdhsa_float_denorm_mode_32 3
		.amdhsa_float_denorm_mode_16_64 3
		.amdhsa_fp16_overflow 0
		.amdhsa_memory_ordered 1
		.amdhsa_forward_progress 1
		.amdhsa_inst_pref_size 13
		.amdhsa_round_robin_scheduling 0
		.amdhsa_exception_fp_ieee_invalid_op 0
		.amdhsa_exception_fp_denorm_src 0
		.amdhsa_exception_fp_ieee_div_zero 0
		.amdhsa_exception_fp_ieee_overflow 0
		.amdhsa_exception_fp_ieee_underflow 0
		.amdhsa_exception_fp_ieee_inexact 0
		.amdhsa_exception_int_div_zero 0
	.end_amdhsa_kernel
	.section	.text._ZL9moe_vec_qIN3c108BFloat16ELi256ELi32E10block_q6_KLi1EXadL_ZL17vec_dot_q6_K_q8_1PKvPK10block_q8_1RKiEEEvS4_S4_PT_PS8_iiii,"axG",@progbits,_ZL9moe_vec_qIN3c108BFloat16ELi256ELi32E10block_q6_KLi1EXadL_ZL17vec_dot_q6_K_q8_1PKvPK10block_q8_1RKiEEEvS4_S4_PT_PS8_iiii,comdat
.Lfunc_end284:
	.size	_ZL9moe_vec_qIN3c108BFloat16ELi256ELi32E10block_q6_KLi1EXadL_ZL17vec_dot_q6_K_q8_1PKvPK10block_q8_1RKiEEEvS4_S4_PT_PS8_iiii, .Lfunc_end284-_ZL9moe_vec_qIN3c108BFloat16ELi256ELi32E10block_q6_KLi1EXadL_ZL17vec_dot_q6_K_q8_1PKvPK10block_q8_1RKiEEEvS4_S4_PT_PS8_iiii
                                        ; -- End function
	.set _ZL9moe_vec_qIN3c108BFloat16ELi256ELi32E10block_q6_KLi1EXadL_ZL17vec_dot_q6_K_q8_1PKvPK10block_q8_1RKiEEEvS4_S4_PT_PS8_iiii.num_vgpr, 38
	.set _ZL9moe_vec_qIN3c108BFloat16ELi256ELi32E10block_q6_KLi1EXadL_ZL17vec_dot_q6_K_q8_1PKvPK10block_q8_1RKiEEEvS4_S4_PT_PS8_iiii.num_agpr, 0
	.set _ZL9moe_vec_qIN3c108BFloat16ELi256ELi32E10block_q6_KLi1EXadL_ZL17vec_dot_q6_K_q8_1PKvPK10block_q8_1RKiEEEvS4_S4_PT_PS8_iiii.numbered_sgpr, 19
	.set _ZL9moe_vec_qIN3c108BFloat16ELi256ELi32E10block_q6_KLi1EXadL_ZL17vec_dot_q6_K_q8_1PKvPK10block_q8_1RKiEEEvS4_S4_PT_PS8_iiii.num_named_barrier, 0
	.set _ZL9moe_vec_qIN3c108BFloat16ELi256ELi32E10block_q6_KLi1EXadL_ZL17vec_dot_q6_K_q8_1PKvPK10block_q8_1RKiEEEvS4_S4_PT_PS8_iiii.private_seg_size, 0
	.set _ZL9moe_vec_qIN3c108BFloat16ELi256ELi32E10block_q6_KLi1EXadL_ZL17vec_dot_q6_K_q8_1PKvPK10block_q8_1RKiEEEvS4_S4_PT_PS8_iiii.uses_vcc, 1
	.set _ZL9moe_vec_qIN3c108BFloat16ELi256ELi32E10block_q6_KLi1EXadL_ZL17vec_dot_q6_K_q8_1PKvPK10block_q8_1RKiEEEvS4_S4_PT_PS8_iiii.uses_flat_scratch, 0
	.set _ZL9moe_vec_qIN3c108BFloat16ELi256ELi32E10block_q6_KLi1EXadL_ZL17vec_dot_q6_K_q8_1PKvPK10block_q8_1RKiEEEvS4_S4_PT_PS8_iiii.has_dyn_sized_stack, 0
	.set _ZL9moe_vec_qIN3c108BFloat16ELi256ELi32E10block_q6_KLi1EXadL_ZL17vec_dot_q6_K_q8_1PKvPK10block_q8_1RKiEEEvS4_S4_PT_PS8_iiii.has_recursion, 0
	.set _ZL9moe_vec_qIN3c108BFloat16ELi256ELi32E10block_q6_KLi1EXadL_ZL17vec_dot_q6_K_q8_1PKvPK10block_q8_1RKiEEEvS4_S4_PT_PS8_iiii.has_indirect_call, 0
	.section	.AMDGPU.csdata,"",@progbits
; Kernel info:
; codeLenInByte = 1640
; TotalNumSgprs: 21
; NumVgprs: 38
; ScratchSize: 0
; MemoryBound: 0
; FloatMode: 240
; IeeeMode: 1
; LDSByteSize: 0 bytes/workgroup (compile time only)
; SGPRBlocks: 0
; VGPRBlocks: 2
; NumSGPRsForWavesPerEU: 21
; NumVGPRsForWavesPerEU: 38
; NamedBarCnt: 0
; Occupancy: 16
; WaveLimiterHint : 1
; COMPUTE_PGM_RSRC2:SCRATCH_EN: 0
; COMPUTE_PGM_RSRC2:USER_SGPR: 2
; COMPUTE_PGM_RSRC2:TRAP_HANDLER: 0
; COMPUTE_PGM_RSRC2:TGID_X_EN: 1
; COMPUTE_PGM_RSRC2:TGID_Y_EN: 0
; COMPUTE_PGM_RSRC2:TGID_Z_EN: 1
; COMPUTE_PGM_RSRC2:TIDIG_COMP_CNT: 1
	.section	.text._ZL9moe_vec_qIN3c108BFloat16ELi256ELi8E13block_iq2_xxsLi1EXadL_ZL20vec_dot_iq2_xxs_q8_1PKvPK10block_q8_1RKiEEEvS4_S4_PT_PS8_iiii,"axG",@progbits,_ZL9moe_vec_qIN3c108BFloat16ELi256ELi8E13block_iq2_xxsLi1EXadL_ZL20vec_dot_iq2_xxs_q8_1PKvPK10block_q8_1RKiEEEvS4_S4_PT_PS8_iiii,comdat
	.globl	_ZL9moe_vec_qIN3c108BFloat16ELi256ELi8E13block_iq2_xxsLi1EXadL_ZL20vec_dot_iq2_xxs_q8_1PKvPK10block_q8_1RKiEEEvS4_S4_PT_PS8_iiii ; -- Begin function _ZL9moe_vec_qIN3c108BFloat16ELi256ELi8E13block_iq2_xxsLi1EXadL_ZL20vec_dot_iq2_xxs_q8_1PKvPK10block_q8_1RKiEEEvS4_S4_PT_PS8_iiii
	.p2align	8
	.type	_ZL9moe_vec_qIN3c108BFloat16ELi256ELi8E13block_iq2_xxsLi1EXadL_ZL20vec_dot_iq2_xxs_q8_1PKvPK10block_q8_1RKiEEEvS4_S4_PT_PS8_iiii,@function
_ZL9moe_vec_qIN3c108BFloat16ELi256ELi8E13block_iq2_xxsLi1EXadL_ZL20vec_dot_iq2_xxs_q8_1PKvPK10block_q8_1RKiEEEvS4_S4_PT_PS8_iiii: ; @_ZL9moe_vec_qIN3c108BFloat16ELi256ELi8E13block_iq2_xxsLi1EXadL_ZL20vec_dot_iq2_xxs_q8_1PKvPK10block_q8_1RKiEEEvS4_S4_PT_PS8_iiii
; %bb.0:
	s_clause 0x1
	s_load_u16 s3, s[0:1], 0x3e
	s_load_b128 s[8:11], s[0:1], 0x20
	s_bfe_u32 s2, ttmp6, 0x4000c
	s_and_b32 s4, ttmp6, 15
	s_add_co_i32 s2, s2, 1
	v_bfe_u32 v1, v0, 10, 10
	s_mul_i32 s2, ttmp9, s2
	s_delay_alu instid0(SALU_CYCLE_1) | instskip(SKIP_1) | instid1(SALU_CYCLE_1)
	s_add_co_i32 s4, s4, s2
	s_getreg_b32 s2, hwreg(HW_REG_IB_STS2, 6, 4)
	s_cmp_eq_u32 s2, 0
	s_cselect_b32 s4, ttmp9, s4
	s_wait_kmcnt 0x0
	v_mad_u32 v16, s4, s3, v1
	s_mov_b32 s3, exec_lo
	s_delay_alu instid0(VALU_DEP_1)
	v_cmpx_gt_u32_e64 s10, v16
	s_cbranch_execz .LBB285_7
; %bb.1:
	s_load_b64 s[12:13], s[0:1], 0x10
	s_bfe_u32 s3, ttmp6, 0x40014
	s_lshr_b32 s4, ttmp7, 16
	s_add_co_i32 s3, s3, 1
	s_bfe_u32 s5, ttmp6, 0x40008
	s_mul_i32 s3, s4, s3
	v_bfe_u32 v18, v0, 3, 7
	s_add_co_i32 s5, s5, s3
	s_cmp_eq_u32 s2, 0
	v_and_b32_e32 v17, 0x3ff, v0
	s_cselect_b32 s20, s4, s5
	s_ashr_i32 s2, s9, 31
	v_mov_b32_e32 v19, 0
	s_lshr_b32 s2, s2, 24
	s_mov_b32 s21, exec_lo
	s_add_co_i32 s2, s9, s2
	s_delay_alu instid0(SALU_CYCLE_1) | instskip(NEXT) | instid1(SALU_CYCLE_1)
	s_ashr_i32 s22, s2, 8
	v_cmpx_gt_u32_e64 s22, v18
	s_cbranch_execz .LBB285_5
; %bb.2:
	s_load_b64 s[2:3], s[0:1], 0x18
	s_cvt_f32_u32 s4, s8
	v_dual_mov_b32 v11, 0 :: v_dual_bitop2_b32 v1, 7, v17 bitop3:0x40
	v_mul_lo_u32 v20, v16, s22
	s_delay_alu instid0(SALU_CYCLE_1) | instskip(SKIP_3) | instid1(TRANS32_DEP_1)
	v_rcp_iflag_f32_e32 v0, s4
	s_get_pc_i64 s[16:17]
	s_add_nc_u64 s[16:17], s[16:17], _ZL12ksigns_iq2xs@rel64+4
	v_dual_lshlrev_b32 v21, 3, v18 :: v_dual_mov_b32 v19, v11
	v_readfirstlane_b32 s4, v0
	v_lshlrev_b32_e32 v0, 2, v1
	s_delay_alu instid0(VALU_DEP_1)
	v_lshlrev_b32_e32 v10, 1, v0
	s_wait_kmcnt 0x0
	s_load_b32 s5, s[2:3], s20 offset:0x0 scale_offset
	s_wait_xcnt 0x0
	s_mul_f32 s2, s4, 0x4f7ffffe
	s_sub_co_i32 s3, 0, s8
	s_delay_alu instid0(SALU_CYCLE_2) | instskip(NEXT) | instid1(SALU_CYCLE_3)
	s_cvt_u32_f32 s2, s2
	s_mul_i32 s3, s3, s2
	s_delay_alu instid0(SALU_CYCLE_1) | instskip(NEXT) | instid1(SALU_CYCLE_1)
	s_mul_hi_u32 s3, s2, s3
	s_add_co_i32 s4, s2, s3
	s_load_b128 s[0:3], s[0:1], 0x0
	s_mul_hi_u32 s6, s20, s4
	s_mul_i32 s4, s22, s10
	s_mul_i32 s7, s6, s8
	s_add_co_i32 s9, s6, 1
	s_sub_co_i32 s7, s20, s7
	s_wait_kmcnt 0x0
	s_mul_i32 s4, s4, s5
	s_sub_co_i32 s14, s7, s8
	s_ashr_i32 s5, s4, 31
	s_cmp_ge_u32 s7, s8
	s_cselect_b32 s6, s9, s6
	s_cselect_b32 s7, s14, s7
	s_add_co_i32 s14, s6, 1
	s_cmp_ge_u32 s7, s8
	s_mov_b32 s9, 0
	s_cselect_b32 s6, s14, s6
	s_get_pc_i64 s[14:15]
	s_add_nc_u64 s[14:15], s[14:15], _ZL11iq2xxs_grid@rel64+4
	s_mul_i32 s8, s6, s11
	s_delay_alu instid0(SALU_CYCLE_1) | instskip(NEXT) | instid1(SALU_CYCLE_1)
	s_lshl_b64 s[6:7], s[8:9], 2
	s_add_nc_u64 s[2:3], s[2:3], s[6:7]
	s_delay_alu instid0(SALU_CYCLE_1) | instskip(SKIP_1) | instid1(SALU_CYCLE_1)
	v_mad_nc_u64_u32 v[8:9], v1, 36, s[2:3]
	s_mul_u64 s[2:3], s[4:5], 0x42
	s_add_nc_u64 s[18:19], s[0:1], s[2:3]
.LBB285_3:                              ; =>This Inner Loop Header: Depth=1
	v_add_nc_u32_e32 v0, v20, v18
	s_delay_alu instid0(VALU_DEP_2) | instskip(SKIP_1) | instid1(VALU_DEP_3)
	v_mad_nc_i64_i32 v[14:15], v21, 36, v[8:9]
	v_add_nc_u32_e32 v21, 32, v21
	v_mad_nc_i64_i32 v[12:13], 0x42, v0, s[18:19]
	s_clause 0x2
	global_load_b128 v[0:3], v[14:15], off offset:4
	global_load_b128 v[4:7], v[14:15], off offset:20
	global_load_u16 v22, v[14:15], off
	s_wait_xcnt 0x0
	v_add_nc_u64_e32 v[14:15], v[12:13], v[10:11]
	s_clause 0x2
	global_load_b32 v23, v[14:15], off offset:2
	global_load_b32 v24, v[14:15], off offset:6
	global_load_u16 v25, v[12:13], off
	s_wait_loadcnt 0x5
	s_wait_xcnt 0x1
	v_dual_ashrrev_i32 v15, 24, v0 :: v_dual_ashrrev_i32 v33, 24, v2
	v_bfe_i32 v30, v2, 0, 8
	v_bfe_i32 v31, v2, 8, 8
	;; [unrolled: 1-line block ×3, first 2 shown]
	s_wait_xcnt 0x0
	v_bfe_i32 v12, v0, 0, 8
	v_bfe_i32 v13, v0, 8, 8
	;; [unrolled: 1-line block ×6, first 2 shown]
	s_wait_loadcnt 0x2
	v_and_b32_e32 v2, 0xff, v23
	s_wait_loadcnt 0x1
	v_and_b32_e32 v50, 0x7f, v24
	v_ashrrev_i32_e32 v29, 24, v1
	global_load_b64 v[0:1], v2, s[14:15] scale_offset
	global_load_i8 v53, v50, s[16:17]
	v_bfe_i32 v47, v7, 0, 8
	v_bfe_i32 v48, v7, 8, 8
	;; [unrolled: 1-line block ×3, first 2 shown]
	v_dual_ashrrev_i32 v7, 24, v7 :: v_dual_lshrrev_b32 v52, 28, v24
	v_bfe_i32 v34, v3, 0, 8
	v_bfe_i32 v35, v3, 8, 8
	v_bfe_i32 v36, v3, 16, 8
	v_ashrrev_i32_e32 v37, 24, v3
	v_cvt_f32_ubyte0_e32 v52, v52
	v_dual_lshrrev_b32 v3, 5, v23 :: v_dual_lshrrev_b32 v51, 13, v23
	s_wait_loadcnt 0x2
	v_cvt_f32_f16_e32 v25, v25
	v_bfe_i32 v38, v4, 0, 8
	v_add_f32_e32 v52, 0.5, v52
	s_wait_xcnt 0x1
	v_and_b32_e32 v2, 0x7f8, v3
	v_and_b32_e32 v51, 0x7f8, v51
	v_bfe_i32 v39, v4, 8, 8
	v_bfe_i32 v40, v4, 16, 8
	v_ashrrev_i32_e32 v4, 24, v4
	global_load_b64 v[2:3], v2, s[14:15]
	v_bfe_i32 v41, v5, 0, 8
	v_bfe_i32 v42, v5, 8, 8
	;; [unrolled: 1-line block ×3, first 2 shown]
	v_ashrrev_i32_e32 v5, 24, v5
	v_bfe_i32 v44, v6, 0, 8
	v_bfe_i32 v45, v6, 8, 8
	;; [unrolled: 1-line block ×3, first 2 shown]
	v_ashrrev_i32_e32 v6, 24, v6
	v_cvt_f32_f16_e32 v22, v22
	s_wait_loadcnt 0x2
	v_lshrrev_b32_e32 v54, 24, v1
	v_dual_mul_f32 v25, v52, v25 :: v_dual_lshrrev_b32 v52, 24, v0
	v_and_b32_e32 v55, 0xff, v0
	v_bfe_u32 v57, v0, 8, 8
	v_bfe_u32 v0, v0, 16, 8
	v_and_b32_e32 v59, 0xff, v1
	v_bfe_u32 v60, v1, 8, 8
	v_bfe_u32 v1, v1, 16, 8
	v_mul_i32_i24_e32 v12, v55, v12
	v_mul_i32_i24_e32 v14, v0, v14
	;; [unrolled: 1-line block ×3, first 2 shown]
	s_wait_loadcnt 0x1
	v_and_b32_e32 v61, 4, v53
	v_mul_i32_i24_e32 v28, v1, v28
	global_load_b64 v[0:1], v51, s[14:15]
	v_and_b32_e32 v56, 1, v53
	v_and_b32_e32 v58, 2, v53
	;; [unrolled: 1-line block ×3, first 2 shown]
	v_mul_i32_i24_e32 v15, v52, v15
	v_sub_nc_u32_e32 v63, 0, v12
	v_cmp_eq_u16_e32 vcc_lo, 0, v56
	v_sub_nc_u32_e32 v56, 0, v13
	v_cmp_eq_u16_e64 s0, 0, v58
	v_sub_nc_u32_e32 v58, 0, v14
	v_cmp_eq_u16_e64 s1, 0, v61
	;; [unrolled: 2-line block ×3, first 2 shown]
	v_dual_cndmask_b32 v12, v63, v12, vcc_lo :: v_dual_cndmask_b32 v13, v56, v13, s0
	v_mul_i32_i24_e32 v27, v60, v27
	s_delay_alu instid0(VALU_DEP_3) | instskip(SKIP_1) | instid1(VALU_DEP_4)
	v_dual_cndmask_b32 v14, v58, v14, s1 :: v_dual_cndmask_b32 v15, v61, v15, s2
	v_mul_i32_i24_e32 v26, v59, v26
	v_add_nc_u32_e32 v12, v13, v12
	v_mul_i32_i24_e32 v29, v54, v29
	s_wait_loadcnt 0x0
	s_delay_alu instid0(VALU_DEP_3)
	v_dual_sub_nc_u32 v63, 0, v26 :: v_dual_lshrrev_b32 v51, 24, v0
	v_lshrrev_b32_e32 v55, 24, v1
	v_and_b32_e32 v56, 0xff, v0
	v_bfe_u32 v58, v0, 8, 8
	v_bfe_u32 v13, v0, 16, 8
	v_and_b32_e32 v0, 32, v53
	v_add3_u32 v12, v12, v14, v15
	v_and_b32_e32 v14, 0xff, v1
	v_bfe_u32 v15, v1, 8, 8
	v_bfe_u32 v61, v1, 16, 8
	v_sub_nc_u32_e32 v1, 0, v27
	v_cmp_eq_u16_e32 vcc_lo, 0, v0
	v_and_b32_e32 v0, 16, v53
	v_mul_i32_i24_e32 v38, v56, v38
	v_mul_i32_i24_e32 v39, v58, v39
	;; [unrolled: 1-line block ×4, first 2 shown]
	v_cmp_eq_u16_e64 s0, 0, v0
	v_lshrrev_b32_e32 v0, 21, v23
	v_cndmask_b32_e32 v23, v1, v27, vcc_lo
	v_cmp_gt_u32_e32 vcc_lo, 64, v50
	s_delay_alu instid0(VALU_DEP_4) | instskip(NEXT) | instid1(VALU_DEP_4)
	v_dual_sub_nc_u32 v27, 0, v29 :: v_dual_cndmask_b32 v26, v63, v26, s0
	v_and_b32_e32 v0, 0x7f8, v0
	v_cmp_gt_i16_e64 s0, 0, v53
	v_bfe_u32 v53, v24, 7, 7
	v_mul_i32_i24_e32 v15, v15, v42
	v_add3_u32 v12, v12, v26, v23
	global_load_b64 v[0:1], v0, s[14:15]
	v_lshrrev_b32_e32 v52, 24, v2
	v_and_b32_e32 v57, 0xff, v2
	v_bfe_u32 v59, v2, 8, 8
	v_bfe_u32 v2, v2, 16, 8
	v_lshrrev_b32_e32 v54, 24, v3
	v_mul_i32_i24_e32 v33, v52, v33
	v_mul_i32_i24_e32 v30, v57, v30
	v_bfe_u32 v57, v24, 14, 7
	v_mul_i32_i24_e32 v2, v2, v32
	global_load_i8 v32, v53, s[16:17]
	v_bfe_u32 v24, v24, 21, 7
	v_mul_i32_i24_e32 v31, v59, v31
	global_load_i8 v52, v57, s[16:17]
	v_and_b32_e32 v60, 0xff, v3
	v_bfe_u32 v62, v3, 8, 8
	global_load_i8 v59, v24, s[16:17]
	v_bfe_u32 v3, v3, 16, 8
	v_sub_nc_u32_e32 v26, 0, v28
	v_mul_i32_i24_e32 v34, v60, v34
	v_cndmask_b32_e64 v27, v29, v27, s0
	v_mul_i32_i24_e32 v37, v54, v37
	v_mul_i32_i24_e32 v3, v3, v36
	;; [unrolled: 1-line block ×6, first 2 shown]
	s_wait_loadcnt 0x3
	v_dual_lshrrev_b32 v23, 24, v0 :: v_dual_lshrrev_b32 v50, 24, v1
	v_cndmask_b32_e32 v26, v26, v28, vcc_lo
	v_and_b32_e32 v28, 0xff, v0
	v_bfe_u32 v29, v0, 8, 8
	v_bfe_u32 v0, v0, 16, 8
	v_mul_i32_i24_e32 v7, v50, v7
	v_sub_nc_u32_e32 v50, 0, v30
	v_add3_u32 v12, v12, v26, v27
	v_and_b32_e32 v26, 0xff, v1
	s_wait_loadcnt 0x2
	v_and_b32_e32 v60, 1, v32
	v_and_b32_e32 v36, 2, v32
	;; [unrolled: 1-line block ×4, first 2 shown]
	v_bfe_u32 v27, v1, 8, 8
	v_cmp_eq_u16_e32 vcc_lo, 0, v60
	v_sub_nc_u32_e32 v60, 0, v31
	v_cmp_eq_u16_e64 s0, 0, v36
	v_bfe_u32 v1, v1, 16, 8
	v_and_b32_e32 v58, 16, v32
	v_and_b32_e32 v40, 32, v32
	s_wait_loadcnt 0x1
	v_dual_cndmask_b32 v30, v50, v30, vcc_lo :: v_dual_bitop2_b32 v41, 2, v52 bitop3:0x40
	v_dual_sub_nc_u32 v50, 0, v3 :: v_dual_bitop2_b32 v61, 8, v52 bitop3:0x40
	v_dual_cndmask_b32 v31, v60, v31, s0 :: v_dual_bitop2_b32 v55, 16, v52 bitop3:0x40
	v_sub_nc_u32_e32 v36, 0, v2
	v_cmp_eq_u16_e64 s1, 0, v54
	v_sub_nc_u32_e32 v54, 0, v33
	v_cmp_eq_u16_e64 s2, 0, v56
	v_and_b32_e32 v42, 4, v52
	v_mul_i32_i24_e32 v1, v1, v49
	s_wait_loadcnt 0x0
	v_dual_cndmask_b32 v2, v36, v2, s1 :: v_dual_bitop2_b32 v49, 32, v59 bitop3:0x40
	v_sub_nc_u32_e32 v56, 0, v35
	v_cmp_gt_i16_e64 s4, 0, v32
	v_sub_nc_u32_e32 v32, 0, v39
	v_cmp_eq_u16_e64 s3, 0, v40
	v_cmp_eq_u16_e64 s5, 0, v41
	v_sub_nc_u32_e32 v41, 0, v34
	v_add3_u32 v12, v12, v30, v31
	v_cmp_eq_u16_e32 vcc_lo, 0, v61
	v_dual_sub_nc_u32 v61, 0, v15 :: v_dual_cndmask_b32 v33, v54, v33, s2
	v_cmp_eq_u16_e64 s1, 0, v58
	v_dual_sub_nc_u32 v40, 0, v37 :: v_dual_bitop2_b32 v51, 1, v52 bitop3:0x40
	v_mul_i32_i24_e32 v0, v0, v46
	s_delay_alu instid0(VALU_DEP_3)
	v_dual_cndmask_b32 v35, v56, v35, s3 :: v_dual_cndmask_b32 v34, v41, v34, s1
	v_add3_u32 v2, v12, v2, v33
	v_cmp_gt_u32_e64 s1, 64, v53
	v_mul_i32_i24_e32 v28, v28, v44
	v_dual_sub_nc_u32 v60, 0, v38 :: v_dual_bitop2_b32 v44, 32, v52 bitop3:0x40
	v_mul_i32_i24_e32 v6, v23, v6
	s_delay_alu instid0(VALU_DEP_4)
	v_dual_sub_nc_u32 v12, 0, v0 :: v_dual_cndmask_b32 v3, v50, v3, s1
	v_cndmask_b32_e64 v33, v37, v40, s4
	v_add3_u32 v2, v2, v34, v35
	v_cmp_eq_u16_e64 s1, 0, v51
	v_mul_i32_i24_e32 v29, v29, v45
	v_dual_sub_nc_u32 v30, 0, v13 :: v_dual_bitop2_b32 v45, 1, v59 bitop3:0x40
	v_dual_sub_nc_u32 v31, 0, v4 :: v_dual_bitop2_b32 v46, 2, v59 bitop3:0x40
	v_dual_sub_nc_u32 v34, 0, v6 :: v_dual_cndmask_b32 v32, v32, v39, s5
	v_add3_u32 v2, v2, v3, v33
	v_cmp_eq_u16_e64 s2, 0, v42
	v_cndmask_b32_e64 v35, v60, v38, s1
	v_mul_i32_i24_e32 v26, v26, v47
	v_mul_i32_i24_e32 v27, v27, v48
	v_and_b32_e32 v48, 16, v59
	v_cmp_eq_u16_e64 s0, 0, v44
	v_cmp_eq_u16_e64 s7, 0, v46
	v_dual_sub_nc_u32 v46, 0, v14 :: v_dual_cndmask_b32 v3, v30, v13, s2
	v_cndmask_b32_e32 v4, v31, v4, vcc_lo
	v_add3_u32 v2, v2, v35, v32
	v_cmp_eq_u16_e32 vcc_lo, 0, v55
	v_dual_sub_nc_u32 v44, 0, v5 :: v_dual_bitop2_b32 v23, 4, v59 bitop3:0x40
	v_cmp_gt_i16_e64 s6, 0, v52
	v_dual_sub_nc_u32 v36, 0, v43 :: v_dual_sub_nc_u32 v54, 0, v28
	v_dual_sub_nc_u32 v13, 0, v26 :: v_dual_cndmask_b32 v15, v61, v15, s0
	v_cndmask_b32_e32 v14, v46, v14, vcc_lo
	v_add3_u32 v2, v2, v3, v4
	v_cmp_gt_u32_e32 vcc_lo, 64, v57
	v_dual_sub_nc_u32 v52, 0, v29 :: v_dual_bitop2_b32 v47, 8, v59 bitop3:0x40
	v_dual_sub_nc_u32 v3, 0, v27 :: v_dual_cndmask_b32 v5, v5, v44, s6
	v_cndmask_b32_e32 v4, v36, v43, vcc_lo
	v_add3_u32 v2, v2, v14, v15
	v_cmp_eq_u16_e64 s0, 0, v45
	v_cmp_eq_u16_e64 s1, 0, v47
	v_cndmask_b32_e64 v15, v52, v29, s7
	v_cmp_eq_u16_e32 vcc_lo, 0, v49
	v_add3_u32 v2, v2, v4, v5
	v_cndmask_b32_e64 v14, v54, v28, s0
	v_cmp_eq_u16_e64 s0, 0, v23
	v_dual_sub_nc_u32 v4, 0, v1 :: v_dual_cndmask_b32 v5, v34, v6, s1
	v_sub_nc_u32_e32 v6, 0, v7
	s_delay_alu instid0(VALU_DEP_4) | instskip(NEXT) | instid1(VALU_DEP_4)
	v_add3_u32 v2, v2, v14, v15
	v_cndmask_b32_e64 v0, v12, v0, s0
	v_cmp_eq_u16_e64 s0, 0, v48
	v_cndmask_b32_e32 v3, v3, v27, vcc_lo
	v_cmp_gt_i16_e32 vcc_lo, 0, v59
	s_delay_alu instid0(VALU_DEP_4) | instskip(NEXT) | instid1(VALU_DEP_4)
	v_add3_u32 v0, v2, v0, v5
	v_cndmask_b32_e64 v12, v13, v26, s0
	v_cmp_gt_u32_e64 s0, 64, v24
	v_cndmask_b32_e32 v2, v7, v6, vcc_lo
	s_delay_alu instid0(VALU_DEP_3) | instskip(NEXT) | instid1(VALU_DEP_3)
	v_add3_u32 v0, v0, v12, v3
	v_dual_cndmask_b32 v1, v4, v1, s0 :: v_dual_mul_f32 v3, v25, v22
	v_add_nc_u32_e32 v18, 4, v18
	s_delay_alu instid0(VALU_DEP_2) | instskip(NEXT) | instid1(VALU_DEP_3)
	v_add3_u32 v0, v0, v1, v2
	v_mul_f32_e32 v1, 0x3e800000, v3
	s_delay_alu instid0(VALU_DEP_3) | instskip(NEXT) | instid1(VALU_DEP_3)
	v_cmp_le_u32_e32 vcc_lo, s22, v18
	v_cvt_f32_i32_e32 v0, v0
	s_or_b32 s9, vcc_lo, s9
	s_delay_alu instid0(VALU_DEP_1)
	v_fmac_f32_e32 v19, v1, v0
	s_and_not1_b32 exec_lo, exec_lo, s9
	s_cbranch_execnz .LBB285_3
; %bb.4:
	s_or_b32 exec_lo, exec_lo, s9
.LBB285_5:
	s_delay_alu instid0(SALU_CYCLE_1) | instskip(SKIP_1) | instid1(VALU_DEP_1)
	s_or_b32 exec_lo, exec_lo, s21
	v_mbcnt_lo_u32_b32 v0, -1, 0
	v_xor_b32_e32 v2, 8, v0
	v_xor_b32_e32 v1, 16, v0
	;; [unrolled: 1-line block ×3, first 2 shown]
	s_delay_alu instid0(VALU_DEP_2) | instskip(SKIP_4) | instid1(VALU_DEP_2)
	v_cmp_gt_i32_e32 vcc_lo, 32, v1
	v_cndmask_b32_e32 v1, v0, v1, vcc_lo
	v_cmp_gt_i32_e32 vcc_lo, 32, v2
	v_cndmask_b32_e32 v2, v0, v2, vcc_lo
	v_cmp_gt_i32_e32 vcc_lo, 32, v3
	v_dual_lshlrev_b32 v2, 2, v2 :: v_dual_lshlrev_b32 v1, 2, v1
	ds_bpermute_b32 v1, v1, v19
	s_wait_dscnt 0x0
	v_add_f32_e32 v1, v19, v1
	ds_bpermute_b32 v2, v2, v1
	s_wait_dscnt 0x0
	v_dual_cndmask_b32 v3, v0, v3, vcc_lo :: v_dual_add_f32 v1, v1, v2
	s_delay_alu instid0(VALU_DEP_1) | instskip(SKIP_3) | instid1(VALU_DEP_1)
	v_lshlrev_b32_e32 v3, 2, v3
	ds_bpermute_b32 v2, v3, v1
	s_wait_dscnt 0x0
	v_dual_add_f32 v1, v1, v2 :: v_dual_bitop2_b32 v3, 2, v0 bitop3:0x14
	v_cmp_gt_i32_e32 vcc_lo, 32, v3
	v_cndmask_b32_e32 v3, v0, v3, vcc_lo
	s_delay_alu instid0(VALU_DEP_1) | instskip(SKIP_2) | instid1(VALU_DEP_1)
	v_lshlrev_b32_e32 v3, 2, v3
	ds_bpermute_b32 v2, v3, v1
	v_xor_b32_e32 v3, 1, v0
	v_cmp_gt_i32_e32 vcc_lo, 32, v3
	v_cndmask_b32_e32 v3, v0, v3, vcc_lo
	v_cmp_eq_u32_e32 vcc_lo, 0, v17
	s_wait_dscnt 0x0
	s_delay_alu instid0(VALU_DEP_2)
	v_dual_add_f32 v0, v1, v2 :: v_dual_lshlrev_b32 v1, 2, v3
	ds_bpermute_b32 v1, v1, v0
	s_and_b32 exec_lo, exec_lo, vcc_lo
	s_cbranch_execz .LBB285_7
; %bb.6:
	s_wait_dscnt 0x0
	v_add_f32_e32 v0, v0, v1
	v_mad_u32 v2, s10, s20, v16
	s_delay_alu instid0(VALU_DEP_2) | instskip(NEXT) | instid1(VALU_DEP_1)
	v_bfe_u32 v1, v0, 16, 1
	v_add3_u32 v1, v0, v1, 0x7fff
	s_delay_alu instid0(VALU_DEP_1) | instskip(SKIP_1) | instid1(VALU_DEP_2)
	v_lshrrev_b32_e32 v1, 16, v1
	v_cmp_o_f32_e32 vcc_lo, v0, v0
	v_cndmask_b32_e32 v0, 0x7fc0, v1, vcc_lo
	s_wait_kmcnt 0x0
	global_store_b16 v2, v0, s[12:13] scale_offset
.LBB285_7:
	s_endpgm
	.section	.rodata,"a",@progbits
	.p2align	6, 0x0
	.amdhsa_kernel _ZL9moe_vec_qIN3c108BFloat16ELi256ELi8E13block_iq2_xxsLi1EXadL_ZL20vec_dot_iq2_xxs_q8_1PKvPK10block_q8_1RKiEEEvS4_S4_PT_PS8_iiii
		.amdhsa_group_segment_fixed_size 0
		.amdhsa_private_segment_fixed_size 0
		.amdhsa_kernarg_size 304
		.amdhsa_user_sgpr_count 2
		.amdhsa_user_sgpr_dispatch_ptr 0
		.amdhsa_user_sgpr_queue_ptr 0
		.amdhsa_user_sgpr_kernarg_segment_ptr 1
		.amdhsa_user_sgpr_dispatch_id 0
		.amdhsa_user_sgpr_kernarg_preload_length 0
		.amdhsa_user_sgpr_kernarg_preload_offset 0
		.amdhsa_user_sgpr_private_segment_size 0
		.amdhsa_wavefront_size32 1
		.amdhsa_uses_dynamic_stack 0
		.amdhsa_enable_private_segment 0
		.amdhsa_system_sgpr_workgroup_id_x 1
		.amdhsa_system_sgpr_workgroup_id_y 0
		.amdhsa_system_sgpr_workgroup_id_z 1
		.amdhsa_system_sgpr_workgroup_info 0
		.amdhsa_system_vgpr_workitem_id 1
		.amdhsa_next_free_vgpr 64
		.amdhsa_next_free_sgpr 23
		.amdhsa_named_barrier_count 0
		.amdhsa_reserve_vcc 1
		.amdhsa_float_round_mode_32 0
		.amdhsa_float_round_mode_16_64 0
		.amdhsa_float_denorm_mode_32 3
		.amdhsa_float_denorm_mode_16_64 3
		.amdhsa_fp16_overflow 0
		.amdhsa_memory_ordered 1
		.amdhsa_forward_progress 1
		.amdhsa_inst_pref_size 21
		.amdhsa_round_robin_scheduling 0
		.amdhsa_exception_fp_ieee_invalid_op 0
		.amdhsa_exception_fp_denorm_src 0
		.amdhsa_exception_fp_ieee_div_zero 0
		.amdhsa_exception_fp_ieee_overflow 0
		.amdhsa_exception_fp_ieee_underflow 0
		.amdhsa_exception_fp_ieee_inexact 0
		.amdhsa_exception_int_div_zero 0
	.end_amdhsa_kernel
	.section	.text._ZL9moe_vec_qIN3c108BFloat16ELi256ELi8E13block_iq2_xxsLi1EXadL_ZL20vec_dot_iq2_xxs_q8_1PKvPK10block_q8_1RKiEEEvS4_S4_PT_PS8_iiii,"axG",@progbits,_ZL9moe_vec_qIN3c108BFloat16ELi256ELi8E13block_iq2_xxsLi1EXadL_ZL20vec_dot_iq2_xxs_q8_1PKvPK10block_q8_1RKiEEEvS4_S4_PT_PS8_iiii,comdat
.Lfunc_end285:
	.size	_ZL9moe_vec_qIN3c108BFloat16ELi256ELi8E13block_iq2_xxsLi1EXadL_ZL20vec_dot_iq2_xxs_q8_1PKvPK10block_q8_1RKiEEEvS4_S4_PT_PS8_iiii, .Lfunc_end285-_ZL9moe_vec_qIN3c108BFloat16ELi256ELi8E13block_iq2_xxsLi1EXadL_ZL20vec_dot_iq2_xxs_q8_1PKvPK10block_q8_1RKiEEEvS4_S4_PT_PS8_iiii
                                        ; -- End function
	.set _ZL9moe_vec_qIN3c108BFloat16ELi256ELi8E13block_iq2_xxsLi1EXadL_ZL20vec_dot_iq2_xxs_q8_1PKvPK10block_q8_1RKiEEEvS4_S4_PT_PS8_iiii.num_vgpr, 64
	.set _ZL9moe_vec_qIN3c108BFloat16ELi256ELi8E13block_iq2_xxsLi1EXadL_ZL20vec_dot_iq2_xxs_q8_1PKvPK10block_q8_1RKiEEEvS4_S4_PT_PS8_iiii.num_agpr, 0
	.set _ZL9moe_vec_qIN3c108BFloat16ELi256ELi8E13block_iq2_xxsLi1EXadL_ZL20vec_dot_iq2_xxs_q8_1PKvPK10block_q8_1RKiEEEvS4_S4_PT_PS8_iiii.numbered_sgpr, 23
	.set _ZL9moe_vec_qIN3c108BFloat16ELi256ELi8E13block_iq2_xxsLi1EXadL_ZL20vec_dot_iq2_xxs_q8_1PKvPK10block_q8_1RKiEEEvS4_S4_PT_PS8_iiii.num_named_barrier, 0
	.set _ZL9moe_vec_qIN3c108BFloat16ELi256ELi8E13block_iq2_xxsLi1EXadL_ZL20vec_dot_iq2_xxs_q8_1PKvPK10block_q8_1RKiEEEvS4_S4_PT_PS8_iiii.private_seg_size, 0
	.set _ZL9moe_vec_qIN3c108BFloat16ELi256ELi8E13block_iq2_xxsLi1EXadL_ZL20vec_dot_iq2_xxs_q8_1PKvPK10block_q8_1RKiEEEvS4_S4_PT_PS8_iiii.uses_vcc, 1
	.set _ZL9moe_vec_qIN3c108BFloat16ELi256ELi8E13block_iq2_xxsLi1EXadL_ZL20vec_dot_iq2_xxs_q8_1PKvPK10block_q8_1RKiEEEvS4_S4_PT_PS8_iiii.uses_flat_scratch, 0
	.set _ZL9moe_vec_qIN3c108BFloat16ELi256ELi8E13block_iq2_xxsLi1EXadL_ZL20vec_dot_iq2_xxs_q8_1PKvPK10block_q8_1RKiEEEvS4_S4_PT_PS8_iiii.has_dyn_sized_stack, 0
	.set _ZL9moe_vec_qIN3c108BFloat16ELi256ELi8E13block_iq2_xxsLi1EXadL_ZL20vec_dot_iq2_xxs_q8_1PKvPK10block_q8_1RKiEEEvS4_S4_PT_PS8_iiii.has_recursion, 0
	.set _ZL9moe_vec_qIN3c108BFloat16ELi256ELi8E13block_iq2_xxsLi1EXadL_ZL20vec_dot_iq2_xxs_q8_1PKvPK10block_q8_1RKiEEEvS4_S4_PT_PS8_iiii.has_indirect_call, 0
	.section	.AMDGPU.csdata,"",@progbits
; Kernel info:
; codeLenInByte = 2628
; TotalNumSgprs: 25
; NumVgprs: 64
; ScratchSize: 0
; MemoryBound: 0
; FloatMode: 240
; IeeeMode: 1
; LDSByteSize: 0 bytes/workgroup (compile time only)
; SGPRBlocks: 0
; VGPRBlocks: 3
; NumSGPRsForWavesPerEU: 25
; NumVGPRsForWavesPerEU: 64
; NamedBarCnt: 0
; Occupancy: 16
; WaveLimiterHint : 1
; COMPUTE_PGM_RSRC2:SCRATCH_EN: 0
; COMPUTE_PGM_RSRC2:USER_SGPR: 2
; COMPUTE_PGM_RSRC2:TRAP_HANDLER: 0
; COMPUTE_PGM_RSRC2:TGID_X_EN: 1
; COMPUTE_PGM_RSRC2:TGID_Y_EN: 0
; COMPUTE_PGM_RSRC2:TGID_Z_EN: 1
; COMPUTE_PGM_RSRC2:TIDIG_COMP_CNT: 1
	.section	.text._ZL9moe_vec_qIN3c108BFloat16ELi256ELi8E12block_iq2_xsLi1EXadL_ZL19vec_dot_iq2_xs_q8_1PKvPK10block_q8_1RKiEEEvS4_S4_PT_PS8_iiii,"axG",@progbits,_ZL9moe_vec_qIN3c108BFloat16ELi256ELi8E12block_iq2_xsLi1EXadL_ZL19vec_dot_iq2_xs_q8_1PKvPK10block_q8_1RKiEEEvS4_S4_PT_PS8_iiii,comdat
	.globl	_ZL9moe_vec_qIN3c108BFloat16ELi256ELi8E12block_iq2_xsLi1EXadL_ZL19vec_dot_iq2_xs_q8_1PKvPK10block_q8_1RKiEEEvS4_S4_PT_PS8_iiii ; -- Begin function _ZL9moe_vec_qIN3c108BFloat16ELi256ELi8E12block_iq2_xsLi1EXadL_ZL19vec_dot_iq2_xs_q8_1PKvPK10block_q8_1RKiEEEvS4_S4_PT_PS8_iiii
	.p2align	8
	.type	_ZL9moe_vec_qIN3c108BFloat16ELi256ELi8E12block_iq2_xsLi1EXadL_ZL19vec_dot_iq2_xs_q8_1PKvPK10block_q8_1RKiEEEvS4_S4_PT_PS8_iiii,@function
_ZL9moe_vec_qIN3c108BFloat16ELi256ELi8E12block_iq2_xsLi1EXadL_ZL19vec_dot_iq2_xs_q8_1PKvPK10block_q8_1RKiEEEvS4_S4_PT_PS8_iiii: ; @_ZL9moe_vec_qIN3c108BFloat16ELi256ELi8E12block_iq2_xsLi1EXadL_ZL19vec_dot_iq2_xs_q8_1PKvPK10block_q8_1RKiEEEvS4_S4_PT_PS8_iiii
; %bb.0:
	s_clause 0x1
	s_load_u16 s3, s[0:1], 0x3e
	s_load_b128 s[28:31], s[0:1], 0x20
	s_bfe_u32 s2, ttmp6, 0x4000c
	s_and_b32 s4, ttmp6, 15
	s_add_co_i32 s2, s2, 1
	v_bfe_u32 v1, v0, 10, 10
	s_mul_i32 s2, ttmp9, s2
	s_delay_alu instid0(SALU_CYCLE_1) | instskip(SKIP_1) | instid1(SALU_CYCLE_1)
	s_add_co_i32 s4, s4, s2
	s_getreg_b32 s2, hwreg(HW_REG_IB_STS2, 6, 4)
	s_cmp_eq_u32 s2, 0
	s_cselect_b32 s4, ttmp9, s4
	s_wait_kmcnt 0x0
	v_mad_u32 v18, s4, s3, v1
	s_mov_b32 s3, exec_lo
	s_delay_alu instid0(VALU_DEP_1)
	v_cmpx_gt_u32_e64 s30, v18
	s_cbranch_execz .LBB286_7
; %bb.1:
	s_load_b64 s[34:35], s[0:1], 0x10
	s_bfe_u32 s3, ttmp6, 0x40014
	s_lshr_b32 s4, ttmp7, 16
	s_add_co_i32 s3, s3, 1
	s_bfe_u32 s5, ttmp6, 0x40008
	s_mul_i32 s3, s4, s3
	v_bfe_u32 v20, v0, 3, 7
	s_add_co_i32 s5, s5, s3
	s_cmp_eq_u32 s2, 0
	v_and_b32_e32 v19, 0x3ff, v0
	s_cselect_b32 s33, s4, s5
	s_ashr_i32 s2, s29, 31
	v_mov_b32_e32 v21, 0
	s_lshr_b32 s2, s2, 24
	s_mov_b32 s42, exec_lo
	s_add_co_i32 s2, s29, s2
	s_delay_alu instid0(SALU_CYCLE_1) | instskip(NEXT) | instid1(SALU_CYCLE_1)
	s_ashr_i32 s43, s2, 8
	v_cmpx_gt_u32_e64 s43, v20
	s_cbranch_execz .LBB286_5
; %bb.2:
	s_load_b64 s[2:3], s[0:1], 0x18
	s_cvt_f32_u32 s4, s28
	s_mov_b32 s29, 0
	v_dual_mov_b32 v9, 0 :: v_dual_bitop2_b32 v8, 7, v19 bitop3:0x40
	s_delay_alu instid0(SALU_CYCLE_1)
	v_rcp_iflag_f32_e32 v0, s4
	v_mul_lo_u32 v22, v18, s43
	v_lshlrev_b32_e32 v23, 3, v20
	s_get_pc_i64 s[36:37]
	s_add_nc_u64 s[36:37], s[36:37], _ZL10iq2xs_grid@rel64+4
	v_mov_b32_e32 v21, v9
	s_get_pc_i64 s[38:39]
	s_add_nc_u64 s[38:39], s[38:39], _ZL12ksigns_iq2xs@rel64+4
	v_mov_b32_e32 v13, v9
	v_readfirstlane_b32 s4, v0
	v_lshlrev_b32_e32 v0, 2, v8
	s_delay_alu instid0(VALU_DEP_1)
	v_lshlrev_b32_e32 v12, 1, v0
	s_wait_kmcnt 0x0
	s_load_b32 s5, s[2:3], s33 offset:0x0 scale_offset
	s_wait_xcnt 0x0
	s_mul_f32 s2, s4, 0x4f7ffffe
	s_sub_co_i32 s3, 0, s28
	s_delay_alu instid0(SALU_CYCLE_2) | instskip(NEXT) | instid1(SALU_CYCLE_3)
	s_cvt_u32_f32 s2, s2
	s_mul_i32 s3, s3, s2
	s_delay_alu instid0(SALU_CYCLE_1) | instskip(NEXT) | instid1(SALU_CYCLE_1)
	s_mul_hi_u32 s3, s2, s3
	s_add_co_i32 s4, s2, s3
	s_load_b128 s[0:3], s[0:1], 0x0
	s_mul_hi_u32 s6, s33, s4
	s_mul_i32 s4, s43, s30
	s_mul_i32 s7, s6, s28
	s_add_co_i32 s8, s6, 1
	s_sub_co_i32 s7, s33, s7
	s_wait_kmcnt 0x0
	s_mul_i32 s4, s4, s5
	s_sub_co_i32 s9, s7, s28
	s_ashr_i32 s5, s4, 31
	s_cmp_ge_u32 s7, s28
	s_cselect_b32 s6, s8, s6
	s_cselect_b32 s7, s9, s7
	s_add_co_i32 s8, s6, 1
	s_cmp_ge_u32 s7, s28
	s_cselect_b32 s6, s8, s6
	s_delay_alu instid0(SALU_CYCLE_1) | instskip(NEXT) | instid1(SALU_CYCLE_1)
	s_mul_i32 s28, s6, s31
	s_lshl_b64 s[6:7], s[28:29], 2
	s_delay_alu instid0(SALU_CYCLE_1) | instskip(NEXT) | instid1(SALU_CYCLE_1)
	s_add_nc_u64 s[2:3], s[2:3], s[6:7]
	v_mad_nc_u64_u32 v[10:11], v8, 36, s[2:3]
	s_mul_u64 s[2:3], s[4:5], 0x4a
	s_delay_alu instid0(SALU_CYCLE_1)
	s_add_nc_u64 s[40:41], s[0:1], s[2:3]
.LBB286_3:                              ; =>This Inner Loop Header: Depth=1
	v_add_nc_u32_e32 v0, v22, v20
	s_delay_alu instid0(VALU_DEP_2) | instskip(SKIP_1) | instid1(VALU_DEP_3)
	v_mad_nc_i64_i32 v[14:15], v23, 36, v[10:11]
	v_dual_add_nc_u32 v20, 4, v20 :: v_dual_add_nc_u32 v23, 32, v23
	v_mad_nc_i64_i32 v[16:17], 0x4a, v0, s[40:41]
	s_clause 0x2
	global_load_b128 v[0:3], v[14:15], off offset:4
	global_load_b128 v[4:7], v[14:15], off offset:20
	global_load_u16 v25, v[14:15], off
	v_add_nc_u64_e32 v[28:29], v[16:17], v[12:13]
	v_add_nc_u64_e32 v[30:31], v[16:17], v[8:9]
	s_clause 0x2
	global_load_u16 v24, v[16:17], off
	global_load_b64 v[14:15], v[28:29], off offset:2
	global_load_u8 v26, v[30:31], off offset:66
	s_wait_loadcnt 0x5
	v_bfe_i32 v40, v1, 0, 8
	v_bfe_i32 v41, v1, 8, 8
	;; [unrolled: 1-line block ×3, first 2 shown]
	v_dual_ashrrev_i32 v42, 24, v1 :: v_dual_ashrrev_i32 v39, 24, v0
	s_wait_xcnt 0x0
	v_ashrrev_i32_e32 v30, 24, v2
	v_bfe_i32 v27, v2, 0, 8
	v_bfe_i32 v28, v2, 8, 8
	;; [unrolled: 1-line block ×5, first 2 shown]
	s_wait_loadcnt 0x1
	v_and_b32_e32 v56, 0x1ff, v14
	v_and_b32_e32 v57, 0x1ff, v15
	v_bfe_u32 v62, v15, 9, 7
	v_bfe_u32 v53, v14, 9, 7
	s_clause 0x1
	global_load_b64 v[58:59], v56, s[36:37] scale_offset
	global_load_b64 v[60:61], v57, s[36:37] scale_offset
	s_clause 0x1
	global_load_i8 v63, v62, s[38:39]
	; meta instruction
	; meta instruction
	;; [unrolled: 1-line block ×3, first 2 shown]
	global_load_i8 v62, v53, s[38:39]
	v_dual_lshrrev_b32 v1, 16, v15 :: v_dual_lshrrev_b32 v54, 13, v14
	v_bfe_i32 v16, v3, 16, 8
	v_dual_ashrrev_i32 v2, 24, v3 :: v_dual_ashrrev_i32 v50, 24, v4
	v_bfe_i32 v47, v4, 0, 8
	v_bfe_i32 v48, v4, 8, 8
	;; [unrolled: 1-line block ×6, first 2 shown]
	v_dual_ashrrev_i32 v46, 24, v5 :: v_dual_ashrrev_i32 v32, 24, v6
	v_bfe_i32 v35, v6, 0, 8
	v_bfe_i32 v34, v6, 8, 8
	;; [unrolled: 1-line block ×6, first 2 shown]
	v_dual_ashrrev_i32 v4, 24, v7 :: v_dual_lshrrev_b32 v7, 25, v14
	v_lshrrev_b32_e32 v55, 13, v15
	s_wait_xcnt 0x0
	v_and_b32_e32 v53, 0xff8, v54
	v_lshrrev_b32_e32 v36, 25, v15
	v_bfe_i32 v45, v0, 0, 8
	v_bfe_i32 v37, v0, 8, 8
	v_and_b32_e32 v56, 0xff8, v55
	s_clause 0x1
	global_load_b64 v[54:55], v53, s[36:37]
	global_load_b64 v[56:57], v56, s[36:37]
	v_bfe_i32 v38, v0, 16, 8
	v_cmp_gt_i16_e64 s0, 0, v15
	v_lshrrev_b32_e32 v0, 16, v14
	v_cmp_gt_i16_e32 vcc_lo, 0, v14
	v_cmp_gt_i16_e64 s15, 0, v1
	v_cvt_f32_f16_e32 v25, v25
	s_wait_loadcnt 0x5
	v_lshrrev_b32_e32 v64, 24, v58
	s_clause 0x1
	global_load_i8 v36, v36, s[38:39]
	global_load_i8 v7, v7, s[38:39]
	s_wait_xcnt 0x3
	v_bfe_u32 v53, v59, 16, 8
	v_and_b32_e32 v66, 0xff, v58
	v_bfe_u32 v67, v58, 8, 8
	s_wait_loadcnt 0x6
	v_bfe_u32 v69, v61, 16, 8
	v_bfe_u32 v58, v58, 16, 8
	s_wait_loadcnt 0x5
	v_dual_lshrrev_b32 v71, 24, v61 :: v_dual_bitop2_b32 v75, 2, v63 bitop3:0x40
	v_mul_i32_i24_e32 v53, v53, v51
	v_mul_i32_i24_e32 v51, v69, v52
	s_wait_loadcnt 0x4
	v_and_b32_e32 v52, 1, v62
	v_mul_i32_i24_e32 v45, v66, v45
	v_and_b32_e32 v66, 2, v62
	v_mul_i32_i24_e32 v67, v67, v37
	;; [unrolled: 2-line block ×3, first 2 shown]
	v_mul_i32_i24_e32 v46, v71, v46
	v_sub_nc_u32_e32 v71, 0, v53
	v_cmp_eq_u16_e64 s6, 0, v66
	v_dual_lshrrev_b32 v65, 24, v59 :: v_dual_bitop2_b32 v66, 4, v62 bitop3:0x40
	v_lshrrev_b32_e32 v70, 24, v60
	v_bfe_u32 v59, v59, 8, 8
	v_mul_i32_i24_e32 v40, v68, v40
	s_delay_alu instid0(VALU_DEP_4)
	v_cmp_eq_u16_e64 s7, 0, v66
	v_and_b32_e32 v66, 8, v62
	v_and_b32_e32 v72, 0xff, v60
	v_bfe_u32 v73, v60, 8, 8
	v_bfe_u32 v60, v60, 16, 8
	v_and_b32_e32 v74, 0xff, v61
	v_bfe_u32 v61, v61, 8, 8
	v_mul_i32_i24_e32 v41, v59, v41
	v_mul_i32_i24_e32 v37, v65, v42
	v_sub_nc_u32_e32 v80, 0, v40
	v_cmp_eq_u16_e64 s8, 0, v66
	s_wait_loadcnt 0x3
	v_lshrrev_b32_e32 v58, 24, v55
	v_cmp_eq_u16_e64 s5, 0, v52
	v_dual_sub_nc_u32 v52, 0, v67 :: v_dual_bitop2_b32 v66, 16, v62 bitop3:0x40
	v_dual_sub_nc_u32 v81, 0, v41 :: v_dual_bitop2_b32 v76, 4, v63 bitop3:0x40
	v_and_b32_e32 v77, 8, v63
	s_wait_loadcnt 0x2
	v_dual_lshrrev_b32 v68, 24, v57 :: v_dual_bitop2_b32 v78, 1, v63 bitop3:0x40
	v_mul_i32_i24_e32 v39, v64, v39
	v_mul_i32_i24_e32 v42, v72, v47
	;; [unrolled: 1-line block ×5, first 2 shown]
	v_lshrrev_b32_e32 v50, 24, v54
	v_and_b32_e32 v59, 0xff, v54
	v_bfe_u32 v60, v54, 8, 8
	v_bfe_u32 v54, v54, 16, 8
	v_and_b32_e32 v64, 0xff, v55
	v_bfe_u32 v65, v55, 8, 8
	v_bfe_u32 v55, v55, 16, 8
	v_mul_i32_i24_e32 v44, v61, v44
	v_lshrrev_b32_e32 v61, 24, v56
	v_and_b32_e32 v69, 0xff, v56
	v_bfe_u32 v70, v56, 8, 8
	v_bfe_u32 v56, v56, 16, 8
	v_and_b32_e32 v15, 0xff, v57
	v_bfe_u32 v72, v57, 8, 8
	v_bfe_u32 v57, v57, 16, 8
	v_cmp_eq_u16_e64 s9, 0, v66
	v_sub_nc_u32_e32 v66, 0, v37
	v_cmp_gt_i16_e64 s10, 0, v62
	v_dual_sub_nc_u32 v73, 0, v47 :: v_dual_bitop2_b32 v62, 32, v62 bitop3:0x40
	v_cmp_eq_u16_e64 s1, 0, v75
	v_cmp_eq_u16_e64 s2, 0, v76
	v_dual_sub_nc_u32 v75, 0, v49 :: v_dual_sub_nc_u32 v76, 0, v42
	v_cmp_eq_u16_e64 s4, 0, v78
	v_cmp_eq_u16_e64 s11, 0, v62
	v_dual_sub_nc_u32 v83, 0, v44 :: v_dual_bitop2_b32 v62, 16, v63 bitop3:0x40
	v_cmp_gt_i16_e64 s13, 0, v63
	v_mul_i32_i24_e32 v27, v59, v27
	v_mul_i32_i24_e32 v28, v60, v28
	v_and_b32_e32 v63, 32, v63
	v_mul_i32_i24_e32 v29, v54, v29
	v_mul_i32_i24_e32 v30, v50, v30
	;; [unrolled: 1-line block ×14, first 2 shown]
	v_dual_sub_nc_u32 v14, 0, v51 :: v_dual_sub_nc_u32 v74, 0, v48
	v_cmp_eq_u16_e64 s3, 0, v77
	v_dual_sub_nc_u32 v77, 0, v45 :: v_dual_sub_nc_u32 v1, 0, v28
	v_cmp_eq_u16_e64 s14, 0, v63
	v_dual_sub_nc_u32 v63, 0, v6 :: v_dual_cndmask_b32 v47, v73, v47, s1
	v_dual_sub_nc_u32 v78, 0, v38 :: v_dual_sub_nc_u32 v79, 0, v39
	v_sub_nc_u32_e32 v82, 0, v43
	v_cmp_eq_u16_e64 s12, 0, v62
	v_sub_nc_u32_e32 v62, 0, v46
	v_dual_sub_nc_u32 v65, 0, v2 :: v_dual_cndmask_b32 v48, v74, v48, s2
	v_cndmask_b32_e64 v49, v75, v49, s3
	v_dual_cndmask_b32 v45, v77, v45, s5 :: v_dual_cndmask_b32 v52, v52, v67, s6
	v_dual_cndmask_b32 v38, v78, v38, s7 :: v_dual_cndmask_b32 v39, v79, v39, s8
	v_dual_cndmask_b32 v53, v53, v71, vcc_lo :: v_dual_cndmask_b32 v44, v83, v44, s14
	v_dual_cndmask_b32 v37, v37, v66, s10 :: v_dual_cndmask_b32 v43, v82, v43, s12
	v_cndmask_b32_e64 v14, v51, v14, s0
	v_dual_cndmask_b32 v46, v46, v62, s13 :: v_dual_sub_nc_u32 v51, 0, v16
	v_add_nc_u32_e32 v45, v52, v45
	v_dual_cndmask_b32 v40, v80, v40, s9 :: v_dual_cndmask_b32 v41, v81, v41, s11
	v_sub_nc_u32_e32 v64, 0, v3
	v_mul_i32_i24_e32 v4, v68, v4
	s_wait_loadcnt 0x1
	v_and_b32_e32 v56, 1, v36
	s_wait_loadcnt 0x0
	v_and_b32_e32 v50, 2, v7
	v_and_b32_e32 v54, 4, v7
	;; [unrolled: 1-line block ×9, first 2 shown]
	v_cmp_gt_i16_e64 s26, 0, v36
	v_and_b32_e32 v36, 32, v36
	v_cmp_eq_u16_e64 s16, 0, v50
	v_sub_nc_u32_e32 v50, 0, v29
	v_cmp_eq_u16_e64 s17, 0, v54
	v_sub_nc_u32_e32 v54, 0, v30
	;; [unrolled: 2-line block ×8, first 2 shown]
	v_cmp_eq_u16_e64 s27, 0, v36
	v_cndmask_b32_e64 v36, v76, v42, s4
	v_cmp_gt_i16_e64 s1, 0, v7
	v_dual_cndmask_b32 v1, v1, v28, s16 :: v_dual_bitop2_b32 v7, 1, v7 bitop3:0x40
	v_cmp_eq_u16_e64 s24, 0, v57
	s_delay_alu instid0(VALU_DEP_4) | instskip(NEXT) | instid1(VALU_DEP_3)
	v_dual_add_nc_u32 v36, v47, v36 :: v_dual_sub_nc_u32 v47, 0, v27
	v_cmp_eq_u16_e32 vcc_lo, 0, v7
	v_dual_cndmask_b32 v29, v50, v29, s17 :: v_dual_cndmask_b32 v35, v59, v35, s21
	s_delay_alu instid0(VALU_DEP_3) | instskip(SKIP_3) | instid1(VALU_DEP_4)
	v_add3_u32 v36, v36, v48, v49
	v_dual_cndmask_b32 v34, v56, v34, s22 :: v_dual_cndmask_b32 v15, v15, v32, s24
	v_cndmask_b32_e32 v7, v47, v27, vcc_lo
	v_add3_u32 v27, v45, v38, v39
	v_add3_u32 v28, v36, v43, v44
	v_sub_nc_u32_e32 v57, 0, v5
	v_cmp_eq_u16_e64 s25, 0, v61
	v_sub_nc_u32_e32 v61, 0, v4
	v_add3_u32 v27, v27, v40, v41
	v_add3_u32 v14, v28, v14, v46
	v_dual_cndmask_b32 v28, v54, v30, s18 :: v_dual_cndmask_b32 v30, v60, v33, s23
	v_dual_cndmask_b32 v31, v55, v31, s19 :: v_dual_cndmask_b32 v5, v57, v5, s25
	s_delay_alu instid0(VALU_DEP_4) | instskip(NEXT) | instid1(VALU_DEP_4)
	v_add3_u32 v27, v27, v53, v37
	v_add3_u32 v14, v14, v35, v34
	v_cndmask_b32_e64 v3, v64, v3, s27
	v_lshrrev_b16 v42, 4, v26
	v_and_b32_e32 v26, 15, v26
	v_add3_u32 v1, v27, v7, v1
	v_add3_u32 v7, v14, v30, v15
	v_cndmask_b32_e64 v14, v58, v17, s20
	v_dual_cndmask_b32 v6, v6, v63, s15 :: v_dual_cndmask_b32 v4, v4, v61, s26
	s_delay_alu instid0(VALU_DEP_4) | instskip(NEXT) | instid1(VALU_DEP_4)
	v_add3_u32 v1, v1, v29, v28
	v_add3_u32 v3, v7, v5, v3
	v_cmp_gt_i16_e32 vcc_lo, 0, v0
	v_cvt_f32_ubyte0_e32 v42, v42
	v_cndmask_b32_e64 v2, v2, v65, s1
	v_add3_u32 v1, v1, v31, v14
	v_add3_u32 v3, v3, v6, v4
	v_cndmask_b32_e32 v0, v16, v51, vcc_lo
	v_cvt_f32_f16_e32 v4, v24
	v_cvt_f32_ubyte0_e32 v5, v26
	v_add_f32_e32 v6, 0.5, v42
	v_cmp_le_u32_e32 vcc_lo, s43, v20
	v_add3_u32 v0, v1, v0, v2
	v_cvt_f32_i32_e32 v1, v3
	v_mul_f32_e32 v2, v4, v25
	v_add_f32_e32 v3, 0.5, v5
	s_or_b32 s29, vcc_lo, s29
	v_cvt_f32_i32_e32 v0, v0
	s_delay_alu instid0(VALU_DEP_3) | instskip(NEXT) | instid1(VALU_DEP_1)
	v_dual_mul_f32 v1, v6, v1 :: v_dual_mul_f32 v2, 0x3e800000, v2
	v_fmac_f32_e32 v1, v3, v0
	s_delay_alu instid0(VALU_DEP_1)
	v_fmac_f32_e32 v21, v2, v1
	s_and_not1_b32 exec_lo, exec_lo, s29
	s_cbranch_execnz .LBB286_3
; %bb.4:
	s_or_b32 exec_lo, exec_lo, s29
.LBB286_5:
	s_delay_alu instid0(SALU_CYCLE_1) | instskip(SKIP_1) | instid1(VALU_DEP_1)
	s_or_b32 exec_lo, exec_lo, s42
	v_mbcnt_lo_u32_b32 v0, -1, 0
	v_xor_b32_e32 v2, 8, v0
	v_xor_b32_e32 v1, 16, v0
	;; [unrolled: 1-line block ×3, first 2 shown]
	s_delay_alu instid0(VALU_DEP_2) | instskip(SKIP_4) | instid1(VALU_DEP_2)
	v_cmp_gt_i32_e32 vcc_lo, 32, v1
	v_cndmask_b32_e32 v1, v0, v1, vcc_lo
	v_cmp_gt_i32_e32 vcc_lo, 32, v2
	v_cndmask_b32_e32 v2, v0, v2, vcc_lo
	v_cmp_gt_i32_e32 vcc_lo, 32, v3
	v_dual_lshlrev_b32 v2, 2, v2 :: v_dual_lshlrev_b32 v1, 2, v1
	ds_bpermute_b32 v1, v1, v21
	s_wait_dscnt 0x0
	v_add_f32_e32 v1, v21, v1
	ds_bpermute_b32 v2, v2, v1
	s_wait_dscnt 0x0
	v_dual_cndmask_b32 v3, v0, v3, vcc_lo :: v_dual_add_f32 v1, v1, v2
	s_delay_alu instid0(VALU_DEP_1) | instskip(SKIP_3) | instid1(VALU_DEP_1)
	v_lshlrev_b32_e32 v3, 2, v3
	ds_bpermute_b32 v2, v3, v1
	s_wait_dscnt 0x0
	v_dual_add_f32 v1, v1, v2 :: v_dual_bitop2_b32 v3, 2, v0 bitop3:0x14
	v_cmp_gt_i32_e32 vcc_lo, 32, v3
	v_cndmask_b32_e32 v3, v0, v3, vcc_lo
	s_delay_alu instid0(VALU_DEP_1) | instskip(SKIP_2) | instid1(VALU_DEP_1)
	v_lshlrev_b32_e32 v3, 2, v3
	ds_bpermute_b32 v2, v3, v1
	v_xor_b32_e32 v3, 1, v0
	v_cmp_gt_i32_e32 vcc_lo, 32, v3
	v_cndmask_b32_e32 v3, v0, v3, vcc_lo
	v_cmp_eq_u32_e32 vcc_lo, 0, v19
	s_wait_dscnt 0x0
	s_delay_alu instid0(VALU_DEP_2)
	v_dual_add_f32 v0, v1, v2 :: v_dual_lshlrev_b32 v1, 2, v3
	ds_bpermute_b32 v1, v1, v0
	s_and_b32 exec_lo, exec_lo, vcc_lo
	s_cbranch_execz .LBB286_7
; %bb.6:
	s_wait_dscnt 0x0
	v_add_f32_e32 v0, v0, v1
	v_mad_u32 v2, s30, s33, v18
	s_delay_alu instid0(VALU_DEP_2) | instskip(NEXT) | instid1(VALU_DEP_1)
	v_bfe_u32 v1, v0, 16, 1
	v_add3_u32 v1, v0, v1, 0x7fff
	s_delay_alu instid0(VALU_DEP_1) | instskip(SKIP_1) | instid1(VALU_DEP_2)
	v_lshrrev_b32_e32 v1, 16, v1
	v_cmp_o_f32_e32 vcc_lo, v0, v0
	v_cndmask_b32_e32 v0, 0x7fc0, v1, vcc_lo
	s_wait_kmcnt 0x0
	global_store_b16 v2, v0, s[34:35] scale_offset
.LBB286_7:
	s_sendmsg sendmsg(MSG_DEALLOC_VGPRS)
	s_endpgm
	.section	.rodata,"a",@progbits
	.p2align	6, 0x0
	.amdhsa_kernel _ZL9moe_vec_qIN3c108BFloat16ELi256ELi8E12block_iq2_xsLi1EXadL_ZL19vec_dot_iq2_xs_q8_1PKvPK10block_q8_1RKiEEEvS4_S4_PT_PS8_iiii
		.amdhsa_group_segment_fixed_size 0
		.amdhsa_private_segment_fixed_size 0
		.amdhsa_kernarg_size 304
		.amdhsa_user_sgpr_count 2
		.amdhsa_user_sgpr_dispatch_ptr 0
		.amdhsa_user_sgpr_queue_ptr 0
		.amdhsa_user_sgpr_kernarg_segment_ptr 1
		.amdhsa_user_sgpr_dispatch_id 0
		.amdhsa_user_sgpr_kernarg_preload_length 0
		.amdhsa_user_sgpr_kernarg_preload_offset 0
		.amdhsa_user_sgpr_private_segment_size 0
		.amdhsa_wavefront_size32 1
		.amdhsa_uses_dynamic_stack 0
		.amdhsa_enable_private_segment 0
		.amdhsa_system_sgpr_workgroup_id_x 1
		.amdhsa_system_sgpr_workgroup_id_y 0
		.amdhsa_system_sgpr_workgroup_id_z 1
		.amdhsa_system_sgpr_workgroup_info 0
		.amdhsa_system_vgpr_workitem_id 1
		.amdhsa_next_free_vgpr 84
		.amdhsa_next_free_sgpr 44
		.amdhsa_named_barrier_count 0
		.amdhsa_reserve_vcc 1
		.amdhsa_float_round_mode_32 0
		.amdhsa_float_round_mode_16_64 0
		.amdhsa_float_denorm_mode_32 3
		.amdhsa_float_denorm_mode_16_64 3
		.amdhsa_fp16_overflow 0
		.amdhsa_memory_ordered 1
		.amdhsa_forward_progress 1
		.amdhsa_inst_pref_size 21
		.amdhsa_round_robin_scheduling 0
		.amdhsa_exception_fp_ieee_invalid_op 0
		.amdhsa_exception_fp_denorm_src 0
		.amdhsa_exception_fp_ieee_div_zero 0
		.amdhsa_exception_fp_ieee_overflow 0
		.amdhsa_exception_fp_ieee_underflow 0
		.amdhsa_exception_fp_ieee_inexact 0
		.amdhsa_exception_int_div_zero 0
	.end_amdhsa_kernel
	.section	.text._ZL9moe_vec_qIN3c108BFloat16ELi256ELi8E12block_iq2_xsLi1EXadL_ZL19vec_dot_iq2_xs_q8_1PKvPK10block_q8_1RKiEEEvS4_S4_PT_PS8_iiii,"axG",@progbits,_ZL9moe_vec_qIN3c108BFloat16ELi256ELi8E12block_iq2_xsLi1EXadL_ZL19vec_dot_iq2_xs_q8_1PKvPK10block_q8_1RKiEEEvS4_S4_PT_PS8_iiii,comdat
.Lfunc_end286:
	.size	_ZL9moe_vec_qIN3c108BFloat16ELi256ELi8E12block_iq2_xsLi1EXadL_ZL19vec_dot_iq2_xs_q8_1PKvPK10block_q8_1RKiEEEvS4_S4_PT_PS8_iiii, .Lfunc_end286-_ZL9moe_vec_qIN3c108BFloat16ELi256ELi8E12block_iq2_xsLi1EXadL_ZL19vec_dot_iq2_xs_q8_1PKvPK10block_q8_1RKiEEEvS4_S4_PT_PS8_iiii
                                        ; -- End function
	.set _ZL9moe_vec_qIN3c108BFloat16ELi256ELi8E12block_iq2_xsLi1EXadL_ZL19vec_dot_iq2_xs_q8_1PKvPK10block_q8_1RKiEEEvS4_S4_PT_PS8_iiii.num_vgpr, 84
	.set _ZL9moe_vec_qIN3c108BFloat16ELi256ELi8E12block_iq2_xsLi1EXadL_ZL19vec_dot_iq2_xs_q8_1PKvPK10block_q8_1RKiEEEvS4_S4_PT_PS8_iiii.num_agpr, 0
	.set _ZL9moe_vec_qIN3c108BFloat16ELi256ELi8E12block_iq2_xsLi1EXadL_ZL19vec_dot_iq2_xs_q8_1PKvPK10block_q8_1RKiEEEvS4_S4_PT_PS8_iiii.numbered_sgpr, 44
	.set _ZL9moe_vec_qIN3c108BFloat16ELi256ELi8E12block_iq2_xsLi1EXadL_ZL19vec_dot_iq2_xs_q8_1PKvPK10block_q8_1RKiEEEvS4_S4_PT_PS8_iiii.num_named_barrier, 0
	.set _ZL9moe_vec_qIN3c108BFloat16ELi256ELi8E12block_iq2_xsLi1EXadL_ZL19vec_dot_iq2_xs_q8_1PKvPK10block_q8_1RKiEEEvS4_S4_PT_PS8_iiii.private_seg_size, 0
	.set _ZL9moe_vec_qIN3c108BFloat16ELi256ELi8E12block_iq2_xsLi1EXadL_ZL19vec_dot_iq2_xs_q8_1PKvPK10block_q8_1RKiEEEvS4_S4_PT_PS8_iiii.uses_vcc, 1
	.set _ZL9moe_vec_qIN3c108BFloat16ELi256ELi8E12block_iq2_xsLi1EXadL_ZL19vec_dot_iq2_xs_q8_1PKvPK10block_q8_1RKiEEEvS4_S4_PT_PS8_iiii.uses_flat_scratch, 0
	.set _ZL9moe_vec_qIN3c108BFloat16ELi256ELi8E12block_iq2_xsLi1EXadL_ZL19vec_dot_iq2_xs_q8_1PKvPK10block_q8_1RKiEEEvS4_S4_PT_PS8_iiii.has_dyn_sized_stack, 0
	.set _ZL9moe_vec_qIN3c108BFloat16ELi256ELi8E12block_iq2_xsLi1EXadL_ZL19vec_dot_iq2_xs_q8_1PKvPK10block_q8_1RKiEEEvS4_S4_PT_PS8_iiii.has_recursion, 0
	.set _ZL9moe_vec_qIN3c108BFloat16ELi256ELi8E12block_iq2_xsLi1EXadL_ZL19vec_dot_iq2_xs_q8_1PKvPK10block_q8_1RKiEEEvS4_S4_PT_PS8_iiii.has_indirect_call, 0
	.section	.AMDGPU.csdata,"",@progbits
; Kernel info:
; codeLenInByte = 2684
; TotalNumSgprs: 46
; NumVgprs: 84
; ScratchSize: 0
; MemoryBound: 0
; FloatMode: 240
; IeeeMode: 1
; LDSByteSize: 0 bytes/workgroup (compile time only)
; SGPRBlocks: 0
; VGPRBlocks: 5
; NumSGPRsForWavesPerEU: 46
; NumVGPRsForWavesPerEU: 84
; NamedBarCnt: 0
; Occupancy: 10
; WaveLimiterHint : 1
; COMPUTE_PGM_RSRC2:SCRATCH_EN: 0
; COMPUTE_PGM_RSRC2:USER_SGPR: 2
; COMPUTE_PGM_RSRC2:TRAP_HANDLER: 0
; COMPUTE_PGM_RSRC2:TGID_X_EN: 1
; COMPUTE_PGM_RSRC2:TGID_Y_EN: 0
; COMPUTE_PGM_RSRC2:TGID_Z_EN: 1
; COMPUTE_PGM_RSRC2:TIDIG_COMP_CNT: 1
	.section	.text._ZL9moe_vec_qIN3c108BFloat16ELi256ELi8E13block_iq3_xxsLi1EXadL_ZL20vec_dot_iq3_xxs_q8_1PKvPK10block_q8_1RKiEEEvS4_S4_PT_PS8_iiii,"axG",@progbits,_ZL9moe_vec_qIN3c108BFloat16ELi256ELi8E13block_iq3_xxsLi1EXadL_ZL20vec_dot_iq3_xxs_q8_1PKvPK10block_q8_1RKiEEEvS4_S4_PT_PS8_iiii,comdat
	.globl	_ZL9moe_vec_qIN3c108BFloat16ELi256ELi8E13block_iq3_xxsLi1EXadL_ZL20vec_dot_iq3_xxs_q8_1PKvPK10block_q8_1RKiEEEvS4_S4_PT_PS8_iiii ; -- Begin function _ZL9moe_vec_qIN3c108BFloat16ELi256ELi8E13block_iq3_xxsLi1EXadL_ZL20vec_dot_iq3_xxs_q8_1PKvPK10block_q8_1RKiEEEvS4_S4_PT_PS8_iiii
	.p2align	8
	.type	_ZL9moe_vec_qIN3c108BFloat16ELi256ELi8E13block_iq3_xxsLi1EXadL_ZL20vec_dot_iq3_xxs_q8_1PKvPK10block_q8_1RKiEEEvS4_S4_PT_PS8_iiii,@function
_ZL9moe_vec_qIN3c108BFloat16ELi256ELi8E13block_iq3_xxsLi1EXadL_ZL20vec_dot_iq3_xxs_q8_1PKvPK10block_q8_1RKiEEEvS4_S4_PT_PS8_iiii: ; @_ZL9moe_vec_qIN3c108BFloat16ELi256ELi8E13block_iq3_xxsLi1EXadL_ZL20vec_dot_iq3_xxs_q8_1PKvPK10block_q8_1RKiEEEvS4_S4_PT_PS8_iiii
; %bb.0:
	s_clause 0x1
	s_load_u16 s2, s[0:1], 0x3e
	s_load_b128 s[4:7], s[0:1], 0x20
	s_bfe_u32 s3, ttmp6, 0x4000c
	s_and_b32 s8, ttmp6, 15
	s_add_co_i32 s3, s3, 1
	v_bfe_u32 v1, v0, 10, 10
	s_mul_i32 s3, ttmp9, s3
	s_delay_alu instid0(SALU_CYCLE_1) | instskip(SKIP_1) | instid1(SALU_CYCLE_1)
	s_add_co_i32 s3, s8, s3
	s_getreg_b32 s8, hwreg(HW_REG_IB_STS2, 6, 4)
	s_cmp_eq_u32 s8, 0
	s_cselect_b32 s3, ttmp9, s3
	s_wait_kmcnt 0x0
	v_mad_u32 v14, s3, s2, v1
	s_mov_b32 s2, exec_lo
	s_delay_alu instid0(VALU_DEP_1)
	v_cmpx_gt_u32_e64 s6, v14
	s_cbranch_execz .LBB287_9
; %bb.1:
	s_load_b64 s[2:3], s[0:1], 0x10
	s_bfe_u32 s9, ttmp6, 0x40014
	s_lshr_b32 s10, ttmp7, 16
	s_add_co_i32 s9, s9, 1
	s_bfe_u32 s11, ttmp6, 0x40008
	s_mul_i32 s9, s10, s9
	v_bfe_u32 v16, v0, 3, 7
	s_add_co_i32 s11, s11, s9
	s_cmp_eq_u32 s8, 0
	v_and_b32_e32 v15, 0x3ff, v0
	s_cselect_b32 s14, s10, s11
	s_ashr_i32 s8, s5, 31
	v_mov_b32_e32 v18, 0
	s_lshr_b32 s8, s8, 24
	s_mov_b32 s15, exec_lo
	s_add_co_i32 s5, s5, s8
	s_delay_alu instid0(SALU_CYCLE_1) | instskip(NEXT) | instid1(SALU_CYCLE_1)
	s_ashr_i32 s16, s5, 8
	v_cmpx_gt_u32_e64 s16, v16
	s_cbranch_execz .LBB287_7
; %bb.2:
	s_load_b64 s[8:9], s[0:1], 0x18
	s_cvt_f32_u32 s5, s4
	v_dual_mov_b32 v1, 0 :: v_dual_bitop2_b32 v6, 7, v15 bitop3:0x40
	v_mul_lo_u32 v17, v14, s16
	s_delay_alu instid0(SALU_CYCLE_1) | instskip(NEXT) | instid1(VALU_DEP_2)
	v_rcp_iflag_f32_e32 v0, s5
	v_dual_mov_b32 v18, v1 :: v_dual_lshlrev_b32 v19, 3, v16
	s_delay_alu instid0(TRANS32_DEP_1) | instskip(NEXT) | instid1(VALU_DEP_3)
	v_readfirstlane_b32 s5, v0
	v_dual_lshlrev_b32 v0, 3, v6 :: v_dual_add_nc_u32 v20, v16, v17
	s_mul_f32 s5, s5, 0x4f7ffffe
	s_wait_kmcnt 0x0
	s_load_b32 s12, s[8:9], s14 offset:0x0 scale_offset
	s_delay_alu instid0(SALU_CYCLE_1) | instskip(SKIP_2) | instid1(SALU_CYCLE_1)
	s_cvt_u32_f32 s5, s5
	s_wait_xcnt 0x0
	s_sub_co_i32 s8, 0, s4
	s_mul_i32 s8, s8, s5
	s_delay_alu instid0(SALU_CYCLE_1) | instskip(NEXT) | instid1(SALU_CYCLE_1)
	s_mul_hi_u32 s8, s5, s8
	s_add_co_i32 s5, s5, s8
	s_load_b128 s[8:11], s[0:1], 0x0
	s_wait_xcnt 0x0
	s_mul_hi_u32 s0, s14, s5
	s_mul_i32 s1, s16, s6
	s_mul_i32 s5, s0, s4
	s_add_co_i32 s17, s0, 1
	s_sub_co_i32 s5, s14, s5
	s_delay_alu instid0(SALU_CYCLE_1)
	s_sub_co_i32 s18, s5, s4
	s_wait_kmcnt 0x0
	s_mul_i32 s12, s1, s12
	s_mov_b32 s1, 0
	s_ashr_i32 s13, s12, 31
	s_cmp_ge_u32 s5, s4
	s_cselect_b32 s0, s17, s0
	s_cselect_b32 s5, s18, s5
	s_add_co_i32 s17, s0, 1
	s_cmp_ge_u32 s5, s4
	s_cselect_b32 s0, s17, s0
	s_delay_alu instid0(SALU_CYCLE_1) | instskip(NEXT) | instid1(SALU_CYCLE_1)
	s_mul_i32 s0, s0, s7
	s_lshl_b64 s[4:5], s[0:1], 2
	s_delay_alu instid0(SALU_CYCLE_1)
	s_add_nc_u64 s[4:5], s[10:11], s[4:5]
	s_mul_u64 s[10:11], s[12:13], 0x62
	v_mad_nc_u64_u32 v[2:3], v6, 36, s[4:5]
	s_add_nc_u64 s[4:5], s[8:9], s[10:11]
	s_get_pc_i64 s[8:9]
	s_add_nc_u64 s[8:9], s[8:9], _ZL11iq3xxs_grid@rel64+4
	v_add_nc_u64_e32 v[4:5], s[4:5], v[0:1]
	v_lshlrev_b32_e32 v0, 1, v6
	s_get_pc_i64 s[10:11]
	s_add_nc_u64 s[10:11], s[10:11], _ZL8ksigns64@rel64+4
	s_delay_alu instid0(VALU_DEP_1) | instskip(NEXT) | instid1(VALU_DEP_3)
	v_lshlrev_b32_e32 v0, 1, v0
	v_add_nc_u64_e32 v[4:5], 2, v[4:5]
	v_add_nc_u64_e32 v[6:7], 4, v[2:3]
.LBB287_3:                              ; =>This Loop Header: Depth=1
                                        ;     Child Loop BB287_4 Depth 2
	v_dual_mov_b32 v21, 0 :: v_dual_add_nc_u32 v8, v16, v17
	s_delay_alu instid0(VALU_DEP_3) | instskip(SKIP_1) | instid1(VALU_DEP_2)
	v_mad_nc_i64_i32 v[12:13], 0x62, v20, v[4:5]
	s_mov_b64 s[12:13], 0
	v_mad_nc_i64_i32 v[8:9], 0x62, v8, s[4:5]
	s_delay_alu instid0(VALU_DEP_1)
	v_add_nc_u64_e32 v[10:11], v[8:9], v[0:1]
	global_load_b32 v22, v[10:11], off offset:66
	s_wait_xcnt 0x0
	v_mad_nc_i64_i32 v[10:11], v19, 36, v[6:7]
.LBB287_4:                              ;   Parent Loop BB287_3 Depth=1
                                        ; =>  This Inner Loop Header: Depth=2
	global_load_u16 v23, v[12:13], off
	s_wait_loadcnt 0x1
	v_and_b32_e32 v26, 0x7f, v22
	v_add_nc_u64_e32 v[24:25], s[12:13], v[10:11]
	s_wait_xcnt 0x0
	v_add_nc_u64_e32 v[12:13], 2, v[12:13]
	v_lshrrev_b32_e32 v22, 7, v22
	s_add_nc_u64 s[12:13], s[12:13], 8
	global_load_b64 v[26:27], v26, s[10:11] scale_offset
	s_cmp_lg_u32 s12, 32
	s_wait_loadcnt 0x1
	v_lshrrev_b16 v28, 8, v23
	v_and_b32_e32 v23, 0xff, v23
	s_delay_alu instid0(VALU_DEP_2)
	v_and_b32_e32 v30, 0xffff, v28
	s_wait_loadcnt 0x0
	v_and_b32_e32 v33, 0xff0000, v27
	v_and_b32_e32 v34, 0xff00, v27
	s_clause 0x1
	global_load_b32 v31, v23, s[8:9] scale_offset
	global_load_b32 v32, v30, s[8:9] scale_offset
	global_load_b64 v[28:29], v[24:25], off
	s_wait_xcnt 0x0
	v_and_b32_e32 v24, 0xff0000, v26
	v_and_b32_e32 v23, 0xff000000, v26
	;; [unrolled: 1-line block ×4, first 2 shown]
	s_wait_loadcnt 0x1
	v_xor_b32_e32 v32, v27, v32
	v_xor_b32_e32 v31, v26, v31
	s_wait_loadcnt 0x0
	v_lshrrev_b16 v35, 8, v28
	v_lshrrev_b16 v36, 8, v29
	v_dual_ashrrev_i32 v37, 24, v28 :: v_dual_ashrrev_i32 v39, 24, v29
	v_dual_sub_nc_u32 v24, v31, v24 :: v_dual_sub_nc_u32 v26, v31, v26
	v_bfe_i32 v38, v28, 16, 8
	v_bfe_i32 v28, v28, 0, 8
	;; [unrolled: 1-line block ×4, first 2 shown]
	v_perm_b32 v24, v24, v26, 0xc060c00
	v_dual_sub_nc_u32 v26, v32, v33 :: v_dual_sub_nc_u32 v23, v31, v23
	v_sub_nc_u32_e32 v25, v31, v25
	v_bfe_i32 v35, v35, 0, 8
	v_bfe_i32 v36, v36, 0, 8
	s_delay_alu instid0(VALU_DEP_4) | instskip(SKIP_3) | instid1(VALU_DEP_3)
	v_ashrrev_i32_e32 v23, 24, v23
	v_dual_sub_nc_u32 v27, v32, v27 :: v_dual_sub_nc_u32 v31, v32, v34
	v_sub_nc_u32_e32 v30, v32, v30
	v_lshrrev_b16 v25, 8, v25
	v_perm_b32 v26, v26, v27, 0xc060c00
	s_delay_alu instid0(VALU_DEP_4)
	v_lshrrev_b16 v27, 8, v31
	v_bfe_i32 v31, v24, 0, 8
	v_ashrrev_i32_e32 v30, 24, v30
	v_bfe_i32 v24, v24, 16, 8
	v_bfe_i32 v32, v26, 16, 8
	;; [unrolled: 1-line block ×3, first 2 shown]
	v_mul_i32_i24_e32 v28, v31, v28
	v_bfe_i32 v26, v26, 0, 8
	v_bfe_i32 v27, v27, 0, 8
	v_mul_i32_i24_e32 v30, v30, v39
	v_mul_i32_i24_e32 v31, v32, v40
	;; [unrolled: 1-line block ×5, first 2 shown]
	v_mad_i32_i24 v23, v23, v37, v30
	v_mad_i32_i24 v24, v24, v38, v31
	s_delay_alu instid0(VALU_DEP_2) | instskip(NEXT) | instid1(VALU_DEP_2)
	v_add3_u32 v23, v25, v27, v23
	v_add3_u32 v24, v28, v26, v24
	s_delay_alu instid0(VALU_DEP_1)
	v_add3_u32 v21, v24, v23, v21
	s_cbranch_scc1 .LBB287_4
; %bb.5:                                ;   in Loop: Header=BB287_3 Depth=1
	v_dual_lshlrev_b32 v10, 3, v16 :: v_dual_add_nc_u32 v19, 32, v19
	v_add_nc_u32_e32 v16, 4, v16
	v_add_nc_u32_e32 v20, 4, v20
	s_delay_alu instid0(VALU_DEP_3)
	v_mad_nc_i64_i32 v[10:11], v10, 36, v[2:3]
	global_load_u16 v12, v[8:9], off
	global_load_b32 v13, v[10:11], off
	s_wait_xcnt 0x1
	v_cvt_f32_u32_e32 v8, v22
	v_cmp_le_u32_e32 vcc_lo, s16, v16
	s_delay_alu instid0(VALU_DEP_2) | instskip(SKIP_3) | instid1(VALU_DEP_1)
	v_add_f32_e32 v8, 0.5, v8
	s_or_b32 s1, vcc_lo, s1
	s_wait_loadcnt 0x1
	v_cvt_f32_f16_e32 v9, v12
	v_mul_f32_e32 v8, v8, v9
	s_wait_loadcnt 0x0
	v_cvt_f32_f16_e32 v9, v13
	s_delay_alu instid0(VALU_DEP_1) | instskip(SKIP_1) | instid1(VALU_DEP_2)
	v_mul_f32_e32 v8, v8, v9
	v_cvt_f32_i32_e32 v9, v21
	v_mul_f32_e32 v8, 0.5, v8
	s_delay_alu instid0(VALU_DEP_1)
	v_fmac_f32_e32 v18, v8, v9
	s_and_not1_b32 exec_lo, exec_lo, s1
	s_cbranch_execnz .LBB287_3
; %bb.6:
	s_or_b32 exec_lo, exec_lo, s1
.LBB287_7:
	s_delay_alu instid0(SALU_CYCLE_1) | instskip(SKIP_1) | instid1(VALU_DEP_1)
	s_or_b32 exec_lo, exec_lo, s15
	v_mbcnt_lo_u32_b32 v0, -1, 0
	v_xor_b32_e32 v2, 8, v0
	v_xor_b32_e32 v1, 16, v0
	;; [unrolled: 1-line block ×3, first 2 shown]
	s_delay_alu instid0(VALU_DEP_2) | instskip(SKIP_4) | instid1(VALU_DEP_2)
	v_cmp_gt_i32_e32 vcc_lo, 32, v1
	v_cndmask_b32_e32 v1, v0, v1, vcc_lo
	v_cmp_gt_i32_e32 vcc_lo, 32, v2
	v_cndmask_b32_e32 v2, v0, v2, vcc_lo
	v_cmp_gt_i32_e32 vcc_lo, 32, v3
	v_dual_lshlrev_b32 v2, 2, v2 :: v_dual_lshlrev_b32 v1, 2, v1
	ds_bpermute_b32 v1, v1, v18
	s_wait_dscnt 0x0
	v_add_f32_e32 v1, v18, v1
	ds_bpermute_b32 v2, v2, v1
	s_wait_dscnt 0x0
	v_dual_cndmask_b32 v3, v0, v3, vcc_lo :: v_dual_add_f32 v1, v1, v2
	s_delay_alu instid0(VALU_DEP_1) | instskip(SKIP_3) | instid1(VALU_DEP_1)
	v_lshlrev_b32_e32 v3, 2, v3
	ds_bpermute_b32 v2, v3, v1
	s_wait_dscnt 0x0
	v_dual_add_f32 v1, v1, v2 :: v_dual_bitop2_b32 v3, 2, v0 bitop3:0x14
	v_cmp_gt_i32_e32 vcc_lo, 32, v3
	v_cndmask_b32_e32 v3, v0, v3, vcc_lo
	s_delay_alu instid0(VALU_DEP_1) | instskip(SKIP_2) | instid1(VALU_DEP_1)
	v_lshlrev_b32_e32 v3, 2, v3
	ds_bpermute_b32 v2, v3, v1
	v_xor_b32_e32 v3, 1, v0
	v_cmp_gt_i32_e32 vcc_lo, 32, v3
	v_cndmask_b32_e32 v3, v0, v3, vcc_lo
	v_cmp_eq_u32_e32 vcc_lo, 0, v15
	s_wait_dscnt 0x0
	s_delay_alu instid0(VALU_DEP_2)
	v_dual_add_f32 v0, v1, v2 :: v_dual_lshlrev_b32 v1, 2, v3
	ds_bpermute_b32 v1, v1, v0
	s_and_b32 exec_lo, exec_lo, vcc_lo
	s_cbranch_execz .LBB287_9
; %bb.8:
	s_wait_dscnt 0x0
	v_add_f32_e32 v0, v0, v1
	v_mad_u32 v2, s6, s14, v14
	s_delay_alu instid0(VALU_DEP_2) | instskip(NEXT) | instid1(VALU_DEP_1)
	v_bfe_u32 v1, v0, 16, 1
	v_add3_u32 v1, v0, v1, 0x7fff
	s_delay_alu instid0(VALU_DEP_1) | instskip(SKIP_1) | instid1(VALU_DEP_2)
	v_lshrrev_b32_e32 v1, 16, v1
	v_cmp_o_f32_e32 vcc_lo, v0, v0
	v_cndmask_b32_e32 v0, 0x7fc0, v1, vcc_lo
	s_wait_kmcnt 0x0
	global_store_b16 v2, v0, s[2:3] scale_offset
.LBB287_9:
	s_endpgm
	.section	.rodata,"a",@progbits
	.p2align	6, 0x0
	.amdhsa_kernel _ZL9moe_vec_qIN3c108BFloat16ELi256ELi8E13block_iq3_xxsLi1EXadL_ZL20vec_dot_iq3_xxs_q8_1PKvPK10block_q8_1RKiEEEvS4_S4_PT_PS8_iiii
		.amdhsa_group_segment_fixed_size 0
		.amdhsa_private_segment_fixed_size 0
		.amdhsa_kernarg_size 304
		.amdhsa_user_sgpr_count 2
		.amdhsa_user_sgpr_dispatch_ptr 0
		.amdhsa_user_sgpr_queue_ptr 0
		.amdhsa_user_sgpr_kernarg_segment_ptr 1
		.amdhsa_user_sgpr_dispatch_id 0
		.amdhsa_user_sgpr_kernarg_preload_length 0
		.amdhsa_user_sgpr_kernarg_preload_offset 0
		.amdhsa_user_sgpr_private_segment_size 0
		.amdhsa_wavefront_size32 1
		.amdhsa_uses_dynamic_stack 0
		.amdhsa_enable_private_segment 0
		.amdhsa_system_sgpr_workgroup_id_x 1
		.amdhsa_system_sgpr_workgroup_id_y 0
		.amdhsa_system_sgpr_workgroup_id_z 1
		.amdhsa_system_sgpr_workgroup_info 0
		.amdhsa_system_vgpr_workitem_id 1
		.amdhsa_next_free_vgpr 41
		.amdhsa_next_free_sgpr 19
		.amdhsa_named_barrier_count 0
		.amdhsa_reserve_vcc 1
		.amdhsa_float_round_mode_32 0
		.amdhsa_float_round_mode_16_64 0
		.amdhsa_float_denorm_mode_32 3
		.amdhsa_float_denorm_mode_16_64 3
		.amdhsa_fp16_overflow 0
		.amdhsa_memory_ordered 1
		.amdhsa_forward_progress 1
		.amdhsa_inst_pref_size 12
		.amdhsa_round_robin_scheduling 0
		.amdhsa_exception_fp_ieee_invalid_op 0
		.amdhsa_exception_fp_denorm_src 0
		.amdhsa_exception_fp_ieee_div_zero 0
		.amdhsa_exception_fp_ieee_overflow 0
		.amdhsa_exception_fp_ieee_underflow 0
		.amdhsa_exception_fp_ieee_inexact 0
		.amdhsa_exception_int_div_zero 0
	.end_amdhsa_kernel
	.section	.text._ZL9moe_vec_qIN3c108BFloat16ELi256ELi8E13block_iq3_xxsLi1EXadL_ZL20vec_dot_iq3_xxs_q8_1PKvPK10block_q8_1RKiEEEvS4_S4_PT_PS8_iiii,"axG",@progbits,_ZL9moe_vec_qIN3c108BFloat16ELi256ELi8E13block_iq3_xxsLi1EXadL_ZL20vec_dot_iq3_xxs_q8_1PKvPK10block_q8_1RKiEEEvS4_S4_PT_PS8_iiii,comdat
.Lfunc_end287:
	.size	_ZL9moe_vec_qIN3c108BFloat16ELi256ELi8E13block_iq3_xxsLi1EXadL_ZL20vec_dot_iq3_xxs_q8_1PKvPK10block_q8_1RKiEEEvS4_S4_PT_PS8_iiii, .Lfunc_end287-_ZL9moe_vec_qIN3c108BFloat16ELi256ELi8E13block_iq3_xxsLi1EXadL_ZL20vec_dot_iq3_xxs_q8_1PKvPK10block_q8_1RKiEEEvS4_S4_PT_PS8_iiii
                                        ; -- End function
	.set _ZL9moe_vec_qIN3c108BFloat16ELi256ELi8E13block_iq3_xxsLi1EXadL_ZL20vec_dot_iq3_xxs_q8_1PKvPK10block_q8_1RKiEEEvS4_S4_PT_PS8_iiii.num_vgpr, 41
	.set _ZL9moe_vec_qIN3c108BFloat16ELi256ELi8E13block_iq3_xxsLi1EXadL_ZL20vec_dot_iq3_xxs_q8_1PKvPK10block_q8_1RKiEEEvS4_S4_PT_PS8_iiii.num_agpr, 0
	.set _ZL9moe_vec_qIN3c108BFloat16ELi256ELi8E13block_iq3_xxsLi1EXadL_ZL20vec_dot_iq3_xxs_q8_1PKvPK10block_q8_1RKiEEEvS4_S4_PT_PS8_iiii.numbered_sgpr, 19
	.set _ZL9moe_vec_qIN3c108BFloat16ELi256ELi8E13block_iq3_xxsLi1EXadL_ZL20vec_dot_iq3_xxs_q8_1PKvPK10block_q8_1RKiEEEvS4_S4_PT_PS8_iiii.num_named_barrier, 0
	.set _ZL9moe_vec_qIN3c108BFloat16ELi256ELi8E13block_iq3_xxsLi1EXadL_ZL20vec_dot_iq3_xxs_q8_1PKvPK10block_q8_1RKiEEEvS4_S4_PT_PS8_iiii.private_seg_size, 0
	.set _ZL9moe_vec_qIN3c108BFloat16ELi256ELi8E13block_iq3_xxsLi1EXadL_ZL20vec_dot_iq3_xxs_q8_1PKvPK10block_q8_1RKiEEEvS4_S4_PT_PS8_iiii.uses_vcc, 1
	.set _ZL9moe_vec_qIN3c108BFloat16ELi256ELi8E13block_iq3_xxsLi1EXadL_ZL20vec_dot_iq3_xxs_q8_1PKvPK10block_q8_1RKiEEEvS4_S4_PT_PS8_iiii.uses_flat_scratch, 0
	.set _ZL9moe_vec_qIN3c108BFloat16ELi256ELi8E13block_iq3_xxsLi1EXadL_ZL20vec_dot_iq3_xxs_q8_1PKvPK10block_q8_1RKiEEEvS4_S4_PT_PS8_iiii.has_dyn_sized_stack, 0
	.set _ZL9moe_vec_qIN3c108BFloat16ELi256ELi8E13block_iq3_xxsLi1EXadL_ZL20vec_dot_iq3_xxs_q8_1PKvPK10block_q8_1RKiEEEvS4_S4_PT_PS8_iiii.has_recursion, 0
	.set _ZL9moe_vec_qIN3c108BFloat16ELi256ELi8E13block_iq3_xxsLi1EXadL_ZL20vec_dot_iq3_xxs_q8_1PKvPK10block_q8_1RKiEEEvS4_S4_PT_PS8_iiii.has_indirect_call, 0
	.section	.AMDGPU.csdata,"",@progbits
; Kernel info:
; codeLenInByte = 1500
; TotalNumSgprs: 21
; NumVgprs: 41
; ScratchSize: 0
; MemoryBound: 0
; FloatMode: 240
; IeeeMode: 1
; LDSByteSize: 0 bytes/workgroup (compile time only)
; SGPRBlocks: 0
; VGPRBlocks: 2
; NumSGPRsForWavesPerEU: 21
; NumVGPRsForWavesPerEU: 41
; NamedBarCnt: 0
; Occupancy: 16
; WaveLimiterHint : 1
; COMPUTE_PGM_RSRC2:SCRATCH_EN: 0
; COMPUTE_PGM_RSRC2:USER_SGPR: 2
; COMPUTE_PGM_RSRC2:TRAP_HANDLER: 0
; COMPUTE_PGM_RSRC2:TGID_X_EN: 1
; COMPUTE_PGM_RSRC2:TGID_Y_EN: 0
; COMPUTE_PGM_RSRC2:TGID_Z_EN: 1
; COMPUTE_PGM_RSRC2:TIDIG_COMP_CNT: 1
	.section	.text._ZL9moe_vec_qIN3c108BFloat16ELi256ELi8E11block_iq1_sLi1EXadL_ZL18vec_dot_iq1_s_q8_1PKvPK10block_q8_1RKiEEEvS4_S4_PT_PS8_iiii,"axG",@progbits,_ZL9moe_vec_qIN3c108BFloat16ELi256ELi8E11block_iq1_sLi1EXadL_ZL18vec_dot_iq1_s_q8_1PKvPK10block_q8_1RKiEEEvS4_S4_PT_PS8_iiii,comdat
	.globl	_ZL9moe_vec_qIN3c108BFloat16ELi256ELi8E11block_iq1_sLi1EXadL_ZL18vec_dot_iq1_s_q8_1PKvPK10block_q8_1RKiEEEvS4_S4_PT_PS8_iiii ; -- Begin function _ZL9moe_vec_qIN3c108BFloat16ELi256ELi8E11block_iq1_sLi1EXadL_ZL18vec_dot_iq1_s_q8_1PKvPK10block_q8_1RKiEEEvS4_S4_PT_PS8_iiii
	.p2align	8
	.type	_ZL9moe_vec_qIN3c108BFloat16ELi256ELi8E11block_iq1_sLi1EXadL_ZL18vec_dot_iq1_s_q8_1PKvPK10block_q8_1RKiEEEvS4_S4_PT_PS8_iiii,@function
_ZL9moe_vec_qIN3c108BFloat16ELi256ELi8E11block_iq1_sLi1EXadL_ZL18vec_dot_iq1_s_q8_1PKvPK10block_q8_1RKiEEEvS4_S4_PT_PS8_iiii: ; @_ZL9moe_vec_qIN3c108BFloat16ELi256ELi8E11block_iq1_sLi1EXadL_ZL18vec_dot_iq1_s_q8_1PKvPK10block_q8_1RKiEEEvS4_S4_PT_PS8_iiii
; %bb.0:
	s_clause 0x1
	s_load_u16 s3, s[0:1], 0x3e
	s_load_b128 s[4:7], s[0:1], 0x20
	s_bfe_u32 s2, ttmp6, 0x4000c
	s_and_b32 s8, ttmp6, 15
	s_add_co_i32 s2, s2, 1
	v_bfe_u32 v1, v0, 10, 10
	s_mul_i32 s2, ttmp9, s2
	s_delay_alu instid0(SALU_CYCLE_1) | instskip(SKIP_1) | instid1(SALU_CYCLE_1)
	s_add_co_i32 s8, s8, s2
	s_getreg_b32 s2, hwreg(HW_REG_IB_STS2, 6, 4)
	s_cmp_eq_u32 s2, 0
	s_cselect_b32 s8, ttmp9, s8
	s_wait_kmcnt 0x0
	v_mad_u32 v18, s8, s3, v1
	s_mov_b32 s3, exec_lo
	s_delay_alu instid0(VALU_DEP_1)
	v_cmpx_gt_u32_e64 s6, v18
	s_cbranch_execz .LBB288_7
; %bb.1:
	s_load_b64 s[8:9], s[0:1], 0x10
	s_bfe_u32 s3, ttmp6, 0x40014
	s_lshr_b32 s10, ttmp7, 16
	s_add_co_i32 s3, s3, 1
	s_bfe_u32 s11, ttmp6, 0x40008
	s_mul_i32 s3, s10, s3
	v_bfe_u32 v20, v0, 3, 7
	s_add_co_i32 s11, s11, s3
	s_cmp_eq_u32 s2, 0
	v_and_b32_e32 v19, 0x3ff, v0
	s_cselect_b32 s10, s10, s11
	s_ashr_i32 s2, s5, 31
	v_mov_b32_e32 v21, 0
	s_lshr_b32 s2, s2, 24
	s_mov_b32 s11, exec_lo
	s_add_co_i32 s2, s5, s2
	s_delay_alu instid0(SALU_CYCLE_1) | instskip(NEXT) | instid1(SALU_CYCLE_1)
	s_ashr_i32 s12, s2, 8
	v_cmpx_gt_u32_e64 s12, v20
	s_cbranch_execz .LBB288_5
; %bb.2:
	s_load_b64 s[2:3], s[0:1], 0x18
	s_cvt_f32_u32 s5, s4
	s_mul_i32 s14, s12, s6
	v_mul_lo_u32 v22, v18, s12
	v_mov_b32_e32 v9, 0
	v_rcp_iflag_f32_e32 v0, s5
	s_delay_alu instid0(VALU_DEP_1) | instskip(NEXT) | instid1(TRANS32_DEP_1)
	v_dual_mov_b32 v13, v9 :: v_dual_mov_b32 v21, v9
	v_readfirstlane_b32 s5, v0
	v_and_b32_e32 v0, 7, v19
	s_delay_alu instid0(VALU_DEP_1)
	v_dual_lshlrev_b32 v2, 1, v0 :: v_dual_lshlrev_b32 v12, 1, v0
	s_wait_kmcnt 0x0
	s_load_b32 s13, s[2:3], s10 offset:0x0 scale_offset
	s_wait_xcnt 0x0
	s_mul_f32 s2, s5, 0x4f7ffffe
	s_sub_co_i32 s3, 0, s4
	v_dual_lshlrev_b32 v23, 3, v20 :: v_dual_lshlrev_b32 v8, 1, v2
	s_delay_alu instid0(SALU_CYCLE_1) | instskip(NEXT) | instid1(SALU_CYCLE_3)
	s_cvt_u32_f32 s2, s2
	s_mul_i32 s3, s3, s2
	s_delay_alu instid0(SALU_CYCLE_1) | instskip(NEXT) | instid1(SALU_CYCLE_1)
	s_mul_hi_u32 s3, s2, s3
	s_add_co_i32 s5, s2, s3
	s_load_b128 s[0:3], s[0:1], 0x0
	s_mul_hi_u32 s5, s10, s5
	s_delay_alu instid0(SALU_CYCLE_1)
	s_mul_i32 s15, s5, s4
	s_add_co_i32 s16, s5, 1
	s_sub_co_i32 s17, s10, s15
	s_wait_kmcnt 0x0
	s_mul_i32 s14, s14, s13
	s_sub_co_i32 s13, s17, s4
	s_ashr_i32 s15, s14, 31
	s_cmp_ge_u32 s17, s4
	s_mul_u64 s[14:15], s[14:15], 50
	s_cselect_b32 s5, s16, s5
	s_cselect_b32 s13, s13, s17
	s_add_co_i32 s16, s5, 1
	s_cmp_ge_u32 s13, s4
	s_cselect_b32 s4, s16, s5
	s_mov_b32 s5, 0
	s_mul_i32 s4, s4, s7
	s_add_nc_u64 s[0:1], s[0:1], s[14:15]
	s_lshl_b64 s[16:17], s[4:5], 2
	s_mov_b32 s4, 0xb7000000
	s_add_nc_u64 s[2:3], s[2:3], s[16:17]
	s_delay_alu instid0(SALU_CYCLE_1)
	v_mad_nc_u64_u32 v[10:11], v0, 36, s[2:3]
	s_get_pc_i64 s[2:3]
	s_add_nc_u64 s[2:3], s[2:3], _ZL13iq1s_grid_gpu@rel64+4
.LBB288_3:                              ; =>This Inner Loop Header: Depth=1
	v_add_nc_u32_e32 v0, v22, v20
	s_delay_alu instid0(VALU_DEP_2) | instskip(SKIP_1) | instid1(VALU_DEP_3)
	v_mad_nc_i64_i32 v[14:15], v23, 36, v[10:11]
	v_dual_add_nc_u32 v20, 4, v20 :: v_dual_add_nc_u32 v23, 32, v23
	v_mad_nc_i64_i32 v[16:17], v0, 50, s[0:1]
	s_delay_alu instid0(VALU_DEP_2) | instskip(SKIP_1) | instid1(VALU_DEP_2)
	v_cmp_le_u32_e32 vcc_lo, s12, v20
	s_or_b32 s5, vcc_lo, s5
	v_add_nc_u64_e32 v[0:1], v[16:17], v[8:9]
	v_add_nc_u64_e32 v[2:3], v[16:17], v[12:13]
	s_clause 0x1
	global_load_b32 v25, v[0:1], off offset:2
	global_load_u16 v24, v[2:3], off offset:34
	s_clause 0x1
	global_load_b128 v[0:3], v[14:15], off offset:4
	global_load_b128 v[4:7], v[14:15], off offset:20
	global_load_u16 v26, v[16:17], off
	s_wait_loadcnt 0x4
	s_wait_xcnt 0x0
	v_and_b32_e32 v17, 0xff, v25
	s_wait_loadcnt 0x3
	v_dual_lshlrev_b32 v27, 8, v24 :: v_dual_lshlrev_b32 v29, 5, v24
	v_bfe_u32 v28, v25, 8, 8
	v_lshrrev_b32_e32 v16, 24, v25
	v_bfe_u32 v25, v25, 16, 8
	v_dual_lshlrev_b32 v30, 2, v24 :: v_dual_lshrrev_b32 v31, 1, v24
	v_and_or_b32 v17, 0x700, v27, v17
	v_and_or_b32 v27, 0x700, v29, v28
	s_wait_loadcnt 0x2
	v_ashrrev_i32_e32 v33, 24, v1
	v_and_or_b32 v25, 0x700, v30, v25
	v_and_or_b32 v16, 0x700, v31, v16
	v_dual_lshlrev_b32 v17, 3, v17 :: v_dual_lshlrev_b32 v27, 3, v27
	v_bfe_i32 v34, v1, 16, 8
	s_delay_alu instid0(VALU_DEP_3)
	v_dual_lshlrev_b32 v25, 3, v25 :: v_dual_lshlrev_b32 v16, 3, v16
	s_clause 0x3
	global_load_b32 v28, v17, s[2:3]
	global_load_b32 v29, v27, s[2:3]
	;; [unrolled: 1-line block ×4, first 2 shown]
	global_load_b32 v32, v[14:15], off
	s_wait_xcnt 0x0
	v_lshrrev_b16 v14, 8, v0
	v_lshrrev_b16 v15, 8, v1
	v_bfe_i32 v25, v0, 16, 8
	v_bfe_i32 v27, v0, 0, 8
	v_ashrrev_i32_e32 v0, 24, v0
	v_bfe_i32 v1, v1, 0, 8
	v_lshrrev_b16 v17, 8, v3
	v_dual_ashrrev_i32 v35, 24, v2 :: v_dual_ashrrev_i32 v37, 24, v3
	v_bfe_i32 v38, v3, 16, 8
	v_bfe_i32 v3, v3, 0, 8
	v_lshrrev_b16 v16, 8, v2
	v_bfe_i32 v36, v2, 16, 8
	v_bfe_i32 v2, v2, 0, 8
	s_wait_loadcnt 0x6
	v_lshrrev_b16 v39, 8, v4
	v_dual_ashrrev_i32 v43, 24, v4 :: v_dual_ashrrev_i32 v45, 24, v5
	v_bfe_i32 v44, v4, 16, 8
	v_bfe_i32 v4, v4, 0, 8
	v_lshrrev_b16 v40, 8, v5
	v_bfe_i32 v46, v5, 16, 8
	v_bfe_i32 v5, v5, 0, 8
	v_lshrrev_b16 v41, 8, v6
	v_dual_ashrrev_i32 v47, 24, v6 :: v_dual_ashrrev_i32 v49, 24, v7
	v_bfe_i32 v48, v6, 16, 8
	v_bfe_i32 v6, v6, 0, 8
	v_lshrrev_b16 v42, 8, v7
	v_bfe_i32 v50, v7, 16, 8
	v_bfe_i32 v7, v7, 0, 8
	;; [unrolled: 1-line block ×10, first 2 shown]
	s_wait_loadcnt 0x4
	v_bfe_u32 v51, v28, 24, 4
	v_and_b32_e32 v52, 0xf0f0f0f, v28
	v_dual_lshrrev_b32 v53, 4, v28 :: v_dual_lshrrev_b32 v54, 28, v28
	v_bfe_u32 v55, v28, 16, 4
	s_wait_loadcnt 0x3
	v_dual_lshrrev_b32 v60, 4, v29 :: v_dual_bitop2_b32 v56, 15, v28 bitop3:0x40
	v_bfe_u32 v57, v28, 20, 4
	v_bfe_u32 v28, v28, 4, 4
	;; [unrolled: 1-line block ×3, first 2 shown]
	v_and_b32_e32 v59, 0xf0f0f0f, v29
	v_lshrrev_b32_e32 v61, 28, v29
	v_mul_i32_i24_e32 v34, v57, v34
	v_mul_i32_i24_e32 v1, v28, v1
	v_and_b32_e32 v28, 15, v29
	v_bfe_u32 v57, v29, 16, 4
	v_mul_i32_i24_e32 v33, v54, v33
	v_bfe_u32 v54, v29, 20, 4
	v_bfe_u32 v29, v29, 4, 4
	v_mul_i32_i24_e32 v35, v35, v58
	s_wait_loadcnt 0x2
	v_lshrrev_b32_e32 v58, 4, v30
	v_mul_i32_i24_e32 v2, v2, v28
	v_bfe_u32 v28, v30, 24, 4
	v_mul_i32_i24_e32 v3, v29, v3
	v_and_b32_e32 v29, 15, v30
	v_mul_i32_i24_e32 v36, v36, v57
	v_and_b32_e32 v57, 0xf0f0f0f, v30
	v_mul_i32_i24_e32 v38, v54, v38
	v_bfe_u32 v54, v30, 16, 4
	v_mul_i32_i24_e32 v37, v61, v37
	v_lshrrev_b32_e32 v61, 28, v30
	v_mul_i32_i24_e32 v4, v4, v29
	v_bfe_u32 v29, v30, 20, 4
	v_bfe_u32 v30, v30, 4, 4
	v_mul_i32_i24_e32 v44, v44, v54
	s_wait_loadcnt 0x1
	v_bfe_u32 v54, v31, 24, 4
	v_mul_i32_i24_e32 v28, v43, v28
	v_mul_i32_i24_e32 v29, v29, v46
	;; [unrolled: 1-line block ×3, first 2 shown]
	v_and_b32_e32 v30, 15, v31
	v_bfe_u32 v46, v31, 16, 4
	v_and_b32_e32 v43, 0xf0f0f0f, v31
	v_mul_i32_i24_e32 v45, v61, v45
	v_lshrrev_b32_e32 v61, 4, v31
	v_mul_i32_i24_e32 v6, v6, v30
	v_lshrrev_b32_e32 v30, 28, v31
	v_mul_i32_i24_e32 v46, v48, v46
	v_bfe_u32 v48, v31, 20, 4
	v_bfe_u32 v31, v31, 4, 4
	v_lshrrev_b16 v53, 8, v53
	v_lshrrev_b16 v52, 8, v52
	;; [unrolled: 1-line block ×4, first 2 shown]
	v_mul_i32_i24_e32 v7, v31, v7
	v_mul_i32_i24_e32 v31, v48, v50
	v_and_b32_e32 v48, 15, v53
	v_lshrrev_b16 v57, 8, v57
	v_lshrrev_b16 v58, 8, v58
	v_mul_i32_i24_e32 v30, v30, v49
	v_and_b32_e32 v49, 0xffff, v52
	v_and_b32_e32 v50, 15, v60
	;; [unrolled: 1-line block ×3, first 2 shown]
	v_mad_i32_i24 v1, v56, v27, v1
	v_and_b32_e32 v27, 0xffff, v48
	v_lshrrev_b16 v43, 8, v43
	v_lshrrev_b16 v61, 8, v61
	v_mul_i32_i24_e32 v47, v47, v54
	v_and_b32_e32 v53, 15, v58
	v_and_b32_e32 v54, 0xffff, v57
	v_mad_i32_i24 v0, v51, v0, v33
	v_mul_i32_i24_e32 v14, v49, v14
	v_mul_i32_i24_e32 v16, v16, v52
	v_and_b32_e32 v33, 0xffff, v50
	v_mul_i32_i24_e32 v15, v27, v15
	v_add3_u32 v1, v1, v2, v3
	v_and_b32_e32 v57, 15, v61
	v_and_b32_e32 v43, 0xffff, v43
	v_mad_i32_i24 v25, v55, v25, v34
	v_mul_i32_i24_e32 v34, v39, v54
	v_add3_u32 v0, v0, v35, v37
	v_mul_i32_i24_e32 v17, v33, v17
	v_add3_u32 v14, v14, v15, v16
	v_add3_u32 v1, v1, v4, v5
	v_lshrrev_b32_e32 v5, 11, v24
	v_and_b32_e32 v39, 0xffff, v53
	v_mul_i32_i24_e32 v27, v41, v43
	v_and_b32_e32 v41, 0xffff, v57
	v_add3_u32 v15, v25, v36, v38
	v_add3_u32 v0, v0, v28, v45
	v_mul_i32_i24_e32 v2, v39, v40
	v_add3_u32 v3, v14, v17, v34
	v_mul_i32_i24_e32 v14, v41, v42
	v_add3_u32 v4, v15, v44, v29
	v_add3_u32 v0, v0, v47, v30
	;; [unrolled: 1-line block ×4, first 2 shown]
	v_and_b32_e32 v3, 0x8000, v24
	v_add3_u32 v4, v4, v46, v31
	v_and_or_b32 v5, v5, 14, 1
	s_delay_alu instid0(VALU_DEP_4)
	v_add3_u32 v0, v2, v14, v0
	s_wait_loadcnt 0x0
	v_lshrrev_b32_e32 v2, 16, v32
	v_cvt_f32_u32_e32 v3, v3
	v_cvt_f32_ubyte0_e32 v5, v5
	v_add3_u32 v4, v1, v4, v0
	v_cvt_f32_f16_e32 v1, v32
	v_cvt_f32_f16_e32 v0, v2
	v_fmaak_f32 v2, s4, v3, 0xbf600000
	s_delay_alu instid0(VALU_DEP_4) | instskip(SKIP_1) | instid1(VALU_DEP_2)
	v_cvt_f32_i32_e32 v3, v4
	v_cvt_f32_f16_e32 v4, v26
	v_pk_mul_f32 v[0:1], v[2:3], v[0:1]
	s_delay_alu instid0(VALU_DEP_1) | instskip(NEXT) | instid1(VALU_DEP_1)
	v_dual_mul_f32 v2, v5, v4 :: v_dual_add_f32 v0, v0, v1
	v_fmac_f32_e32 v21, v2, v0
	s_and_not1_b32 exec_lo, exec_lo, s5
	s_cbranch_execnz .LBB288_3
; %bb.4:
	s_or_b32 exec_lo, exec_lo, s5
.LBB288_5:
	s_delay_alu instid0(SALU_CYCLE_1) | instskip(SKIP_1) | instid1(VALU_DEP_1)
	s_or_b32 exec_lo, exec_lo, s11
	v_mbcnt_lo_u32_b32 v0, -1, 0
	v_xor_b32_e32 v2, 8, v0
	v_xor_b32_e32 v1, 16, v0
	;; [unrolled: 1-line block ×3, first 2 shown]
	s_delay_alu instid0(VALU_DEP_2) | instskip(SKIP_4) | instid1(VALU_DEP_2)
	v_cmp_gt_i32_e32 vcc_lo, 32, v1
	v_cndmask_b32_e32 v1, v0, v1, vcc_lo
	v_cmp_gt_i32_e32 vcc_lo, 32, v2
	v_cndmask_b32_e32 v2, v0, v2, vcc_lo
	v_cmp_gt_i32_e32 vcc_lo, 32, v3
	v_dual_lshlrev_b32 v2, 2, v2 :: v_dual_lshlrev_b32 v1, 2, v1
	ds_bpermute_b32 v1, v1, v21
	s_wait_dscnt 0x0
	v_add_f32_e32 v1, v21, v1
	ds_bpermute_b32 v2, v2, v1
	s_wait_dscnt 0x0
	v_dual_cndmask_b32 v3, v0, v3, vcc_lo :: v_dual_add_f32 v1, v1, v2
	s_delay_alu instid0(VALU_DEP_1) | instskip(SKIP_3) | instid1(VALU_DEP_1)
	v_lshlrev_b32_e32 v3, 2, v3
	ds_bpermute_b32 v2, v3, v1
	s_wait_dscnt 0x0
	v_dual_add_f32 v1, v1, v2 :: v_dual_bitop2_b32 v3, 2, v0 bitop3:0x14
	v_cmp_gt_i32_e32 vcc_lo, 32, v3
	v_cndmask_b32_e32 v3, v0, v3, vcc_lo
	s_delay_alu instid0(VALU_DEP_1) | instskip(SKIP_2) | instid1(VALU_DEP_1)
	v_lshlrev_b32_e32 v3, 2, v3
	ds_bpermute_b32 v2, v3, v1
	v_xor_b32_e32 v3, 1, v0
	v_cmp_gt_i32_e32 vcc_lo, 32, v3
	v_cndmask_b32_e32 v3, v0, v3, vcc_lo
	v_cmp_eq_u32_e32 vcc_lo, 0, v19
	s_wait_dscnt 0x0
	s_delay_alu instid0(VALU_DEP_2)
	v_dual_add_f32 v0, v1, v2 :: v_dual_lshlrev_b32 v1, 2, v3
	ds_bpermute_b32 v1, v1, v0
	s_and_b32 exec_lo, exec_lo, vcc_lo
	s_cbranch_execz .LBB288_7
; %bb.6:
	s_wait_dscnt 0x0
	v_add_f32_e32 v0, v0, v1
	v_mad_u32 v2, s6, s10, v18
	s_delay_alu instid0(VALU_DEP_2) | instskip(NEXT) | instid1(VALU_DEP_1)
	v_bfe_u32 v1, v0, 16, 1
	v_add3_u32 v1, v0, v1, 0x7fff
	s_delay_alu instid0(VALU_DEP_1) | instskip(SKIP_1) | instid1(VALU_DEP_2)
	v_lshrrev_b32_e32 v1, 16, v1
	v_cmp_o_f32_e32 vcc_lo, v0, v0
	v_cndmask_b32_e32 v0, 0x7fc0, v1, vcc_lo
	s_wait_kmcnt 0x0
	global_store_b16 v2, v0, s[8:9] scale_offset
.LBB288_7:
	s_endpgm
	.section	.rodata,"a",@progbits
	.p2align	6, 0x0
	.amdhsa_kernel _ZL9moe_vec_qIN3c108BFloat16ELi256ELi8E11block_iq1_sLi1EXadL_ZL18vec_dot_iq1_s_q8_1PKvPK10block_q8_1RKiEEEvS4_S4_PT_PS8_iiii
		.amdhsa_group_segment_fixed_size 0
		.amdhsa_private_segment_fixed_size 0
		.amdhsa_kernarg_size 304
		.amdhsa_user_sgpr_count 2
		.amdhsa_user_sgpr_dispatch_ptr 0
		.amdhsa_user_sgpr_queue_ptr 0
		.amdhsa_user_sgpr_kernarg_segment_ptr 1
		.amdhsa_user_sgpr_dispatch_id 0
		.amdhsa_user_sgpr_kernarg_preload_length 0
		.amdhsa_user_sgpr_kernarg_preload_offset 0
		.amdhsa_user_sgpr_private_segment_size 0
		.amdhsa_wavefront_size32 1
		.amdhsa_uses_dynamic_stack 0
		.amdhsa_enable_private_segment 0
		.amdhsa_system_sgpr_workgroup_id_x 1
		.amdhsa_system_sgpr_workgroup_id_y 0
		.amdhsa_system_sgpr_workgroup_id_z 1
		.amdhsa_system_sgpr_workgroup_info 0
		.amdhsa_system_vgpr_workitem_id 1
		.amdhsa_next_free_vgpr 62
		.amdhsa_next_free_sgpr 18
		.amdhsa_named_barrier_count 0
		.amdhsa_reserve_vcc 1
		.amdhsa_float_round_mode_32 0
		.amdhsa_float_round_mode_16_64 0
		.amdhsa_float_denorm_mode_32 3
		.amdhsa_float_denorm_mode_16_64 3
		.amdhsa_fp16_overflow 0
		.amdhsa_memory_ordered 1
		.amdhsa_forward_progress 1
		.amdhsa_inst_pref_size 17
		.amdhsa_round_robin_scheduling 0
		.amdhsa_exception_fp_ieee_invalid_op 0
		.amdhsa_exception_fp_denorm_src 0
		.amdhsa_exception_fp_ieee_div_zero 0
		.amdhsa_exception_fp_ieee_overflow 0
		.amdhsa_exception_fp_ieee_underflow 0
		.amdhsa_exception_fp_ieee_inexact 0
		.amdhsa_exception_int_div_zero 0
	.end_amdhsa_kernel
	.section	.text._ZL9moe_vec_qIN3c108BFloat16ELi256ELi8E11block_iq1_sLi1EXadL_ZL18vec_dot_iq1_s_q8_1PKvPK10block_q8_1RKiEEEvS4_S4_PT_PS8_iiii,"axG",@progbits,_ZL9moe_vec_qIN3c108BFloat16ELi256ELi8E11block_iq1_sLi1EXadL_ZL18vec_dot_iq1_s_q8_1PKvPK10block_q8_1RKiEEEvS4_S4_PT_PS8_iiii,comdat
.Lfunc_end288:
	.size	_ZL9moe_vec_qIN3c108BFloat16ELi256ELi8E11block_iq1_sLi1EXadL_ZL18vec_dot_iq1_s_q8_1PKvPK10block_q8_1RKiEEEvS4_S4_PT_PS8_iiii, .Lfunc_end288-_ZL9moe_vec_qIN3c108BFloat16ELi256ELi8E11block_iq1_sLi1EXadL_ZL18vec_dot_iq1_s_q8_1PKvPK10block_q8_1RKiEEEvS4_S4_PT_PS8_iiii
                                        ; -- End function
	.set _ZL9moe_vec_qIN3c108BFloat16ELi256ELi8E11block_iq1_sLi1EXadL_ZL18vec_dot_iq1_s_q8_1PKvPK10block_q8_1RKiEEEvS4_S4_PT_PS8_iiii.num_vgpr, 62
	.set _ZL9moe_vec_qIN3c108BFloat16ELi256ELi8E11block_iq1_sLi1EXadL_ZL18vec_dot_iq1_s_q8_1PKvPK10block_q8_1RKiEEEvS4_S4_PT_PS8_iiii.num_agpr, 0
	.set _ZL9moe_vec_qIN3c108BFloat16ELi256ELi8E11block_iq1_sLi1EXadL_ZL18vec_dot_iq1_s_q8_1PKvPK10block_q8_1RKiEEEvS4_S4_PT_PS8_iiii.numbered_sgpr, 18
	.set _ZL9moe_vec_qIN3c108BFloat16ELi256ELi8E11block_iq1_sLi1EXadL_ZL18vec_dot_iq1_s_q8_1PKvPK10block_q8_1RKiEEEvS4_S4_PT_PS8_iiii.num_named_barrier, 0
	.set _ZL9moe_vec_qIN3c108BFloat16ELi256ELi8E11block_iq1_sLi1EXadL_ZL18vec_dot_iq1_s_q8_1PKvPK10block_q8_1RKiEEEvS4_S4_PT_PS8_iiii.private_seg_size, 0
	.set _ZL9moe_vec_qIN3c108BFloat16ELi256ELi8E11block_iq1_sLi1EXadL_ZL18vec_dot_iq1_s_q8_1PKvPK10block_q8_1RKiEEEvS4_S4_PT_PS8_iiii.uses_vcc, 1
	.set _ZL9moe_vec_qIN3c108BFloat16ELi256ELi8E11block_iq1_sLi1EXadL_ZL18vec_dot_iq1_s_q8_1PKvPK10block_q8_1RKiEEEvS4_S4_PT_PS8_iiii.uses_flat_scratch, 0
	.set _ZL9moe_vec_qIN3c108BFloat16ELi256ELi8E11block_iq1_sLi1EXadL_ZL18vec_dot_iq1_s_q8_1PKvPK10block_q8_1RKiEEEvS4_S4_PT_PS8_iiii.has_dyn_sized_stack, 0
	.set _ZL9moe_vec_qIN3c108BFloat16ELi256ELi8E11block_iq1_sLi1EXadL_ZL18vec_dot_iq1_s_q8_1PKvPK10block_q8_1RKiEEEvS4_S4_PT_PS8_iiii.has_recursion, 0
	.set _ZL9moe_vec_qIN3c108BFloat16ELi256ELi8E11block_iq1_sLi1EXadL_ZL18vec_dot_iq1_s_q8_1PKvPK10block_q8_1RKiEEEvS4_S4_PT_PS8_iiii.has_indirect_call, 0
	.section	.AMDGPU.csdata,"",@progbits
; Kernel info:
; codeLenInByte = 2132
; TotalNumSgprs: 20
; NumVgprs: 62
; ScratchSize: 0
; MemoryBound: 0
; FloatMode: 240
; IeeeMode: 1
; LDSByteSize: 0 bytes/workgroup (compile time only)
; SGPRBlocks: 0
; VGPRBlocks: 3
; NumSGPRsForWavesPerEU: 20
; NumVGPRsForWavesPerEU: 62
; NamedBarCnt: 0
; Occupancy: 16
; WaveLimiterHint : 1
; COMPUTE_PGM_RSRC2:SCRATCH_EN: 0
; COMPUTE_PGM_RSRC2:USER_SGPR: 2
; COMPUTE_PGM_RSRC2:TRAP_HANDLER: 0
; COMPUTE_PGM_RSRC2:TGID_X_EN: 1
; COMPUTE_PGM_RSRC2:TGID_Y_EN: 0
; COMPUTE_PGM_RSRC2:TGID_Z_EN: 1
; COMPUTE_PGM_RSRC2:TIDIG_COMP_CNT: 1
	.section	.text._ZL9moe_vec_qIN3c108BFloat16ELi32ELi4E12block_iq4_nlLi2EXadL_ZL19vec_dot_iq4_nl_q8_1PKvPK10block_q8_1RKiEEEvS4_S4_PT_PS8_iiii,"axG",@progbits,_ZL9moe_vec_qIN3c108BFloat16ELi32ELi4E12block_iq4_nlLi2EXadL_ZL19vec_dot_iq4_nl_q8_1PKvPK10block_q8_1RKiEEEvS4_S4_PT_PS8_iiii,comdat
	.globl	_ZL9moe_vec_qIN3c108BFloat16ELi32ELi4E12block_iq4_nlLi2EXadL_ZL19vec_dot_iq4_nl_q8_1PKvPK10block_q8_1RKiEEEvS4_S4_PT_PS8_iiii ; -- Begin function _ZL9moe_vec_qIN3c108BFloat16ELi32ELi4E12block_iq4_nlLi2EXadL_ZL19vec_dot_iq4_nl_q8_1PKvPK10block_q8_1RKiEEEvS4_S4_PT_PS8_iiii
	.p2align	8
	.type	_ZL9moe_vec_qIN3c108BFloat16ELi32ELi4E12block_iq4_nlLi2EXadL_ZL19vec_dot_iq4_nl_q8_1PKvPK10block_q8_1RKiEEEvS4_S4_PT_PS8_iiii,@function
_ZL9moe_vec_qIN3c108BFloat16ELi32ELi4E12block_iq4_nlLi2EXadL_ZL19vec_dot_iq4_nl_q8_1PKvPK10block_q8_1RKiEEEvS4_S4_PT_PS8_iiii: ; @_ZL9moe_vec_qIN3c108BFloat16ELi32ELi4E12block_iq4_nlLi2EXadL_ZL19vec_dot_iq4_nl_q8_1PKvPK10block_q8_1RKiEEEvS4_S4_PT_PS8_iiii
; %bb.0:
	s_clause 0x1
	s_load_u16 s3, s[0:1], 0x3e
	s_load_b128 s[4:7], s[0:1], 0x20
	s_bfe_u32 s2, ttmp6, 0x4000c
	s_and_b32 s8, ttmp6, 15
	s_add_co_i32 s2, s2, 1
	v_bfe_u32 v1, v0, 10, 10
	s_mul_i32 s2, ttmp9, s2
	s_delay_alu instid0(SALU_CYCLE_1) | instskip(SKIP_1) | instid1(SALU_CYCLE_1)
	s_add_co_i32 s8, s8, s2
	s_getreg_b32 s2, hwreg(HW_REG_IB_STS2, 6, 4)
	s_cmp_eq_u32 s2, 0
	s_cselect_b32 s8, ttmp9, s8
	s_wait_kmcnt 0x0
	v_mad_u32 v4, s8, s3, v1
	s_mov_b32 s3, 0
	s_mov_b32 s8, exec_lo
	s_delay_alu instid0(VALU_DEP_1)
	v_cmpx_gt_u32_e64 s6, v4
	s_cbranch_execz .LBB289_7
; %bb.1:
	s_load_b64 s[12:13], s[0:1], 0x10
	s_bfe_u32 s8, ttmp6, 0x40014
	s_lshr_b32 s9, ttmp7, 16
	s_add_co_i32 s8, s8, 1
	s_cvt_f32_u32 s11, s4
	s_mul_i32 s8, s9, s8
	s_bfe_u32 s10, ttmp6, 0x40008
	v_bfe_u32 v6, v0, 1, 9
	s_add_co_i32 s10, s10, s8
	v_rcp_iflag_f32_e32 v1, s11
	s_cmp_eq_u32 s2, 0
	v_and_b32_e32 v5, 0x3ff, v0
	s_cselect_b32 s2, s9, s10
	s_ashr_i32 s8, s5, 31
	v_mov_b32_e32 v7, 0
	s_lshr_b32 s8, s8, 27
	s_mov_b32 s16, exec_lo
	s_add_co_i32 s8, s5, s8
	v_readfirstlane_b32 s5, v1
	s_ashr_i32 s17, s8, 5
	s_delay_alu instid0(SALU_CYCLE_1)
	v_cmpx_gt_u32_e64 s17, v6
	s_cbranch_execz .LBB289_5
; %bb.2:
	s_clause 0x1
	s_load_b64 s[18:19], s[0:1], 0x18
	s_load_b128 s[8:11], s[0:1], 0x0
	s_wait_xcnt 0x0
	s_mul_f32 s0, s5, 0x4f7ffffe
	s_sub_co_i32 s5, 0, s4
	s_mov_b32 s21, s3
	v_dual_mov_b32 v1, 0 :: v_dual_lshlrev_b32 v0, 1, v5
	s_cvt_u32_f32 s0, s0
	v_mul_lo_u32 v8, v4, s17
	s_mul_i32 s22, s17, s6
	s_delay_alu instid0(VALU_DEP_2) | instskip(SKIP_3) | instid1(VALU_DEP_2)
	v_dual_mov_b32 v3, v1 :: v_dual_bitop2_b32 v0, 2, v0 bitop3:0x40
	s_mul_i32 s5, s5, s0
	v_mov_b32_e32 v7, v1
	s_mul_hi_u32 s5, s0, s5
	v_lshlrev_b32_e32 v10, 1, v0
	s_add_co_i32 s20, s0, s5
	s_mov_b32 s1, 0
	v_lshlrev_b32_e32 v2, 2, v0
	s_get_pc_i64 s[14:15]
	s_add_nc_u64 s[14:15], s[14:15], _ZL13kvalues_iq4nl@rel64+4
	s_wait_kmcnt 0x0
	s_load_b32 s23, s[18:19], s2 offset:0x0 scale_offset
	s_wait_xcnt 0x0
	s_mul_u64 s[18:19], s[2:3], s[20:21]
	v_lshlrev_b32_e32 v0, 1, v10
	s_mul_i32 s0, s19, s4
	s_add_co_i32 s3, s19, 1
	s_sub_co_i32 s0, s2, s0
	s_delay_alu instid0(SALU_CYCLE_1)
	s_sub_co_i32 s5, s0, s4
	s_cmp_ge_u32 s0, s4
	s_cselect_b32 s3, s3, s19
	s_cselect_b32 s0, s5, s0
	s_add_co_i32 s5, s3, 1
	s_cmp_ge_u32 s0, s4
	s_cselect_b32 s0, s5, s3
	s_delay_alu instid0(SALU_CYCLE_1) | instskip(NEXT) | instid1(SALU_CYCLE_1)
	s_mul_i32 s0, s0, s7
	s_lshl_b64 s[18:19], s[0:1], 2
	s_wait_kmcnt 0x0
	s_mul_i32 s4, s22, s23
	s_delay_alu instid0(SALU_CYCLE_1) | instskip(NEXT) | instid1(SALU_CYCLE_1)
	s_ashr_i32 s5, s4, 31
	s_mul_u64 s[4:5], s[4:5], 18
	s_delay_alu instid0(SALU_CYCLE_1)
	s_add_nc_u64 s[4:5], s[8:9], s[4:5]
	s_add_nc_u64 s[8:9], s[10:11], s[18:19]
.LBB289_3:                              ; =>This Inner Loop Header: Depth=1
	v_add_nc_u32_e32 v9, v8, v6
	v_mad_nc_i64_i32 v[14:15], v6, 36, s[8:9]
	v_add_nc_u32_e32 v6, 16, v6
	s_delay_alu instid0(VALU_DEP_3) | instskip(NEXT) | instid1(VALU_DEP_2)
	v_mad_nc_i64_i32 v[10:11], v9, 18, s[4:5]
	v_cmp_le_u32_e32 vcc_lo, s17, v6
	s_delay_alu instid0(VALU_DEP_4) | instskip(SKIP_1) | instid1(VALU_DEP_3)
	v_add_nc_u64_e32 v[16:17], v[14:15], v[2:3]
	s_or_b32 s1, vcc_lo, s1
	v_add_nc_u64_e32 v[12:13], v[10:11], v[0:1]
	global_load_b64 v[18:19], v[16:17], off offset:4
	global_load_b64 v[12:13], v[12:13], off offset:2
	s_wait_loadcnt 0x0
	v_and_b32_e32 v20, 15, v12
	v_bfe_u32 v21, v12, 8, 4
	v_bfe_u32 v22, v12, 16, 4
	;; [unrolled: 1-line block ×5, first 2 shown]
	v_dual_lshrrev_b32 v25, 28, v12 :: v_dual_bitop2_b32 v27, 15, v13 bitop3:0x40
	v_bfe_u32 v12, v12, 4, 4
	s_clause 0x7
	global_load_i8 v33, v20, s[14:15]
	global_load_i8 v34, v21, s[14:15]
	;; [unrolled: 1-line block ×8, first 2 shown]
	v_bfe_u32 v28, v13, 8, 4
	v_bfe_u32 v29, v13, 16, 4
	;; [unrolled: 1-line block ×5, first 2 shown]
	v_lshrrev_b32_e32 v32, 28, v13
	s_wait_xcnt 0x0
	v_bfe_u32 v9, v13, 4, 4
	s_clause 0x7
	global_load_i8 v20, v27, s[14:15]
	global_load_i8 v21, v28, s[14:15]
	;; [unrolled: 1-line block ×8, first 2 shown]
	s_clause 0x1
	global_load_b64 v[12:13], v[16:17], off offset:20
	global_load_b32 v43, v[14:15], off
	global_load_u16 v44, v[10:11], off
	s_wait_loadcnt 0x11
	s_wait_xcnt 0x3
	v_perm_b32 v9, v34, v33, 0xc0c0400
	s_wait_loadcnt 0xe
	s_wait_xcnt 0x0
	v_perm_b32 v11, v37, v36, 0xc0c0400
	s_wait_loadcnt 0xc
	v_perm_b32 v14, v39, v38, 0x4000c0c
	s_wait_loadcnt 0xb
	;; [unrolled: 2-line block ×4, first 2 shown]
	v_perm_b32 v15, v41, v22, 0x4000c0c
	v_or_b32_e32 v9, v10, v9
	v_perm_b32 v10, v21, v20, 0xc0c0400
	v_or_b32_e32 v11, v14, v11
	s_wait_loadcnt 0x3
	v_perm_b32 v14, v23, v42, 0xc0c0400
	v_dot4_i32_iu8 v9, v18, v9, 0 neg_lo:[1,1,0]
	v_or_b32_e32 v10, v15, v10
	s_wait_loadcnt 0x2
	s_delay_alu instid0(VALU_DEP_2) | instskip(SKIP_2) | instid1(VALU_DEP_2)
	v_dot4_i32_iu8 v9, v12, v11, v9 neg_lo:[1,1,0]
	s_wait_loadcnt 0x0
	v_cvt_f32_f16_e32 v12, v44
	v_dot4_i32_iu8 v9, v19, v10, v9 neg_lo:[1,1,0]
	v_cvt_f32_f16_e32 v10, v43
	s_delay_alu instid0(VALU_DEP_1) | instskip(SKIP_1) | instid1(VALU_DEP_1)
	v_mul_f32_e32 v10, v12, v10
	v_or_b32_e32 v11, v16, v14
	v_dot4_i32_iu8 v9, v13, v11, v9 neg_lo:[1,1,0]
	s_delay_alu instid0(VALU_DEP_1) | instskip(NEXT) | instid1(VALU_DEP_1)
	v_cvt_f32_i32_e32 v9, v9
	v_fmac_f32_e32 v7, v10, v9
	s_and_not1_b32 exec_lo, exec_lo, s1
	s_cbranch_execnz .LBB289_3
; %bb.4:
	s_or_b32 exec_lo, exec_lo, s1
.LBB289_5:
	s_delay_alu instid0(SALU_CYCLE_1) | instskip(SKIP_1) | instid1(VALU_DEP_1)
	s_or_b32 exec_lo, exec_lo, s16
	v_mbcnt_lo_u32_b32 v0, -1, 0
	v_xor_b32_e32 v2, 8, v0
	v_xor_b32_e32 v1, 16, v0
	;; [unrolled: 1-line block ×3, first 2 shown]
	s_delay_alu instid0(VALU_DEP_2) | instskip(SKIP_4) | instid1(VALU_DEP_2)
	v_cmp_gt_i32_e32 vcc_lo, 32, v1
	v_cndmask_b32_e32 v1, v0, v1, vcc_lo
	v_cmp_gt_i32_e32 vcc_lo, 32, v2
	v_cndmask_b32_e32 v2, v0, v2, vcc_lo
	v_cmp_gt_i32_e32 vcc_lo, 32, v3
	v_dual_lshlrev_b32 v2, 2, v2 :: v_dual_lshlrev_b32 v1, 2, v1
	ds_bpermute_b32 v1, v1, v7
	s_wait_dscnt 0x0
	v_add_f32_e32 v1, v7, v1
	ds_bpermute_b32 v2, v2, v1
	s_wait_dscnt 0x0
	v_dual_cndmask_b32 v3, v0, v3, vcc_lo :: v_dual_add_f32 v1, v1, v2
	s_delay_alu instid0(VALU_DEP_1) | instskip(SKIP_3) | instid1(VALU_DEP_1)
	v_lshlrev_b32_e32 v3, 2, v3
	ds_bpermute_b32 v2, v3, v1
	s_wait_dscnt 0x0
	v_dual_add_f32 v1, v1, v2 :: v_dual_bitop2_b32 v3, 2, v0 bitop3:0x14
	v_cmp_gt_i32_e32 vcc_lo, 32, v3
	v_cndmask_b32_e32 v3, v0, v3, vcc_lo
	s_delay_alu instid0(VALU_DEP_1) | instskip(SKIP_2) | instid1(VALU_DEP_1)
	v_lshlrev_b32_e32 v3, 2, v3
	ds_bpermute_b32 v2, v3, v1
	v_xor_b32_e32 v3, 1, v0
	v_cmp_gt_i32_e32 vcc_lo, 32, v3
	v_cndmask_b32_e32 v3, v0, v3, vcc_lo
	v_cmp_eq_u32_e32 vcc_lo, 0, v5
	s_wait_dscnt 0x0
	s_delay_alu instid0(VALU_DEP_2)
	v_dual_add_f32 v0, v1, v2 :: v_dual_lshlrev_b32 v1, 2, v3
	ds_bpermute_b32 v1, v1, v0
	s_and_b32 exec_lo, exec_lo, vcc_lo
	s_cbranch_execz .LBB289_7
; %bb.6:
	s_wait_dscnt 0x0
	v_add_f32_e32 v0, v0, v1
	v_mad_u32 v2, s6, s2, v4
	s_delay_alu instid0(VALU_DEP_2) | instskip(NEXT) | instid1(VALU_DEP_1)
	v_bfe_u32 v1, v0, 16, 1
	v_add3_u32 v1, v0, v1, 0x7fff
	s_delay_alu instid0(VALU_DEP_1) | instskip(SKIP_1) | instid1(VALU_DEP_2)
	v_lshrrev_b32_e32 v1, 16, v1
	v_cmp_o_f32_e32 vcc_lo, v0, v0
	v_cndmask_b32_e32 v0, 0x7fc0, v1, vcc_lo
	s_wait_kmcnt 0x0
	global_store_b16 v2, v0, s[12:13] scale_offset
.LBB289_7:
	s_endpgm
	.section	.rodata,"a",@progbits
	.p2align	6, 0x0
	.amdhsa_kernel _ZL9moe_vec_qIN3c108BFloat16ELi32ELi4E12block_iq4_nlLi2EXadL_ZL19vec_dot_iq4_nl_q8_1PKvPK10block_q8_1RKiEEEvS4_S4_PT_PS8_iiii
		.amdhsa_group_segment_fixed_size 0
		.amdhsa_private_segment_fixed_size 0
		.amdhsa_kernarg_size 304
		.amdhsa_user_sgpr_count 2
		.amdhsa_user_sgpr_dispatch_ptr 0
		.amdhsa_user_sgpr_queue_ptr 0
		.amdhsa_user_sgpr_kernarg_segment_ptr 1
		.amdhsa_user_sgpr_dispatch_id 0
		.amdhsa_user_sgpr_kernarg_preload_length 0
		.amdhsa_user_sgpr_kernarg_preload_offset 0
		.amdhsa_user_sgpr_private_segment_size 0
		.amdhsa_wavefront_size32 1
		.amdhsa_uses_dynamic_stack 0
		.amdhsa_enable_private_segment 0
		.amdhsa_system_sgpr_workgroup_id_x 1
		.amdhsa_system_sgpr_workgroup_id_y 0
		.amdhsa_system_sgpr_workgroup_id_z 1
		.amdhsa_system_sgpr_workgroup_info 0
		.amdhsa_system_vgpr_workitem_id 1
		.amdhsa_next_free_vgpr 45
		.amdhsa_next_free_sgpr 24
		.amdhsa_named_barrier_count 0
		.amdhsa_reserve_vcc 1
		.amdhsa_float_round_mode_32 0
		.amdhsa_float_round_mode_16_64 0
		.amdhsa_float_denorm_mode_32 3
		.amdhsa_float_denorm_mode_16_64 3
		.amdhsa_fp16_overflow 0
		.amdhsa_memory_ordered 1
		.amdhsa_forward_progress 1
		.amdhsa_inst_pref_size 12
		.amdhsa_round_robin_scheduling 0
		.amdhsa_exception_fp_ieee_invalid_op 0
		.amdhsa_exception_fp_denorm_src 0
		.amdhsa_exception_fp_ieee_div_zero 0
		.amdhsa_exception_fp_ieee_overflow 0
		.amdhsa_exception_fp_ieee_underflow 0
		.amdhsa_exception_fp_ieee_inexact 0
		.amdhsa_exception_int_div_zero 0
	.end_amdhsa_kernel
	.section	.text._ZL9moe_vec_qIN3c108BFloat16ELi32ELi4E12block_iq4_nlLi2EXadL_ZL19vec_dot_iq4_nl_q8_1PKvPK10block_q8_1RKiEEEvS4_S4_PT_PS8_iiii,"axG",@progbits,_ZL9moe_vec_qIN3c108BFloat16ELi32ELi4E12block_iq4_nlLi2EXadL_ZL19vec_dot_iq4_nl_q8_1PKvPK10block_q8_1RKiEEEvS4_S4_PT_PS8_iiii,comdat
.Lfunc_end289:
	.size	_ZL9moe_vec_qIN3c108BFloat16ELi32ELi4E12block_iq4_nlLi2EXadL_ZL19vec_dot_iq4_nl_q8_1PKvPK10block_q8_1RKiEEEvS4_S4_PT_PS8_iiii, .Lfunc_end289-_ZL9moe_vec_qIN3c108BFloat16ELi32ELi4E12block_iq4_nlLi2EXadL_ZL19vec_dot_iq4_nl_q8_1PKvPK10block_q8_1RKiEEEvS4_S4_PT_PS8_iiii
                                        ; -- End function
	.set _ZL9moe_vec_qIN3c108BFloat16ELi32ELi4E12block_iq4_nlLi2EXadL_ZL19vec_dot_iq4_nl_q8_1PKvPK10block_q8_1RKiEEEvS4_S4_PT_PS8_iiii.num_vgpr, 45
	.set _ZL9moe_vec_qIN3c108BFloat16ELi32ELi4E12block_iq4_nlLi2EXadL_ZL19vec_dot_iq4_nl_q8_1PKvPK10block_q8_1RKiEEEvS4_S4_PT_PS8_iiii.num_agpr, 0
	.set _ZL9moe_vec_qIN3c108BFloat16ELi32ELi4E12block_iq4_nlLi2EXadL_ZL19vec_dot_iq4_nl_q8_1PKvPK10block_q8_1RKiEEEvS4_S4_PT_PS8_iiii.numbered_sgpr, 24
	.set _ZL9moe_vec_qIN3c108BFloat16ELi32ELi4E12block_iq4_nlLi2EXadL_ZL19vec_dot_iq4_nl_q8_1PKvPK10block_q8_1RKiEEEvS4_S4_PT_PS8_iiii.num_named_barrier, 0
	.set _ZL9moe_vec_qIN3c108BFloat16ELi32ELi4E12block_iq4_nlLi2EXadL_ZL19vec_dot_iq4_nl_q8_1PKvPK10block_q8_1RKiEEEvS4_S4_PT_PS8_iiii.private_seg_size, 0
	.set _ZL9moe_vec_qIN3c108BFloat16ELi32ELi4E12block_iq4_nlLi2EXadL_ZL19vec_dot_iq4_nl_q8_1PKvPK10block_q8_1RKiEEEvS4_S4_PT_PS8_iiii.uses_vcc, 1
	.set _ZL9moe_vec_qIN3c108BFloat16ELi32ELi4E12block_iq4_nlLi2EXadL_ZL19vec_dot_iq4_nl_q8_1PKvPK10block_q8_1RKiEEEvS4_S4_PT_PS8_iiii.uses_flat_scratch, 0
	.set _ZL9moe_vec_qIN3c108BFloat16ELi32ELi4E12block_iq4_nlLi2EXadL_ZL19vec_dot_iq4_nl_q8_1PKvPK10block_q8_1RKiEEEvS4_S4_PT_PS8_iiii.has_dyn_sized_stack, 0
	.set _ZL9moe_vec_qIN3c108BFloat16ELi32ELi4E12block_iq4_nlLi2EXadL_ZL19vec_dot_iq4_nl_q8_1PKvPK10block_q8_1RKiEEEvS4_S4_PT_PS8_iiii.has_recursion, 0
	.set _ZL9moe_vec_qIN3c108BFloat16ELi32ELi4E12block_iq4_nlLi2EXadL_ZL19vec_dot_iq4_nl_q8_1PKvPK10block_q8_1RKiEEEvS4_S4_PT_PS8_iiii.has_indirect_call, 0
	.section	.AMDGPU.csdata,"",@progbits
; Kernel info:
; codeLenInByte = 1412
; TotalNumSgprs: 26
; NumVgprs: 45
; ScratchSize: 0
; MemoryBound: 0
; FloatMode: 240
; IeeeMode: 1
; LDSByteSize: 0 bytes/workgroup (compile time only)
; SGPRBlocks: 0
; VGPRBlocks: 2
; NumSGPRsForWavesPerEU: 26
; NumVGPRsForWavesPerEU: 45
; NamedBarCnt: 0
; Occupancy: 16
; WaveLimiterHint : 1
; COMPUTE_PGM_RSRC2:SCRATCH_EN: 0
; COMPUTE_PGM_RSRC2:USER_SGPR: 2
; COMPUTE_PGM_RSRC2:TRAP_HANDLER: 0
; COMPUTE_PGM_RSRC2:TGID_X_EN: 1
; COMPUTE_PGM_RSRC2:TGID_Y_EN: 0
; COMPUTE_PGM_RSRC2:TGID_Z_EN: 1
; COMPUTE_PGM_RSRC2:TIDIG_COMP_CNT: 1
	.section	.text._ZL9moe_vec_qIN3c108BFloat16ELi256ELi8E11block_iq3_sLi1EXadL_ZL18vec_dot_iq3_s_q8_1PKvPK10block_q8_1RKiEEEvS4_S4_PT_PS8_iiii,"axG",@progbits,_ZL9moe_vec_qIN3c108BFloat16ELi256ELi8E11block_iq3_sLi1EXadL_ZL18vec_dot_iq3_s_q8_1PKvPK10block_q8_1RKiEEEvS4_S4_PT_PS8_iiii,comdat
	.globl	_ZL9moe_vec_qIN3c108BFloat16ELi256ELi8E11block_iq3_sLi1EXadL_ZL18vec_dot_iq3_s_q8_1PKvPK10block_q8_1RKiEEEvS4_S4_PT_PS8_iiii ; -- Begin function _ZL9moe_vec_qIN3c108BFloat16ELi256ELi8E11block_iq3_sLi1EXadL_ZL18vec_dot_iq3_s_q8_1PKvPK10block_q8_1RKiEEEvS4_S4_PT_PS8_iiii
	.p2align	8
	.type	_ZL9moe_vec_qIN3c108BFloat16ELi256ELi8E11block_iq3_sLi1EXadL_ZL18vec_dot_iq3_s_q8_1PKvPK10block_q8_1RKiEEEvS4_S4_PT_PS8_iiii,@function
_ZL9moe_vec_qIN3c108BFloat16ELi256ELi8E11block_iq3_sLi1EXadL_ZL18vec_dot_iq3_s_q8_1PKvPK10block_q8_1RKiEEEvS4_S4_PT_PS8_iiii: ; @_ZL9moe_vec_qIN3c108BFloat16ELi256ELi8E11block_iq3_sLi1EXadL_ZL18vec_dot_iq3_s_q8_1PKvPK10block_q8_1RKiEEEvS4_S4_PT_PS8_iiii
; %bb.0:
	s_clause 0x1
	s_load_u16 s3, s[0:1], 0x3e
	s_load_b128 s[4:7], s[0:1], 0x20
	s_bfe_u32 s2, ttmp6, 0x4000c
	s_and_b32 s8, ttmp6, 15
	s_add_co_i32 s2, s2, 1
	v_bfe_u32 v1, v0, 10, 10
	s_mul_i32 s2, ttmp9, s2
	s_delay_alu instid0(SALU_CYCLE_1) | instskip(SKIP_1) | instid1(SALU_CYCLE_1)
	s_add_co_i32 s8, s8, s2
	s_getreg_b32 s2, hwreg(HW_REG_IB_STS2, 6, 4)
	s_cmp_eq_u32 s2, 0
	s_cselect_b32 s8, ttmp9, s8
	s_wait_kmcnt 0x0
	v_mad_u32 v22, s8, s3, v1
	s_mov_b32 s3, exec_lo
	s_delay_alu instid0(VALU_DEP_1)
	v_cmpx_gt_u32_e64 s6, v22
	s_cbranch_execz .LBB290_9
; %bb.1:
	s_load_b64 s[8:9], s[0:1], 0x10
	s_bfe_u32 s3, ttmp6, 0x40014
	s_lshr_b32 s10, ttmp7, 16
	s_add_co_i32 s3, s3, 1
	s_bfe_u32 s11, ttmp6, 0x40008
	s_mul_i32 s3, s10, s3
	v_bfe_u32 v24, v0, 3, 7
	s_add_co_i32 s11, s11, s3
	s_cmp_eq_u32 s2, 0
	v_and_b32_e32 v23, 0x3ff, v0
	s_cselect_b32 s10, s10, s11
	s_ashr_i32 s2, s5, 31
	v_mov_b32_e32 v1, 0
	s_lshr_b32 s2, s2, 24
	s_mov_b32 s11, exec_lo
	s_add_co_i32 s2, s5, s2
	s_delay_alu instid0(SALU_CYCLE_1) | instskip(NEXT) | instid1(SALU_CYCLE_1)
	s_ashr_i32 s12, s2, 8
	v_cmpx_gt_u32_e64 s12, v24
	s_cbranch_execz .LBB290_7
; %bb.2:
	s_load_b64 s[2:3], s[0:1], 0x18
	s_cvt_f32_u32 s5, s4
	s_sub_co_i32 s16, 0, s4
	s_mul_i32 s15, s12, s6
	v_dual_mov_b32 v1, 0 :: v_dual_bitop2_b32 v2, 7, v23 bitop3:0x40
	v_rcp_iflag_f32_e32 v0, s5
	v_lshlrev_b32_e32 v12, 2, v23
	v_mul_lo_u32 v25, v22, s12
	s_delay_alu instid0(VALU_DEP_3) | instskip(SKIP_1) | instid1(TRANS32_DEP_1)
	v_dual_mov_b32 v5, v1 :: v_dual_lshlrev_b32 v4, 2, v2
	v_dual_mov_b32 v3, v1 :: v_dual_mov_b32 v7, v1
	v_readfirstlane_b32 s5, v0
	v_lshlrev_b32_e32 v0, 3, v2
	v_bfe_u32 v6, v23, 1, 2
	s_mul_f32 s14, s5, 0x4f7ffffe
	s_mov_b32 s5, 0
	s_wait_kmcnt 0x0
	s_load_b32 s13, s[2:3], s10 offset:0x0 scale_offset
	v_add_nc_u32_e32 v26, v24, v25
	s_cvt_u32_f32 s14, s14
	s_wait_xcnt 0x0
	s_load_b128 s[0:3], s[0:1], 0x0
	s_delay_alu instid0(SALU_CYCLE_1) | instskip(NEXT) | instid1(SALU_CYCLE_1)
	s_mul_i32 s16, s16, s14
	s_mul_hi_u32 s16, s14, s16
	s_delay_alu instid0(SALU_CYCLE_1) | instskip(NEXT) | instid1(SALU_CYCLE_1)
	s_add_co_i32 s14, s14, s16
	s_mul_hi_u32 s16, s10, s14
	s_delay_alu instid0(SALU_CYCLE_1)
	s_mul_i32 s14, s16, s4
	s_add_co_i32 s17, s16, 1
	s_sub_co_i32 s18, s10, s14
	s_wait_kmcnt 0x0
	s_mul_i32 s14, s15, s13
	s_sub_co_i32 s13, s18, s4
	s_ashr_i32 s15, s14, 31
	s_cmp_ge_u32 s18, s4
	s_mul_u64 s[14:15], s[14:15], 0x6e
	s_cselect_b32 s16, s17, s16
	s_cselect_b32 s13, s13, s18
	s_add_co_i32 s17, s16, 1
	s_cmp_ge_u32 s13, s4
	s_add_nc_u64 s[0:1], s[0:1], s[14:15]
	s_cselect_b32 s4, s17, s16
	v_add_nc_u64_e32 v[8:9], s[0:1], v[4:5]
	s_mul_i32 s4, s4, s7
	v_add_nc_u64_e32 v[10:11], s[0:1], v[0:1]
	s_lshl_b64 s[14:15], s[4:5], 2
	v_and_b32_e32 v0, 4, v12
	s_add_nc_u64 s[2:3], s[2:3], s[14:15]
	s_delay_alu instid0(VALU_DEP_3) | instskip(SKIP_1) | instid1(VALU_DEP_4)
	v_add_nc_u64_e32 v[8:9], 0x4a, v[8:9]
	v_mad_nc_u64_u32 v[4:5], v2, 36, s[2:3]
	v_add_nc_u64_e32 v[10:11], 2, v[10:11]
	s_get_pc_i64 s[2:3]
	s_add_nc_u64 s[2:3], s[2:3], _ZL10iq3xs_grid@rel64+4
.LBB290_3:                              ; =>This Loop Header: Depth=1
                                        ;     Child Loop BB290_4 Depth 2
	v_add_nc_u32_e32 v12, v24, v25
	s_delay_alu instid0(VALU_DEP_4) | instskip(NEXT) | instid1(VALU_DEP_3)
	v_mad_nc_i64_i32 v[16:17], 0x6e, v26, v[8:9]
	v_mad_nc_i64_i32 v[18:19], 0x6e, v26, v[10:11]
	v_mov_b32_e32 v27, 0
	s_mov_b32 s4, 7
	v_mad_nc_i64_i32 v[12:13], 0x6e, v12, s[0:1]
	s_delay_alu instid0(VALU_DEP_1) | instskip(SKIP_3) | instid1(VALU_DEP_1)
	v_add_nc_u64_e32 v[14:15], v[12:13], v[2:3]
	global_load_u8 v28, v[14:15], off offset:66
	s_wait_xcnt 0x0
	v_lshlrev_b32_e32 v14, 3, v24
	v_mad_nc_i64_i32 v[14:15], v14, 36, v[4:5]
	s_delay_alu instid0(VALU_DEP_1)
	v_add_nc_u64_e32 v[20:21], 4, v[14:15]
.LBB290_4:                              ;   Parent Loop BB290_3 Depth=1
                                        ; =>  This Inner Loop Header: Depth=2
	global_load_u16 v29, v[18:19], off
	s_add_co_i32 s7, s4, 1
	s_wait_loadcnt 0x1
	v_dual_lshlrev_b32 v30, s4, v28 :: v_dual_lshlrev_b32 v31, s7, v28
	global_load_u8 v32, v[16:17], off
	s_wait_xcnt 0x0
	v_add_nc_u64_e32 v[16:17], 1, v[16:17]
	v_add_nc_u64_e32 v[18:19], 2, v[18:19]
	s_add_co_i32 s4, s4, -2
	s_delay_alu instid0(SALU_CYCLE_1) | instskip(SKIP_3) | instid1(VALU_DEP_2)
	s_cmp_lg_u32 s4, -1
	s_wait_loadcnt 0x1
	v_lshrrev_b16 v33, 8, v29
	v_and_b32_e32 v29, 0xff, v29
	v_and_b32_e32 v33, 0xffff, v33
	s_delay_alu instid0(VALU_DEP_2) | instskip(NEXT) | instid1(VALU_DEP_2)
	v_and_or_b32 v29, 0x100, v31, v29
	v_and_or_b32 v33, 0x100, v30, v33
	s_clause 0x1
	global_load_b32 v34, v29, s[2:3] scale_offset
	global_load_b32 v35, v33, s[2:3] scale_offset
	global_load_b64 v[30:31], v[20:21], off
	s_wait_loadcnt 0x3
	s_wait_xcnt 0x2
	v_and_b32_e32 v29, 15, v32
	v_lshrrev_b16 v32, 4, v32
	s_wait_xcnt 0x0
	v_add_nc_u64_e32 v[20:21], 8, v[20:21]
	s_delay_alu instid0(VALU_DEP_2) | instskip(NEXT) | instid1(VALU_DEP_1)
	v_and_b32_e32 v32, 0xffff, v32
	v_mul_lo_u32 v32, 0x1010101, v32
	s_delay_alu instid0(VALU_DEP_1)
	v_bitop3_b32 v44, v32, 0x8040201, v32 bitop3:0xc
	v_bitop3_b32 v45, v32, 0x40000, v32 bitop3:0xc
	;; [unrolled: 1-line block ×4, first 2 shown]
	s_wait_loadcnt 0x0
	v_ashrrev_i32_e32 v37, 24, v30
	v_and_b32_e32 v29, 0xffff, v29
	v_lshrrev_b16 v33, 8, v30
	v_lshrrev_b16 v36, 8, v31
	v_bfe_i32 v40, v31, 16, 8
	v_bfe_i32 v38, v30, 16, 8
	v_mul_lo_u32 v29, 0x1010101, v29
	v_bfe_i32 v30, v30, 0, 8
	v_bfe_i32 v33, v33, 0, 8
	;; [unrolled: 1-line block ×3, first 2 shown]
	s_delay_alu instid0(VALU_DEP_4) | instskip(SKIP_3) | instid1(VALU_DEP_4)
	v_bitop3_b32 v41, v29, 0x8040201, v29 bitop3:0xc
	v_bitop3_b32 v42, v29, 0x40000, v29 bitop3:0xc
	;; [unrolled: 1-line block ×4, first 2 shown]
	v_cmp_gt_u32_e32 vcc_lo, 0x1000000, v41
	v_cndmask_b32_e64 v41, 0, -1, vcc_lo
	v_cmp_eq_u32_e32 vcc_lo, 0, v42
	v_ashrrev_i32_e32 v39, 24, v31
	v_bfe_i32 v31, v31, 0, 8
	s_delay_alu instid0(VALU_DEP_4)
	v_lshlrev_b32_e32 v41, 24, v41
	v_cndmask_b32_e64 v42, 0, 0xff0000, vcc_lo
	v_cmp_eq_u32_e32 vcc_lo, 0, v43
	v_cndmask_b32_e64 v43, 0, 0xff00, vcc_lo
	v_cmp_eq_u32_e32 vcc_lo, 0, v29
	v_cndmask_b32_e64 v29, 0, 0xff, vcc_lo
	v_cmp_gt_u32_e32 vcc_lo, 0x1000000, v44
	s_delay_alu instid0(VALU_DEP_2) | instskip(SKIP_2) | instid1(VALU_DEP_3)
	v_or3_b32 v47, v43, v29, v42
	v_cndmask_b32_e64 v44, 0, -1, vcc_lo
	v_cmp_eq_u32_e32 vcc_lo, 0, v45
	v_bitop3_b32 v34, v47, v34, v41 bitop3:0x36
	s_delay_alu instid0(VALU_DEP_3) | instskip(SKIP_2) | instid1(VALU_DEP_4)
	v_lshlrev_b32_e32 v44, 24, v44
	v_cndmask_b32_e64 v45, 0, 0xff0000, vcc_lo
	v_cmp_eq_u32_e32 vcc_lo, 0, v46
	v_dual_sub_nc_u32 v42, v34, v42 :: v_dual_sub_nc_u32 v29, v34, v29
	v_cndmask_b32_e64 v46, 0, 0xff00, vcc_lo
	v_cmp_eq_u32_e32 vcc_lo, 0, v32
	v_cndmask_b32_e64 v32, 0, 0xff, vcc_lo
	s_delay_alu instid0(VALU_DEP_1) | instskip(NEXT) | instid1(VALU_DEP_1)
	v_or3_b32 v48, v46, v32, v45
	v_bitop3_b32 v35, v48, v35, v44 bitop3:0x36
	v_dual_sub_nc_u32 v41, v34, v41 :: v_dual_sub_nc_u32 v34, v34, v43
	v_perm_b32 v29, v42, v29, 0xc060c00
	s_delay_alu instid0(VALU_DEP_3) | instskip(SKIP_1) | instid1(VALU_DEP_4)
	v_dual_sub_nc_u32 v42, v35, v45 :: v_dual_sub_nc_u32 v43, v35, v46
	v_sub_nc_u32_e32 v32, v35, v32
	v_dual_sub_nc_u32 v35, v35, v44 :: v_dual_ashrrev_i32 v41, 24, v41
	v_lshrrev_b16 v34, 8, v34
	s_delay_alu instid0(VALU_DEP_3) | instskip(SKIP_1) | instid1(VALU_DEP_4)
	v_perm_b32 v32, v42, v32, 0xc060c00
	v_lshrrev_b16 v42, 8, v43
	v_ashrrev_i32_e32 v35, 24, v35
	v_bfe_i32 v43, v29, 0, 8
	v_bfe_i32 v29, v29, 16, 8
	;; [unrolled: 1-line block ×6, first 2 shown]
	v_mul_i32_i24_e32 v35, v35, v39
	v_mul_i32_i24_e32 v39, v44, v40
	;; [unrolled: 1-line block ×6, first 2 shown]
	v_mad_i32_i24 v34, v41, v37, v35
	v_mad_i32_i24 v29, v29, v38, v39
	s_delay_alu instid0(VALU_DEP_2) | instskip(NEXT) | instid1(VALU_DEP_2)
	v_add3_u32 v32, v33, v32, v34
	v_add3_u32 v29, v30, v31, v29
	s_delay_alu instid0(VALU_DEP_1)
	v_add3_u32 v27, v29, v32, v27
	s_cbranch_scc1 .LBB290_4
; %bb.5:                                ;   in Loop: Header=BB290_3 Depth=1
	v_add_nc_u64_e32 v[16:17], v[12:13], v[6:7]
	s_clause 0x1
	global_load_u8 v18, v[16:17], off offset:106
	global_load_u16 v19, v[12:13], off
	global_load_b32 v20, v[14:15], off
	v_dual_add_nc_u32 v26, 4, v26 :: v_dual_add_nc_u32 v24, 4, v24
	s_delay_alu instid0(VALU_DEP_1)
	v_cmp_le_u32_e32 vcc_lo, s12, v24
	s_or_b32 s5, vcc_lo, s5
	s_wait_loadcnt 0x2
	s_wait_xcnt 0x1
	v_bfe_u32 v12, v18, v0, 4
	s_wait_loadcnt 0x1
	v_cvt_f32_f16_e32 v13, v19
	s_wait_loadcnt 0x0
	v_cvt_f32_f16_e32 v14, v20
	v_cvt_f32_ubyte0_e32 v12, v12
	s_delay_alu instid0(VALU_DEP_1) | instskip(NEXT) | instid1(VALU_DEP_1)
	v_add_f32_e32 v12, 0.5, v12
	v_mul_f32_e32 v12, v12, v13
	v_cvt_f32_i32_e32 v13, v27
	s_delay_alu instid0(VALU_DEP_2) | instskip(NEXT) | instid1(VALU_DEP_1)
	v_mul_f32_e32 v12, v12, v14
	v_mul_f32_e32 v12, 0.5, v12
	s_delay_alu instid0(VALU_DEP_1)
	v_fmac_f32_e32 v1, v12, v13
	s_and_not1_b32 exec_lo, exec_lo, s5
	s_cbranch_execnz .LBB290_3
; %bb.6:
	s_or_b32 exec_lo, exec_lo, s5
.LBB290_7:
	s_delay_alu instid0(SALU_CYCLE_1) | instskip(SKIP_1) | instid1(VALU_DEP_1)
	s_or_b32 exec_lo, exec_lo, s11
	v_mbcnt_lo_u32_b32 v0, -1, 0
	v_xor_b32_e32 v3, 8, v0
	v_xor_b32_e32 v2, 16, v0
	s_delay_alu instid0(VALU_DEP_1) | instskip(SKIP_1) | instid1(VALU_DEP_4)
	v_cmp_gt_i32_e32 vcc_lo, 32, v2
	v_cndmask_b32_e32 v2, v0, v2, vcc_lo
	v_cmp_gt_i32_e32 vcc_lo, 32, v3
	v_cndmask_b32_e32 v3, v0, v3, vcc_lo
	s_delay_alu instid0(VALU_DEP_1)
	v_dual_lshlrev_b32 v3, 2, v3 :: v_dual_lshlrev_b32 v2, 2, v2
	ds_bpermute_b32 v2, v2, v1
	s_wait_dscnt 0x0
	v_add_f32_e32 v1, v1, v2
	ds_bpermute_b32 v2, v3, v1
	v_xor_b32_e32 v3, 4, v0
	s_delay_alu instid0(VALU_DEP_1) | instskip(SKIP_2) | instid1(VALU_DEP_1)
	v_cmp_gt_i32_e32 vcc_lo, 32, v3
	s_wait_dscnt 0x0
	v_dual_cndmask_b32 v3, v0, v3, vcc_lo :: v_dual_add_f32 v1, v1, v2
	v_lshlrev_b32_e32 v3, 2, v3
	ds_bpermute_b32 v2, v3, v1
	s_wait_dscnt 0x0
	v_dual_add_f32 v1, v1, v2 :: v_dual_bitop2_b32 v3, 2, v0 bitop3:0x14
	s_delay_alu instid0(VALU_DEP_1) | instskip(SKIP_1) | instid1(VALU_DEP_1)
	v_cmp_gt_i32_e32 vcc_lo, 32, v3
	v_cndmask_b32_e32 v3, v0, v3, vcc_lo
	v_lshlrev_b32_e32 v3, 2, v3
	ds_bpermute_b32 v2, v3, v1
	v_xor_b32_e32 v3, 1, v0
	s_delay_alu instid0(VALU_DEP_1) | instskip(SKIP_3) | instid1(VALU_DEP_2)
	v_cmp_gt_i32_e32 vcc_lo, 32, v3
	v_cndmask_b32_e32 v3, v0, v3, vcc_lo
	v_cmp_eq_u32_e32 vcc_lo, 0, v23
	s_wait_dscnt 0x0
	v_dual_add_f32 v0, v1, v2 :: v_dual_lshlrev_b32 v1, 2, v3
	ds_bpermute_b32 v1, v1, v0
	s_and_b32 exec_lo, exec_lo, vcc_lo
	s_cbranch_execz .LBB290_9
; %bb.8:
	s_wait_dscnt 0x0
	v_add_f32_e32 v0, v0, v1
	v_mad_u32 v2, s6, s10, v22
	s_delay_alu instid0(VALU_DEP_2) | instskip(NEXT) | instid1(VALU_DEP_1)
	v_bfe_u32 v1, v0, 16, 1
	v_add3_u32 v1, v0, v1, 0x7fff
	s_delay_alu instid0(VALU_DEP_1) | instskip(SKIP_1) | instid1(VALU_DEP_2)
	v_lshrrev_b32_e32 v1, 16, v1
	v_cmp_o_f32_e32 vcc_lo, v0, v0
	v_cndmask_b32_e32 v0, 0x7fc0, v1, vcc_lo
	s_wait_kmcnt 0x0
	global_store_b16 v2, v0, s[8:9] scale_offset
.LBB290_9:
	s_endpgm
	.section	.rodata,"a",@progbits
	.p2align	6, 0x0
	.amdhsa_kernel _ZL9moe_vec_qIN3c108BFloat16ELi256ELi8E11block_iq3_sLi1EXadL_ZL18vec_dot_iq3_s_q8_1PKvPK10block_q8_1RKiEEEvS4_S4_PT_PS8_iiii
		.amdhsa_group_segment_fixed_size 0
		.amdhsa_private_segment_fixed_size 0
		.amdhsa_kernarg_size 304
		.amdhsa_user_sgpr_count 2
		.amdhsa_user_sgpr_dispatch_ptr 0
		.amdhsa_user_sgpr_queue_ptr 0
		.amdhsa_user_sgpr_kernarg_segment_ptr 1
		.amdhsa_user_sgpr_dispatch_id 0
		.amdhsa_user_sgpr_kernarg_preload_length 0
		.amdhsa_user_sgpr_kernarg_preload_offset 0
		.amdhsa_user_sgpr_private_segment_size 0
		.amdhsa_wavefront_size32 1
		.amdhsa_uses_dynamic_stack 0
		.amdhsa_enable_private_segment 0
		.amdhsa_system_sgpr_workgroup_id_x 1
		.amdhsa_system_sgpr_workgroup_id_y 0
		.amdhsa_system_sgpr_workgroup_id_z 1
		.amdhsa_system_sgpr_workgroup_info 0
		.amdhsa_system_vgpr_workitem_id 1
		.amdhsa_next_free_vgpr 49
		.amdhsa_next_free_sgpr 19
		.amdhsa_named_barrier_count 0
		.amdhsa_reserve_vcc 1
		.amdhsa_float_round_mode_32 0
		.amdhsa_float_round_mode_16_64 0
		.amdhsa_float_denorm_mode_32 3
		.amdhsa_float_denorm_mode_16_64 3
		.amdhsa_fp16_overflow 0
		.amdhsa_memory_ordered 1
		.amdhsa_forward_progress 1
		.amdhsa_inst_pref_size 15
		.amdhsa_round_robin_scheduling 0
		.amdhsa_exception_fp_ieee_invalid_op 0
		.amdhsa_exception_fp_denorm_src 0
		.amdhsa_exception_fp_ieee_div_zero 0
		.amdhsa_exception_fp_ieee_overflow 0
		.amdhsa_exception_fp_ieee_underflow 0
		.amdhsa_exception_fp_ieee_inexact 0
		.amdhsa_exception_int_div_zero 0
	.end_amdhsa_kernel
	.section	.text._ZL9moe_vec_qIN3c108BFloat16ELi256ELi8E11block_iq3_sLi1EXadL_ZL18vec_dot_iq3_s_q8_1PKvPK10block_q8_1RKiEEEvS4_S4_PT_PS8_iiii,"axG",@progbits,_ZL9moe_vec_qIN3c108BFloat16ELi256ELi8E11block_iq3_sLi1EXadL_ZL18vec_dot_iq3_s_q8_1PKvPK10block_q8_1RKiEEEvS4_S4_PT_PS8_iiii,comdat
.Lfunc_end290:
	.size	_ZL9moe_vec_qIN3c108BFloat16ELi256ELi8E11block_iq3_sLi1EXadL_ZL18vec_dot_iq3_s_q8_1PKvPK10block_q8_1RKiEEEvS4_S4_PT_PS8_iiii, .Lfunc_end290-_ZL9moe_vec_qIN3c108BFloat16ELi256ELi8E11block_iq3_sLi1EXadL_ZL18vec_dot_iq3_s_q8_1PKvPK10block_q8_1RKiEEEvS4_S4_PT_PS8_iiii
                                        ; -- End function
	.set _ZL9moe_vec_qIN3c108BFloat16ELi256ELi8E11block_iq3_sLi1EXadL_ZL18vec_dot_iq3_s_q8_1PKvPK10block_q8_1RKiEEEvS4_S4_PT_PS8_iiii.num_vgpr, 49
	.set _ZL9moe_vec_qIN3c108BFloat16ELi256ELi8E11block_iq3_sLi1EXadL_ZL18vec_dot_iq3_s_q8_1PKvPK10block_q8_1RKiEEEvS4_S4_PT_PS8_iiii.num_agpr, 0
	.set _ZL9moe_vec_qIN3c108BFloat16ELi256ELi8E11block_iq3_sLi1EXadL_ZL18vec_dot_iq3_s_q8_1PKvPK10block_q8_1RKiEEEvS4_S4_PT_PS8_iiii.numbered_sgpr, 19
	.set _ZL9moe_vec_qIN3c108BFloat16ELi256ELi8E11block_iq3_sLi1EXadL_ZL18vec_dot_iq3_s_q8_1PKvPK10block_q8_1RKiEEEvS4_S4_PT_PS8_iiii.num_named_barrier, 0
	.set _ZL9moe_vec_qIN3c108BFloat16ELi256ELi8E11block_iq3_sLi1EXadL_ZL18vec_dot_iq3_s_q8_1PKvPK10block_q8_1RKiEEEvS4_S4_PT_PS8_iiii.private_seg_size, 0
	.set _ZL9moe_vec_qIN3c108BFloat16ELi256ELi8E11block_iq3_sLi1EXadL_ZL18vec_dot_iq3_s_q8_1PKvPK10block_q8_1RKiEEEvS4_S4_PT_PS8_iiii.uses_vcc, 1
	.set _ZL9moe_vec_qIN3c108BFloat16ELi256ELi8E11block_iq3_sLi1EXadL_ZL18vec_dot_iq3_s_q8_1PKvPK10block_q8_1RKiEEEvS4_S4_PT_PS8_iiii.uses_flat_scratch, 0
	.set _ZL9moe_vec_qIN3c108BFloat16ELi256ELi8E11block_iq3_sLi1EXadL_ZL18vec_dot_iq3_s_q8_1PKvPK10block_q8_1RKiEEEvS4_S4_PT_PS8_iiii.has_dyn_sized_stack, 0
	.set _ZL9moe_vec_qIN3c108BFloat16ELi256ELi8E11block_iq3_sLi1EXadL_ZL18vec_dot_iq3_s_q8_1PKvPK10block_q8_1RKiEEEvS4_S4_PT_PS8_iiii.has_recursion, 0
	.set _ZL9moe_vec_qIN3c108BFloat16ELi256ELi8E11block_iq3_sLi1EXadL_ZL18vec_dot_iq3_s_q8_1PKvPK10block_q8_1RKiEEEvS4_S4_PT_PS8_iiii.has_indirect_call, 0
	.section	.AMDGPU.csdata,"",@progbits
; Kernel info:
; codeLenInByte = 1852
; TotalNumSgprs: 21
; NumVgprs: 49
; ScratchSize: 0
; MemoryBound: 0
; FloatMode: 240
; IeeeMode: 1
; LDSByteSize: 0 bytes/workgroup (compile time only)
; SGPRBlocks: 0
; VGPRBlocks: 3
; NumSGPRsForWavesPerEU: 21
; NumVGPRsForWavesPerEU: 49
; NamedBarCnt: 0
; Occupancy: 16
; WaveLimiterHint : 1
; COMPUTE_PGM_RSRC2:SCRATCH_EN: 0
; COMPUTE_PGM_RSRC2:USER_SGPR: 2
; COMPUTE_PGM_RSRC2:TRAP_HANDLER: 0
; COMPUTE_PGM_RSRC2:TGID_X_EN: 1
; COMPUTE_PGM_RSRC2:TGID_Y_EN: 0
; COMPUTE_PGM_RSRC2:TGID_Z_EN: 1
; COMPUTE_PGM_RSRC2:TIDIG_COMP_CNT: 1
	.section	.text._ZL9moe_vec_qIN3c108BFloat16ELi256ELi8E11block_iq2_sLi1EXadL_ZL18vec_dot_iq2_s_q8_1PKvPK10block_q8_1RKiEEEvS4_S4_PT_PS8_iiii,"axG",@progbits,_ZL9moe_vec_qIN3c108BFloat16ELi256ELi8E11block_iq2_sLi1EXadL_ZL18vec_dot_iq2_s_q8_1PKvPK10block_q8_1RKiEEEvS4_S4_PT_PS8_iiii,comdat
	.globl	_ZL9moe_vec_qIN3c108BFloat16ELi256ELi8E11block_iq2_sLi1EXadL_ZL18vec_dot_iq2_s_q8_1PKvPK10block_q8_1RKiEEEvS4_S4_PT_PS8_iiii ; -- Begin function _ZL9moe_vec_qIN3c108BFloat16ELi256ELi8E11block_iq2_sLi1EXadL_ZL18vec_dot_iq2_s_q8_1PKvPK10block_q8_1RKiEEEvS4_S4_PT_PS8_iiii
	.p2align	8
	.type	_ZL9moe_vec_qIN3c108BFloat16ELi256ELi8E11block_iq2_sLi1EXadL_ZL18vec_dot_iq2_s_q8_1PKvPK10block_q8_1RKiEEEvS4_S4_PT_PS8_iiii,@function
_ZL9moe_vec_qIN3c108BFloat16ELi256ELi8E11block_iq2_sLi1EXadL_ZL18vec_dot_iq2_s_q8_1PKvPK10block_q8_1RKiEEEvS4_S4_PT_PS8_iiii: ; @_ZL9moe_vec_qIN3c108BFloat16ELi256ELi8E11block_iq2_sLi1EXadL_ZL18vec_dot_iq2_s_q8_1PKvPK10block_q8_1RKiEEEvS4_S4_PT_PS8_iiii
; %bb.0:
	s_clause 0x1
	s_load_u16 s2, s[0:1], 0x3e
	s_load_b128 s[4:7], s[0:1], 0x20
	s_bfe_u32 s3, ttmp6, 0x4000c
	s_and_b32 s8, ttmp6, 15
	s_add_co_i32 s3, s3, 1
	v_bfe_u32 v1, v0, 10, 10
	s_mul_i32 s3, ttmp9, s3
	s_delay_alu instid0(SALU_CYCLE_1) | instskip(SKIP_1) | instid1(SALU_CYCLE_1)
	s_add_co_i32 s3, s8, s3
	s_getreg_b32 s8, hwreg(HW_REG_IB_STS2, 6, 4)
	s_cmp_eq_u32 s8, 0
	s_cselect_b32 s3, ttmp9, s3
	s_wait_kmcnt 0x0
	v_mad_u32 v22, s3, s2, v1
	s_mov_b32 s2, exec_lo
	s_delay_alu instid0(VALU_DEP_1)
	v_cmpx_gt_u32_e64 s6, v22
	s_cbranch_execz .LBB291_7
; %bb.1:
	s_load_b64 s[2:3], s[0:1], 0x10
	s_bfe_u32 s9, ttmp6, 0x40014
	s_lshr_b32 s10, ttmp7, 16
	s_add_co_i32 s9, s9, 1
	s_bfe_u32 s11, ttmp6, 0x40008
	s_mul_i32 s9, s10, s9
	v_bfe_u32 v24, v0, 3, 7
	s_add_co_i32 s11, s11, s9
	s_cmp_eq_u32 s8, 0
	v_and_b32_e32 v23, 0x3ff, v0
	s_cselect_b32 s10, s10, s11
	s_ashr_i32 s8, s5, 31
	v_mov_b32_e32 v25, 0
	s_lshr_b32 s8, s8, 24
	s_mov_b32 s11, exec_lo
	s_add_co_i32 s5, s5, s8
	s_delay_alu instid0(SALU_CYCLE_1) | instskip(NEXT) | instid1(SALU_CYCLE_1)
	s_ashr_i32 s12, s5, 8
	v_cmpx_gt_u32_e64 s12, v24
	s_cbranch_execz .LBB291_5
; %bb.2:
	s_clause 0x1
	s_load_b64 s[8:9], s[0:1], 0x18
	s_load_b128 s[16:19], s[0:1], 0x0
	s_cvt_f32_u32 s5, s4
	s_wait_xcnt 0x0
	s_mul_i32 s1, s12, s6
	v_dual_mov_b32 v5, 0 :: v_dual_bitop2_b32 v4, 7, v23 bitop3:0x40
	v_rcp_iflag_f32_e32 v0, s5
	v_mul_lo_u32 v26, v22, s12
	v_lshlrev_b32_e32 v27, 3, v24
	s_delay_alu instid0(VALU_DEP_3) | instskip(SKIP_1) | instid1(TRANS32_DEP_1)
	v_dual_mov_b32 v9, v5 :: v_dual_lshlrev_b32 v8, 2, v4
	v_mov_b32_e32 v25, v5
	v_readfirstlane_b32 s5, v0
	s_mul_f32 s5, s5, 0x4f7ffffe
	s_wait_kmcnt 0x0
	s_load_b32 s8, s[8:9], s10 offset:0x0 scale_offset
	s_wait_xcnt 0x0
	s_sub_co_i32 s9, 0, s4
	s_cvt_u32_f32 s5, s5
	s_delay_alu instid0(SALU_CYCLE_3) | instskip(NEXT) | instid1(SALU_CYCLE_1)
	s_mul_i32 s9, s9, s5
	s_mul_hi_u32 s9, s5, s9
	s_delay_alu instid0(SALU_CYCLE_1) | instskip(NEXT) | instid1(SALU_CYCLE_1)
	s_add_co_i32 s5, s5, s9
	s_mul_hi_u32 s0, s10, s5
	s_delay_alu instid0(SALU_CYCLE_1)
	s_mul_i32 s5, s0, s4
	s_add_co_i32 s13, s0, 1
	s_sub_co_i32 s5, s10, s5
	s_wait_kmcnt 0x0
	s_mul_i32 s8, s1, s8
	s_sub_co_i32 s1, s5, s4
	s_ashr_i32 s9, s8, 31
	s_cmp_ge_u32 s5, s4
	s_mul_u64 s[8:9], s[8:9], 0x52
	s_cselect_b32 s0, s13, s0
	s_cselect_b32 s1, s1, s5
	s_add_co_i32 s5, s0, 1
	s_cmp_ge_u32 s1, s4
	s_mov_b32 s1, 0
	s_cselect_b32 s0, s5, s0
	s_add_nc_u64 s[8:9], s[16:17], s[8:9]
	s_mul_i32 s0, s0, s7
	s_delay_alu instid0(SALU_CYCLE_1) | instskip(NEXT) | instid1(SALU_CYCLE_1)
	s_lshl_b64 s[4:5], s[0:1], 2
	s_add_nc_u64 s[4:5], s[18:19], s[4:5]
	s_delay_alu instid0(SALU_CYCLE_1)
	v_mad_nc_u64_u32 v[6:7], v4, 36, s[4:5]
	s_get_pc_i64 s[4:5]
	s_add_nc_u64 s[4:5], s[4:5], _ZL9iq2s_grid@rel64+4
.LBB291_3:                              ; =>This Inner Loop Header: Depth=1
	v_add_nc_u32_e32 v0, v26, v24
	s_delay_alu instid0(VALU_DEP_2) | instskip(SKIP_1) | instid1(VALU_DEP_3)
	v_mad_nc_i64_i32 v[12:13], v27, 36, v[6:7]
	v_dual_add_nc_u32 v24, 4, v24 :: v_dual_add_nc_u32 v27, 32, v27
	v_mad_nc_i64_i32 v[10:11], 0x52, v0, s[8:9]
	s_delay_alu instid0(VALU_DEP_1)
	v_add_nc_u64_e32 v[14:15], v[10:11], v[8:9]
	v_add_nc_u64_e32 v[16:17], v[10:11], v[4:5]
	s_clause 0x1
	global_load_b32 v18, v[14:15], off offset:2
	global_load_u8 v19, v[16:17], off offset:66
	global_load_b128 v[0:3], v[12:13], off offset:20
	s_clause 0x1
	global_load_u8 v34, v[16:17], off offset:74
	global_load_b32 v35, v[14:15], off offset:34
	s_wait_loadcnt 0x4
	s_wait_xcnt 0x0
	v_and_b32_e32 v14, 0xff, v18
	s_wait_loadcnt 0x3
	v_lshlrev_b32_e32 v15, 8, v19
	v_bfe_u32 v16, v18, 8, 8
	v_dual_lshlrev_b32 v17, 6, v19 :: v_dual_lshlrev_b32 v21, 4, v19
	v_bfe_u32 v20, v18, 16, 8
	v_dual_lshrrev_b32 v18, 24, v18 :: v_dual_lshlrev_b32 v19, 2, v19
	v_and_or_b32 v36, 0x300, v15, v14
	s_delay_alu instid0(VALU_DEP_4) | instskip(NEXT) | instid1(VALU_DEP_4)
	v_and_or_b32 v37, 0x300, v17, v16
	v_and_or_b32 v38, 0x300, v21, v20
	s_delay_alu instid0(VALU_DEP_4)
	v_and_or_b32 v39, 0x300, v19, v18
	s_clause 0x3
	global_load_b64 v[20:21], v36, s[4:5] scale_offset
	global_load_b64 v[18:19], v37, s[4:5] scale_offset
	;; [unrolled: 1-line block ×4, first 2 shown]
	s_clause 0x1
	global_load_b128 v[30:33], v[12:13], off offset:4
	global_load_b32 v29, v[12:13], off
	global_load_u16 v28, v[10:11], off
	s_wait_loadcnt 0x9
	s_wait_xcnt 0x1
	v_perm_b32 v12, v0, v1, 0xc0c0400
	v_perm_b32 v13, v3, v2, 0x4000c0c
	s_wait_xcnt 0x0
	v_perm_b32 v11, v3, v2, 0x6020c0c
	v_perm_b32 v37, v3, v2, 0x7030c0c
	;; [unrolled: 1-line block ×4, first 2 shown]
	v_or_b32_e32 v3, v13, v12
	v_perm_b32 v36, v0, v1, 0xc0c0703
	v_perm_b32 v1, v0, v1, 0xc0c0501
	s_delay_alu instid0(VALU_DEP_4) | instskip(NEXT) | instid1(VALU_DEP_2)
	v_or_b32_e32 v0, v11, v10
	v_or_b32_e32 v11, v2, v1
	s_wait_loadcnt 0x2
	v_perm_b32 v38, v30, v31, 0xc0c0602
	v_perm_b32 v40, v30, v31, 0xc0c0400
	;; [unrolled: 1-line block ×8, first 2 shown]
	v_bfe_u32 v33, v35, 8, 4
	v_or_b32_e32 v13, v31, v30
	v_and_b32_e32 v31, 15, v35
	v_or_b32_e32 v2, v41, v40
	v_or_b32_e32 v12, v43, v42
	v_mul_lo_u32 v33, 0x1010101, v33
	v_lshrrev_b16 v32, 4, v35
	v_mul_lo_u32 v31, 0x1010101, v31
	v_lshrrev_b32_e32 v30, 8, v35
	s_delay_alu instid0(VALU_DEP_1)
	v_lshrrev_b16 v30, 4, v30
	v_bitop3_b32 v43, v33, 0x8040201, v33 bitop3:0xc
	v_bitop3_b32 v44, v33, 0x40000, v33 bitop3:0xc
	;; [unrolled: 1-line block ×7, first 2 shown]
	v_cmp_gt_u32_e32 vcc_lo, 0x1000000, v40
	v_bitop3_b32 v33, v33, 1, v33 bitop3:0xc
	v_cndmask_b32_e64 v40, 0, -1, vcc_lo
	v_cmp_eq_u32_e32 vcc_lo, 0, v41
	s_delay_alu instid0(VALU_DEP_2)
	v_lshlrev_b32_e32 v40, 24, v40
	v_cndmask_b32_e64 v41, 0, 0xff0000, vcc_lo
	v_cmp_eq_u32_e32 vcc_lo, 0, v42
	v_cndmask_b32_e64 v42, 0, 0xff00, vcc_lo
	v_cmp_eq_u32_e32 vcc_lo, 0, v31
	v_cndmask_b32_e64 v31, 0, 0xff, vcc_lo
	v_cmp_gt_u32_e32 vcc_lo, 0x1000000, v43
	s_delay_alu instid0(VALU_DEP_2)
	v_or3_b32 v58, v42, v31, v41
	v_cndmask_b32_e64 v43, 0, -1, vcc_lo
	v_or_b32_e32 v10, v37, v36
	v_bfe_u32 v36, v35, 16, 4
	v_bfe_u32 v37, v35, 20, 4
	v_cmp_eq_u32_e32 vcc_lo, 0, v44
	v_bitop3_b32 v20, v58, v20, v40 bitop3:0x36
	v_and_b32_e32 v32, 15, v32
	v_mul_lo_u32 v36, 0x1010101, v36
	v_mul_lo_u32 v37, 0x1010101, v37
	v_cndmask_b32_e64 v44, 0, 0xff0000, vcc_lo
	v_cmp_eq_u32_e32 vcc_lo, 0, v45
	v_sub_nc_u32_e32 v41, v20, v41
	v_and_b32_e32 v32, 0xffff, v32
	v_dual_sub_nc_u32 v40, v20, v40 :: v_dual_bitop2_b32 v30, 15, v30 bitop3:0x40
	v_cndmask_b32_e64 v45, 0, 0xff00, vcc_lo
	v_cmp_eq_u32_e32 vcc_lo, 0, v33
	s_delay_alu instid0(VALU_DEP_4)
	v_mul_lo_u32 v32, 0x1010101, v32
	v_bitop3_b32 v50, v36, 0x8040201, v36 bitop3:0xc
	v_bitop3_b32 v47, v37, 0x40000, v37 bitop3:0xc
	;; [unrolled: 1-line block ×5, first 2 shown]
	v_cndmask_b32_e64 v33, 0, 0xff, vcc_lo
	v_cmp_gt_u32_e32 vcc_lo, 0x1000000, v50
	v_bitop3_b32 v51, v36, 0x40000, v36 bitop3:0xc
	v_bitop3_b32 v46, v36, 1, v36 bitop3:0xc
	;; [unrolled: 1-line block ×4, first 2 shown]
	v_cndmask_b32_e64 v50, 0, -1, vcc_lo
	v_cmp_gt_u32_e32 vcc_lo, 0x1000000, v37
	v_bitop3_b32 v56, v32, 0x40000, v32 bitop3:0xc
	v_bitop3_b32 v57, v32, 0x200, v32 bitop3:0xc
	;; [unrolled: 1-line block ×3, first 2 shown]
	v_and_b32_e32 v30, 0xffff, v30
	v_cndmask_b32_e64 v37, 0, -1, vcc_lo
	v_cmp_eq_u32_e32 vcc_lo, 0, v51
	v_or_b32_e32 v1, v39, v38
	v_bfe_u32 v38, v35, 24, 4
	v_lshrrev_b32_e32 v35, 24, v35
	v_mul_lo_u32 v30, 0x1010101, v30
	v_cndmask_b32_e64 v51, 0, 0xff0000, vcc_lo
	v_cmp_eq_u32_e32 vcc_lo, 0, v36
	v_mul_lo_u32 v38, 0x1010101, v38
	v_lshrrev_b16 v35, 4, v35
	v_lshrrev_b16 v39, 4, v34
	v_lshlrev_b32_e32 v43, 24, v43
	v_cndmask_b32_e64 v36, 0, 0xff00, vcc_lo
	v_cmp_eq_u32_e32 vcc_lo, 0, v46
	v_and_b32_e32 v35, 0xffff, v35
	v_or3_b32 v59, v45, v33, v44
	v_bitop3_b32 v67, v30, 0x8040201, v30 bitop3:0xc
	v_bitop3_b32 v68, v30, 0x40000, v30 bitop3:0xc
	v_cndmask_b32_e64 v46, 0, 0xff, vcc_lo
	v_cmp_eq_u32_e32 vcc_lo, 0, v47
	v_bitop3_b32 v52, v38, 0x8040201, v38 bitop3:0xc
	v_bitop3_b32 v53, v38, 0x40000, v38 bitop3:0xc
	;; [unrolled: 1-line block ×4, first 2 shown]
	v_cndmask_b32_e64 v47, 0, 0xff0000, vcc_lo
	v_cmp_eq_u32_e32 vcc_lo, 0, v48
	v_mul_lo_u32 v35, 0x1010101, v35
	v_bitop3_b32 v66, v30, 1, v30 bitop3:0xc
	v_bitop3_b32 v30, v30, 0x200, v30 bitop3:0xc
	v_lshlrev_b32_e32 v50, 24, v50
	v_cndmask_b32_e64 v48, 0, 0xff00, vcc_lo
	v_cmp_eq_u32_e32 vcc_lo, 0, v49
	v_lshlrev_b32_e32 v37, 24, v37
	v_or3_b32 v60, v36, v46, v51
	v_bitop3_b32 v18, v59, v18, v43 bitop3:0x36
	v_dual_sub_nc_u32 v42, v20, v42 :: v_dual_sub_nc_u32 v20, v20, v31
	v_cndmask_b32_e64 v49, 0, 0xff, vcc_lo
	v_cmp_gt_u32_e32 vcc_lo, 0x1000000, v52
	v_bitop3_b32 v62, v35, 0x8040201, v35 bitop3:0xc
	v_bitop3_b32 v63, v35, 0x40000, v35 bitop3:0xc
	;; [unrolled: 1-line block ×4, first 2 shown]
	v_cndmask_b32_e64 v52, 0, -1, vcc_lo
	v_cmp_eq_u32_e32 vcc_lo, 0, v53
	v_or3_b32 v61, v48, v49, v47
	v_bitop3_b32 v16, v60, v16, v50 bitop3:0x36
	s_delay_alu instid0(VALU_DEP_4)
	v_lshlrev_b32_e32 v52, 24, v52
	v_cndmask_b32_e64 v53, 0, 0xff0000, vcc_lo
	v_cmp_eq_u32_e32 vcc_lo, 0, v54
	v_bitop3_b32 v17, v61, v17, v37 bitop3:0x36
	v_dual_sub_nc_u32 v50, v16, v50 :: v_dual_sub_nc_u32 v51, v16, v51
	v_sub_nc_u32_e32 v36, v16, v36
	v_cndmask_b32_e64 v54, 0, 0xff00, vcc_lo
	v_cmp_eq_u32_e32 vcc_lo, 0, v38
	v_dual_sub_nc_u32 v16, v16, v46 :: v_dual_sub_nc_u32 v46, v17, v47
	v_dual_sub_nc_u32 v37, v17, v37 :: v_dual_sub_nc_u32 v47, v17, v48
	v_sub_nc_u32_e32 v17, v17, v49
	v_cndmask_b32_e64 v38, 0, 0xff, vcc_lo
	v_cmp_gt_u32_e32 vcc_lo, 0x1000000, v55
	s_delay_alu instid0(VALU_DEP_4) | instskip(NEXT) | instid1(VALU_DEP_4)
	v_perm_b32 v36, v36, v47, 0xc0c0501
	v_perm_b32 v46, v46, v17, 0xc060c00
	s_delay_alu instid0(VALU_DEP_4) | instskip(SKIP_2) | instid1(VALU_DEP_3)
	v_or3_b32 v65, v54, v38, v53
	v_cndmask_b32_e64 v55, 0, -1, vcc_lo
	v_cmp_eq_u32_e32 vcc_lo, 0, v56
	v_bitop3_b32 v14, v65, v14, v52 bitop3:0x36
	s_delay_alu instid0(VALU_DEP_3) | instskip(SKIP_2) | instid1(VALU_DEP_4)
	v_lshlrev_b32_e32 v55, 24, v55
	v_cndmask_b32_e64 v56, 0, 0xff0000, vcc_lo
	v_cmp_eq_u32_e32 vcc_lo, 0, v57
	v_dual_sub_nc_u32 v48, v14, v52 :: v_dual_sub_nc_u32 v49, v14, v53
	v_cndmask_b32_e64 v57, 0, 0xff00, vcc_lo
	v_cmp_eq_u32_e32 vcc_lo, 0, v32
	v_cndmask_b32_e64 v32, 0, 0xff, vcc_lo
	v_cmp_gt_u32_e32 vcc_lo, 0x1000000, v62
	s_delay_alu instid0(VALU_DEP_2) | instskip(SKIP_2) | instid1(VALU_DEP_3)
	v_or3_b32 v69, v57, v32, v56
	v_cndmask_b32_e64 v62, 0, -1, vcc_lo
	v_cmp_eq_u32_e32 vcc_lo, 0, v63
	v_bitop3_b32 v21, v69, v21, v55 bitop3:0x36
	s_delay_alu instid0(VALU_DEP_3) | instskip(SKIP_2) | instid1(VALU_DEP_4)
	v_lshlrev_b32_e32 v62, 24, v62
	v_cndmask_b32_e64 v63, 0, 0xff0000, vcc_lo
	v_cmp_eq_u32_e32 vcc_lo, 0, v64
	v_dual_sub_nc_u32 v31, v21, v55 :: v_dual_sub_nc_u32 v55, v21, v56
	v_dual_sub_nc_u32 v56, v21, v57 :: v_dual_sub_nc_u32 v21, v21, v32
	v_cndmask_b32_e64 v64, 0, 0xff00, vcc_lo
	v_cmp_eq_u32_e32 vcc_lo, 0, v35
	v_dual_sub_nc_u32 v32, v18, v43 :: v_dual_sub_nc_u32 v43, v18, v44
	v_cndmask_b32_e64 v35, 0, 0xff, vcc_lo
	v_cmp_gt_u32_e32 vcc_lo, 0x1000000, v67
	s_delay_alu instid0(VALU_DEP_2) | instskip(SKIP_3) | instid1(VALU_DEP_4)
	v_or3_b32 v70, v64, v35, v63
	v_cndmask_b32_e64 v67, 0, -1, vcc_lo
	v_cmp_eq_u32_e32 vcc_lo, 0, v68
	v_and_b32_e32 v34, 15, v34
	v_bitop3_b32 v15, v70, v15, v62 bitop3:0x36
	s_delay_alu instid0(VALU_DEP_4) | instskip(SKIP_2) | instid1(VALU_DEP_4)
	v_lshlrev_b32_e32 v67, 24, v67
	v_cndmask_b32_e64 v68, 0, 0xff0000, vcc_lo
	v_cmp_eq_u32_e32 vcc_lo, 0, v30
	v_dual_sub_nc_u32 v52, v14, v54 :: v_dual_sub_nc_u32 v53, v15, v63
	v_dual_sub_nc_u32 v14, v14, v38 :: v_dual_sub_nc_u32 v54, v15, v64
	v_cndmask_b32_e64 v30, 0, 0xff00, vcc_lo
	v_cmp_eq_u32_e32 vcc_lo, 0, v66
	v_dual_sub_nc_u32 v38, v15, v62 :: v_dual_sub_nc_u32 v15, v15, v35
	v_perm_b32 v35, v51, v16, 0xc060c00
	v_perm_b32 v49, v49, v14, 0xc060c00
	v_cndmask_b32_e64 v66, 0, 0xff, vcc_lo
	v_perm_b32 v16, v16, v17, 0xc0c0400
	v_perm_b32 v51, v53, v15, 0xc060c00
	;; [unrolled: 1-line block ×4, first 2 shown]
	v_or3_b32 v71, v30, v66, v68
	v_perm_b32 v37, v38, v48, 0x7030c0c
	v_perm_b32 v17, v41, v20, 0xc060c00
	;; [unrolled: 1-line block ×4, first 2 shown]
	v_bitop3_b32 v19, v71, v19, v67 bitop3:0x36
	v_sub_nc_u32_e32 v44, v18, v45
	v_sub_nc_u32_e32 v18, v18, v33
	v_perm_b32 v20, v20, v21, 0xc0c0400
	v_or_b32_e32 v15, v37, v15
	v_dual_sub_nc_u32 v33, v19, v67 :: v_dual_sub_nc_u32 v45, v19, v68
	v_sub_nc_u32_e32 v30, v19, v30
	v_sub_nc_u32_e32 v19, v19, v66
	v_perm_b32 v43, v43, v18, 0xc060c00
	s_delay_alu instid0(VALU_DEP_4)
	v_perm_b32 v21, v33, v32, 0x7030c0c
	v_dot4_i32_iu8 v10, v15, v10, 0 neg_lo:[1,1,0]
	v_perm_b32 v30, v30, v44, 0x5010c0c
	v_perm_b32 v45, v45, v19, 0xc060c00
	;; [unrolled: 1-line block ×5, first 2 shown]
	v_or_b32_e32 v14, v14, v16
	v_or_b32_e32 v16, v38, v36
	v_perm_b32 v32, v35, v46, 0xc0c0602
	v_or_b32_e32 v19, v21, v19
	v_perm_b32 v33, v51, v49, 0x6020c0c
	v_perm_b32 v17, v17, v41, 0xc0c0602
	;; [unrolled: 1-line block ×3, first 2 shown]
	v_or_b32_e32 v18, v18, v20
	v_dot4_i32_iu8 v11, v16, v11, 0 neg_lo:[1,1,0]
	v_dot4_i32_iu8 v12, v19, v12, 0 neg_lo:[1,1,0]
	v_or_b32_e32 v20, v30, v31
	v_or_b32_e32 v21, v33, v32
	v_dot4_i32_iu8 v2, v18, v2, 0 neg_lo:[1,1,0]
	v_add_nc_u32_e32 v10, v11, v10
	v_dot4_i32_iu8 v3, v14, v3, 0 neg_lo:[1,1,0]
	v_or_b32_e32 v14, v35, v17
	v_dot4_i32_iu8 v13, v20, v13, 0 neg_lo:[1,1,0]
	v_dot4_i32_iu8 v15, v21, v0, 0 neg_lo:[1,1,0]
	v_cvt_f32_ubyte0_e32 v0, v34
	v_cmp_le_u32_e32 vcc_lo, s12, v24
	v_dot4_i32_iu8 v11, v14, v1, 0 neg_lo:[1,1,0]
	v_add_nc_u32_e32 v12, v13, v12
	v_cvt_f32_ubyte0_e32 v1, v39
	v_add3_u32 v3, v3, v15, v10
	s_wait_loadcnt 0x1
	v_cvt_f32_f16_e32 v10, v29
	s_or_b32 s1, vcc_lo, s1
	v_add3_u32 v2, v2, v11, v12
	s_wait_loadcnt 0x0
	v_cvt_f32_f16_e32 v11, v28
	v_pk_add_f32 v[0:1], v[0:1], 0.5 op_sel_hi:[1,0]
	v_cvt_f32_i32_e32 v3, v3
	v_cvt_f32_i32_e32 v2, v2
	s_delay_alu instid0(VALU_DEP_4) | instskip(NEXT) | instid1(VALU_DEP_2)
	v_mul_f32_e32 v10, v11, v10
	v_pk_mul_f32 v[0:1], v[0:1], v[2:3]
	s_delay_alu instid0(VALU_DEP_2) | instskip(NEXT) | instid1(VALU_DEP_2)
	v_mul_f32_e32 v2, 0x3e800000, v10
	v_add_f32_e32 v0, v0, v1
	s_delay_alu instid0(VALU_DEP_1)
	v_fmac_f32_e32 v25, v2, v0
	s_and_not1_b32 exec_lo, exec_lo, s1
	s_cbranch_execnz .LBB291_3
; %bb.4:
	s_or_b32 exec_lo, exec_lo, s1
.LBB291_5:
	s_delay_alu instid0(SALU_CYCLE_1) | instskip(SKIP_1) | instid1(VALU_DEP_1)
	s_or_b32 exec_lo, exec_lo, s11
	v_mbcnt_lo_u32_b32 v0, -1, 0
	v_xor_b32_e32 v2, 8, v0
	v_xor_b32_e32 v1, 16, v0
	;; [unrolled: 1-line block ×3, first 2 shown]
	s_delay_alu instid0(VALU_DEP_2) | instskip(SKIP_4) | instid1(VALU_DEP_2)
	v_cmp_gt_i32_e32 vcc_lo, 32, v1
	v_cndmask_b32_e32 v1, v0, v1, vcc_lo
	v_cmp_gt_i32_e32 vcc_lo, 32, v2
	v_cndmask_b32_e32 v2, v0, v2, vcc_lo
	v_cmp_gt_i32_e32 vcc_lo, 32, v3
	v_dual_lshlrev_b32 v2, 2, v2 :: v_dual_lshlrev_b32 v1, 2, v1
	ds_bpermute_b32 v1, v1, v25
	s_wait_dscnt 0x0
	v_add_f32_e32 v1, v25, v1
	ds_bpermute_b32 v2, v2, v1
	s_wait_dscnt 0x0
	v_dual_cndmask_b32 v3, v0, v3, vcc_lo :: v_dual_add_f32 v1, v1, v2
	s_delay_alu instid0(VALU_DEP_1) | instskip(SKIP_3) | instid1(VALU_DEP_1)
	v_lshlrev_b32_e32 v3, 2, v3
	ds_bpermute_b32 v2, v3, v1
	s_wait_dscnt 0x0
	v_dual_add_f32 v1, v1, v2 :: v_dual_bitop2_b32 v3, 2, v0 bitop3:0x14
	v_cmp_gt_i32_e32 vcc_lo, 32, v3
	v_cndmask_b32_e32 v3, v0, v3, vcc_lo
	s_delay_alu instid0(VALU_DEP_1) | instskip(SKIP_2) | instid1(VALU_DEP_1)
	v_lshlrev_b32_e32 v3, 2, v3
	ds_bpermute_b32 v2, v3, v1
	v_xor_b32_e32 v3, 1, v0
	v_cmp_gt_i32_e32 vcc_lo, 32, v3
	v_cndmask_b32_e32 v3, v0, v3, vcc_lo
	v_cmp_eq_u32_e32 vcc_lo, 0, v23
	s_wait_dscnt 0x0
	s_delay_alu instid0(VALU_DEP_2)
	v_dual_add_f32 v0, v1, v2 :: v_dual_lshlrev_b32 v1, 2, v3
	ds_bpermute_b32 v1, v1, v0
	s_and_b32 exec_lo, exec_lo, vcc_lo
	s_cbranch_execz .LBB291_7
; %bb.6:
	s_wait_dscnt 0x0
	v_add_f32_e32 v0, v0, v1
	v_mad_u32 v2, s6, s10, v22
	s_delay_alu instid0(VALU_DEP_2) | instskip(NEXT) | instid1(VALU_DEP_1)
	v_bfe_u32 v1, v0, 16, 1
	v_add3_u32 v1, v0, v1, 0x7fff
	s_delay_alu instid0(VALU_DEP_1) | instskip(SKIP_1) | instid1(VALU_DEP_2)
	v_lshrrev_b32_e32 v1, 16, v1
	v_cmp_o_f32_e32 vcc_lo, v0, v0
	v_cndmask_b32_e32 v0, 0x7fc0, v1, vcc_lo
	s_wait_kmcnt 0x0
	global_store_b16 v2, v0, s[2:3] scale_offset
.LBB291_7:
	s_sendmsg sendmsg(MSG_DEALLOC_VGPRS)
	s_endpgm
	.section	.rodata,"a",@progbits
	.p2align	6, 0x0
	.amdhsa_kernel _ZL9moe_vec_qIN3c108BFloat16ELi256ELi8E11block_iq2_sLi1EXadL_ZL18vec_dot_iq2_s_q8_1PKvPK10block_q8_1RKiEEEvS4_S4_PT_PS8_iiii
		.amdhsa_group_segment_fixed_size 0
		.amdhsa_private_segment_fixed_size 0
		.amdhsa_kernarg_size 304
		.amdhsa_user_sgpr_count 2
		.amdhsa_user_sgpr_dispatch_ptr 0
		.amdhsa_user_sgpr_queue_ptr 0
		.amdhsa_user_sgpr_kernarg_segment_ptr 1
		.amdhsa_user_sgpr_dispatch_id 0
		.amdhsa_user_sgpr_kernarg_preload_length 0
		.amdhsa_user_sgpr_kernarg_preload_offset 0
		.amdhsa_user_sgpr_private_segment_size 0
		.amdhsa_wavefront_size32 1
		.amdhsa_uses_dynamic_stack 0
		.amdhsa_enable_private_segment 0
		.amdhsa_system_sgpr_workgroup_id_x 1
		.amdhsa_system_sgpr_workgroup_id_y 0
		.amdhsa_system_sgpr_workgroup_id_z 1
		.amdhsa_system_sgpr_workgroup_info 0
		.amdhsa_system_vgpr_workitem_id 1
		.amdhsa_next_free_vgpr 72
		.amdhsa_next_free_sgpr 20
		.amdhsa_named_barrier_count 0
		.amdhsa_reserve_vcc 1
		.amdhsa_float_round_mode_32 0
		.amdhsa_float_round_mode_16_64 0
		.amdhsa_float_denorm_mode_32 3
		.amdhsa_float_denorm_mode_16_64 3
		.amdhsa_fp16_overflow 0
		.amdhsa_memory_ordered 1
		.amdhsa_forward_progress 1
		.amdhsa_inst_pref_size 26
		.amdhsa_round_robin_scheduling 0
		.amdhsa_exception_fp_ieee_invalid_op 0
		.amdhsa_exception_fp_denorm_src 0
		.amdhsa_exception_fp_ieee_div_zero 0
		.amdhsa_exception_fp_ieee_overflow 0
		.amdhsa_exception_fp_ieee_underflow 0
		.amdhsa_exception_fp_ieee_inexact 0
		.amdhsa_exception_int_div_zero 0
	.end_amdhsa_kernel
	.section	.text._ZL9moe_vec_qIN3c108BFloat16ELi256ELi8E11block_iq2_sLi1EXadL_ZL18vec_dot_iq2_s_q8_1PKvPK10block_q8_1RKiEEEvS4_S4_PT_PS8_iiii,"axG",@progbits,_ZL9moe_vec_qIN3c108BFloat16ELi256ELi8E11block_iq2_sLi1EXadL_ZL18vec_dot_iq2_s_q8_1PKvPK10block_q8_1RKiEEEvS4_S4_PT_PS8_iiii,comdat
.Lfunc_end291:
	.size	_ZL9moe_vec_qIN3c108BFloat16ELi256ELi8E11block_iq2_sLi1EXadL_ZL18vec_dot_iq2_s_q8_1PKvPK10block_q8_1RKiEEEvS4_S4_PT_PS8_iiii, .Lfunc_end291-_ZL9moe_vec_qIN3c108BFloat16ELi256ELi8E11block_iq2_sLi1EXadL_ZL18vec_dot_iq2_s_q8_1PKvPK10block_q8_1RKiEEEvS4_S4_PT_PS8_iiii
                                        ; -- End function
	.set _ZL9moe_vec_qIN3c108BFloat16ELi256ELi8E11block_iq2_sLi1EXadL_ZL18vec_dot_iq2_s_q8_1PKvPK10block_q8_1RKiEEEvS4_S4_PT_PS8_iiii.num_vgpr, 72
	.set _ZL9moe_vec_qIN3c108BFloat16ELi256ELi8E11block_iq2_sLi1EXadL_ZL18vec_dot_iq2_s_q8_1PKvPK10block_q8_1RKiEEEvS4_S4_PT_PS8_iiii.num_agpr, 0
	.set _ZL9moe_vec_qIN3c108BFloat16ELi256ELi8E11block_iq2_sLi1EXadL_ZL18vec_dot_iq2_s_q8_1PKvPK10block_q8_1RKiEEEvS4_S4_PT_PS8_iiii.numbered_sgpr, 20
	.set _ZL9moe_vec_qIN3c108BFloat16ELi256ELi8E11block_iq2_sLi1EXadL_ZL18vec_dot_iq2_s_q8_1PKvPK10block_q8_1RKiEEEvS4_S4_PT_PS8_iiii.num_named_barrier, 0
	.set _ZL9moe_vec_qIN3c108BFloat16ELi256ELi8E11block_iq2_sLi1EXadL_ZL18vec_dot_iq2_s_q8_1PKvPK10block_q8_1RKiEEEvS4_S4_PT_PS8_iiii.private_seg_size, 0
	.set _ZL9moe_vec_qIN3c108BFloat16ELi256ELi8E11block_iq2_sLi1EXadL_ZL18vec_dot_iq2_s_q8_1PKvPK10block_q8_1RKiEEEvS4_S4_PT_PS8_iiii.uses_vcc, 1
	.set _ZL9moe_vec_qIN3c108BFloat16ELi256ELi8E11block_iq2_sLi1EXadL_ZL18vec_dot_iq2_s_q8_1PKvPK10block_q8_1RKiEEEvS4_S4_PT_PS8_iiii.uses_flat_scratch, 0
	.set _ZL9moe_vec_qIN3c108BFloat16ELi256ELi8E11block_iq2_sLi1EXadL_ZL18vec_dot_iq2_s_q8_1PKvPK10block_q8_1RKiEEEvS4_S4_PT_PS8_iiii.has_dyn_sized_stack, 0
	.set _ZL9moe_vec_qIN3c108BFloat16ELi256ELi8E11block_iq2_sLi1EXadL_ZL18vec_dot_iq2_s_q8_1PKvPK10block_q8_1RKiEEEvS4_S4_PT_PS8_iiii.has_recursion, 0
	.set _ZL9moe_vec_qIN3c108BFloat16ELi256ELi8E11block_iq2_sLi1EXadL_ZL18vec_dot_iq2_s_q8_1PKvPK10block_q8_1RKiEEEvS4_S4_PT_PS8_iiii.has_indirect_call, 0
	.section	.AMDGPU.csdata,"",@progbits
; Kernel info:
; codeLenInByte = 3296
; TotalNumSgprs: 22
; NumVgprs: 72
; ScratchSize: 0
; MemoryBound: 0
; FloatMode: 240
; IeeeMode: 1
; LDSByteSize: 0 bytes/workgroup (compile time only)
; SGPRBlocks: 0
; VGPRBlocks: 4
; NumSGPRsForWavesPerEU: 22
; NumVGPRsForWavesPerEU: 72
; NamedBarCnt: 0
; Occupancy: 12
; WaveLimiterHint : 1
; COMPUTE_PGM_RSRC2:SCRATCH_EN: 0
; COMPUTE_PGM_RSRC2:USER_SGPR: 2
; COMPUTE_PGM_RSRC2:TRAP_HANDLER: 0
; COMPUTE_PGM_RSRC2:TGID_X_EN: 1
; COMPUTE_PGM_RSRC2:TGID_Y_EN: 0
; COMPUTE_PGM_RSRC2:TGID_Z_EN: 1
; COMPUTE_PGM_RSRC2:TIDIG_COMP_CNT: 1
	.section	.text._ZL9moe_vec_qIN3c108BFloat16ELi256ELi8E12block_iq4_xsLi1EXadL_ZL19vec_dot_iq4_xs_q8_1PKvPK10block_q8_1RKiEEEvS4_S4_PT_PS8_iiii,"axG",@progbits,_ZL9moe_vec_qIN3c108BFloat16ELi256ELi8E12block_iq4_xsLi1EXadL_ZL19vec_dot_iq4_xs_q8_1PKvPK10block_q8_1RKiEEEvS4_S4_PT_PS8_iiii,comdat
	.globl	_ZL9moe_vec_qIN3c108BFloat16ELi256ELi8E12block_iq4_xsLi1EXadL_ZL19vec_dot_iq4_xs_q8_1PKvPK10block_q8_1RKiEEEvS4_S4_PT_PS8_iiii ; -- Begin function _ZL9moe_vec_qIN3c108BFloat16ELi256ELi8E12block_iq4_xsLi1EXadL_ZL19vec_dot_iq4_xs_q8_1PKvPK10block_q8_1RKiEEEvS4_S4_PT_PS8_iiii
	.p2align	8
	.type	_ZL9moe_vec_qIN3c108BFloat16ELi256ELi8E12block_iq4_xsLi1EXadL_ZL19vec_dot_iq4_xs_q8_1PKvPK10block_q8_1RKiEEEvS4_S4_PT_PS8_iiii,@function
_ZL9moe_vec_qIN3c108BFloat16ELi256ELi8E12block_iq4_xsLi1EXadL_ZL19vec_dot_iq4_xs_q8_1PKvPK10block_q8_1RKiEEEvS4_S4_PT_PS8_iiii: ; @_ZL9moe_vec_qIN3c108BFloat16ELi256ELi8E12block_iq4_xsLi1EXadL_ZL19vec_dot_iq4_xs_q8_1PKvPK10block_q8_1RKiEEEvS4_S4_PT_PS8_iiii
; %bb.0:
	s_clause 0x1
	s_load_u16 s3, s[0:1], 0x3e
	s_load_b128 s[4:7], s[0:1], 0x20
	s_bfe_u32 s2, ttmp6, 0x4000c
	s_and_b32 s8, ttmp6, 15
	s_add_co_i32 s2, s2, 1
	v_bfe_u32 v1, v0, 10, 10
	s_mul_i32 s2, ttmp9, s2
	s_delay_alu instid0(SALU_CYCLE_1) | instskip(SKIP_1) | instid1(SALU_CYCLE_1)
	s_add_co_i32 s8, s8, s2
	s_getreg_b32 s2, hwreg(HW_REG_IB_STS2, 6, 4)
	s_cmp_eq_u32 s2, 0
	s_cselect_b32 s8, ttmp9, s8
	s_wait_kmcnt 0x0
	v_mad_u32 v14, s8, s3, v1
	s_mov_b32 s3, exec_lo
	s_delay_alu instid0(VALU_DEP_1)
	v_cmpx_gt_u32_e64 s6, v14
	s_cbranch_execz .LBB292_7
; %bb.1:
	s_load_b64 s[8:9], s[0:1], 0x10
	s_bfe_u32 s3, ttmp6, 0x40014
	s_lshr_b32 s10, ttmp7, 16
	s_add_co_i32 s3, s3, 1
	s_bfe_u32 s11, ttmp6, 0x40008
	s_mul_i32 s3, s10, s3
	v_bfe_u32 v16, v0, 3, 7
	s_add_co_i32 s11, s11, s3
	s_cmp_eq_u32 s2, 0
	v_and_b32_e32 v15, 0x3ff, v0
	s_cselect_b32 s10, s10, s11
	s_ashr_i32 s2, s5, 31
	v_mov_b32_e32 v18, 0
	s_lshr_b32 s2, s2, 24
	s_mov_b32 s11, exec_lo
	s_add_co_i32 s2, s5, s2
	s_delay_alu instid0(SALU_CYCLE_1) | instskip(NEXT) | instid1(SALU_CYCLE_1)
	s_ashr_i32 s12, s2, 8
	v_cmpx_gt_u32_e64 s12, v16
	s_cbranch_execz .LBB292_5
; %bb.2:
	s_load_b64 s[2:3], s[0:1], 0x18
	s_cvt_f32_u32 s5, s4
	v_dual_mov_b32 v9, 0 :: v_dual_bitop2_b32 v1, 7, v15 bitop3:0x40
	v_mul_lo_u32 v17, v14, s12
	s_delay_alu instid0(SALU_CYCLE_1) | instskip(SKIP_4) | instid1(TRANS32_DEP_1)
	v_rcp_iflag_f32_e32 v0, s5
	v_lshlrev_b32_e32 v2, 2, v15
	v_bfe_u32 v8, v15, 1, 2
	v_dual_lshlrev_b32 v21, 3, v16 :: v_dual_mov_b32 v13, v9
	v_dual_lshlrev_b32 v20, 1, v1 :: v_dual_mov_b32 v18, v9
	v_readfirstlane_b32 s5, v0
	v_dual_lshlrev_b32 v0, 2, v1 :: v_dual_bitop2_b32 v19, 4, v2 bitop3:0x40
	s_delay_alu instid0(VALU_DEP_1) | instskip(SKIP_4) | instid1(SALU_CYCLE_3)
	v_lshlrev_b32_e32 v12, 2, v0
	s_wait_kmcnt 0x0
	s_load_b32 s13, s[2:3], s10 offset:0x0 scale_offset
	s_wait_xcnt 0x0
	s_mul_f32 s2, s5, 0x4f7ffffe
	s_cvt_u32_f32 s5, s2
	s_sub_co_i32 s2, 0, s4
	s_delay_alu instid0(SALU_CYCLE_2) | instskip(NEXT) | instid1(SALU_CYCLE_1)
	s_mul_i32 s2, s2, s5
	s_mul_hi_u32 s14, s5, s2
	s_load_b128 s[0:3], s[0:1], 0x0
	s_add_co_i32 s5, s5, s14
	s_mul_i32 s14, s12, s6
	s_mul_hi_u32 s16, s10, s5
	s_mov_b32 s5, 0
	s_mul_i32 s15, s16, s4
	s_add_co_i32 s17, s16, 1
	s_sub_co_i32 s18, s10, s15
	s_wait_kmcnt 0x0
	s_mul_i32 s14, s14, s13
	s_sub_co_i32 s13, s18, s4
	s_ashr_i32 s15, s14, 31
	s_cmp_ge_u32 s18, s4
	s_mul_u64 s[14:15], s[14:15], 0x88
	s_cselect_b32 s16, s17, s16
	s_cselect_b32 s13, s13, s18
	s_add_co_i32 s17, s16, 1
	s_cmp_ge_u32 s13, s4
	s_cselect_b32 s4, s17, s16
	s_add_nc_u64 s[0:1], s[0:1], s[14:15]
	s_mul_i32 s4, s4, s7
	s_delay_alu instid0(SALU_CYCLE_1) | instskip(NEXT) | instid1(SALU_CYCLE_1)
	s_lshl_b64 s[16:17], s[4:5], 2
	s_add_nc_u64 s[2:3], s[2:3], s[16:17]
	s_delay_alu instid0(SALU_CYCLE_1)
	v_mad_nc_u64_u32 v[10:11], v1, 36, s[2:3]
	s_get_pc_i64 s[2:3]
	s_add_nc_u64 s[2:3], s[2:3], _ZL13kvalues_iq4nl@rel64+4
.LBB292_3:                              ; =>This Inner Loop Header: Depth=1
	v_add_nc_u32_e32 v0, v17, v16
	s_delay_alu instid0(VALU_DEP_2) | instskip(SKIP_1) | instid1(VALU_DEP_3)
	v_mad_nc_i64_i32 v[28:29], v21, 36, v[10:11]
	v_dual_add_nc_u32 v16, 4, v16 :: v_dual_add_nc_u32 v21, 32, v21
	v_mad_nc_i64_i32 v[26:27], 0x88, v0, s[0:1]
	s_delay_alu instid0(VALU_DEP_2) | instskip(SKIP_1) | instid1(VALU_DEP_2)
	v_cmp_le_u32_e32 vcc_lo, s12, v16
	s_or_b32 s5, vcc_lo, s5
	v_add_nc_u64_e32 v[0:1], v[26:27], v[12:13]
	v_add_nc_u64_e32 v[2:3], v[26:27], v[8:9]
	s_clause 0x1
	global_load_b128 v[22:25], v[0:1], off offset:8
	global_load_u8 v30, v[2:3], off offset:4
	s_clause 0x2
	global_load_b32 v31, v[28:29], off
	global_load_b128 v[0:3], v[28:29], off offset:4
	global_load_b128 v[4:7], v[28:29], off offset:20
	global_load_b32 v32, v[26:27], off
	s_wait_loadcnt 0x5
	s_wait_xcnt 0x0
	v_and_b32_e32 v27, 15, v22
	v_bfe_u32 v28, v22, 8, 4
	v_bfe_u32 v29, v22, 16, 4
	;; [unrolled: 1-line block ×5, first 2 shown]
	v_dual_lshrrev_b32 v34, 28, v22 :: v_dual_bitop2_b32 v37, 15, v23 bitop3:0x40
	v_bfe_u32 v22, v22, 12, 4
	v_bfe_u32 v36, v23, 24, 4
	;; [unrolled: 1-line block ×5, first 2 shown]
	v_dual_lshrrev_b32 v41, 28, v23 :: v_dual_bitop2_b32 v44, 15, v24 bitop3:0x40
	v_bfe_u32 v42, v23, 4, 4
	v_bfe_u32 v23, v23, 12, 4
	;; [unrolled: 1-line block ×6, first 2 shown]
	v_dual_lshrrev_b32 v48, 28, v24 :: v_dual_bitop2_b32 v51, 15, v25 bitop3:0x40
	v_bfe_u32 v49, v24, 4, 4
	v_bfe_u32 v24, v24, 12, 4
	v_bfe_u32 v50, v25, 24, 4
	v_bfe_u32 v52, v25, 8, 4
	v_bfe_u32 v53, v25, 16, 4
	v_bfe_u32 v54, v25, 20, 4
	v_lshrrev_b32_e32 v55, 28, v25
	v_bfe_u32 v56, v25, 4, 4
	v_bfe_u32 v25, v25, 12, 4
	s_clause 0x1f
	global_load_i8 v57, v27, s[2:3]
	global_load_i8 v58, v28, s[2:3]
	global_load_i8 v59, v29, s[2:3]
	global_load_i8 v60, v35, s[2:3]
	global_load_i8 v61, v22, s[2:3]
	global_load_i8 v62, v33, s[2:3]
	global_load_i8 v63, v34, s[2:3]
	; meta instruction
	; meta instruction
	; meta instruction
	; meta instruction
	; meta instruction
	; meta instruction
	; meta instruction
	global_load_i8 v22, v26, s[2:3]
	global_load_i8 v27, v37, s[2:3]
	global_load_i8 v28, v38, s[2:3]
	global_load_i8 v29, v39, s[2:3]
	global_load_i8 v33, v42, s[2:3]
	global_load_i8 v34, v23, s[2:3]
	global_load_i8 v35, v40, s[2:3]
	; meta instruction
	; meta instruction
	; meta instruction
	; meta instruction
	; meta instruction
	; meta instruction
	; meta instruction
	;; [unrolled: 14-line block ×4, first 2 shown]
	global_load_i8 v25, v54, s[2:3]
	global_load_i8 v43, v55, s[2:3]
	;; [unrolled: 1-line block ×4, first 2 shown]
	s_wait_loadcnt 0x20
	s_wait_xcnt 0x1
	v_lshrrev_b32_e32 v50, 16, v32
	v_bfe_u32 v30, v30, v19, 4
	v_perm_b32 v0, v0, v0, 0x3020001
	v_perm_b32 v4, v4, v4, 0x3020001
	s_wait_loadcnt 0x1b
	v_perm_b32 v51, v60, v61, 0xc0c0400
	s_wait_loadcnt 0x19
	;; [unrolled: 2-line block ×7, first 2 shown]
	v_perm_b32 v26, v26, v29, 0x4000c0c
	v_lshrrev_b32_e32 v50, v20, v50
	s_wait_loadcnt 0xe
	v_perm_b32 v29, v38, v37, 0xc0c0400
	v_or_b32_e32 v37, v52, v51
	v_or_b32_e32 v23, v23, v28
	v_dual_lshlrev_b32 v50, 4, v50 :: v_dual_bitop2_b32 v26, v26, v27 bitop3:0x54
	s_wait_loadcnt 0xb
	v_perm_b32 v34, v42, v40, 0xc0c0400
	v_dot4_i32_iu8 v4, v4, v37, 0 neg_lo:[1,1,0]
	s_delay_alu instid0(VALU_DEP_3)
	v_and_or_b32 v30, v50, 48, v30
	v_perm_b32 v50, v57, v58, 0xc0c0400
	s_wait_loadcnt 0x9
	v_perm_b32 v24, v36, v24, 0x4000c0c
	s_wait_loadcnt 0x8
	v_perm_b32 v33, v41, v39, 0x4000c0c
	v_or_b32_e32 v22, v22, v50
	s_wait_loadcnt 0x6
	v_perm_b32 v35, v45, v44, 0xc0c0400
	v_or_b32_e32 v24, v24, v34
	s_delay_alu instid0(VALU_DEP_3) | instskip(NEXT) | instid1(VALU_DEP_1)
	v_dot4_i32_iu8 v0, v0, v22, 0 neg_lo:[1,1,0]
	v_dot4_i32_iu8 v0, v1, v26, v0 neg_lo:[1,1,0]
	;; [unrolled: 1-line block ×3, first 2 shown]
	v_subrev_nc_u32_e32 v4, 32, v30
	s_wait_loadcnt 0x1
	v_perm_b32 v36, v47, v46, 0x4000c0c
	s_wait_loadcnt 0x0
	v_perm_b32 v38, v49, v48, 0xc0c0400
	v_perm_b32 v22, v43, v25, 0x4000c0c
	v_dot4_i32_iu8 v1, v6, v24, v1 neg_lo:[1,1,0]
	v_cvt_f32_i32_e32 v4, v4
	v_or_b32_e32 v25, v33, v29
	v_or_b32_e32 v5, v36, v35
	;; [unrolled: 1-line block ×3, first 2 shown]
	s_delay_alu instid0(VALU_DEP_3) | instskip(SKIP_1) | instid1(VALU_DEP_3)
	v_dot4_i32_iu8 v0, v2, v25, v0 neg_lo:[1,1,0]
	v_cvt_f32_f16_e32 v2, v32
	v_dot4_i32_iu8 v1, v7, v22, v1 neg_lo:[1,1,0]
	s_delay_alu instid0(VALU_DEP_3) | instskip(SKIP_1) | instid1(VALU_DEP_4)
	v_dot4_i32_iu8 v0, v3, v5, v0 neg_lo:[1,1,0]
	v_cvt_f32_f16_e32 v3, v31
	v_mul_f32_e32 v2, v2, v4
	s_delay_alu instid0(VALU_DEP_1) | instskip(NEXT) | instid1(VALU_DEP_1)
	v_dual_mul_f32 v1, v2, v3 :: v_dual_add_nc_u32 v0, v1, v0
	v_cvt_f32_i32_e32 v0, v0
	s_delay_alu instid0(VALU_DEP_1)
	v_fmac_f32_e32 v18, v1, v0
	s_and_not1_b32 exec_lo, exec_lo, s5
	s_cbranch_execnz .LBB292_3
; %bb.4:
	s_or_b32 exec_lo, exec_lo, s5
.LBB292_5:
	s_delay_alu instid0(SALU_CYCLE_1) | instskip(SKIP_1) | instid1(VALU_DEP_1)
	s_or_b32 exec_lo, exec_lo, s11
	v_mbcnt_lo_u32_b32 v0, -1, 0
	v_xor_b32_e32 v2, 8, v0
	v_xor_b32_e32 v1, 16, v0
	;; [unrolled: 1-line block ×3, first 2 shown]
	s_delay_alu instid0(VALU_DEP_2) | instskip(SKIP_4) | instid1(VALU_DEP_2)
	v_cmp_gt_i32_e32 vcc_lo, 32, v1
	v_cndmask_b32_e32 v1, v0, v1, vcc_lo
	v_cmp_gt_i32_e32 vcc_lo, 32, v2
	v_cndmask_b32_e32 v2, v0, v2, vcc_lo
	v_cmp_gt_i32_e32 vcc_lo, 32, v3
	v_dual_lshlrev_b32 v2, 2, v2 :: v_dual_lshlrev_b32 v1, 2, v1
	ds_bpermute_b32 v1, v1, v18
	s_wait_dscnt 0x0
	v_add_f32_e32 v1, v18, v1
	ds_bpermute_b32 v2, v2, v1
	s_wait_dscnt 0x0
	v_dual_cndmask_b32 v3, v0, v3, vcc_lo :: v_dual_add_f32 v1, v1, v2
	s_delay_alu instid0(VALU_DEP_1) | instskip(SKIP_3) | instid1(VALU_DEP_1)
	v_lshlrev_b32_e32 v3, 2, v3
	ds_bpermute_b32 v2, v3, v1
	s_wait_dscnt 0x0
	v_dual_add_f32 v1, v1, v2 :: v_dual_bitop2_b32 v3, 2, v0 bitop3:0x14
	v_cmp_gt_i32_e32 vcc_lo, 32, v3
	v_cndmask_b32_e32 v3, v0, v3, vcc_lo
	s_delay_alu instid0(VALU_DEP_1) | instskip(SKIP_2) | instid1(VALU_DEP_1)
	v_lshlrev_b32_e32 v3, 2, v3
	ds_bpermute_b32 v2, v3, v1
	v_xor_b32_e32 v3, 1, v0
	v_cmp_gt_i32_e32 vcc_lo, 32, v3
	v_cndmask_b32_e32 v3, v0, v3, vcc_lo
	v_cmp_eq_u32_e32 vcc_lo, 0, v15
	s_wait_dscnt 0x0
	s_delay_alu instid0(VALU_DEP_2)
	v_dual_add_f32 v0, v1, v2 :: v_dual_lshlrev_b32 v1, 2, v3
	ds_bpermute_b32 v1, v1, v0
	s_and_b32 exec_lo, exec_lo, vcc_lo
	s_cbranch_execz .LBB292_7
; %bb.6:
	s_wait_dscnt 0x0
	v_add_f32_e32 v0, v0, v1
	v_mad_u32 v2, s6, s10, v14
	s_delay_alu instid0(VALU_DEP_2) | instskip(NEXT) | instid1(VALU_DEP_1)
	v_bfe_u32 v1, v0, 16, 1
	v_add3_u32 v1, v0, v1, 0x7fff
	s_delay_alu instid0(VALU_DEP_1) | instskip(SKIP_1) | instid1(VALU_DEP_2)
	v_lshrrev_b32_e32 v1, 16, v1
	v_cmp_o_f32_e32 vcc_lo, v0, v0
	v_cndmask_b32_e32 v0, 0x7fc0, v1, vcc_lo
	s_wait_kmcnt 0x0
	global_store_b16 v2, v0, s[8:9] scale_offset
.LBB292_7:
	s_endpgm
	.section	.rodata,"a",@progbits
	.p2align	6, 0x0
	.amdhsa_kernel _ZL9moe_vec_qIN3c108BFloat16ELi256ELi8E12block_iq4_xsLi1EXadL_ZL19vec_dot_iq4_xs_q8_1PKvPK10block_q8_1RKiEEEvS4_S4_PT_PS8_iiii
		.amdhsa_group_segment_fixed_size 0
		.amdhsa_private_segment_fixed_size 0
		.amdhsa_kernarg_size 304
		.amdhsa_user_sgpr_count 2
		.amdhsa_user_sgpr_dispatch_ptr 0
		.amdhsa_user_sgpr_queue_ptr 0
		.amdhsa_user_sgpr_kernarg_segment_ptr 1
		.amdhsa_user_sgpr_dispatch_id 0
		.amdhsa_user_sgpr_kernarg_preload_length 0
		.amdhsa_user_sgpr_kernarg_preload_offset 0
		.amdhsa_user_sgpr_private_segment_size 0
		.amdhsa_wavefront_size32 1
		.amdhsa_uses_dynamic_stack 0
		.amdhsa_enable_private_segment 0
		.amdhsa_system_sgpr_workgroup_id_x 1
		.amdhsa_system_sgpr_workgroup_id_y 0
		.amdhsa_system_sgpr_workgroup_id_z 1
		.amdhsa_system_sgpr_workgroup_info 0
		.amdhsa_system_vgpr_workitem_id 1
		.amdhsa_next_free_vgpr 64
		.amdhsa_next_free_sgpr 19
		.amdhsa_named_barrier_count 0
		.amdhsa_reserve_vcc 1
		.amdhsa_float_round_mode_32 0
		.amdhsa_float_round_mode_16_64 0
		.amdhsa_float_denorm_mode_32 3
		.amdhsa_float_denorm_mode_16_64 3
		.amdhsa_fp16_overflow 0
		.amdhsa_memory_ordered 1
		.amdhsa_forward_progress 1
		.amdhsa_inst_pref_size 16
		.amdhsa_round_robin_scheduling 0
		.amdhsa_exception_fp_ieee_invalid_op 0
		.amdhsa_exception_fp_denorm_src 0
		.amdhsa_exception_fp_ieee_div_zero 0
		.amdhsa_exception_fp_ieee_overflow 0
		.amdhsa_exception_fp_ieee_underflow 0
		.amdhsa_exception_fp_ieee_inexact 0
		.amdhsa_exception_int_div_zero 0
	.end_amdhsa_kernel
	.section	.text._ZL9moe_vec_qIN3c108BFloat16ELi256ELi8E12block_iq4_xsLi1EXadL_ZL19vec_dot_iq4_xs_q8_1PKvPK10block_q8_1RKiEEEvS4_S4_PT_PS8_iiii,"axG",@progbits,_ZL9moe_vec_qIN3c108BFloat16ELi256ELi8E12block_iq4_xsLi1EXadL_ZL19vec_dot_iq4_xs_q8_1PKvPK10block_q8_1RKiEEEvS4_S4_PT_PS8_iiii,comdat
.Lfunc_end292:
	.size	_ZL9moe_vec_qIN3c108BFloat16ELi256ELi8E12block_iq4_xsLi1EXadL_ZL19vec_dot_iq4_xs_q8_1PKvPK10block_q8_1RKiEEEvS4_S4_PT_PS8_iiii, .Lfunc_end292-_ZL9moe_vec_qIN3c108BFloat16ELi256ELi8E12block_iq4_xsLi1EXadL_ZL19vec_dot_iq4_xs_q8_1PKvPK10block_q8_1RKiEEEvS4_S4_PT_PS8_iiii
                                        ; -- End function
	.set _ZL9moe_vec_qIN3c108BFloat16ELi256ELi8E12block_iq4_xsLi1EXadL_ZL19vec_dot_iq4_xs_q8_1PKvPK10block_q8_1RKiEEEvS4_S4_PT_PS8_iiii.num_vgpr, 64
	.set _ZL9moe_vec_qIN3c108BFloat16ELi256ELi8E12block_iq4_xsLi1EXadL_ZL19vec_dot_iq4_xs_q8_1PKvPK10block_q8_1RKiEEEvS4_S4_PT_PS8_iiii.num_agpr, 0
	.set _ZL9moe_vec_qIN3c108BFloat16ELi256ELi8E12block_iq4_xsLi1EXadL_ZL19vec_dot_iq4_xs_q8_1PKvPK10block_q8_1RKiEEEvS4_S4_PT_PS8_iiii.numbered_sgpr, 19
	.set _ZL9moe_vec_qIN3c108BFloat16ELi256ELi8E12block_iq4_xsLi1EXadL_ZL19vec_dot_iq4_xs_q8_1PKvPK10block_q8_1RKiEEEvS4_S4_PT_PS8_iiii.num_named_barrier, 0
	.set _ZL9moe_vec_qIN3c108BFloat16ELi256ELi8E12block_iq4_xsLi1EXadL_ZL19vec_dot_iq4_xs_q8_1PKvPK10block_q8_1RKiEEEvS4_S4_PT_PS8_iiii.private_seg_size, 0
	.set _ZL9moe_vec_qIN3c108BFloat16ELi256ELi8E12block_iq4_xsLi1EXadL_ZL19vec_dot_iq4_xs_q8_1PKvPK10block_q8_1RKiEEEvS4_S4_PT_PS8_iiii.uses_vcc, 1
	.set _ZL9moe_vec_qIN3c108BFloat16ELi256ELi8E12block_iq4_xsLi1EXadL_ZL19vec_dot_iq4_xs_q8_1PKvPK10block_q8_1RKiEEEvS4_S4_PT_PS8_iiii.uses_flat_scratch, 0
	.set _ZL9moe_vec_qIN3c108BFloat16ELi256ELi8E12block_iq4_xsLi1EXadL_ZL19vec_dot_iq4_xs_q8_1PKvPK10block_q8_1RKiEEEvS4_S4_PT_PS8_iiii.has_dyn_sized_stack, 0
	.set _ZL9moe_vec_qIN3c108BFloat16ELi256ELi8E12block_iq4_xsLi1EXadL_ZL19vec_dot_iq4_xs_q8_1PKvPK10block_q8_1RKiEEEvS4_S4_PT_PS8_iiii.has_recursion, 0
	.set _ZL9moe_vec_qIN3c108BFloat16ELi256ELi8E12block_iq4_xsLi1EXadL_ZL19vec_dot_iq4_xs_q8_1PKvPK10block_q8_1RKiEEEvS4_S4_PT_PS8_iiii.has_indirect_call, 0
	.section	.AMDGPU.csdata,"",@progbits
; Kernel info:
; codeLenInByte = 2020
; TotalNumSgprs: 21
; NumVgprs: 64
; ScratchSize: 0
; MemoryBound: 0
; FloatMode: 240
; IeeeMode: 1
; LDSByteSize: 0 bytes/workgroup (compile time only)
; SGPRBlocks: 0
; VGPRBlocks: 3
; NumSGPRsForWavesPerEU: 21
; NumVGPRsForWavesPerEU: 64
; NamedBarCnt: 0
; Occupancy: 16
; WaveLimiterHint : 1
; COMPUTE_PGM_RSRC2:SCRATCH_EN: 0
; COMPUTE_PGM_RSRC2:USER_SGPR: 2
; COMPUTE_PGM_RSRC2:TRAP_HANDLER: 0
; COMPUTE_PGM_RSRC2:TGID_X_EN: 1
; COMPUTE_PGM_RSRC2:TGID_Y_EN: 0
; COMPUTE_PGM_RSRC2:TGID_Z_EN: 1
; COMPUTE_PGM_RSRC2:TIDIG_COMP_CNT: 1
	.section	.text._ZL9moe_vec_qIN3c108BFloat16ELi256ELi8E11block_iq1_mLi1EXadL_ZL18vec_dot_iq1_m_q8_1PKvPK10block_q8_1RKiEEEvS4_S4_PT_PS8_iiii,"axG",@progbits,_ZL9moe_vec_qIN3c108BFloat16ELi256ELi8E11block_iq1_mLi1EXadL_ZL18vec_dot_iq1_m_q8_1PKvPK10block_q8_1RKiEEEvS4_S4_PT_PS8_iiii,comdat
	.globl	_ZL9moe_vec_qIN3c108BFloat16ELi256ELi8E11block_iq1_mLi1EXadL_ZL18vec_dot_iq1_m_q8_1PKvPK10block_q8_1RKiEEEvS4_S4_PT_PS8_iiii ; -- Begin function _ZL9moe_vec_qIN3c108BFloat16ELi256ELi8E11block_iq1_mLi1EXadL_ZL18vec_dot_iq1_m_q8_1PKvPK10block_q8_1RKiEEEvS4_S4_PT_PS8_iiii
	.p2align	8
	.type	_ZL9moe_vec_qIN3c108BFloat16ELi256ELi8E11block_iq1_mLi1EXadL_ZL18vec_dot_iq1_m_q8_1PKvPK10block_q8_1RKiEEEvS4_S4_PT_PS8_iiii,@function
_ZL9moe_vec_qIN3c108BFloat16ELi256ELi8E11block_iq1_mLi1EXadL_ZL18vec_dot_iq1_m_q8_1PKvPK10block_q8_1RKiEEEvS4_S4_PT_PS8_iiii: ; @_ZL9moe_vec_qIN3c108BFloat16ELi256ELi8E11block_iq1_mLi1EXadL_ZL18vec_dot_iq1_m_q8_1PKvPK10block_q8_1RKiEEEvS4_S4_PT_PS8_iiii
; %bb.0:
	s_clause 0x1
	s_load_u16 s3, s[0:1], 0x3e
	s_load_b128 s[4:7], s[0:1], 0x20
	s_bfe_u32 s2, ttmp6, 0x4000c
	s_and_b32 s8, ttmp6, 15
	s_add_co_i32 s2, s2, 1
	v_bfe_u32 v1, v0, 10, 10
	s_mul_i32 s2, ttmp9, s2
	s_delay_alu instid0(SALU_CYCLE_1) | instskip(SKIP_1) | instid1(SALU_CYCLE_1)
	s_add_co_i32 s8, s8, s2
	s_getreg_b32 s2, hwreg(HW_REG_IB_STS2, 6, 4)
	s_cmp_eq_u32 s2, 0
	s_cselect_b32 s8, ttmp9, s8
	s_wait_kmcnt 0x0
	v_mad_u32 v20, s8, s3, v1
	s_mov_b32 s3, exec_lo
	s_delay_alu instid0(VALU_DEP_1)
	v_cmpx_gt_u32_e64 s6, v20
	s_cbranch_execz .LBB293_7
; %bb.1:
	s_load_b64 s[8:9], s[0:1], 0x10
	s_bfe_u32 s3, ttmp6, 0x40014
	s_lshr_b32 s10, ttmp7, 16
	s_add_co_i32 s3, s3, 1
	s_bfe_u32 s11, ttmp6, 0x40008
	s_mul_i32 s3, s10, s3
	v_bfe_u32 v22, v0, 3, 7
	s_add_co_i32 s11, s11, s3
	s_cmp_eq_u32 s2, 0
	v_and_b32_e32 v21, 0x3ff, v0
	s_cselect_b32 s11, s10, s11
	s_ashr_i32 s2, s5, 31
	v_mov_b32_e32 v24, 0
	s_lshr_b32 s2, s2, 24
	s_mov_b32 s12, exec_lo
	s_add_co_i32 s2, s5, s2
	s_delay_alu instid0(SALU_CYCLE_1) | instskip(NEXT) | instid1(SALU_CYCLE_1)
	s_ashr_i32 s13, s2, 8
	v_cmpx_gt_u32_e64 s13, v22
	s_cbranch_execz .LBB293_5
; %bb.2:
	s_load_b64 s[2:3], s[0:1], 0x18
	s_cvt_f32_u32 s5, s4
	s_mul_i32 s15, s13, s6
	v_mul_lo_u32 v23, v20, s13
	v_bfe_u32 v2, v21, 1, 2
	v_rcp_iflag_f32_e32 v0, s5
	s_delay_alu instid0(VALU_DEP_1) | instskip(NEXT) | instid1(VALU_DEP_1)
	v_dual_mov_b32 v9, 0 :: v_dual_lshlrev_b32 v14, 1, v2
	v_mov_b32_e32 v13, v9
	s_delay_alu instid0(TRANS32_DEP_1) | instskip(SKIP_3) | instid1(VALU_DEP_3)
	v_readfirstlane_b32 s5, v0
	v_and_b32_e32 v0, 7, v21
	v_dual_lshlrev_b32 v26, 3, v22 :: v_dual_bitop2_b32 v1, 1, v21 bitop3:0x40
	v_dual_mov_b32 v15, v9 :: v_dual_mov_b32 v24, v9
	v_lshlrev_b32_e32 v8, 1, v0
	s_delay_alu instid0(VALU_DEP_3)
	v_cmp_eq_u32_e32 vcc_lo, 1, v1
	s_wait_kmcnt 0x0
	s_load_b32 s10, s[2:3], s11 offset:0x0 scale_offset
	s_wait_xcnt 0x0
	s_mul_f32 s2, s5, 0x4f7ffffe
	s_sub_co_i32 s5, 0, s4
	v_lshlrev_b32_e32 v12, 2, v0
	v_cndmask_b32_e64 v25, 0, 6, vcc_lo
	s_cvt_u32_f32 s14, s2
	s_load_b128 s[0:3], s[0:1], 0x0
	s_delay_alu instid0(SALU_CYCLE_2) | instskip(NEXT) | instid1(SALU_CYCLE_1)
	s_mul_i32 s5, s5, s14
	s_mul_hi_u32 s16, s14, s5
	s_mov_b32 s5, 0
	s_add_co_i32 s14, s14, s16
	s_delay_alu instid0(SALU_CYCLE_1) | instskip(NEXT) | instid1(SALU_CYCLE_1)
	s_mul_hi_u32 s16, s11, s14
	s_mul_i32 s14, s16, s4
	s_add_co_i32 s17, s16, 1
	s_sub_co_i32 s18, s11, s14
	s_wait_kmcnt 0x0
	s_mul_i32 s14, s15, s10
	s_sub_co_i32 s10, s18, s4
	s_ashr_i32 s15, s14, 31
	s_cmp_ge_u32 s18, s4
	s_mul_u64 s[14:15], s[14:15], 56
	s_cselect_b32 s16, s17, s16
	s_cselect_b32 s10, s10, s18
	s_add_co_i32 s17, s16, 1
	s_cmp_ge_u32 s10, s4
	s_add_nc_u64 s[0:1], s[0:1], s[14:15]
	s_cselect_b32 s4, s17, s16
	s_mov_b32 s10, 0xbf600000
	s_mul_i32 s4, s4, s7
	s_delay_alu instid0(SALU_CYCLE_1) | instskip(SKIP_2) | instid1(SALU_CYCLE_1)
	s_lshl_b64 s[16:17], s[4:5], 2
	s_mov_b32 s4, 0x3d000000
	s_add_nc_u64 s[2:3], s[2:3], s[16:17]
	v_mad_nc_u64_u32 v[10:11], v0, 36, s[2:3]
	s_get_pc_i64 s[2:3]
	s_add_nc_u64 s[2:3], s[2:3], _ZL13iq1s_grid_gpu@rel64+4
.LBB293_3:                              ; =>This Inner Loop Header: Depth=1
	v_add_nc_u32_e32 v0, v23, v22
	s_delay_alu instid0(VALU_DEP_2) | instskip(SKIP_2) | instid1(VALU_DEP_4)
	v_mad_nc_i64_i32 v[16:17], v26, 36, v[10:11]
	v_add_nc_u32_e32 v22, 4, v22
	v_add_nc_u32_e32 v26, 32, v26
	v_mad_nc_i64_i32 v[18:19], v0, 56, s[0:1]
	s_delay_alu instid0(VALU_DEP_3) | instskip(NEXT) | instid1(VALU_DEP_2)
	v_cmp_le_u32_e32 vcc_lo, s13, v22
	v_add_nc_u64_e32 v[0:1], v[18:19], v[8:9]
	v_add_nc_u64_e32 v[2:3], v[18:19], v[12:13]
	s_clause 0x1
	global_load_u16 v27, v[0:1], off offset:32
	global_load_b32 v32, v[2:3], off
	v_add_nc_u64_e32 v[28:29], v[18:19], v[14:15]
	s_clause 0x1
	global_load_b128 v[0:3], v[16:17], off offset:4
	global_load_b128 v[4:7], v[16:17], off offset:20
	s_clause 0x1
	global_load_b64 v[30:31], v[18:19], off offset:48
	global_load_u16 v33, v[28:29], off offset:48
	s_wait_loadcnt 0x5
	s_wait_xcnt 0x1
	v_lshrrev_b16 v19, 8, v27
	s_wait_loadcnt 0x4
	s_wait_xcnt 0x0
	v_and_b32_e32 v28, 0xff, v32
	v_dual_lshlrev_b32 v29, 8, v27 :: v_dual_lshlrev_b32 v35, 4, v27
	v_bfe_u32 v34, v32, 8, 8
	v_and_b32_e32 v19, 0xffff, v19
	v_lshrrev_b32_e32 v18, 24, v32
	v_bfe_u32 v32, v32, 16, 8
	v_and_or_b32 v28, 0x700, v29, v28
	v_and_or_b32 v29, 0x700, v35, v34
	v_dual_lshlrev_b32 v34, 8, v19 :: v_dual_lshlrev_b32 v35, 4, v19
	s_wait_loadcnt 0x3
	v_bfe_i32 v39, v0, 0, 8
	s_delay_alu instid0(VALU_DEP_3) | instskip(NEXT) | instid1(VALU_DEP_3)
	v_dual_lshlrev_b32 v28, 3, v28 :: v_dual_lshlrev_b32 v29, 3, v29
	v_and_or_b32 v32, 0x700, v34, v32
	v_and_or_b32 v18, 0x700, v35, v18
	s_clause 0x1
	global_load_b32 v34, v28, s[2:3]
	global_load_b32 v35, v29, s[2:3]
	v_dual_ashrrev_i32 v42, 24, v2 :: v_dual_ashrrev_i32 v45, 24, v3
	s_wait_xcnt 0x1
	v_dual_lshlrev_b32 v28, 3, v32 :: v_dual_lshlrev_b32 v18, 3, v18
	s_clause 0x1
	global_load_b32 v29, v28, s[2:3]
	global_load_b32 v32, v18, s[2:3]
	global_load_b32 v36, v[16:17], off
	s_wait_xcnt 0x0
	v_lshrrev_b16 v16, 8, v0
	v_lshrrev_b16 v28, 8, v3
	;; [unrolled: 1-line block ×3, first 2 shown]
	v_bfe_i32 v43, v2, 0, 8
	v_bfe_i32 v44, v2, 16, 8
	;; [unrolled: 1-line block ×4, first 2 shown]
	s_wait_loadcnt 0x7
	v_lshrrev_b16 v2, 8, v4
	v_lshrrev_b16 v3, 8, v5
	v_bfe_i32 v16, v16, 0, 8
	v_bfe_i32 v28, v28, 0, 8
	v_lshrrev_b16 v17, 8, v1
	v_dual_ashrrev_i32 v37, 24, v0 :: v_dual_ashrrev_i32 v40, 24, v1
	v_bfe_i32 v38, v0, 16, 8
	v_dual_ashrrev_i32 v50, 24, v4 :: v_dual_ashrrev_i32 v53, 24, v5
	v_bfe_i32 v51, v4, 16, 8
	v_bfe_i32 v52, v4, 0, 8
	;; [unrolled: 1-line block ×5, first 2 shown]
	v_bfe_u32 v4, v27, 4, 4
	v_and_b32_e32 v5, 0xff, v27
	v_add_nc_u32_e32 v3, v16, v39
	v_bfe_i32 v41, v1, 16, 8
	v_bfe_i32 v1, v1, 0, 8
	;; [unrolled: 1-line block ×4, first 2 shown]
	v_and_b32_e32 v4, 8, v4
	v_and_b32_e32 v5, 8, v5
	v_add3_u32 v3, v3, v38, v37
	v_lshrrev_b16 v48, 8, v6
	v_lshrrev_b16 v49, 8, v7
	v_dual_ashrrev_i32 v56, 24, v6 :: v_dual_ashrrev_i32 v59, 24, v7
	v_bfe_i32 v57, v6, 0, 8
	v_bfe_i32 v58, v6, 16, 8
	;; [unrolled: 1-line block ×4, first 2 shown]
	v_add3_u32 v7, v3, v17, v1
	v_cvt_f32_ubyte0_e32 v3, v4
	v_bfe_i32 v49, v49, 0, 8
	v_bfe_i32 v48, v48, 0, 8
	s_wait_loadcnt 0x5
	v_lshrrev_b32_e32 v27, v25, v33
	s_wait_loadcnt 0x0
	v_cvt_f32_f16_e32 v0, v36
	v_bfe_i32 v36, v2, 0, 8
	v_add_nc_u32_e32 v2, v28, v43
	s_delay_alu instid0(VALU_DEP_1) | instskip(NEXT) | instid1(VALU_DEP_1)
	v_add3_u32 v2, v2, v47, v46
	v_add3_u32 v6, v2, v45, v18
	v_cvt_f32_ubyte0_e32 v2, v5
	s_delay_alu instid0(VALU_DEP_2) | instskip(SKIP_1) | instid1(VALU_DEP_3)
	v_add3_u32 v4, v6, v44, v42
	v_add3_u32 v6, v7, v41, v40
	v_pk_fma_f32 v[2:3], v[2:3], s[4:5], s[10:11] op_sel_hi:[1,0,0] neg_lo:[1,0,0] neg_hi:[1,0,0]
	v_pk_lshrrev_b16 v7, 4, v31
	v_lshrrev_b32_e32 v31, 28, v34
	v_cvt_f32_i32_e32 v5, v4
	v_cvt_f32_i32_e32 v4, v6
	v_add_nc_u32_e32 v6, v62, v52
	s_delay_alu instid0(VALU_DEP_4) | instskip(SKIP_1) | instid1(VALU_DEP_4)
	v_mul_i32_i24_e32 v31, v31, v40
	v_and_b32_e32 v40, 0xf0000f00, v7
	v_pk_mul_f32 v[2:3], v[2:3], v[4:5]
	v_add_nc_u32_e32 v4, v49, v57
	v_add3_u32 v6, v6, v55, v54
	v_pk_lshrrev_b16 v5, 0x8000c, v30
	v_bfe_u32 v30, v34, 24, 4
	v_lshrrev_b32_e32 v33, 28, v35
	v_add3_u32 v4, v4, v61, v60
	v_add3_u32 v6, v6, v53, v36
	v_dual_lshrrev_b32 v7, 4, v19 :: v_dual_bitop2_b32 v19, 8, v19 bitop3:0x40
	v_mul_i32_i24_e32 v30, v30, v37
	s_delay_alu instid0(VALU_DEP_4)
	v_add3_u32 v4, v4, v59, v48
	v_lshrrev_b32_e32 v37, 16, v5
	v_mul_i32_i24_e32 v33, v33, v45
	v_add3_u32 v6, v6, v51, v50
	v_and_b32_e32 v7, 8, v7
	v_add3_u32 v4, v4, v58, v56
	v_add_f32_e32 v2, 0, v2
	v_add3_u32 v30, v30, v31, v33
	v_bitop3_b16 v33, v37, v5, 0xf0 bitop3:0xec
	v_bfe_u32 v37, v34, 20, 4
	v_cvt_f32_i32_e32 v5, v4
	v_cvt_f32_i32_e32 v4, v6
	v_cvt_f32_ubyte0_e32 v6, v19
	v_bfe_u32 v19, v34, 16, 4
	v_mul_i32_i24_e32 v37, v37, v41
	v_lshrrev_b32_e32 v41, 16, v40
	v_cvt_f32_ubyte0_e32 v7, v7
	v_bfe_u32 v45, v29, 20, 4
	v_mul_i32_i24_e32 v19, v19, v38
	v_bfe_u32 v38, v35, 20, 4
	v_dual_lshlrev_b32 v31, 1, v27 :: v_dual_lshrrev_b32 v27, 2, v27
	v_pk_fma_f32 v[6:7], v[6:7], s[4:5], s[10:11] op_sel_hi:[1,0,0] neg_lo:[1,0,0] neg_hi:[1,0,0]
	v_mul_i32_i24_e32 v45, v45, v54
	s_delay_alu instid0(VALU_DEP_4)
	v_mul_i32_i24_e32 v38, v38, v46
	v_bfe_u32 v46, v32, 24, 4
	v_and_or_b32 v31, v31, 14, 1
	v_pk_mul_f32 v[4:5], v[6:7], v[4:5]
	v_and_or_b32 v27, v27, 14, 1
	v_add3_u32 v19, v19, v37, v38
	v_and_b32_e32 v37, 15, v34
	v_bfe_u32 v38, v34, 4, 4
	v_add_f32_e32 v4, 0, v4
	s_or_b32 s5, vcc_lo, s5
	s_delay_alu instid0(VALU_DEP_3) | instskip(NEXT) | instid1(VALU_DEP_3)
	v_mul_i32_i24_e32 v37, v37, v39
	v_mul_i32_i24_e32 v1, v38, v1
	v_bfe_u32 v38, v35, 4, 4
	v_bfe_u32 v39, v35, 16, 4
	v_add_f32_e32 v4, v4, v5
	s_delay_alu instid0(VALU_DEP_3) | instskip(NEXT) | instid1(VALU_DEP_3)
	v_mul_i32_i24_e32 v38, v38, v47
	v_mad_i32_i24 v19, v44, v39, v19
	v_and_b32_e32 v44, 0xf0f0f0f, v35
	v_lshrrev_b32_e32 v39, 4, v35
	v_and_b32_e32 v47, 0xf0f0f0f, v32
	v_add3_u32 v1, v37, v1, v38
	v_and_b32_e32 v37, 0xf0f0f0f, v34
	v_lshrrev_b32_e32 v34, 4, v34
	v_lshrrev_b16 v44, 8, v44
	v_bfe_u32 v38, v35, 24, 4
	v_lshrrev_b16 v39, 8, v39
	v_and_b32_e32 v35, 15, v35
	v_lshrrev_b16 v34, 8, v34
	v_and_b32_e32 v44, 0xffff, v44
	v_mad_i32_i24 v30, v42, v38, v30
	v_and_b32_e32 v42, 15, v29
	v_lshrrev_b16 v37, 8, v37
	v_and_b32_e32 v34, 15, v34
	v_mul_i32_i24_e32 v18, v18, v44
	v_dual_lshrrev_b32 v44, 28, v29 :: v_dual_bitop2_b32 v39, 15, v39 bitop3:0x40
	v_lshrrev_b32_e32 v38, 4, v29
	v_and_b32_e32 v37, 0xffff, v37
	v_mad_i32_i24 v1, v43, v35, v1
	s_delay_alu instid0(VALU_DEP_4)
	v_mul_i32_i24_e32 v44, v44, v53
	v_lshrrev_b32_e32 v53, 28, v32
	v_mul_i32_i24_e32 v42, v52, v42
	v_lshrrev_b32_e32 v52, 4, v32
	v_and_b32_e32 v43, 0xf0f0f0f, v29
	v_and_b32_e32 v34, 0xffff, v34
	v_lshrrev_b16 v38, 8, v38
	v_bfe_u32 v35, v29, 24, 4
	v_lshrrev_b16 v52, 8, v52
	v_mul_i32_i24_e32 v16, v37, v16
	v_bfe_u32 v37, v29, 16, 4
	v_and_b32_e32 v39, 0xffff, v39
	v_lshrrev_b16 v43, 8, v43
	v_mul_i32_i24_e32 v17, v34, v17
	v_and_b32_e32 v34, 15, v38
	v_and_b32_e32 v38, 15, v52
	v_bfe_u32 v29, v29, 4, 4
	v_mul_i32_i24_e32 v37, v51, v37
	v_mul_i32_i24_e32 v35, v50, v35
	v_bfe_u32 v50, v32, 4, 4
	v_bfe_u32 v51, v32, 20, 4
	v_lshrrev_b16 v47, 8, v47
	v_mul_i32_i24_e32 v53, v53, v59
	v_mul_i32_i24_e32 v28, v39, v28
	v_and_b32_e32 v39, 0xffff, v43
	v_and_b32_e32 v34, 0xffff, v34
	;; [unrolled: 1-line block ×3, first 2 shown]
	v_mul_i32_i24_e32 v29, v29, v55
	v_mul_i32_i24_e32 v50, v50, v61
	;; [unrolled: 1-line block ×3, first 2 shown]
	v_and_b32_e32 v43, 0xffff, v47
	v_add3_u32 v35, v35, v44, v53
	v_add3_u32 v16, v16, v17, v28
	v_mul_i32_i24_e32 v17, v36, v39
	v_mul_i32_i24_e32 v28, v34, v62
	;; [unrolled: 1-line block ×3, first 2 shown]
	v_and_b32_e32 v54, 15, v32
	v_bfe_u32 v32, v32, 16, 4
	v_add3_u32 v29, v42, v29, v50
	v_add3_u32 v36, v37, v45, v51
	v_mul_i32_i24_e32 v37, v48, v43
	v_mad_i32_i24 v35, v56, v46, v35
	v_add3_u32 v16, v18, v16, v30
	v_add3_u32 v17, v17, v28, v34
	v_mad_i32_i24 v6, v58, v32, v36
	v_add_f32_e32 v18, v2, v3
	v_mad_i32_i24 v7, v57, v54, v29
	v_add3_u32 v1, v1, v19, v16
	v_add3_u32 v16, v37, v17, v35
	v_bitop3_b16 v17, v33, v41, v40 bitop3:0xfe
	v_cvt_f32_ubyte0_e32 v3, v31
	s_delay_alu instid0(VALU_DEP_4) | instskip(NEXT) | instid1(VALU_DEP_4)
	v_cvt_f32_i32_e32 v1, v1
	v_add3_u32 v6, v7, v6, v16
	s_delay_alu instid0(VALU_DEP_4) | instskip(NEXT) | instid1(VALU_DEP_3)
	v_cvt_f32_f16_e32 v2, v17
	v_add_f32_e32 v1, v18, v1
	s_delay_alu instid0(VALU_DEP_3) | instskip(SKIP_1) | instid1(VALU_DEP_3)
	v_cvt_f32_i32_e32 v5, v6
	v_cvt_f32_ubyte0_e32 v6, v27
	v_pk_mul_f32 v[0:1], v[0:1], v[2:3]
	s_delay_alu instid0(VALU_DEP_3) | instskip(NEXT) | instid1(VALU_DEP_1)
	v_add_f32_e32 v2, v4, v5
	v_fma_f32 v1, v2, v6, v1
	s_delay_alu instid0(VALU_DEP_1)
	v_fmac_f32_e32 v24, v0, v1
	s_and_not1_b32 exec_lo, exec_lo, s5
	s_cbranch_execnz .LBB293_3
; %bb.4:
	s_or_b32 exec_lo, exec_lo, s5
.LBB293_5:
	s_delay_alu instid0(SALU_CYCLE_1) | instskip(SKIP_1) | instid1(VALU_DEP_1)
	s_or_b32 exec_lo, exec_lo, s12
	v_mbcnt_lo_u32_b32 v0, -1, 0
	v_xor_b32_e32 v2, 8, v0
	v_xor_b32_e32 v1, 16, v0
	;; [unrolled: 1-line block ×3, first 2 shown]
	s_delay_alu instid0(VALU_DEP_2) | instskip(SKIP_4) | instid1(VALU_DEP_2)
	v_cmp_gt_i32_e32 vcc_lo, 32, v1
	v_cndmask_b32_e32 v1, v0, v1, vcc_lo
	v_cmp_gt_i32_e32 vcc_lo, 32, v2
	v_cndmask_b32_e32 v2, v0, v2, vcc_lo
	v_cmp_gt_i32_e32 vcc_lo, 32, v3
	v_dual_lshlrev_b32 v2, 2, v2 :: v_dual_lshlrev_b32 v1, 2, v1
	ds_bpermute_b32 v1, v1, v24
	s_wait_dscnt 0x0
	v_add_f32_e32 v1, v24, v1
	ds_bpermute_b32 v2, v2, v1
	s_wait_dscnt 0x0
	v_dual_cndmask_b32 v3, v0, v3, vcc_lo :: v_dual_add_f32 v1, v1, v2
	s_delay_alu instid0(VALU_DEP_1) | instskip(SKIP_3) | instid1(VALU_DEP_1)
	v_lshlrev_b32_e32 v3, 2, v3
	ds_bpermute_b32 v2, v3, v1
	s_wait_dscnt 0x0
	v_dual_add_f32 v1, v1, v2 :: v_dual_bitop2_b32 v3, 2, v0 bitop3:0x14
	v_cmp_gt_i32_e32 vcc_lo, 32, v3
	v_cndmask_b32_e32 v3, v0, v3, vcc_lo
	s_delay_alu instid0(VALU_DEP_1) | instskip(SKIP_2) | instid1(VALU_DEP_1)
	v_lshlrev_b32_e32 v3, 2, v3
	ds_bpermute_b32 v2, v3, v1
	v_xor_b32_e32 v3, 1, v0
	v_cmp_gt_i32_e32 vcc_lo, 32, v3
	v_cndmask_b32_e32 v3, v0, v3, vcc_lo
	v_cmp_eq_u32_e32 vcc_lo, 0, v21
	s_wait_dscnt 0x0
	s_delay_alu instid0(VALU_DEP_2)
	v_dual_add_f32 v0, v1, v2 :: v_dual_lshlrev_b32 v1, 2, v3
	ds_bpermute_b32 v1, v1, v0
	s_and_b32 exec_lo, exec_lo, vcc_lo
	s_cbranch_execz .LBB293_7
; %bb.6:
	s_wait_dscnt 0x0
	v_add_f32_e32 v0, v0, v1
	v_mad_u32 v2, s6, s11, v20
	s_delay_alu instid0(VALU_DEP_2) | instskip(NEXT) | instid1(VALU_DEP_1)
	v_bfe_u32 v1, v0, 16, 1
	v_add3_u32 v1, v0, v1, 0x7fff
	s_delay_alu instid0(VALU_DEP_1) | instskip(SKIP_1) | instid1(VALU_DEP_2)
	v_lshrrev_b32_e32 v1, 16, v1
	v_cmp_o_f32_e32 vcc_lo, v0, v0
	v_cndmask_b32_e32 v0, 0x7fc0, v1, vcc_lo
	s_wait_kmcnt 0x0
	global_store_b16 v2, v0, s[8:9] scale_offset
.LBB293_7:
	s_endpgm
	.section	.rodata,"a",@progbits
	.p2align	6, 0x0
	.amdhsa_kernel _ZL9moe_vec_qIN3c108BFloat16ELi256ELi8E11block_iq1_mLi1EXadL_ZL18vec_dot_iq1_m_q8_1PKvPK10block_q8_1RKiEEEvS4_S4_PT_PS8_iiii
		.amdhsa_group_segment_fixed_size 0
		.amdhsa_private_segment_fixed_size 0
		.amdhsa_kernarg_size 304
		.amdhsa_user_sgpr_count 2
		.amdhsa_user_sgpr_dispatch_ptr 0
		.amdhsa_user_sgpr_queue_ptr 0
		.amdhsa_user_sgpr_kernarg_segment_ptr 1
		.amdhsa_user_sgpr_dispatch_id 0
		.amdhsa_user_sgpr_kernarg_preload_length 0
		.amdhsa_user_sgpr_kernarg_preload_offset 0
		.amdhsa_user_sgpr_private_segment_size 0
		.amdhsa_wavefront_size32 1
		.amdhsa_uses_dynamic_stack 0
		.amdhsa_enable_private_segment 0
		.amdhsa_system_sgpr_workgroup_id_x 1
		.amdhsa_system_sgpr_workgroup_id_y 0
		.amdhsa_system_sgpr_workgroup_id_z 1
		.amdhsa_system_sgpr_workgroup_info 0
		.amdhsa_system_vgpr_workitem_id 1
		.amdhsa_next_free_vgpr 63
		.amdhsa_next_free_sgpr 19
		.amdhsa_named_barrier_count 0
		.amdhsa_reserve_vcc 1
		.amdhsa_float_round_mode_32 0
		.amdhsa_float_round_mode_16_64 0
		.amdhsa_float_denorm_mode_32 3
		.amdhsa_float_denorm_mode_16_64 3
		.amdhsa_fp16_overflow 0
		.amdhsa_memory_ordered 1
		.amdhsa_forward_progress 1
		.amdhsa_inst_pref_size 20
		.amdhsa_round_robin_scheduling 0
		.amdhsa_exception_fp_ieee_invalid_op 0
		.amdhsa_exception_fp_denorm_src 0
		.amdhsa_exception_fp_ieee_div_zero 0
		.amdhsa_exception_fp_ieee_overflow 0
		.amdhsa_exception_fp_ieee_underflow 0
		.amdhsa_exception_fp_ieee_inexact 0
		.amdhsa_exception_int_div_zero 0
	.end_amdhsa_kernel
	.section	.text._ZL9moe_vec_qIN3c108BFloat16ELi256ELi8E11block_iq1_mLi1EXadL_ZL18vec_dot_iq1_m_q8_1PKvPK10block_q8_1RKiEEEvS4_S4_PT_PS8_iiii,"axG",@progbits,_ZL9moe_vec_qIN3c108BFloat16ELi256ELi8E11block_iq1_mLi1EXadL_ZL18vec_dot_iq1_m_q8_1PKvPK10block_q8_1RKiEEEvS4_S4_PT_PS8_iiii,comdat
.Lfunc_end293:
	.size	_ZL9moe_vec_qIN3c108BFloat16ELi256ELi8E11block_iq1_mLi1EXadL_ZL18vec_dot_iq1_m_q8_1PKvPK10block_q8_1RKiEEEvS4_S4_PT_PS8_iiii, .Lfunc_end293-_ZL9moe_vec_qIN3c108BFloat16ELi256ELi8E11block_iq1_mLi1EXadL_ZL18vec_dot_iq1_m_q8_1PKvPK10block_q8_1RKiEEEvS4_S4_PT_PS8_iiii
                                        ; -- End function
	.set _ZL9moe_vec_qIN3c108BFloat16ELi256ELi8E11block_iq1_mLi1EXadL_ZL18vec_dot_iq1_m_q8_1PKvPK10block_q8_1RKiEEEvS4_S4_PT_PS8_iiii.num_vgpr, 63
	.set _ZL9moe_vec_qIN3c108BFloat16ELi256ELi8E11block_iq1_mLi1EXadL_ZL18vec_dot_iq1_m_q8_1PKvPK10block_q8_1RKiEEEvS4_S4_PT_PS8_iiii.num_agpr, 0
	.set _ZL9moe_vec_qIN3c108BFloat16ELi256ELi8E11block_iq1_mLi1EXadL_ZL18vec_dot_iq1_m_q8_1PKvPK10block_q8_1RKiEEEvS4_S4_PT_PS8_iiii.numbered_sgpr, 19
	.set _ZL9moe_vec_qIN3c108BFloat16ELi256ELi8E11block_iq1_mLi1EXadL_ZL18vec_dot_iq1_m_q8_1PKvPK10block_q8_1RKiEEEvS4_S4_PT_PS8_iiii.num_named_barrier, 0
	.set _ZL9moe_vec_qIN3c108BFloat16ELi256ELi8E11block_iq1_mLi1EXadL_ZL18vec_dot_iq1_m_q8_1PKvPK10block_q8_1RKiEEEvS4_S4_PT_PS8_iiii.private_seg_size, 0
	.set _ZL9moe_vec_qIN3c108BFloat16ELi256ELi8E11block_iq1_mLi1EXadL_ZL18vec_dot_iq1_m_q8_1PKvPK10block_q8_1RKiEEEvS4_S4_PT_PS8_iiii.uses_vcc, 1
	.set _ZL9moe_vec_qIN3c108BFloat16ELi256ELi8E11block_iq1_mLi1EXadL_ZL18vec_dot_iq1_m_q8_1PKvPK10block_q8_1RKiEEEvS4_S4_PT_PS8_iiii.uses_flat_scratch, 0
	.set _ZL9moe_vec_qIN3c108BFloat16ELi256ELi8E11block_iq1_mLi1EXadL_ZL18vec_dot_iq1_m_q8_1PKvPK10block_q8_1RKiEEEvS4_S4_PT_PS8_iiii.has_dyn_sized_stack, 0
	.set _ZL9moe_vec_qIN3c108BFloat16ELi256ELi8E11block_iq1_mLi1EXadL_ZL18vec_dot_iq1_m_q8_1PKvPK10block_q8_1RKiEEEvS4_S4_PT_PS8_iiii.has_recursion, 0
	.set _ZL9moe_vec_qIN3c108BFloat16ELi256ELi8E11block_iq1_mLi1EXadL_ZL18vec_dot_iq1_m_q8_1PKvPK10block_q8_1RKiEEEvS4_S4_PT_PS8_iiii.has_indirect_call, 0
	.section	.AMDGPU.csdata,"",@progbits
; Kernel info:
; codeLenInByte = 2520
; TotalNumSgprs: 21
; NumVgprs: 63
; ScratchSize: 0
; MemoryBound: 0
; FloatMode: 240
; IeeeMode: 1
; LDSByteSize: 0 bytes/workgroup (compile time only)
; SGPRBlocks: 0
; VGPRBlocks: 3
; NumSGPRsForWavesPerEU: 21
; NumVGPRsForWavesPerEU: 63
; NamedBarCnt: 0
; Occupancy: 16
; WaveLimiterHint : 1
; COMPUTE_PGM_RSRC2:SCRATCH_EN: 0
; COMPUTE_PGM_RSRC2:USER_SGPR: 2
; COMPUTE_PGM_RSRC2:TRAP_HANDLER: 0
; COMPUTE_PGM_RSRC2:TGID_X_EN: 1
; COMPUTE_PGM_RSRC2:TGID_Y_EN: 0
; COMPUTE_PGM_RSRC2:TGID_Z_EN: 1
; COMPUTE_PGM_RSRC2:TIDIG_COMP_CNT: 1
	.section	.AMDGPU.gpr_maximums,"",@progbits
	.set amdgpu.max_num_vgpr, 0
	.set amdgpu.max_num_agpr, 0
	.set amdgpu.max_num_sgpr, 0
	.section	.AMDGPU.csdata,"",@progbits
	.type	_ZL11iq2xxs_grid,@object        ; @_ZL11iq2xxs_grid
	.section	.rodata,"a",@progbits
	.p2align	4, 0x0
_ZL11iq2xxs_grid:
	.quad	578721382704613384              ; 0x808080808080808
	.quad	578721382704613419              ; 0x80808080808082b
	;; [unrolled: 1-line block ×132, first 2 shown]
	.quad	1803700481349388313             ; 0x1908080808080819
	.quad	1803700481349392648             ; 0x1908080808081908
	;; [unrolled: 1-line block ×124, first 2 shown]
	.size	_ZL11iq2xxs_grid, 2048

	.type	_ZL12ksigns_iq2xs,@object       ; @_ZL12ksigns_iq2xs
	.p2align	4, 0x0
_ZL12ksigns_iq2xs:
	.ascii	"\000\201\202\003\204\005\006\207\210\t\n\213\f\215\216\017\220\021\022\223\024\225\226\027\030\231\232\033\234\035\036\237\240!\"\243$\245\246'(\251\252+\254-.\2570\261\2623\26456\267\2709:\273<\275\276?\300AB\303D\305\306GH\311\312K\314MN\317P\321\322S\324UV\327\330YZ\333\\\335\336_`\341\342c\344ef\347\350ij\353l\355\356o\360qr\363t\365\366wx\371\372{\374}~\377"
	.size	_ZL12ksigns_iq2xs, 128

	.type	_ZL10iq2xs_grid,@object         ; @_ZL10iq2xs_grid
	.p2align	4, 0x0
_ZL10iq2xs_grid:
	.quad	578721382704613384              ; 0x808080808080808
	.quad	578721382704613419              ; 0x80808080808082b
	.quad	578721382704617753              ; 0x808080808081919
	.quad	578721382704622344              ; 0x808080808082b08
	.quad	578721382704622379              ; 0x808080808082b2b
	.quad	578721382705727513              ; 0x808080808190819
	.quad	578721382705731848              ; 0x808080808191908
	.quad	578721382705731883              ; 0x80808080819192b
	.quad	578721382705736473              ; 0x808080808192b19
	.quad	578721382706907144              ; 0x8080808082b0808
	.quad	578721382706907179              ; 0x8080808082b082b
	.quad	578721382706911513              ; 0x8080808082b1919
	.quad	578721382706916104              ; 0x8080808082b2b08
	.quad	578721382989826073              ; 0x808080819080819
	.quad	578721382989830408              ; 0x808080819081908
	.quad	578721382989830443              ; 0x80808081908192b
	.quad	578721382989835033              ; 0x808080819082b19
	.quad	578721382990940168              ; 0x808080819190808
	.quad	578721382990940203              ; 0x80808081919082b
	.quad	578721382990944537              ; 0x808080819191919
	.quad	578721382990949128              ; 0x808080819192b08
	.quad	578721382992119833              ; 0x8080808192b0819
	.quad	578721382992124168              ; 0x8080808192b1908
	.quad	578721383291815944              ; 0x80808082b080808
	.quad	578721383291815979              ; 0x80808082b08082b
	.quad	578721383291820313              ; 0x80808082b081919
	.quad	578721383291824904              ; 0x80808082b082b08
	.quad	578721383292930073              ; 0x80808082b190819
	.quad	578721383292934408              ; 0x80808082b191908
	.quad	578721383292939033              ; 0x80808082b192b19
	.quad	578721383294109704              ; 0x80808082b2b0808
	.quad	578721455719057433              ; 0x808081908080819
	.quad	578721455719061768              ; 0x808081908081908
	.quad	578721455719061803              ; 0x80808190808192b
	.quad	578721455719066393              ; 0x808081908082b19
	.quad	578721455720171528              ; 0x808081908190808
	.quad	578721455720171563              ; 0x80808190819082b
	.quad	578721455720175897              ; 0x808081908191919
	.quad	578721455720180488              ; 0x808081908192b08
	.quad	578721455720180523              ; 0x808081908192b2b
	.quad	578721455721351193              ; 0x8080819082b0819
	.quad	578721455721355528              ; 0x8080819082b1908
	.quad	578721456004270088              ; 0x808081919080808
	.quad	578721456004270123              ; 0x80808191908082b
	.quad	578721456004274457              ; 0x808081919081919
	.quad	578721456004279048              ; 0x808081919082b08
	.quad	578721456005384217              ; 0x808081919190819
	.quad	578721456005388552              ; 0x808081919191908
	.quad	578721456006563848              ; 0x8080819192b0808
	.quad	578721456006572808              ; 0x8080819192b2b08
	.quad	578721456306259993              ; 0x80808192b080819
	.quad	578721456306264328              ; 0x80808192b081908
	.quad	578721456307374088              ; 0x80808192b190808
	.quad	578721533028468744              ; 0x808082b08080808
	.quad	578721533028468779              ; 0x808082b0808082b
	.quad	578721533028473113              ; 0x808082b08081919
	.quad	578721533028477704              ; 0x808082b08082b08
	.quad	578721533029582873              ; 0x808082b08190819
	.quad	578721533029587208              ; 0x808082b08191908
	.quad	578721533030762504              ; 0x808082b082b0808
	.quad	578721533313681433              ; 0x808082b19080819
	.quad	578721533313685768              ; 0x808082b19081908
	.quad	578721533314795528              ; 0x808082b19190808
	.quad	578721533314799897              ; 0x808082b19191919
	.quad	578721533615671304              ; 0x808082b2b080808
	.quad	578721533615680299              ; 0x808082b2b082b2b
	.quad	578740074402285593              ; 0x808190808080819
	.quad	578740074402289928              ; 0x808190808081908
	.quad	578740074402289963              ; 0x80819080808192b
	.quad	578740074402294553              ; 0x808190808082b19
	.quad	578740074403399688              ; 0x808190808190808
	.quad	578740074403399723              ; 0x80819080819082b
	.quad	578740074403404057              ; 0x808190808191919
	.quad	578740074403408648              ; 0x808190808192b08
	.quad	578740074404579353              ; 0x8081908082b0819
	.quad	578740074404583688              ; 0x8081908082b1908
	.quad	578740074687498248              ; 0x808190819080808
	.quad	578740074687498283              ; 0x80819081908082b
	.quad	578740074687502617              ; 0x808190819081919
	.quad	578740074687507208              ; 0x808190819082b08
	.quad	578740074688612377              ; 0x808190819190819
	.quad	578740074688616712              ; 0x808190819191908
	.quad	578740074688616747              ; 0x80819081919192b
	.quad	578740074689792008              ; 0x8081908192b0808
	.quad	578740074989488153              ; 0x80819082b080819
	.quad	578740074989492488              ; 0x80819082b081908
	.quad	578740074990602248              ; 0x80819082b190808
	.quad	578740147416729608              ; 0x808191908080808
	.quad	578740147416729643              ; 0x80819190808082b
	.quad	578740147416733977              ; 0x808191908081919
	.quad	578740147416738568              ; 0x808191908082b08
	.quad	578740147417843737              ; 0x808191908190819
	.quad	578740147417848072              ; 0x808191908191908
	.quad	578740147419023368              ; 0x8081919082b0808
	.quad	578740147701942297              ; 0x808191919080819
	.quad	578740147701946632              ; 0x808191919081908
	.quad	578740147703056392              ; 0x808191919190808
	.quad	578740147704236057              ; 0x8081919192b0819
	.quad	578740148003932168              ; 0x80819192b080808
	.quad	578740224726140953              ; 0x808192b08080819
	.quad	578740224726145288              ; 0x808192b08081908
	.quad	578740224727255048              ; 0x808192b08190808
	.quad	578740224728439083              ; 0x808192b082b192b
	.quad	578740225011353608              ; 0x808192b19080808
	.quad	578740225011353643              ; 0x808192b1908082b
	.quad	578740225313347848              ; 0x808192b2b081908
	.quad	578759865611585544              ; 0x8082b0808080808
	.quad	578759865611585579              ; 0x8082b080808082b
	.quad	578759865611589913              ; 0x8082b0808081919
	.quad	578759865611594504              ; 0x8082b0808082b08
	.quad	578759865611594539              ; 0x8082b0808082b2b
	.quad	578759865612699673              ; 0x8082b0808190819
	.quad	578759865612704008              ; 0x8082b0808191908
	.quad	578759865613879304              ; 0x8082b08082b0808
	.quad	578759865613883673              ; 0x8082b08082b1919
	.quad	578759865896798233              ; 0x8082b0819080819
	.quad	578759865896802568              ; 0x8082b0819081908
	.quad	578759865897912328              ; 0x8082b0819190808
	.quad	578759865897921288              ; 0x8082b0819192b08
	.quad	578759866198788104              ; 0x8082b082b080808
	.quad	578759866201081864              ; 0x8082b082b2b0808
	.quad	578759866201090859              ; 0x8082b082b2b2b2b
	.quad	578759938626029593              ; 0x8082b1908080819
	.quad	578759938626033928              ; 0x8082b1908081908
	.quad	578759938627143688              ; 0x8082b1908190808
	.quad	578759938911242248              ; 0x8082b1919080808
	.quad	578759939213232153              ; 0x8082b192b080819
	.quad	578759939213241113              ; 0x8082b192b082b19
	.quad	578760015935440904              ; 0x8082b2b08080808
	.quad	578760015937734664              ; 0x8082b2b082b0808
	.quad	578760015937743624              ; 0x8082b2b082b2b08
	.quad	578760016523761963              ; 0x8082b2b2b19192b
	.quad	578760016524937224              ; 0x8082b2b2b2b0808
	.quad	583506457308694553              ; 0x819080808080819
	.quad	583506457308698888              ; 0x819080808081908
	.quad	583506457308698923              ; 0x81908080808192b
	.quad	583506457308703513              ; 0x819080808082b19
	.quad	583506457309808648              ; 0x819080808190808
	.quad	583506457309808683              ; 0x81908080819082b
	.quad	583506457309813017              ; 0x819080808191919
	.quad	583506457309817608              ; 0x819080808192b08
	.quad	583506457310988313              ; 0x8190808082b0819
	.quad	583506457310992648              ; 0x8190808082b1908
	.quad	583506457593907208              ; 0x819080819080808
	.quad	583506457593907243              ; 0x81908081908082b
	.quad	583506457593911577              ; 0x819080819081919
	.quad	583506457593916168              ; 0x819080819082b08
	.quad	583506457595021337              ; 0x819080819190819
	.quad	583506457595025672              ; 0x819080819191908
	.quad	583506457596200968              ; 0x8190808192b0808
	.quad	583506457596209963              ; 0x8190808192b2b2b
	.quad	583506457895897113              ; 0x81908082b080819
	.quad	583506457895901448              ; 0x81908082b081908
	.quad	583506457897011208              ; 0x81908082b190808
	.quad	583506530323138568              ; 0x819081908080808
	.quad	583506530323138603              ; 0x81908190808082b
	.quad	583506530323142937              ; 0x819081908081919
	.quad	583506530323147528              ; 0x819081908082b08
	.quad	583506530324252697              ; 0x819081908190819
	.quad	583506530324257032              ; 0x819081908191908
	.quad	583506530325432328              ; 0x8190819082b0808
	.quad	583506530608351257              ; 0x819081919080819
	.quad	583506530608355592              ; 0x819081919081908
	.quad	583506530609465352              ; 0x819081919190808
	.quad	583506530910341128              ; 0x81908192b080808
	.quad	583506530911459592              ; 0x81908192b191908
	.quad	583506530911459627              ; 0x81908192b19192b
	.quad	583506607632549913              ; 0x819082b08080819
	.quad	583506607632554248              ; 0x819082b08081908
	.quad	583506607632554283              ; 0x819082b0808192b
	.quad	583506607633664008              ; 0x819082b08190808
	.quad	583506607917762568              ; 0x819082b19080808
	.quad	583506607920056328              ; 0x819082b192b0808
	.quad	583525149006366728              ; 0x819190808080808
	.quad	583525149006366763              ; 0x81919080808082b
	.quad	583525149006371097              ; 0x819190808081919
	.quad	583525149006375688              ; 0x819190808082b08
	.quad	583525149007480857              ; 0x819190808190819
	.quad	583525149007485192              ; 0x819190808191908
	.quad	583525149008660488              ; 0x8191908082b0808
	.quad	583525149291579417              ; 0x819190819080819
	.quad	583525149291583752              ; 0x819190819081908
	.quad	583525149291588377              ; 0x819190819082b19
	.quad	583525149292693512              ; 0x819190819190808
	.quad	583525149293877512              ; 0x8191908192b1908
	.quad	583525149593569288              ; 0x81919082b080808
	.quad	583525222020810777              ; 0x819191908080819
	.quad	583525222020815112              ; 0x819191908081908
	.quad	583525222021924872              ; 0x819191908190808
	.quad	583525222306023432              ; 0x819191919080808
	.quad	583525299330222088              ; 0x819192b08080808
	.quad	583525299331340552              ; 0x819192b08191908
	.quad	583525299615443737              ; 0x819192b19082b19
	.quad	583544940215666713              ; 0x8192b0808080819
	.quad	583544940215671048              ; 0x8192b0808081908
	.quad	583544940216780808              ; 0x8192b0808190808
	.quad	583544940216780843              ; 0x8192b080819082b
	.quad	583544940500879368              ; 0x8192b0819080808
	.quad	583544940501997832              ; 0x8192b0819191908
	.quad	583544940802873643              ; 0x8192b082b08192b
	.quad	583545013230110728              ; 0x8192b1908080808
	.quad	583545013230115097              ; 0x8192b1908081919
	.quad	583545013517621547              ; 0x8192b19192b192b
	.quad	583545090825848857              ; 0x8192b2b19190819
	.quad	583545091129027353              ; 0x8192b2b2b2b2b19
	.quad	588573006889486344              ; 0x82b080808080808
	.quad	588573006889486379              ; 0x82b08080808082b
	.quad	588573006889490713              ; 0x82b080808081919
	.quad	588573006889495304              ; 0x82b080808082b08
	.quad	588573006889495339              ; 0x82b080808082b2b
	.quad	588573006890600473              ; 0x82b080808190819
	.quad	588573006890604808              ; 0x82b080808191908
	.quad	588573006891780104              ; 0x82b0808082b0808
	.quad	588573007174699033              ; 0x82b080819080819
	.quad	588573007174703368              ; 0x82b080819081908
	.quad	588573007175813128              ; 0x82b080819190808
	.quad	588573007476688904              ; 0x82b08082b080808
	.quad	588573007478982664              ; 0x82b08082b2b0808
	.quad	588573079903930393              ; 0x82b081908080819
	.quad	588573079903934728              ; 0x82b081908081908
	.quad	588573079905044488              ; 0x82b081908190808
	.quad	588573080189143048              ; 0x82b081919080808
	.quad	588573080189152008              ; 0x82b081919082b08
	.quad	588573080191441177              ; 0x82b0819192b1919
	.quad	588573157213341704              ; 0x82b082b08080808
	.quad	588573157215635499              ; 0x82b082b082b082b
	.quad	588573157800544264              ; 0x82b082b2b080808
	.quad	588573157802846984              ; 0x82b082b2b2b2b08
	.quad	588591698587158553              ; 0x82b190808080819
	.quad	588591698587162888              ; 0x82b190808081908
	.quad	588591698588272648              ; 0x82b190808190808
	.quad	588591698589461273              ; 0x82b1908082b2b19
	.quad	588591698872371208              ; 0x82b190819080808
	.quad	588591771601602568              ; 0x82b191908080808
	.quad	588591771886815257              ; 0x82b191919080819
	.quad	588591771887929387              ; 0x82b19191919082b
	.quad	588591772189928217              ; 0x82b19192b192b19
	.quad	588591848911013913              ; 0x82b192b08080819
	.quad	588591848912137003              ; 0x82b192b08192b2b
	.quad	588591849500514603              ; 0x82b192b2b2b192b
	.quad	588611489796458504              ; 0x82b2b0808080808
	.quad	588611489796467464              ; 0x82b2b0808082b08
	.quad	588611489796467499              ; 0x82b2b0808082b2b
	.quad	588611489798752264              ; 0x82b2b08082b0808
	.quad	588611490082789657              ; 0x82b2b0819191919
	.quad	588611490383670024              ; 0x82b2b082b082b08
	.quad	588611490385954859              ; 0x82b2b082b2b082b
	.quad	588611563098417928              ; 0x82b2b19192b2b08
	.quad	588611563399219208              ; 0x82b2b192b190808
	.quad	588611640120322824              ; 0x82b2b2b08082b08
	.quad	588611640122607624              ; 0x82b2b2b082b0808
	.quad	588611640707516459              ; 0x82b2b2b2b08082b
	.quad	588611640707525384              ; 0x82b2b2b2b082b08
	.quad	588611640707525419              ; 0x82b2b2b2b082b2b
	.quad	1803700481349388313             ; 0x1908080808080819
	.quad	1803700481349392648             ; 0x1908080808081908
	;; [unrolled: 1-line block ×258, first 2 shown]
	.size	_ZL10iq2xs_grid, 4096

	.type	_ZL11iq3xxs_grid,@object        ; @_ZL11iq3xxs_grid
	.p2align	4, 0x0
_ZL11iq3xxs_grid:
	.long	67372036                        ; 0x4040404
	.long	67372052                        ; 0x4040414
	;; [unrolled: 1-line block ×58, first 2 shown]
	.long	201589772                       ; 0xc04040c
	.long	201589788                       ; 0xc04041c
	;; [unrolled: 1-line block ×177, first 2 shown]
	.long	1040450588                      ; 0x3e04041c
	.long	1040450604                      ; 0x3e04042c
	;; [unrolled: 1-line block ×21, first 2 shown]
	.size	_ZL11iq3xxs_grid, 1024

	.type	_ZL13iq1s_grid_gpu,@object      ; @_ZL13iq1s_grid_gpu
	.p2align	4, 0x0
_ZL13iq1s_grid_gpu:
	.quad	0                               ; 0x0
	.quad	2                               ; 0x2
	.quad	257                             ; 0x101
	.quad	512                             ; 0x200
	;; [unrolled: 1-line block ×3, first 2 shown]
	.quad	65537                           ; 0x10001
	.quad	65793                           ; 0x10101
	.quad	131072                          ; 0x20000
	.quad	131074                          ; 0x20002
	;; [unrolled: 1-line block ×4, first 2 shown]
	.quad	16777473                        ; 0x1000101
	.quad	16842753                        ; 0x1010001
	;; [unrolled: 1-line block ×14, first 2 shown]
	.quad	272                             ; 0x110
	.quad	273                             ; 0x111
	.quad	65553                           ; 0x10011
	.quad	65808                           ; 0x10110
	;; [unrolled: 1-line block ×5, first 2 shown]
	.quad	131345                          ; 0x20111
	.quad	16777233                        ; 0x1000011
	.quad	16777490                        ; 0x1000112
	;; [unrolled: 1-line block ×15, first 2 shown]
	.quad	32                              ; 0x20
	.quad	34                              ; 0x22
	.quad	544                             ; 0x220
	.quad	546                             ; 0x222
	.quad	65825                           ; 0x10121
	.quad	131104                          ; 0x20020
	.quad	131106                          ; 0x20022
	;; [unrolled: 1-line block ×4, first 2 shown]
	.quad	16777505                        ; 0x1000121
	.quad	16842785                        ; 0x1010021
	;; [unrolled: 1-line block ×16, first 2 shown]
	.quad	69633                           ; 0x11001
	.quad	69888                           ; 0x11100
	;; [unrolled: 1-line block ×3, first 2 shown]
	.quad	135425                          ; 0x21101
	.quad	16781313                        ; 0x1001001
	.quad	16781825                        ; 0x1001201
	;; [unrolled: 1-line block ×9, first 2 shown]
	.quad	4113                            ; 0x1011
	.quad	4368                            ; 0x1110
	;; [unrolled: 1-line block ×4, first 2 shown]
	.quad	69905                           ; 0x11111
	.quad	70160                           ; 0x11210
	.quad	70162                           ; 0x11212
	.quad	135697                          ; 0x21211
	.quad	16781328                        ; 0x1001010
	.quad	16781585                        ; 0x1001111
	;; [unrolled: 1-line block ×24, first 2 shown]
	.quad	69920                           ; 0x11120
	.quad	70177                           ; 0x11221
	.quad	16781345                        ; 0x1001021
	.quad	16781600                        ; 0x1001120
	;; [unrolled: 1-line block ×14, first 2 shown]
	.quad	8192                            ; 0x2000
	.quad	8194                            ; 0x2002
	;; [unrolled: 1-line block ×4, first 2 shown]
	.quad	73985                           ; 0x12101
	.quad	139264                          ; 0x22000
	.quad	139266                          ; 0x22002
	;; [unrolled: 1-line block ×4, first 2 shown]
	.quad	16785665                        ; 0x1002101
	.quad	16850945                        ; 0x1012001
	;; [unrolled: 1-line block ×13, first 2 shown]
	.quad	8465                            ; 0x2111
	.quad	73745                           ; 0x12011
	.quad	74000                           ; 0x12110
	;; [unrolled: 1-line block ×3, first 2 shown]
	.quad	139536                          ; 0x22110
	.quad	139537                          ; 0x22111
	.quad	16785425                        ; 0x1002011
	.quad	16850960                        ; 0x1012010
	;; [unrolled: 1-line block ×12, first 2 shown]
	.quad	8224                            ; 0x2020
	.quad	8226                            ; 0x2022
	.quad	8736                            ; 0x2220
	.quad	8738                            ; 0x2222
	.quad	74017                           ; 0x12121
	.quad	139296                          ; 0x22020
	.quad	139298                          ; 0x22022
	;; [unrolled: 1-line block ×4, first 2 shown]
	.quad	16785697                        ; 0x1002121
	.quad	16850977                        ; 0x1012021
	;; [unrolled: 1-line block ×15, first 2 shown]
	.quad	1114112                         ; 0x110000
	.quad	1114113                         ; 0x110001
	;; [unrolled: 1-line block ×6, first 2 shown]
	.quad	17825793                        ; 0x1100001
	.quad	17826048                        ; 0x1100100
	;; [unrolled: 1-line block ×14, first 2 shown]
	.quad	1048593                         ; 0x100011
	.quad	1048848                         ; 0x100110
	;; [unrolled: 1-line block ×11, first 2 shown]
	.quad	17826065                        ; 0x1100111
	.quad	17826322                        ; 0x1100212
	.quad	17891344                        ; 0x1110010
	.quad	17891345                        ; 0x1110011
	.quad	17891346                        ; 0x1110012
	.quad	17891600                        ; 0x1110110
	.quad	17891601                        ; 0x1110111
	.quad	17891602                        ; 0x1110112
	.quad	17891857                        ; 0x1110211
	.quad	17956880                        ; 0x1120010
	.quad	17957137                        ; 0x1120111
	.quad	34603280                        ; 0x2100110
	.quad	34668562                        ; 0x2110012
	.quad	34668817                        ; 0x2110111
	.quad	34734097                        ; 0x2120011
	.quad	34734352                        ; 0x2120110
	.quad	1114145                         ; 0x110021
	.quad	1114400                         ; 0x110120
	.quad	1114402                         ; 0x110122
	.quad	1179937                         ; 0x120121
	.quad	17825824                        ; 0x1100020
	.quad	17826082                        ; 0x1100122
	;; [unrolled: 1-line block ×14, first 2 shown]
	.quad	1052673                         ; 0x101001
	.quad	1052930                         ; 0x101102
	.quad	1053185                         ; 0x101201
	.quad	1118464                         ; 0x111100
	.quad	1118465                         ; 0x111101
	.quad	1118720                         ; 0x111200
	.quad	1118721                         ; 0x111201
	.quad	1183745                         ; 0x121001
	.quad	1184002                         ; 0x121102
	.quad	17829889                        ; 0x1101001
	.quad	17830145                        ; 0x1101101
	;; [unrolled: 1-line block ×25, first 2 shown]
	.quad	1052690                         ; 0x101012
	.quad	1052945                         ; 0x101111
	;; [unrolled: 1-line block ×13, first 2 shown]
	.quad	17829905                        ; 0x1101011
	.quad	17830160                        ; 0x1101110
	;; [unrolled: 1-line block ×32, first 2 shown]
	.quad	1052705                         ; 0x101021
	.quad	1052960                         ; 0x101120
	;; [unrolled: 1-line block ×10, first 2 shown]
	.quad	17829920                        ; 0x1101020
	.quad	17829922                        ; 0x1101022
	.quad	17830176                        ; 0x1101120
	.quad	17830177                        ; 0x1101121
	.quad	17830432                        ; 0x1101220
	.quad	17830434                        ; 0x1101222
	.quad	17895457                        ; 0x1111021
	.quad	17895713                        ; 0x1111121
	.quad	17895714                        ; 0x1111122
	.quad	17895968                        ; 0x1111220
	.quad	17895969                        ; 0x1111221
	.quad	17960993                        ; 0x1121021
	.quad	17961248                        ; 0x1121120
	.quad	17961249                        ; 0x1121121
	.quad	17961504                        ; 0x1121220
	.quad	17961505                        ; 0x1121221
	.quad	17961506                        ; 0x1121222
	.quad	34607394                        ; 0x2101122
	.quad	34607650                        ; 0x2101222
	.quad	34672674                        ; 0x2111022
	.quad	34672929                        ; 0x2111121
	.quad	34738464                        ; 0x2121120
	.quad	34738721                        ; 0x2121221
	.quad	1122305                         ; 0x112001
	.quad	1122562                         ; 0x112102
	.quad	1188097                         ; 0x122101
	.quad	17833985                        ; 0x1102001
	.quad	17834240                        ; 0x1102100
	;; [unrolled: 1-line block ×17, first 2 shown]
	.quad	1122320                         ; 0x112010
	.quad	1122322                         ; 0x112012
	;; [unrolled: 1-line block ×6, first 2 shown]
	.quad	17834002                        ; 0x1102012
	.quad	17834256                        ; 0x1102110
	;; [unrolled: 1-line block ×21, first 2 shown]
	.quad	1057313                         ; 0x102221
	.quad	1122594                         ; 0x112122
	;; [unrolled: 1-line block ×4, first 2 shown]
	.quad	17834272                        ; 0x1102120
	.quad	17834274                        ; 0x1102122
	;; [unrolled: 1-line block ×14, first 2 shown]
	.quad	2097152                         ; 0x200000
	.quad	2097154                         ; 0x200002
	;; [unrolled: 1-line block ×10, first 2 shown]
	.quad	18874625                        ; 0x1200101
	.quad	18939905                        ; 0x1210001
	;; [unrolled: 1-line block ×15, first 2 shown]
	.quad	2097425                         ; 0x200111
	.quad	2162705                         ; 0x210011
	;; [unrolled: 1-line block ×5, first 2 shown]
	.quad	18874386                        ; 0x1200012
	.quad	18874640                        ; 0x1200110
	;; [unrolled: 1-line block ×15, first 2 shown]
	.quad	2097185                         ; 0x200021
	.quad	2097696                         ; 0x200220
	;; [unrolled: 1-line block ×9, first 2 shown]
	.quad	18874657                        ; 0x1200121
	.quad	18939937                        ; 0x1210021
	;; [unrolled: 1-line block ×14, first 2 shown]
	.quad	2101505                         ; 0x201101
	.quad	2167040                         ; 0x211100
	;; [unrolled: 1-line block ×5, first 2 shown]
	.quad	18878720                        ; 0x1201100
	.quad	18878721                        ; 0x1201101
	;; [unrolled: 1-line block ×15, first 2 shown]
	.quad	2101777                         ; 0x201211
	.quad	2167057                         ; 0x211111
	;; [unrolled: 1-line block ×4, first 2 shown]
	.quad	18878480                        ; 0x1201010
	.quad	18878737                        ; 0x1201111
	;; [unrolled: 1-line block ×20, first 2 shown]
	.quad	2101537                         ; 0x201121
	.quad	2166816                         ; 0x211020
	;; [unrolled: 1-line block ×5, first 2 shown]
	.quad	18878497                        ; 0x1201021
	.quad	18879009                        ; 0x1201221
	;; [unrolled: 1-line block ×10, first 2 shown]
	.quad	2105344                         ; 0x202000
	.quad	2105346                         ; 0x202002
	;; [unrolled: 1-line block ×9, first 2 shown]
	.quad	18882817                        ; 0x1202101
	.quad	18948097                        ; 0x1212001
	;; [unrolled: 1-line block ×12, first 2 shown]
	.quad	2105873                         ; 0x202211
	.quad	2170897                         ; 0x212011
	.quad	2171152                         ; 0x212110
	.quad	2171409                         ; 0x212211
	.quad	2236689                         ; 0x222111
	.quad	18882834                        ; 0x1202112
	.quad	18883089                        ; 0x1202211
	;; [unrolled: 1-line block ×14, first 2 shown]
	.quad	2105376                         ; 0x202020
	.quad	2105378                         ; 0x202022
	;; [unrolled: 1-line block ×8, first 2 shown]
	.quad	18882849                        ; 0x1202121
	.quad	18948129                        ; 0x1212021
	;; [unrolled: 1-line block ×14, first 2 shown]
	.quad	268435713                       ; 0x10000101
	.quad	268500993                       ; 0x10010001
	;; [unrolled: 1-line block ×1419, first 2 shown]
	.size	_ZL13iq1s_grid_gpu, 16384

	.type	_ZL13kvalues_iq4nl,@object      ; @_ZL13kvalues_iq4nl
	.section	.rodata.cst16,"aM",@progbits,16
	.p2align	4, 0x0
_ZL13kvalues_iq4nl:
	.ascii	"\201\230\255\277\317\335\352\366\001\r\031&5EYq"
	.size	_ZL13kvalues_iq4nl, 16

	.type	_ZL10iq3xs_grid,@object         ; @_ZL10iq3xs_grid
	.section	.rodata,"a",@progbits
	.p2align	4, 0x0
_ZL10iq3xs_grid:
	.long	67372036                        ; 0x4040404
	.long	67372044                        ; 0x404040c
	;; [unrolled: 1-line block ×109, first 2 shown]
	.long	201589764                       ; 0xc040404
	.long	201589772                       ; 0xc04040c
	;; [unrolled: 1-line block ×368, first 2 shown]
	.long	1040450564                      ; 0x3e040404
	.long	1040450596                      ; 0x3e040424
	;; [unrolled: 1-line block ×35, first 2 shown]
	.size	_ZL10iq3xs_grid, 2048

	.type	_ZL9iq2s_grid,@object           ; @_ZL9iq2s_grid
	.p2align	4, 0x0
_ZL9iq2s_grid:
	.quad	578721382704613384              ; 0x808080808080808
	.quad	578721382704613419              ; 0x80808080808082b
	;; [unrolled: 1-line block ×471, first 2 shown]
	.quad	1803700481349388313             ; 0x1908080808080819
	.quad	1803700481349392648             ; 0x1908080808081908
	;; [unrolled: 1-line block ×553, first 2 shown]
	.size	_ZL9iq2s_grid, 8192

	.type	_ZL8ksigns64,@object            ; @_ZL8ksigns64
	.p2align	4, 0x0
_ZL8ksigns64:
	.quad	0                               ; 0x0
	.quad	-72057594037927681              ; 0xff000000000000ff
	.quad	-72057594037862656              ; 0xff0000000000ff00
	.quad	65535                           ; 0xffff
	.quad	-72057594021216256              ; 0xff00000000ff0000
	.quad	16711935                        ; 0xff00ff
	.quad	16776960                        ; 0xffff00
	.quad	-72057594021150721              ; 0xff00000000ffffff
	.quad	-72057589759737856              ; 0xff000000ff000000
	.quad	4278190335                      ; 0xff0000ff
	.quad	4278255360                      ; 0xff00ff00
	.quad	-72057589759672321              ; 0xff000000ff00ffff
	.quad	4294901760                      ; 0xffff0000
	.quad	-72057589743025921              ; 0xff000000ffff00ff
	.quad	-72057589742960896              ; 0xff000000ffffff00
	.quad	4294967295                      ; 0xffffffff
	.quad	-72056498821267456              ; 0xff0000ff00000000
	.quad	1095216660735                   ; 0xff000000ff
	.quad	1095216725760                   ; 0xff0000ff00
	.quad	-72056498821201921              ; 0xff0000ff0000ffff
	.quad	1095233372160                   ; 0xff00ff0000
	.quad	-72056498804555521              ; 0xff0000ff00ff00ff
	.quad	-72056498804490496              ; 0xff0000ff00ffff00
	.quad	1095233437695                   ; 0xff00ffffff
	.quad	1099494850560                   ; 0xffff000000
	.quad	-72056494543077121              ; 0xff0000ffff0000ff
	.quad	-72056494543012096              ; 0xff0000ffff00ff00
	.quad	1099494916095                   ; 0xffff00ffff
	.quad	-72056494526365696              ; 0xff0000ffffff0000
	.quad	1099511562495                   ; 0xffffff00ff
	.quad	1099511627520                   ; 0xffffffff00
	.quad	-72056494526300161              ; 0xff0000ffffffffff
	.quad	-71777218572845056              ; 0xff00ff0000000000
	.quad	280375465083135                 ; 0xff00000000ff
	.quad	280375465148160                 ; 0xff000000ff00
	.quad	-71777218572779521              ; 0xff00ff000000ffff
	.quad	280375481794560                 ; 0xff0000ff0000
	.quad	-71777218556133121              ; 0xff00ff0000ff00ff
	.quad	-71777218556068096              ; 0xff00ff0000ffff00
	.quad	280375481860095                 ; 0xff0000ffffff
	.quad	280379743272960                 ; 0xff00ff000000
	.quad	-71777214294654721              ; 0xff00ff00ff0000ff
	.quad	-71777214294589696              ; 0xff00ff00ff00ff00
	.quad	280379743338495                 ; 0xff00ff00ffff
	.quad	-71777214277943296              ; 0xff00ff00ffff0000
	.quad	280379759984895                 ; 0xff00ffff00ff
	.quad	280379760049920                 ; 0xff00ffffff00
	.quad	-71777214277877761              ; 0xff00ff00ffffffff
	.quad	281470681743360                 ; 0xffff00000000
	.quad	-71776123356184321              ; 0xff00ffff000000ff
	.quad	-71776123356119296              ; 0xff00ffff0000ff00
	.quad	281470681808895                 ; 0xffff0000ffff
	.quad	-71776123339472896              ; 0xff00ffff00ff0000
	.quad	281470698455295                 ; 0xffff00ff00ff
	.quad	281470698520320                 ; 0xffff00ffff00
	.quad	-71776123339407361              ; 0xff00ffff00ffffff
	.quad	-71776119077994496              ; 0xff00ffffff000000
	.quad	281474959933695                 ; 0xffffff0000ff
	.quad	281474959998720                 ; 0xffffff00ff00
	.quad	-71776119077928961              ; 0xff00ffffff00ffff
	.quad	281474976645120                 ; 0xffffffff0000
	.quad	-71776119061282561              ; 0xff00ffffffff00ff
	.quad	-71776119061217536              ; 0xff00ffffffffff00
	.quad	281474976710655                 ; 0xffffffffffff
	.quad	-281474976710656                ; 0xffff000000000000
	.quad	71776119061217535               ; 0xff0000000000ff
	.quad	71776119061282560               ; 0xff00000000ff00
	.quad	-281474976645121                ; 0xffff00000000ffff
	.quad	71776119077928960               ; 0xff000000ff0000
	.quad	-281474959998721                ; 0xffff000000ff00ff
	.quad	-281474959933696                ; 0xffff000000ffff00
	.quad	71776119077994495               ; 0xff000000ffffff
	.quad	71776123339407360               ; 0xff0000ff000000
	.quad	-281470698520321                ; 0xffff0000ff0000ff
	.quad	-281470698455296                ; 0xffff0000ff00ff00
	.quad	71776123339472895               ; 0xff0000ff00ffff
	.quad	-281470681808896                ; 0xffff0000ffff0000
	.quad	71776123356119295               ; 0xff0000ffff00ff
	.quad	71776123356184320               ; 0xff0000ffffff00
	.quad	-281470681743361                ; 0xffff0000ffffffff
	.quad	71777214277877760               ; 0xff00ff00000000
	.quad	-280379760049921                ; 0xffff00ff000000ff
	.quad	-280379759984896                ; 0xffff00ff0000ff00
	.quad	71777214277943295               ; 0xff00ff0000ffff
	.quad	-280379743338496                ; 0xffff00ff00ff0000
	.quad	71777214294589695               ; 0xff00ff00ff00ff
	.quad	71777214294654720               ; 0xff00ff00ffff00
	.quad	-280379743272961                ; 0xffff00ff00ffffff
	.quad	-280375481860096                ; 0xffff00ffff000000
	.quad	71777218556068095               ; 0xff00ffff0000ff
	.quad	71777218556133120               ; 0xff00ffff00ff00
	.quad	-280375481794561                ; 0xffff00ffff00ffff
	.quad	71777218572779520               ; 0xff00ffffff0000
	.quad	-280375465148161                ; 0xffff00ffffff00ff
	.quad	-280375465083136                ; 0xffff00ffffffff00
	.quad	71777218572845055               ; 0xff00ffffffffff
	.quad	72056494526300160               ; 0xffff0000000000
	.quad	-1099511627521                  ; 0xffffff00000000ff
	.quad	-1099511562496                  ; 0xffffff000000ff00
	.quad	72056494526365695               ; 0xffff000000ffff
	.quad	-1099494916096                  ; 0xffffff0000ff0000
	.quad	72056494543012095               ; 0xffff0000ff00ff
	.quad	72056494543077120               ; 0xffff0000ffff00
	.quad	-1099494850561                  ; 0xffffff0000ffffff
	.quad	-1095233437696                  ; 0xffffff00ff000000
	.quad	72056498804490495               ; 0xffff00ff0000ff
	.quad	72056498804555520               ; 0xffff00ff00ff00
	.quad	-1095233372161                  ; 0xffffff00ff00ffff
	.quad	72056498821201920               ; 0xffff00ffff0000
	.quad	-1095216725761                  ; 0xffffff00ffff00ff
	.quad	-1095216660736                  ; 0xffffff00ffffff00
	.quad	72056498821267455               ; 0xffff00ffffffff
	.quad	-4294967296                     ; 0xffffffff00000000
	.quad	72057589742960895               ; 0xffffff000000ff
	.quad	72057589743025920               ; 0xffffff0000ff00
	.quad	-4294901761                     ; 0xffffffff0000ffff
	.quad	72057589759672320               ; 0xffffff00ff0000
	.quad	-4278255361                     ; 0xffffffff00ff00ff
	.quad	-4278190336                     ; 0xffffffff00ffff00
	.quad	72057589759737855               ; 0xffffff00ffffff
	.quad	72057594021150720               ; 0xffffffff000000
	.quad	-16776961                       ; 0xffffffffff0000ff
	.quad	-16711936                       ; 0xffffffffff00ff00
	.quad	72057594021216255               ; 0xffffffff00ffff
	.quad	-65536                          ; 0xffffffffffff0000
	.quad	72057594037862655               ; 0xffffffffff00ff
	.quad	72057594037927680               ; 0xffffffffffff00
	.quad	-1                              ; 0xffffffffffffffff
	.size	_ZL8ksigns64, 1024

	.type	__hip_cuid_d8631e3b4851029e,@object ; @__hip_cuid_d8631e3b4851029e
	.section	.bss,"aw",@nobits
	.globl	__hip_cuid_d8631e3b4851029e
__hip_cuid_d8631e3b4851029e:
	.byte	0                               ; 0x0
	.size	__hip_cuid_d8631e3b4851029e, 1

	.ident	"AMD clang version 22.0.0git (https://github.com/RadeonOpenCompute/llvm-project roc-7.2.4 26084 f58b06dce1f9c15707c5f808fd002e18c2accf7e)"
	.section	".note.GNU-stack","",@progbits
	.addrsig
	.addrsig_sym __hip_cuid_d8631e3b4851029e
	.amdgpu_metadata
---
amdhsa.kernels:
  - .args:
      - .actual_access:  read_only
        .address_space:  global
        .offset:         0
        .size:           8
        .value_kind:     global_buffer
      - .actual_access:  write_only
        .address_space:  global
        .offset:         8
        .size:           8
        .value_kind:     global_buffer
      - .offset:         16
        .size:           8
        .value_kind:     by_value
      - .offset:         24
        .size:           4
        .value_kind:     hidden_block_count_x
      - .offset:         28
        .size:           4
        .value_kind:     hidden_block_count_y
      - .offset:         32
        .size:           4
        .value_kind:     hidden_block_count_z
      - .offset:         36
        .size:           2
        .value_kind:     hidden_group_size_x
      - .offset:         38
        .size:           2
        .value_kind:     hidden_group_size_y
      - .offset:         40
        .size:           2
        .value_kind:     hidden_group_size_z
      - .offset:         42
        .size:           2
        .value_kind:     hidden_remainder_x
      - .offset:         44
        .size:           2
        .value_kind:     hidden_remainder_y
      - .offset:         46
        .size:           2
        .value_kind:     hidden_remainder_z
      - .offset:         64
        .size:           8
        .value_kind:     hidden_global_offset_x
      - .offset:         72
        .size:           8
        .value_kind:     hidden_global_offset_y
      - .offset:         80
        .size:           8
        .value_kind:     hidden_global_offset_z
      - .offset:         88
        .size:           2
        .value_kind:     hidden_grid_dims
    .group_segment_fixed_size: 0
    .kernarg_segment_align: 8
    .kernarg_segment_size: 280
    .language:       OpenCL C
    .language_version:
      - 2
      - 0
    .max_flat_workgroup_size: 1024
    .name:           _ZL16dequantize_blockILi32ELi2EXadL_ZL15dequantize_q4_0PKviiR7__half2EEfEvS1_PT2_l
    .private_segment_fixed_size: 0
    .sgpr_count:     9
    .sgpr_spill_count: 0
    .symbol:         _ZL16dequantize_blockILi32ELi2EXadL_ZL15dequantize_q4_0PKviiR7__half2EEfEvS1_PT2_l.kd
    .uniform_work_group_size: 1
    .uses_dynamic_stack: false
    .vgpr_count:     9
    .vgpr_spill_count: 0
    .wavefront_size: 32
  - .args:
      - .actual_access:  read_only
        .address_space:  global
        .offset:         0
        .size:           8
        .value_kind:     global_buffer
      - .actual_access:  write_only
        .address_space:  global
        .offset:         8
        .size:           8
        .value_kind:     global_buffer
      - .offset:         16
        .size:           8
        .value_kind:     by_value
      - .offset:         24
        .size:           4
        .value_kind:     hidden_block_count_x
      - .offset:         28
        .size:           4
        .value_kind:     hidden_block_count_y
      - .offset:         32
        .size:           4
        .value_kind:     hidden_block_count_z
      - .offset:         36
        .size:           2
        .value_kind:     hidden_group_size_x
      - .offset:         38
        .size:           2
        .value_kind:     hidden_group_size_y
      - .offset:         40
        .size:           2
        .value_kind:     hidden_group_size_z
      - .offset:         42
        .size:           2
        .value_kind:     hidden_remainder_x
      - .offset:         44
        .size:           2
        .value_kind:     hidden_remainder_y
      - .offset:         46
        .size:           2
        .value_kind:     hidden_remainder_z
      - .offset:         64
        .size:           8
        .value_kind:     hidden_global_offset_x
      - .offset:         72
        .size:           8
        .value_kind:     hidden_global_offset_y
      - .offset:         80
        .size:           8
        .value_kind:     hidden_global_offset_z
      - .offset:         88
        .size:           2
        .value_kind:     hidden_grid_dims
    .group_segment_fixed_size: 0
    .kernarg_segment_align: 8
    .kernarg_segment_size: 280
    .language:       OpenCL C
    .language_version:
      - 2
      - 0
    .max_flat_workgroup_size: 1024
    .name:           _ZL16dequantize_blockILi32ELi2EXadL_ZL15dequantize_q4_1PKviiR7__half2EEfEvS1_PT2_l
    .private_segment_fixed_size: 0
    .sgpr_count:     9
    .sgpr_spill_count: 0
    .symbol:         _ZL16dequantize_blockILi32ELi2EXadL_ZL15dequantize_q4_1PKviiR7__half2EEfEvS1_PT2_l.kd
    .uniform_work_group_size: 1
    .uses_dynamic_stack: false
    .vgpr_count:     9
    .vgpr_spill_count: 0
    .wavefront_size: 32
  - .args:
      - .actual_access:  read_only
        .address_space:  global
        .offset:         0
        .size:           8
        .value_kind:     global_buffer
      - .actual_access:  write_only
        .address_space:  global
        .offset:         8
        .size:           8
        .value_kind:     global_buffer
      - .offset:         16
        .size:           8
        .value_kind:     by_value
      - .offset:         24
        .size:           4
        .value_kind:     hidden_block_count_x
      - .offset:         28
        .size:           4
        .value_kind:     hidden_block_count_y
      - .offset:         32
        .size:           4
        .value_kind:     hidden_block_count_z
      - .offset:         36
        .size:           2
        .value_kind:     hidden_group_size_x
      - .offset:         38
        .size:           2
        .value_kind:     hidden_group_size_y
      - .offset:         40
        .size:           2
        .value_kind:     hidden_group_size_z
      - .offset:         42
        .size:           2
        .value_kind:     hidden_remainder_x
      - .offset:         44
        .size:           2
        .value_kind:     hidden_remainder_y
      - .offset:         46
        .size:           2
        .value_kind:     hidden_remainder_z
      - .offset:         64
        .size:           8
        .value_kind:     hidden_global_offset_x
      - .offset:         72
        .size:           8
        .value_kind:     hidden_global_offset_y
      - .offset:         80
        .size:           8
        .value_kind:     hidden_global_offset_z
      - .offset:         88
        .size:           2
        .value_kind:     hidden_grid_dims
    .group_segment_fixed_size: 0
    .kernarg_segment_align: 8
    .kernarg_segment_size: 280
    .language:       OpenCL C
    .language_version:
      - 2
      - 0
    .max_flat_workgroup_size: 1024
    .name:           _ZL16dequantize_blockILi32ELi2EXadL_ZL15dequantize_q5_0PKviiR7__half2EEfEvS1_PT2_l
    .private_segment_fixed_size: 0
    .sgpr_count:     9
    .sgpr_spill_count: 0
    .symbol:         _ZL16dequantize_blockILi32ELi2EXadL_ZL15dequantize_q5_0PKviiR7__half2EEfEvS1_PT2_l.kd
    .uniform_work_group_size: 1
    .uses_dynamic_stack: false
    .vgpr_count:     9
    .vgpr_spill_count: 0
    .wavefront_size: 32
  - .args:
      - .actual_access:  read_only
        .address_space:  global
        .offset:         0
        .size:           8
        .value_kind:     global_buffer
      - .actual_access:  write_only
        .address_space:  global
        .offset:         8
        .size:           8
        .value_kind:     global_buffer
      - .offset:         16
        .size:           8
        .value_kind:     by_value
      - .offset:         24
        .size:           4
        .value_kind:     hidden_block_count_x
      - .offset:         28
        .size:           4
        .value_kind:     hidden_block_count_y
      - .offset:         32
        .size:           4
        .value_kind:     hidden_block_count_z
      - .offset:         36
        .size:           2
        .value_kind:     hidden_group_size_x
      - .offset:         38
        .size:           2
        .value_kind:     hidden_group_size_y
      - .offset:         40
        .size:           2
        .value_kind:     hidden_group_size_z
      - .offset:         42
        .size:           2
        .value_kind:     hidden_remainder_x
      - .offset:         44
        .size:           2
        .value_kind:     hidden_remainder_y
      - .offset:         46
        .size:           2
        .value_kind:     hidden_remainder_z
      - .offset:         64
        .size:           8
        .value_kind:     hidden_global_offset_x
      - .offset:         72
        .size:           8
        .value_kind:     hidden_global_offset_y
      - .offset:         80
        .size:           8
        .value_kind:     hidden_global_offset_z
      - .offset:         88
        .size:           2
        .value_kind:     hidden_grid_dims
    .group_segment_fixed_size: 0
    .kernarg_segment_align: 8
    .kernarg_segment_size: 280
    .language:       OpenCL C
    .language_version:
      - 2
      - 0
    .max_flat_workgroup_size: 1024
    .name:           _ZL16dequantize_blockILi32ELi2EXadL_ZL15dequantize_q5_1PKviiR7__half2EEfEvS1_PT2_l
    .private_segment_fixed_size: 0
    .sgpr_count:     9
    .sgpr_spill_count: 0
    .symbol:         _ZL16dequantize_blockILi32ELi2EXadL_ZL15dequantize_q5_1PKviiR7__half2EEfEvS1_PT2_l.kd
    .uniform_work_group_size: 1
    .uses_dynamic_stack: false
    .vgpr_count:     10
    .vgpr_spill_count: 0
    .wavefront_size: 32
  - .args:
      - .actual_access:  read_only
        .address_space:  global
        .offset:         0
        .size:           8
        .value_kind:     global_buffer
      - .actual_access:  write_only
        .address_space:  global
        .offset:         8
        .size:           8
        .value_kind:     global_buffer
      - .offset:         16
        .size:           8
        .value_kind:     by_value
      - .offset:         24
        .size:           4
        .value_kind:     hidden_block_count_x
      - .offset:         28
        .size:           4
        .value_kind:     hidden_block_count_y
      - .offset:         32
        .size:           4
        .value_kind:     hidden_block_count_z
      - .offset:         36
        .size:           2
        .value_kind:     hidden_group_size_x
      - .offset:         38
        .size:           2
        .value_kind:     hidden_group_size_y
      - .offset:         40
        .size:           2
        .value_kind:     hidden_group_size_z
      - .offset:         42
        .size:           2
        .value_kind:     hidden_remainder_x
      - .offset:         44
        .size:           2
        .value_kind:     hidden_remainder_y
      - .offset:         46
        .size:           2
        .value_kind:     hidden_remainder_z
      - .offset:         64
        .size:           8
        .value_kind:     hidden_global_offset_x
      - .offset:         72
        .size:           8
        .value_kind:     hidden_global_offset_y
      - .offset:         80
        .size:           8
        .value_kind:     hidden_global_offset_z
      - .offset:         88
        .size:           2
        .value_kind:     hidden_grid_dims
    .group_segment_fixed_size: 0
    .kernarg_segment_align: 8
    .kernarg_segment_size: 280
    .language:       OpenCL C
    .language_version:
      - 2
      - 0
    .max_flat_workgroup_size: 1024
    .name:           _ZL16dequantize_blockILi32ELi1EXadL_ZL15dequantize_q8_0PKviiR7__half2EEfEvS1_PT2_l
    .private_segment_fixed_size: 0
    .sgpr_count:     9
    .sgpr_spill_count: 0
    .symbol:         _ZL16dequantize_blockILi32ELi1EXadL_ZL15dequantize_q8_0PKviiR7__half2EEfEvS1_PT2_l.kd
    .uniform_work_group_size: 1
    .uses_dynamic_stack: false
    .vgpr_count:     8
    .vgpr_spill_count: 0
    .wavefront_size: 32
  - .args:
      - .actual_access:  read_only
        .address_space:  global
        .offset:         0
        .size:           8
        .value_kind:     global_buffer
      - .actual_access:  write_only
        .address_space:  global
        .offset:         8
        .size:           8
        .value_kind:     global_buffer
    .group_segment_fixed_size: 0
    .kernarg_segment_align: 8
    .kernarg_segment_size: 16
    .language:       OpenCL C
    .language_version:
      - 2
      - 0
    .max_flat_workgroup_size: 1024
    .name:           _ZL21dequantize_block_q2_KIfEvPKvPT_
    .private_segment_fixed_size: 0
    .sgpr_count:     8
    .sgpr_spill_count: 0
    .symbol:         _ZL21dequantize_block_q2_KIfEvPKvPT_.kd
    .uniform_work_group_size: 1
    .uses_dynamic_stack: false
    .vgpr_count:     16
    .vgpr_spill_count: 0
    .wavefront_size: 32
  - .args:
      - .actual_access:  read_only
        .address_space:  global
        .offset:         0
        .size:           8
        .value_kind:     global_buffer
      - .actual_access:  write_only
        .address_space:  global
        .offset:         8
        .size:           8
        .value_kind:     global_buffer
    .group_segment_fixed_size: 0
    .kernarg_segment_align: 8
    .kernarg_segment_size: 16
    .language:       OpenCL C
    .language_version:
      - 2
      - 0
    .max_flat_workgroup_size: 1024
    .name:           _ZL21dequantize_block_q3_KIfEvPKvPT_
    .private_segment_fixed_size: 0
    .sgpr_count:     14
    .sgpr_spill_count: 0
    .symbol:         _ZL21dequantize_block_q3_KIfEvPKvPT_.kd
    .uniform_work_group_size: 1
    .uses_dynamic_stack: false
    .vgpr_count:     20
    .vgpr_spill_count: 0
    .wavefront_size: 32
  - .args:
      - .actual_access:  read_only
        .address_space:  global
        .offset:         0
        .size:           8
        .value_kind:     global_buffer
      - .actual_access:  write_only
        .address_space:  global
        .offset:         8
        .size:           8
        .value_kind:     global_buffer
    .group_segment_fixed_size: 0
    .kernarg_segment_align: 8
    .kernarg_segment_size: 16
    .language:       OpenCL C
    .language_version:
      - 2
      - 0
    .max_flat_workgroup_size: 1024
    .name:           _ZL21dequantize_block_q4_KIfEvPKvPT_
    .private_segment_fixed_size: 0
    .sgpr_count:     10
    .sgpr_spill_count: 0
    .symbol:         _ZL21dequantize_block_q4_KIfEvPKvPT_.kd
    .uniform_work_group_size: 1
    .uses_dynamic_stack: false
    .vgpr_count:     16
    .vgpr_spill_count: 0
    .wavefront_size: 32
  - .args:
      - .actual_access:  read_only
        .address_space:  global
        .offset:         0
        .size:           8
        .value_kind:     global_buffer
      - .actual_access:  write_only
        .address_space:  global
        .offset:         8
        .size:           8
        .value_kind:     global_buffer
    .group_segment_fixed_size: 0
    .kernarg_segment_align: 8
    .kernarg_segment_size: 16
    .language:       OpenCL C
    .language_version:
      - 2
      - 0
    .max_flat_workgroup_size: 1024
    .name:           _ZL21dequantize_block_q5_KIfEvPKvPT_
    .private_segment_fixed_size: 0
    .sgpr_count:     10
    .sgpr_spill_count: 0
    .symbol:         _ZL21dequantize_block_q5_KIfEvPKvPT_.kd
    .uniform_work_group_size: 1
    .uses_dynamic_stack: false
    .vgpr_count:     17
    .vgpr_spill_count: 0
    .wavefront_size: 32
  - .args:
      - .actual_access:  read_only
        .address_space:  global
        .offset:         0
        .size:           8
        .value_kind:     global_buffer
      - .actual_access:  write_only
        .address_space:  global
        .offset:         8
        .size:           8
        .value_kind:     global_buffer
    .group_segment_fixed_size: 0
    .kernarg_segment_align: 8
    .kernarg_segment_size: 16
    .language:       OpenCL C
    .language_version:
      - 2
      - 0
    .max_flat_workgroup_size: 1024
    .name:           _ZL21dequantize_block_q6_KIfEvPKvPT_
    .private_segment_fixed_size: 0
    .sgpr_count:     10
    .sgpr_spill_count: 0
    .symbol:         _ZL21dequantize_block_q6_KIfEvPKvPT_.kd
    .uniform_work_group_size: 1
    .uses_dynamic_stack: false
    .vgpr_count:     15
    .vgpr_spill_count: 0
    .wavefront_size: 32
  - .args:
      - .actual_access:  read_only
        .address_space:  global
        .offset:         0
        .size:           8
        .value_kind:     global_buffer
      - .actual_access:  write_only
        .address_space:  global
        .offset:         8
        .size:           8
        .value_kind:     global_buffer
    .group_segment_fixed_size: 0
    .kernarg_segment_align: 8
    .kernarg_segment_size: 16
    .language:       OpenCL C
    .language_version:
      - 2
      - 0
    .max_flat_workgroup_size: 1024
    .name:           _ZL24dequantize_block_iq2_xxsIfEvPKvPT_
    .private_segment_fixed_size: 0
    .sgpr_count:     12
    .sgpr_spill_count: 0
    .symbol:         _ZL24dequantize_block_iq2_xxsIfEvPKvPT_.kd
    .uniform_work_group_size: 1
    .uses_dynamic_stack: false
    .vgpr_count:     21
    .vgpr_spill_count: 0
    .wavefront_size: 32
  - .args:
      - .actual_access:  read_only
        .address_space:  global
        .offset:         0
        .size:           8
        .value_kind:     global_buffer
      - .actual_access:  write_only
        .address_space:  global
        .offset:         8
        .size:           8
        .value_kind:     global_buffer
    .group_segment_fixed_size: 0
    .kernarg_segment_align: 8
    .kernarg_segment_size: 16
    .language:       OpenCL C
    .language_version:
      - 2
      - 0
    .max_flat_workgroup_size: 1024
    .name:           _ZL23dequantize_block_iq2_xsIfEvPKvPT_
    .private_segment_fixed_size: 0
    .sgpr_count:     12
    .sgpr_spill_count: 0
    .symbol:         _ZL23dequantize_block_iq2_xsIfEvPKvPT_.kd
    .uniform_work_group_size: 1
    .uses_dynamic_stack: false
    .vgpr_count:     21
    .vgpr_spill_count: 0
    .wavefront_size: 32
  - .args:
      - .actual_access:  read_only
        .address_space:  global
        .offset:         0
        .size:           8
        .value_kind:     global_buffer
      - .actual_access:  write_only
        .address_space:  global
        .offset:         8
        .size:           8
        .value_kind:     global_buffer
    .group_segment_fixed_size: 0
    .kernarg_segment_align: 8
    .kernarg_segment_size: 16
    .language:       OpenCL C
    .language_version:
      - 2
      - 0
    .max_flat_workgroup_size: 1024
    .name:           _ZL24dequantize_block_iq3_xxsIfEvPKvPT_
    .private_segment_fixed_size: 0
    .sgpr_count:     12
    .sgpr_spill_count: 0
    .symbol:         _ZL24dequantize_block_iq3_xxsIfEvPKvPT_.kd
    .uniform_work_group_size: 1
    .uses_dynamic_stack: false
    .vgpr_count:     23
    .vgpr_spill_count: 0
    .wavefront_size: 32
  - .args:
      - .actual_access:  read_only
        .address_space:  global
        .offset:         0
        .size:           8
        .value_kind:     global_buffer
      - .actual_access:  write_only
        .address_space:  global
        .offset:         8
        .size:           8
        .value_kind:     global_buffer
    .group_segment_fixed_size: 0
    .kernarg_segment_align: 8
    .kernarg_segment_size: 16
    .language:       OpenCL C
    .language_version:
      - 2
      - 0
    .max_flat_workgroup_size: 1024
    .name:           _ZL22dequantize_block_iq1_sIfEvPKvPT_
    .private_segment_fixed_size: 0
    .sgpr_count:     10
    .sgpr_spill_count: 0
    .symbol:         _ZL22dequantize_block_iq1_sIfEvPKvPT_.kd
    .uniform_work_group_size: 1
    .uses_dynamic_stack: false
    .vgpr_count:     18
    .vgpr_spill_count: 0
    .wavefront_size: 32
  - .args:
      - .actual_access:  read_only
        .address_space:  global
        .offset:         0
        .size:           8
        .value_kind:     global_buffer
      - .actual_access:  write_only
        .address_space:  global
        .offset:         8
        .size:           8
        .value_kind:     global_buffer
    .group_segment_fixed_size: 0
    .kernarg_segment_align: 8
    .kernarg_segment_size: 16
    .language:       OpenCL C
    .language_version:
      - 2
      - 0
    .max_flat_workgroup_size: 1024
    .name:           _ZL23dequantize_block_iq4_nlIfEvPKvPT_
    .private_segment_fixed_size: 0
    .sgpr_count:     9
    .sgpr_spill_count: 0
    .symbol:         _ZL23dequantize_block_iq4_nlIfEvPKvPT_.kd
    .uniform_work_group_size: 1
    .uses_dynamic_stack: false
    .vgpr_count:     21
    .vgpr_spill_count: 0
    .wavefront_size: 32
  - .args:
      - .actual_access:  read_only
        .address_space:  global
        .offset:         0
        .size:           8
        .value_kind:     global_buffer
      - .actual_access:  write_only
        .address_space:  global
        .offset:         8
        .size:           8
        .value_kind:     global_buffer
    .group_segment_fixed_size: 0
    .kernarg_segment_align: 8
    .kernarg_segment_size: 16
    .language:       OpenCL C
    .language_version:
      - 2
      - 0
    .max_flat_workgroup_size: 1024
    .name:           _ZL22dequantize_block_iq3_sIfEvPKvPT_
    .private_segment_fixed_size: 0
    .sgpr_count:     12
    .sgpr_spill_count: 0
    .symbol:         _ZL22dequantize_block_iq3_sIfEvPKvPT_.kd
    .uniform_work_group_size: 1
    .uses_dynamic_stack: false
    .vgpr_count:     23
    .vgpr_spill_count: 0
    .wavefront_size: 32
  - .args:
      - .actual_access:  read_only
        .address_space:  global
        .offset:         0
        .size:           8
        .value_kind:     global_buffer
      - .actual_access:  write_only
        .address_space:  global
        .offset:         8
        .size:           8
        .value_kind:     global_buffer
    .group_segment_fixed_size: 0
    .kernarg_segment_align: 8
    .kernarg_segment_size: 16
    .language:       OpenCL C
    .language_version:
      - 2
      - 0
    .max_flat_workgroup_size: 1024
    .name:           _ZL22dequantize_block_iq2_sIfEvPKvPT_
    .private_segment_fixed_size: 0
    .sgpr_count:     12
    .sgpr_spill_count: 0
    .symbol:         _ZL22dequantize_block_iq2_sIfEvPKvPT_.kd
    .uniform_work_group_size: 1
    .uses_dynamic_stack: false
    .vgpr_count:     22
    .vgpr_spill_count: 0
    .wavefront_size: 32
  - .args:
      - .actual_access:  read_only
        .address_space:  global
        .offset:         0
        .size:           8
        .value_kind:     global_buffer
      - .actual_access:  write_only
        .address_space:  global
        .offset:         8
        .size:           8
        .value_kind:     global_buffer
    .group_segment_fixed_size: 0
    .kernarg_segment_align: 8
    .kernarg_segment_size: 16
    .language:       OpenCL C
    .language_version:
      - 2
      - 0
    .max_flat_workgroup_size: 1024
    .name:           _ZL23dequantize_block_iq4_xsIfEvPKvPT_
    .private_segment_fixed_size: 0
    .sgpr_count:     9
    .sgpr_spill_count: 0
    .symbol:         _ZL23dequantize_block_iq4_xsIfEvPKvPT_.kd
    .uniform_work_group_size: 1
    .uses_dynamic_stack: false
    .vgpr_count:     24
    .vgpr_spill_count: 0
    .wavefront_size: 32
  - .args:
      - .actual_access:  read_only
        .address_space:  global
        .offset:         0
        .size:           8
        .value_kind:     global_buffer
      - .actual_access:  write_only
        .address_space:  global
        .offset:         8
        .size:           8
        .value_kind:     global_buffer
    .group_segment_fixed_size: 0
    .kernarg_segment_align: 8
    .kernarg_segment_size: 16
    .language:       OpenCL C
    .language_version:
      - 2
      - 0
    .max_flat_workgroup_size: 1024
    .name:           _ZL22dequantize_block_iq1_mIfEvPKvPT_
    .private_segment_fixed_size: 0
    .sgpr_count:     10
    .sgpr_spill_count: 0
    .symbol:         _ZL22dequantize_block_iq1_mIfEvPKvPT_.kd
    .uniform_work_group_size: 1
    .uses_dynamic_stack: false
    .vgpr_count:     18
    .vgpr_spill_count: 0
    .wavefront_size: 32
  - .args:
      - .actual_access:  read_only
        .address_space:  global
        .offset:         0
        .size:           8
        .value_kind:     global_buffer
      - .actual_access:  write_only
        .address_space:  global
        .offset:         8
        .size:           8
        .value_kind:     global_buffer
      - .offset:         16
        .size:           8
        .value_kind:     by_value
      - .offset:         24
        .size:           4
        .value_kind:     hidden_block_count_x
      - .offset:         28
        .size:           4
        .value_kind:     hidden_block_count_y
      - .offset:         32
        .size:           4
        .value_kind:     hidden_block_count_z
      - .offset:         36
        .size:           2
        .value_kind:     hidden_group_size_x
      - .offset:         38
        .size:           2
        .value_kind:     hidden_group_size_y
      - .offset:         40
        .size:           2
        .value_kind:     hidden_group_size_z
      - .offset:         42
        .size:           2
        .value_kind:     hidden_remainder_x
      - .offset:         44
        .size:           2
        .value_kind:     hidden_remainder_y
      - .offset:         46
        .size:           2
        .value_kind:     hidden_remainder_z
      - .offset:         64
        .size:           8
        .value_kind:     hidden_global_offset_x
      - .offset:         72
        .size:           8
        .value_kind:     hidden_global_offset_y
      - .offset:         80
        .size:           8
        .value_kind:     hidden_global_offset_z
      - .offset:         88
        .size:           2
        .value_kind:     hidden_grid_dims
    .group_segment_fixed_size: 0
    .kernarg_segment_align: 8
    .kernarg_segment_size: 280
    .language:       OpenCL C
    .language_version:
      - 2
      - 0
    .max_flat_workgroup_size: 1024
    .name:           _ZL16dequantize_blockILi32ELi2EXadL_ZL15dequantize_q4_0PKviiR7__half2EEN3c104HalfEEvS1_PT2_l
    .private_segment_fixed_size: 0
    .sgpr_count:     9
    .sgpr_spill_count: 0
    .symbol:         _ZL16dequantize_blockILi32ELi2EXadL_ZL15dequantize_q4_0PKviiR7__half2EEN3c104HalfEEvS1_PT2_l.kd
    .uniform_work_group_size: 1
    .uses_dynamic_stack: false
    .vgpr_count:     9
    .vgpr_spill_count: 0
    .wavefront_size: 32
  - .args:
      - .actual_access:  read_only
        .address_space:  global
        .offset:         0
        .size:           8
        .value_kind:     global_buffer
      - .actual_access:  write_only
        .address_space:  global
        .offset:         8
        .size:           8
        .value_kind:     global_buffer
      - .offset:         16
        .size:           8
        .value_kind:     by_value
      - .offset:         24
        .size:           4
        .value_kind:     hidden_block_count_x
      - .offset:         28
        .size:           4
        .value_kind:     hidden_block_count_y
      - .offset:         32
        .size:           4
        .value_kind:     hidden_block_count_z
      - .offset:         36
        .size:           2
        .value_kind:     hidden_group_size_x
      - .offset:         38
        .size:           2
        .value_kind:     hidden_group_size_y
      - .offset:         40
        .size:           2
        .value_kind:     hidden_group_size_z
      - .offset:         42
        .size:           2
        .value_kind:     hidden_remainder_x
      - .offset:         44
        .size:           2
        .value_kind:     hidden_remainder_y
      - .offset:         46
        .size:           2
        .value_kind:     hidden_remainder_z
      - .offset:         64
        .size:           8
        .value_kind:     hidden_global_offset_x
      - .offset:         72
        .size:           8
        .value_kind:     hidden_global_offset_y
      - .offset:         80
        .size:           8
        .value_kind:     hidden_global_offset_z
      - .offset:         88
        .size:           2
        .value_kind:     hidden_grid_dims
    .group_segment_fixed_size: 0
    .kernarg_segment_align: 8
    .kernarg_segment_size: 280
    .language:       OpenCL C
    .language_version:
      - 2
      - 0
    .max_flat_workgroup_size: 1024
    .name:           _ZL16dequantize_blockILi32ELi2EXadL_ZL15dequantize_q4_1PKviiR7__half2EEN3c104HalfEEvS1_PT2_l
    .private_segment_fixed_size: 0
    .sgpr_count:     9
    .sgpr_spill_count: 0
    .symbol:         _ZL16dequantize_blockILi32ELi2EXadL_ZL15dequantize_q4_1PKviiR7__half2EEN3c104HalfEEvS1_PT2_l.kd
    .uniform_work_group_size: 1
    .uses_dynamic_stack: false
    .vgpr_count:     9
    .vgpr_spill_count: 0
    .wavefront_size: 32
  - .args:
      - .actual_access:  read_only
        .address_space:  global
        .offset:         0
        .size:           8
        .value_kind:     global_buffer
      - .actual_access:  write_only
        .address_space:  global
        .offset:         8
        .size:           8
        .value_kind:     global_buffer
      - .offset:         16
        .size:           8
        .value_kind:     by_value
      - .offset:         24
        .size:           4
        .value_kind:     hidden_block_count_x
      - .offset:         28
        .size:           4
        .value_kind:     hidden_block_count_y
      - .offset:         32
        .size:           4
        .value_kind:     hidden_block_count_z
      - .offset:         36
        .size:           2
        .value_kind:     hidden_group_size_x
      - .offset:         38
        .size:           2
        .value_kind:     hidden_group_size_y
      - .offset:         40
        .size:           2
        .value_kind:     hidden_group_size_z
      - .offset:         42
        .size:           2
        .value_kind:     hidden_remainder_x
      - .offset:         44
        .size:           2
        .value_kind:     hidden_remainder_y
      - .offset:         46
        .size:           2
        .value_kind:     hidden_remainder_z
      - .offset:         64
        .size:           8
        .value_kind:     hidden_global_offset_x
      - .offset:         72
        .size:           8
        .value_kind:     hidden_global_offset_y
      - .offset:         80
        .size:           8
        .value_kind:     hidden_global_offset_z
      - .offset:         88
        .size:           2
        .value_kind:     hidden_grid_dims
    .group_segment_fixed_size: 0
    .kernarg_segment_align: 8
    .kernarg_segment_size: 280
    .language:       OpenCL C
    .language_version:
      - 2
      - 0
    .max_flat_workgroup_size: 1024
    .name:           _ZL16dequantize_blockILi32ELi2EXadL_ZL15dequantize_q5_0PKviiR7__half2EEN3c104HalfEEvS1_PT2_l
    .private_segment_fixed_size: 0
    .sgpr_count:     9
    .sgpr_spill_count: 0
    .symbol:         _ZL16dequantize_blockILi32ELi2EXadL_ZL15dequantize_q5_0PKviiR7__half2EEN3c104HalfEEvS1_PT2_l.kd
    .uniform_work_group_size: 1
    .uses_dynamic_stack: false
    .vgpr_count:     9
    .vgpr_spill_count: 0
    .wavefront_size: 32
  - .args:
      - .actual_access:  read_only
        .address_space:  global
        .offset:         0
        .size:           8
        .value_kind:     global_buffer
      - .actual_access:  write_only
        .address_space:  global
        .offset:         8
        .size:           8
        .value_kind:     global_buffer
      - .offset:         16
        .size:           8
        .value_kind:     by_value
      - .offset:         24
        .size:           4
        .value_kind:     hidden_block_count_x
      - .offset:         28
        .size:           4
        .value_kind:     hidden_block_count_y
      - .offset:         32
        .size:           4
        .value_kind:     hidden_block_count_z
      - .offset:         36
        .size:           2
        .value_kind:     hidden_group_size_x
      - .offset:         38
        .size:           2
        .value_kind:     hidden_group_size_y
      - .offset:         40
        .size:           2
        .value_kind:     hidden_group_size_z
      - .offset:         42
        .size:           2
        .value_kind:     hidden_remainder_x
      - .offset:         44
        .size:           2
        .value_kind:     hidden_remainder_y
      - .offset:         46
        .size:           2
        .value_kind:     hidden_remainder_z
      - .offset:         64
        .size:           8
        .value_kind:     hidden_global_offset_x
      - .offset:         72
        .size:           8
        .value_kind:     hidden_global_offset_y
      - .offset:         80
        .size:           8
        .value_kind:     hidden_global_offset_z
      - .offset:         88
        .size:           2
        .value_kind:     hidden_grid_dims
    .group_segment_fixed_size: 0
    .kernarg_segment_align: 8
    .kernarg_segment_size: 280
    .language:       OpenCL C
    .language_version:
      - 2
      - 0
    .max_flat_workgroup_size: 1024
    .name:           _ZL16dequantize_blockILi32ELi2EXadL_ZL15dequantize_q5_1PKviiR7__half2EEN3c104HalfEEvS1_PT2_l
    .private_segment_fixed_size: 0
    .sgpr_count:     9
    .sgpr_spill_count: 0
    .symbol:         _ZL16dequantize_blockILi32ELi2EXadL_ZL15dequantize_q5_1PKviiR7__half2EEN3c104HalfEEvS1_PT2_l.kd
    .uniform_work_group_size: 1
    .uses_dynamic_stack: false
    .vgpr_count:     10
    .vgpr_spill_count: 0
    .wavefront_size: 32
  - .args:
      - .actual_access:  read_only
        .address_space:  global
        .offset:         0
        .size:           8
        .value_kind:     global_buffer
      - .actual_access:  write_only
        .address_space:  global
        .offset:         8
        .size:           8
        .value_kind:     global_buffer
      - .offset:         16
        .size:           8
        .value_kind:     by_value
      - .offset:         24
        .size:           4
        .value_kind:     hidden_block_count_x
      - .offset:         28
        .size:           4
        .value_kind:     hidden_block_count_y
      - .offset:         32
        .size:           4
        .value_kind:     hidden_block_count_z
      - .offset:         36
        .size:           2
        .value_kind:     hidden_group_size_x
      - .offset:         38
        .size:           2
        .value_kind:     hidden_group_size_y
      - .offset:         40
        .size:           2
        .value_kind:     hidden_group_size_z
      - .offset:         42
        .size:           2
        .value_kind:     hidden_remainder_x
      - .offset:         44
        .size:           2
        .value_kind:     hidden_remainder_y
      - .offset:         46
        .size:           2
        .value_kind:     hidden_remainder_z
      - .offset:         64
        .size:           8
        .value_kind:     hidden_global_offset_x
      - .offset:         72
        .size:           8
        .value_kind:     hidden_global_offset_y
      - .offset:         80
        .size:           8
        .value_kind:     hidden_global_offset_z
      - .offset:         88
        .size:           2
        .value_kind:     hidden_grid_dims
    .group_segment_fixed_size: 0
    .kernarg_segment_align: 8
    .kernarg_segment_size: 280
    .language:       OpenCL C
    .language_version:
      - 2
      - 0
    .max_flat_workgroup_size: 1024
    .name:           _ZL16dequantize_blockILi32ELi1EXadL_ZL15dequantize_q8_0PKviiR7__half2EEN3c104HalfEEvS1_PT2_l
    .private_segment_fixed_size: 0
    .sgpr_count:     9
    .sgpr_spill_count: 0
    .symbol:         _ZL16dequantize_blockILi32ELi1EXadL_ZL15dequantize_q8_0PKviiR7__half2EEN3c104HalfEEvS1_PT2_l.kd
    .uniform_work_group_size: 1
    .uses_dynamic_stack: false
    .vgpr_count:     9
    .vgpr_spill_count: 0
    .wavefront_size: 32
  - .args:
      - .actual_access:  read_only
        .address_space:  global
        .offset:         0
        .size:           8
        .value_kind:     global_buffer
      - .actual_access:  write_only
        .address_space:  global
        .offset:         8
        .size:           8
        .value_kind:     global_buffer
    .group_segment_fixed_size: 0
    .kernarg_segment_align: 8
    .kernarg_segment_size: 16
    .language:       OpenCL C
    .language_version:
      - 2
      - 0
    .max_flat_workgroup_size: 1024
    .name:           _ZL21dequantize_block_q2_KIN3c104HalfEEvPKvPT_
    .private_segment_fixed_size: 0
    .sgpr_count:     8
    .sgpr_spill_count: 0
    .symbol:         _ZL21dequantize_block_q2_KIN3c104HalfEEvPKvPT_.kd
    .uniform_work_group_size: 1
    .uses_dynamic_stack: false
    .vgpr_count:     16
    .vgpr_spill_count: 0
    .wavefront_size: 32
  - .args:
      - .actual_access:  read_only
        .address_space:  global
        .offset:         0
        .size:           8
        .value_kind:     global_buffer
      - .actual_access:  write_only
        .address_space:  global
        .offset:         8
        .size:           8
        .value_kind:     global_buffer
    .group_segment_fixed_size: 0
    .kernarg_segment_align: 8
    .kernarg_segment_size: 16
    .language:       OpenCL C
    .language_version:
      - 2
      - 0
    .max_flat_workgroup_size: 1024
    .name:           _ZL21dequantize_block_q3_KIN3c104HalfEEvPKvPT_
    .private_segment_fixed_size: 0
    .sgpr_count:     14
    .sgpr_spill_count: 0
    .symbol:         _ZL21dequantize_block_q3_KIN3c104HalfEEvPKvPT_.kd
    .uniform_work_group_size: 1
    .uses_dynamic_stack: false
    .vgpr_count:     20
    .vgpr_spill_count: 0
    .wavefront_size: 32
  - .args:
      - .actual_access:  read_only
        .address_space:  global
        .offset:         0
        .size:           8
        .value_kind:     global_buffer
      - .actual_access:  write_only
        .address_space:  global
        .offset:         8
        .size:           8
        .value_kind:     global_buffer
    .group_segment_fixed_size: 0
    .kernarg_segment_align: 8
    .kernarg_segment_size: 16
    .language:       OpenCL C
    .language_version:
      - 2
      - 0
    .max_flat_workgroup_size: 1024
    .name:           _ZL21dequantize_block_q4_KIN3c104HalfEEvPKvPT_
    .private_segment_fixed_size: 0
    .sgpr_count:     10
    .sgpr_spill_count: 0
    .symbol:         _ZL21dequantize_block_q4_KIN3c104HalfEEvPKvPT_.kd
    .uniform_work_group_size: 1
    .uses_dynamic_stack: false
    .vgpr_count:     16
    .vgpr_spill_count: 0
    .wavefront_size: 32
  - .args:
      - .actual_access:  read_only
        .address_space:  global
        .offset:         0
        .size:           8
        .value_kind:     global_buffer
      - .actual_access:  write_only
        .address_space:  global
        .offset:         8
        .size:           8
        .value_kind:     global_buffer
    .group_segment_fixed_size: 0
    .kernarg_segment_align: 8
    .kernarg_segment_size: 16
    .language:       OpenCL C
    .language_version:
      - 2
      - 0
    .max_flat_workgroup_size: 1024
    .name:           _ZL21dequantize_block_q5_KIN3c104HalfEEvPKvPT_
    .private_segment_fixed_size: 0
    .sgpr_count:     10
    .sgpr_spill_count: 0
    .symbol:         _ZL21dequantize_block_q5_KIN3c104HalfEEvPKvPT_.kd
    .uniform_work_group_size: 1
    .uses_dynamic_stack: false
    .vgpr_count:     17
    .vgpr_spill_count: 0
    .wavefront_size: 32
  - .args:
      - .actual_access:  read_only
        .address_space:  global
        .offset:         0
        .size:           8
        .value_kind:     global_buffer
      - .actual_access:  write_only
        .address_space:  global
        .offset:         8
        .size:           8
        .value_kind:     global_buffer
    .group_segment_fixed_size: 0
    .kernarg_segment_align: 8
    .kernarg_segment_size: 16
    .language:       OpenCL C
    .language_version:
      - 2
      - 0
    .max_flat_workgroup_size: 1024
    .name:           _ZL21dequantize_block_q6_KIN3c104HalfEEvPKvPT_
    .private_segment_fixed_size: 0
    .sgpr_count:     10
    .sgpr_spill_count: 0
    .symbol:         _ZL21dequantize_block_q6_KIN3c104HalfEEvPKvPT_.kd
    .uniform_work_group_size: 1
    .uses_dynamic_stack: false
    .vgpr_count:     15
    .vgpr_spill_count: 0
    .wavefront_size: 32
  - .args:
      - .actual_access:  read_only
        .address_space:  global
        .offset:         0
        .size:           8
        .value_kind:     global_buffer
      - .actual_access:  write_only
        .address_space:  global
        .offset:         8
        .size:           8
        .value_kind:     global_buffer
    .group_segment_fixed_size: 0
    .kernarg_segment_align: 8
    .kernarg_segment_size: 16
    .language:       OpenCL C
    .language_version:
      - 2
      - 0
    .max_flat_workgroup_size: 1024
    .name:           _ZL24dequantize_block_iq2_xxsIN3c104HalfEEvPKvPT_
    .private_segment_fixed_size: 0
    .sgpr_count:     12
    .sgpr_spill_count: 0
    .symbol:         _ZL24dequantize_block_iq2_xxsIN3c104HalfEEvPKvPT_.kd
    .uniform_work_group_size: 1
    .uses_dynamic_stack: false
    .vgpr_count:     19
    .vgpr_spill_count: 0
    .wavefront_size: 32
  - .args:
      - .actual_access:  read_only
        .address_space:  global
        .offset:         0
        .size:           8
        .value_kind:     global_buffer
      - .actual_access:  write_only
        .address_space:  global
        .offset:         8
        .size:           8
        .value_kind:     global_buffer
    .group_segment_fixed_size: 0
    .kernarg_segment_align: 8
    .kernarg_segment_size: 16
    .language:       OpenCL C
    .language_version:
      - 2
      - 0
    .max_flat_workgroup_size: 1024
    .name:           _ZL23dequantize_block_iq2_xsIN3c104HalfEEvPKvPT_
    .private_segment_fixed_size: 0
    .sgpr_count:     12
    .sgpr_spill_count: 0
    .symbol:         _ZL23dequantize_block_iq2_xsIN3c104HalfEEvPKvPT_.kd
    .uniform_work_group_size: 1
    .uses_dynamic_stack: false
    .vgpr_count:     19
    .vgpr_spill_count: 0
    .wavefront_size: 32
  - .args:
      - .actual_access:  read_only
        .address_space:  global
        .offset:         0
        .size:           8
        .value_kind:     global_buffer
      - .actual_access:  write_only
        .address_space:  global
        .offset:         8
        .size:           8
        .value_kind:     global_buffer
    .group_segment_fixed_size: 0
    .kernarg_segment_align: 8
    .kernarg_segment_size: 16
    .language:       OpenCL C
    .language_version:
      - 2
      - 0
    .max_flat_workgroup_size: 1024
    .name:           _ZL24dequantize_block_iq3_xxsIN3c104HalfEEvPKvPT_
    .private_segment_fixed_size: 0
    .sgpr_count:     12
    .sgpr_spill_count: 0
    .symbol:         _ZL24dequantize_block_iq3_xxsIN3c104HalfEEvPKvPT_.kd
    .uniform_work_group_size: 1
    .uses_dynamic_stack: false
    .vgpr_count:     19
    .vgpr_spill_count: 0
    .wavefront_size: 32
  - .args:
      - .actual_access:  read_only
        .address_space:  global
        .offset:         0
        .size:           8
        .value_kind:     global_buffer
      - .actual_access:  write_only
        .address_space:  global
        .offset:         8
        .size:           8
        .value_kind:     global_buffer
    .group_segment_fixed_size: 0
    .kernarg_segment_align: 8
    .kernarg_segment_size: 16
    .language:       OpenCL C
    .language_version:
      - 2
      - 0
    .max_flat_workgroup_size: 1024
    .name:           _ZL22dequantize_block_iq1_sIN3c104HalfEEvPKvPT_
    .private_segment_fixed_size: 0
    .sgpr_count:     10
    .sgpr_spill_count: 0
    .symbol:         _ZL22dequantize_block_iq1_sIN3c104HalfEEvPKvPT_.kd
    .uniform_work_group_size: 1
    .uses_dynamic_stack: false
    .vgpr_count:     16
    .vgpr_spill_count: 0
    .wavefront_size: 32
  - .args:
      - .actual_access:  read_only
        .address_space:  global
        .offset:         0
        .size:           8
        .value_kind:     global_buffer
      - .actual_access:  write_only
        .address_space:  global
        .offset:         8
        .size:           8
        .value_kind:     global_buffer
    .group_segment_fixed_size: 0
    .kernarg_segment_align: 8
    .kernarg_segment_size: 16
    .language:       OpenCL C
    .language_version:
      - 2
      - 0
    .max_flat_workgroup_size: 1024
    .name:           _ZL23dequantize_block_iq4_nlIN3c104HalfEEvPKvPT_
    .private_segment_fixed_size: 0
    .sgpr_count:     9
    .sgpr_spill_count: 0
    .symbol:         _ZL23dequantize_block_iq4_nlIN3c104HalfEEvPKvPT_.kd
    .uniform_work_group_size: 1
    .uses_dynamic_stack: false
    .vgpr_count:     21
    .vgpr_spill_count: 0
    .wavefront_size: 32
  - .args:
      - .actual_access:  read_only
        .address_space:  global
        .offset:         0
        .size:           8
        .value_kind:     global_buffer
      - .actual_access:  write_only
        .address_space:  global
        .offset:         8
        .size:           8
        .value_kind:     global_buffer
    .group_segment_fixed_size: 0
    .kernarg_segment_align: 8
    .kernarg_segment_size: 16
    .language:       OpenCL C
    .language_version:
      - 2
      - 0
    .max_flat_workgroup_size: 1024
    .name:           _ZL22dequantize_block_iq3_sIN3c104HalfEEvPKvPT_
    .private_segment_fixed_size: 0
    .sgpr_count:     12
    .sgpr_spill_count: 0
    .symbol:         _ZL22dequantize_block_iq3_sIN3c104HalfEEvPKvPT_.kd
    .uniform_work_group_size: 1
    .uses_dynamic_stack: false
    .vgpr_count:     19
    .vgpr_spill_count: 0
    .wavefront_size: 32
  - .args:
      - .actual_access:  read_only
        .address_space:  global
        .offset:         0
        .size:           8
        .value_kind:     global_buffer
      - .actual_access:  write_only
        .address_space:  global
        .offset:         8
        .size:           8
        .value_kind:     global_buffer
    .group_segment_fixed_size: 0
    .kernarg_segment_align: 8
    .kernarg_segment_size: 16
    .language:       OpenCL C
    .language_version:
      - 2
      - 0
    .max_flat_workgroup_size: 1024
    .name:           _ZL22dequantize_block_iq2_sIN3c104HalfEEvPKvPT_
    .private_segment_fixed_size: 0
    .sgpr_count:     12
    .sgpr_spill_count: 0
    .symbol:         _ZL22dequantize_block_iq2_sIN3c104HalfEEvPKvPT_.kd
    .uniform_work_group_size: 1
    .uses_dynamic_stack: false
    .vgpr_count:     21
    .vgpr_spill_count: 0
    .wavefront_size: 32
  - .args:
      - .actual_access:  read_only
        .address_space:  global
        .offset:         0
        .size:           8
        .value_kind:     global_buffer
      - .actual_access:  write_only
        .address_space:  global
        .offset:         8
        .size:           8
        .value_kind:     global_buffer
    .group_segment_fixed_size: 0
    .kernarg_segment_align: 8
    .kernarg_segment_size: 16
    .language:       OpenCL C
    .language_version:
      - 2
      - 0
    .max_flat_workgroup_size: 1024
    .name:           _ZL23dequantize_block_iq4_xsIN3c104HalfEEvPKvPT_
    .private_segment_fixed_size: 0
    .sgpr_count:     9
    .sgpr_spill_count: 0
    .symbol:         _ZL23dequantize_block_iq4_xsIN3c104HalfEEvPKvPT_.kd
    .uniform_work_group_size: 1
    .uses_dynamic_stack: false
    .vgpr_count:     24
    .vgpr_spill_count: 0
    .wavefront_size: 32
  - .args:
      - .actual_access:  read_only
        .address_space:  global
        .offset:         0
        .size:           8
        .value_kind:     global_buffer
      - .actual_access:  write_only
        .address_space:  global
        .offset:         8
        .size:           8
        .value_kind:     global_buffer
    .group_segment_fixed_size: 0
    .kernarg_segment_align: 8
    .kernarg_segment_size: 16
    .language:       OpenCL C
    .language_version:
      - 2
      - 0
    .max_flat_workgroup_size: 1024
    .name:           _ZL22dequantize_block_iq1_mIN3c104HalfEEvPKvPT_
    .private_segment_fixed_size: 0
    .sgpr_count:     10
    .sgpr_spill_count: 0
    .symbol:         _ZL22dequantize_block_iq1_mIN3c104HalfEEvPKvPT_.kd
    .uniform_work_group_size: 1
    .uses_dynamic_stack: false
    .vgpr_count:     16
    .vgpr_spill_count: 0
    .wavefront_size: 32
  - .args:
      - .actual_access:  read_only
        .address_space:  global
        .offset:         0
        .size:           8
        .value_kind:     global_buffer
      - .actual_access:  write_only
        .address_space:  global
        .offset:         8
        .size:           8
        .value_kind:     global_buffer
      - .offset:         16
        .size:           8
        .value_kind:     by_value
      - .offset:         24
        .size:           4
        .value_kind:     hidden_block_count_x
      - .offset:         28
        .size:           4
        .value_kind:     hidden_block_count_y
      - .offset:         32
        .size:           4
        .value_kind:     hidden_block_count_z
      - .offset:         36
        .size:           2
        .value_kind:     hidden_group_size_x
      - .offset:         38
        .size:           2
        .value_kind:     hidden_group_size_y
      - .offset:         40
        .size:           2
        .value_kind:     hidden_group_size_z
      - .offset:         42
        .size:           2
        .value_kind:     hidden_remainder_x
      - .offset:         44
        .size:           2
        .value_kind:     hidden_remainder_y
      - .offset:         46
        .size:           2
        .value_kind:     hidden_remainder_z
      - .offset:         64
        .size:           8
        .value_kind:     hidden_global_offset_x
      - .offset:         72
        .size:           8
        .value_kind:     hidden_global_offset_y
      - .offset:         80
        .size:           8
        .value_kind:     hidden_global_offset_z
      - .offset:         88
        .size:           2
        .value_kind:     hidden_grid_dims
    .group_segment_fixed_size: 0
    .kernarg_segment_align: 8
    .kernarg_segment_size: 280
    .language:       OpenCL C
    .language_version:
      - 2
      - 0
    .max_flat_workgroup_size: 1024
    .name:           _ZL16dequantize_blockILi32ELi2EXadL_ZL15dequantize_q4_0PKviiR7__half2EEN3c108BFloat16EEvS1_PT2_l
    .private_segment_fixed_size: 0
    .sgpr_count:     9
    .sgpr_spill_count: 0
    .symbol:         _ZL16dequantize_blockILi32ELi2EXadL_ZL15dequantize_q4_0PKviiR7__half2EEN3c108BFloat16EEvS1_PT2_l.kd
    .uniform_work_group_size: 1
    .uses_dynamic_stack: false
    .vgpr_count:     10
    .vgpr_spill_count: 0
    .wavefront_size: 32
  - .args:
      - .actual_access:  read_only
        .address_space:  global
        .offset:         0
        .size:           8
        .value_kind:     global_buffer
      - .actual_access:  write_only
        .address_space:  global
        .offset:         8
        .size:           8
        .value_kind:     global_buffer
      - .offset:         16
        .size:           8
        .value_kind:     by_value
      - .offset:         24
        .size:           4
        .value_kind:     hidden_block_count_x
      - .offset:         28
        .size:           4
        .value_kind:     hidden_block_count_y
      - .offset:         32
        .size:           4
        .value_kind:     hidden_block_count_z
      - .offset:         36
        .size:           2
        .value_kind:     hidden_group_size_x
      - .offset:         38
        .size:           2
        .value_kind:     hidden_group_size_y
      - .offset:         40
        .size:           2
        .value_kind:     hidden_group_size_z
      - .offset:         42
        .size:           2
        .value_kind:     hidden_remainder_x
      - .offset:         44
        .size:           2
        .value_kind:     hidden_remainder_y
      - .offset:         46
        .size:           2
        .value_kind:     hidden_remainder_z
      - .offset:         64
        .size:           8
        .value_kind:     hidden_global_offset_x
      - .offset:         72
        .size:           8
        .value_kind:     hidden_global_offset_y
      - .offset:         80
        .size:           8
        .value_kind:     hidden_global_offset_z
      - .offset:         88
        .size:           2
        .value_kind:     hidden_grid_dims
    .group_segment_fixed_size: 0
    .kernarg_segment_align: 8
    .kernarg_segment_size: 280
    .language:       OpenCL C
    .language_version:
      - 2
      - 0
    .max_flat_workgroup_size: 1024
    .name:           _ZL16dequantize_blockILi32ELi2EXadL_ZL15dequantize_q4_1PKviiR7__half2EEN3c108BFloat16EEvS1_PT2_l
    .private_segment_fixed_size: 0
    .sgpr_count:     9
    .sgpr_spill_count: 0
    .symbol:         _ZL16dequantize_blockILi32ELi2EXadL_ZL15dequantize_q4_1PKviiR7__half2EEN3c108BFloat16EEvS1_PT2_l.kd
    .uniform_work_group_size: 1
    .uses_dynamic_stack: false
    .vgpr_count:     10
    .vgpr_spill_count: 0
    .wavefront_size: 32
  - .args:
      - .actual_access:  read_only
        .address_space:  global
        .offset:         0
        .size:           8
        .value_kind:     global_buffer
      - .actual_access:  write_only
        .address_space:  global
        .offset:         8
        .size:           8
        .value_kind:     global_buffer
      - .offset:         16
        .size:           8
        .value_kind:     by_value
      - .offset:         24
        .size:           4
        .value_kind:     hidden_block_count_x
      - .offset:         28
        .size:           4
        .value_kind:     hidden_block_count_y
      - .offset:         32
        .size:           4
        .value_kind:     hidden_block_count_z
      - .offset:         36
        .size:           2
        .value_kind:     hidden_group_size_x
      - .offset:         38
        .size:           2
        .value_kind:     hidden_group_size_y
      - .offset:         40
        .size:           2
        .value_kind:     hidden_group_size_z
      - .offset:         42
        .size:           2
        .value_kind:     hidden_remainder_x
      - .offset:         44
        .size:           2
        .value_kind:     hidden_remainder_y
      - .offset:         46
        .size:           2
        .value_kind:     hidden_remainder_z
      - .offset:         64
        .size:           8
        .value_kind:     hidden_global_offset_x
      - .offset:         72
        .size:           8
        .value_kind:     hidden_global_offset_y
      - .offset:         80
        .size:           8
        .value_kind:     hidden_global_offset_z
      - .offset:         88
        .size:           2
        .value_kind:     hidden_grid_dims
    .group_segment_fixed_size: 0
    .kernarg_segment_align: 8
    .kernarg_segment_size: 280
    .language:       OpenCL C
    .language_version:
      - 2
      - 0
    .max_flat_workgroup_size: 1024
    .name:           _ZL16dequantize_blockILi32ELi2EXadL_ZL15dequantize_q5_0PKviiR7__half2EEN3c108BFloat16EEvS1_PT2_l
    .private_segment_fixed_size: 0
    .sgpr_count:     9
    .sgpr_spill_count: 0
    .symbol:         _ZL16dequantize_blockILi32ELi2EXadL_ZL15dequantize_q5_0PKviiR7__half2EEN3c108BFloat16EEvS1_PT2_l.kd
    .uniform_work_group_size: 1
    .uses_dynamic_stack: false
    .vgpr_count:     9
    .vgpr_spill_count: 0
    .wavefront_size: 32
  - .args:
      - .actual_access:  read_only
        .address_space:  global
        .offset:         0
        .size:           8
        .value_kind:     global_buffer
      - .actual_access:  write_only
        .address_space:  global
        .offset:         8
        .size:           8
        .value_kind:     global_buffer
      - .offset:         16
        .size:           8
        .value_kind:     by_value
      - .offset:         24
        .size:           4
        .value_kind:     hidden_block_count_x
      - .offset:         28
        .size:           4
        .value_kind:     hidden_block_count_y
      - .offset:         32
        .size:           4
        .value_kind:     hidden_block_count_z
      - .offset:         36
        .size:           2
        .value_kind:     hidden_group_size_x
      - .offset:         38
        .size:           2
        .value_kind:     hidden_group_size_y
      - .offset:         40
        .size:           2
        .value_kind:     hidden_group_size_z
      - .offset:         42
        .size:           2
        .value_kind:     hidden_remainder_x
      - .offset:         44
        .size:           2
        .value_kind:     hidden_remainder_y
      - .offset:         46
        .size:           2
        .value_kind:     hidden_remainder_z
      - .offset:         64
        .size:           8
        .value_kind:     hidden_global_offset_x
      - .offset:         72
        .size:           8
        .value_kind:     hidden_global_offset_y
      - .offset:         80
        .size:           8
        .value_kind:     hidden_global_offset_z
      - .offset:         88
        .size:           2
        .value_kind:     hidden_grid_dims
    .group_segment_fixed_size: 0
    .kernarg_segment_align: 8
    .kernarg_segment_size: 280
    .language:       OpenCL C
    .language_version:
      - 2
      - 0
    .max_flat_workgroup_size: 1024
    .name:           _ZL16dequantize_blockILi32ELi2EXadL_ZL15dequantize_q5_1PKviiR7__half2EEN3c108BFloat16EEvS1_PT2_l
    .private_segment_fixed_size: 0
    .sgpr_count:     9
    .sgpr_spill_count: 0
    .symbol:         _ZL16dequantize_blockILi32ELi2EXadL_ZL15dequantize_q5_1PKviiR7__half2EEN3c108BFloat16EEvS1_PT2_l.kd
    .uniform_work_group_size: 1
    .uses_dynamic_stack: false
    .vgpr_count:     10
    .vgpr_spill_count: 0
    .wavefront_size: 32
  - .args:
      - .actual_access:  read_only
        .address_space:  global
        .offset:         0
        .size:           8
        .value_kind:     global_buffer
      - .actual_access:  write_only
        .address_space:  global
        .offset:         8
        .size:           8
        .value_kind:     global_buffer
      - .offset:         16
        .size:           8
        .value_kind:     by_value
      - .offset:         24
        .size:           4
        .value_kind:     hidden_block_count_x
      - .offset:         28
        .size:           4
        .value_kind:     hidden_block_count_y
      - .offset:         32
        .size:           4
        .value_kind:     hidden_block_count_z
      - .offset:         36
        .size:           2
        .value_kind:     hidden_group_size_x
      - .offset:         38
        .size:           2
        .value_kind:     hidden_group_size_y
      - .offset:         40
        .size:           2
        .value_kind:     hidden_group_size_z
      - .offset:         42
        .size:           2
        .value_kind:     hidden_remainder_x
      - .offset:         44
        .size:           2
        .value_kind:     hidden_remainder_y
      - .offset:         46
        .size:           2
        .value_kind:     hidden_remainder_z
      - .offset:         64
        .size:           8
        .value_kind:     hidden_global_offset_x
      - .offset:         72
        .size:           8
        .value_kind:     hidden_global_offset_y
      - .offset:         80
        .size:           8
        .value_kind:     hidden_global_offset_z
      - .offset:         88
        .size:           2
        .value_kind:     hidden_grid_dims
    .group_segment_fixed_size: 0
    .kernarg_segment_align: 8
    .kernarg_segment_size: 280
    .language:       OpenCL C
    .language_version:
      - 2
      - 0
    .max_flat_workgroup_size: 1024
    .name:           _ZL16dequantize_blockILi32ELi1EXadL_ZL15dequantize_q8_0PKviiR7__half2EEN3c108BFloat16EEvS1_PT2_l
    .private_segment_fixed_size: 0
    .sgpr_count:     9
    .sgpr_spill_count: 0
    .symbol:         _ZL16dequantize_blockILi32ELi1EXadL_ZL15dequantize_q8_0PKviiR7__half2EEN3c108BFloat16EEvS1_PT2_l.kd
    .uniform_work_group_size: 1
    .uses_dynamic_stack: false
    .vgpr_count:     8
    .vgpr_spill_count: 0
    .wavefront_size: 32
  - .args:
      - .actual_access:  read_only
        .address_space:  global
        .offset:         0
        .size:           8
        .value_kind:     global_buffer
      - .actual_access:  write_only
        .address_space:  global
        .offset:         8
        .size:           8
        .value_kind:     global_buffer
    .group_segment_fixed_size: 0
    .kernarg_segment_align: 8
    .kernarg_segment_size: 16
    .language:       OpenCL C
    .language_version:
      - 2
      - 0
    .max_flat_workgroup_size: 1024
    .name:           _ZL21dequantize_block_q2_KIN3c108BFloat16EEvPKvPT_
    .private_segment_fixed_size: 0
    .sgpr_count:     10
    .sgpr_spill_count: 0
    .symbol:         _ZL21dequantize_block_q2_KIN3c108BFloat16EEvPKvPT_.kd
    .uniform_work_group_size: 1
    .uses_dynamic_stack: false
    .vgpr_count:     17
    .vgpr_spill_count: 0
    .wavefront_size: 32
  - .args:
      - .actual_access:  read_only
        .address_space:  global
        .offset:         0
        .size:           8
        .value_kind:     global_buffer
      - .actual_access:  write_only
        .address_space:  global
        .offset:         8
        .size:           8
        .value_kind:     global_buffer
    .group_segment_fixed_size: 0
    .kernarg_segment_align: 8
    .kernarg_segment_size: 16
    .language:       OpenCL C
    .language_version:
      - 2
      - 0
    .max_flat_workgroup_size: 1024
    .name:           _ZL21dequantize_block_q3_KIN3c108BFloat16EEvPKvPT_
    .private_segment_fixed_size: 0
    .sgpr_count:     14
    .sgpr_spill_count: 0
    .symbol:         _ZL21dequantize_block_q3_KIN3c108BFloat16EEvPKvPT_.kd
    .uniform_work_group_size: 1
    .uses_dynamic_stack: false
    .vgpr_count:     20
    .vgpr_spill_count: 0
    .wavefront_size: 32
  - .args:
      - .actual_access:  read_only
        .address_space:  global
        .offset:         0
        .size:           8
        .value_kind:     global_buffer
      - .actual_access:  write_only
        .address_space:  global
        .offset:         8
        .size:           8
        .value_kind:     global_buffer
    .group_segment_fixed_size: 0
    .kernarg_segment_align: 8
    .kernarg_segment_size: 16
    .language:       OpenCL C
    .language_version:
      - 2
      - 0
    .max_flat_workgroup_size: 1024
    .name:           _ZL21dequantize_block_q4_KIN3c108BFloat16EEvPKvPT_
    .private_segment_fixed_size: 0
    .sgpr_count:     10
    .sgpr_spill_count: 0
    .symbol:         _ZL21dequantize_block_q4_KIN3c108BFloat16EEvPKvPT_.kd
    .uniform_work_group_size: 1
    .uses_dynamic_stack: false
    .vgpr_count:     26
    .vgpr_spill_count: 0
    .wavefront_size: 32
  - .args:
      - .actual_access:  read_only
        .address_space:  global
        .offset:         0
        .size:           8
        .value_kind:     global_buffer
      - .actual_access:  write_only
        .address_space:  global
        .offset:         8
        .size:           8
        .value_kind:     global_buffer
    .group_segment_fixed_size: 0
    .kernarg_segment_align: 8
    .kernarg_segment_size: 16
    .language:       OpenCL C
    .language_version:
      - 2
      - 0
    .max_flat_workgroup_size: 1024
    .name:           _ZL21dequantize_block_q5_KIN3c108BFloat16EEvPKvPT_
    .private_segment_fixed_size: 0
    .sgpr_count:     10
    .sgpr_spill_count: 0
    .symbol:         _ZL21dequantize_block_q5_KIN3c108BFloat16EEvPKvPT_.kd
    .uniform_work_group_size: 1
    .uses_dynamic_stack: false
    .vgpr_count:     16
    .vgpr_spill_count: 0
    .wavefront_size: 32
  - .args:
      - .actual_access:  read_only
        .address_space:  global
        .offset:         0
        .size:           8
        .value_kind:     global_buffer
      - .actual_access:  write_only
        .address_space:  global
        .offset:         8
        .size:           8
        .value_kind:     global_buffer
    .group_segment_fixed_size: 0
    .kernarg_segment_align: 8
    .kernarg_segment_size: 16
    .language:       OpenCL C
    .language_version:
      - 2
      - 0
    .max_flat_workgroup_size: 1024
    .name:           _ZL21dequantize_block_q6_KIN3c108BFloat16EEvPKvPT_
    .private_segment_fixed_size: 0
    .sgpr_count:     12
    .sgpr_spill_count: 0
    .symbol:         _ZL21dequantize_block_q6_KIN3c108BFloat16EEvPKvPT_.kd
    .uniform_work_group_size: 1
    .uses_dynamic_stack: false
    .vgpr_count:     14
    .vgpr_spill_count: 0
    .wavefront_size: 32
  - .args:
      - .actual_access:  read_only
        .address_space:  global
        .offset:         0
        .size:           8
        .value_kind:     global_buffer
      - .actual_access:  write_only
        .address_space:  global
        .offset:         8
        .size:           8
        .value_kind:     global_buffer
    .group_segment_fixed_size: 0
    .kernarg_segment_align: 8
    .kernarg_segment_size: 16
    .language:       OpenCL C
    .language_version:
      - 2
      - 0
    .max_flat_workgroup_size: 1024
    .name:           _ZL24dequantize_block_iq2_xxsIN3c108BFloat16EEvPKvPT_
    .private_segment_fixed_size: 0
    .sgpr_count:     12
    .sgpr_spill_count: 0
    .symbol:         _ZL24dequantize_block_iq2_xxsIN3c108BFloat16EEvPKvPT_.kd
    .uniform_work_group_size: 1
    .uses_dynamic_stack: false
    .vgpr_count:     21
    .vgpr_spill_count: 0
    .wavefront_size: 32
  - .args:
      - .actual_access:  read_only
        .address_space:  global
        .offset:         0
        .size:           8
        .value_kind:     global_buffer
      - .actual_access:  write_only
        .address_space:  global
        .offset:         8
        .size:           8
        .value_kind:     global_buffer
    .group_segment_fixed_size: 0
    .kernarg_segment_align: 8
    .kernarg_segment_size: 16
    .language:       OpenCL C
    .language_version:
      - 2
      - 0
    .max_flat_workgroup_size: 1024
    .name:           _ZL23dequantize_block_iq2_xsIN3c108BFloat16EEvPKvPT_
    .private_segment_fixed_size: 0
    .sgpr_count:     12
    .sgpr_spill_count: 0
    .symbol:         _ZL23dequantize_block_iq2_xsIN3c108BFloat16EEvPKvPT_.kd
    .uniform_work_group_size: 1
    .uses_dynamic_stack: false
    .vgpr_count:     22
    .vgpr_spill_count: 0
    .wavefront_size: 32
  - .args:
      - .actual_access:  read_only
        .address_space:  global
        .offset:         0
        .size:           8
        .value_kind:     global_buffer
      - .actual_access:  write_only
        .address_space:  global
        .offset:         8
        .size:           8
        .value_kind:     global_buffer
    .group_segment_fixed_size: 0
    .kernarg_segment_align: 8
    .kernarg_segment_size: 16
    .language:       OpenCL C
    .language_version:
      - 2
      - 0
    .max_flat_workgroup_size: 1024
    .name:           _ZL24dequantize_block_iq3_xxsIN3c108BFloat16EEvPKvPT_
    .private_segment_fixed_size: 0
    .sgpr_count:     12
    .sgpr_spill_count: 0
    .symbol:         _ZL24dequantize_block_iq3_xxsIN3c108BFloat16EEvPKvPT_.kd
    .uniform_work_group_size: 1
    .uses_dynamic_stack: false
    .vgpr_count:     20
    .vgpr_spill_count: 0
    .wavefront_size: 32
  - .args:
      - .actual_access:  read_only
        .address_space:  global
        .offset:         0
        .size:           8
        .value_kind:     global_buffer
      - .actual_access:  write_only
        .address_space:  global
        .offset:         8
        .size:           8
        .value_kind:     global_buffer
    .group_segment_fixed_size: 0
    .kernarg_segment_align: 8
    .kernarg_segment_size: 16
    .language:       OpenCL C
    .language_version:
      - 2
      - 0
    .max_flat_workgroup_size: 1024
    .name:           _ZL22dequantize_block_iq1_sIN3c108BFloat16EEvPKvPT_
    .private_segment_fixed_size: 0
    .sgpr_count:     10
    .sgpr_spill_count: 0
    .symbol:         _ZL22dequantize_block_iq1_sIN3c108BFloat16EEvPKvPT_.kd
    .uniform_work_group_size: 1
    .uses_dynamic_stack: false
    .vgpr_count:     20
    .vgpr_spill_count: 0
    .wavefront_size: 32
  - .args:
      - .actual_access:  read_only
        .address_space:  global
        .offset:         0
        .size:           8
        .value_kind:     global_buffer
      - .actual_access:  write_only
        .address_space:  global
        .offset:         8
        .size:           8
        .value_kind:     global_buffer
    .group_segment_fixed_size: 0
    .kernarg_segment_align: 8
    .kernarg_segment_size: 16
    .language:       OpenCL C
    .language_version:
      - 2
      - 0
    .max_flat_workgroup_size: 1024
    .name:           _ZL23dequantize_block_iq4_nlIN3c108BFloat16EEvPKvPT_
    .private_segment_fixed_size: 0
    .sgpr_count:     11
    .sgpr_spill_count: 0
    .symbol:         _ZL23dequantize_block_iq4_nlIN3c108BFloat16EEvPKvPT_.kd
    .uniform_work_group_size: 1
    .uses_dynamic_stack: false
    .vgpr_count:     21
    .vgpr_spill_count: 0
    .wavefront_size: 32
  - .args:
      - .actual_access:  read_only
        .address_space:  global
        .offset:         0
        .size:           8
        .value_kind:     global_buffer
      - .actual_access:  write_only
        .address_space:  global
        .offset:         8
        .size:           8
        .value_kind:     global_buffer
    .group_segment_fixed_size: 0
    .kernarg_segment_align: 8
    .kernarg_segment_size: 16
    .language:       OpenCL C
    .language_version:
      - 2
      - 0
    .max_flat_workgroup_size: 1024
    .name:           _ZL22dequantize_block_iq3_sIN3c108BFloat16EEvPKvPT_
    .private_segment_fixed_size: 0
    .sgpr_count:     12
    .sgpr_spill_count: 0
    .symbol:         _ZL22dequantize_block_iq3_sIN3c108BFloat16EEvPKvPT_.kd
    .uniform_work_group_size: 1
    .uses_dynamic_stack: false
    .vgpr_count:     19
    .vgpr_spill_count: 0
    .wavefront_size: 32
  - .args:
      - .actual_access:  read_only
        .address_space:  global
        .offset:         0
        .size:           8
        .value_kind:     global_buffer
      - .actual_access:  write_only
        .address_space:  global
        .offset:         8
        .size:           8
        .value_kind:     global_buffer
    .group_segment_fixed_size: 0
    .kernarg_segment_align: 8
    .kernarg_segment_size: 16
    .language:       OpenCL C
    .language_version:
      - 2
      - 0
    .max_flat_workgroup_size: 1024
    .name:           _ZL22dequantize_block_iq2_sIN3c108BFloat16EEvPKvPT_
    .private_segment_fixed_size: 0
    .sgpr_count:     12
    .sgpr_spill_count: 0
    .symbol:         _ZL22dequantize_block_iq2_sIN3c108BFloat16EEvPKvPT_.kd
    .uniform_work_group_size: 1
    .uses_dynamic_stack: false
    .vgpr_count:     23
    .vgpr_spill_count: 0
    .wavefront_size: 32
  - .args:
      - .actual_access:  read_only
        .address_space:  global
        .offset:         0
        .size:           8
        .value_kind:     global_buffer
      - .actual_access:  write_only
        .address_space:  global
        .offset:         8
        .size:           8
        .value_kind:     global_buffer
    .group_segment_fixed_size: 0
    .kernarg_segment_align: 8
    .kernarg_segment_size: 16
    .language:       OpenCL C
    .language_version:
      - 2
      - 0
    .max_flat_workgroup_size: 1024
    .name:           _ZL23dequantize_block_iq4_xsIN3c108BFloat16EEvPKvPT_
    .private_segment_fixed_size: 0
    .sgpr_count:     11
    .sgpr_spill_count: 0
    .symbol:         _ZL23dequantize_block_iq4_xsIN3c108BFloat16EEvPKvPT_.kd
    .uniform_work_group_size: 1
    .uses_dynamic_stack: false
    .vgpr_count:     24
    .vgpr_spill_count: 0
    .wavefront_size: 32
  - .args:
      - .actual_access:  read_only
        .address_space:  global
        .offset:         0
        .size:           8
        .value_kind:     global_buffer
      - .actual_access:  write_only
        .address_space:  global
        .offset:         8
        .size:           8
        .value_kind:     global_buffer
    .group_segment_fixed_size: 0
    .kernarg_segment_align: 8
    .kernarg_segment_size: 16
    .language:       OpenCL C
    .language_version:
      - 2
      - 0
    .max_flat_workgroup_size: 1024
    .name:           _ZL22dequantize_block_iq1_mIN3c108BFloat16EEvPKvPT_
    .private_segment_fixed_size: 0
    .sgpr_count:     10
    .sgpr_spill_count: 0
    .symbol:         _ZL22dequantize_block_iq1_mIN3c108BFloat16EEvPKvPT_.kd
    .uniform_work_group_size: 1
    .uses_dynamic_stack: false
    .vgpr_count:     20
    .vgpr_spill_count: 0
    .wavefront_size: 32
  - .args:
      - .actual_access:  read_only
        .address_space:  global
        .offset:         0
        .size:           8
        .value_kind:     global_buffer
      - .actual_access:  write_only
        .address_space:  global
        .offset:         8
        .size:           8
        .value_kind:     global_buffer
      - .offset:         16
        .size:           4
        .value_kind:     by_value
      - .offset:         20
        .size:           4
        .value_kind:     by_value
      - .offset:         24
        .size:           4
        .value_kind:     hidden_block_count_x
      - .offset:         28
        .size:           4
        .value_kind:     hidden_block_count_y
      - .offset:         32
        .size:           4
        .value_kind:     hidden_block_count_z
      - .offset:         36
        .size:           2
        .value_kind:     hidden_group_size_x
      - .offset:         38
        .size:           2
        .value_kind:     hidden_group_size_y
      - .offset:         40
        .size:           2
        .value_kind:     hidden_group_size_z
      - .offset:         42
        .size:           2
        .value_kind:     hidden_remainder_x
      - .offset:         44
        .size:           2
        .value_kind:     hidden_remainder_y
      - .offset:         46
        .size:           2
        .value_kind:     hidden_remainder_z
      - .offset:         64
        .size:           8
        .value_kind:     hidden_global_offset_x
      - .offset:         72
        .size:           8
        .value_kind:     hidden_global_offset_y
      - .offset:         80
        .size:           8
        .value_kind:     hidden_global_offset_z
      - .offset:         88
        .size:           2
        .value_kind:     hidden_grid_dims
    .group_segment_fixed_size: 0
    .kernarg_segment_align: 8
    .kernarg_segment_size: 280
    .language:       OpenCL C
    .language_version:
      - 2
      - 0
    .max_flat_workgroup_size: 1024
    .name:           _ZL13quantize_q8_1IfEvPKT_Pvii
    .private_segment_fixed_size: 0
    .sgpr_count:     10
    .sgpr_spill_count: 0
    .symbol:         _ZL13quantize_q8_1IfEvPKT_Pvii.kd
    .uniform_work_group_size: 1
    .uses_dynamic_stack: false
    .vgpr_count:     13
    .vgpr_spill_count: 0
    .wavefront_size: 32
  - .args:
      - .actual_access:  read_only
        .address_space:  global
        .offset:         0
        .size:           8
        .value_kind:     global_buffer
      - .actual_access:  read_only
        .address_space:  global
        .offset:         8
        .size:           8
        .value_kind:     global_buffer
      - .actual_access:  write_only
        .address_space:  global
        .offset:         16
        .size:           8
        .value_kind:     global_buffer
      - .offset:         24
        .size:           4
        .value_kind:     by_value
      - .offset:         28
        .size:           4
        .value_kind:     by_value
      - .offset:         32
        .size:           4
        .value_kind:     by_value
      - .offset:         40
        .size:           4
        .value_kind:     hidden_block_count_x
      - .offset:         44
        .size:           4
        .value_kind:     hidden_block_count_y
      - .offset:         48
        .size:           4
        .value_kind:     hidden_block_count_z
      - .offset:         52
        .size:           2
        .value_kind:     hidden_group_size_x
      - .offset:         54
        .size:           2
        .value_kind:     hidden_group_size_y
      - .offset:         56
        .size:           2
        .value_kind:     hidden_group_size_z
      - .offset:         58
        .size:           2
        .value_kind:     hidden_remainder_x
      - .offset:         60
        .size:           2
        .value_kind:     hidden_remainder_y
      - .offset:         62
        .size:           2
        .value_kind:     hidden_remainder_z
      - .offset:         80
        .size:           8
        .value_kind:     hidden_global_offset_x
      - .offset:         88
        .size:           8
        .value_kind:     hidden_global_offset_y
      - .offset:         96
        .size:           8
        .value_kind:     hidden_global_offset_z
      - .offset:         104
        .size:           2
        .value_kind:     hidden_grid_dims
    .group_segment_fixed_size: 0
    .kernarg_segment_align: 8
    .kernarg_segment_size: 296
    .language:       OpenCL C
    .language_version:
      - 2
      - 0
    .max_flat_workgroup_size: 1024
    .name:           _ZL13mul_mat_vec_qIfLi32ELi4E10block_q4_0Li2EXadL_ZL17vec_dot_q4_0_q8_1PKvPK10block_q8_1RKiEEEvS2_S2_PT_iii
    .private_segment_fixed_size: 0
    .sgpr_count:     14
    .sgpr_spill_count: 0
    .symbol:         _ZL13mul_mat_vec_qIfLi32ELi4E10block_q4_0Li2EXadL_ZL17vec_dot_q4_0_q8_1PKvPK10block_q8_1RKiEEEvS2_S2_PT_iii.kd
    .uniform_work_group_size: 1
    .uses_dynamic_stack: false
    .vgpr_count:     42
    .vgpr_spill_count: 0
    .wavefront_size: 32
  - .args:
      - .actual_access:  read_only
        .address_space:  global
        .offset:         0
        .size:           8
        .value_kind:     global_buffer
      - .actual_access:  read_only
        .address_space:  global
        .offset:         8
        .size:           8
        .value_kind:     global_buffer
      - .actual_access:  write_only
        .address_space:  global
        .offset:         16
        .size:           8
        .value_kind:     global_buffer
      - .offset:         24
        .size:           4
        .value_kind:     by_value
      - .offset:         28
        .size:           4
        .value_kind:     by_value
      - .offset:         32
        .size:           4
        .value_kind:     by_value
      - .offset:         40
        .size:           4
        .value_kind:     hidden_block_count_x
      - .offset:         44
        .size:           4
        .value_kind:     hidden_block_count_y
      - .offset:         48
        .size:           4
        .value_kind:     hidden_block_count_z
      - .offset:         52
        .size:           2
        .value_kind:     hidden_group_size_x
      - .offset:         54
        .size:           2
        .value_kind:     hidden_group_size_y
      - .offset:         56
        .size:           2
        .value_kind:     hidden_group_size_z
      - .offset:         58
        .size:           2
        .value_kind:     hidden_remainder_x
      - .offset:         60
        .size:           2
        .value_kind:     hidden_remainder_y
      - .offset:         62
        .size:           2
        .value_kind:     hidden_remainder_z
      - .offset:         80
        .size:           8
        .value_kind:     hidden_global_offset_x
      - .offset:         88
        .size:           8
        .value_kind:     hidden_global_offset_y
      - .offset:         96
        .size:           8
        .value_kind:     hidden_global_offset_z
      - .offset:         104
        .size:           2
        .value_kind:     hidden_grid_dims
    .group_segment_fixed_size: 0
    .kernarg_segment_align: 8
    .kernarg_segment_size: 296
    .language:       OpenCL C
    .language_version:
      - 2
      - 0
    .max_flat_workgroup_size: 1024
    .name:           _ZL13mul_mat_vec_qIfLi32ELi4E10block_q4_1Li2EXadL_ZL17vec_dot_q4_1_q8_1PKvPK10block_q8_1RKiEEEvS2_S2_PT_iii
    .private_segment_fixed_size: 0
    .sgpr_count:     14
    .sgpr_spill_count: 0
    .symbol:         _ZL13mul_mat_vec_qIfLi32ELi4E10block_q4_1Li2EXadL_ZL17vec_dot_q4_1_q8_1PKvPK10block_q8_1RKiEEEvS2_S2_PT_iii.kd
    .uniform_work_group_size: 1
    .uses_dynamic_stack: false
    .vgpr_count:     42
    .vgpr_spill_count: 0
    .wavefront_size: 32
  - .args:
      - .actual_access:  read_only
        .address_space:  global
        .offset:         0
        .size:           8
        .value_kind:     global_buffer
      - .actual_access:  read_only
        .address_space:  global
        .offset:         8
        .size:           8
        .value_kind:     global_buffer
      - .actual_access:  write_only
        .address_space:  global
        .offset:         16
        .size:           8
        .value_kind:     global_buffer
      - .offset:         24
        .size:           4
        .value_kind:     by_value
      - .offset:         28
        .size:           4
        .value_kind:     by_value
      - .offset:         32
        .size:           4
        .value_kind:     by_value
      - .offset:         40
        .size:           4
        .value_kind:     hidden_block_count_x
      - .offset:         44
        .size:           4
        .value_kind:     hidden_block_count_y
      - .offset:         48
        .size:           4
        .value_kind:     hidden_block_count_z
      - .offset:         52
        .size:           2
        .value_kind:     hidden_group_size_x
      - .offset:         54
        .size:           2
        .value_kind:     hidden_group_size_y
      - .offset:         56
        .size:           2
        .value_kind:     hidden_group_size_z
      - .offset:         58
        .size:           2
        .value_kind:     hidden_remainder_x
      - .offset:         60
        .size:           2
        .value_kind:     hidden_remainder_y
      - .offset:         62
        .size:           2
        .value_kind:     hidden_remainder_z
      - .offset:         80
        .size:           8
        .value_kind:     hidden_global_offset_x
      - .offset:         88
        .size:           8
        .value_kind:     hidden_global_offset_y
      - .offset:         96
        .size:           8
        .value_kind:     hidden_global_offset_z
      - .offset:         104
        .size:           2
        .value_kind:     hidden_grid_dims
    .group_segment_fixed_size: 0
    .kernarg_segment_align: 8
    .kernarg_segment_size: 296
    .language:       OpenCL C
    .language_version:
      - 2
      - 0
    .max_flat_workgroup_size: 1024
    .name:           _ZL13mul_mat_vec_qIfLi32ELi4E10block_q5_0Li2EXadL_ZL17vec_dot_q5_0_q8_1PKvPK10block_q8_1RKiEEEvS2_S2_PT_iii
    .private_segment_fixed_size: 0
    .sgpr_count:     14
    .sgpr_spill_count: 0
    .symbol:         _ZL13mul_mat_vec_qIfLi32ELi4E10block_q5_0Li2EXadL_ZL17vec_dot_q5_0_q8_1PKvPK10block_q8_1RKiEEEvS2_S2_PT_iii.kd
    .uniform_work_group_size: 1
    .uses_dynamic_stack: false
    .vgpr_count:     47
    .vgpr_spill_count: 0
    .wavefront_size: 32
  - .args:
      - .actual_access:  read_only
        .address_space:  global
        .offset:         0
        .size:           8
        .value_kind:     global_buffer
      - .actual_access:  read_only
        .address_space:  global
        .offset:         8
        .size:           8
        .value_kind:     global_buffer
      - .actual_access:  write_only
        .address_space:  global
        .offset:         16
        .size:           8
        .value_kind:     global_buffer
      - .offset:         24
        .size:           4
        .value_kind:     by_value
      - .offset:         28
        .size:           4
        .value_kind:     by_value
      - .offset:         32
        .size:           4
        .value_kind:     by_value
      - .offset:         40
        .size:           4
        .value_kind:     hidden_block_count_x
      - .offset:         44
        .size:           4
        .value_kind:     hidden_block_count_y
      - .offset:         48
        .size:           4
        .value_kind:     hidden_block_count_z
      - .offset:         52
        .size:           2
        .value_kind:     hidden_group_size_x
      - .offset:         54
        .size:           2
        .value_kind:     hidden_group_size_y
      - .offset:         56
        .size:           2
        .value_kind:     hidden_group_size_z
      - .offset:         58
        .size:           2
        .value_kind:     hidden_remainder_x
      - .offset:         60
        .size:           2
        .value_kind:     hidden_remainder_y
      - .offset:         62
        .size:           2
        .value_kind:     hidden_remainder_z
      - .offset:         80
        .size:           8
        .value_kind:     hidden_global_offset_x
      - .offset:         88
        .size:           8
        .value_kind:     hidden_global_offset_y
      - .offset:         96
        .size:           8
        .value_kind:     hidden_global_offset_z
      - .offset:         104
        .size:           2
        .value_kind:     hidden_grid_dims
    .group_segment_fixed_size: 0
    .kernarg_segment_align: 8
    .kernarg_segment_size: 296
    .language:       OpenCL C
    .language_version:
      - 2
      - 0
    .max_flat_workgroup_size: 1024
    .name:           _ZL13mul_mat_vec_qIfLi32ELi4E10block_q5_1Li2EXadL_ZL17vec_dot_q5_1_q8_1PKvPK10block_q8_1RKiEEEvS2_S2_PT_iii
    .private_segment_fixed_size: 0
    .sgpr_count:     14
    .sgpr_spill_count: 0
    .symbol:         _ZL13mul_mat_vec_qIfLi32ELi4E10block_q5_1Li2EXadL_ZL17vec_dot_q5_1_q8_1PKvPK10block_q8_1RKiEEEvS2_S2_PT_iii.kd
    .uniform_work_group_size: 1
    .uses_dynamic_stack: false
    .vgpr_count:     47
    .vgpr_spill_count: 0
    .wavefront_size: 32
  - .args:
      - .actual_access:  read_only
        .address_space:  global
        .offset:         0
        .size:           8
        .value_kind:     global_buffer
      - .actual_access:  read_only
        .address_space:  global
        .offset:         8
        .size:           8
        .value_kind:     global_buffer
      - .actual_access:  write_only
        .address_space:  global
        .offset:         16
        .size:           8
        .value_kind:     global_buffer
      - .offset:         24
        .size:           4
        .value_kind:     by_value
      - .offset:         28
        .size:           4
        .value_kind:     by_value
      - .offset:         32
        .size:           4
        .value_kind:     by_value
      - .offset:         40
        .size:           4
        .value_kind:     hidden_block_count_x
      - .offset:         44
        .size:           4
        .value_kind:     hidden_block_count_y
      - .offset:         48
        .size:           4
        .value_kind:     hidden_block_count_z
      - .offset:         52
        .size:           2
        .value_kind:     hidden_group_size_x
      - .offset:         54
        .size:           2
        .value_kind:     hidden_group_size_y
      - .offset:         56
        .size:           2
        .value_kind:     hidden_group_size_z
      - .offset:         58
        .size:           2
        .value_kind:     hidden_remainder_x
      - .offset:         60
        .size:           2
        .value_kind:     hidden_remainder_y
      - .offset:         62
        .size:           2
        .value_kind:     hidden_remainder_z
      - .offset:         80
        .size:           8
        .value_kind:     hidden_global_offset_x
      - .offset:         88
        .size:           8
        .value_kind:     hidden_global_offset_y
      - .offset:         96
        .size:           8
        .value_kind:     hidden_global_offset_z
      - .offset:         104
        .size:           2
        .value_kind:     hidden_grid_dims
    .group_segment_fixed_size: 0
    .kernarg_segment_align: 8
    .kernarg_segment_size: 296
    .language:       OpenCL C
    .language_version:
      - 2
      - 0
    .max_flat_workgroup_size: 1024
    .name:           _ZL13mul_mat_vec_qIfLi32ELi8E10block_q8_0Li2EXadL_ZL17vec_dot_q8_0_q8_1PKvPK10block_q8_1RKiEEEvS2_S2_PT_iii
    .private_segment_fixed_size: 0
    .sgpr_count:     14
    .sgpr_spill_count: 0
    .symbol:         _ZL13mul_mat_vec_qIfLi32ELi8E10block_q8_0Li2EXadL_ZL17vec_dot_q8_0_q8_1PKvPK10block_q8_1RKiEEEvS2_S2_PT_iii.kd
    .uniform_work_group_size: 1
    .uses_dynamic_stack: false
    .vgpr_count:     25
    .vgpr_spill_count: 0
    .wavefront_size: 32
  - .args:
      - .actual_access:  read_only
        .address_space:  global
        .offset:         0
        .size:           8
        .value_kind:     global_buffer
      - .actual_access:  read_only
        .address_space:  global
        .offset:         8
        .size:           8
        .value_kind:     global_buffer
      - .actual_access:  write_only
        .address_space:  global
        .offset:         16
        .size:           8
        .value_kind:     global_buffer
      - .offset:         24
        .size:           4
        .value_kind:     by_value
      - .offset:         28
        .size:           4
        .value_kind:     by_value
      - .offset:         32
        .size:           4
        .value_kind:     by_value
      - .offset:         40
        .size:           4
        .value_kind:     hidden_block_count_x
      - .offset:         44
        .size:           4
        .value_kind:     hidden_block_count_y
      - .offset:         48
        .size:           4
        .value_kind:     hidden_block_count_z
      - .offset:         52
        .size:           2
        .value_kind:     hidden_group_size_x
      - .offset:         54
        .size:           2
        .value_kind:     hidden_group_size_y
      - .offset:         56
        .size:           2
        .value_kind:     hidden_group_size_z
      - .offset:         58
        .size:           2
        .value_kind:     hidden_remainder_x
      - .offset:         60
        .size:           2
        .value_kind:     hidden_remainder_y
      - .offset:         62
        .size:           2
        .value_kind:     hidden_remainder_z
      - .offset:         80
        .size:           8
        .value_kind:     hidden_global_offset_x
      - .offset:         88
        .size:           8
        .value_kind:     hidden_global_offset_y
      - .offset:         96
        .size:           8
        .value_kind:     hidden_global_offset_z
      - .offset:         104
        .size:           2
        .value_kind:     hidden_grid_dims
    .group_segment_fixed_size: 0
    .kernarg_segment_align: 8
    .kernarg_segment_size: 296
    .language:       OpenCL C
    .language_version:
      - 2
      - 0
    .max_flat_workgroup_size: 1024
    .name:           _ZL13mul_mat_vec_qIfLi256ELi16E10block_q2_KLi1EXadL_ZL17vec_dot_q2_K_q8_1PKvPK10block_q8_1RKiEEEvS2_S2_PT_iii
    .private_segment_fixed_size: 0
    .sgpr_count:     14
    .sgpr_spill_count: 0
    .symbol:         _ZL13mul_mat_vec_qIfLi256ELi16E10block_q2_KLi1EXadL_ZL17vec_dot_q2_K_q8_1PKvPK10block_q8_1RKiEEEvS2_S2_PT_iii.kd
    .uniform_work_group_size: 1
    .uses_dynamic_stack: false
    .vgpr_count:     62
    .vgpr_spill_count: 0
    .wavefront_size: 32
  - .args:
      - .actual_access:  read_only
        .address_space:  global
        .offset:         0
        .size:           8
        .value_kind:     global_buffer
      - .actual_access:  read_only
        .address_space:  global
        .offset:         8
        .size:           8
        .value_kind:     global_buffer
      - .actual_access:  write_only
        .address_space:  global
        .offset:         16
        .size:           8
        .value_kind:     global_buffer
      - .offset:         24
        .size:           4
        .value_kind:     by_value
      - .offset:         28
        .size:           4
        .value_kind:     by_value
      - .offset:         32
        .size:           4
        .value_kind:     by_value
      - .offset:         40
        .size:           4
        .value_kind:     hidden_block_count_x
      - .offset:         44
        .size:           4
        .value_kind:     hidden_block_count_y
      - .offset:         48
        .size:           4
        .value_kind:     hidden_block_count_z
      - .offset:         52
        .size:           2
        .value_kind:     hidden_group_size_x
      - .offset:         54
        .size:           2
        .value_kind:     hidden_group_size_y
      - .offset:         56
        .size:           2
        .value_kind:     hidden_group_size_z
      - .offset:         58
        .size:           2
        .value_kind:     hidden_remainder_x
      - .offset:         60
        .size:           2
        .value_kind:     hidden_remainder_y
      - .offset:         62
        .size:           2
        .value_kind:     hidden_remainder_z
      - .offset:         80
        .size:           8
        .value_kind:     hidden_global_offset_x
      - .offset:         88
        .size:           8
        .value_kind:     hidden_global_offset_y
      - .offset:         96
        .size:           8
        .value_kind:     hidden_global_offset_z
      - .offset:         104
        .size:           2
        .value_kind:     hidden_grid_dims
    .group_segment_fixed_size: 0
    .kernarg_segment_align: 8
    .kernarg_segment_size: 296
    .language:       OpenCL C
    .language_version:
      - 2
      - 0
    .max_flat_workgroup_size: 1024
    .name:           _ZL13mul_mat_vec_qIfLi256ELi16E10block_q3_KLi1EXadL_ZL17vec_dot_q3_K_q8_1PKvPK10block_q8_1RKiEEEvS2_S2_PT_iii
    .private_segment_fixed_size: 0
    .sgpr_count:     14
    .sgpr_spill_count: 0
    .symbol:         _ZL13mul_mat_vec_qIfLi256ELi16E10block_q3_KLi1EXadL_ZL17vec_dot_q3_K_q8_1PKvPK10block_q8_1RKiEEEvS2_S2_PT_iii.kd
    .uniform_work_group_size: 1
    .uses_dynamic_stack: false
    .vgpr_count:     61
    .vgpr_spill_count: 0
    .wavefront_size: 32
  - .args:
      - .actual_access:  read_only
        .address_space:  global
        .offset:         0
        .size:           8
        .value_kind:     global_buffer
      - .actual_access:  read_only
        .address_space:  global
        .offset:         8
        .size:           8
        .value_kind:     global_buffer
      - .actual_access:  write_only
        .address_space:  global
        .offset:         16
        .size:           8
        .value_kind:     global_buffer
      - .offset:         24
        .size:           4
        .value_kind:     by_value
      - .offset:         28
        .size:           4
        .value_kind:     by_value
      - .offset:         32
        .size:           4
        .value_kind:     by_value
      - .offset:         40
        .size:           4
        .value_kind:     hidden_block_count_x
      - .offset:         44
        .size:           4
        .value_kind:     hidden_block_count_y
      - .offset:         48
        .size:           4
        .value_kind:     hidden_block_count_z
      - .offset:         52
        .size:           2
        .value_kind:     hidden_group_size_x
      - .offset:         54
        .size:           2
        .value_kind:     hidden_group_size_y
      - .offset:         56
        .size:           2
        .value_kind:     hidden_group_size_z
      - .offset:         58
        .size:           2
        .value_kind:     hidden_remainder_x
      - .offset:         60
        .size:           2
        .value_kind:     hidden_remainder_y
      - .offset:         62
        .size:           2
        .value_kind:     hidden_remainder_z
      - .offset:         80
        .size:           8
        .value_kind:     hidden_global_offset_x
      - .offset:         88
        .size:           8
        .value_kind:     hidden_global_offset_y
      - .offset:         96
        .size:           8
        .value_kind:     hidden_global_offset_z
      - .offset:         104
        .size:           2
        .value_kind:     hidden_grid_dims
    .group_segment_fixed_size: 0
    .kernarg_segment_align: 8
    .kernarg_segment_size: 296
    .language:       OpenCL C
    .language_version:
      - 2
      - 0
    .max_flat_workgroup_size: 1024
    .name:           _ZL13mul_mat_vec_qIfLi256ELi32E10block_q4_KLi2EXadL_ZL17vec_dot_q4_K_q8_1PKvPK10block_q8_1RKiEEEvS2_S2_PT_iii
    .private_segment_fixed_size: 0
    .sgpr_count:     15
    .sgpr_spill_count: 0
    .symbol:         _ZL13mul_mat_vec_qIfLi256ELi32E10block_q4_KLi2EXadL_ZL17vec_dot_q4_K_q8_1PKvPK10block_q8_1RKiEEEvS2_S2_PT_iii.kd
    .uniform_work_group_size: 1
    .uses_dynamic_stack: false
    .vgpr_count:     55
    .vgpr_spill_count: 0
    .wavefront_size: 32
  - .args:
      - .actual_access:  read_only
        .address_space:  global
        .offset:         0
        .size:           8
        .value_kind:     global_buffer
      - .actual_access:  read_only
        .address_space:  global
        .offset:         8
        .size:           8
        .value_kind:     global_buffer
      - .actual_access:  write_only
        .address_space:  global
        .offset:         16
        .size:           8
        .value_kind:     global_buffer
      - .offset:         24
        .size:           4
        .value_kind:     by_value
      - .offset:         28
        .size:           4
        .value_kind:     by_value
      - .offset:         32
        .size:           4
        .value_kind:     by_value
      - .offset:         40
        .size:           4
        .value_kind:     hidden_block_count_x
      - .offset:         44
        .size:           4
        .value_kind:     hidden_block_count_y
      - .offset:         48
        .size:           4
        .value_kind:     hidden_block_count_z
      - .offset:         52
        .size:           2
        .value_kind:     hidden_group_size_x
      - .offset:         54
        .size:           2
        .value_kind:     hidden_group_size_y
      - .offset:         56
        .size:           2
        .value_kind:     hidden_group_size_z
      - .offset:         58
        .size:           2
        .value_kind:     hidden_remainder_x
      - .offset:         60
        .size:           2
        .value_kind:     hidden_remainder_y
      - .offset:         62
        .size:           2
        .value_kind:     hidden_remainder_z
      - .offset:         80
        .size:           8
        .value_kind:     hidden_global_offset_x
      - .offset:         88
        .size:           8
        .value_kind:     hidden_global_offset_y
      - .offset:         96
        .size:           8
        .value_kind:     hidden_global_offset_z
      - .offset:         104
        .size:           2
        .value_kind:     hidden_grid_dims
    .group_segment_fixed_size: 0
    .kernarg_segment_align: 8
    .kernarg_segment_size: 296
    .language:       OpenCL C
    .language_version:
      - 2
      - 0
    .max_flat_workgroup_size: 1024
    .name:           _ZL13mul_mat_vec_qIfLi256ELi32E10block_q5_KLi2EXadL_ZL17vec_dot_q5_K_q8_1PKvPK10block_q8_1RKiEEEvS2_S2_PT_iii
    .private_segment_fixed_size: 0
    .sgpr_count:     15
    .sgpr_spill_count: 0
    .symbol:         _ZL13mul_mat_vec_qIfLi256ELi32E10block_q5_KLi2EXadL_ZL17vec_dot_q5_K_q8_1PKvPK10block_q8_1RKiEEEvS2_S2_PT_iii.kd
    .uniform_work_group_size: 1
    .uses_dynamic_stack: false
    .vgpr_count:     56
    .vgpr_spill_count: 0
    .wavefront_size: 32
  - .args:
      - .actual_access:  read_only
        .address_space:  global
        .offset:         0
        .size:           8
        .value_kind:     global_buffer
      - .actual_access:  read_only
        .address_space:  global
        .offset:         8
        .size:           8
        .value_kind:     global_buffer
      - .actual_access:  write_only
        .address_space:  global
        .offset:         16
        .size:           8
        .value_kind:     global_buffer
      - .offset:         24
        .size:           4
        .value_kind:     by_value
      - .offset:         28
        .size:           4
        .value_kind:     by_value
      - .offset:         32
        .size:           4
        .value_kind:     by_value
      - .offset:         40
        .size:           4
        .value_kind:     hidden_block_count_x
      - .offset:         44
        .size:           4
        .value_kind:     hidden_block_count_y
      - .offset:         48
        .size:           4
        .value_kind:     hidden_block_count_z
      - .offset:         52
        .size:           2
        .value_kind:     hidden_group_size_x
      - .offset:         54
        .size:           2
        .value_kind:     hidden_group_size_y
      - .offset:         56
        .size:           2
        .value_kind:     hidden_group_size_z
      - .offset:         58
        .size:           2
        .value_kind:     hidden_remainder_x
      - .offset:         60
        .size:           2
        .value_kind:     hidden_remainder_y
      - .offset:         62
        .size:           2
        .value_kind:     hidden_remainder_z
      - .offset:         80
        .size:           8
        .value_kind:     hidden_global_offset_x
      - .offset:         88
        .size:           8
        .value_kind:     hidden_global_offset_y
      - .offset:         96
        .size:           8
        .value_kind:     hidden_global_offset_z
      - .offset:         104
        .size:           2
        .value_kind:     hidden_grid_dims
    .group_segment_fixed_size: 0
    .kernarg_segment_align: 8
    .kernarg_segment_size: 296
    .language:       OpenCL C
    .language_version:
      - 2
      - 0
    .max_flat_workgroup_size: 1024
    .name:           _ZL13mul_mat_vec_qIfLi256ELi32E10block_q6_KLi1EXadL_ZL17vec_dot_q6_K_q8_1PKvPK10block_q8_1RKiEEEvS2_S2_PT_iii
    .private_segment_fixed_size: 0
    .sgpr_count:     15
    .sgpr_spill_count: 0
    .symbol:         _ZL13mul_mat_vec_qIfLi256ELi32E10block_q6_KLi1EXadL_ZL17vec_dot_q6_K_q8_1PKvPK10block_q8_1RKiEEEvS2_S2_PT_iii.kd
    .uniform_work_group_size: 1
    .uses_dynamic_stack: false
    .vgpr_count:     38
    .vgpr_spill_count: 0
    .wavefront_size: 32
  - .args:
      - .actual_access:  read_only
        .address_space:  global
        .offset:         0
        .size:           8
        .value_kind:     global_buffer
      - .actual_access:  read_only
        .address_space:  global
        .offset:         8
        .size:           8
        .value_kind:     global_buffer
      - .actual_access:  write_only
        .address_space:  global
        .offset:         16
        .size:           8
        .value_kind:     global_buffer
      - .offset:         24
        .size:           4
        .value_kind:     by_value
      - .offset:         28
        .size:           4
        .value_kind:     by_value
      - .offset:         32
        .size:           4
        .value_kind:     by_value
      - .offset:         40
        .size:           4
        .value_kind:     hidden_block_count_x
      - .offset:         44
        .size:           4
        .value_kind:     hidden_block_count_y
      - .offset:         48
        .size:           4
        .value_kind:     hidden_block_count_z
      - .offset:         52
        .size:           2
        .value_kind:     hidden_group_size_x
      - .offset:         54
        .size:           2
        .value_kind:     hidden_group_size_y
      - .offset:         56
        .size:           2
        .value_kind:     hidden_group_size_z
      - .offset:         58
        .size:           2
        .value_kind:     hidden_remainder_x
      - .offset:         60
        .size:           2
        .value_kind:     hidden_remainder_y
      - .offset:         62
        .size:           2
        .value_kind:     hidden_remainder_z
      - .offset:         80
        .size:           8
        .value_kind:     hidden_global_offset_x
      - .offset:         88
        .size:           8
        .value_kind:     hidden_global_offset_y
      - .offset:         96
        .size:           8
        .value_kind:     hidden_global_offset_z
      - .offset:         104
        .size:           2
        .value_kind:     hidden_grid_dims
    .group_segment_fixed_size: 0
    .kernarg_segment_align: 8
    .kernarg_segment_size: 296
    .language:       OpenCL C
    .language_version:
      - 2
      - 0
    .max_flat_workgroup_size: 1024
    .name:           _ZL13mul_mat_vec_qIfLi256ELi8E13block_iq2_xxsLi1EXadL_ZL20vec_dot_iq2_xxs_q8_1PKvPK10block_q8_1RKiEEEvS2_S2_PT_iii
    .private_segment_fixed_size: 0
    .sgpr_count:     23
    .sgpr_spill_count: 0
    .symbol:         _ZL13mul_mat_vec_qIfLi256ELi8E13block_iq2_xxsLi1EXadL_ZL20vec_dot_iq2_xxs_q8_1PKvPK10block_q8_1RKiEEEvS2_S2_PT_iii.kd
    .uniform_work_group_size: 1
    .uses_dynamic_stack: false
    .vgpr_count:     64
    .vgpr_spill_count: 0
    .wavefront_size: 32
  - .args:
      - .actual_access:  read_only
        .address_space:  global
        .offset:         0
        .size:           8
        .value_kind:     global_buffer
      - .actual_access:  read_only
        .address_space:  global
        .offset:         8
        .size:           8
        .value_kind:     global_buffer
      - .actual_access:  write_only
        .address_space:  global
        .offset:         16
        .size:           8
        .value_kind:     global_buffer
      - .offset:         24
        .size:           4
        .value_kind:     by_value
      - .offset:         28
        .size:           4
        .value_kind:     by_value
      - .offset:         32
        .size:           4
        .value_kind:     by_value
      - .offset:         40
        .size:           4
        .value_kind:     hidden_block_count_x
      - .offset:         44
        .size:           4
        .value_kind:     hidden_block_count_y
      - .offset:         48
        .size:           4
        .value_kind:     hidden_block_count_z
      - .offset:         52
        .size:           2
        .value_kind:     hidden_group_size_x
      - .offset:         54
        .size:           2
        .value_kind:     hidden_group_size_y
      - .offset:         56
        .size:           2
        .value_kind:     hidden_group_size_z
      - .offset:         58
        .size:           2
        .value_kind:     hidden_remainder_x
      - .offset:         60
        .size:           2
        .value_kind:     hidden_remainder_y
      - .offset:         62
        .size:           2
        .value_kind:     hidden_remainder_z
      - .offset:         80
        .size:           8
        .value_kind:     hidden_global_offset_x
      - .offset:         88
        .size:           8
        .value_kind:     hidden_global_offset_y
      - .offset:         96
        .size:           8
        .value_kind:     hidden_global_offset_z
      - .offset:         104
        .size:           2
        .value_kind:     hidden_grid_dims
    .group_segment_fixed_size: 0
    .kernarg_segment_align: 8
    .kernarg_segment_size: 296
    .language:       OpenCL C
    .language_version:
      - 2
      - 0
    .max_flat_workgroup_size: 1024
    .name:           _ZL13mul_mat_vec_qIfLi256ELi8E12block_iq2_xsLi1EXadL_ZL19vec_dot_iq2_xs_q8_1PKvPK10block_q8_1RKiEEEvS2_S2_PT_iii
    .private_segment_fixed_size: 0
    .sgpr_count:     15
    .sgpr_spill_count: 0
    .symbol:         _ZL13mul_mat_vec_qIfLi256ELi8E12block_iq2_xsLi1EXadL_ZL19vec_dot_iq2_xs_q8_1PKvPK10block_q8_1RKiEEEvS2_S2_PT_iii.kd
    .uniform_work_group_size: 1
    .uses_dynamic_stack: false
    .vgpr_count:     40
    .vgpr_spill_count: 0
    .wavefront_size: 32
  - .args:
      - .actual_access:  read_only
        .address_space:  global
        .offset:         0
        .size:           8
        .value_kind:     global_buffer
      - .actual_access:  read_only
        .address_space:  global
        .offset:         8
        .size:           8
        .value_kind:     global_buffer
      - .actual_access:  write_only
        .address_space:  global
        .offset:         16
        .size:           8
        .value_kind:     global_buffer
      - .offset:         24
        .size:           4
        .value_kind:     by_value
      - .offset:         28
        .size:           4
        .value_kind:     by_value
      - .offset:         32
        .size:           4
        .value_kind:     by_value
      - .offset:         40
        .size:           4
        .value_kind:     hidden_block_count_x
      - .offset:         44
        .size:           4
        .value_kind:     hidden_block_count_y
      - .offset:         48
        .size:           4
        .value_kind:     hidden_block_count_z
      - .offset:         52
        .size:           2
        .value_kind:     hidden_group_size_x
      - .offset:         54
        .size:           2
        .value_kind:     hidden_group_size_y
      - .offset:         56
        .size:           2
        .value_kind:     hidden_group_size_z
      - .offset:         58
        .size:           2
        .value_kind:     hidden_remainder_x
      - .offset:         60
        .size:           2
        .value_kind:     hidden_remainder_y
      - .offset:         62
        .size:           2
        .value_kind:     hidden_remainder_z
      - .offset:         80
        .size:           8
        .value_kind:     hidden_global_offset_x
      - .offset:         88
        .size:           8
        .value_kind:     hidden_global_offset_y
      - .offset:         96
        .size:           8
        .value_kind:     hidden_global_offset_z
      - .offset:         104
        .size:           2
        .value_kind:     hidden_grid_dims
    .group_segment_fixed_size: 0
    .kernarg_segment_align: 8
    .kernarg_segment_size: 296
    .language:       OpenCL C
    .language_version:
      - 2
      - 0
    .max_flat_workgroup_size: 1024
    .name:           _ZL13mul_mat_vec_qIfLi256ELi8E13block_iq3_xxsLi1EXadL_ZL20vec_dot_iq3_xxs_q8_1PKvPK10block_q8_1RKiEEEvS2_S2_PT_iii
    .private_segment_fixed_size: 0
    .sgpr_count:     18
    .sgpr_spill_count: 0
    .symbol:         _ZL13mul_mat_vec_qIfLi256ELi8E13block_iq3_xxsLi1EXadL_ZL20vec_dot_iq3_xxs_q8_1PKvPK10block_q8_1RKiEEEvS2_S2_PT_iii.kd
    .uniform_work_group_size: 1
    .uses_dynamic_stack: false
    .vgpr_count:     41
    .vgpr_spill_count: 0
    .wavefront_size: 32
  - .args:
      - .actual_access:  read_only
        .address_space:  global
        .offset:         0
        .size:           8
        .value_kind:     global_buffer
      - .actual_access:  read_only
        .address_space:  global
        .offset:         8
        .size:           8
        .value_kind:     global_buffer
      - .actual_access:  write_only
        .address_space:  global
        .offset:         16
        .size:           8
        .value_kind:     global_buffer
      - .offset:         24
        .size:           4
        .value_kind:     by_value
      - .offset:         28
        .size:           4
        .value_kind:     by_value
      - .offset:         32
        .size:           4
        .value_kind:     by_value
      - .offset:         40
        .size:           4
        .value_kind:     hidden_block_count_x
      - .offset:         44
        .size:           4
        .value_kind:     hidden_block_count_y
      - .offset:         48
        .size:           4
        .value_kind:     hidden_block_count_z
      - .offset:         52
        .size:           2
        .value_kind:     hidden_group_size_x
      - .offset:         54
        .size:           2
        .value_kind:     hidden_group_size_y
      - .offset:         56
        .size:           2
        .value_kind:     hidden_group_size_z
      - .offset:         58
        .size:           2
        .value_kind:     hidden_remainder_x
      - .offset:         60
        .size:           2
        .value_kind:     hidden_remainder_y
      - .offset:         62
        .size:           2
        .value_kind:     hidden_remainder_z
      - .offset:         80
        .size:           8
        .value_kind:     hidden_global_offset_x
      - .offset:         88
        .size:           8
        .value_kind:     hidden_global_offset_y
      - .offset:         96
        .size:           8
        .value_kind:     hidden_global_offset_z
      - .offset:         104
        .size:           2
        .value_kind:     hidden_grid_dims
    .group_segment_fixed_size: 0
    .kernarg_segment_align: 8
    .kernarg_segment_size: 296
    .language:       OpenCL C
    .language_version:
      - 2
      - 0
    .max_flat_workgroup_size: 1024
    .name:           _ZL13mul_mat_vec_qIfLi256ELi8E11block_iq1_sLi1EXadL_ZL18vec_dot_iq1_s_q8_1PKvPK10block_q8_1RKiEEEvS2_S2_PT_iii
    .private_segment_fixed_size: 0
    .sgpr_count:     14
    .sgpr_spill_count: 0
    .symbol:         _ZL13mul_mat_vec_qIfLi256ELi8E11block_iq1_sLi1EXadL_ZL18vec_dot_iq1_s_q8_1PKvPK10block_q8_1RKiEEEvS2_S2_PT_iii.kd
    .uniform_work_group_size: 1
    .uses_dynamic_stack: false
    .vgpr_count:     62
    .vgpr_spill_count: 0
    .wavefront_size: 32
  - .args:
      - .actual_access:  read_only
        .address_space:  global
        .offset:         0
        .size:           8
        .value_kind:     global_buffer
      - .actual_access:  read_only
        .address_space:  global
        .offset:         8
        .size:           8
        .value_kind:     global_buffer
      - .actual_access:  write_only
        .address_space:  global
        .offset:         16
        .size:           8
        .value_kind:     global_buffer
      - .offset:         24
        .size:           4
        .value_kind:     by_value
      - .offset:         28
        .size:           4
        .value_kind:     by_value
      - .offset:         32
        .size:           4
        .value_kind:     by_value
      - .offset:         40
        .size:           4
        .value_kind:     hidden_block_count_x
      - .offset:         44
        .size:           4
        .value_kind:     hidden_block_count_y
      - .offset:         48
        .size:           4
        .value_kind:     hidden_block_count_z
      - .offset:         52
        .size:           2
        .value_kind:     hidden_group_size_x
      - .offset:         54
        .size:           2
        .value_kind:     hidden_group_size_y
      - .offset:         56
        .size:           2
        .value_kind:     hidden_group_size_z
      - .offset:         58
        .size:           2
        .value_kind:     hidden_remainder_x
      - .offset:         60
        .size:           2
        .value_kind:     hidden_remainder_y
      - .offset:         62
        .size:           2
        .value_kind:     hidden_remainder_z
      - .offset:         80
        .size:           8
        .value_kind:     hidden_global_offset_x
      - .offset:         88
        .size:           8
        .value_kind:     hidden_global_offset_y
      - .offset:         96
        .size:           8
        .value_kind:     hidden_global_offset_z
      - .offset:         104
        .size:           2
        .value_kind:     hidden_grid_dims
    .group_segment_fixed_size: 0
    .kernarg_segment_align: 8
    .kernarg_segment_size: 296
    .language:       OpenCL C
    .language_version:
      - 2
      - 0
    .max_flat_workgroup_size: 1024
    .name:           _ZL13mul_mat_vec_qIfLi32ELi4E12block_iq4_nlLi2EXadL_ZL19vec_dot_iq4_nl_q8_1PKvPK10block_q8_1RKiEEEvS2_S2_PT_iii
    .private_segment_fixed_size: 0
    .sgpr_count:     16
    .sgpr_spill_count: 0
    .symbol:         _ZL13mul_mat_vec_qIfLi32ELi4E12block_iq4_nlLi2EXadL_ZL19vec_dot_iq4_nl_q8_1PKvPK10block_q8_1RKiEEEvS2_S2_PT_iii.kd
    .uniform_work_group_size: 1
    .uses_dynamic_stack: false
    .vgpr_count:     45
    .vgpr_spill_count: 0
    .wavefront_size: 32
  - .args:
      - .actual_access:  read_only
        .address_space:  global
        .offset:         0
        .size:           8
        .value_kind:     global_buffer
      - .actual_access:  read_only
        .address_space:  global
        .offset:         8
        .size:           8
        .value_kind:     global_buffer
      - .actual_access:  write_only
        .address_space:  global
        .offset:         16
        .size:           8
        .value_kind:     global_buffer
      - .offset:         24
        .size:           4
        .value_kind:     by_value
      - .offset:         28
        .size:           4
        .value_kind:     by_value
      - .offset:         32
        .size:           4
        .value_kind:     by_value
      - .offset:         40
        .size:           4
        .value_kind:     hidden_block_count_x
      - .offset:         44
        .size:           4
        .value_kind:     hidden_block_count_y
      - .offset:         48
        .size:           4
        .value_kind:     hidden_block_count_z
      - .offset:         52
        .size:           2
        .value_kind:     hidden_group_size_x
      - .offset:         54
        .size:           2
        .value_kind:     hidden_group_size_y
      - .offset:         56
        .size:           2
        .value_kind:     hidden_group_size_z
      - .offset:         58
        .size:           2
        .value_kind:     hidden_remainder_x
      - .offset:         60
        .size:           2
        .value_kind:     hidden_remainder_y
      - .offset:         62
        .size:           2
        .value_kind:     hidden_remainder_z
      - .offset:         80
        .size:           8
        .value_kind:     hidden_global_offset_x
      - .offset:         88
        .size:           8
        .value_kind:     hidden_global_offset_y
      - .offset:         96
        .size:           8
        .value_kind:     hidden_global_offset_z
      - .offset:         104
        .size:           2
        .value_kind:     hidden_grid_dims
    .group_segment_fixed_size: 0
    .kernarg_segment_align: 8
    .kernarg_segment_size: 296
    .language:       OpenCL C
    .language_version:
      - 2
      - 0
    .max_flat_workgroup_size: 1024
    .name:           _ZL13mul_mat_vec_qIfLi256ELi8E11block_iq3_sLi1EXadL_ZL18vec_dot_iq3_s_q8_1PKvPK10block_q8_1RKiEEEvS2_S2_PT_iii
    .private_segment_fixed_size: 0
    .sgpr_count:     16
    .sgpr_spill_count: 0
    .symbol:         _ZL13mul_mat_vec_qIfLi256ELi8E11block_iq3_sLi1EXadL_ZL18vec_dot_iq3_s_q8_1PKvPK10block_q8_1RKiEEEvS2_S2_PT_iii.kd
    .uniform_work_group_size: 1
    .uses_dynamic_stack: false
    .vgpr_count:     49
    .vgpr_spill_count: 0
    .wavefront_size: 32
  - .args:
      - .actual_access:  read_only
        .address_space:  global
        .offset:         0
        .size:           8
        .value_kind:     global_buffer
      - .actual_access:  read_only
        .address_space:  global
        .offset:         8
        .size:           8
        .value_kind:     global_buffer
      - .actual_access:  write_only
        .address_space:  global
        .offset:         16
        .size:           8
        .value_kind:     global_buffer
      - .offset:         24
        .size:           4
        .value_kind:     by_value
      - .offset:         28
        .size:           4
        .value_kind:     by_value
      - .offset:         32
        .size:           4
        .value_kind:     by_value
      - .offset:         40
        .size:           4
        .value_kind:     hidden_block_count_x
      - .offset:         44
        .size:           4
        .value_kind:     hidden_block_count_y
      - .offset:         48
        .size:           4
        .value_kind:     hidden_block_count_z
      - .offset:         52
        .size:           2
        .value_kind:     hidden_group_size_x
      - .offset:         54
        .size:           2
        .value_kind:     hidden_group_size_y
      - .offset:         56
        .size:           2
        .value_kind:     hidden_group_size_z
      - .offset:         58
        .size:           2
        .value_kind:     hidden_remainder_x
      - .offset:         60
        .size:           2
        .value_kind:     hidden_remainder_y
      - .offset:         62
        .size:           2
        .value_kind:     hidden_remainder_z
      - .offset:         80
        .size:           8
        .value_kind:     hidden_global_offset_x
      - .offset:         88
        .size:           8
        .value_kind:     hidden_global_offset_y
      - .offset:         96
        .size:           8
        .value_kind:     hidden_global_offset_z
      - .offset:         104
        .size:           2
        .value_kind:     hidden_grid_dims
    .group_segment_fixed_size: 0
    .kernarg_segment_align: 8
    .kernarg_segment_size: 296
    .language:       OpenCL C
    .language_version:
      - 2
      - 0
    .max_flat_workgroup_size: 1024
    .name:           _ZL13mul_mat_vec_qIfLi256ELi8E11block_iq2_sLi1EXadL_ZL18vec_dot_iq2_s_q8_1PKvPK10block_q8_1RKiEEEvS2_S2_PT_iii
    .private_segment_fixed_size: 0
    .sgpr_count:     14
    .sgpr_spill_count: 0
    .symbol:         _ZL13mul_mat_vec_qIfLi256ELi8E11block_iq2_sLi1EXadL_ZL18vec_dot_iq2_s_q8_1PKvPK10block_q8_1RKiEEEvS2_S2_PT_iii.kd
    .uniform_work_group_size: 1
    .uses_dynamic_stack: false
    .vgpr_count:     62
    .vgpr_spill_count: 0
    .wavefront_size: 32
  - .args:
      - .actual_access:  read_only
        .address_space:  global
        .offset:         0
        .size:           8
        .value_kind:     global_buffer
      - .actual_access:  read_only
        .address_space:  global
        .offset:         8
        .size:           8
        .value_kind:     global_buffer
      - .actual_access:  write_only
        .address_space:  global
        .offset:         16
        .size:           8
        .value_kind:     global_buffer
      - .offset:         24
        .size:           4
        .value_kind:     by_value
      - .offset:         28
        .size:           4
        .value_kind:     by_value
      - .offset:         32
        .size:           4
        .value_kind:     by_value
      - .offset:         40
        .size:           4
        .value_kind:     hidden_block_count_x
      - .offset:         44
        .size:           4
        .value_kind:     hidden_block_count_y
      - .offset:         48
        .size:           4
        .value_kind:     hidden_block_count_z
      - .offset:         52
        .size:           2
        .value_kind:     hidden_group_size_x
      - .offset:         54
        .size:           2
        .value_kind:     hidden_group_size_y
      - .offset:         56
        .size:           2
        .value_kind:     hidden_group_size_z
      - .offset:         58
        .size:           2
        .value_kind:     hidden_remainder_x
      - .offset:         60
        .size:           2
        .value_kind:     hidden_remainder_y
      - .offset:         62
        .size:           2
        .value_kind:     hidden_remainder_z
      - .offset:         80
        .size:           8
        .value_kind:     hidden_global_offset_x
      - .offset:         88
        .size:           8
        .value_kind:     hidden_global_offset_y
      - .offset:         96
        .size:           8
        .value_kind:     hidden_global_offset_z
      - .offset:         104
        .size:           2
        .value_kind:     hidden_grid_dims
    .group_segment_fixed_size: 0
    .kernarg_segment_align: 8
    .kernarg_segment_size: 296
    .language:       OpenCL C
    .language_version:
      - 2
      - 0
    .max_flat_workgroup_size: 1024
    .name:           _ZL13mul_mat_vec_qIfLi256ELi8E12block_iq4_xsLi1EXadL_ZL19vec_dot_iq4_xs_q8_1PKvPK10block_q8_1RKiEEEvS2_S2_PT_iii
    .private_segment_fixed_size: 0
    .sgpr_count:     14
    .sgpr_spill_count: 0
    .symbol:         _ZL13mul_mat_vec_qIfLi256ELi8E12block_iq4_xsLi1EXadL_ZL19vec_dot_iq4_xs_q8_1PKvPK10block_q8_1RKiEEEvS2_S2_PT_iii.kd
    .uniform_work_group_size: 1
    .uses_dynamic_stack: false
    .vgpr_count:     64
    .vgpr_spill_count: 0
    .wavefront_size: 32
  - .args:
      - .actual_access:  read_only
        .address_space:  global
        .offset:         0
        .size:           8
        .value_kind:     global_buffer
      - .actual_access:  read_only
        .address_space:  global
        .offset:         8
        .size:           8
        .value_kind:     global_buffer
      - .actual_access:  write_only
        .address_space:  global
        .offset:         16
        .size:           8
        .value_kind:     global_buffer
      - .offset:         24
        .size:           4
        .value_kind:     by_value
      - .offset:         28
        .size:           4
        .value_kind:     by_value
      - .offset:         32
        .size:           4
        .value_kind:     by_value
      - .offset:         40
        .size:           4
        .value_kind:     hidden_block_count_x
      - .offset:         44
        .size:           4
        .value_kind:     hidden_block_count_y
      - .offset:         48
        .size:           4
        .value_kind:     hidden_block_count_z
      - .offset:         52
        .size:           2
        .value_kind:     hidden_group_size_x
      - .offset:         54
        .size:           2
        .value_kind:     hidden_group_size_y
      - .offset:         56
        .size:           2
        .value_kind:     hidden_group_size_z
      - .offset:         58
        .size:           2
        .value_kind:     hidden_remainder_x
      - .offset:         60
        .size:           2
        .value_kind:     hidden_remainder_y
      - .offset:         62
        .size:           2
        .value_kind:     hidden_remainder_z
      - .offset:         80
        .size:           8
        .value_kind:     hidden_global_offset_x
      - .offset:         88
        .size:           8
        .value_kind:     hidden_global_offset_y
      - .offset:         96
        .size:           8
        .value_kind:     hidden_global_offset_z
      - .offset:         104
        .size:           2
        .value_kind:     hidden_grid_dims
    .group_segment_fixed_size: 0
    .kernarg_segment_align: 8
    .kernarg_segment_size: 296
    .language:       OpenCL C
    .language_version:
      - 2
      - 0
    .max_flat_workgroup_size: 1024
    .name:           _ZL13mul_mat_vec_qIfLi256ELi8E11block_iq1_mLi1EXadL_ZL18vec_dot_iq1_m_q8_1PKvPK10block_q8_1RKiEEEvS2_S2_PT_iii
    .private_segment_fixed_size: 0
    .sgpr_count:     15
    .sgpr_spill_count: 0
    .symbol:         _ZL13mul_mat_vec_qIfLi256ELi8E11block_iq1_mLi1EXadL_ZL18vec_dot_iq1_m_q8_1PKvPK10block_q8_1RKiEEEvS2_S2_PT_iii.kd
    .uniform_work_group_size: 1
    .uses_dynamic_stack: false
    .vgpr_count:     63
    .vgpr_spill_count: 0
    .wavefront_size: 32
  - .args:
      - .actual_access:  read_only
        .address_space:  global
        .offset:         0
        .size:           8
        .value_kind:     global_buffer
      - .actual_access:  write_only
        .address_space:  global
        .offset:         8
        .size:           8
        .value_kind:     global_buffer
      - .offset:         16
        .size:           4
        .value_kind:     by_value
      - .offset:         20
        .size:           4
        .value_kind:     by_value
      - .offset:         24
        .size:           4
        .value_kind:     hidden_block_count_x
      - .offset:         28
        .size:           4
        .value_kind:     hidden_block_count_y
      - .offset:         32
        .size:           4
        .value_kind:     hidden_block_count_z
      - .offset:         36
        .size:           2
        .value_kind:     hidden_group_size_x
      - .offset:         38
        .size:           2
        .value_kind:     hidden_group_size_y
      - .offset:         40
        .size:           2
        .value_kind:     hidden_group_size_z
      - .offset:         42
        .size:           2
        .value_kind:     hidden_remainder_x
      - .offset:         44
        .size:           2
        .value_kind:     hidden_remainder_y
      - .offset:         46
        .size:           2
        .value_kind:     hidden_remainder_z
      - .offset:         64
        .size:           8
        .value_kind:     hidden_global_offset_x
      - .offset:         72
        .size:           8
        .value_kind:     hidden_global_offset_y
      - .offset:         80
        .size:           8
        .value_kind:     hidden_global_offset_z
      - .offset:         88
        .size:           2
        .value_kind:     hidden_grid_dims
    .group_segment_fixed_size: 0
    .kernarg_segment_align: 8
    .kernarg_segment_size: 280
    .language:       OpenCL C
    .language_version:
      - 2
      - 0
    .max_flat_workgroup_size: 1024
    .name:           _ZL13quantize_q8_1IN3c104HalfEEvPKT_Pvii
    .private_segment_fixed_size: 0
    .sgpr_count:     10
    .sgpr_spill_count: 0
    .symbol:         _ZL13quantize_q8_1IN3c104HalfEEvPKT_Pvii.kd
    .uniform_work_group_size: 1
    .uses_dynamic_stack: false
    .vgpr_count:     13
    .vgpr_spill_count: 0
    .wavefront_size: 32
  - .args:
      - .actual_access:  read_only
        .address_space:  global
        .offset:         0
        .size:           8
        .value_kind:     global_buffer
      - .actual_access:  read_only
        .address_space:  global
        .offset:         8
        .size:           8
        .value_kind:     global_buffer
      - .actual_access:  write_only
        .address_space:  global
        .offset:         16
        .size:           8
        .value_kind:     global_buffer
      - .offset:         24
        .size:           4
        .value_kind:     by_value
      - .offset:         28
        .size:           4
        .value_kind:     by_value
      - .offset:         32
        .size:           4
        .value_kind:     by_value
      - .offset:         40
        .size:           4
        .value_kind:     hidden_block_count_x
      - .offset:         44
        .size:           4
        .value_kind:     hidden_block_count_y
      - .offset:         48
        .size:           4
        .value_kind:     hidden_block_count_z
      - .offset:         52
        .size:           2
        .value_kind:     hidden_group_size_x
      - .offset:         54
        .size:           2
        .value_kind:     hidden_group_size_y
      - .offset:         56
        .size:           2
        .value_kind:     hidden_group_size_z
      - .offset:         58
        .size:           2
        .value_kind:     hidden_remainder_x
      - .offset:         60
        .size:           2
        .value_kind:     hidden_remainder_y
      - .offset:         62
        .size:           2
        .value_kind:     hidden_remainder_z
      - .offset:         80
        .size:           8
        .value_kind:     hidden_global_offset_x
      - .offset:         88
        .size:           8
        .value_kind:     hidden_global_offset_y
      - .offset:         96
        .size:           8
        .value_kind:     hidden_global_offset_z
      - .offset:         104
        .size:           2
        .value_kind:     hidden_grid_dims
    .group_segment_fixed_size: 0
    .kernarg_segment_align: 8
    .kernarg_segment_size: 296
    .language:       OpenCL C
    .language_version:
      - 2
      - 0
    .max_flat_workgroup_size: 1024
    .name:           _ZL13mul_mat_vec_qIN3c104HalfELi32ELi4E10block_q4_0Li2EXadL_ZL17vec_dot_q4_0_q8_1PKvPK10block_q8_1RKiEEEvS4_S4_PT_iii
    .private_segment_fixed_size: 0
    .sgpr_count:     14
    .sgpr_spill_count: 0
    .symbol:         _ZL13mul_mat_vec_qIN3c104HalfELi32ELi4E10block_q4_0Li2EXadL_ZL17vec_dot_q4_0_q8_1PKvPK10block_q8_1RKiEEEvS4_S4_PT_iii.kd
    .uniform_work_group_size: 1
    .uses_dynamic_stack: false
    .vgpr_count:     42
    .vgpr_spill_count: 0
    .wavefront_size: 32
  - .args:
      - .actual_access:  read_only
        .address_space:  global
        .offset:         0
        .size:           8
        .value_kind:     global_buffer
      - .actual_access:  read_only
        .address_space:  global
        .offset:         8
        .size:           8
        .value_kind:     global_buffer
      - .actual_access:  write_only
        .address_space:  global
        .offset:         16
        .size:           8
        .value_kind:     global_buffer
      - .offset:         24
        .size:           4
        .value_kind:     by_value
      - .offset:         28
        .size:           4
        .value_kind:     by_value
      - .offset:         32
        .size:           4
        .value_kind:     by_value
      - .offset:         40
        .size:           4
        .value_kind:     hidden_block_count_x
      - .offset:         44
        .size:           4
        .value_kind:     hidden_block_count_y
      - .offset:         48
        .size:           4
        .value_kind:     hidden_block_count_z
      - .offset:         52
        .size:           2
        .value_kind:     hidden_group_size_x
      - .offset:         54
        .size:           2
        .value_kind:     hidden_group_size_y
      - .offset:         56
        .size:           2
        .value_kind:     hidden_group_size_z
      - .offset:         58
        .size:           2
        .value_kind:     hidden_remainder_x
      - .offset:         60
        .size:           2
        .value_kind:     hidden_remainder_y
      - .offset:         62
        .size:           2
        .value_kind:     hidden_remainder_z
      - .offset:         80
        .size:           8
        .value_kind:     hidden_global_offset_x
      - .offset:         88
        .size:           8
        .value_kind:     hidden_global_offset_y
      - .offset:         96
        .size:           8
        .value_kind:     hidden_global_offset_z
      - .offset:         104
        .size:           2
        .value_kind:     hidden_grid_dims
    .group_segment_fixed_size: 0
    .kernarg_segment_align: 8
    .kernarg_segment_size: 296
    .language:       OpenCL C
    .language_version:
      - 2
      - 0
    .max_flat_workgroup_size: 1024
    .name:           _ZL13mul_mat_vec_qIN3c104HalfELi32ELi4E10block_q4_1Li2EXadL_ZL17vec_dot_q4_1_q8_1PKvPK10block_q8_1RKiEEEvS4_S4_PT_iii
    .private_segment_fixed_size: 0
    .sgpr_count:     14
    .sgpr_spill_count: 0
    .symbol:         _ZL13mul_mat_vec_qIN3c104HalfELi32ELi4E10block_q4_1Li2EXadL_ZL17vec_dot_q4_1_q8_1PKvPK10block_q8_1RKiEEEvS4_S4_PT_iii.kd
    .uniform_work_group_size: 1
    .uses_dynamic_stack: false
    .vgpr_count:     42
    .vgpr_spill_count: 0
    .wavefront_size: 32
  - .args:
      - .actual_access:  read_only
        .address_space:  global
        .offset:         0
        .size:           8
        .value_kind:     global_buffer
      - .actual_access:  read_only
        .address_space:  global
        .offset:         8
        .size:           8
        .value_kind:     global_buffer
      - .actual_access:  write_only
        .address_space:  global
        .offset:         16
        .size:           8
        .value_kind:     global_buffer
      - .offset:         24
        .size:           4
        .value_kind:     by_value
      - .offset:         28
        .size:           4
        .value_kind:     by_value
      - .offset:         32
        .size:           4
        .value_kind:     by_value
      - .offset:         40
        .size:           4
        .value_kind:     hidden_block_count_x
      - .offset:         44
        .size:           4
        .value_kind:     hidden_block_count_y
      - .offset:         48
        .size:           4
        .value_kind:     hidden_block_count_z
      - .offset:         52
        .size:           2
        .value_kind:     hidden_group_size_x
      - .offset:         54
        .size:           2
        .value_kind:     hidden_group_size_y
      - .offset:         56
        .size:           2
        .value_kind:     hidden_group_size_z
      - .offset:         58
        .size:           2
        .value_kind:     hidden_remainder_x
      - .offset:         60
        .size:           2
        .value_kind:     hidden_remainder_y
      - .offset:         62
        .size:           2
        .value_kind:     hidden_remainder_z
      - .offset:         80
        .size:           8
        .value_kind:     hidden_global_offset_x
      - .offset:         88
        .size:           8
        .value_kind:     hidden_global_offset_y
      - .offset:         96
        .size:           8
        .value_kind:     hidden_global_offset_z
      - .offset:         104
        .size:           2
        .value_kind:     hidden_grid_dims
    .group_segment_fixed_size: 0
    .kernarg_segment_align: 8
    .kernarg_segment_size: 296
    .language:       OpenCL C
    .language_version:
      - 2
      - 0
    .max_flat_workgroup_size: 1024
    .name:           _ZL13mul_mat_vec_qIN3c104HalfELi32ELi4E10block_q5_0Li2EXadL_ZL17vec_dot_q5_0_q8_1PKvPK10block_q8_1RKiEEEvS4_S4_PT_iii
    .private_segment_fixed_size: 0
    .sgpr_count:     14
    .sgpr_spill_count: 0
    .symbol:         _ZL13mul_mat_vec_qIN3c104HalfELi32ELi4E10block_q5_0Li2EXadL_ZL17vec_dot_q5_0_q8_1PKvPK10block_q8_1RKiEEEvS4_S4_PT_iii.kd
    .uniform_work_group_size: 1
    .uses_dynamic_stack: false
    .vgpr_count:     47
    .vgpr_spill_count: 0
    .wavefront_size: 32
  - .args:
      - .actual_access:  read_only
        .address_space:  global
        .offset:         0
        .size:           8
        .value_kind:     global_buffer
      - .actual_access:  read_only
        .address_space:  global
        .offset:         8
        .size:           8
        .value_kind:     global_buffer
      - .actual_access:  write_only
        .address_space:  global
        .offset:         16
        .size:           8
        .value_kind:     global_buffer
      - .offset:         24
        .size:           4
        .value_kind:     by_value
      - .offset:         28
        .size:           4
        .value_kind:     by_value
      - .offset:         32
        .size:           4
        .value_kind:     by_value
      - .offset:         40
        .size:           4
        .value_kind:     hidden_block_count_x
      - .offset:         44
        .size:           4
        .value_kind:     hidden_block_count_y
      - .offset:         48
        .size:           4
        .value_kind:     hidden_block_count_z
      - .offset:         52
        .size:           2
        .value_kind:     hidden_group_size_x
      - .offset:         54
        .size:           2
        .value_kind:     hidden_group_size_y
      - .offset:         56
        .size:           2
        .value_kind:     hidden_group_size_z
      - .offset:         58
        .size:           2
        .value_kind:     hidden_remainder_x
      - .offset:         60
        .size:           2
        .value_kind:     hidden_remainder_y
      - .offset:         62
        .size:           2
        .value_kind:     hidden_remainder_z
      - .offset:         80
        .size:           8
        .value_kind:     hidden_global_offset_x
      - .offset:         88
        .size:           8
        .value_kind:     hidden_global_offset_y
      - .offset:         96
        .size:           8
        .value_kind:     hidden_global_offset_z
      - .offset:         104
        .size:           2
        .value_kind:     hidden_grid_dims
    .group_segment_fixed_size: 0
    .kernarg_segment_align: 8
    .kernarg_segment_size: 296
    .language:       OpenCL C
    .language_version:
      - 2
      - 0
    .max_flat_workgroup_size: 1024
    .name:           _ZL13mul_mat_vec_qIN3c104HalfELi32ELi4E10block_q5_1Li2EXadL_ZL17vec_dot_q5_1_q8_1PKvPK10block_q8_1RKiEEEvS4_S4_PT_iii
    .private_segment_fixed_size: 0
    .sgpr_count:     14
    .sgpr_spill_count: 0
    .symbol:         _ZL13mul_mat_vec_qIN3c104HalfELi32ELi4E10block_q5_1Li2EXadL_ZL17vec_dot_q5_1_q8_1PKvPK10block_q8_1RKiEEEvS4_S4_PT_iii.kd
    .uniform_work_group_size: 1
    .uses_dynamic_stack: false
    .vgpr_count:     47
    .vgpr_spill_count: 0
    .wavefront_size: 32
  - .args:
      - .actual_access:  read_only
        .address_space:  global
        .offset:         0
        .size:           8
        .value_kind:     global_buffer
      - .actual_access:  read_only
        .address_space:  global
        .offset:         8
        .size:           8
        .value_kind:     global_buffer
      - .actual_access:  write_only
        .address_space:  global
        .offset:         16
        .size:           8
        .value_kind:     global_buffer
      - .offset:         24
        .size:           4
        .value_kind:     by_value
      - .offset:         28
        .size:           4
        .value_kind:     by_value
      - .offset:         32
        .size:           4
        .value_kind:     by_value
      - .offset:         40
        .size:           4
        .value_kind:     hidden_block_count_x
      - .offset:         44
        .size:           4
        .value_kind:     hidden_block_count_y
      - .offset:         48
        .size:           4
        .value_kind:     hidden_block_count_z
      - .offset:         52
        .size:           2
        .value_kind:     hidden_group_size_x
      - .offset:         54
        .size:           2
        .value_kind:     hidden_group_size_y
      - .offset:         56
        .size:           2
        .value_kind:     hidden_group_size_z
      - .offset:         58
        .size:           2
        .value_kind:     hidden_remainder_x
      - .offset:         60
        .size:           2
        .value_kind:     hidden_remainder_y
      - .offset:         62
        .size:           2
        .value_kind:     hidden_remainder_z
      - .offset:         80
        .size:           8
        .value_kind:     hidden_global_offset_x
      - .offset:         88
        .size:           8
        .value_kind:     hidden_global_offset_y
      - .offset:         96
        .size:           8
        .value_kind:     hidden_global_offset_z
      - .offset:         104
        .size:           2
        .value_kind:     hidden_grid_dims
    .group_segment_fixed_size: 0
    .kernarg_segment_align: 8
    .kernarg_segment_size: 296
    .language:       OpenCL C
    .language_version:
      - 2
      - 0
    .max_flat_workgroup_size: 1024
    .name:           _ZL13mul_mat_vec_qIN3c104HalfELi32ELi8E10block_q8_0Li2EXadL_ZL17vec_dot_q8_0_q8_1PKvPK10block_q8_1RKiEEEvS4_S4_PT_iii
    .private_segment_fixed_size: 0
    .sgpr_count:     14
    .sgpr_spill_count: 0
    .symbol:         _ZL13mul_mat_vec_qIN3c104HalfELi32ELi8E10block_q8_0Li2EXadL_ZL17vec_dot_q8_0_q8_1PKvPK10block_q8_1RKiEEEvS4_S4_PT_iii.kd
    .uniform_work_group_size: 1
    .uses_dynamic_stack: false
    .vgpr_count:     25
    .vgpr_spill_count: 0
    .wavefront_size: 32
  - .args:
      - .actual_access:  read_only
        .address_space:  global
        .offset:         0
        .size:           8
        .value_kind:     global_buffer
      - .actual_access:  read_only
        .address_space:  global
        .offset:         8
        .size:           8
        .value_kind:     global_buffer
      - .actual_access:  write_only
        .address_space:  global
        .offset:         16
        .size:           8
        .value_kind:     global_buffer
      - .offset:         24
        .size:           4
        .value_kind:     by_value
      - .offset:         28
        .size:           4
        .value_kind:     by_value
      - .offset:         32
        .size:           4
        .value_kind:     by_value
      - .offset:         40
        .size:           4
        .value_kind:     hidden_block_count_x
      - .offset:         44
        .size:           4
        .value_kind:     hidden_block_count_y
      - .offset:         48
        .size:           4
        .value_kind:     hidden_block_count_z
      - .offset:         52
        .size:           2
        .value_kind:     hidden_group_size_x
      - .offset:         54
        .size:           2
        .value_kind:     hidden_group_size_y
      - .offset:         56
        .size:           2
        .value_kind:     hidden_group_size_z
      - .offset:         58
        .size:           2
        .value_kind:     hidden_remainder_x
      - .offset:         60
        .size:           2
        .value_kind:     hidden_remainder_y
      - .offset:         62
        .size:           2
        .value_kind:     hidden_remainder_z
      - .offset:         80
        .size:           8
        .value_kind:     hidden_global_offset_x
      - .offset:         88
        .size:           8
        .value_kind:     hidden_global_offset_y
      - .offset:         96
        .size:           8
        .value_kind:     hidden_global_offset_z
      - .offset:         104
        .size:           2
        .value_kind:     hidden_grid_dims
    .group_segment_fixed_size: 0
    .kernarg_segment_align: 8
    .kernarg_segment_size: 296
    .language:       OpenCL C
    .language_version:
      - 2
      - 0
    .max_flat_workgroup_size: 1024
    .name:           _ZL13mul_mat_vec_qIN3c104HalfELi256ELi16E10block_q2_KLi1EXadL_ZL17vec_dot_q2_K_q8_1PKvPK10block_q8_1RKiEEEvS4_S4_PT_iii
    .private_segment_fixed_size: 0
    .sgpr_count:     14
    .sgpr_spill_count: 0
    .symbol:         _ZL13mul_mat_vec_qIN3c104HalfELi256ELi16E10block_q2_KLi1EXadL_ZL17vec_dot_q2_K_q8_1PKvPK10block_q8_1RKiEEEvS4_S4_PT_iii.kd
    .uniform_work_group_size: 1
    .uses_dynamic_stack: false
    .vgpr_count:     62
    .vgpr_spill_count: 0
    .wavefront_size: 32
  - .args:
      - .actual_access:  read_only
        .address_space:  global
        .offset:         0
        .size:           8
        .value_kind:     global_buffer
      - .actual_access:  read_only
        .address_space:  global
        .offset:         8
        .size:           8
        .value_kind:     global_buffer
      - .actual_access:  write_only
        .address_space:  global
        .offset:         16
        .size:           8
        .value_kind:     global_buffer
      - .offset:         24
        .size:           4
        .value_kind:     by_value
      - .offset:         28
        .size:           4
        .value_kind:     by_value
      - .offset:         32
        .size:           4
        .value_kind:     by_value
      - .offset:         40
        .size:           4
        .value_kind:     hidden_block_count_x
      - .offset:         44
        .size:           4
        .value_kind:     hidden_block_count_y
      - .offset:         48
        .size:           4
        .value_kind:     hidden_block_count_z
      - .offset:         52
        .size:           2
        .value_kind:     hidden_group_size_x
      - .offset:         54
        .size:           2
        .value_kind:     hidden_group_size_y
      - .offset:         56
        .size:           2
        .value_kind:     hidden_group_size_z
      - .offset:         58
        .size:           2
        .value_kind:     hidden_remainder_x
      - .offset:         60
        .size:           2
        .value_kind:     hidden_remainder_y
      - .offset:         62
        .size:           2
        .value_kind:     hidden_remainder_z
      - .offset:         80
        .size:           8
        .value_kind:     hidden_global_offset_x
      - .offset:         88
        .size:           8
        .value_kind:     hidden_global_offset_y
      - .offset:         96
        .size:           8
        .value_kind:     hidden_global_offset_z
      - .offset:         104
        .size:           2
        .value_kind:     hidden_grid_dims
    .group_segment_fixed_size: 0
    .kernarg_segment_align: 8
    .kernarg_segment_size: 296
    .language:       OpenCL C
    .language_version:
      - 2
      - 0
    .max_flat_workgroup_size: 1024
    .name:           _ZL13mul_mat_vec_qIN3c104HalfELi256ELi16E10block_q3_KLi1EXadL_ZL17vec_dot_q3_K_q8_1PKvPK10block_q8_1RKiEEEvS4_S4_PT_iii
    .private_segment_fixed_size: 0
    .sgpr_count:     14
    .sgpr_spill_count: 0
    .symbol:         _ZL13mul_mat_vec_qIN3c104HalfELi256ELi16E10block_q3_KLi1EXadL_ZL17vec_dot_q3_K_q8_1PKvPK10block_q8_1RKiEEEvS4_S4_PT_iii.kd
    .uniform_work_group_size: 1
    .uses_dynamic_stack: false
    .vgpr_count:     61
    .vgpr_spill_count: 0
    .wavefront_size: 32
  - .args:
      - .actual_access:  read_only
        .address_space:  global
        .offset:         0
        .size:           8
        .value_kind:     global_buffer
      - .actual_access:  read_only
        .address_space:  global
        .offset:         8
        .size:           8
        .value_kind:     global_buffer
      - .actual_access:  write_only
        .address_space:  global
        .offset:         16
        .size:           8
        .value_kind:     global_buffer
      - .offset:         24
        .size:           4
        .value_kind:     by_value
      - .offset:         28
        .size:           4
        .value_kind:     by_value
      - .offset:         32
        .size:           4
        .value_kind:     by_value
      - .offset:         40
        .size:           4
        .value_kind:     hidden_block_count_x
      - .offset:         44
        .size:           4
        .value_kind:     hidden_block_count_y
      - .offset:         48
        .size:           4
        .value_kind:     hidden_block_count_z
      - .offset:         52
        .size:           2
        .value_kind:     hidden_group_size_x
      - .offset:         54
        .size:           2
        .value_kind:     hidden_group_size_y
      - .offset:         56
        .size:           2
        .value_kind:     hidden_group_size_z
      - .offset:         58
        .size:           2
        .value_kind:     hidden_remainder_x
      - .offset:         60
        .size:           2
        .value_kind:     hidden_remainder_y
      - .offset:         62
        .size:           2
        .value_kind:     hidden_remainder_z
      - .offset:         80
        .size:           8
        .value_kind:     hidden_global_offset_x
      - .offset:         88
        .size:           8
        .value_kind:     hidden_global_offset_y
      - .offset:         96
        .size:           8
        .value_kind:     hidden_global_offset_z
      - .offset:         104
        .size:           2
        .value_kind:     hidden_grid_dims
    .group_segment_fixed_size: 0
    .kernarg_segment_align: 8
    .kernarg_segment_size: 296
    .language:       OpenCL C
    .language_version:
      - 2
      - 0
    .max_flat_workgroup_size: 1024
    .name:           _ZL13mul_mat_vec_qIN3c104HalfELi256ELi32E10block_q4_KLi2EXadL_ZL17vec_dot_q4_K_q8_1PKvPK10block_q8_1RKiEEEvS4_S4_PT_iii
    .private_segment_fixed_size: 0
    .sgpr_count:     15
    .sgpr_spill_count: 0
    .symbol:         _ZL13mul_mat_vec_qIN3c104HalfELi256ELi32E10block_q4_KLi2EXadL_ZL17vec_dot_q4_K_q8_1PKvPK10block_q8_1RKiEEEvS4_S4_PT_iii.kd
    .uniform_work_group_size: 1
    .uses_dynamic_stack: false
    .vgpr_count:     55
    .vgpr_spill_count: 0
    .wavefront_size: 32
  - .args:
      - .actual_access:  read_only
        .address_space:  global
        .offset:         0
        .size:           8
        .value_kind:     global_buffer
      - .actual_access:  read_only
        .address_space:  global
        .offset:         8
        .size:           8
        .value_kind:     global_buffer
      - .actual_access:  write_only
        .address_space:  global
        .offset:         16
        .size:           8
        .value_kind:     global_buffer
      - .offset:         24
        .size:           4
        .value_kind:     by_value
      - .offset:         28
        .size:           4
        .value_kind:     by_value
      - .offset:         32
        .size:           4
        .value_kind:     by_value
      - .offset:         40
        .size:           4
        .value_kind:     hidden_block_count_x
      - .offset:         44
        .size:           4
        .value_kind:     hidden_block_count_y
      - .offset:         48
        .size:           4
        .value_kind:     hidden_block_count_z
      - .offset:         52
        .size:           2
        .value_kind:     hidden_group_size_x
      - .offset:         54
        .size:           2
        .value_kind:     hidden_group_size_y
      - .offset:         56
        .size:           2
        .value_kind:     hidden_group_size_z
      - .offset:         58
        .size:           2
        .value_kind:     hidden_remainder_x
      - .offset:         60
        .size:           2
        .value_kind:     hidden_remainder_y
      - .offset:         62
        .size:           2
        .value_kind:     hidden_remainder_z
      - .offset:         80
        .size:           8
        .value_kind:     hidden_global_offset_x
      - .offset:         88
        .size:           8
        .value_kind:     hidden_global_offset_y
      - .offset:         96
        .size:           8
        .value_kind:     hidden_global_offset_z
      - .offset:         104
        .size:           2
        .value_kind:     hidden_grid_dims
    .group_segment_fixed_size: 0
    .kernarg_segment_align: 8
    .kernarg_segment_size: 296
    .language:       OpenCL C
    .language_version:
      - 2
      - 0
    .max_flat_workgroup_size: 1024
    .name:           _ZL13mul_mat_vec_qIN3c104HalfELi256ELi32E10block_q5_KLi2EXadL_ZL17vec_dot_q5_K_q8_1PKvPK10block_q8_1RKiEEEvS4_S4_PT_iii
    .private_segment_fixed_size: 0
    .sgpr_count:     15
    .sgpr_spill_count: 0
    .symbol:         _ZL13mul_mat_vec_qIN3c104HalfELi256ELi32E10block_q5_KLi2EXadL_ZL17vec_dot_q5_K_q8_1PKvPK10block_q8_1RKiEEEvS4_S4_PT_iii.kd
    .uniform_work_group_size: 1
    .uses_dynamic_stack: false
    .vgpr_count:     56
    .vgpr_spill_count: 0
    .wavefront_size: 32
  - .args:
      - .actual_access:  read_only
        .address_space:  global
        .offset:         0
        .size:           8
        .value_kind:     global_buffer
      - .actual_access:  read_only
        .address_space:  global
        .offset:         8
        .size:           8
        .value_kind:     global_buffer
      - .actual_access:  write_only
        .address_space:  global
        .offset:         16
        .size:           8
        .value_kind:     global_buffer
      - .offset:         24
        .size:           4
        .value_kind:     by_value
      - .offset:         28
        .size:           4
        .value_kind:     by_value
      - .offset:         32
        .size:           4
        .value_kind:     by_value
      - .offset:         40
        .size:           4
        .value_kind:     hidden_block_count_x
      - .offset:         44
        .size:           4
        .value_kind:     hidden_block_count_y
      - .offset:         48
        .size:           4
        .value_kind:     hidden_block_count_z
      - .offset:         52
        .size:           2
        .value_kind:     hidden_group_size_x
      - .offset:         54
        .size:           2
        .value_kind:     hidden_group_size_y
      - .offset:         56
        .size:           2
        .value_kind:     hidden_group_size_z
      - .offset:         58
        .size:           2
        .value_kind:     hidden_remainder_x
      - .offset:         60
        .size:           2
        .value_kind:     hidden_remainder_y
      - .offset:         62
        .size:           2
        .value_kind:     hidden_remainder_z
      - .offset:         80
        .size:           8
        .value_kind:     hidden_global_offset_x
      - .offset:         88
        .size:           8
        .value_kind:     hidden_global_offset_y
      - .offset:         96
        .size:           8
        .value_kind:     hidden_global_offset_z
      - .offset:         104
        .size:           2
        .value_kind:     hidden_grid_dims
    .group_segment_fixed_size: 0
    .kernarg_segment_align: 8
    .kernarg_segment_size: 296
    .language:       OpenCL C
    .language_version:
      - 2
      - 0
    .max_flat_workgroup_size: 1024
    .name:           _ZL13mul_mat_vec_qIN3c104HalfELi256ELi32E10block_q6_KLi1EXadL_ZL17vec_dot_q6_K_q8_1PKvPK10block_q8_1RKiEEEvS4_S4_PT_iii
    .private_segment_fixed_size: 0
    .sgpr_count:     15
    .sgpr_spill_count: 0
    .symbol:         _ZL13mul_mat_vec_qIN3c104HalfELi256ELi32E10block_q6_KLi1EXadL_ZL17vec_dot_q6_K_q8_1PKvPK10block_q8_1RKiEEEvS4_S4_PT_iii.kd
    .uniform_work_group_size: 1
    .uses_dynamic_stack: false
    .vgpr_count:     38
    .vgpr_spill_count: 0
    .wavefront_size: 32
  - .args:
      - .actual_access:  read_only
        .address_space:  global
        .offset:         0
        .size:           8
        .value_kind:     global_buffer
      - .actual_access:  read_only
        .address_space:  global
        .offset:         8
        .size:           8
        .value_kind:     global_buffer
      - .actual_access:  write_only
        .address_space:  global
        .offset:         16
        .size:           8
        .value_kind:     global_buffer
      - .offset:         24
        .size:           4
        .value_kind:     by_value
      - .offset:         28
        .size:           4
        .value_kind:     by_value
      - .offset:         32
        .size:           4
        .value_kind:     by_value
      - .offset:         40
        .size:           4
        .value_kind:     hidden_block_count_x
      - .offset:         44
        .size:           4
        .value_kind:     hidden_block_count_y
      - .offset:         48
        .size:           4
        .value_kind:     hidden_block_count_z
      - .offset:         52
        .size:           2
        .value_kind:     hidden_group_size_x
      - .offset:         54
        .size:           2
        .value_kind:     hidden_group_size_y
      - .offset:         56
        .size:           2
        .value_kind:     hidden_group_size_z
      - .offset:         58
        .size:           2
        .value_kind:     hidden_remainder_x
      - .offset:         60
        .size:           2
        .value_kind:     hidden_remainder_y
      - .offset:         62
        .size:           2
        .value_kind:     hidden_remainder_z
      - .offset:         80
        .size:           8
        .value_kind:     hidden_global_offset_x
      - .offset:         88
        .size:           8
        .value_kind:     hidden_global_offset_y
      - .offset:         96
        .size:           8
        .value_kind:     hidden_global_offset_z
      - .offset:         104
        .size:           2
        .value_kind:     hidden_grid_dims
    .group_segment_fixed_size: 0
    .kernarg_segment_align: 8
    .kernarg_segment_size: 296
    .language:       OpenCL C
    .language_version:
      - 2
      - 0
    .max_flat_workgroup_size: 1024
    .name:           _ZL13mul_mat_vec_qIN3c104HalfELi256ELi8E13block_iq2_xxsLi1EXadL_ZL20vec_dot_iq2_xxs_q8_1PKvPK10block_q8_1RKiEEEvS4_S4_PT_iii
    .private_segment_fixed_size: 0
    .sgpr_count:     23
    .sgpr_spill_count: 0
    .symbol:         _ZL13mul_mat_vec_qIN3c104HalfELi256ELi8E13block_iq2_xxsLi1EXadL_ZL20vec_dot_iq2_xxs_q8_1PKvPK10block_q8_1RKiEEEvS4_S4_PT_iii.kd
    .uniform_work_group_size: 1
    .uses_dynamic_stack: false
    .vgpr_count:     64
    .vgpr_spill_count: 0
    .wavefront_size: 32
  - .args:
      - .actual_access:  read_only
        .address_space:  global
        .offset:         0
        .size:           8
        .value_kind:     global_buffer
      - .actual_access:  read_only
        .address_space:  global
        .offset:         8
        .size:           8
        .value_kind:     global_buffer
      - .actual_access:  write_only
        .address_space:  global
        .offset:         16
        .size:           8
        .value_kind:     global_buffer
      - .offset:         24
        .size:           4
        .value_kind:     by_value
      - .offset:         28
        .size:           4
        .value_kind:     by_value
      - .offset:         32
        .size:           4
        .value_kind:     by_value
      - .offset:         40
        .size:           4
        .value_kind:     hidden_block_count_x
      - .offset:         44
        .size:           4
        .value_kind:     hidden_block_count_y
      - .offset:         48
        .size:           4
        .value_kind:     hidden_block_count_z
      - .offset:         52
        .size:           2
        .value_kind:     hidden_group_size_x
      - .offset:         54
        .size:           2
        .value_kind:     hidden_group_size_y
      - .offset:         56
        .size:           2
        .value_kind:     hidden_group_size_z
      - .offset:         58
        .size:           2
        .value_kind:     hidden_remainder_x
      - .offset:         60
        .size:           2
        .value_kind:     hidden_remainder_y
      - .offset:         62
        .size:           2
        .value_kind:     hidden_remainder_z
      - .offset:         80
        .size:           8
        .value_kind:     hidden_global_offset_x
      - .offset:         88
        .size:           8
        .value_kind:     hidden_global_offset_y
      - .offset:         96
        .size:           8
        .value_kind:     hidden_global_offset_z
      - .offset:         104
        .size:           2
        .value_kind:     hidden_grid_dims
    .group_segment_fixed_size: 0
    .kernarg_segment_align: 8
    .kernarg_segment_size: 296
    .language:       OpenCL C
    .language_version:
      - 2
      - 0
    .max_flat_workgroup_size: 1024
    .name:           _ZL13mul_mat_vec_qIN3c104HalfELi256ELi8E12block_iq2_xsLi1EXadL_ZL19vec_dot_iq2_xs_q8_1PKvPK10block_q8_1RKiEEEvS4_S4_PT_iii
    .private_segment_fixed_size: 0
    .sgpr_count:     15
    .sgpr_spill_count: 0
    .symbol:         _ZL13mul_mat_vec_qIN3c104HalfELi256ELi8E12block_iq2_xsLi1EXadL_ZL19vec_dot_iq2_xs_q8_1PKvPK10block_q8_1RKiEEEvS4_S4_PT_iii.kd
    .uniform_work_group_size: 1
    .uses_dynamic_stack: false
    .vgpr_count:     40
    .vgpr_spill_count: 0
    .wavefront_size: 32
  - .args:
      - .actual_access:  read_only
        .address_space:  global
        .offset:         0
        .size:           8
        .value_kind:     global_buffer
      - .actual_access:  read_only
        .address_space:  global
        .offset:         8
        .size:           8
        .value_kind:     global_buffer
      - .actual_access:  write_only
        .address_space:  global
        .offset:         16
        .size:           8
        .value_kind:     global_buffer
      - .offset:         24
        .size:           4
        .value_kind:     by_value
      - .offset:         28
        .size:           4
        .value_kind:     by_value
      - .offset:         32
        .size:           4
        .value_kind:     by_value
      - .offset:         40
        .size:           4
        .value_kind:     hidden_block_count_x
      - .offset:         44
        .size:           4
        .value_kind:     hidden_block_count_y
      - .offset:         48
        .size:           4
        .value_kind:     hidden_block_count_z
      - .offset:         52
        .size:           2
        .value_kind:     hidden_group_size_x
      - .offset:         54
        .size:           2
        .value_kind:     hidden_group_size_y
      - .offset:         56
        .size:           2
        .value_kind:     hidden_group_size_z
      - .offset:         58
        .size:           2
        .value_kind:     hidden_remainder_x
      - .offset:         60
        .size:           2
        .value_kind:     hidden_remainder_y
      - .offset:         62
        .size:           2
        .value_kind:     hidden_remainder_z
      - .offset:         80
        .size:           8
        .value_kind:     hidden_global_offset_x
      - .offset:         88
        .size:           8
        .value_kind:     hidden_global_offset_y
      - .offset:         96
        .size:           8
        .value_kind:     hidden_global_offset_z
      - .offset:         104
        .size:           2
        .value_kind:     hidden_grid_dims
    .group_segment_fixed_size: 0
    .kernarg_segment_align: 8
    .kernarg_segment_size: 296
    .language:       OpenCL C
    .language_version:
      - 2
      - 0
    .max_flat_workgroup_size: 1024
    .name:           _ZL13mul_mat_vec_qIN3c104HalfELi256ELi8E13block_iq3_xxsLi1EXadL_ZL20vec_dot_iq3_xxs_q8_1PKvPK10block_q8_1RKiEEEvS4_S4_PT_iii
    .private_segment_fixed_size: 0
    .sgpr_count:     18
    .sgpr_spill_count: 0
    .symbol:         _ZL13mul_mat_vec_qIN3c104HalfELi256ELi8E13block_iq3_xxsLi1EXadL_ZL20vec_dot_iq3_xxs_q8_1PKvPK10block_q8_1RKiEEEvS4_S4_PT_iii.kd
    .uniform_work_group_size: 1
    .uses_dynamic_stack: false
    .vgpr_count:     41
    .vgpr_spill_count: 0
    .wavefront_size: 32
  - .args:
      - .actual_access:  read_only
        .address_space:  global
        .offset:         0
        .size:           8
        .value_kind:     global_buffer
      - .actual_access:  read_only
        .address_space:  global
        .offset:         8
        .size:           8
        .value_kind:     global_buffer
      - .actual_access:  write_only
        .address_space:  global
        .offset:         16
        .size:           8
        .value_kind:     global_buffer
      - .offset:         24
        .size:           4
        .value_kind:     by_value
      - .offset:         28
        .size:           4
        .value_kind:     by_value
      - .offset:         32
        .size:           4
        .value_kind:     by_value
      - .offset:         40
        .size:           4
        .value_kind:     hidden_block_count_x
      - .offset:         44
        .size:           4
        .value_kind:     hidden_block_count_y
      - .offset:         48
        .size:           4
        .value_kind:     hidden_block_count_z
      - .offset:         52
        .size:           2
        .value_kind:     hidden_group_size_x
      - .offset:         54
        .size:           2
        .value_kind:     hidden_group_size_y
      - .offset:         56
        .size:           2
        .value_kind:     hidden_group_size_z
      - .offset:         58
        .size:           2
        .value_kind:     hidden_remainder_x
      - .offset:         60
        .size:           2
        .value_kind:     hidden_remainder_y
      - .offset:         62
        .size:           2
        .value_kind:     hidden_remainder_z
      - .offset:         80
        .size:           8
        .value_kind:     hidden_global_offset_x
      - .offset:         88
        .size:           8
        .value_kind:     hidden_global_offset_y
      - .offset:         96
        .size:           8
        .value_kind:     hidden_global_offset_z
      - .offset:         104
        .size:           2
        .value_kind:     hidden_grid_dims
    .group_segment_fixed_size: 0
    .kernarg_segment_align: 8
    .kernarg_segment_size: 296
    .language:       OpenCL C
    .language_version:
      - 2
      - 0
    .max_flat_workgroup_size: 1024
    .name:           _ZL13mul_mat_vec_qIN3c104HalfELi256ELi8E11block_iq1_sLi1EXadL_ZL18vec_dot_iq1_s_q8_1PKvPK10block_q8_1RKiEEEvS4_S4_PT_iii
    .private_segment_fixed_size: 0
    .sgpr_count:     14
    .sgpr_spill_count: 0
    .symbol:         _ZL13mul_mat_vec_qIN3c104HalfELi256ELi8E11block_iq1_sLi1EXadL_ZL18vec_dot_iq1_s_q8_1PKvPK10block_q8_1RKiEEEvS4_S4_PT_iii.kd
    .uniform_work_group_size: 1
    .uses_dynamic_stack: false
    .vgpr_count:     62
    .vgpr_spill_count: 0
    .wavefront_size: 32
  - .args:
      - .actual_access:  read_only
        .address_space:  global
        .offset:         0
        .size:           8
        .value_kind:     global_buffer
      - .actual_access:  read_only
        .address_space:  global
        .offset:         8
        .size:           8
        .value_kind:     global_buffer
      - .actual_access:  write_only
        .address_space:  global
        .offset:         16
        .size:           8
        .value_kind:     global_buffer
      - .offset:         24
        .size:           4
        .value_kind:     by_value
      - .offset:         28
        .size:           4
        .value_kind:     by_value
      - .offset:         32
        .size:           4
        .value_kind:     by_value
      - .offset:         40
        .size:           4
        .value_kind:     hidden_block_count_x
      - .offset:         44
        .size:           4
        .value_kind:     hidden_block_count_y
      - .offset:         48
        .size:           4
        .value_kind:     hidden_block_count_z
      - .offset:         52
        .size:           2
        .value_kind:     hidden_group_size_x
      - .offset:         54
        .size:           2
        .value_kind:     hidden_group_size_y
      - .offset:         56
        .size:           2
        .value_kind:     hidden_group_size_z
      - .offset:         58
        .size:           2
        .value_kind:     hidden_remainder_x
      - .offset:         60
        .size:           2
        .value_kind:     hidden_remainder_y
      - .offset:         62
        .size:           2
        .value_kind:     hidden_remainder_z
      - .offset:         80
        .size:           8
        .value_kind:     hidden_global_offset_x
      - .offset:         88
        .size:           8
        .value_kind:     hidden_global_offset_y
      - .offset:         96
        .size:           8
        .value_kind:     hidden_global_offset_z
      - .offset:         104
        .size:           2
        .value_kind:     hidden_grid_dims
    .group_segment_fixed_size: 0
    .kernarg_segment_align: 8
    .kernarg_segment_size: 296
    .language:       OpenCL C
    .language_version:
      - 2
      - 0
    .max_flat_workgroup_size: 1024
    .name:           _ZL13mul_mat_vec_qIN3c104HalfELi32ELi4E12block_iq4_nlLi2EXadL_ZL19vec_dot_iq4_nl_q8_1PKvPK10block_q8_1RKiEEEvS4_S4_PT_iii
    .private_segment_fixed_size: 0
    .sgpr_count:     16
    .sgpr_spill_count: 0
    .symbol:         _ZL13mul_mat_vec_qIN3c104HalfELi32ELi4E12block_iq4_nlLi2EXadL_ZL19vec_dot_iq4_nl_q8_1PKvPK10block_q8_1RKiEEEvS4_S4_PT_iii.kd
    .uniform_work_group_size: 1
    .uses_dynamic_stack: false
    .vgpr_count:     45
    .vgpr_spill_count: 0
    .wavefront_size: 32
  - .args:
      - .actual_access:  read_only
        .address_space:  global
        .offset:         0
        .size:           8
        .value_kind:     global_buffer
      - .actual_access:  read_only
        .address_space:  global
        .offset:         8
        .size:           8
        .value_kind:     global_buffer
      - .actual_access:  write_only
        .address_space:  global
        .offset:         16
        .size:           8
        .value_kind:     global_buffer
      - .offset:         24
        .size:           4
        .value_kind:     by_value
      - .offset:         28
        .size:           4
        .value_kind:     by_value
      - .offset:         32
        .size:           4
        .value_kind:     by_value
      - .offset:         40
        .size:           4
        .value_kind:     hidden_block_count_x
      - .offset:         44
        .size:           4
        .value_kind:     hidden_block_count_y
      - .offset:         48
        .size:           4
        .value_kind:     hidden_block_count_z
      - .offset:         52
        .size:           2
        .value_kind:     hidden_group_size_x
      - .offset:         54
        .size:           2
        .value_kind:     hidden_group_size_y
      - .offset:         56
        .size:           2
        .value_kind:     hidden_group_size_z
      - .offset:         58
        .size:           2
        .value_kind:     hidden_remainder_x
      - .offset:         60
        .size:           2
        .value_kind:     hidden_remainder_y
      - .offset:         62
        .size:           2
        .value_kind:     hidden_remainder_z
      - .offset:         80
        .size:           8
        .value_kind:     hidden_global_offset_x
      - .offset:         88
        .size:           8
        .value_kind:     hidden_global_offset_y
      - .offset:         96
        .size:           8
        .value_kind:     hidden_global_offset_z
      - .offset:         104
        .size:           2
        .value_kind:     hidden_grid_dims
    .group_segment_fixed_size: 0
    .kernarg_segment_align: 8
    .kernarg_segment_size: 296
    .language:       OpenCL C
    .language_version:
      - 2
      - 0
    .max_flat_workgroup_size: 1024
    .name:           _ZL13mul_mat_vec_qIN3c104HalfELi256ELi8E11block_iq3_sLi1EXadL_ZL18vec_dot_iq3_s_q8_1PKvPK10block_q8_1RKiEEEvS4_S4_PT_iii
    .private_segment_fixed_size: 0
    .sgpr_count:     16
    .sgpr_spill_count: 0
    .symbol:         _ZL13mul_mat_vec_qIN3c104HalfELi256ELi8E11block_iq3_sLi1EXadL_ZL18vec_dot_iq3_s_q8_1PKvPK10block_q8_1RKiEEEvS4_S4_PT_iii.kd
    .uniform_work_group_size: 1
    .uses_dynamic_stack: false
    .vgpr_count:     49
    .vgpr_spill_count: 0
    .wavefront_size: 32
  - .args:
      - .actual_access:  read_only
        .address_space:  global
        .offset:         0
        .size:           8
        .value_kind:     global_buffer
      - .actual_access:  read_only
        .address_space:  global
        .offset:         8
        .size:           8
        .value_kind:     global_buffer
      - .actual_access:  write_only
        .address_space:  global
        .offset:         16
        .size:           8
        .value_kind:     global_buffer
      - .offset:         24
        .size:           4
        .value_kind:     by_value
      - .offset:         28
        .size:           4
        .value_kind:     by_value
      - .offset:         32
        .size:           4
        .value_kind:     by_value
      - .offset:         40
        .size:           4
        .value_kind:     hidden_block_count_x
      - .offset:         44
        .size:           4
        .value_kind:     hidden_block_count_y
      - .offset:         48
        .size:           4
        .value_kind:     hidden_block_count_z
      - .offset:         52
        .size:           2
        .value_kind:     hidden_group_size_x
      - .offset:         54
        .size:           2
        .value_kind:     hidden_group_size_y
      - .offset:         56
        .size:           2
        .value_kind:     hidden_group_size_z
      - .offset:         58
        .size:           2
        .value_kind:     hidden_remainder_x
      - .offset:         60
        .size:           2
        .value_kind:     hidden_remainder_y
      - .offset:         62
        .size:           2
        .value_kind:     hidden_remainder_z
      - .offset:         80
        .size:           8
        .value_kind:     hidden_global_offset_x
      - .offset:         88
        .size:           8
        .value_kind:     hidden_global_offset_y
      - .offset:         96
        .size:           8
        .value_kind:     hidden_global_offset_z
      - .offset:         104
        .size:           2
        .value_kind:     hidden_grid_dims
    .group_segment_fixed_size: 0
    .kernarg_segment_align: 8
    .kernarg_segment_size: 296
    .language:       OpenCL C
    .language_version:
      - 2
      - 0
    .max_flat_workgroup_size: 1024
    .name:           _ZL13mul_mat_vec_qIN3c104HalfELi256ELi8E11block_iq2_sLi1EXadL_ZL18vec_dot_iq2_s_q8_1PKvPK10block_q8_1RKiEEEvS4_S4_PT_iii
    .private_segment_fixed_size: 0
    .sgpr_count:     14
    .sgpr_spill_count: 0
    .symbol:         _ZL13mul_mat_vec_qIN3c104HalfELi256ELi8E11block_iq2_sLi1EXadL_ZL18vec_dot_iq2_s_q8_1PKvPK10block_q8_1RKiEEEvS4_S4_PT_iii.kd
    .uniform_work_group_size: 1
    .uses_dynamic_stack: false
    .vgpr_count:     62
    .vgpr_spill_count: 0
    .wavefront_size: 32
  - .args:
      - .actual_access:  read_only
        .address_space:  global
        .offset:         0
        .size:           8
        .value_kind:     global_buffer
      - .actual_access:  read_only
        .address_space:  global
        .offset:         8
        .size:           8
        .value_kind:     global_buffer
      - .actual_access:  write_only
        .address_space:  global
        .offset:         16
        .size:           8
        .value_kind:     global_buffer
      - .offset:         24
        .size:           4
        .value_kind:     by_value
      - .offset:         28
        .size:           4
        .value_kind:     by_value
      - .offset:         32
        .size:           4
        .value_kind:     by_value
      - .offset:         40
        .size:           4
        .value_kind:     hidden_block_count_x
      - .offset:         44
        .size:           4
        .value_kind:     hidden_block_count_y
      - .offset:         48
        .size:           4
        .value_kind:     hidden_block_count_z
      - .offset:         52
        .size:           2
        .value_kind:     hidden_group_size_x
      - .offset:         54
        .size:           2
        .value_kind:     hidden_group_size_y
      - .offset:         56
        .size:           2
        .value_kind:     hidden_group_size_z
      - .offset:         58
        .size:           2
        .value_kind:     hidden_remainder_x
      - .offset:         60
        .size:           2
        .value_kind:     hidden_remainder_y
      - .offset:         62
        .size:           2
        .value_kind:     hidden_remainder_z
      - .offset:         80
        .size:           8
        .value_kind:     hidden_global_offset_x
      - .offset:         88
        .size:           8
        .value_kind:     hidden_global_offset_y
      - .offset:         96
        .size:           8
        .value_kind:     hidden_global_offset_z
      - .offset:         104
        .size:           2
        .value_kind:     hidden_grid_dims
    .group_segment_fixed_size: 0
    .kernarg_segment_align: 8
    .kernarg_segment_size: 296
    .language:       OpenCL C
    .language_version:
      - 2
      - 0
    .max_flat_workgroup_size: 1024
    .name:           _ZL13mul_mat_vec_qIN3c104HalfELi256ELi8E12block_iq4_xsLi1EXadL_ZL19vec_dot_iq4_xs_q8_1PKvPK10block_q8_1RKiEEEvS4_S4_PT_iii
    .private_segment_fixed_size: 0
    .sgpr_count:     14
    .sgpr_spill_count: 0
    .symbol:         _ZL13mul_mat_vec_qIN3c104HalfELi256ELi8E12block_iq4_xsLi1EXadL_ZL19vec_dot_iq4_xs_q8_1PKvPK10block_q8_1RKiEEEvS4_S4_PT_iii.kd
    .uniform_work_group_size: 1
    .uses_dynamic_stack: false
    .vgpr_count:     64
    .vgpr_spill_count: 0
    .wavefront_size: 32
  - .args:
      - .actual_access:  read_only
        .address_space:  global
        .offset:         0
        .size:           8
        .value_kind:     global_buffer
      - .actual_access:  read_only
        .address_space:  global
        .offset:         8
        .size:           8
        .value_kind:     global_buffer
      - .actual_access:  write_only
        .address_space:  global
        .offset:         16
        .size:           8
        .value_kind:     global_buffer
      - .offset:         24
        .size:           4
        .value_kind:     by_value
      - .offset:         28
        .size:           4
        .value_kind:     by_value
      - .offset:         32
        .size:           4
        .value_kind:     by_value
      - .offset:         40
        .size:           4
        .value_kind:     hidden_block_count_x
      - .offset:         44
        .size:           4
        .value_kind:     hidden_block_count_y
      - .offset:         48
        .size:           4
        .value_kind:     hidden_block_count_z
      - .offset:         52
        .size:           2
        .value_kind:     hidden_group_size_x
      - .offset:         54
        .size:           2
        .value_kind:     hidden_group_size_y
      - .offset:         56
        .size:           2
        .value_kind:     hidden_group_size_z
      - .offset:         58
        .size:           2
        .value_kind:     hidden_remainder_x
      - .offset:         60
        .size:           2
        .value_kind:     hidden_remainder_y
      - .offset:         62
        .size:           2
        .value_kind:     hidden_remainder_z
      - .offset:         80
        .size:           8
        .value_kind:     hidden_global_offset_x
      - .offset:         88
        .size:           8
        .value_kind:     hidden_global_offset_y
      - .offset:         96
        .size:           8
        .value_kind:     hidden_global_offset_z
      - .offset:         104
        .size:           2
        .value_kind:     hidden_grid_dims
    .group_segment_fixed_size: 0
    .kernarg_segment_align: 8
    .kernarg_segment_size: 296
    .language:       OpenCL C
    .language_version:
      - 2
      - 0
    .max_flat_workgroup_size: 1024
    .name:           _ZL13mul_mat_vec_qIN3c104HalfELi256ELi8E11block_iq1_mLi1EXadL_ZL18vec_dot_iq1_m_q8_1PKvPK10block_q8_1RKiEEEvS4_S4_PT_iii
    .private_segment_fixed_size: 0
    .sgpr_count:     15
    .sgpr_spill_count: 0
    .symbol:         _ZL13mul_mat_vec_qIN3c104HalfELi256ELi8E11block_iq1_mLi1EXadL_ZL18vec_dot_iq1_m_q8_1PKvPK10block_q8_1RKiEEEvS4_S4_PT_iii.kd
    .uniform_work_group_size: 1
    .uses_dynamic_stack: false
    .vgpr_count:     63
    .vgpr_spill_count: 0
    .wavefront_size: 32
  - .args:
      - .actual_access:  read_only
        .address_space:  global
        .offset:         0
        .size:           8
        .value_kind:     global_buffer
      - .actual_access:  write_only
        .address_space:  global
        .offset:         8
        .size:           8
        .value_kind:     global_buffer
      - .offset:         16
        .size:           4
        .value_kind:     by_value
      - .offset:         20
        .size:           4
        .value_kind:     by_value
      - .offset:         24
        .size:           4
        .value_kind:     hidden_block_count_x
      - .offset:         28
        .size:           4
        .value_kind:     hidden_block_count_y
      - .offset:         32
        .size:           4
        .value_kind:     hidden_block_count_z
      - .offset:         36
        .size:           2
        .value_kind:     hidden_group_size_x
      - .offset:         38
        .size:           2
        .value_kind:     hidden_group_size_y
      - .offset:         40
        .size:           2
        .value_kind:     hidden_group_size_z
      - .offset:         42
        .size:           2
        .value_kind:     hidden_remainder_x
      - .offset:         44
        .size:           2
        .value_kind:     hidden_remainder_y
      - .offset:         46
        .size:           2
        .value_kind:     hidden_remainder_z
      - .offset:         64
        .size:           8
        .value_kind:     hidden_global_offset_x
      - .offset:         72
        .size:           8
        .value_kind:     hidden_global_offset_y
      - .offset:         80
        .size:           8
        .value_kind:     hidden_global_offset_z
      - .offset:         88
        .size:           2
        .value_kind:     hidden_grid_dims
    .group_segment_fixed_size: 0
    .kernarg_segment_align: 8
    .kernarg_segment_size: 280
    .language:       OpenCL C
    .language_version:
      - 2
      - 0
    .max_flat_workgroup_size: 1024
    .name:           _ZL13quantize_q8_1IN3c108BFloat16EEvPKT_Pvii
    .private_segment_fixed_size: 0
    .sgpr_count:     10
    .sgpr_spill_count: 0
    .symbol:         _ZL13quantize_q8_1IN3c108BFloat16EEvPKT_Pvii.kd
    .uniform_work_group_size: 1
    .uses_dynamic_stack: false
    .vgpr_count:     13
    .vgpr_spill_count: 0
    .wavefront_size: 32
  - .args:
      - .actual_access:  read_only
        .address_space:  global
        .offset:         0
        .size:           8
        .value_kind:     global_buffer
      - .actual_access:  read_only
        .address_space:  global
        .offset:         8
        .size:           8
        .value_kind:     global_buffer
      - .actual_access:  write_only
        .address_space:  global
        .offset:         16
        .size:           8
        .value_kind:     global_buffer
      - .offset:         24
        .size:           4
        .value_kind:     by_value
      - .offset:         28
        .size:           4
        .value_kind:     by_value
      - .offset:         32
        .size:           4
        .value_kind:     by_value
      - .offset:         40
        .size:           4
        .value_kind:     hidden_block_count_x
      - .offset:         44
        .size:           4
        .value_kind:     hidden_block_count_y
      - .offset:         48
        .size:           4
        .value_kind:     hidden_block_count_z
      - .offset:         52
        .size:           2
        .value_kind:     hidden_group_size_x
      - .offset:         54
        .size:           2
        .value_kind:     hidden_group_size_y
      - .offset:         56
        .size:           2
        .value_kind:     hidden_group_size_z
      - .offset:         58
        .size:           2
        .value_kind:     hidden_remainder_x
      - .offset:         60
        .size:           2
        .value_kind:     hidden_remainder_y
      - .offset:         62
        .size:           2
        .value_kind:     hidden_remainder_z
      - .offset:         80
        .size:           8
        .value_kind:     hidden_global_offset_x
      - .offset:         88
        .size:           8
        .value_kind:     hidden_global_offset_y
      - .offset:         96
        .size:           8
        .value_kind:     hidden_global_offset_z
      - .offset:         104
        .size:           2
        .value_kind:     hidden_grid_dims
    .group_segment_fixed_size: 0
    .kernarg_segment_align: 8
    .kernarg_segment_size: 296
    .language:       OpenCL C
    .language_version:
      - 2
      - 0
    .max_flat_workgroup_size: 1024
    .name:           _ZL13mul_mat_vec_qIN3c108BFloat16ELi32ELi4E10block_q4_0Li2EXadL_ZL17vec_dot_q4_0_q8_1PKvPK10block_q8_1RKiEEEvS4_S4_PT_iii
    .private_segment_fixed_size: 0
    .sgpr_count:     14
    .sgpr_spill_count: 0
    .symbol:         _ZL13mul_mat_vec_qIN3c108BFloat16ELi32ELi4E10block_q4_0Li2EXadL_ZL17vec_dot_q4_0_q8_1PKvPK10block_q8_1RKiEEEvS4_S4_PT_iii.kd
    .uniform_work_group_size: 1
    .uses_dynamic_stack: false
    .vgpr_count:     42
    .vgpr_spill_count: 0
    .wavefront_size: 32
  - .args:
      - .actual_access:  read_only
        .address_space:  global
        .offset:         0
        .size:           8
        .value_kind:     global_buffer
      - .actual_access:  read_only
        .address_space:  global
        .offset:         8
        .size:           8
        .value_kind:     global_buffer
      - .actual_access:  write_only
        .address_space:  global
        .offset:         16
        .size:           8
        .value_kind:     global_buffer
      - .offset:         24
        .size:           4
        .value_kind:     by_value
      - .offset:         28
        .size:           4
        .value_kind:     by_value
      - .offset:         32
        .size:           4
        .value_kind:     by_value
      - .offset:         40
        .size:           4
        .value_kind:     hidden_block_count_x
      - .offset:         44
        .size:           4
        .value_kind:     hidden_block_count_y
      - .offset:         48
        .size:           4
        .value_kind:     hidden_block_count_z
      - .offset:         52
        .size:           2
        .value_kind:     hidden_group_size_x
      - .offset:         54
        .size:           2
        .value_kind:     hidden_group_size_y
      - .offset:         56
        .size:           2
        .value_kind:     hidden_group_size_z
      - .offset:         58
        .size:           2
        .value_kind:     hidden_remainder_x
      - .offset:         60
        .size:           2
        .value_kind:     hidden_remainder_y
      - .offset:         62
        .size:           2
        .value_kind:     hidden_remainder_z
      - .offset:         80
        .size:           8
        .value_kind:     hidden_global_offset_x
      - .offset:         88
        .size:           8
        .value_kind:     hidden_global_offset_y
      - .offset:         96
        .size:           8
        .value_kind:     hidden_global_offset_z
      - .offset:         104
        .size:           2
        .value_kind:     hidden_grid_dims
    .group_segment_fixed_size: 0
    .kernarg_segment_align: 8
    .kernarg_segment_size: 296
    .language:       OpenCL C
    .language_version:
      - 2
      - 0
    .max_flat_workgroup_size: 1024
    .name:           _ZL13mul_mat_vec_qIN3c108BFloat16ELi32ELi4E10block_q4_1Li2EXadL_ZL17vec_dot_q4_1_q8_1PKvPK10block_q8_1RKiEEEvS4_S4_PT_iii
    .private_segment_fixed_size: 0
    .sgpr_count:     14
    .sgpr_spill_count: 0
    .symbol:         _ZL13mul_mat_vec_qIN3c108BFloat16ELi32ELi4E10block_q4_1Li2EXadL_ZL17vec_dot_q4_1_q8_1PKvPK10block_q8_1RKiEEEvS4_S4_PT_iii.kd
    .uniform_work_group_size: 1
    .uses_dynamic_stack: false
    .vgpr_count:     42
    .vgpr_spill_count: 0
    .wavefront_size: 32
  - .args:
      - .actual_access:  read_only
        .address_space:  global
        .offset:         0
        .size:           8
        .value_kind:     global_buffer
      - .actual_access:  read_only
        .address_space:  global
        .offset:         8
        .size:           8
        .value_kind:     global_buffer
      - .actual_access:  write_only
        .address_space:  global
        .offset:         16
        .size:           8
        .value_kind:     global_buffer
      - .offset:         24
        .size:           4
        .value_kind:     by_value
      - .offset:         28
        .size:           4
        .value_kind:     by_value
      - .offset:         32
        .size:           4
        .value_kind:     by_value
      - .offset:         40
        .size:           4
        .value_kind:     hidden_block_count_x
      - .offset:         44
        .size:           4
        .value_kind:     hidden_block_count_y
      - .offset:         48
        .size:           4
        .value_kind:     hidden_block_count_z
      - .offset:         52
        .size:           2
        .value_kind:     hidden_group_size_x
      - .offset:         54
        .size:           2
        .value_kind:     hidden_group_size_y
      - .offset:         56
        .size:           2
        .value_kind:     hidden_group_size_z
      - .offset:         58
        .size:           2
        .value_kind:     hidden_remainder_x
      - .offset:         60
        .size:           2
        .value_kind:     hidden_remainder_y
      - .offset:         62
        .size:           2
        .value_kind:     hidden_remainder_z
      - .offset:         80
        .size:           8
        .value_kind:     hidden_global_offset_x
      - .offset:         88
        .size:           8
        .value_kind:     hidden_global_offset_y
      - .offset:         96
        .size:           8
        .value_kind:     hidden_global_offset_z
      - .offset:         104
        .size:           2
        .value_kind:     hidden_grid_dims
    .group_segment_fixed_size: 0
    .kernarg_segment_align: 8
    .kernarg_segment_size: 296
    .language:       OpenCL C
    .language_version:
      - 2
      - 0
    .max_flat_workgroup_size: 1024
    .name:           _ZL13mul_mat_vec_qIN3c108BFloat16ELi32ELi4E10block_q5_0Li2EXadL_ZL17vec_dot_q5_0_q8_1PKvPK10block_q8_1RKiEEEvS4_S4_PT_iii
    .private_segment_fixed_size: 0
    .sgpr_count:     14
    .sgpr_spill_count: 0
    .symbol:         _ZL13mul_mat_vec_qIN3c108BFloat16ELi32ELi4E10block_q5_0Li2EXadL_ZL17vec_dot_q5_0_q8_1PKvPK10block_q8_1RKiEEEvS4_S4_PT_iii.kd
    .uniform_work_group_size: 1
    .uses_dynamic_stack: false
    .vgpr_count:     47
    .vgpr_spill_count: 0
    .wavefront_size: 32
  - .args:
      - .actual_access:  read_only
        .address_space:  global
        .offset:         0
        .size:           8
        .value_kind:     global_buffer
      - .actual_access:  read_only
        .address_space:  global
        .offset:         8
        .size:           8
        .value_kind:     global_buffer
      - .actual_access:  write_only
        .address_space:  global
        .offset:         16
        .size:           8
        .value_kind:     global_buffer
      - .offset:         24
        .size:           4
        .value_kind:     by_value
      - .offset:         28
        .size:           4
        .value_kind:     by_value
      - .offset:         32
        .size:           4
        .value_kind:     by_value
      - .offset:         40
        .size:           4
        .value_kind:     hidden_block_count_x
      - .offset:         44
        .size:           4
        .value_kind:     hidden_block_count_y
      - .offset:         48
        .size:           4
        .value_kind:     hidden_block_count_z
      - .offset:         52
        .size:           2
        .value_kind:     hidden_group_size_x
      - .offset:         54
        .size:           2
        .value_kind:     hidden_group_size_y
      - .offset:         56
        .size:           2
        .value_kind:     hidden_group_size_z
      - .offset:         58
        .size:           2
        .value_kind:     hidden_remainder_x
      - .offset:         60
        .size:           2
        .value_kind:     hidden_remainder_y
      - .offset:         62
        .size:           2
        .value_kind:     hidden_remainder_z
      - .offset:         80
        .size:           8
        .value_kind:     hidden_global_offset_x
      - .offset:         88
        .size:           8
        .value_kind:     hidden_global_offset_y
      - .offset:         96
        .size:           8
        .value_kind:     hidden_global_offset_z
      - .offset:         104
        .size:           2
        .value_kind:     hidden_grid_dims
    .group_segment_fixed_size: 0
    .kernarg_segment_align: 8
    .kernarg_segment_size: 296
    .language:       OpenCL C
    .language_version:
      - 2
      - 0
    .max_flat_workgroup_size: 1024
    .name:           _ZL13mul_mat_vec_qIN3c108BFloat16ELi32ELi4E10block_q5_1Li2EXadL_ZL17vec_dot_q5_1_q8_1PKvPK10block_q8_1RKiEEEvS4_S4_PT_iii
    .private_segment_fixed_size: 0
    .sgpr_count:     14
    .sgpr_spill_count: 0
    .symbol:         _ZL13mul_mat_vec_qIN3c108BFloat16ELi32ELi4E10block_q5_1Li2EXadL_ZL17vec_dot_q5_1_q8_1PKvPK10block_q8_1RKiEEEvS4_S4_PT_iii.kd
    .uniform_work_group_size: 1
    .uses_dynamic_stack: false
    .vgpr_count:     47
    .vgpr_spill_count: 0
    .wavefront_size: 32
  - .args:
      - .actual_access:  read_only
        .address_space:  global
        .offset:         0
        .size:           8
        .value_kind:     global_buffer
      - .actual_access:  read_only
        .address_space:  global
        .offset:         8
        .size:           8
        .value_kind:     global_buffer
      - .actual_access:  write_only
        .address_space:  global
        .offset:         16
        .size:           8
        .value_kind:     global_buffer
      - .offset:         24
        .size:           4
        .value_kind:     by_value
      - .offset:         28
        .size:           4
        .value_kind:     by_value
      - .offset:         32
        .size:           4
        .value_kind:     by_value
      - .offset:         40
        .size:           4
        .value_kind:     hidden_block_count_x
      - .offset:         44
        .size:           4
        .value_kind:     hidden_block_count_y
      - .offset:         48
        .size:           4
        .value_kind:     hidden_block_count_z
      - .offset:         52
        .size:           2
        .value_kind:     hidden_group_size_x
      - .offset:         54
        .size:           2
        .value_kind:     hidden_group_size_y
      - .offset:         56
        .size:           2
        .value_kind:     hidden_group_size_z
      - .offset:         58
        .size:           2
        .value_kind:     hidden_remainder_x
      - .offset:         60
        .size:           2
        .value_kind:     hidden_remainder_y
      - .offset:         62
        .size:           2
        .value_kind:     hidden_remainder_z
      - .offset:         80
        .size:           8
        .value_kind:     hidden_global_offset_x
      - .offset:         88
        .size:           8
        .value_kind:     hidden_global_offset_y
      - .offset:         96
        .size:           8
        .value_kind:     hidden_global_offset_z
      - .offset:         104
        .size:           2
        .value_kind:     hidden_grid_dims
    .group_segment_fixed_size: 0
    .kernarg_segment_align: 8
    .kernarg_segment_size: 296
    .language:       OpenCL C
    .language_version:
      - 2
      - 0
    .max_flat_workgroup_size: 1024
    .name:           _ZL13mul_mat_vec_qIN3c108BFloat16ELi32ELi8E10block_q8_0Li2EXadL_ZL17vec_dot_q8_0_q8_1PKvPK10block_q8_1RKiEEEvS4_S4_PT_iii
    .private_segment_fixed_size: 0
    .sgpr_count:     14
    .sgpr_spill_count: 0
    .symbol:         _ZL13mul_mat_vec_qIN3c108BFloat16ELi32ELi8E10block_q8_0Li2EXadL_ZL17vec_dot_q8_0_q8_1PKvPK10block_q8_1RKiEEEvS4_S4_PT_iii.kd
    .uniform_work_group_size: 1
    .uses_dynamic_stack: false
    .vgpr_count:     25
    .vgpr_spill_count: 0
    .wavefront_size: 32
  - .args:
      - .actual_access:  read_only
        .address_space:  global
        .offset:         0
        .size:           8
        .value_kind:     global_buffer
      - .actual_access:  read_only
        .address_space:  global
        .offset:         8
        .size:           8
        .value_kind:     global_buffer
      - .actual_access:  write_only
        .address_space:  global
        .offset:         16
        .size:           8
        .value_kind:     global_buffer
      - .offset:         24
        .size:           4
        .value_kind:     by_value
      - .offset:         28
        .size:           4
        .value_kind:     by_value
      - .offset:         32
        .size:           4
        .value_kind:     by_value
      - .offset:         40
        .size:           4
        .value_kind:     hidden_block_count_x
      - .offset:         44
        .size:           4
        .value_kind:     hidden_block_count_y
      - .offset:         48
        .size:           4
        .value_kind:     hidden_block_count_z
      - .offset:         52
        .size:           2
        .value_kind:     hidden_group_size_x
      - .offset:         54
        .size:           2
        .value_kind:     hidden_group_size_y
      - .offset:         56
        .size:           2
        .value_kind:     hidden_group_size_z
      - .offset:         58
        .size:           2
        .value_kind:     hidden_remainder_x
      - .offset:         60
        .size:           2
        .value_kind:     hidden_remainder_y
      - .offset:         62
        .size:           2
        .value_kind:     hidden_remainder_z
      - .offset:         80
        .size:           8
        .value_kind:     hidden_global_offset_x
      - .offset:         88
        .size:           8
        .value_kind:     hidden_global_offset_y
      - .offset:         96
        .size:           8
        .value_kind:     hidden_global_offset_z
      - .offset:         104
        .size:           2
        .value_kind:     hidden_grid_dims
    .group_segment_fixed_size: 0
    .kernarg_segment_align: 8
    .kernarg_segment_size: 296
    .language:       OpenCL C
    .language_version:
      - 2
      - 0
    .max_flat_workgroup_size: 1024
    .name:           _ZL13mul_mat_vec_qIN3c108BFloat16ELi256ELi16E10block_q2_KLi1EXadL_ZL17vec_dot_q2_K_q8_1PKvPK10block_q8_1RKiEEEvS4_S4_PT_iii
    .private_segment_fixed_size: 0
    .sgpr_count:     14
    .sgpr_spill_count: 0
    .symbol:         _ZL13mul_mat_vec_qIN3c108BFloat16ELi256ELi16E10block_q2_KLi1EXadL_ZL17vec_dot_q2_K_q8_1PKvPK10block_q8_1RKiEEEvS4_S4_PT_iii.kd
    .uniform_work_group_size: 1
    .uses_dynamic_stack: false
    .vgpr_count:     62
    .vgpr_spill_count: 0
    .wavefront_size: 32
  - .args:
      - .actual_access:  read_only
        .address_space:  global
        .offset:         0
        .size:           8
        .value_kind:     global_buffer
      - .actual_access:  read_only
        .address_space:  global
        .offset:         8
        .size:           8
        .value_kind:     global_buffer
      - .actual_access:  write_only
        .address_space:  global
        .offset:         16
        .size:           8
        .value_kind:     global_buffer
      - .offset:         24
        .size:           4
        .value_kind:     by_value
      - .offset:         28
        .size:           4
        .value_kind:     by_value
      - .offset:         32
        .size:           4
        .value_kind:     by_value
      - .offset:         40
        .size:           4
        .value_kind:     hidden_block_count_x
      - .offset:         44
        .size:           4
        .value_kind:     hidden_block_count_y
      - .offset:         48
        .size:           4
        .value_kind:     hidden_block_count_z
      - .offset:         52
        .size:           2
        .value_kind:     hidden_group_size_x
      - .offset:         54
        .size:           2
        .value_kind:     hidden_group_size_y
      - .offset:         56
        .size:           2
        .value_kind:     hidden_group_size_z
      - .offset:         58
        .size:           2
        .value_kind:     hidden_remainder_x
      - .offset:         60
        .size:           2
        .value_kind:     hidden_remainder_y
      - .offset:         62
        .size:           2
        .value_kind:     hidden_remainder_z
      - .offset:         80
        .size:           8
        .value_kind:     hidden_global_offset_x
      - .offset:         88
        .size:           8
        .value_kind:     hidden_global_offset_y
      - .offset:         96
        .size:           8
        .value_kind:     hidden_global_offset_z
      - .offset:         104
        .size:           2
        .value_kind:     hidden_grid_dims
    .group_segment_fixed_size: 0
    .kernarg_segment_align: 8
    .kernarg_segment_size: 296
    .language:       OpenCL C
    .language_version:
      - 2
      - 0
    .max_flat_workgroup_size: 1024
    .name:           _ZL13mul_mat_vec_qIN3c108BFloat16ELi256ELi16E10block_q3_KLi1EXadL_ZL17vec_dot_q3_K_q8_1PKvPK10block_q8_1RKiEEEvS4_S4_PT_iii
    .private_segment_fixed_size: 0
    .sgpr_count:     14
    .sgpr_spill_count: 0
    .symbol:         _ZL13mul_mat_vec_qIN3c108BFloat16ELi256ELi16E10block_q3_KLi1EXadL_ZL17vec_dot_q3_K_q8_1PKvPK10block_q8_1RKiEEEvS4_S4_PT_iii.kd
    .uniform_work_group_size: 1
    .uses_dynamic_stack: false
    .vgpr_count:     61
    .vgpr_spill_count: 0
    .wavefront_size: 32
  - .args:
      - .actual_access:  read_only
        .address_space:  global
        .offset:         0
        .size:           8
        .value_kind:     global_buffer
      - .actual_access:  read_only
        .address_space:  global
        .offset:         8
        .size:           8
        .value_kind:     global_buffer
      - .actual_access:  write_only
        .address_space:  global
        .offset:         16
        .size:           8
        .value_kind:     global_buffer
      - .offset:         24
        .size:           4
        .value_kind:     by_value
      - .offset:         28
        .size:           4
        .value_kind:     by_value
      - .offset:         32
        .size:           4
        .value_kind:     by_value
      - .offset:         40
        .size:           4
        .value_kind:     hidden_block_count_x
      - .offset:         44
        .size:           4
        .value_kind:     hidden_block_count_y
      - .offset:         48
        .size:           4
        .value_kind:     hidden_block_count_z
      - .offset:         52
        .size:           2
        .value_kind:     hidden_group_size_x
      - .offset:         54
        .size:           2
        .value_kind:     hidden_group_size_y
      - .offset:         56
        .size:           2
        .value_kind:     hidden_group_size_z
      - .offset:         58
        .size:           2
        .value_kind:     hidden_remainder_x
      - .offset:         60
        .size:           2
        .value_kind:     hidden_remainder_y
      - .offset:         62
        .size:           2
        .value_kind:     hidden_remainder_z
      - .offset:         80
        .size:           8
        .value_kind:     hidden_global_offset_x
      - .offset:         88
        .size:           8
        .value_kind:     hidden_global_offset_y
      - .offset:         96
        .size:           8
        .value_kind:     hidden_global_offset_z
      - .offset:         104
        .size:           2
        .value_kind:     hidden_grid_dims
    .group_segment_fixed_size: 0
    .kernarg_segment_align: 8
    .kernarg_segment_size: 296
    .language:       OpenCL C
    .language_version:
      - 2
      - 0
    .max_flat_workgroup_size: 1024
    .name:           _ZL13mul_mat_vec_qIN3c108BFloat16ELi256ELi32E10block_q4_KLi2EXadL_ZL17vec_dot_q4_K_q8_1PKvPK10block_q8_1RKiEEEvS4_S4_PT_iii
    .private_segment_fixed_size: 0
    .sgpr_count:     15
    .sgpr_spill_count: 0
    .symbol:         _ZL13mul_mat_vec_qIN3c108BFloat16ELi256ELi32E10block_q4_KLi2EXadL_ZL17vec_dot_q4_K_q8_1PKvPK10block_q8_1RKiEEEvS4_S4_PT_iii.kd
    .uniform_work_group_size: 1
    .uses_dynamic_stack: false
    .vgpr_count:     55
    .vgpr_spill_count: 0
    .wavefront_size: 32
  - .args:
      - .actual_access:  read_only
        .address_space:  global
        .offset:         0
        .size:           8
        .value_kind:     global_buffer
      - .actual_access:  read_only
        .address_space:  global
        .offset:         8
        .size:           8
        .value_kind:     global_buffer
      - .actual_access:  write_only
        .address_space:  global
        .offset:         16
        .size:           8
        .value_kind:     global_buffer
      - .offset:         24
        .size:           4
        .value_kind:     by_value
      - .offset:         28
        .size:           4
        .value_kind:     by_value
      - .offset:         32
        .size:           4
        .value_kind:     by_value
      - .offset:         40
        .size:           4
        .value_kind:     hidden_block_count_x
      - .offset:         44
        .size:           4
        .value_kind:     hidden_block_count_y
      - .offset:         48
        .size:           4
        .value_kind:     hidden_block_count_z
      - .offset:         52
        .size:           2
        .value_kind:     hidden_group_size_x
      - .offset:         54
        .size:           2
        .value_kind:     hidden_group_size_y
      - .offset:         56
        .size:           2
        .value_kind:     hidden_group_size_z
      - .offset:         58
        .size:           2
        .value_kind:     hidden_remainder_x
      - .offset:         60
        .size:           2
        .value_kind:     hidden_remainder_y
      - .offset:         62
        .size:           2
        .value_kind:     hidden_remainder_z
      - .offset:         80
        .size:           8
        .value_kind:     hidden_global_offset_x
      - .offset:         88
        .size:           8
        .value_kind:     hidden_global_offset_y
      - .offset:         96
        .size:           8
        .value_kind:     hidden_global_offset_z
      - .offset:         104
        .size:           2
        .value_kind:     hidden_grid_dims
    .group_segment_fixed_size: 0
    .kernarg_segment_align: 8
    .kernarg_segment_size: 296
    .language:       OpenCL C
    .language_version:
      - 2
      - 0
    .max_flat_workgroup_size: 1024
    .name:           _ZL13mul_mat_vec_qIN3c108BFloat16ELi256ELi32E10block_q5_KLi2EXadL_ZL17vec_dot_q5_K_q8_1PKvPK10block_q8_1RKiEEEvS4_S4_PT_iii
    .private_segment_fixed_size: 0
    .sgpr_count:     15
    .sgpr_spill_count: 0
    .symbol:         _ZL13mul_mat_vec_qIN3c108BFloat16ELi256ELi32E10block_q5_KLi2EXadL_ZL17vec_dot_q5_K_q8_1PKvPK10block_q8_1RKiEEEvS4_S4_PT_iii.kd
    .uniform_work_group_size: 1
    .uses_dynamic_stack: false
    .vgpr_count:     56
    .vgpr_spill_count: 0
    .wavefront_size: 32
  - .args:
      - .actual_access:  read_only
        .address_space:  global
        .offset:         0
        .size:           8
        .value_kind:     global_buffer
      - .actual_access:  read_only
        .address_space:  global
        .offset:         8
        .size:           8
        .value_kind:     global_buffer
      - .actual_access:  write_only
        .address_space:  global
        .offset:         16
        .size:           8
        .value_kind:     global_buffer
      - .offset:         24
        .size:           4
        .value_kind:     by_value
      - .offset:         28
        .size:           4
        .value_kind:     by_value
      - .offset:         32
        .size:           4
        .value_kind:     by_value
      - .offset:         40
        .size:           4
        .value_kind:     hidden_block_count_x
      - .offset:         44
        .size:           4
        .value_kind:     hidden_block_count_y
      - .offset:         48
        .size:           4
        .value_kind:     hidden_block_count_z
      - .offset:         52
        .size:           2
        .value_kind:     hidden_group_size_x
      - .offset:         54
        .size:           2
        .value_kind:     hidden_group_size_y
      - .offset:         56
        .size:           2
        .value_kind:     hidden_group_size_z
      - .offset:         58
        .size:           2
        .value_kind:     hidden_remainder_x
      - .offset:         60
        .size:           2
        .value_kind:     hidden_remainder_y
      - .offset:         62
        .size:           2
        .value_kind:     hidden_remainder_z
      - .offset:         80
        .size:           8
        .value_kind:     hidden_global_offset_x
      - .offset:         88
        .size:           8
        .value_kind:     hidden_global_offset_y
      - .offset:         96
        .size:           8
        .value_kind:     hidden_global_offset_z
      - .offset:         104
        .size:           2
        .value_kind:     hidden_grid_dims
    .group_segment_fixed_size: 0
    .kernarg_segment_align: 8
    .kernarg_segment_size: 296
    .language:       OpenCL C
    .language_version:
      - 2
      - 0
    .max_flat_workgroup_size: 1024
    .name:           _ZL13mul_mat_vec_qIN3c108BFloat16ELi256ELi32E10block_q6_KLi1EXadL_ZL17vec_dot_q6_K_q8_1PKvPK10block_q8_1RKiEEEvS4_S4_PT_iii
    .private_segment_fixed_size: 0
    .sgpr_count:     15
    .sgpr_spill_count: 0
    .symbol:         _ZL13mul_mat_vec_qIN3c108BFloat16ELi256ELi32E10block_q6_KLi1EXadL_ZL17vec_dot_q6_K_q8_1PKvPK10block_q8_1RKiEEEvS4_S4_PT_iii.kd
    .uniform_work_group_size: 1
    .uses_dynamic_stack: false
    .vgpr_count:     38
    .vgpr_spill_count: 0
    .wavefront_size: 32
  - .args:
      - .actual_access:  read_only
        .address_space:  global
        .offset:         0
        .size:           8
        .value_kind:     global_buffer
      - .actual_access:  read_only
        .address_space:  global
        .offset:         8
        .size:           8
        .value_kind:     global_buffer
      - .actual_access:  write_only
        .address_space:  global
        .offset:         16
        .size:           8
        .value_kind:     global_buffer
      - .offset:         24
        .size:           4
        .value_kind:     by_value
      - .offset:         28
        .size:           4
        .value_kind:     by_value
      - .offset:         32
        .size:           4
        .value_kind:     by_value
      - .offset:         40
        .size:           4
        .value_kind:     hidden_block_count_x
      - .offset:         44
        .size:           4
        .value_kind:     hidden_block_count_y
      - .offset:         48
        .size:           4
        .value_kind:     hidden_block_count_z
      - .offset:         52
        .size:           2
        .value_kind:     hidden_group_size_x
      - .offset:         54
        .size:           2
        .value_kind:     hidden_group_size_y
      - .offset:         56
        .size:           2
        .value_kind:     hidden_group_size_z
      - .offset:         58
        .size:           2
        .value_kind:     hidden_remainder_x
      - .offset:         60
        .size:           2
        .value_kind:     hidden_remainder_y
      - .offset:         62
        .size:           2
        .value_kind:     hidden_remainder_z
      - .offset:         80
        .size:           8
        .value_kind:     hidden_global_offset_x
      - .offset:         88
        .size:           8
        .value_kind:     hidden_global_offset_y
      - .offset:         96
        .size:           8
        .value_kind:     hidden_global_offset_z
      - .offset:         104
        .size:           2
        .value_kind:     hidden_grid_dims
    .group_segment_fixed_size: 0
    .kernarg_segment_align: 8
    .kernarg_segment_size: 296
    .language:       OpenCL C
    .language_version:
      - 2
      - 0
    .max_flat_workgroup_size: 1024
    .name:           _ZL13mul_mat_vec_qIN3c108BFloat16ELi256ELi8E13block_iq2_xxsLi1EXadL_ZL20vec_dot_iq2_xxs_q8_1PKvPK10block_q8_1RKiEEEvS4_S4_PT_iii
    .private_segment_fixed_size: 0
    .sgpr_count:     23
    .sgpr_spill_count: 0
    .symbol:         _ZL13mul_mat_vec_qIN3c108BFloat16ELi256ELi8E13block_iq2_xxsLi1EXadL_ZL20vec_dot_iq2_xxs_q8_1PKvPK10block_q8_1RKiEEEvS4_S4_PT_iii.kd
    .uniform_work_group_size: 1
    .uses_dynamic_stack: false
    .vgpr_count:     64
    .vgpr_spill_count: 0
    .wavefront_size: 32
  - .args:
      - .actual_access:  read_only
        .address_space:  global
        .offset:         0
        .size:           8
        .value_kind:     global_buffer
      - .actual_access:  read_only
        .address_space:  global
        .offset:         8
        .size:           8
        .value_kind:     global_buffer
      - .actual_access:  write_only
        .address_space:  global
        .offset:         16
        .size:           8
        .value_kind:     global_buffer
      - .offset:         24
        .size:           4
        .value_kind:     by_value
      - .offset:         28
        .size:           4
        .value_kind:     by_value
      - .offset:         32
        .size:           4
        .value_kind:     by_value
      - .offset:         40
        .size:           4
        .value_kind:     hidden_block_count_x
      - .offset:         44
        .size:           4
        .value_kind:     hidden_block_count_y
      - .offset:         48
        .size:           4
        .value_kind:     hidden_block_count_z
      - .offset:         52
        .size:           2
        .value_kind:     hidden_group_size_x
      - .offset:         54
        .size:           2
        .value_kind:     hidden_group_size_y
      - .offset:         56
        .size:           2
        .value_kind:     hidden_group_size_z
      - .offset:         58
        .size:           2
        .value_kind:     hidden_remainder_x
      - .offset:         60
        .size:           2
        .value_kind:     hidden_remainder_y
      - .offset:         62
        .size:           2
        .value_kind:     hidden_remainder_z
      - .offset:         80
        .size:           8
        .value_kind:     hidden_global_offset_x
      - .offset:         88
        .size:           8
        .value_kind:     hidden_global_offset_y
      - .offset:         96
        .size:           8
        .value_kind:     hidden_global_offset_z
      - .offset:         104
        .size:           2
        .value_kind:     hidden_grid_dims
    .group_segment_fixed_size: 0
    .kernarg_segment_align: 8
    .kernarg_segment_size: 296
    .language:       OpenCL C
    .language_version:
      - 2
      - 0
    .max_flat_workgroup_size: 1024
    .name:           _ZL13mul_mat_vec_qIN3c108BFloat16ELi256ELi8E12block_iq2_xsLi1EXadL_ZL19vec_dot_iq2_xs_q8_1PKvPK10block_q8_1RKiEEEvS4_S4_PT_iii
    .private_segment_fixed_size: 0
    .sgpr_count:     15
    .sgpr_spill_count: 0
    .symbol:         _ZL13mul_mat_vec_qIN3c108BFloat16ELi256ELi8E12block_iq2_xsLi1EXadL_ZL19vec_dot_iq2_xs_q8_1PKvPK10block_q8_1RKiEEEvS4_S4_PT_iii.kd
    .uniform_work_group_size: 1
    .uses_dynamic_stack: false
    .vgpr_count:     40
    .vgpr_spill_count: 0
    .wavefront_size: 32
  - .args:
      - .actual_access:  read_only
        .address_space:  global
        .offset:         0
        .size:           8
        .value_kind:     global_buffer
      - .actual_access:  read_only
        .address_space:  global
        .offset:         8
        .size:           8
        .value_kind:     global_buffer
      - .actual_access:  write_only
        .address_space:  global
        .offset:         16
        .size:           8
        .value_kind:     global_buffer
      - .offset:         24
        .size:           4
        .value_kind:     by_value
      - .offset:         28
        .size:           4
        .value_kind:     by_value
      - .offset:         32
        .size:           4
        .value_kind:     by_value
      - .offset:         40
        .size:           4
        .value_kind:     hidden_block_count_x
      - .offset:         44
        .size:           4
        .value_kind:     hidden_block_count_y
      - .offset:         48
        .size:           4
        .value_kind:     hidden_block_count_z
      - .offset:         52
        .size:           2
        .value_kind:     hidden_group_size_x
      - .offset:         54
        .size:           2
        .value_kind:     hidden_group_size_y
      - .offset:         56
        .size:           2
        .value_kind:     hidden_group_size_z
      - .offset:         58
        .size:           2
        .value_kind:     hidden_remainder_x
      - .offset:         60
        .size:           2
        .value_kind:     hidden_remainder_y
      - .offset:         62
        .size:           2
        .value_kind:     hidden_remainder_z
      - .offset:         80
        .size:           8
        .value_kind:     hidden_global_offset_x
      - .offset:         88
        .size:           8
        .value_kind:     hidden_global_offset_y
      - .offset:         96
        .size:           8
        .value_kind:     hidden_global_offset_z
      - .offset:         104
        .size:           2
        .value_kind:     hidden_grid_dims
    .group_segment_fixed_size: 0
    .kernarg_segment_align: 8
    .kernarg_segment_size: 296
    .language:       OpenCL C
    .language_version:
      - 2
      - 0
    .max_flat_workgroup_size: 1024
    .name:           _ZL13mul_mat_vec_qIN3c108BFloat16ELi256ELi8E13block_iq3_xxsLi1EXadL_ZL20vec_dot_iq3_xxs_q8_1PKvPK10block_q8_1RKiEEEvS4_S4_PT_iii
    .private_segment_fixed_size: 0
    .sgpr_count:     18
    .sgpr_spill_count: 0
    .symbol:         _ZL13mul_mat_vec_qIN3c108BFloat16ELi256ELi8E13block_iq3_xxsLi1EXadL_ZL20vec_dot_iq3_xxs_q8_1PKvPK10block_q8_1RKiEEEvS4_S4_PT_iii.kd
    .uniform_work_group_size: 1
    .uses_dynamic_stack: false
    .vgpr_count:     41
    .vgpr_spill_count: 0
    .wavefront_size: 32
  - .args:
      - .actual_access:  read_only
        .address_space:  global
        .offset:         0
        .size:           8
        .value_kind:     global_buffer
      - .actual_access:  read_only
        .address_space:  global
        .offset:         8
        .size:           8
        .value_kind:     global_buffer
      - .actual_access:  write_only
        .address_space:  global
        .offset:         16
        .size:           8
        .value_kind:     global_buffer
      - .offset:         24
        .size:           4
        .value_kind:     by_value
      - .offset:         28
        .size:           4
        .value_kind:     by_value
      - .offset:         32
        .size:           4
        .value_kind:     by_value
      - .offset:         40
        .size:           4
        .value_kind:     hidden_block_count_x
      - .offset:         44
        .size:           4
        .value_kind:     hidden_block_count_y
      - .offset:         48
        .size:           4
        .value_kind:     hidden_block_count_z
      - .offset:         52
        .size:           2
        .value_kind:     hidden_group_size_x
      - .offset:         54
        .size:           2
        .value_kind:     hidden_group_size_y
      - .offset:         56
        .size:           2
        .value_kind:     hidden_group_size_z
      - .offset:         58
        .size:           2
        .value_kind:     hidden_remainder_x
      - .offset:         60
        .size:           2
        .value_kind:     hidden_remainder_y
      - .offset:         62
        .size:           2
        .value_kind:     hidden_remainder_z
      - .offset:         80
        .size:           8
        .value_kind:     hidden_global_offset_x
      - .offset:         88
        .size:           8
        .value_kind:     hidden_global_offset_y
      - .offset:         96
        .size:           8
        .value_kind:     hidden_global_offset_z
      - .offset:         104
        .size:           2
        .value_kind:     hidden_grid_dims
    .group_segment_fixed_size: 0
    .kernarg_segment_align: 8
    .kernarg_segment_size: 296
    .language:       OpenCL C
    .language_version:
      - 2
      - 0
    .max_flat_workgroup_size: 1024
    .name:           _ZL13mul_mat_vec_qIN3c108BFloat16ELi256ELi8E11block_iq1_sLi1EXadL_ZL18vec_dot_iq1_s_q8_1PKvPK10block_q8_1RKiEEEvS4_S4_PT_iii
    .private_segment_fixed_size: 0
    .sgpr_count:     14
    .sgpr_spill_count: 0
    .symbol:         _ZL13mul_mat_vec_qIN3c108BFloat16ELi256ELi8E11block_iq1_sLi1EXadL_ZL18vec_dot_iq1_s_q8_1PKvPK10block_q8_1RKiEEEvS4_S4_PT_iii.kd
    .uniform_work_group_size: 1
    .uses_dynamic_stack: false
    .vgpr_count:     62
    .vgpr_spill_count: 0
    .wavefront_size: 32
  - .args:
      - .actual_access:  read_only
        .address_space:  global
        .offset:         0
        .size:           8
        .value_kind:     global_buffer
      - .actual_access:  read_only
        .address_space:  global
        .offset:         8
        .size:           8
        .value_kind:     global_buffer
      - .actual_access:  write_only
        .address_space:  global
        .offset:         16
        .size:           8
        .value_kind:     global_buffer
      - .offset:         24
        .size:           4
        .value_kind:     by_value
      - .offset:         28
        .size:           4
        .value_kind:     by_value
      - .offset:         32
        .size:           4
        .value_kind:     by_value
      - .offset:         40
        .size:           4
        .value_kind:     hidden_block_count_x
      - .offset:         44
        .size:           4
        .value_kind:     hidden_block_count_y
      - .offset:         48
        .size:           4
        .value_kind:     hidden_block_count_z
      - .offset:         52
        .size:           2
        .value_kind:     hidden_group_size_x
      - .offset:         54
        .size:           2
        .value_kind:     hidden_group_size_y
      - .offset:         56
        .size:           2
        .value_kind:     hidden_group_size_z
      - .offset:         58
        .size:           2
        .value_kind:     hidden_remainder_x
      - .offset:         60
        .size:           2
        .value_kind:     hidden_remainder_y
      - .offset:         62
        .size:           2
        .value_kind:     hidden_remainder_z
      - .offset:         80
        .size:           8
        .value_kind:     hidden_global_offset_x
      - .offset:         88
        .size:           8
        .value_kind:     hidden_global_offset_y
      - .offset:         96
        .size:           8
        .value_kind:     hidden_global_offset_z
      - .offset:         104
        .size:           2
        .value_kind:     hidden_grid_dims
    .group_segment_fixed_size: 0
    .kernarg_segment_align: 8
    .kernarg_segment_size: 296
    .language:       OpenCL C
    .language_version:
      - 2
      - 0
    .max_flat_workgroup_size: 1024
    .name:           _ZL13mul_mat_vec_qIN3c108BFloat16ELi32ELi4E12block_iq4_nlLi2EXadL_ZL19vec_dot_iq4_nl_q8_1PKvPK10block_q8_1RKiEEEvS4_S4_PT_iii
    .private_segment_fixed_size: 0
    .sgpr_count:     16
    .sgpr_spill_count: 0
    .symbol:         _ZL13mul_mat_vec_qIN3c108BFloat16ELi32ELi4E12block_iq4_nlLi2EXadL_ZL19vec_dot_iq4_nl_q8_1PKvPK10block_q8_1RKiEEEvS4_S4_PT_iii.kd
    .uniform_work_group_size: 1
    .uses_dynamic_stack: false
    .vgpr_count:     45
    .vgpr_spill_count: 0
    .wavefront_size: 32
  - .args:
      - .actual_access:  read_only
        .address_space:  global
        .offset:         0
        .size:           8
        .value_kind:     global_buffer
      - .actual_access:  read_only
        .address_space:  global
        .offset:         8
        .size:           8
        .value_kind:     global_buffer
      - .actual_access:  write_only
        .address_space:  global
        .offset:         16
        .size:           8
        .value_kind:     global_buffer
      - .offset:         24
        .size:           4
        .value_kind:     by_value
      - .offset:         28
        .size:           4
        .value_kind:     by_value
      - .offset:         32
        .size:           4
        .value_kind:     by_value
      - .offset:         40
        .size:           4
        .value_kind:     hidden_block_count_x
      - .offset:         44
        .size:           4
        .value_kind:     hidden_block_count_y
      - .offset:         48
        .size:           4
        .value_kind:     hidden_block_count_z
      - .offset:         52
        .size:           2
        .value_kind:     hidden_group_size_x
      - .offset:         54
        .size:           2
        .value_kind:     hidden_group_size_y
      - .offset:         56
        .size:           2
        .value_kind:     hidden_group_size_z
      - .offset:         58
        .size:           2
        .value_kind:     hidden_remainder_x
      - .offset:         60
        .size:           2
        .value_kind:     hidden_remainder_y
      - .offset:         62
        .size:           2
        .value_kind:     hidden_remainder_z
      - .offset:         80
        .size:           8
        .value_kind:     hidden_global_offset_x
      - .offset:         88
        .size:           8
        .value_kind:     hidden_global_offset_y
      - .offset:         96
        .size:           8
        .value_kind:     hidden_global_offset_z
      - .offset:         104
        .size:           2
        .value_kind:     hidden_grid_dims
    .group_segment_fixed_size: 0
    .kernarg_segment_align: 8
    .kernarg_segment_size: 296
    .language:       OpenCL C
    .language_version:
      - 2
      - 0
    .max_flat_workgroup_size: 1024
    .name:           _ZL13mul_mat_vec_qIN3c108BFloat16ELi256ELi8E11block_iq3_sLi1EXadL_ZL18vec_dot_iq3_s_q8_1PKvPK10block_q8_1RKiEEEvS4_S4_PT_iii
    .private_segment_fixed_size: 0
    .sgpr_count:     16
    .sgpr_spill_count: 0
    .symbol:         _ZL13mul_mat_vec_qIN3c108BFloat16ELi256ELi8E11block_iq3_sLi1EXadL_ZL18vec_dot_iq3_s_q8_1PKvPK10block_q8_1RKiEEEvS4_S4_PT_iii.kd
    .uniform_work_group_size: 1
    .uses_dynamic_stack: false
    .vgpr_count:     49
    .vgpr_spill_count: 0
    .wavefront_size: 32
  - .args:
      - .actual_access:  read_only
        .address_space:  global
        .offset:         0
        .size:           8
        .value_kind:     global_buffer
      - .actual_access:  read_only
        .address_space:  global
        .offset:         8
        .size:           8
        .value_kind:     global_buffer
      - .actual_access:  write_only
        .address_space:  global
        .offset:         16
        .size:           8
        .value_kind:     global_buffer
      - .offset:         24
        .size:           4
        .value_kind:     by_value
      - .offset:         28
        .size:           4
        .value_kind:     by_value
      - .offset:         32
        .size:           4
        .value_kind:     by_value
      - .offset:         40
        .size:           4
        .value_kind:     hidden_block_count_x
      - .offset:         44
        .size:           4
        .value_kind:     hidden_block_count_y
      - .offset:         48
        .size:           4
        .value_kind:     hidden_block_count_z
      - .offset:         52
        .size:           2
        .value_kind:     hidden_group_size_x
      - .offset:         54
        .size:           2
        .value_kind:     hidden_group_size_y
      - .offset:         56
        .size:           2
        .value_kind:     hidden_group_size_z
      - .offset:         58
        .size:           2
        .value_kind:     hidden_remainder_x
      - .offset:         60
        .size:           2
        .value_kind:     hidden_remainder_y
      - .offset:         62
        .size:           2
        .value_kind:     hidden_remainder_z
      - .offset:         80
        .size:           8
        .value_kind:     hidden_global_offset_x
      - .offset:         88
        .size:           8
        .value_kind:     hidden_global_offset_y
      - .offset:         96
        .size:           8
        .value_kind:     hidden_global_offset_z
      - .offset:         104
        .size:           2
        .value_kind:     hidden_grid_dims
    .group_segment_fixed_size: 0
    .kernarg_segment_align: 8
    .kernarg_segment_size: 296
    .language:       OpenCL C
    .language_version:
      - 2
      - 0
    .max_flat_workgroup_size: 1024
    .name:           _ZL13mul_mat_vec_qIN3c108BFloat16ELi256ELi8E11block_iq2_sLi1EXadL_ZL18vec_dot_iq2_s_q8_1PKvPK10block_q8_1RKiEEEvS4_S4_PT_iii
    .private_segment_fixed_size: 0
    .sgpr_count:     14
    .sgpr_spill_count: 0
    .symbol:         _ZL13mul_mat_vec_qIN3c108BFloat16ELi256ELi8E11block_iq2_sLi1EXadL_ZL18vec_dot_iq2_s_q8_1PKvPK10block_q8_1RKiEEEvS4_S4_PT_iii.kd
    .uniform_work_group_size: 1
    .uses_dynamic_stack: false
    .vgpr_count:     62
    .vgpr_spill_count: 0
    .wavefront_size: 32
  - .args:
      - .actual_access:  read_only
        .address_space:  global
        .offset:         0
        .size:           8
        .value_kind:     global_buffer
      - .actual_access:  read_only
        .address_space:  global
        .offset:         8
        .size:           8
        .value_kind:     global_buffer
      - .actual_access:  write_only
        .address_space:  global
        .offset:         16
        .size:           8
        .value_kind:     global_buffer
      - .offset:         24
        .size:           4
        .value_kind:     by_value
      - .offset:         28
        .size:           4
        .value_kind:     by_value
      - .offset:         32
        .size:           4
        .value_kind:     by_value
      - .offset:         40
        .size:           4
        .value_kind:     hidden_block_count_x
      - .offset:         44
        .size:           4
        .value_kind:     hidden_block_count_y
      - .offset:         48
        .size:           4
        .value_kind:     hidden_block_count_z
      - .offset:         52
        .size:           2
        .value_kind:     hidden_group_size_x
      - .offset:         54
        .size:           2
        .value_kind:     hidden_group_size_y
      - .offset:         56
        .size:           2
        .value_kind:     hidden_group_size_z
      - .offset:         58
        .size:           2
        .value_kind:     hidden_remainder_x
      - .offset:         60
        .size:           2
        .value_kind:     hidden_remainder_y
      - .offset:         62
        .size:           2
        .value_kind:     hidden_remainder_z
      - .offset:         80
        .size:           8
        .value_kind:     hidden_global_offset_x
      - .offset:         88
        .size:           8
        .value_kind:     hidden_global_offset_y
      - .offset:         96
        .size:           8
        .value_kind:     hidden_global_offset_z
      - .offset:         104
        .size:           2
        .value_kind:     hidden_grid_dims
    .group_segment_fixed_size: 0
    .kernarg_segment_align: 8
    .kernarg_segment_size: 296
    .language:       OpenCL C
    .language_version:
      - 2
      - 0
    .max_flat_workgroup_size: 1024
    .name:           _ZL13mul_mat_vec_qIN3c108BFloat16ELi256ELi8E12block_iq4_xsLi1EXadL_ZL19vec_dot_iq4_xs_q8_1PKvPK10block_q8_1RKiEEEvS4_S4_PT_iii
    .private_segment_fixed_size: 0
    .sgpr_count:     14
    .sgpr_spill_count: 0
    .symbol:         _ZL13mul_mat_vec_qIN3c108BFloat16ELi256ELi8E12block_iq4_xsLi1EXadL_ZL19vec_dot_iq4_xs_q8_1PKvPK10block_q8_1RKiEEEvS4_S4_PT_iii.kd
    .uniform_work_group_size: 1
    .uses_dynamic_stack: false
    .vgpr_count:     64
    .vgpr_spill_count: 0
    .wavefront_size: 32
  - .args:
      - .actual_access:  read_only
        .address_space:  global
        .offset:         0
        .size:           8
        .value_kind:     global_buffer
      - .actual_access:  read_only
        .address_space:  global
        .offset:         8
        .size:           8
        .value_kind:     global_buffer
      - .actual_access:  write_only
        .address_space:  global
        .offset:         16
        .size:           8
        .value_kind:     global_buffer
      - .offset:         24
        .size:           4
        .value_kind:     by_value
      - .offset:         28
        .size:           4
        .value_kind:     by_value
      - .offset:         32
        .size:           4
        .value_kind:     by_value
      - .offset:         40
        .size:           4
        .value_kind:     hidden_block_count_x
      - .offset:         44
        .size:           4
        .value_kind:     hidden_block_count_y
      - .offset:         48
        .size:           4
        .value_kind:     hidden_block_count_z
      - .offset:         52
        .size:           2
        .value_kind:     hidden_group_size_x
      - .offset:         54
        .size:           2
        .value_kind:     hidden_group_size_y
      - .offset:         56
        .size:           2
        .value_kind:     hidden_group_size_z
      - .offset:         58
        .size:           2
        .value_kind:     hidden_remainder_x
      - .offset:         60
        .size:           2
        .value_kind:     hidden_remainder_y
      - .offset:         62
        .size:           2
        .value_kind:     hidden_remainder_z
      - .offset:         80
        .size:           8
        .value_kind:     hidden_global_offset_x
      - .offset:         88
        .size:           8
        .value_kind:     hidden_global_offset_y
      - .offset:         96
        .size:           8
        .value_kind:     hidden_global_offset_z
      - .offset:         104
        .size:           2
        .value_kind:     hidden_grid_dims
    .group_segment_fixed_size: 0
    .kernarg_segment_align: 8
    .kernarg_segment_size: 296
    .language:       OpenCL C
    .language_version:
      - 2
      - 0
    .max_flat_workgroup_size: 1024
    .name:           _ZL13mul_mat_vec_qIN3c108BFloat16ELi256ELi8E11block_iq1_mLi1EXadL_ZL18vec_dot_iq1_m_q8_1PKvPK10block_q8_1RKiEEEvS4_S4_PT_iii
    .private_segment_fixed_size: 0
    .sgpr_count:     15
    .sgpr_spill_count: 0
    .symbol:         _ZL13mul_mat_vec_qIN3c108BFloat16ELi256ELi8E11block_iq1_mLi1EXadL_ZL18vec_dot_iq1_m_q8_1PKvPK10block_q8_1RKiEEEvS4_S4_PT_iii.kd
    .uniform_work_group_size: 1
    .uses_dynamic_stack: false
    .vgpr_count:     63
    .vgpr_spill_count: 0
    .wavefront_size: 32
  - .args:
      - .actual_access:  read_only
        .address_space:  global
        .offset:         0
        .size:           8
        .value_kind:     global_buffer
      - .actual_access:  read_only
        .address_space:  global
        .offset:         8
        .size:           8
        .value_kind:     global_buffer
      - .actual_access:  write_only
        .address_space:  global
        .offset:         16
        .size:           8
        .value_kind:     global_buffer
      - .offset:         24
        .size:           4
        .value_kind:     by_value
      - .offset:         28
        .size:           4
        .value_kind:     by_value
      - .offset:         32
        .size:           4
        .value_kind:     by_value
      - .offset:         36
        .size:           4
        .value_kind:     by_value
      - .offset:         40
        .size:           4
        .value_kind:     by_value
    .group_segment_fixed_size: 30336
    .kernarg_segment_align: 8
    .kernarg_segment_size: 44
    .language:       OpenCL C
    .language_version:
      - 2
      - 0
    .max_flat_workgroup_size: 256
    .name:           _ZL12mul_mat_q4_0IfLb0EEvPKvS1_PT_iiiii
    .private_segment_fixed_size: 0
    .sgpr_count:     20
    .sgpr_spill_count: 0
    .symbol:         _ZL12mul_mat_q4_0IfLb0EEvPKvS1_PT_iiiii.kd
    .uniform_work_group_size: 1
    .uses_dynamic_stack: false
    .vgpr_count:     438
    .vgpr_spill_count: 0
    .wavefront_size: 32
  - .args:
      - .actual_access:  read_only
        .address_space:  global
        .offset:         0
        .size:           8
        .value_kind:     global_buffer
      - .actual_access:  read_only
        .address_space:  global
        .offset:         8
        .size:           8
        .value_kind:     global_buffer
      - .actual_access:  write_only
        .address_space:  global
        .offset:         16
        .size:           8
        .value_kind:     global_buffer
      - .offset:         24
        .size:           4
        .value_kind:     by_value
      - .offset:         28
        .size:           4
        .value_kind:     by_value
      - .offset:         32
        .size:           4
        .value_kind:     by_value
      - .offset:         36
        .size:           4
        .value_kind:     by_value
      - .offset:         40
        .size:           4
        .value_kind:     by_value
    .group_segment_fixed_size: 30336
    .kernarg_segment_align: 8
    .kernarg_segment_size: 44
    .language:       OpenCL C
    .language_version:
      - 2
      - 0
    .max_flat_workgroup_size: 256
    .name:           _ZL12mul_mat_q4_0IfLb1EEvPKvS1_PT_iiiii
    .private_segment_fixed_size: 0
    .sgpr_count:     19
    .sgpr_spill_count: 0
    .symbol:         _ZL12mul_mat_q4_0IfLb1EEvPKvS1_PT_iiiii.kd
    .uniform_work_group_size: 1
    .uses_dynamic_stack: false
    .vgpr_count:     438
    .vgpr_spill_count: 0
    .wavefront_size: 32
  - .args:
      - .actual_access:  read_only
        .address_space:  global
        .offset:         0
        .size:           8
        .value_kind:     global_buffer
      - .actual_access:  read_only
        .address_space:  global
        .offset:         8
        .size:           8
        .value_kind:     global_buffer
      - .actual_access:  write_only
        .address_space:  global
        .offset:         16
        .size:           8
        .value_kind:     global_buffer
      - .offset:         24
        .size:           4
        .value_kind:     by_value
      - .offset:         28
        .size:           4
        .value_kind:     by_value
      - .offset:         32
        .size:           4
        .value_kind:     by_value
      - .offset:         36
        .size:           4
        .value_kind:     by_value
      - .offset:         40
        .size:           4
        .value_kind:     by_value
    .group_segment_fixed_size: 30336
    .kernarg_segment_align: 8
    .kernarg_segment_size: 44
    .language:       OpenCL C
    .language_version:
      - 2
      - 0
    .max_flat_workgroup_size: 256
    .name:           _ZL12mul_mat_q4_1IfLb0EEvPKvS1_PT_iiiii
    .private_segment_fixed_size: 0
    .sgpr_count:     22
    .sgpr_spill_count: 0
    .symbol:         _ZL12mul_mat_q4_1IfLb0EEvPKvS1_PT_iiiii.kd
    .uniform_work_group_size: 1
    .uses_dynamic_stack: false
    .vgpr_count:     455
    .vgpr_spill_count: 0
    .wavefront_size: 32
  - .args:
      - .actual_access:  read_only
        .address_space:  global
        .offset:         0
        .size:           8
        .value_kind:     global_buffer
      - .actual_access:  read_only
        .address_space:  global
        .offset:         8
        .size:           8
        .value_kind:     global_buffer
      - .actual_access:  write_only
        .address_space:  global
        .offset:         16
        .size:           8
        .value_kind:     global_buffer
      - .offset:         24
        .size:           4
        .value_kind:     by_value
      - .offset:         28
        .size:           4
        .value_kind:     by_value
      - .offset:         32
        .size:           4
        .value_kind:     by_value
      - .offset:         36
        .size:           4
        .value_kind:     by_value
      - .offset:         40
        .size:           4
        .value_kind:     by_value
    .group_segment_fixed_size: 30336
    .kernarg_segment_align: 8
    .kernarg_segment_size: 44
    .language:       OpenCL C
    .language_version:
      - 2
      - 0
    .max_flat_workgroup_size: 256
    .name:           _ZL12mul_mat_q4_1IfLb1EEvPKvS1_PT_iiiii
    .private_segment_fixed_size: 0
    .sgpr_count:     18
    .sgpr_spill_count: 0
    .symbol:         _ZL12mul_mat_q4_1IfLb1EEvPKvS1_PT_iiiii.kd
    .uniform_work_group_size: 1
    .uses_dynamic_stack: false
    .vgpr_count:     455
    .vgpr_spill_count: 0
    .wavefront_size: 32
  - .args:
      - .actual_access:  read_only
        .address_space:  global
        .offset:         0
        .size:           8
        .value_kind:     global_buffer
      - .actual_access:  read_only
        .address_space:  global
        .offset:         8
        .size:           8
        .value_kind:     global_buffer
      - .actual_access:  write_only
        .address_space:  global
        .offset:         16
        .size:           8
        .value_kind:     global_buffer
      - .offset:         24
        .size:           4
        .value_kind:     by_value
      - .offset:         28
        .size:           4
        .value_kind:     by_value
      - .offset:         32
        .size:           4
        .value_kind:     by_value
      - .offset:         36
        .size:           4
        .value_kind:     by_value
      - .offset:         40
        .size:           4
        .value_kind:     by_value
    .group_segment_fixed_size: 46720
    .kernarg_segment_align: 8
    .kernarg_segment_size: 44
    .language:       OpenCL C
    .language_version:
      - 2
      - 0
    .max_flat_workgroup_size: 256
    .name:           _ZL12mul_mat_q5_0IfLb0EEvPKvS1_PT_iiiii
    .private_segment_fixed_size: 0
    .sgpr_count:     22
    .sgpr_spill_count: 0
    .symbol:         _ZL12mul_mat_q5_0IfLb0EEvPKvS1_PT_iiiii.kd
    .uniform_work_group_size: 1
    .uses_dynamic_stack: false
    .vgpr_count:     334
    .vgpr_spill_count: 0
    .wavefront_size: 32
  - .args:
      - .actual_access:  read_only
        .address_space:  global
        .offset:         0
        .size:           8
        .value_kind:     global_buffer
      - .actual_access:  read_only
        .address_space:  global
        .offset:         8
        .size:           8
        .value_kind:     global_buffer
      - .actual_access:  write_only
        .address_space:  global
        .offset:         16
        .size:           8
        .value_kind:     global_buffer
      - .offset:         24
        .size:           4
        .value_kind:     by_value
      - .offset:         28
        .size:           4
        .value_kind:     by_value
      - .offset:         32
        .size:           4
        .value_kind:     by_value
      - .offset:         36
        .size:           4
        .value_kind:     by_value
      - .offset:         40
        .size:           4
        .value_kind:     by_value
    .group_segment_fixed_size: 46720
    .kernarg_segment_align: 8
    .kernarg_segment_size: 44
    .language:       OpenCL C
    .language_version:
      - 2
      - 0
    .max_flat_workgroup_size: 256
    .name:           _ZL12mul_mat_q5_0IfLb1EEvPKvS1_PT_iiiii
    .private_segment_fixed_size: 0
    .sgpr_count:     19
    .sgpr_spill_count: 0
    .symbol:         _ZL12mul_mat_q5_0IfLb1EEvPKvS1_PT_iiiii.kd
    .uniform_work_group_size: 1
    .uses_dynamic_stack: false
    .vgpr_count:     334
    .vgpr_spill_count: 0
    .wavefront_size: 32
  - .args:
      - .actual_access:  read_only
        .address_space:  global
        .offset:         0
        .size:           8
        .value_kind:     global_buffer
      - .actual_access:  read_only
        .address_space:  global
        .offset:         8
        .size:           8
        .value_kind:     global_buffer
      - .actual_access:  write_only
        .address_space:  global
        .offset:         16
        .size:           8
        .value_kind:     global_buffer
      - .offset:         24
        .size:           4
        .value_kind:     by_value
      - .offset:         28
        .size:           4
        .value_kind:     by_value
      - .offset:         32
        .size:           4
        .value_kind:     by_value
      - .offset:         36
        .size:           4
        .value_kind:     by_value
      - .offset:         40
        .size:           4
        .value_kind:     by_value
    .group_segment_fixed_size: 46720
    .kernarg_segment_align: 8
    .kernarg_segment_size: 44
    .language:       OpenCL C
    .language_version:
      - 2
      - 0
    .max_flat_workgroup_size: 256
    .name:           _ZL12mul_mat_q5_1IfLb0EEvPKvS1_PT_iiiii
    .private_segment_fixed_size: 0
    .sgpr_count:     22
    .sgpr_spill_count: 0
    .symbol:         _ZL12mul_mat_q5_1IfLb0EEvPKvS1_PT_iiiii.kd
    .uniform_work_group_size: 1
    .uses_dynamic_stack: false
    .vgpr_count:     339
    .vgpr_spill_count: 0
    .wavefront_size: 32
  - .args:
      - .actual_access:  read_only
        .address_space:  global
        .offset:         0
        .size:           8
        .value_kind:     global_buffer
      - .actual_access:  read_only
        .address_space:  global
        .offset:         8
        .size:           8
        .value_kind:     global_buffer
      - .actual_access:  write_only
        .address_space:  global
        .offset:         16
        .size:           8
        .value_kind:     global_buffer
      - .offset:         24
        .size:           4
        .value_kind:     by_value
      - .offset:         28
        .size:           4
        .value_kind:     by_value
      - .offset:         32
        .size:           4
        .value_kind:     by_value
      - .offset:         36
        .size:           4
        .value_kind:     by_value
      - .offset:         40
        .size:           4
        .value_kind:     by_value
    .group_segment_fixed_size: 46720
    .kernarg_segment_align: 8
    .kernarg_segment_size: 44
    .language:       OpenCL C
    .language_version:
      - 2
      - 0
    .max_flat_workgroup_size: 256
    .name:           _ZL12mul_mat_q5_1IfLb1EEvPKvS1_PT_iiiii
    .private_segment_fixed_size: 0
    .sgpr_count:     19
    .sgpr_spill_count: 0
    .symbol:         _ZL12mul_mat_q5_1IfLb1EEvPKvS1_PT_iiiii.kd
    .uniform_work_group_size: 1
    .uses_dynamic_stack: false
    .vgpr_count:     339
    .vgpr_spill_count: 0
    .wavefront_size: 32
  - .args:
      - .actual_access:  read_only
        .address_space:  global
        .offset:         0
        .size:           8
        .value_kind:     global_buffer
      - .actual_access:  read_only
        .address_space:  global
        .offset:         8
        .size:           8
        .value_kind:     global_buffer
      - .actual_access:  write_only
        .address_space:  global
        .offset:         16
        .size:           8
        .value_kind:     global_buffer
      - .offset:         24
        .size:           4
        .value_kind:     by_value
      - .offset:         28
        .size:           4
        .value_kind:     by_value
      - .offset:         32
        .size:           4
        .value_kind:     by_value
      - .offset:         36
        .size:           4
        .value_kind:     by_value
      - .offset:         40
        .size:           4
        .value_kind:     by_value
    .group_segment_fixed_size: 28224
    .kernarg_segment_align: 8
    .kernarg_segment_size: 44
    .language:       OpenCL C
    .language_version:
      - 2
      - 0
    .max_flat_workgroup_size: 256
    .name:           _ZL12mul_mat_q8_0IfLb0EEvPKvS1_PT_iiiii
    .private_segment_fixed_size: 0
    .sgpr_count:     23
    .sgpr_spill_count: 0
    .symbol:         _ZL12mul_mat_q8_0IfLb0EEvPKvS1_PT_iiiii.kd
    .uniform_work_group_size: 1
    .uses_dynamic_stack: false
    .vgpr_count:     184
    .vgpr_spill_count: 0
    .wavefront_size: 32
  - .args:
      - .actual_access:  read_only
        .address_space:  global
        .offset:         0
        .size:           8
        .value_kind:     global_buffer
      - .actual_access:  read_only
        .address_space:  global
        .offset:         8
        .size:           8
        .value_kind:     global_buffer
      - .actual_access:  write_only
        .address_space:  global
        .offset:         16
        .size:           8
        .value_kind:     global_buffer
      - .offset:         24
        .size:           4
        .value_kind:     by_value
      - .offset:         28
        .size:           4
        .value_kind:     by_value
      - .offset:         32
        .size:           4
        .value_kind:     by_value
      - .offset:         36
        .size:           4
        .value_kind:     by_value
      - .offset:         40
        .size:           4
        .value_kind:     by_value
    .group_segment_fixed_size: 28224
    .kernarg_segment_align: 8
    .kernarg_segment_size: 44
    .language:       OpenCL C
    .language_version:
      - 2
      - 0
    .max_flat_workgroup_size: 256
    .name:           _ZL12mul_mat_q8_0IfLb1EEvPKvS1_PT_iiiii
    .private_segment_fixed_size: 0
    .sgpr_count:     20
    .sgpr_spill_count: 0
    .symbol:         _ZL12mul_mat_q8_0IfLb1EEvPKvS1_PT_iiiii.kd
    .uniform_work_group_size: 1
    .uses_dynamic_stack: false
    .vgpr_count:     184
    .vgpr_spill_count: 0
    .wavefront_size: 32
  - .args:
      - .actual_access:  read_only
        .address_space:  global
        .offset:         0
        .size:           8
        .value_kind:     global_buffer
      - .actual_access:  read_only
        .address_space:  global
        .offset:         8
        .size:           8
        .value_kind:     global_buffer
      - .actual_access:  write_only
        .address_space:  global
        .offset:         16
        .size:           8
        .value_kind:     global_buffer
      - .offset:         24
        .size:           4
        .value_kind:     by_value
      - .offset:         28
        .size:           4
        .value_kind:     by_value
      - .offset:         32
        .size:           4
        .value_kind:     by_value
      - .offset:         36
        .size:           4
        .value_kind:     by_value
      - .offset:         40
        .size:           4
        .value_kind:     by_value
    .group_segment_fixed_size: 31392
    .kernarg_segment_align: 8
    .kernarg_segment_size: 44
    .language:       OpenCL C
    .language_version:
      - 2
      - 0
    .max_flat_workgroup_size: 256
    .name:           _ZL12mul_mat_q2_KIfLb0EEvPKvS1_PT_iiiii
    .private_segment_fixed_size: 440
    .sgpr_count:     24
    .sgpr_spill_count: 0
    .symbol:         _ZL12mul_mat_q2_KIfLb0EEvPKvS1_PT_iiiii.kd
    .uniform_work_group_size: 1
    .uses_dynamic_stack: false
    .vgpr_count:     512
    .vgpr_spill_count: 110
    .wavefront_size: 32
  - .args:
      - .actual_access:  read_only
        .address_space:  global
        .offset:         0
        .size:           8
        .value_kind:     global_buffer
      - .actual_access:  read_only
        .address_space:  global
        .offset:         8
        .size:           8
        .value_kind:     global_buffer
      - .actual_access:  write_only
        .address_space:  global
        .offset:         16
        .size:           8
        .value_kind:     global_buffer
      - .offset:         24
        .size:           4
        .value_kind:     by_value
      - .offset:         28
        .size:           4
        .value_kind:     by_value
      - .offset:         32
        .size:           4
        .value_kind:     by_value
      - .offset:         36
        .size:           4
        .value_kind:     by_value
      - .offset:         40
        .size:           4
        .value_kind:     by_value
    .group_segment_fixed_size: 31392
    .kernarg_segment_align: 8
    .kernarg_segment_size: 44
    .language:       OpenCL C
    .language_version:
      - 2
      - 0
    .max_flat_workgroup_size: 256
    .name:           _ZL12mul_mat_q2_KIfLb1EEvPKvS1_PT_iiiii
    .private_segment_fixed_size: 548
    .sgpr_count:     24
    .sgpr_spill_count: 0
    .symbol:         _ZL12mul_mat_q2_KIfLb1EEvPKvS1_PT_iiiii.kd
    .uniform_work_group_size: 1
    .uses_dynamic_stack: false
    .vgpr_count:     512
    .vgpr_spill_count: 137
    .wavefront_size: 32
  - .args:
      - .actual_access:  read_only
        .address_space:  global
        .offset:         0
        .size:           8
        .value_kind:     global_buffer
      - .actual_access:  read_only
        .address_space:  global
        .offset:         8
        .size:           8
        .value_kind:     global_buffer
      - .actual_access:  write_only
        .address_space:  global
        .offset:         16
        .size:           8
        .value_kind:     global_buffer
      - .offset:         24
        .size:           4
        .value_kind:     by_value
      - .offset:         28
        .size:           4
        .value_kind:     by_value
      - .offset:         32
        .size:           4
        .value_kind:     by_value
      - .offset:         36
        .size:           4
        .value_kind:     by_value
      - .offset:         40
        .size:           4
        .value_kind:     by_value
    .group_segment_fixed_size: 39840
    .kernarg_segment_align: 8
    .kernarg_segment_size: 44
    .language:       OpenCL C
    .language_version:
      - 2
      - 0
    .max_flat_workgroup_size: 256
    .name:           _ZL12mul_mat_q3_KIfLb0EEvPKvS1_PT_iiiii
    .private_segment_fixed_size: 0
    .sgpr_count:     26
    .sgpr_spill_count: 0
    .symbol:         _ZL12mul_mat_q3_KIfLb0EEvPKvS1_PT_iiiii.kd
    .uniform_work_group_size: 1
    .uses_dynamic_stack: false
    .vgpr_count:     307
    .vgpr_spill_count: 0
    .wavefront_size: 32
  - .args:
      - .actual_access:  read_only
        .address_space:  global
        .offset:         0
        .size:           8
        .value_kind:     global_buffer
      - .actual_access:  read_only
        .address_space:  global
        .offset:         8
        .size:           8
        .value_kind:     global_buffer
      - .actual_access:  write_only
        .address_space:  global
        .offset:         16
        .size:           8
        .value_kind:     global_buffer
      - .offset:         24
        .size:           4
        .value_kind:     by_value
      - .offset:         28
        .size:           4
        .value_kind:     by_value
      - .offset:         32
        .size:           4
        .value_kind:     by_value
      - .offset:         36
        .size:           4
        .value_kind:     by_value
      - .offset:         40
        .size:           4
        .value_kind:     by_value
    .group_segment_fixed_size: 39840
    .kernarg_segment_align: 8
    .kernarg_segment_size: 44
    .language:       OpenCL C
    .language_version:
      - 2
      - 0
    .max_flat_workgroup_size: 256
    .name:           _ZL12mul_mat_q3_KIfLb1EEvPKvS1_PT_iiiii
    .private_segment_fixed_size: 0
    .sgpr_count:     26
    .sgpr_spill_count: 0
    .symbol:         _ZL12mul_mat_q3_KIfLb1EEvPKvS1_PT_iiiii.kd
    .uniform_work_group_size: 1
    .uses_dynamic_stack: false
    .vgpr_count:     307
    .vgpr_spill_count: 0
    .wavefront_size: 32
  - .args:
      - .actual_access:  read_only
        .address_space:  global
        .offset:         0
        .size:           8
        .value_kind:     global_buffer
      - .actual_access:  read_only
        .address_space:  global
        .offset:         8
        .size:           8
        .value_kind:     global_buffer
      - .actual_access:  write_only
        .address_space:  global
        .offset:         16
        .size:           8
        .value_kind:     global_buffer
      - .offset:         24
        .size:           4
        .value_kind:     by_value
      - .offset:         28
        .size:           4
        .value_kind:     by_value
      - .offset:         32
        .size:           4
        .value_kind:     by_value
      - .offset:         36
        .size:           4
        .value_kind:     by_value
      - .offset:         40
        .size:           4
        .value_kind:     by_value
    .group_segment_fixed_size: 28752
    .kernarg_segment_align: 8
    .kernarg_segment_size: 44
    .language:       OpenCL C
    .language_version:
      - 2
      - 0
    .max_flat_workgroup_size: 256
    .name:           _ZL12mul_mat_q4_KIfLb0EEvPKvS1_PT_iiiii
    .private_segment_fixed_size: 136
    .sgpr_count:     21
    .sgpr_spill_count: 0
    .symbol:         _ZL12mul_mat_q4_KIfLb0EEvPKvS1_PT_iiiii.kd
    .uniform_work_group_size: 1
    .uses_dynamic_stack: false
    .vgpr_count:     512
    .vgpr_spill_count: 33
    .wavefront_size: 32
  - .args:
      - .actual_access:  read_only
        .address_space:  global
        .offset:         0
        .size:           8
        .value_kind:     global_buffer
      - .actual_access:  read_only
        .address_space:  global
        .offset:         8
        .size:           8
        .value_kind:     global_buffer
      - .actual_access:  write_only
        .address_space:  global
        .offset:         16
        .size:           8
        .value_kind:     global_buffer
      - .offset:         24
        .size:           4
        .value_kind:     by_value
      - .offset:         28
        .size:           4
        .value_kind:     by_value
      - .offset:         32
        .size:           4
        .value_kind:     by_value
      - .offset:         36
        .size:           4
        .value_kind:     by_value
      - .offset:         40
        .size:           4
        .value_kind:     by_value
    .group_segment_fixed_size: 28752
    .kernarg_segment_align: 8
    .kernarg_segment_size: 44
    .language:       OpenCL C
    .language_version:
      - 2
      - 0
    .max_flat_workgroup_size: 256
    .name:           _ZL12mul_mat_q4_KIfLb1EEvPKvS1_PT_iiiii
    .private_segment_fixed_size: 200
    .sgpr_count:     20
    .sgpr_spill_count: 0
    .symbol:         _ZL12mul_mat_q4_KIfLb1EEvPKvS1_PT_iiiii.kd
    .uniform_work_group_size: 1
    .uses_dynamic_stack: false
    .vgpr_count:     512
    .vgpr_spill_count: 49
    .wavefront_size: 32
  - .args:
      - .actual_access:  read_only
        .address_space:  global
        .offset:         0
        .size:           8
        .value_kind:     global_buffer
      - .actual_access:  read_only
        .address_space:  global
        .offset:         8
        .size:           8
        .value_kind:     global_buffer
      - .actual_access:  write_only
        .address_space:  global
        .offset:         16
        .size:           8
        .value_kind:     global_buffer
      - .offset:         24
        .size:           4
        .value_kind:     by_value
      - .offset:         28
        .size:           4
        .value_kind:     by_value
      - .offset:         32
        .size:           4
        .value_kind:     by_value
      - .offset:         36
        .size:           4
        .value_kind:     by_value
      - .offset:         40
        .size:           4
        .value_kind:     by_value
    .group_segment_fixed_size: 45136
    .kernarg_segment_align: 8
    .kernarg_segment_size: 44
    .language:       OpenCL C
    .language_version:
      - 2
      - 0
    .max_flat_workgroup_size: 256
    .name:           _ZL12mul_mat_q5_KIfLb0EEvPKvS1_PT_iiiii
    .private_segment_fixed_size: 0
    .sgpr_count:     20
    .sgpr_spill_count: 0
    .symbol:         _ZL12mul_mat_q5_KIfLb0EEvPKvS1_PT_iiiii.kd
    .uniform_work_group_size: 1
    .uses_dynamic_stack: false
    .vgpr_count:     318
    .vgpr_spill_count: 0
    .wavefront_size: 32
  - .args:
      - .actual_access:  read_only
        .address_space:  global
        .offset:         0
        .size:           8
        .value_kind:     global_buffer
      - .actual_access:  read_only
        .address_space:  global
        .offset:         8
        .size:           8
        .value_kind:     global_buffer
      - .actual_access:  write_only
        .address_space:  global
        .offset:         16
        .size:           8
        .value_kind:     global_buffer
      - .offset:         24
        .size:           4
        .value_kind:     by_value
      - .offset:         28
        .size:           4
        .value_kind:     by_value
      - .offset:         32
        .size:           4
        .value_kind:     by_value
      - .offset:         36
        .size:           4
        .value_kind:     by_value
      - .offset:         40
        .size:           4
        .value_kind:     by_value
    .group_segment_fixed_size: 45136
    .kernarg_segment_align: 8
    .kernarg_segment_size: 44
    .language:       OpenCL C
    .language_version:
      - 2
      - 0
    .max_flat_workgroup_size: 256
    .name:           _ZL12mul_mat_q5_KIfLb1EEvPKvS1_PT_iiiii
    .private_segment_fixed_size: 0
    .sgpr_count:     20
    .sgpr_spill_count: 0
    .symbol:         _ZL12mul_mat_q5_KIfLb1EEvPKvS1_PT_iiiii.kd
    .uniform_work_group_size: 1
    .uses_dynamic_stack: false
    .vgpr_count:     318
    .vgpr_spill_count: 0
    .wavefront_size: 32
  - .args:
      - .actual_access:  read_only
        .address_space:  global
        .offset:         0
        .size:           8
        .value_kind:     global_buffer
      - .actual_access:  read_only
        .address_space:  global
        .offset:         8
        .size:           8
        .value_kind:     global_buffer
      - .actual_access:  write_only
        .address_space:  global
        .offset:         16
        .size:           8
        .value_kind:     global_buffer
      - .offset:         24
        .size:           4
        .value_kind:     by_value
      - .offset:         28
        .size:           4
        .value_kind:     by_value
      - .offset:         32
        .size:           4
        .value_kind:     by_value
      - .offset:         36
        .size:           4
        .value_kind:     by_value
      - .offset:         40
        .size:           4
        .value_kind:     by_value
    .group_segment_fixed_size: 45136
    .kernarg_segment_align: 8
    .kernarg_segment_size: 44
    .language:       OpenCL C
    .language_version:
      - 2
      - 0
    .max_flat_workgroup_size: 256
    .name:           _ZL12mul_mat_q6_KIfLb0EEvPKvS1_PT_iiiii
    .private_segment_fixed_size: 0
    .sgpr_count:     20
    .sgpr_spill_count: 0
    .symbol:         _ZL12mul_mat_q6_KIfLb0EEvPKvS1_PT_iiiii.kd
    .uniform_work_group_size: 1
    .uses_dynamic_stack: false
    .vgpr_count:     316
    .vgpr_spill_count: 0
    .wavefront_size: 32
  - .args:
      - .actual_access:  read_only
        .address_space:  global
        .offset:         0
        .size:           8
        .value_kind:     global_buffer
      - .actual_access:  read_only
        .address_space:  global
        .offset:         8
        .size:           8
        .value_kind:     global_buffer
      - .actual_access:  write_only
        .address_space:  global
        .offset:         16
        .size:           8
        .value_kind:     global_buffer
      - .offset:         24
        .size:           4
        .value_kind:     by_value
      - .offset:         28
        .size:           4
        .value_kind:     by_value
      - .offset:         32
        .size:           4
        .value_kind:     by_value
      - .offset:         36
        .size:           4
        .value_kind:     by_value
      - .offset:         40
        .size:           4
        .value_kind:     by_value
    .group_segment_fixed_size: 45136
    .kernarg_segment_align: 8
    .kernarg_segment_size: 44
    .language:       OpenCL C
    .language_version:
      - 2
      - 0
    .max_flat_workgroup_size: 256
    .name:           _ZL12mul_mat_q6_KIfLb1EEvPKvS1_PT_iiiii
    .private_segment_fixed_size: 0
    .sgpr_count:     20
    .sgpr_spill_count: 0
    .symbol:         _ZL12mul_mat_q6_KIfLb1EEvPKvS1_PT_iiiii.kd
    .uniform_work_group_size: 1
    .uses_dynamic_stack: false
    .vgpr_count:     316
    .vgpr_spill_count: 0
    .wavefront_size: 32
  - .args:
      - .actual_access:  read_only
        .address_space:  global
        .offset:         0
        .size:           8
        .value_kind:     global_buffer
      - .actual_access:  read_only
        .address_space:  global
        .offset:         8
        .size:           8
        .value_kind:     global_buffer
      - .actual_access:  write_only
        .address_space:  global
        .offset:         16
        .size:           8
        .value_kind:     global_buffer
      - .offset:         24
        .size:           4
        .value_kind:     by_value
      - .offset:         28
        .size:           4
        .value_kind:     by_value
      - .offset:         32
        .size:           4
        .value_kind:     by_value
      - .offset:         36
        .size:           4
        .value_kind:     by_value
      - .offset:         40
        .size:           4
        .value_kind:     by_value
    .group_segment_fixed_size: 30336
    .kernarg_segment_align: 8
    .kernarg_segment_size: 44
    .language:       OpenCL C
    .language_version:
      - 2
      - 0
    .max_flat_workgroup_size: 256
    .name:           _ZL12mul_mat_q4_0IN3c104HalfELb0EEvPKvS3_PT_iiiii
    .private_segment_fixed_size: 0
    .sgpr_count:     21
    .sgpr_spill_count: 0
    .symbol:         _ZL12mul_mat_q4_0IN3c104HalfELb0EEvPKvS3_PT_iiiii.kd
    .uniform_work_group_size: 1
    .uses_dynamic_stack: false
    .vgpr_count:     463
    .vgpr_spill_count: 0
    .wavefront_size: 32
  - .args:
      - .actual_access:  read_only
        .address_space:  global
        .offset:         0
        .size:           8
        .value_kind:     global_buffer
      - .actual_access:  read_only
        .address_space:  global
        .offset:         8
        .size:           8
        .value_kind:     global_buffer
      - .actual_access:  write_only
        .address_space:  global
        .offset:         16
        .size:           8
        .value_kind:     global_buffer
      - .offset:         24
        .size:           4
        .value_kind:     by_value
      - .offset:         28
        .size:           4
        .value_kind:     by_value
      - .offset:         32
        .size:           4
        .value_kind:     by_value
      - .offset:         36
        .size:           4
        .value_kind:     by_value
      - .offset:         40
        .size:           4
        .value_kind:     by_value
    .group_segment_fixed_size: 30336
    .kernarg_segment_align: 8
    .kernarg_segment_size: 44
    .language:       OpenCL C
    .language_version:
      - 2
      - 0
    .max_flat_workgroup_size: 256
    .name:           _ZL12mul_mat_q4_0IN3c104HalfELb1EEvPKvS3_PT_iiiii
    .private_segment_fixed_size: 0
    .sgpr_count:     19
    .sgpr_spill_count: 0
    .symbol:         _ZL12mul_mat_q4_0IN3c104HalfELb1EEvPKvS3_PT_iiiii.kd
    .uniform_work_group_size: 1
    .uses_dynamic_stack: false
    .vgpr_count:     463
    .vgpr_spill_count: 0
    .wavefront_size: 32
  - .args:
      - .actual_access:  read_only
        .address_space:  global
        .offset:         0
        .size:           8
        .value_kind:     global_buffer
      - .actual_access:  read_only
        .address_space:  global
        .offset:         8
        .size:           8
        .value_kind:     global_buffer
      - .actual_access:  write_only
        .address_space:  global
        .offset:         16
        .size:           8
        .value_kind:     global_buffer
      - .offset:         24
        .size:           4
        .value_kind:     by_value
      - .offset:         28
        .size:           4
        .value_kind:     by_value
      - .offset:         32
        .size:           4
        .value_kind:     by_value
      - .offset:         36
        .size:           4
        .value_kind:     by_value
      - .offset:         40
        .size:           4
        .value_kind:     by_value
    .group_segment_fixed_size: 30336
    .kernarg_segment_align: 8
    .kernarg_segment_size: 44
    .language:       OpenCL C
    .language_version:
      - 2
      - 0
    .max_flat_workgroup_size: 256
    .name:           _ZL12mul_mat_q4_1IN3c104HalfELb0EEvPKvS3_PT_iiiii
    .private_segment_fixed_size: 0
    .sgpr_count:     20
    .sgpr_spill_count: 0
    .symbol:         _ZL12mul_mat_q4_1IN3c104HalfELb0EEvPKvS3_PT_iiiii.kd
    .uniform_work_group_size: 1
    .uses_dynamic_stack: false
    .vgpr_count:     451
    .vgpr_spill_count: 0
    .wavefront_size: 32
  - .args:
      - .actual_access:  read_only
        .address_space:  global
        .offset:         0
        .size:           8
        .value_kind:     global_buffer
      - .actual_access:  read_only
        .address_space:  global
        .offset:         8
        .size:           8
        .value_kind:     global_buffer
      - .actual_access:  write_only
        .address_space:  global
        .offset:         16
        .size:           8
        .value_kind:     global_buffer
      - .offset:         24
        .size:           4
        .value_kind:     by_value
      - .offset:         28
        .size:           4
        .value_kind:     by_value
      - .offset:         32
        .size:           4
        .value_kind:     by_value
      - .offset:         36
        .size:           4
        .value_kind:     by_value
      - .offset:         40
        .size:           4
        .value_kind:     by_value
    .group_segment_fixed_size: 30336
    .kernarg_segment_align: 8
    .kernarg_segment_size: 44
    .language:       OpenCL C
    .language_version:
      - 2
      - 0
    .max_flat_workgroup_size: 256
    .name:           _ZL12mul_mat_q4_1IN3c104HalfELb1EEvPKvS3_PT_iiiii
    .private_segment_fixed_size: 0
    .sgpr_count:     20
    .sgpr_spill_count: 0
    .symbol:         _ZL12mul_mat_q4_1IN3c104HalfELb1EEvPKvS3_PT_iiiii.kd
    .uniform_work_group_size: 1
    .uses_dynamic_stack: false
    .vgpr_count:     451
    .vgpr_spill_count: 0
    .wavefront_size: 32
  - .args:
      - .actual_access:  read_only
        .address_space:  global
        .offset:         0
        .size:           8
        .value_kind:     global_buffer
      - .actual_access:  read_only
        .address_space:  global
        .offset:         8
        .size:           8
        .value_kind:     global_buffer
      - .actual_access:  write_only
        .address_space:  global
        .offset:         16
        .size:           8
        .value_kind:     global_buffer
      - .offset:         24
        .size:           4
        .value_kind:     by_value
      - .offset:         28
        .size:           4
        .value_kind:     by_value
      - .offset:         32
        .size:           4
        .value_kind:     by_value
      - .offset:         36
        .size:           4
        .value_kind:     by_value
      - .offset:         40
        .size:           4
        .value_kind:     by_value
    .group_segment_fixed_size: 46720
    .kernarg_segment_align: 8
    .kernarg_segment_size: 44
    .language:       OpenCL C
    .language_version:
      - 2
      - 0
    .max_flat_workgroup_size: 256
    .name:           _ZL12mul_mat_q5_0IN3c104HalfELb0EEvPKvS3_PT_iiiii
    .private_segment_fixed_size: 0
    .sgpr_count:     20
    .sgpr_spill_count: 0
    .symbol:         _ZL12mul_mat_q5_0IN3c104HalfELb0EEvPKvS3_PT_iiiii.kd
    .uniform_work_group_size: 1
    .uses_dynamic_stack: false
    .vgpr_count:     332
    .vgpr_spill_count: 0
    .wavefront_size: 32
  - .args:
      - .actual_access:  read_only
        .address_space:  global
        .offset:         0
        .size:           8
        .value_kind:     global_buffer
      - .actual_access:  read_only
        .address_space:  global
        .offset:         8
        .size:           8
        .value_kind:     global_buffer
      - .actual_access:  write_only
        .address_space:  global
        .offset:         16
        .size:           8
        .value_kind:     global_buffer
      - .offset:         24
        .size:           4
        .value_kind:     by_value
      - .offset:         28
        .size:           4
        .value_kind:     by_value
      - .offset:         32
        .size:           4
        .value_kind:     by_value
      - .offset:         36
        .size:           4
        .value_kind:     by_value
      - .offset:         40
        .size:           4
        .value_kind:     by_value
    .group_segment_fixed_size: 46720
    .kernarg_segment_align: 8
    .kernarg_segment_size: 44
    .language:       OpenCL C
    .language_version:
      - 2
      - 0
    .max_flat_workgroup_size: 256
    .name:           _ZL12mul_mat_q5_0IN3c104HalfELb1EEvPKvS3_PT_iiiii
    .private_segment_fixed_size: 0
    .sgpr_count:     20
    .sgpr_spill_count: 0
    .symbol:         _ZL12mul_mat_q5_0IN3c104HalfELb1EEvPKvS3_PT_iiiii.kd
    .uniform_work_group_size: 1
    .uses_dynamic_stack: false
    .vgpr_count:     332
    .vgpr_spill_count: 0
    .wavefront_size: 32
  - .args:
      - .actual_access:  read_only
        .address_space:  global
        .offset:         0
        .size:           8
        .value_kind:     global_buffer
      - .actual_access:  read_only
        .address_space:  global
        .offset:         8
        .size:           8
        .value_kind:     global_buffer
      - .actual_access:  write_only
        .address_space:  global
        .offset:         16
        .size:           8
        .value_kind:     global_buffer
      - .offset:         24
        .size:           4
        .value_kind:     by_value
      - .offset:         28
        .size:           4
        .value_kind:     by_value
      - .offset:         32
        .size:           4
        .value_kind:     by_value
      - .offset:         36
        .size:           4
        .value_kind:     by_value
      - .offset:         40
        .size:           4
        .value_kind:     by_value
    .group_segment_fixed_size: 46720
    .kernarg_segment_align: 8
    .kernarg_segment_size: 44
    .language:       OpenCL C
    .language_version:
      - 2
      - 0
    .max_flat_workgroup_size: 256
    .name:           _ZL12mul_mat_q5_1IN3c104HalfELb0EEvPKvS3_PT_iiiii
    .private_segment_fixed_size: 0
    .sgpr_count:     22
    .sgpr_spill_count: 0
    .symbol:         _ZL12mul_mat_q5_1IN3c104HalfELb0EEvPKvS3_PT_iiiii.kd
    .uniform_work_group_size: 1
    .uses_dynamic_stack: false
    .vgpr_count:     187
    .vgpr_spill_count: 0
    .wavefront_size: 32
  - .args:
      - .actual_access:  read_only
        .address_space:  global
        .offset:         0
        .size:           8
        .value_kind:     global_buffer
      - .actual_access:  read_only
        .address_space:  global
        .offset:         8
        .size:           8
        .value_kind:     global_buffer
      - .actual_access:  write_only
        .address_space:  global
        .offset:         16
        .size:           8
        .value_kind:     global_buffer
      - .offset:         24
        .size:           4
        .value_kind:     by_value
      - .offset:         28
        .size:           4
        .value_kind:     by_value
      - .offset:         32
        .size:           4
        .value_kind:     by_value
      - .offset:         36
        .size:           4
        .value_kind:     by_value
      - .offset:         40
        .size:           4
        .value_kind:     by_value
    .group_segment_fixed_size: 46720
    .kernarg_segment_align: 8
    .kernarg_segment_size: 44
    .language:       OpenCL C
    .language_version:
      - 2
      - 0
    .max_flat_workgroup_size: 256
    .name:           _ZL12mul_mat_q5_1IN3c104HalfELb1EEvPKvS3_PT_iiiii
    .private_segment_fixed_size: 0
    .sgpr_count:     19
    .sgpr_spill_count: 0
    .symbol:         _ZL12mul_mat_q5_1IN3c104HalfELb1EEvPKvS3_PT_iiiii.kd
    .uniform_work_group_size: 1
    .uses_dynamic_stack: false
    .vgpr_count:     187
    .vgpr_spill_count: 0
    .wavefront_size: 32
  - .args:
      - .actual_access:  read_only
        .address_space:  global
        .offset:         0
        .size:           8
        .value_kind:     global_buffer
      - .actual_access:  read_only
        .address_space:  global
        .offset:         8
        .size:           8
        .value_kind:     global_buffer
      - .actual_access:  write_only
        .address_space:  global
        .offset:         16
        .size:           8
        .value_kind:     global_buffer
      - .offset:         24
        .size:           4
        .value_kind:     by_value
      - .offset:         28
        .size:           4
        .value_kind:     by_value
      - .offset:         32
        .size:           4
        .value_kind:     by_value
      - .offset:         36
        .size:           4
        .value_kind:     by_value
      - .offset:         40
        .size:           4
        .value_kind:     by_value
    .group_segment_fixed_size: 28224
    .kernarg_segment_align: 8
    .kernarg_segment_size: 44
    .language:       OpenCL C
    .language_version:
      - 2
      - 0
    .max_flat_workgroup_size: 256
    .name:           _ZL12mul_mat_q8_0IN3c104HalfELb0EEvPKvS3_PT_iiiii
    .private_segment_fixed_size: 0
    .sgpr_count:     23
    .sgpr_spill_count: 0
    .symbol:         _ZL12mul_mat_q8_0IN3c104HalfELb0EEvPKvS3_PT_iiiii.kd
    .uniform_work_group_size: 1
    .uses_dynamic_stack: false
    .vgpr_count:     184
    .vgpr_spill_count: 0
    .wavefront_size: 32
  - .args:
      - .actual_access:  read_only
        .address_space:  global
        .offset:         0
        .size:           8
        .value_kind:     global_buffer
      - .actual_access:  read_only
        .address_space:  global
        .offset:         8
        .size:           8
        .value_kind:     global_buffer
      - .actual_access:  write_only
        .address_space:  global
        .offset:         16
        .size:           8
        .value_kind:     global_buffer
      - .offset:         24
        .size:           4
        .value_kind:     by_value
      - .offset:         28
        .size:           4
        .value_kind:     by_value
      - .offset:         32
        .size:           4
        .value_kind:     by_value
      - .offset:         36
        .size:           4
        .value_kind:     by_value
      - .offset:         40
        .size:           4
        .value_kind:     by_value
    .group_segment_fixed_size: 28224
    .kernarg_segment_align: 8
    .kernarg_segment_size: 44
    .language:       OpenCL C
    .language_version:
      - 2
      - 0
    .max_flat_workgroup_size: 256
    .name:           _ZL12mul_mat_q8_0IN3c104HalfELb1EEvPKvS3_PT_iiiii
    .private_segment_fixed_size: 0
    .sgpr_count:     20
    .sgpr_spill_count: 0
    .symbol:         _ZL12mul_mat_q8_0IN3c104HalfELb1EEvPKvS3_PT_iiiii.kd
    .uniform_work_group_size: 1
    .uses_dynamic_stack: false
    .vgpr_count:     184
    .vgpr_spill_count: 0
    .wavefront_size: 32
  - .args:
      - .actual_access:  read_only
        .address_space:  global
        .offset:         0
        .size:           8
        .value_kind:     global_buffer
      - .actual_access:  read_only
        .address_space:  global
        .offset:         8
        .size:           8
        .value_kind:     global_buffer
      - .actual_access:  write_only
        .address_space:  global
        .offset:         16
        .size:           8
        .value_kind:     global_buffer
      - .offset:         24
        .size:           4
        .value_kind:     by_value
      - .offset:         28
        .size:           4
        .value_kind:     by_value
      - .offset:         32
        .size:           4
        .value_kind:     by_value
      - .offset:         36
        .size:           4
        .value_kind:     by_value
      - .offset:         40
        .size:           4
        .value_kind:     by_value
    .group_segment_fixed_size: 31392
    .kernarg_segment_align: 8
    .kernarg_segment_size: 44
    .language:       OpenCL C
    .language_version:
      - 2
      - 0
    .max_flat_workgroup_size: 256
    .name:           _ZL12mul_mat_q2_KIN3c104HalfELb0EEvPKvS3_PT_iiiii
    .private_segment_fixed_size: 0
    .sgpr_count:     24
    .sgpr_spill_count: 0
    .symbol:         _ZL12mul_mat_q2_KIN3c104HalfELb0EEvPKvS3_PT_iiiii.kd
    .uniform_work_group_size: 1
    .uses_dynamic_stack: false
    .vgpr_count:     456
    .vgpr_spill_count: 0
    .wavefront_size: 32
  - .args:
      - .actual_access:  read_only
        .address_space:  global
        .offset:         0
        .size:           8
        .value_kind:     global_buffer
      - .actual_access:  read_only
        .address_space:  global
        .offset:         8
        .size:           8
        .value_kind:     global_buffer
      - .actual_access:  write_only
        .address_space:  global
        .offset:         16
        .size:           8
        .value_kind:     global_buffer
      - .offset:         24
        .size:           4
        .value_kind:     by_value
      - .offset:         28
        .size:           4
        .value_kind:     by_value
      - .offset:         32
        .size:           4
        .value_kind:     by_value
      - .offset:         36
        .size:           4
        .value_kind:     by_value
      - .offset:         40
        .size:           4
        .value_kind:     by_value
    .group_segment_fixed_size: 31392
    .kernarg_segment_align: 8
    .kernarg_segment_size: 44
    .language:       OpenCL C
    .language_version:
      - 2
      - 0
    .max_flat_workgroup_size: 256
    .name:           _ZL12mul_mat_q2_KIN3c104HalfELb1EEvPKvS3_PT_iiiii
    .private_segment_fixed_size: 0
    .sgpr_count:     24
    .sgpr_spill_count: 0
    .symbol:         _ZL12mul_mat_q2_KIN3c104HalfELb1EEvPKvS3_PT_iiiii.kd
    .uniform_work_group_size: 1
    .uses_dynamic_stack: false
    .vgpr_count:     456
    .vgpr_spill_count: 0
    .wavefront_size: 32
  - .args:
      - .actual_access:  read_only
        .address_space:  global
        .offset:         0
        .size:           8
        .value_kind:     global_buffer
      - .actual_access:  read_only
        .address_space:  global
        .offset:         8
        .size:           8
        .value_kind:     global_buffer
      - .actual_access:  write_only
        .address_space:  global
        .offset:         16
        .size:           8
        .value_kind:     global_buffer
      - .offset:         24
        .size:           4
        .value_kind:     by_value
      - .offset:         28
        .size:           4
        .value_kind:     by_value
      - .offset:         32
        .size:           4
        .value_kind:     by_value
      - .offset:         36
        .size:           4
        .value_kind:     by_value
      - .offset:         40
        .size:           4
        .value_kind:     by_value
    .group_segment_fixed_size: 39840
    .kernarg_segment_align: 8
    .kernarg_segment_size: 44
    .language:       OpenCL C
    .language_version:
      - 2
      - 0
    .max_flat_workgroup_size: 256
    .name:           _ZL12mul_mat_q3_KIN3c104HalfELb0EEvPKvS3_PT_iiiii
    .private_segment_fixed_size: 0
    .sgpr_count:     26
    .sgpr_spill_count: 0
    .symbol:         _ZL12mul_mat_q3_KIN3c104HalfELb0EEvPKvS3_PT_iiiii.kd
    .uniform_work_group_size: 1
    .uses_dynamic_stack: false
    .vgpr_count:     307
    .vgpr_spill_count: 0
    .wavefront_size: 32
  - .args:
      - .actual_access:  read_only
        .address_space:  global
        .offset:         0
        .size:           8
        .value_kind:     global_buffer
      - .actual_access:  read_only
        .address_space:  global
        .offset:         8
        .size:           8
        .value_kind:     global_buffer
      - .actual_access:  write_only
        .address_space:  global
        .offset:         16
        .size:           8
        .value_kind:     global_buffer
      - .offset:         24
        .size:           4
        .value_kind:     by_value
      - .offset:         28
        .size:           4
        .value_kind:     by_value
      - .offset:         32
        .size:           4
        .value_kind:     by_value
      - .offset:         36
        .size:           4
        .value_kind:     by_value
      - .offset:         40
        .size:           4
        .value_kind:     by_value
    .group_segment_fixed_size: 39840
    .kernarg_segment_align: 8
    .kernarg_segment_size: 44
    .language:       OpenCL C
    .language_version:
      - 2
      - 0
    .max_flat_workgroup_size: 256
    .name:           _ZL12mul_mat_q3_KIN3c104HalfELb1EEvPKvS3_PT_iiiii
    .private_segment_fixed_size: 0
    .sgpr_count:     26
    .sgpr_spill_count: 0
    .symbol:         _ZL12mul_mat_q3_KIN3c104HalfELb1EEvPKvS3_PT_iiiii.kd
    .uniform_work_group_size: 1
    .uses_dynamic_stack: false
    .vgpr_count:     307
    .vgpr_spill_count: 0
    .wavefront_size: 32
  - .args:
      - .actual_access:  read_only
        .address_space:  global
        .offset:         0
        .size:           8
        .value_kind:     global_buffer
      - .actual_access:  read_only
        .address_space:  global
        .offset:         8
        .size:           8
        .value_kind:     global_buffer
      - .actual_access:  write_only
        .address_space:  global
        .offset:         16
        .size:           8
        .value_kind:     global_buffer
      - .offset:         24
        .size:           4
        .value_kind:     by_value
      - .offset:         28
        .size:           4
        .value_kind:     by_value
      - .offset:         32
        .size:           4
        .value_kind:     by_value
      - .offset:         36
        .size:           4
        .value_kind:     by_value
      - .offset:         40
        .size:           4
        .value_kind:     by_value
    .group_segment_fixed_size: 28752
    .kernarg_segment_align: 8
    .kernarg_segment_size: 44
    .language:       OpenCL C
    .language_version:
      - 2
      - 0
    .max_flat_workgroup_size: 256
    .name:           _ZL12mul_mat_q4_KIN3c104HalfELb0EEvPKvS3_PT_iiiii
    .private_segment_fixed_size: 168
    .sgpr_count:     22
    .sgpr_spill_count: 0
    .symbol:         _ZL12mul_mat_q4_KIN3c104HalfELb0EEvPKvS3_PT_iiiii.kd
    .uniform_work_group_size: 1
    .uses_dynamic_stack: false
    .vgpr_count:     512
    .vgpr_spill_count: 41
    .wavefront_size: 32
  - .args:
      - .actual_access:  read_only
        .address_space:  global
        .offset:         0
        .size:           8
        .value_kind:     global_buffer
      - .actual_access:  read_only
        .address_space:  global
        .offset:         8
        .size:           8
        .value_kind:     global_buffer
      - .actual_access:  write_only
        .address_space:  global
        .offset:         16
        .size:           8
        .value_kind:     global_buffer
      - .offset:         24
        .size:           4
        .value_kind:     by_value
      - .offset:         28
        .size:           4
        .value_kind:     by_value
      - .offset:         32
        .size:           4
        .value_kind:     by_value
      - .offset:         36
        .size:           4
        .value_kind:     by_value
      - .offset:         40
        .size:           4
        .value_kind:     by_value
    .group_segment_fixed_size: 28752
    .kernarg_segment_align: 8
    .kernarg_segment_size: 44
    .language:       OpenCL C
    .language_version:
      - 2
      - 0
    .max_flat_workgroup_size: 256
    .name:           _ZL12mul_mat_q4_KIN3c104HalfELb1EEvPKvS3_PT_iiiii
    .private_segment_fixed_size: 232
    .sgpr_count:     22
    .sgpr_spill_count: 0
    .symbol:         _ZL12mul_mat_q4_KIN3c104HalfELb1EEvPKvS3_PT_iiiii.kd
    .uniform_work_group_size: 1
    .uses_dynamic_stack: false
    .vgpr_count:     512
    .vgpr_spill_count: 57
    .wavefront_size: 32
  - .args:
      - .actual_access:  read_only
        .address_space:  global
        .offset:         0
        .size:           8
        .value_kind:     global_buffer
      - .actual_access:  read_only
        .address_space:  global
        .offset:         8
        .size:           8
        .value_kind:     global_buffer
      - .actual_access:  write_only
        .address_space:  global
        .offset:         16
        .size:           8
        .value_kind:     global_buffer
      - .offset:         24
        .size:           4
        .value_kind:     by_value
      - .offset:         28
        .size:           4
        .value_kind:     by_value
      - .offset:         32
        .size:           4
        .value_kind:     by_value
      - .offset:         36
        .size:           4
        .value_kind:     by_value
      - .offset:         40
        .size:           4
        .value_kind:     by_value
    .group_segment_fixed_size: 45136
    .kernarg_segment_align: 8
    .kernarg_segment_size: 44
    .language:       OpenCL C
    .language_version:
      - 2
      - 0
    .max_flat_workgroup_size: 256
    .name:           _ZL12mul_mat_q5_KIN3c104HalfELb0EEvPKvS3_PT_iiiii
    .private_segment_fixed_size: 0
    .sgpr_count:     20
    .sgpr_spill_count: 0
    .symbol:         _ZL12mul_mat_q5_KIN3c104HalfELb0EEvPKvS3_PT_iiiii.kd
    .uniform_work_group_size: 1
    .uses_dynamic_stack: false
    .vgpr_count:     320
    .vgpr_spill_count: 0
    .wavefront_size: 32
  - .args:
      - .actual_access:  read_only
        .address_space:  global
        .offset:         0
        .size:           8
        .value_kind:     global_buffer
      - .actual_access:  read_only
        .address_space:  global
        .offset:         8
        .size:           8
        .value_kind:     global_buffer
      - .actual_access:  write_only
        .address_space:  global
        .offset:         16
        .size:           8
        .value_kind:     global_buffer
      - .offset:         24
        .size:           4
        .value_kind:     by_value
      - .offset:         28
        .size:           4
        .value_kind:     by_value
      - .offset:         32
        .size:           4
        .value_kind:     by_value
      - .offset:         36
        .size:           4
        .value_kind:     by_value
      - .offset:         40
        .size:           4
        .value_kind:     by_value
    .group_segment_fixed_size: 45136
    .kernarg_segment_align: 8
    .kernarg_segment_size: 44
    .language:       OpenCL C
    .language_version:
      - 2
      - 0
    .max_flat_workgroup_size: 256
    .name:           _ZL12mul_mat_q5_KIN3c104HalfELb1EEvPKvS3_PT_iiiii
    .private_segment_fixed_size: 0
    .sgpr_count:     21
    .sgpr_spill_count: 0
    .symbol:         _ZL12mul_mat_q5_KIN3c104HalfELb1EEvPKvS3_PT_iiiii.kd
    .uniform_work_group_size: 1
    .uses_dynamic_stack: false
    .vgpr_count:     320
    .vgpr_spill_count: 0
    .wavefront_size: 32
  - .args:
      - .actual_access:  read_only
        .address_space:  global
        .offset:         0
        .size:           8
        .value_kind:     global_buffer
      - .actual_access:  read_only
        .address_space:  global
        .offset:         8
        .size:           8
        .value_kind:     global_buffer
      - .actual_access:  write_only
        .address_space:  global
        .offset:         16
        .size:           8
        .value_kind:     global_buffer
      - .offset:         24
        .size:           4
        .value_kind:     by_value
      - .offset:         28
        .size:           4
        .value_kind:     by_value
      - .offset:         32
        .size:           4
        .value_kind:     by_value
      - .offset:         36
        .size:           4
        .value_kind:     by_value
      - .offset:         40
        .size:           4
        .value_kind:     by_value
    .group_segment_fixed_size: 45136
    .kernarg_segment_align: 8
    .kernarg_segment_size: 44
    .language:       OpenCL C
    .language_version:
      - 2
      - 0
    .max_flat_workgroup_size: 256
    .name:           _ZL12mul_mat_q6_KIN3c104HalfELb0EEvPKvS3_PT_iiiii
    .private_segment_fixed_size: 0
    .sgpr_count:     20
    .sgpr_spill_count: 0
    .symbol:         _ZL12mul_mat_q6_KIN3c104HalfELb0EEvPKvS3_PT_iiiii.kd
    .uniform_work_group_size: 1
    .uses_dynamic_stack: false
    .vgpr_count:     318
    .vgpr_spill_count: 0
    .wavefront_size: 32
  - .args:
      - .actual_access:  read_only
        .address_space:  global
        .offset:         0
        .size:           8
        .value_kind:     global_buffer
      - .actual_access:  read_only
        .address_space:  global
        .offset:         8
        .size:           8
        .value_kind:     global_buffer
      - .actual_access:  write_only
        .address_space:  global
        .offset:         16
        .size:           8
        .value_kind:     global_buffer
      - .offset:         24
        .size:           4
        .value_kind:     by_value
      - .offset:         28
        .size:           4
        .value_kind:     by_value
      - .offset:         32
        .size:           4
        .value_kind:     by_value
      - .offset:         36
        .size:           4
        .value_kind:     by_value
      - .offset:         40
        .size:           4
        .value_kind:     by_value
    .group_segment_fixed_size: 45136
    .kernarg_segment_align: 8
    .kernarg_segment_size: 44
    .language:       OpenCL C
    .language_version:
      - 2
      - 0
    .max_flat_workgroup_size: 256
    .name:           _ZL12mul_mat_q6_KIN3c104HalfELb1EEvPKvS3_PT_iiiii
    .private_segment_fixed_size: 0
    .sgpr_count:     20
    .sgpr_spill_count: 0
    .symbol:         _ZL12mul_mat_q6_KIN3c104HalfELb1EEvPKvS3_PT_iiiii.kd
    .uniform_work_group_size: 1
    .uses_dynamic_stack: false
    .vgpr_count:     318
    .vgpr_spill_count: 0
    .wavefront_size: 32
  - .args:
      - .actual_access:  read_only
        .address_space:  global
        .offset:         0
        .size:           8
        .value_kind:     global_buffer
      - .actual_access:  read_only
        .address_space:  global
        .offset:         8
        .size:           8
        .value_kind:     global_buffer
      - .actual_access:  write_only
        .address_space:  global
        .offset:         16
        .size:           8
        .value_kind:     global_buffer
      - .offset:         24
        .size:           4
        .value_kind:     by_value
      - .offset:         28
        .size:           4
        .value_kind:     by_value
      - .offset:         32
        .size:           4
        .value_kind:     by_value
      - .offset:         36
        .size:           4
        .value_kind:     by_value
      - .offset:         40
        .size:           4
        .value_kind:     by_value
    .group_segment_fixed_size: 30336
    .kernarg_segment_align: 8
    .kernarg_segment_size: 44
    .language:       OpenCL C
    .language_version:
      - 2
      - 0
    .max_flat_workgroup_size: 256
    .name:           _ZL12mul_mat_q4_0IN3c108BFloat16ELb0EEvPKvS3_PT_iiiii
    .private_segment_fixed_size: 0
    .sgpr_count:     20
    .sgpr_spill_count: 0
    .symbol:         _ZL12mul_mat_q4_0IN3c108BFloat16ELb0EEvPKvS3_PT_iiiii.kd
    .uniform_work_group_size: 1
    .uses_dynamic_stack: false
    .vgpr_count:     438
    .vgpr_spill_count: 0
    .wavefront_size: 32
  - .args:
      - .actual_access:  read_only
        .address_space:  global
        .offset:         0
        .size:           8
        .value_kind:     global_buffer
      - .actual_access:  read_only
        .address_space:  global
        .offset:         8
        .size:           8
        .value_kind:     global_buffer
      - .actual_access:  write_only
        .address_space:  global
        .offset:         16
        .size:           8
        .value_kind:     global_buffer
      - .offset:         24
        .size:           4
        .value_kind:     by_value
      - .offset:         28
        .size:           4
        .value_kind:     by_value
      - .offset:         32
        .size:           4
        .value_kind:     by_value
      - .offset:         36
        .size:           4
        .value_kind:     by_value
      - .offset:         40
        .size:           4
        .value_kind:     by_value
    .group_segment_fixed_size: 30336
    .kernarg_segment_align: 8
    .kernarg_segment_size: 44
    .language:       OpenCL C
    .language_version:
      - 2
      - 0
    .max_flat_workgroup_size: 256
    .name:           _ZL12mul_mat_q4_0IN3c108BFloat16ELb1EEvPKvS3_PT_iiiii
    .private_segment_fixed_size: 0
    .sgpr_count:     19
    .sgpr_spill_count: 0
    .symbol:         _ZL12mul_mat_q4_0IN3c108BFloat16ELb1EEvPKvS3_PT_iiiii.kd
    .uniform_work_group_size: 1
    .uses_dynamic_stack: false
    .vgpr_count:     438
    .vgpr_spill_count: 0
    .wavefront_size: 32
  - .args:
      - .actual_access:  read_only
        .address_space:  global
        .offset:         0
        .size:           8
        .value_kind:     global_buffer
      - .actual_access:  read_only
        .address_space:  global
        .offset:         8
        .size:           8
        .value_kind:     global_buffer
      - .actual_access:  write_only
        .address_space:  global
        .offset:         16
        .size:           8
        .value_kind:     global_buffer
      - .offset:         24
        .size:           4
        .value_kind:     by_value
      - .offset:         28
        .size:           4
        .value_kind:     by_value
      - .offset:         32
        .size:           4
        .value_kind:     by_value
      - .offset:         36
        .size:           4
        .value_kind:     by_value
      - .offset:         40
        .size:           4
        .value_kind:     by_value
    .group_segment_fixed_size: 30336
    .kernarg_segment_align: 8
    .kernarg_segment_size: 44
    .language:       OpenCL C
    .language_version:
      - 2
      - 0
    .max_flat_workgroup_size: 256
    .name:           _ZL12mul_mat_q4_1IN3c108BFloat16ELb0EEvPKvS3_PT_iiiii
    .private_segment_fixed_size: 0
    .sgpr_count:     22
    .sgpr_spill_count: 0
    .symbol:         _ZL12mul_mat_q4_1IN3c108BFloat16ELb0EEvPKvS3_PT_iiiii.kd
    .uniform_work_group_size: 1
    .uses_dynamic_stack: false
    .vgpr_count:     455
    .vgpr_spill_count: 0
    .wavefront_size: 32
  - .args:
      - .actual_access:  read_only
        .address_space:  global
        .offset:         0
        .size:           8
        .value_kind:     global_buffer
      - .actual_access:  read_only
        .address_space:  global
        .offset:         8
        .size:           8
        .value_kind:     global_buffer
      - .actual_access:  write_only
        .address_space:  global
        .offset:         16
        .size:           8
        .value_kind:     global_buffer
      - .offset:         24
        .size:           4
        .value_kind:     by_value
      - .offset:         28
        .size:           4
        .value_kind:     by_value
      - .offset:         32
        .size:           4
        .value_kind:     by_value
      - .offset:         36
        .size:           4
        .value_kind:     by_value
      - .offset:         40
        .size:           4
        .value_kind:     by_value
    .group_segment_fixed_size: 30336
    .kernarg_segment_align: 8
    .kernarg_segment_size: 44
    .language:       OpenCL C
    .language_version:
      - 2
      - 0
    .max_flat_workgroup_size: 256
    .name:           _ZL12mul_mat_q4_1IN3c108BFloat16ELb1EEvPKvS3_PT_iiiii
    .private_segment_fixed_size: 0
    .sgpr_count:     18
    .sgpr_spill_count: 0
    .symbol:         _ZL12mul_mat_q4_1IN3c108BFloat16ELb1EEvPKvS3_PT_iiiii.kd
    .uniform_work_group_size: 1
    .uses_dynamic_stack: false
    .vgpr_count:     455
    .vgpr_spill_count: 0
    .wavefront_size: 32
  - .args:
      - .actual_access:  read_only
        .address_space:  global
        .offset:         0
        .size:           8
        .value_kind:     global_buffer
      - .actual_access:  read_only
        .address_space:  global
        .offset:         8
        .size:           8
        .value_kind:     global_buffer
      - .actual_access:  write_only
        .address_space:  global
        .offset:         16
        .size:           8
        .value_kind:     global_buffer
      - .offset:         24
        .size:           4
        .value_kind:     by_value
      - .offset:         28
        .size:           4
        .value_kind:     by_value
      - .offset:         32
        .size:           4
        .value_kind:     by_value
      - .offset:         36
        .size:           4
        .value_kind:     by_value
      - .offset:         40
        .size:           4
        .value_kind:     by_value
    .group_segment_fixed_size: 46720
    .kernarg_segment_align: 8
    .kernarg_segment_size: 44
    .language:       OpenCL C
    .language_version:
      - 2
      - 0
    .max_flat_workgroup_size: 256
    .name:           _ZL12mul_mat_q5_0IN3c108BFloat16ELb0EEvPKvS3_PT_iiiii
    .private_segment_fixed_size: 0
    .sgpr_count:     22
    .sgpr_spill_count: 0
    .symbol:         _ZL12mul_mat_q5_0IN3c108BFloat16ELb0EEvPKvS3_PT_iiiii.kd
    .uniform_work_group_size: 1
    .uses_dynamic_stack: false
    .vgpr_count:     334
    .vgpr_spill_count: 0
    .wavefront_size: 32
  - .args:
      - .actual_access:  read_only
        .address_space:  global
        .offset:         0
        .size:           8
        .value_kind:     global_buffer
      - .actual_access:  read_only
        .address_space:  global
        .offset:         8
        .size:           8
        .value_kind:     global_buffer
      - .actual_access:  write_only
        .address_space:  global
        .offset:         16
        .size:           8
        .value_kind:     global_buffer
      - .offset:         24
        .size:           4
        .value_kind:     by_value
      - .offset:         28
        .size:           4
        .value_kind:     by_value
      - .offset:         32
        .size:           4
        .value_kind:     by_value
      - .offset:         36
        .size:           4
        .value_kind:     by_value
      - .offset:         40
        .size:           4
        .value_kind:     by_value
    .group_segment_fixed_size: 46720
    .kernarg_segment_align: 8
    .kernarg_segment_size: 44
    .language:       OpenCL C
    .language_version:
      - 2
      - 0
    .max_flat_workgroup_size: 256
    .name:           _ZL12mul_mat_q5_0IN3c108BFloat16ELb1EEvPKvS3_PT_iiiii
    .private_segment_fixed_size: 0
    .sgpr_count:     19
    .sgpr_spill_count: 0
    .symbol:         _ZL12mul_mat_q5_0IN3c108BFloat16ELb1EEvPKvS3_PT_iiiii.kd
    .uniform_work_group_size: 1
    .uses_dynamic_stack: false
    .vgpr_count:     334
    .vgpr_spill_count: 0
    .wavefront_size: 32
  - .args:
      - .actual_access:  read_only
        .address_space:  global
        .offset:         0
        .size:           8
        .value_kind:     global_buffer
      - .actual_access:  read_only
        .address_space:  global
        .offset:         8
        .size:           8
        .value_kind:     global_buffer
      - .actual_access:  write_only
        .address_space:  global
        .offset:         16
        .size:           8
        .value_kind:     global_buffer
      - .offset:         24
        .size:           4
        .value_kind:     by_value
      - .offset:         28
        .size:           4
        .value_kind:     by_value
      - .offset:         32
        .size:           4
        .value_kind:     by_value
      - .offset:         36
        .size:           4
        .value_kind:     by_value
      - .offset:         40
        .size:           4
        .value_kind:     by_value
    .group_segment_fixed_size: 46720
    .kernarg_segment_align: 8
    .kernarg_segment_size: 44
    .language:       OpenCL C
    .language_version:
      - 2
      - 0
    .max_flat_workgroup_size: 256
    .name:           _ZL12mul_mat_q5_1IN3c108BFloat16ELb0EEvPKvS3_PT_iiiii
    .private_segment_fixed_size: 0
    .sgpr_count:     22
    .sgpr_spill_count: 0
    .symbol:         _ZL12mul_mat_q5_1IN3c108BFloat16ELb0EEvPKvS3_PT_iiiii.kd
    .uniform_work_group_size: 1
    .uses_dynamic_stack: false
    .vgpr_count:     339
    .vgpr_spill_count: 0
    .wavefront_size: 32
  - .args:
      - .actual_access:  read_only
        .address_space:  global
        .offset:         0
        .size:           8
        .value_kind:     global_buffer
      - .actual_access:  read_only
        .address_space:  global
        .offset:         8
        .size:           8
        .value_kind:     global_buffer
      - .actual_access:  write_only
        .address_space:  global
        .offset:         16
        .size:           8
        .value_kind:     global_buffer
      - .offset:         24
        .size:           4
        .value_kind:     by_value
      - .offset:         28
        .size:           4
        .value_kind:     by_value
      - .offset:         32
        .size:           4
        .value_kind:     by_value
      - .offset:         36
        .size:           4
        .value_kind:     by_value
      - .offset:         40
        .size:           4
        .value_kind:     by_value
    .group_segment_fixed_size: 46720
    .kernarg_segment_align: 8
    .kernarg_segment_size: 44
    .language:       OpenCL C
    .language_version:
      - 2
      - 0
    .max_flat_workgroup_size: 256
    .name:           _ZL12mul_mat_q5_1IN3c108BFloat16ELb1EEvPKvS3_PT_iiiii
    .private_segment_fixed_size: 0
    .sgpr_count:     19
    .sgpr_spill_count: 0
    .symbol:         _ZL12mul_mat_q5_1IN3c108BFloat16ELb1EEvPKvS3_PT_iiiii.kd
    .uniform_work_group_size: 1
    .uses_dynamic_stack: false
    .vgpr_count:     339
    .vgpr_spill_count: 0
    .wavefront_size: 32
  - .args:
      - .actual_access:  read_only
        .address_space:  global
        .offset:         0
        .size:           8
        .value_kind:     global_buffer
      - .actual_access:  read_only
        .address_space:  global
        .offset:         8
        .size:           8
        .value_kind:     global_buffer
      - .actual_access:  write_only
        .address_space:  global
        .offset:         16
        .size:           8
        .value_kind:     global_buffer
      - .offset:         24
        .size:           4
        .value_kind:     by_value
      - .offset:         28
        .size:           4
        .value_kind:     by_value
      - .offset:         32
        .size:           4
        .value_kind:     by_value
      - .offset:         36
        .size:           4
        .value_kind:     by_value
      - .offset:         40
        .size:           4
        .value_kind:     by_value
    .group_segment_fixed_size: 28224
    .kernarg_segment_align: 8
    .kernarg_segment_size: 44
    .language:       OpenCL C
    .language_version:
      - 2
      - 0
    .max_flat_workgroup_size: 256
    .name:           _ZL12mul_mat_q8_0IN3c108BFloat16ELb0EEvPKvS3_PT_iiiii
    .private_segment_fixed_size: 0
    .sgpr_count:     23
    .sgpr_spill_count: 0
    .symbol:         _ZL12mul_mat_q8_0IN3c108BFloat16ELb0EEvPKvS3_PT_iiiii.kd
    .uniform_work_group_size: 1
    .uses_dynamic_stack: false
    .vgpr_count:     184
    .vgpr_spill_count: 0
    .wavefront_size: 32
  - .args:
      - .actual_access:  read_only
        .address_space:  global
        .offset:         0
        .size:           8
        .value_kind:     global_buffer
      - .actual_access:  read_only
        .address_space:  global
        .offset:         8
        .size:           8
        .value_kind:     global_buffer
      - .actual_access:  write_only
        .address_space:  global
        .offset:         16
        .size:           8
        .value_kind:     global_buffer
      - .offset:         24
        .size:           4
        .value_kind:     by_value
      - .offset:         28
        .size:           4
        .value_kind:     by_value
      - .offset:         32
        .size:           4
        .value_kind:     by_value
      - .offset:         36
        .size:           4
        .value_kind:     by_value
      - .offset:         40
        .size:           4
        .value_kind:     by_value
    .group_segment_fixed_size: 28224
    .kernarg_segment_align: 8
    .kernarg_segment_size: 44
    .language:       OpenCL C
    .language_version:
      - 2
      - 0
    .max_flat_workgroup_size: 256
    .name:           _ZL12mul_mat_q8_0IN3c108BFloat16ELb1EEvPKvS3_PT_iiiii
    .private_segment_fixed_size: 0
    .sgpr_count:     20
    .sgpr_spill_count: 0
    .symbol:         _ZL12mul_mat_q8_0IN3c108BFloat16ELb1EEvPKvS3_PT_iiiii.kd
    .uniform_work_group_size: 1
    .uses_dynamic_stack: false
    .vgpr_count:     184
    .vgpr_spill_count: 0
    .wavefront_size: 32
  - .args:
      - .actual_access:  read_only
        .address_space:  global
        .offset:         0
        .size:           8
        .value_kind:     global_buffer
      - .actual_access:  read_only
        .address_space:  global
        .offset:         8
        .size:           8
        .value_kind:     global_buffer
      - .actual_access:  write_only
        .address_space:  global
        .offset:         16
        .size:           8
        .value_kind:     global_buffer
      - .offset:         24
        .size:           4
        .value_kind:     by_value
      - .offset:         28
        .size:           4
        .value_kind:     by_value
      - .offset:         32
        .size:           4
        .value_kind:     by_value
      - .offset:         36
        .size:           4
        .value_kind:     by_value
      - .offset:         40
        .size:           4
        .value_kind:     by_value
    .group_segment_fixed_size: 31392
    .kernarg_segment_align: 8
    .kernarg_segment_size: 44
    .language:       OpenCL C
    .language_version:
      - 2
      - 0
    .max_flat_workgroup_size: 256
    .name:           _ZL12mul_mat_q2_KIN3c108BFloat16ELb0EEvPKvS3_PT_iiiii
    .private_segment_fixed_size: 440
    .sgpr_count:     24
    .sgpr_spill_count: 0
    .symbol:         _ZL12mul_mat_q2_KIN3c108BFloat16ELb0EEvPKvS3_PT_iiiii.kd
    .uniform_work_group_size: 1
    .uses_dynamic_stack: false
    .vgpr_count:     512
    .vgpr_spill_count: 110
    .wavefront_size: 32
  - .args:
      - .actual_access:  read_only
        .address_space:  global
        .offset:         0
        .size:           8
        .value_kind:     global_buffer
      - .actual_access:  read_only
        .address_space:  global
        .offset:         8
        .size:           8
        .value_kind:     global_buffer
      - .actual_access:  write_only
        .address_space:  global
        .offset:         16
        .size:           8
        .value_kind:     global_buffer
      - .offset:         24
        .size:           4
        .value_kind:     by_value
      - .offset:         28
        .size:           4
        .value_kind:     by_value
      - .offset:         32
        .size:           4
        .value_kind:     by_value
      - .offset:         36
        .size:           4
        .value_kind:     by_value
      - .offset:         40
        .size:           4
        .value_kind:     by_value
    .group_segment_fixed_size: 31392
    .kernarg_segment_align: 8
    .kernarg_segment_size: 44
    .language:       OpenCL C
    .language_version:
      - 2
      - 0
    .max_flat_workgroup_size: 256
    .name:           _ZL12mul_mat_q2_KIN3c108BFloat16ELb1EEvPKvS3_PT_iiiii
    .private_segment_fixed_size: 548
    .sgpr_count:     24
    .sgpr_spill_count: 0
    .symbol:         _ZL12mul_mat_q2_KIN3c108BFloat16ELb1EEvPKvS3_PT_iiiii.kd
    .uniform_work_group_size: 1
    .uses_dynamic_stack: false
    .vgpr_count:     512
    .vgpr_spill_count: 137
    .wavefront_size: 32
  - .args:
      - .actual_access:  read_only
        .address_space:  global
        .offset:         0
        .size:           8
        .value_kind:     global_buffer
      - .actual_access:  read_only
        .address_space:  global
        .offset:         8
        .size:           8
        .value_kind:     global_buffer
      - .actual_access:  write_only
        .address_space:  global
        .offset:         16
        .size:           8
        .value_kind:     global_buffer
      - .offset:         24
        .size:           4
        .value_kind:     by_value
      - .offset:         28
        .size:           4
        .value_kind:     by_value
      - .offset:         32
        .size:           4
        .value_kind:     by_value
      - .offset:         36
        .size:           4
        .value_kind:     by_value
      - .offset:         40
        .size:           4
        .value_kind:     by_value
    .group_segment_fixed_size: 39840
    .kernarg_segment_align: 8
    .kernarg_segment_size: 44
    .language:       OpenCL C
    .language_version:
      - 2
      - 0
    .max_flat_workgroup_size: 256
    .name:           _ZL12mul_mat_q3_KIN3c108BFloat16ELb0EEvPKvS3_PT_iiiii
    .private_segment_fixed_size: 0
    .sgpr_count:     26
    .sgpr_spill_count: 0
    .symbol:         _ZL12mul_mat_q3_KIN3c108BFloat16ELb0EEvPKvS3_PT_iiiii.kd
    .uniform_work_group_size: 1
    .uses_dynamic_stack: false
    .vgpr_count:     307
    .vgpr_spill_count: 0
    .wavefront_size: 32
  - .args:
      - .actual_access:  read_only
        .address_space:  global
        .offset:         0
        .size:           8
        .value_kind:     global_buffer
      - .actual_access:  read_only
        .address_space:  global
        .offset:         8
        .size:           8
        .value_kind:     global_buffer
      - .actual_access:  write_only
        .address_space:  global
        .offset:         16
        .size:           8
        .value_kind:     global_buffer
      - .offset:         24
        .size:           4
        .value_kind:     by_value
      - .offset:         28
        .size:           4
        .value_kind:     by_value
      - .offset:         32
        .size:           4
        .value_kind:     by_value
      - .offset:         36
        .size:           4
        .value_kind:     by_value
      - .offset:         40
        .size:           4
        .value_kind:     by_value
    .group_segment_fixed_size: 39840
    .kernarg_segment_align: 8
    .kernarg_segment_size: 44
    .language:       OpenCL C
    .language_version:
      - 2
      - 0
    .max_flat_workgroup_size: 256
    .name:           _ZL12mul_mat_q3_KIN3c108BFloat16ELb1EEvPKvS3_PT_iiiii
    .private_segment_fixed_size: 0
    .sgpr_count:     26
    .sgpr_spill_count: 0
    .symbol:         _ZL12mul_mat_q3_KIN3c108BFloat16ELb1EEvPKvS3_PT_iiiii.kd
    .uniform_work_group_size: 1
    .uses_dynamic_stack: false
    .vgpr_count:     307
    .vgpr_spill_count: 0
    .wavefront_size: 32
  - .args:
      - .actual_access:  read_only
        .address_space:  global
        .offset:         0
        .size:           8
        .value_kind:     global_buffer
      - .actual_access:  read_only
        .address_space:  global
        .offset:         8
        .size:           8
        .value_kind:     global_buffer
      - .actual_access:  write_only
        .address_space:  global
        .offset:         16
        .size:           8
        .value_kind:     global_buffer
      - .offset:         24
        .size:           4
        .value_kind:     by_value
      - .offset:         28
        .size:           4
        .value_kind:     by_value
      - .offset:         32
        .size:           4
        .value_kind:     by_value
      - .offset:         36
        .size:           4
        .value_kind:     by_value
      - .offset:         40
        .size:           4
        .value_kind:     by_value
    .group_segment_fixed_size: 28752
    .kernarg_segment_align: 8
    .kernarg_segment_size: 44
    .language:       OpenCL C
    .language_version:
      - 2
      - 0
    .max_flat_workgroup_size: 256
    .name:           _ZL12mul_mat_q4_KIN3c108BFloat16ELb0EEvPKvS3_PT_iiiii
    .private_segment_fixed_size: 136
    .sgpr_count:     21
    .sgpr_spill_count: 0
    .symbol:         _ZL12mul_mat_q4_KIN3c108BFloat16ELb0EEvPKvS3_PT_iiiii.kd
    .uniform_work_group_size: 1
    .uses_dynamic_stack: false
    .vgpr_count:     512
    .vgpr_spill_count: 33
    .wavefront_size: 32
  - .args:
      - .actual_access:  read_only
        .address_space:  global
        .offset:         0
        .size:           8
        .value_kind:     global_buffer
      - .actual_access:  read_only
        .address_space:  global
        .offset:         8
        .size:           8
        .value_kind:     global_buffer
      - .actual_access:  write_only
        .address_space:  global
        .offset:         16
        .size:           8
        .value_kind:     global_buffer
      - .offset:         24
        .size:           4
        .value_kind:     by_value
      - .offset:         28
        .size:           4
        .value_kind:     by_value
      - .offset:         32
        .size:           4
        .value_kind:     by_value
      - .offset:         36
        .size:           4
        .value_kind:     by_value
      - .offset:         40
        .size:           4
        .value_kind:     by_value
    .group_segment_fixed_size: 28752
    .kernarg_segment_align: 8
    .kernarg_segment_size: 44
    .language:       OpenCL C
    .language_version:
      - 2
      - 0
    .max_flat_workgroup_size: 256
    .name:           _ZL12mul_mat_q4_KIN3c108BFloat16ELb1EEvPKvS3_PT_iiiii
    .private_segment_fixed_size: 200
    .sgpr_count:     20
    .sgpr_spill_count: 0
    .symbol:         _ZL12mul_mat_q4_KIN3c108BFloat16ELb1EEvPKvS3_PT_iiiii.kd
    .uniform_work_group_size: 1
    .uses_dynamic_stack: false
    .vgpr_count:     512
    .vgpr_spill_count: 49
    .wavefront_size: 32
  - .args:
      - .actual_access:  read_only
        .address_space:  global
        .offset:         0
        .size:           8
        .value_kind:     global_buffer
      - .actual_access:  read_only
        .address_space:  global
        .offset:         8
        .size:           8
        .value_kind:     global_buffer
      - .actual_access:  write_only
        .address_space:  global
        .offset:         16
        .size:           8
        .value_kind:     global_buffer
      - .offset:         24
        .size:           4
        .value_kind:     by_value
      - .offset:         28
        .size:           4
        .value_kind:     by_value
      - .offset:         32
        .size:           4
        .value_kind:     by_value
      - .offset:         36
        .size:           4
        .value_kind:     by_value
      - .offset:         40
        .size:           4
        .value_kind:     by_value
    .group_segment_fixed_size: 45136
    .kernarg_segment_align: 8
    .kernarg_segment_size: 44
    .language:       OpenCL C
    .language_version:
      - 2
      - 0
    .max_flat_workgroup_size: 256
    .name:           _ZL12mul_mat_q5_KIN3c108BFloat16ELb0EEvPKvS3_PT_iiiii
    .private_segment_fixed_size: 0
    .sgpr_count:     20
    .sgpr_spill_count: 0
    .symbol:         _ZL12mul_mat_q5_KIN3c108BFloat16ELb0EEvPKvS3_PT_iiiii.kd
    .uniform_work_group_size: 1
    .uses_dynamic_stack: false
    .vgpr_count:     318
    .vgpr_spill_count: 0
    .wavefront_size: 32
  - .args:
      - .actual_access:  read_only
        .address_space:  global
        .offset:         0
        .size:           8
        .value_kind:     global_buffer
      - .actual_access:  read_only
        .address_space:  global
        .offset:         8
        .size:           8
        .value_kind:     global_buffer
      - .actual_access:  write_only
        .address_space:  global
        .offset:         16
        .size:           8
        .value_kind:     global_buffer
      - .offset:         24
        .size:           4
        .value_kind:     by_value
      - .offset:         28
        .size:           4
        .value_kind:     by_value
      - .offset:         32
        .size:           4
        .value_kind:     by_value
      - .offset:         36
        .size:           4
        .value_kind:     by_value
      - .offset:         40
        .size:           4
        .value_kind:     by_value
    .group_segment_fixed_size: 45136
    .kernarg_segment_align: 8
    .kernarg_segment_size: 44
    .language:       OpenCL C
    .language_version:
      - 2
      - 0
    .max_flat_workgroup_size: 256
    .name:           _ZL12mul_mat_q5_KIN3c108BFloat16ELb1EEvPKvS3_PT_iiiii
    .private_segment_fixed_size: 0
    .sgpr_count:     20
    .sgpr_spill_count: 0
    .symbol:         _ZL12mul_mat_q5_KIN3c108BFloat16ELb1EEvPKvS3_PT_iiiii.kd
    .uniform_work_group_size: 1
    .uses_dynamic_stack: false
    .vgpr_count:     318
    .vgpr_spill_count: 0
    .wavefront_size: 32
  - .args:
      - .actual_access:  read_only
        .address_space:  global
        .offset:         0
        .size:           8
        .value_kind:     global_buffer
      - .actual_access:  read_only
        .address_space:  global
        .offset:         8
        .size:           8
        .value_kind:     global_buffer
      - .actual_access:  write_only
        .address_space:  global
        .offset:         16
        .size:           8
        .value_kind:     global_buffer
      - .offset:         24
        .size:           4
        .value_kind:     by_value
      - .offset:         28
        .size:           4
        .value_kind:     by_value
      - .offset:         32
        .size:           4
        .value_kind:     by_value
      - .offset:         36
        .size:           4
        .value_kind:     by_value
      - .offset:         40
        .size:           4
        .value_kind:     by_value
    .group_segment_fixed_size: 45136
    .kernarg_segment_align: 8
    .kernarg_segment_size: 44
    .language:       OpenCL C
    .language_version:
      - 2
      - 0
    .max_flat_workgroup_size: 256
    .name:           _ZL12mul_mat_q6_KIN3c108BFloat16ELb0EEvPKvS3_PT_iiiii
    .private_segment_fixed_size: 0
    .sgpr_count:     20
    .sgpr_spill_count: 0
    .symbol:         _ZL12mul_mat_q6_KIN3c108BFloat16ELb0EEvPKvS3_PT_iiiii.kd
    .uniform_work_group_size: 1
    .uses_dynamic_stack: false
    .vgpr_count:     316
    .vgpr_spill_count: 0
    .wavefront_size: 32
  - .args:
      - .actual_access:  read_only
        .address_space:  global
        .offset:         0
        .size:           8
        .value_kind:     global_buffer
      - .actual_access:  read_only
        .address_space:  global
        .offset:         8
        .size:           8
        .value_kind:     global_buffer
      - .actual_access:  write_only
        .address_space:  global
        .offset:         16
        .size:           8
        .value_kind:     global_buffer
      - .offset:         24
        .size:           4
        .value_kind:     by_value
      - .offset:         28
        .size:           4
        .value_kind:     by_value
      - .offset:         32
        .size:           4
        .value_kind:     by_value
      - .offset:         36
        .size:           4
        .value_kind:     by_value
      - .offset:         40
        .size:           4
        .value_kind:     by_value
    .group_segment_fixed_size: 45136
    .kernarg_segment_align: 8
    .kernarg_segment_size: 44
    .language:       OpenCL C
    .language_version:
      - 2
      - 0
    .max_flat_workgroup_size: 256
    .name:           _ZL12mul_mat_q6_KIN3c108BFloat16ELb1EEvPKvS3_PT_iiiii
    .private_segment_fixed_size: 0
    .sgpr_count:     20
    .sgpr_spill_count: 0
    .symbol:         _ZL12mul_mat_q6_KIN3c108BFloat16ELb1EEvPKvS3_PT_iiiii.kd
    .uniform_work_group_size: 1
    .uses_dynamic_stack: false
    .vgpr_count:     316
    .vgpr_spill_count: 0
    .wavefront_size: 32
  - .args:
      - .actual_access:  read_only
        .address_space:  global
        .offset:         0
        .size:           8
        .value_kind:     global_buffer
      - .actual_access:  read_only
        .address_space:  global
        .offset:         8
        .size:           8
        .value_kind:     global_buffer
      - .actual_access:  write_only
        .address_space:  global
        .offset:         16
        .size:           8
        .value_kind:     global_buffer
      - .address_space:  global
        .offset:         24
        .size:           8
        .value_kind:     global_buffer
      - .address_space:  global
        .offset:         32
        .size:           8
        .value_kind:     global_buffer
      - .address_space:  global
        .offset:         40
        .size:           8
        .value_kind:     global_buffer
      - .offset:         48
        .size:           4
        .value_kind:     by_value
      - .offset:         52
        .size:           4
        .value_kind:     by_value
      - .offset:         56
        .size:           4
        .value_kind:     by_value
      - .offset:         60
        .size:           4
        .value_kind:     by_value
      - .offset:         64
        .size:           4
        .value_kind:     by_value
      - .offset:         68
        .size:           4
        .value_kind:     by_value
      - .offset:         72
        .size:           4
        .value_kind:     by_value
    .group_segment_fixed_size: 22272
    .kernarg_segment_align: 8
    .kernarg_segment_size: 76
    .language:       OpenCL C
    .language_version:
      - 2
      - 0
    .max_flat_workgroup_size: 256
    .name:           _ZL8moe_q4_0IfLb0EEvPKvS1_PT_PKiS5_S5_iiiiiii
    .private_segment_fixed_size: 0
    .sgpr_count:     24
    .sgpr_spill_count: 0
    .symbol:         _ZL8moe_q4_0IfLb0EEvPKvS1_PT_PKiS5_S5_iiiiiii.kd
    .uniform_work_group_size: 1
    .uses_dynamic_stack: false
    .vgpr_count:     247
    .vgpr_spill_count: 0
    .wavefront_size: 32
  - .args:
      - .actual_access:  read_only
        .address_space:  global
        .offset:         0
        .size:           8
        .value_kind:     global_buffer
      - .actual_access:  read_only
        .address_space:  global
        .offset:         8
        .size:           8
        .value_kind:     global_buffer
      - .actual_access:  write_only
        .address_space:  global
        .offset:         16
        .size:           8
        .value_kind:     global_buffer
      - .address_space:  global
        .offset:         24
        .size:           8
        .value_kind:     global_buffer
      - .address_space:  global
        .offset:         32
        .size:           8
        .value_kind:     global_buffer
      - .address_space:  global
        .offset:         40
        .size:           8
        .value_kind:     global_buffer
      - .offset:         48
        .size:           4
        .value_kind:     by_value
      - .offset:         52
        .size:           4
        .value_kind:     by_value
      - .offset:         56
        .size:           4
        .value_kind:     by_value
      - .offset:         60
        .size:           4
        .value_kind:     by_value
      - .offset:         64
        .size:           4
        .value_kind:     by_value
      - .offset:         68
        .size:           4
        .value_kind:     by_value
      - .offset:         72
        .size:           4
        .value_kind:     by_value
    .group_segment_fixed_size: 22272
    .kernarg_segment_align: 8
    .kernarg_segment_size: 76
    .language:       OpenCL C
    .language_version:
      - 2
      - 0
    .max_flat_workgroup_size: 256
    .name:           _ZL8moe_q4_0IfLb1EEvPKvS1_PT_PKiS5_S5_iiiiiii
    .private_segment_fixed_size: 0
    .sgpr_count:     23
    .sgpr_spill_count: 0
    .symbol:         _ZL8moe_q4_0IfLb1EEvPKvS1_PT_PKiS5_S5_iiiiiii.kd
    .uniform_work_group_size: 1
    .uses_dynamic_stack: false
    .vgpr_count:     247
    .vgpr_spill_count: 0
    .wavefront_size: 32
  - .args:
      - .actual_access:  read_only
        .address_space:  global
        .offset:         0
        .size:           8
        .value_kind:     global_buffer
      - .actual_access:  read_only
        .address_space:  global
        .offset:         8
        .size:           8
        .value_kind:     global_buffer
      - .actual_access:  write_only
        .address_space:  global
        .offset:         16
        .size:           8
        .value_kind:     global_buffer
      - .address_space:  global
        .offset:         24
        .size:           8
        .value_kind:     global_buffer
      - .address_space:  global
        .offset:         32
        .size:           8
        .value_kind:     global_buffer
      - .address_space:  global
        .offset:         40
        .size:           8
        .value_kind:     global_buffer
      - .offset:         48
        .size:           4
        .value_kind:     by_value
      - .offset:         52
        .size:           4
        .value_kind:     by_value
      - .offset:         56
        .size:           4
        .value_kind:     by_value
      - .offset:         60
        .size:           4
        .value_kind:     by_value
      - .offset:         64
        .size:           4
        .value_kind:     by_value
      - .offset:         68
        .size:           4
        .value_kind:     by_value
      - .offset:         72
        .size:           4
        .value_kind:     by_value
    .group_segment_fixed_size: 22272
    .kernarg_segment_align: 8
    .kernarg_segment_size: 76
    .language:       OpenCL C
    .language_version:
      - 2
      - 0
    .max_flat_workgroup_size: 256
    .name:           _ZL8moe_q4_1IfLb0EEvPKvS1_PT_PKiS5_S5_iiiiiii
    .private_segment_fixed_size: 0
    .sgpr_count:     24
    .sgpr_spill_count: 0
    .symbol:         _ZL8moe_q4_1IfLb0EEvPKvS1_PT_PKiS5_S5_iiiiiii.kd
    .uniform_work_group_size: 1
    .uses_dynamic_stack: false
    .vgpr_count:     246
    .vgpr_spill_count: 0
    .wavefront_size: 32
  - .args:
      - .actual_access:  read_only
        .address_space:  global
        .offset:         0
        .size:           8
        .value_kind:     global_buffer
      - .actual_access:  read_only
        .address_space:  global
        .offset:         8
        .size:           8
        .value_kind:     global_buffer
      - .actual_access:  write_only
        .address_space:  global
        .offset:         16
        .size:           8
        .value_kind:     global_buffer
      - .address_space:  global
        .offset:         24
        .size:           8
        .value_kind:     global_buffer
      - .address_space:  global
        .offset:         32
        .size:           8
        .value_kind:     global_buffer
      - .address_space:  global
        .offset:         40
        .size:           8
        .value_kind:     global_buffer
      - .offset:         48
        .size:           4
        .value_kind:     by_value
      - .offset:         52
        .size:           4
        .value_kind:     by_value
      - .offset:         56
        .size:           4
        .value_kind:     by_value
      - .offset:         60
        .size:           4
        .value_kind:     by_value
      - .offset:         64
        .size:           4
        .value_kind:     by_value
      - .offset:         68
        .size:           4
        .value_kind:     by_value
      - .offset:         72
        .size:           4
        .value_kind:     by_value
    .group_segment_fixed_size: 22272
    .kernarg_segment_align: 8
    .kernarg_segment_size: 76
    .language:       OpenCL C
    .language_version:
      - 2
      - 0
    .max_flat_workgroup_size: 256
    .name:           _ZL8moe_q4_1IfLb1EEvPKvS1_PT_PKiS5_S5_iiiiiii
    .private_segment_fixed_size: 0
    .sgpr_count:     23
    .sgpr_spill_count: 0
    .symbol:         _ZL8moe_q4_1IfLb1EEvPKvS1_PT_PKiS5_S5_iiiiiii.kd
    .uniform_work_group_size: 1
    .uses_dynamic_stack: false
    .vgpr_count:     246
    .vgpr_spill_count: 0
    .wavefront_size: 32
  - .args:
      - .actual_access:  read_only
        .address_space:  global
        .offset:         0
        .size:           8
        .value_kind:     global_buffer
      - .actual_access:  read_only
        .address_space:  global
        .offset:         8
        .size:           8
        .value_kind:     global_buffer
      - .actual_access:  write_only
        .address_space:  global
        .offset:         16
        .size:           8
        .value_kind:     global_buffer
      - .address_space:  global
        .offset:         24
        .size:           8
        .value_kind:     global_buffer
      - .address_space:  global
        .offset:         32
        .size:           8
        .value_kind:     global_buffer
      - .address_space:  global
        .offset:         40
        .size:           8
        .value_kind:     global_buffer
      - .offset:         48
        .size:           4
        .value_kind:     by_value
      - .offset:         52
        .size:           4
        .value_kind:     by_value
      - .offset:         56
        .size:           4
        .value_kind:     by_value
      - .offset:         60
        .size:           4
        .value_kind:     by_value
      - .offset:         64
        .size:           4
        .value_kind:     by_value
      - .offset:         68
        .size:           4
        .value_kind:     by_value
      - .offset:         72
        .size:           4
        .value_kind:     by_value
    .group_segment_fixed_size: 38656
    .kernarg_segment_align: 8
    .kernarg_segment_size: 76
    .language:       OpenCL C
    .language_version:
      - 2
      - 0
    .max_flat_workgroup_size: 256
    .name:           _ZL8moe_q5_0IfLb0EEvPKvS1_PT_PKiS5_S5_iiiiiii
    .private_segment_fixed_size: 0
    .sgpr_count:     23
    .sgpr_spill_count: 0
    .symbol:         _ZL8moe_q5_0IfLb0EEvPKvS1_PT_PKiS5_S5_iiiiiii.kd
    .uniform_work_group_size: 1
    .uses_dynamic_stack: false
    .vgpr_count:     159
    .vgpr_spill_count: 0
    .wavefront_size: 32
  - .args:
      - .actual_access:  read_only
        .address_space:  global
        .offset:         0
        .size:           8
        .value_kind:     global_buffer
      - .actual_access:  read_only
        .address_space:  global
        .offset:         8
        .size:           8
        .value_kind:     global_buffer
      - .actual_access:  write_only
        .address_space:  global
        .offset:         16
        .size:           8
        .value_kind:     global_buffer
      - .address_space:  global
        .offset:         24
        .size:           8
        .value_kind:     global_buffer
      - .address_space:  global
        .offset:         32
        .size:           8
        .value_kind:     global_buffer
      - .address_space:  global
        .offset:         40
        .size:           8
        .value_kind:     global_buffer
      - .offset:         48
        .size:           4
        .value_kind:     by_value
      - .offset:         52
        .size:           4
        .value_kind:     by_value
      - .offset:         56
        .size:           4
        .value_kind:     by_value
      - .offset:         60
        .size:           4
        .value_kind:     by_value
      - .offset:         64
        .size:           4
        .value_kind:     by_value
      - .offset:         68
        .size:           4
        .value_kind:     by_value
      - .offset:         72
        .size:           4
        .value_kind:     by_value
    .group_segment_fixed_size: 38656
    .kernarg_segment_align: 8
    .kernarg_segment_size: 76
    .language:       OpenCL C
    .language_version:
      - 2
      - 0
    .max_flat_workgroup_size: 256
    .name:           _ZL8moe_q5_0IfLb1EEvPKvS1_PT_PKiS5_S5_iiiiiii
    .private_segment_fixed_size: 0
    .sgpr_count:     23
    .sgpr_spill_count: 0
    .symbol:         _ZL8moe_q5_0IfLb1EEvPKvS1_PT_PKiS5_S5_iiiiiii.kd
    .uniform_work_group_size: 1
    .uses_dynamic_stack: false
    .vgpr_count:     158
    .vgpr_spill_count: 0
    .wavefront_size: 32
  - .args:
      - .actual_access:  read_only
        .address_space:  global
        .offset:         0
        .size:           8
        .value_kind:     global_buffer
      - .actual_access:  read_only
        .address_space:  global
        .offset:         8
        .size:           8
        .value_kind:     global_buffer
      - .actual_access:  write_only
        .address_space:  global
        .offset:         16
        .size:           8
        .value_kind:     global_buffer
      - .address_space:  global
        .offset:         24
        .size:           8
        .value_kind:     global_buffer
      - .address_space:  global
        .offset:         32
        .size:           8
        .value_kind:     global_buffer
      - .address_space:  global
        .offset:         40
        .size:           8
        .value_kind:     global_buffer
      - .offset:         48
        .size:           4
        .value_kind:     by_value
      - .offset:         52
        .size:           4
        .value_kind:     by_value
      - .offset:         56
        .size:           4
        .value_kind:     by_value
      - .offset:         60
        .size:           4
        .value_kind:     by_value
      - .offset:         64
        .size:           4
        .value_kind:     by_value
      - .offset:         68
        .size:           4
        .value_kind:     by_value
      - .offset:         72
        .size:           4
        .value_kind:     by_value
    .group_segment_fixed_size: 38656
    .kernarg_segment_align: 8
    .kernarg_segment_size: 76
    .language:       OpenCL C
    .language_version:
      - 2
      - 0
    .max_flat_workgroup_size: 256
    .name:           _ZL8moe_q5_1IfLb0EEvPKvS1_PT_PKiS5_S5_iiiiiii
    .private_segment_fixed_size: 0
    .sgpr_count:     23
    .sgpr_spill_count: 0
    .symbol:         _ZL8moe_q5_1IfLb0EEvPKvS1_PT_PKiS5_S5_iiiiiii.kd
    .uniform_work_group_size: 1
    .uses_dynamic_stack: false
    .vgpr_count:     159
    .vgpr_spill_count: 0
    .wavefront_size: 32
  - .args:
      - .actual_access:  read_only
        .address_space:  global
        .offset:         0
        .size:           8
        .value_kind:     global_buffer
      - .actual_access:  read_only
        .address_space:  global
        .offset:         8
        .size:           8
        .value_kind:     global_buffer
      - .actual_access:  write_only
        .address_space:  global
        .offset:         16
        .size:           8
        .value_kind:     global_buffer
      - .address_space:  global
        .offset:         24
        .size:           8
        .value_kind:     global_buffer
      - .address_space:  global
        .offset:         32
        .size:           8
        .value_kind:     global_buffer
      - .address_space:  global
        .offset:         40
        .size:           8
        .value_kind:     global_buffer
      - .offset:         48
        .size:           4
        .value_kind:     by_value
      - .offset:         52
        .size:           4
        .value_kind:     by_value
      - .offset:         56
        .size:           4
        .value_kind:     by_value
      - .offset:         60
        .size:           4
        .value_kind:     by_value
      - .offset:         64
        .size:           4
        .value_kind:     by_value
      - .offset:         68
        .size:           4
        .value_kind:     by_value
      - .offset:         72
        .size:           4
        .value_kind:     by_value
    .group_segment_fixed_size: 38656
    .kernarg_segment_align: 8
    .kernarg_segment_size: 76
    .language:       OpenCL C
    .language_version:
      - 2
      - 0
    .max_flat_workgroup_size: 256
    .name:           _ZL8moe_q5_1IfLb1EEvPKvS1_PT_PKiS5_S5_iiiiiii
    .private_segment_fixed_size: 0
    .sgpr_count:     23
    .sgpr_spill_count: 0
    .symbol:         _ZL8moe_q5_1IfLb1EEvPKvS1_PT_PKiS5_S5_iiiiiii.kd
    .uniform_work_group_size: 1
    .uses_dynamic_stack: false
    .vgpr_count:     157
    .vgpr_spill_count: 0
    .wavefront_size: 32
  - .args:
      - .actual_access:  read_only
        .address_space:  global
        .offset:         0
        .size:           8
        .value_kind:     global_buffer
      - .actual_access:  read_only
        .address_space:  global
        .offset:         8
        .size:           8
        .value_kind:     global_buffer
      - .actual_access:  write_only
        .address_space:  global
        .offset:         16
        .size:           8
        .value_kind:     global_buffer
      - .address_space:  global
        .offset:         24
        .size:           8
        .value_kind:     global_buffer
      - .address_space:  global
        .offset:         32
        .size:           8
        .value_kind:     global_buffer
      - .address_space:  global
        .offset:         40
        .size:           8
        .value_kind:     global_buffer
      - .offset:         48
        .size:           4
        .value_kind:     by_value
      - .offset:         52
        .size:           4
        .value_kind:     by_value
      - .offset:         56
        .size:           4
        .value_kind:     by_value
      - .offset:         60
        .size:           4
        .value_kind:     by_value
      - .offset:         64
        .size:           4
        .value_kind:     by_value
      - .offset:         68
        .size:           4
        .value_kind:     by_value
      - .offset:         72
        .size:           4
        .value_kind:     by_value
    .group_segment_fixed_size: 20160
    .kernarg_segment_align: 8
    .kernarg_segment_size: 76
    .language:       OpenCL C
    .language_version:
      - 2
      - 0
    .max_flat_workgroup_size: 256
    .name:           _ZL8moe_q8_0IfLb0EEvPKvS1_PT_PKiS5_S5_iiiiiii
    .private_segment_fixed_size: 0
    .sgpr_count:     24
    .sgpr_spill_count: 0
    .symbol:         _ZL8moe_q8_0IfLb0EEvPKvS1_PT_PKiS5_S5_iiiiiii.kd
    .uniform_work_group_size: 1
    .uses_dynamic_stack: false
    .vgpr_count:     111
    .vgpr_spill_count: 0
    .wavefront_size: 32
  - .args:
      - .actual_access:  read_only
        .address_space:  global
        .offset:         0
        .size:           8
        .value_kind:     global_buffer
      - .actual_access:  read_only
        .address_space:  global
        .offset:         8
        .size:           8
        .value_kind:     global_buffer
      - .actual_access:  write_only
        .address_space:  global
        .offset:         16
        .size:           8
        .value_kind:     global_buffer
      - .address_space:  global
        .offset:         24
        .size:           8
        .value_kind:     global_buffer
      - .address_space:  global
        .offset:         32
        .size:           8
        .value_kind:     global_buffer
      - .address_space:  global
        .offset:         40
        .size:           8
        .value_kind:     global_buffer
      - .offset:         48
        .size:           4
        .value_kind:     by_value
      - .offset:         52
        .size:           4
        .value_kind:     by_value
      - .offset:         56
        .size:           4
        .value_kind:     by_value
      - .offset:         60
        .size:           4
        .value_kind:     by_value
      - .offset:         64
        .size:           4
        .value_kind:     by_value
      - .offset:         68
        .size:           4
        .value_kind:     by_value
      - .offset:         72
        .size:           4
        .value_kind:     by_value
    .group_segment_fixed_size: 20160
    .kernarg_segment_align: 8
    .kernarg_segment_size: 76
    .language:       OpenCL C
    .language_version:
      - 2
      - 0
    .max_flat_workgroup_size: 256
    .name:           _ZL8moe_q8_0IfLb1EEvPKvS1_PT_PKiS5_S5_iiiiiii
    .private_segment_fixed_size: 0
    .sgpr_count:     22
    .sgpr_spill_count: 0
    .symbol:         _ZL8moe_q8_0IfLb1EEvPKvS1_PT_PKiS5_S5_iiiiiii.kd
    .uniform_work_group_size: 1
    .uses_dynamic_stack: false
    .vgpr_count:     126
    .vgpr_spill_count: 0
    .wavefront_size: 32
  - .args:
      - .actual_access:  read_only
        .address_space:  global
        .offset:         0
        .size:           8
        .value_kind:     global_buffer
      - .actual_access:  read_only
        .address_space:  global
        .offset:         8
        .size:           8
        .value_kind:     global_buffer
      - .actual_access:  write_only
        .address_space:  global
        .offset:         16
        .size:           8
        .value_kind:     global_buffer
      - .address_space:  global
        .offset:         24
        .size:           8
        .value_kind:     global_buffer
      - .address_space:  global
        .offset:         32
        .size:           8
        .value_kind:     global_buffer
      - .address_space:  global
        .offset:         40
        .size:           8
        .value_kind:     global_buffer
      - .offset:         48
        .size:           4
        .value_kind:     by_value
      - .offset:         52
        .size:           4
        .value_kind:     by_value
      - .offset:         56
        .size:           4
        .value_kind:     by_value
      - .offset:         60
        .size:           4
        .value_kind:     by_value
      - .offset:         64
        .size:           4
        .value_kind:     by_value
      - .offset:         68
        .size:           4
        .value_kind:     by_value
      - .offset:         72
        .size:           4
        .value_kind:     by_value
    .group_segment_fixed_size: 23328
    .kernarg_segment_align: 8
    .kernarg_segment_size: 76
    .language:       OpenCL C
    .language_version:
      - 2
      - 0
    .max_flat_workgroup_size: 256
    .name:           _ZL8moe_q2_KIfLb0EEvPKvS1_PT_PKiS5_S5_iiiiiii
    .private_segment_fixed_size: 0
    .sgpr_count:     26
    .sgpr_spill_count: 0
    .symbol:         _ZL8moe_q2_KIfLb0EEvPKvS1_PT_PKiS5_S5_iiiiiii.kd
    .uniform_work_group_size: 1
    .uses_dynamic_stack: false
    .vgpr_count:     249
    .vgpr_spill_count: 0
    .wavefront_size: 32
  - .args:
      - .actual_access:  read_only
        .address_space:  global
        .offset:         0
        .size:           8
        .value_kind:     global_buffer
      - .actual_access:  read_only
        .address_space:  global
        .offset:         8
        .size:           8
        .value_kind:     global_buffer
      - .actual_access:  write_only
        .address_space:  global
        .offset:         16
        .size:           8
        .value_kind:     global_buffer
      - .address_space:  global
        .offset:         24
        .size:           8
        .value_kind:     global_buffer
      - .address_space:  global
        .offset:         32
        .size:           8
        .value_kind:     global_buffer
      - .address_space:  global
        .offset:         40
        .size:           8
        .value_kind:     global_buffer
      - .offset:         48
        .size:           4
        .value_kind:     by_value
      - .offset:         52
        .size:           4
        .value_kind:     by_value
      - .offset:         56
        .size:           4
        .value_kind:     by_value
      - .offset:         60
        .size:           4
        .value_kind:     by_value
      - .offset:         64
        .size:           4
        .value_kind:     by_value
      - .offset:         68
        .size:           4
        .value_kind:     by_value
      - .offset:         72
        .size:           4
        .value_kind:     by_value
    .group_segment_fixed_size: 23328
    .kernarg_segment_align: 8
    .kernarg_segment_size: 76
    .language:       OpenCL C
    .language_version:
      - 2
      - 0
    .max_flat_workgroup_size: 256
    .name:           _ZL8moe_q2_KIfLb1EEvPKvS1_PT_PKiS5_S5_iiiiiii
    .private_segment_fixed_size: 0
    .sgpr_count:     26
    .sgpr_spill_count: 0
    .symbol:         _ZL8moe_q2_KIfLb1EEvPKvS1_PT_PKiS5_S5_iiiiiii.kd
    .uniform_work_group_size: 1
    .uses_dynamic_stack: false
    .vgpr_count:     249
    .vgpr_spill_count: 0
    .wavefront_size: 32
  - .args:
      - .actual_access:  read_only
        .address_space:  global
        .offset:         0
        .size:           8
        .value_kind:     global_buffer
      - .actual_access:  read_only
        .address_space:  global
        .offset:         8
        .size:           8
        .value_kind:     global_buffer
      - .actual_access:  write_only
        .address_space:  global
        .offset:         16
        .size:           8
        .value_kind:     global_buffer
      - .address_space:  global
        .offset:         24
        .size:           8
        .value_kind:     global_buffer
      - .address_space:  global
        .offset:         32
        .size:           8
        .value_kind:     global_buffer
      - .address_space:  global
        .offset:         40
        .size:           8
        .value_kind:     global_buffer
      - .offset:         48
        .size:           4
        .value_kind:     by_value
      - .offset:         52
        .size:           4
        .value_kind:     by_value
      - .offset:         56
        .size:           4
        .value_kind:     by_value
      - .offset:         60
        .size:           4
        .value_kind:     by_value
      - .offset:         64
        .size:           4
        .value_kind:     by_value
      - .offset:         68
        .size:           4
        .value_kind:     by_value
      - .offset:         72
        .size:           4
        .value_kind:     by_value
    .group_segment_fixed_size: 31776
    .kernarg_segment_align: 8
    .kernarg_segment_size: 76
    .language:       OpenCL C
    .language_version:
      - 2
      - 0
    .max_flat_workgroup_size: 256
    .name:           _ZL8moe_q3_KIfLb0EEvPKvS1_PT_PKiS5_S5_iiiiiii
    .private_segment_fixed_size: 0
    .sgpr_count:     29
    .sgpr_spill_count: 0
    .symbol:         _ZL8moe_q3_KIfLb0EEvPKvS1_PT_PKiS5_S5_iiiiiii.kd
    .uniform_work_group_size: 1
    .uses_dynamic_stack: false
    .vgpr_count:     326
    .vgpr_spill_count: 0
    .wavefront_size: 32
  - .args:
      - .actual_access:  read_only
        .address_space:  global
        .offset:         0
        .size:           8
        .value_kind:     global_buffer
      - .actual_access:  read_only
        .address_space:  global
        .offset:         8
        .size:           8
        .value_kind:     global_buffer
      - .actual_access:  write_only
        .address_space:  global
        .offset:         16
        .size:           8
        .value_kind:     global_buffer
      - .address_space:  global
        .offset:         24
        .size:           8
        .value_kind:     global_buffer
      - .address_space:  global
        .offset:         32
        .size:           8
        .value_kind:     global_buffer
      - .address_space:  global
        .offset:         40
        .size:           8
        .value_kind:     global_buffer
      - .offset:         48
        .size:           4
        .value_kind:     by_value
      - .offset:         52
        .size:           4
        .value_kind:     by_value
      - .offset:         56
        .size:           4
        .value_kind:     by_value
      - .offset:         60
        .size:           4
        .value_kind:     by_value
      - .offset:         64
        .size:           4
        .value_kind:     by_value
      - .offset:         68
        .size:           4
        .value_kind:     by_value
      - .offset:         72
        .size:           4
        .value_kind:     by_value
    .group_segment_fixed_size: 31776
    .kernarg_segment_align: 8
    .kernarg_segment_size: 76
    .language:       OpenCL C
    .language_version:
      - 2
      - 0
    .max_flat_workgroup_size: 256
    .name:           _ZL8moe_q3_KIfLb1EEvPKvS1_PT_PKiS5_S5_iiiiiii
    .private_segment_fixed_size: 0
    .sgpr_count:     29
    .sgpr_spill_count: 0
    .symbol:         _ZL8moe_q3_KIfLb1EEvPKvS1_PT_PKiS5_S5_iiiiiii.kd
    .uniform_work_group_size: 1
    .uses_dynamic_stack: false
    .vgpr_count:     326
    .vgpr_spill_count: 0
    .wavefront_size: 32
  - .args:
      - .actual_access:  read_only
        .address_space:  global
        .offset:         0
        .size:           8
        .value_kind:     global_buffer
      - .actual_access:  read_only
        .address_space:  global
        .offset:         8
        .size:           8
        .value_kind:     global_buffer
      - .actual_access:  write_only
        .address_space:  global
        .offset:         16
        .size:           8
        .value_kind:     global_buffer
      - .address_space:  global
        .offset:         24
        .size:           8
        .value_kind:     global_buffer
      - .address_space:  global
        .offset:         32
        .size:           8
        .value_kind:     global_buffer
      - .address_space:  global
        .offset:         40
        .size:           8
        .value_kind:     global_buffer
      - .offset:         48
        .size:           4
        .value_kind:     by_value
      - .offset:         52
        .size:           4
        .value_kind:     by_value
      - .offset:         56
        .size:           4
        .value_kind:     by_value
      - .offset:         60
        .size:           4
        .value_kind:     by_value
      - .offset:         64
        .size:           4
        .value_kind:     by_value
      - .offset:         68
        .size:           4
        .value_kind:     by_value
      - .offset:         72
        .size:           4
        .value_kind:     by_value
    .group_segment_fixed_size: 20688
    .kernarg_segment_align: 8
    .kernarg_segment_size: 76
    .language:       OpenCL C
    .language_version:
      - 2
      - 0
    .max_flat_workgroup_size: 256
    .name:           _ZL8moe_q4_KIfLb0EEvPKvS1_PT_PKiS5_S5_iiiiiii
    .private_segment_fixed_size: 0
    .sgpr_count:     26
    .sgpr_spill_count: 0
    .symbol:         _ZL8moe_q4_KIfLb0EEvPKvS1_PT_PKiS5_S5_iiiiiii.kd
    .uniform_work_group_size: 1
    .uses_dynamic_stack: false
    .vgpr_count:     299
    .vgpr_spill_count: 0
    .wavefront_size: 32
  - .args:
      - .actual_access:  read_only
        .address_space:  global
        .offset:         0
        .size:           8
        .value_kind:     global_buffer
      - .actual_access:  read_only
        .address_space:  global
        .offset:         8
        .size:           8
        .value_kind:     global_buffer
      - .actual_access:  write_only
        .address_space:  global
        .offset:         16
        .size:           8
        .value_kind:     global_buffer
      - .address_space:  global
        .offset:         24
        .size:           8
        .value_kind:     global_buffer
      - .address_space:  global
        .offset:         32
        .size:           8
        .value_kind:     global_buffer
      - .address_space:  global
        .offset:         40
        .size:           8
        .value_kind:     global_buffer
      - .offset:         48
        .size:           4
        .value_kind:     by_value
      - .offset:         52
        .size:           4
        .value_kind:     by_value
      - .offset:         56
        .size:           4
        .value_kind:     by_value
      - .offset:         60
        .size:           4
        .value_kind:     by_value
      - .offset:         64
        .size:           4
        .value_kind:     by_value
      - .offset:         68
        .size:           4
        .value_kind:     by_value
      - .offset:         72
        .size:           4
        .value_kind:     by_value
    .group_segment_fixed_size: 20688
    .kernarg_segment_align: 8
    .kernarg_segment_size: 76
    .language:       OpenCL C
    .language_version:
      - 2
      - 0
    .max_flat_workgroup_size: 256
    .name:           _ZL8moe_q4_KIfLb1EEvPKvS1_PT_PKiS5_S5_iiiiiii
    .private_segment_fixed_size: 0
    .sgpr_count:     26
    .sgpr_spill_count: 0
    .symbol:         _ZL8moe_q4_KIfLb1EEvPKvS1_PT_PKiS5_S5_iiiiiii.kd
    .uniform_work_group_size: 1
    .uses_dynamic_stack: false
    .vgpr_count:     299
    .vgpr_spill_count: 0
    .wavefront_size: 32
  - .args:
      - .actual_access:  read_only
        .address_space:  global
        .offset:         0
        .size:           8
        .value_kind:     global_buffer
      - .actual_access:  read_only
        .address_space:  global
        .offset:         8
        .size:           8
        .value_kind:     global_buffer
      - .actual_access:  write_only
        .address_space:  global
        .offset:         16
        .size:           8
        .value_kind:     global_buffer
      - .address_space:  global
        .offset:         24
        .size:           8
        .value_kind:     global_buffer
      - .address_space:  global
        .offset:         32
        .size:           8
        .value_kind:     global_buffer
      - .address_space:  global
        .offset:         40
        .size:           8
        .value_kind:     global_buffer
      - .offset:         48
        .size:           4
        .value_kind:     by_value
      - .offset:         52
        .size:           4
        .value_kind:     by_value
      - .offset:         56
        .size:           4
        .value_kind:     by_value
      - .offset:         60
        .size:           4
        .value_kind:     by_value
      - .offset:         64
        .size:           4
        .value_kind:     by_value
      - .offset:         68
        .size:           4
        .value_kind:     by_value
      - .offset:         72
        .size:           4
        .value_kind:     by_value
    .group_segment_fixed_size: 37072
    .kernarg_segment_align: 8
    .kernarg_segment_size: 76
    .language:       OpenCL C
    .language_version:
      - 2
      - 0
    .max_flat_workgroup_size: 256
    .name:           _ZL8moe_q5_KIfLb0EEvPKvS1_PT_PKiS5_S5_iiiiiii
    .private_segment_fixed_size: 0
    .sgpr_count:     25
    .sgpr_spill_count: 0
    .symbol:         _ZL8moe_q5_KIfLb0EEvPKvS1_PT_PKiS5_S5_iiiiiii.kd
    .uniform_work_group_size: 1
    .uses_dynamic_stack: false
    .vgpr_count:     237
    .vgpr_spill_count: 0
    .wavefront_size: 32
  - .args:
      - .actual_access:  read_only
        .address_space:  global
        .offset:         0
        .size:           8
        .value_kind:     global_buffer
      - .actual_access:  read_only
        .address_space:  global
        .offset:         8
        .size:           8
        .value_kind:     global_buffer
      - .actual_access:  write_only
        .address_space:  global
        .offset:         16
        .size:           8
        .value_kind:     global_buffer
      - .address_space:  global
        .offset:         24
        .size:           8
        .value_kind:     global_buffer
      - .address_space:  global
        .offset:         32
        .size:           8
        .value_kind:     global_buffer
      - .address_space:  global
        .offset:         40
        .size:           8
        .value_kind:     global_buffer
      - .offset:         48
        .size:           4
        .value_kind:     by_value
      - .offset:         52
        .size:           4
        .value_kind:     by_value
      - .offset:         56
        .size:           4
        .value_kind:     by_value
      - .offset:         60
        .size:           4
        .value_kind:     by_value
      - .offset:         64
        .size:           4
        .value_kind:     by_value
      - .offset:         68
        .size:           4
        .value_kind:     by_value
      - .offset:         72
        .size:           4
        .value_kind:     by_value
    .group_segment_fixed_size: 37072
    .kernarg_segment_align: 8
    .kernarg_segment_size: 76
    .language:       OpenCL C
    .language_version:
      - 2
      - 0
    .max_flat_workgroup_size: 256
    .name:           _ZL8moe_q5_KIfLb1EEvPKvS1_PT_PKiS5_S5_iiiiiii
    .private_segment_fixed_size: 0
    .sgpr_count:     25
    .sgpr_spill_count: 0
    .symbol:         _ZL8moe_q5_KIfLb1EEvPKvS1_PT_PKiS5_S5_iiiiiii.kd
    .uniform_work_group_size: 1
    .uses_dynamic_stack: false
    .vgpr_count:     237
    .vgpr_spill_count: 0
    .wavefront_size: 32
  - .args:
      - .actual_access:  read_only
        .address_space:  global
        .offset:         0
        .size:           8
        .value_kind:     global_buffer
      - .actual_access:  read_only
        .address_space:  global
        .offset:         8
        .size:           8
        .value_kind:     global_buffer
      - .actual_access:  write_only
        .address_space:  global
        .offset:         16
        .size:           8
        .value_kind:     global_buffer
      - .address_space:  global
        .offset:         24
        .size:           8
        .value_kind:     global_buffer
      - .address_space:  global
        .offset:         32
        .size:           8
        .value_kind:     global_buffer
      - .address_space:  global
        .offset:         40
        .size:           8
        .value_kind:     global_buffer
      - .offset:         48
        .size:           4
        .value_kind:     by_value
      - .offset:         52
        .size:           4
        .value_kind:     by_value
      - .offset:         56
        .size:           4
        .value_kind:     by_value
      - .offset:         60
        .size:           4
        .value_kind:     by_value
      - .offset:         64
        .size:           4
        .value_kind:     by_value
      - .offset:         68
        .size:           4
        .value_kind:     by_value
      - .offset:         72
        .size:           4
        .value_kind:     by_value
    .group_segment_fixed_size: 37072
    .kernarg_segment_align: 8
    .kernarg_segment_size: 76
    .language:       OpenCL C
    .language_version:
      - 2
      - 0
    .max_flat_workgroup_size: 256
    .name:           _ZL8moe_q6_KIfLb0EEvPKvS1_PT_PKiS5_S5_iiiiiii
    .private_segment_fixed_size: 0
    .sgpr_count:     26
    .sgpr_spill_count: 0
    .symbol:         _ZL8moe_q6_KIfLb0EEvPKvS1_PT_PKiS5_S5_iiiiiii.kd
    .uniform_work_group_size: 1
    .uses_dynamic_stack: false
    .vgpr_count:     235
    .vgpr_spill_count: 0
    .wavefront_size: 32
  - .args:
      - .actual_access:  read_only
        .address_space:  global
        .offset:         0
        .size:           8
        .value_kind:     global_buffer
      - .actual_access:  read_only
        .address_space:  global
        .offset:         8
        .size:           8
        .value_kind:     global_buffer
      - .actual_access:  write_only
        .address_space:  global
        .offset:         16
        .size:           8
        .value_kind:     global_buffer
      - .address_space:  global
        .offset:         24
        .size:           8
        .value_kind:     global_buffer
      - .address_space:  global
        .offset:         32
        .size:           8
        .value_kind:     global_buffer
      - .address_space:  global
        .offset:         40
        .size:           8
        .value_kind:     global_buffer
      - .offset:         48
        .size:           4
        .value_kind:     by_value
      - .offset:         52
        .size:           4
        .value_kind:     by_value
      - .offset:         56
        .size:           4
        .value_kind:     by_value
      - .offset:         60
        .size:           4
        .value_kind:     by_value
      - .offset:         64
        .size:           4
        .value_kind:     by_value
      - .offset:         68
        .size:           4
        .value_kind:     by_value
      - .offset:         72
        .size:           4
        .value_kind:     by_value
    .group_segment_fixed_size: 37072
    .kernarg_segment_align: 8
    .kernarg_segment_size: 76
    .language:       OpenCL C
    .language_version:
      - 2
      - 0
    .max_flat_workgroup_size: 256
    .name:           _ZL8moe_q6_KIfLb1EEvPKvS1_PT_PKiS5_S5_iiiiiii
    .private_segment_fixed_size: 0
    .sgpr_count:     26
    .sgpr_spill_count: 0
    .symbol:         _ZL8moe_q6_KIfLb1EEvPKvS1_PT_PKiS5_S5_iiiiiii.kd
    .uniform_work_group_size: 1
    .uses_dynamic_stack: false
    .vgpr_count:     235
    .vgpr_spill_count: 0
    .wavefront_size: 32
  - .args:
      - .actual_access:  read_only
        .address_space:  global
        .offset:         0
        .size:           8
        .value_kind:     global_buffer
      - .actual_access:  read_only
        .address_space:  global
        .offset:         8
        .size:           8
        .value_kind:     global_buffer
      - .actual_access:  write_only
        .address_space:  global
        .offset:         16
        .size:           8
        .value_kind:     global_buffer
      - .address_space:  global
        .offset:         24
        .size:           8
        .value_kind:     global_buffer
      - .address_space:  global
        .offset:         32
        .size:           8
        .value_kind:     global_buffer
      - .address_space:  global
        .offset:         40
        .size:           8
        .value_kind:     global_buffer
      - .offset:         48
        .size:           4
        .value_kind:     by_value
      - .offset:         52
        .size:           4
        .value_kind:     by_value
      - .offset:         56
        .size:           4
        .value_kind:     by_value
      - .offset:         60
        .size:           4
        .value_kind:     by_value
      - .offset:         64
        .size:           4
        .value_kind:     by_value
      - .offset:         68
        .size:           4
        .value_kind:     by_value
      - .offset:         72
        .size:           4
        .value_kind:     by_value
    .group_segment_fixed_size: 22272
    .kernarg_segment_align: 8
    .kernarg_segment_size: 76
    .language:       OpenCL C
    .language_version:
      - 2
      - 0
    .max_flat_workgroup_size: 256
    .name:           _ZL8moe_q4_0IN3c104HalfELb0EEvPKvS3_PT_PKiS7_S7_iiiiiii
    .private_segment_fixed_size: 0
    .sgpr_count:     24
    .sgpr_spill_count: 0
    .symbol:         _ZL8moe_q4_0IN3c104HalfELb0EEvPKvS3_PT_PKiS7_S7_iiiiiii.kd
    .uniform_work_group_size: 1
    .uses_dynamic_stack: false
    .vgpr_count:     247
    .vgpr_spill_count: 0
    .wavefront_size: 32
  - .args:
      - .actual_access:  read_only
        .address_space:  global
        .offset:         0
        .size:           8
        .value_kind:     global_buffer
      - .actual_access:  read_only
        .address_space:  global
        .offset:         8
        .size:           8
        .value_kind:     global_buffer
      - .actual_access:  write_only
        .address_space:  global
        .offset:         16
        .size:           8
        .value_kind:     global_buffer
      - .address_space:  global
        .offset:         24
        .size:           8
        .value_kind:     global_buffer
      - .address_space:  global
        .offset:         32
        .size:           8
        .value_kind:     global_buffer
      - .address_space:  global
        .offset:         40
        .size:           8
        .value_kind:     global_buffer
      - .offset:         48
        .size:           4
        .value_kind:     by_value
      - .offset:         52
        .size:           4
        .value_kind:     by_value
      - .offset:         56
        .size:           4
        .value_kind:     by_value
      - .offset:         60
        .size:           4
        .value_kind:     by_value
      - .offset:         64
        .size:           4
        .value_kind:     by_value
      - .offset:         68
        .size:           4
        .value_kind:     by_value
      - .offset:         72
        .size:           4
        .value_kind:     by_value
    .group_segment_fixed_size: 22272
    .kernarg_segment_align: 8
    .kernarg_segment_size: 76
    .language:       OpenCL C
    .language_version:
      - 2
      - 0
    .max_flat_workgroup_size: 256
    .name:           _ZL8moe_q4_0IN3c104HalfELb1EEvPKvS3_PT_PKiS7_S7_iiiiiii
    .private_segment_fixed_size: 0
    .sgpr_count:     23
    .sgpr_spill_count: 0
    .symbol:         _ZL8moe_q4_0IN3c104HalfELb1EEvPKvS3_PT_PKiS7_S7_iiiiiii.kd
    .uniform_work_group_size: 1
    .uses_dynamic_stack: false
    .vgpr_count:     247
    .vgpr_spill_count: 0
    .wavefront_size: 32
  - .args:
      - .actual_access:  read_only
        .address_space:  global
        .offset:         0
        .size:           8
        .value_kind:     global_buffer
      - .actual_access:  read_only
        .address_space:  global
        .offset:         8
        .size:           8
        .value_kind:     global_buffer
      - .actual_access:  write_only
        .address_space:  global
        .offset:         16
        .size:           8
        .value_kind:     global_buffer
      - .address_space:  global
        .offset:         24
        .size:           8
        .value_kind:     global_buffer
      - .address_space:  global
        .offset:         32
        .size:           8
        .value_kind:     global_buffer
      - .address_space:  global
        .offset:         40
        .size:           8
        .value_kind:     global_buffer
      - .offset:         48
        .size:           4
        .value_kind:     by_value
      - .offset:         52
        .size:           4
        .value_kind:     by_value
      - .offset:         56
        .size:           4
        .value_kind:     by_value
      - .offset:         60
        .size:           4
        .value_kind:     by_value
      - .offset:         64
        .size:           4
        .value_kind:     by_value
      - .offset:         68
        .size:           4
        .value_kind:     by_value
      - .offset:         72
        .size:           4
        .value_kind:     by_value
    .group_segment_fixed_size: 22272
    .kernarg_segment_align: 8
    .kernarg_segment_size: 76
    .language:       OpenCL C
    .language_version:
      - 2
      - 0
    .max_flat_workgroup_size: 256
    .name:           _ZL8moe_q4_1IN3c104HalfELb0EEvPKvS3_PT_PKiS7_S7_iiiiiii
    .private_segment_fixed_size: 0
    .sgpr_count:     24
    .sgpr_spill_count: 0
    .symbol:         _ZL8moe_q4_1IN3c104HalfELb0EEvPKvS3_PT_PKiS7_S7_iiiiiii.kd
    .uniform_work_group_size: 1
    .uses_dynamic_stack: false
    .vgpr_count:     246
    .vgpr_spill_count: 0
    .wavefront_size: 32
  - .args:
      - .actual_access:  read_only
        .address_space:  global
        .offset:         0
        .size:           8
        .value_kind:     global_buffer
      - .actual_access:  read_only
        .address_space:  global
        .offset:         8
        .size:           8
        .value_kind:     global_buffer
      - .actual_access:  write_only
        .address_space:  global
        .offset:         16
        .size:           8
        .value_kind:     global_buffer
      - .address_space:  global
        .offset:         24
        .size:           8
        .value_kind:     global_buffer
      - .address_space:  global
        .offset:         32
        .size:           8
        .value_kind:     global_buffer
      - .address_space:  global
        .offset:         40
        .size:           8
        .value_kind:     global_buffer
      - .offset:         48
        .size:           4
        .value_kind:     by_value
      - .offset:         52
        .size:           4
        .value_kind:     by_value
      - .offset:         56
        .size:           4
        .value_kind:     by_value
      - .offset:         60
        .size:           4
        .value_kind:     by_value
      - .offset:         64
        .size:           4
        .value_kind:     by_value
      - .offset:         68
        .size:           4
        .value_kind:     by_value
      - .offset:         72
        .size:           4
        .value_kind:     by_value
    .group_segment_fixed_size: 22272
    .kernarg_segment_align: 8
    .kernarg_segment_size: 76
    .language:       OpenCL C
    .language_version:
      - 2
      - 0
    .max_flat_workgroup_size: 256
    .name:           _ZL8moe_q4_1IN3c104HalfELb1EEvPKvS3_PT_PKiS7_S7_iiiiiii
    .private_segment_fixed_size: 0
    .sgpr_count:     23
    .sgpr_spill_count: 0
    .symbol:         _ZL8moe_q4_1IN3c104HalfELb1EEvPKvS3_PT_PKiS7_S7_iiiiiii.kd
    .uniform_work_group_size: 1
    .uses_dynamic_stack: false
    .vgpr_count:     246
    .vgpr_spill_count: 0
    .wavefront_size: 32
  - .args:
      - .actual_access:  read_only
        .address_space:  global
        .offset:         0
        .size:           8
        .value_kind:     global_buffer
      - .actual_access:  read_only
        .address_space:  global
        .offset:         8
        .size:           8
        .value_kind:     global_buffer
      - .actual_access:  write_only
        .address_space:  global
        .offset:         16
        .size:           8
        .value_kind:     global_buffer
      - .address_space:  global
        .offset:         24
        .size:           8
        .value_kind:     global_buffer
      - .address_space:  global
        .offset:         32
        .size:           8
        .value_kind:     global_buffer
      - .address_space:  global
        .offset:         40
        .size:           8
        .value_kind:     global_buffer
      - .offset:         48
        .size:           4
        .value_kind:     by_value
      - .offset:         52
        .size:           4
        .value_kind:     by_value
      - .offset:         56
        .size:           4
        .value_kind:     by_value
      - .offset:         60
        .size:           4
        .value_kind:     by_value
      - .offset:         64
        .size:           4
        .value_kind:     by_value
      - .offset:         68
        .size:           4
        .value_kind:     by_value
      - .offset:         72
        .size:           4
        .value_kind:     by_value
    .group_segment_fixed_size: 38656
    .kernarg_segment_align: 8
    .kernarg_segment_size: 76
    .language:       OpenCL C
    .language_version:
      - 2
      - 0
    .max_flat_workgroup_size: 256
    .name:           _ZL8moe_q5_0IN3c104HalfELb0EEvPKvS3_PT_PKiS7_S7_iiiiiii
    .private_segment_fixed_size: 0
    .sgpr_count:     23
    .sgpr_spill_count: 0
    .symbol:         _ZL8moe_q5_0IN3c104HalfELb0EEvPKvS3_PT_PKiS7_S7_iiiiiii.kd
    .uniform_work_group_size: 1
    .uses_dynamic_stack: false
    .vgpr_count:     159
    .vgpr_spill_count: 0
    .wavefront_size: 32
  - .args:
      - .actual_access:  read_only
        .address_space:  global
        .offset:         0
        .size:           8
        .value_kind:     global_buffer
      - .actual_access:  read_only
        .address_space:  global
        .offset:         8
        .size:           8
        .value_kind:     global_buffer
      - .actual_access:  write_only
        .address_space:  global
        .offset:         16
        .size:           8
        .value_kind:     global_buffer
      - .address_space:  global
        .offset:         24
        .size:           8
        .value_kind:     global_buffer
      - .address_space:  global
        .offset:         32
        .size:           8
        .value_kind:     global_buffer
      - .address_space:  global
        .offset:         40
        .size:           8
        .value_kind:     global_buffer
      - .offset:         48
        .size:           4
        .value_kind:     by_value
      - .offset:         52
        .size:           4
        .value_kind:     by_value
      - .offset:         56
        .size:           4
        .value_kind:     by_value
      - .offset:         60
        .size:           4
        .value_kind:     by_value
      - .offset:         64
        .size:           4
        .value_kind:     by_value
      - .offset:         68
        .size:           4
        .value_kind:     by_value
      - .offset:         72
        .size:           4
        .value_kind:     by_value
    .group_segment_fixed_size: 38656
    .kernarg_segment_align: 8
    .kernarg_segment_size: 76
    .language:       OpenCL C
    .language_version:
      - 2
      - 0
    .max_flat_workgroup_size: 256
    .name:           _ZL8moe_q5_0IN3c104HalfELb1EEvPKvS3_PT_PKiS7_S7_iiiiiii
    .private_segment_fixed_size: 0
    .sgpr_count:     23
    .sgpr_spill_count: 0
    .symbol:         _ZL8moe_q5_0IN3c104HalfELb1EEvPKvS3_PT_PKiS7_S7_iiiiiii.kd
    .uniform_work_group_size: 1
    .uses_dynamic_stack: false
    .vgpr_count:     158
    .vgpr_spill_count: 0
    .wavefront_size: 32
  - .args:
      - .actual_access:  read_only
        .address_space:  global
        .offset:         0
        .size:           8
        .value_kind:     global_buffer
      - .actual_access:  read_only
        .address_space:  global
        .offset:         8
        .size:           8
        .value_kind:     global_buffer
      - .actual_access:  write_only
        .address_space:  global
        .offset:         16
        .size:           8
        .value_kind:     global_buffer
      - .address_space:  global
        .offset:         24
        .size:           8
        .value_kind:     global_buffer
      - .address_space:  global
        .offset:         32
        .size:           8
        .value_kind:     global_buffer
      - .address_space:  global
        .offset:         40
        .size:           8
        .value_kind:     global_buffer
      - .offset:         48
        .size:           4
        .value_kind:     by_value
      - .offset:         52
        .size:           4
        .value_kind:     by_value
      - .offset:         56
        .size:           4
        .value_kind:     by_value
      - .offset:         60
        .size:           4
        .value_kind:     by_value
      - .offset:         64
        .size:           4
        .value_kind:     by_value
      - .offset:         68
        .size:           4
        .value_kind:     by_value
      - .offset:         72
        .size:           4
        .value_kind:     by_value
    .group_segment_fixed_size: 38656
    .kernarg_segment_align: 8
    .kernarg_segment_size: 76
    .language:       OpenCL C
    .language_version:
      - 2
      - 0
    .max_flat_workgroup_size: 256
    .name:           _ZL8moe_q5_1IN3c104HalfELb0EEvPKvS3_PT_PKiS7_S7_iiiiiii
    .private_segment_fixed_size: 0
    .sgpr_count:     23
    .sgpr_spill_count: 0
    .symbol:         _ZL8moe_q5_1IN3c104HalfELb0EEvPKvS3_PT_PKiS7_S7_iiiiiii.kd
    .uniform_work_group_size: 1
    .uses_dynamic_stack: false
    .vgpr_count:     159
    .vgpr_spill_count: 0
    .wavefront_size: 32
  - .args:
      - .actual_access:  read_only
        .address_space:  global
        .offset:         0
        .size:           8
        .value_kind:     global_buffer
      - .actual_access:  read_only
        .address_space:  global
        .offset:         8
        .size:           8
        .value_kind:     global_buffer
      - .actual_access:  write_only
        .address_space:  global
        .offset:         16
        .size:           8
        .value_kind:     global_buffer
      - .address_space:  global
        .offset:         24
        .size:           8
        .value_kind:     global_buffer
      - .address_space:  global
        .offset:         32
        .size:           8
        .value_kind:     global_buffer
      - .address_space:  global
        .offset:         40
        .size:           8
        .value_kind:     global_buffer
      - .offset:         48
        .size:           4
        .value_kind:     by_value
      - .offset:         52
        .size:           4
        .value_kind:     by_value
      - .offset:         56
        .size:           4
        .value_kind:     by_value
      - .offset:         60
        .size:           4
        .value_kind:     by_value
      - .offset:         64
        .size:           4
        .value_kind:     by_value
      - .offset:         68
        .size:           4
        .value_kind:     by_value
      - .offset:         72
        .size:           4
        .value_kind:     by_value
    .group_segment_fixed_size: 38656
    .kernarg_segment_align: 8
    .kernarg_segment_size: 76
    .language:       OpenCL C
    .language_version:
      - 2
      - 0
    .max_flat_workgroup_size: 256
    .name:           _ZL8moe_q5_1IN3c104HalfELb1EEvPKvS3_PT_PKiS7_S7_iiiiiii
    .private_segment_fixed_size: 0
    .sgpr_count:     23
    .sgpr_spill_count: 0
    .symbol:         _ZL8moe_q5_1IN3c104HalfELb1EEvPKvS3_PT_PKiS7_S7_iiiiiii.kd
    .uniform_work_group_size: 1
    .uses_dynamic_stack: false
    .vgpr_count:     157
    .vgpr_spill_count: 0
    .wavefront_size: 32
  - .args:
      - .actual_access:  read_only
        .address_space:  global
        .offset:         0
        .size:           8
        .value_kind:     global_buffer
      - .actual_access:  read_only
        .address_space:  global
        .offset:         8
        .size:           8
        .value_kind:     global_buffer
      - .actual_access:  write_only
        .address_space:  global
        .offset:         16
        .size:           8
        .value_kind:     global_buffer
      - .address_space:  global
        .offset:         24
        .size:           8
        .value_kind:     global_buffer
      - .address_space:  global
        .offset:         32
        .size:           8
        .value_kind:     global_buffer
      - .address_space:  global
        .offset:         40
        .size:           8
        .value_kind:     global_buffer
      - .offset:         48
        .size:           4
        .value_kind:     by_value
      - .offset:         52
        .size:           4
        .value_kind:     by_value
      - .offset:         56
        .size:           4
        .value_kind:     by_value
      - .offset:         60
        .size:           4
        .value_kind:     by_value
      - .offset:         64
        .size:           4
        .value_kind:     by_value
      - .offset:         68
        .size:           4
        .value_kind:     by_value
      - .offset:         72
        .size:           4
        .value_kind:     by_value
    .group_segment_fixed_size: 20160
    .kernarg_segment_align: 8
    .kernarg_segment_size: 76
    .language:       OpenCL C
    .language_version:
      - 2
      - 0
    .max_flat_workgroup_size: 256
    .name:           _ZL8moe_q8_0IN3c104HalfELb0EEvPKvS3_PT_PKiS7_S7_iiiiiii
    .private_segment_fixed_size: 0
    .sgpr_count:     24
    .sgpr_spill_count: 0
    .symbol:         _ZL8moe_q8_0IN3c104HalfELb0EEvPKvS3_PT_PKiS7_S7_iiiiiii.kd
    .uniform_work_group_size: 1
    .uses_dynamic_stack: false
    .vgpr_count:     111
    .vgpr_spill_count: 0
    .wavefront_size: 32
  - .args:
      - .actual_access:  read_only
        .address_space:  global
        .offset:         0
        .size:           8
        .value_kind:     global_buffer
      - .actual_access:  read_only
        .address_space:  global
        .offset:         8
        .size:           8
        .value_kind:     global_buffer
      - .actual_access:  write_only
        .address_space:  global
        .offset:         16
        .size:           8
        .value_kind:     global_buffer
      - .address_space:  global
        .offset:         24
        .size:           8
        .value_kind:     global_buffer
      - .address_space:  global
        .offset:         32
        .size:           8
        .value_kind:     global_buffer
      - .address_space:  global
        .offset:         40
        .size:           8
        .value_kind:     global_buffer
      - .offset:         48
        .size:           4
        .value_kind:     by_value
      - .offset:         52
        .size:           4
        .value_kind:     by_value
      - .offset:         56
        .size:           4
        .value_kind:     by_value
      - .offset:         60
        .size:           4
        .value_kind:     by_value
      - .offset:         64
        .size:           4
        .value_kind:     by_value
      - .offset:         68
        .size:           4
        .value_kind:     by_value
      - .offset:         72
        .size:           4
        .value_kind:     by_value
    .group_segment_fixed_size: 20160
    .kernarg_segment_align: 8
    .kernarg_segment_size: 76
    .language:       OpenCL C
    .language_version:
      - 2
      - 0
    .max_flat_workgroup_size: 256
    .name:           _ZL8moe_q8_0IN3c104HalfELb1EEvPKvS3_PT_PKiS7_S7_iiiiiii
    .private_segment_fixed_size: 0
    .sgpr_count:     22
    .sgpr_spill_count: 0
    .symbol:         _ZL8moe_q8_0IN3c104HalfELb1EEvPKvS3_PT_PKiS7_S7_iiiiiii.kd
    .uniform_work_group_size: 1
    .uses_dynamic_stack: false
    .vgpr_count:     126
    .vgpr_spill_count: 0
    .wavefront_size: 32
  - .args:
      - .actual_access:  read_only
        .address_space:  global
        .offset:         0
        .size:           8
        .value_kind:     global_buffer
      - .actual_access:  read_only
        .address_space:  global
        .offset:         8
        .size:           8
        .value_kind:     global_buffer
      - .actual_access:  write_only
        .address_space:  global
        .offset:         16
        .size:           8
        .value_kind:     global_buffer
      - .address_space:  global
        .offset:         24
        .size:           8
        .value_kind:     global_buffer
      - .address_space:  global
        .offset:         32
        .size:           8
        .value_kind:     global_buffer
      - .address_space:  global
        .offset:         40
        .size:           8
        .value_kind:     global_buffer
      - .offset:         48
        .size:           4
        .value_kind:     by_value
      - .offset:         52
        .size:           4
        .value_kind:     by_value
      - .offset:         56
        .size:           4
        .value_kind:     by_value
      - .offset:         60
        .size:           4
        .value_kind:     by_value
      - .offset:         64
        .size:           4
        .value_kind:     by_value
      - .offset:         68
        .size:           4
        .value_kind:     by_value
      - .offset:         72
        .size:           4
        .value_kind:     by_value
    .group_segment_fixed_size: 23328
    .kernarg_segment_align: 8
    .kernarg_segment_size: 76
    .language:       OpenCL C
    .language_version:
      - 2
      - 0
    .max_flat_workgroup_size: 256
    .name:           _ZL8moe_q2_KIN3c104HalfELb0EEvPKvS3_PT_PKiS7_S7_iiiiiii
    .private_segment_fixed_size: 0
    .sgpr_count:     26
    .sgpr_spill_count: 0
    .symbol:         _ZL8moe_q2_KIN3c104HalfELb0EEvPKvS3_PT_PKiS7_S7_iiiiiii.kd
    .uniform_work_group_size: 1
    .uses_dynamic_stack: false
    .vgpr_count:     249
    .vgpr_spill_count: 0
    .wavefront_size: 32
  - .args:
      - .actual_access:  read_only
        .address_space:  global
        .offset:         0
        .size:           8
        .value_kind:     global_buffer
      - .actual_access:  read_only
        .address_space:  global
        .offset:         8
        .size:           8
        .value_kind:     global_buffer
      - .actual_access:  write_only
        .address_space:  global
        .offset:         16
        .size:           8
        .value_kind:     global_buffer
      - .address_space:  global
        .offset:         24
        .size:           8
        .value_kind:     global_buffer
      - .address_space:  global
        .offset:         32
        .size:           8
        .value_kind:     global_buffer
      - .address_space:  global
        .offset:         40
        .size:           8
        .value_kind:     global_buffer
      - .offset:         48
        .size:           4
        .value_kind:     by_value
      - .offset:         52
        .size:           4
        .value_kind:     by_value
      - .offset:         56
        .size:           4
        .value_kind:     by_value
      - .offset:         60
        .size:           4
        .value_kind:     by_value
      - .offset:         64
        .size:           4
        .value_kind:     by_value
      - .offset:         68
        .size:           4
        .value_kind:     by_value
      - .offset:         72
        .size:           4
        .value_kind:     by_value
    .group_segment_fixed_size: 23328
    .kernarg_segment_align: 8
    .kernarg_segment_size: 76
    .language:       OpenCL C
    .language_version:
      - 2
      - 0
    .max_flat_workgroup_size: 256
    .name:           _ZL8moe_q2_KIN3c104HalfELb1EEvPKvS3_PT_PKiS7_S7_iiiiiii
    .private_segment_fixed_size: 0
    .sgpr_count:     26
    .sgpr_spill_count: 0
    .symbol:         _ZL8moe_q2_KIN3c104HalfELb1EEvPKvS3_PT_PKiS7_S7_iiiiiii.kd
    .uniform_work_group_size: 1
    .uses_dynamic_stack: false
    .vgpr_count:     249
    .vgpr_spill_count: 0
    .wavefront_size: 32
  - .args:
      - .actual_access:  read_only
        .address_space:  global
        .offset:         0
        .size:           8
        .value_kind:     global_buffer
      - .actual_access:  read_only
        .address_space:  global
        .offset:         8
        .size:           8
        .value_kind:     global_buffer
      - .actual_access:  write_only
        .address_space:  global
        .offset:         16
        .size:           8
        .value_kind:     global_buffer
      - .address_space:  global
        .offset:         24
        .size:           8
        .value_kind:     global_buffer
      - .address_space:  global
        .offset:         32
        .size:           8
        .value_kind:     global_buffer
      - .address_space:  global
        .offset:         40
        .size:           8
        .value_kind:     global_buffer
      - .offset:         48
        .size:           4
        .value_kind:     by_value
      - .offset:         52
        .size:           4
        .value_kind:     by_value
      - .offset:         56
        .size:           4
        .value_kind:     by_value
      - .offset:         60
        .size:           4
        .value_kind:     by_value
      - .offset:         64
        .size:           4
        .value_kind:     by_value
      - .offset:         68
        .size:           4
        .value_kind:     by_value
      - .offset:         72
        .size:           4
        .value_kind:     by_value
    .group_segment_fixed_size: 31776
    .kernarg_segment_align: 8
    .kernarg_segment_size: 76
    .language:       OpenCL C
    .language_version:
      - 2
      - 0
    .max_flat_workgroup_size: 256
    .name:           _ZL8moe_q3_KIN3c104HalfELb0EEvPKvS3_PT_PKiS7_S7_iiiiiii
    .private_segment_fixed_size: 0
    .sgpr_count:     29
    .sgpr_spill_count: 0
    .symbol:         _ZL8moe_q3_KIN3c104HalfELb0EEvPKvS3_PT_PKiS7_S7_iiiiiii.kd
    .uniform_work_group_size: 1
    .uses_dynamic_stack: false
    .vgpr_count:     326
    .vgpr_spill_count: 0
    .wavefront_size: 32
  - .args:
      - .actual_access:  read_only
        .address_space:  global
        .offset:         0
        .size:           8
        .value_kind:     global_buffer
      - .actual_access:  read_only
        .address_space:  global
        .offset:         8
        .size:           8
        .value_kind:     global_buffer
      - .actual_access:  write_only
        .address_space:  global
        .offset:         16
        .size:           8
        .value_kind:     global_buffer
      - .address_space:  global
        .offset:         24
        .size:           8
        .value_kind:     global_buffer
      - .address_space:  global
        .offset:         32
        .size:           8
        .value_kind:     global_buffer
      - .address_space:  global
        .offset:         40
        .size:           8
        .value_kind:     global_buffer
      - .offset:         48
        .size:           4
        .value_kind:     by_value
      - .offset:         52
        .size:           4
        .value_kind:     by_value
      - .offset:         56
        .size:           4
        .value_kind:     by_value
      - .offset:         60
        .size:           4
        .value_kind:     by_value
      - .offset:         64
        .size:           4
        .value_kind:     by_value
      - .offset:         68
        .size:           4
        .value_kind:     by_value
      - .offset:         72
        .size:           4
        .value_kind:     by_value
    .group_segment_fixed_size: 31776
    .kernarg_segment_align: 8
    .kernarg_segment_size: 76
    .language:       OpenCL C
    .language_version:
      - 2
      - 0
    .max_flat_workgroup_size: 256
    .name:           _ZL8moe_q3_KIN3c104HalfELb1EEvPKvS3_PT_PKiS7_S7_iiiiiii
    .private_segment_fixed_size: 0
    .sgpr_count:     29
    .sgpr_spill_count: 0
    .symbol:         _ZL8moe_q3_KIN3c104HalfELb1EEvPKvS3_PT_PKiS7_S7_iiiiiii.kd
    .uniform_work_group_size: 1
    .uses_dynamic_stack: false
    .vgpr_count:     326
    .vgpr_spill_count: 0
    .wavefront_size: 32
  - .args:
      - .actual_access:  read_only
        .address_space:  global
        .offset:         0
        .size:           8
        .value_kind:     global_buffer
      - .actual_access:  read_only
        .address_space:  global
        .offset:         8
        .size:           8
        .value_kind:     global_buffer
      - .actual_access:  write_only
        .address_space:  global
        .offset:         16
        .size:           8
        .value_kind:     global_buffer
      - .address_space:  global
        .offset:         24
        .size:           8
        .value_kind:     global_buffer
      - .address_space:  global
        .offset:         32
        .size:           8
        .value_kind:     global_buffer
      - .address_space:  global
        .offset:         40
        .size:           8
        .value_kind:     global_buffer
      - .offset:         48
        .size:           4
        .value_kind:     by_value
      - .offset:         52
        .size:           4
        .value_kind:     by_value
      - .offset:         56
        .size:           4
        .value_kind:     by_value
      - .offset:         60
        .size:           4
        .value_kind:     by_value
      - .offset:         64
        .size:           4
        .value_kind:     by_value
      - .offset:         68
        .size:           4
        .value_kind:     by_value
      - .offset:         72
        .size:           4
        .value_kind:     by_value
    .group_segment_fixed_size: 20688
    .kernarg_segment_align: 8
    .kernarg_segment_size: 76
    .language:       OpenCL C
    .language_version:
      - 2
      - 0
    .max_flat_workgroup_size: 256
    .name:           _ZL8moe_q4_KIN3c104HalfELb0EEvPKvS3_PT_PKiS7_S7_iiiiiii
    .private_segment_fixed_size: 0
    .sgpr_count:     26
    .sgpr_spill_count: 0
    .symbol:         _ZL8moe_q4_KIN3c104HalfELb0EEvPKvS3_PT_PKiS7_S7_iiiiiii.kd
    .uniform_work_group_size: 1
    .uses_dynamic_stack: false
    .vgpr_count:     299
    .vgpr_spill_count: 0
    .wavefront_size: 32
  - .args:
      - .actual_access:  read_only
        .address_space:  global
        .offset:         0
        .size:           8
        .value_kind:     global_buffer
      - .actual_access:  read_only
        .address_space:  global
        .offset:         8
        .size:           8
        .value_kind:     global_buffer
      - .actual_access:  write_only
        .address_space:  global
        .offset:         16
        .size:           8
        .value_kind:     global_buffer
      - .address_space:  global
        .offset:         24
        .size:           8
        .value_kind:     global_buffer
      - .address_space:  global
        .offset:         32
        .size:           8
        .value_kind:     global_buffer
      - .address_space:  global
        .offset:         40
        .size:           8
        .value_kind:     global_buffer
      - .offset:         48
        .size:           4
        .value_kind:     by_value
      - .offset:         52
        .size:           4
        .value_kind:     by_value
      - .offset:         56
        .size:           4
        .value_kind:     by_value
      - .offset:         60
        .size:           4
        .value_kind:     by_value
      - .offset:         64
        .size:           4
        .value_kind:     by_value
      - .offset:         68
        .size:           4
        .value_kind:     by_value
      - .offset:         72
        .size:           4
        .value_kind:     by_value
    .group_segment_fixed_size: 20688
    .kernarg_segment_align: 8
    .kernarg_segment_size: 76
    .language:       OpenCL C
    .language_version:
      - 2
      - 0
    .max_flat_workgroup_size: 256
    .name:           _ZL8moe_q4_KIN3c104HalfELb1EEvPKvS3_PT_PKiS7_S7_iiiiiii
    .private_segment_fixed_size: 0
    .sgpr_count:     26
    .sgpr_spill_count: 0
    .symbol:         _ZL8moe_q4_KIN3c104HalfELb1EEvPKvS3_PT_PKiS7_S7_iiiiiii.kd
    .uniform_work_group_size: 1
    .uses_dynamic_stack: false
    .vgpr_count:     299
    .vgpr_spill_count: 0
    .wavefront_size: 32
  - .args:
      - .actual_access:  read_only
        .address_space:  global
        .offset:         0
        .size:           8
        .value_kind:     global_buffer
      - .actual_access:  read_only
        .address_space:  global
        .offset:         8
        .size:           8
        .value_kind:     global_buffer
      - .actual_access:  write_only
        .address_space:  global
        .offset:         16
        .size:           8
        .value_kind:     global_buffer
      - .address_space:  global
        .offset:         24
        .size:           8
        .value_kind:     global_buffer
      - .address_space:  global
        .offset:         32
        .size:           8
        .value_kind:     global_buffer
      - .address_space:  global
        .offset:         40
        .size:           8
        .value_kind:     global_buffer
      - .offset:         48
        .size:           4
        .value_kind:     by_value
      - .offset:         52
        .size:           4
        .value_kind:     by_value
      - .offset:         56
        .size:           4
        .value_kind:     by_value
      - .offset:         60
        .size:           4
        .value_kind:     by_value
      - .offset:         64
        .size:           4
        .value_kind:     by_value
      - .offset:         68
        .size:           4
        .value_kind:     by_value
      - .offset:         72
        .size:           4
        .value_kind:     by_value
    .group_segment_fixed_size: 37072
    .kernarg_segment_align: 8
    .kernarg_segment_size: 76
    .language:       OpenCL C
    .language_version:
      - 2
      - 0
    .max_flat_workgroup_size: 256
    .name:           _ZL8moe_q5_KIN3c104HalfELb0EEvPKvS3_PT_PKiS7_S7_iiiiiii
    .private_segment_fixed_size: 0
    .sgpr_count:     25
    .sgpr_spill_count: 0
    .symbol:         _ZL8moe_q5_KIN3c104HalfELb0EEvPKvS3_PT_PKiS7_S7_iiiiiii.kd
    .uniform_work_group_size: 1
    .uses_dynamic_stack: false
    .vgpr_count:     237
    .vgpr_spill_count: 0
    .wavefront_size: 32
  - .args:
      - .actual_access:  read_only
        .address_space:  global
        .offset:         0
        .size:           8
        .value_kind:     global_buffer
      - .actual_access:  read_only
        .address_space:  global
        .offset:         8
        .size:           8
        .value_kind:     global_buffer
      - .actual_access:  write_only
        .address_space:  global
        .offset:         16
        .size:           8
        .value_kind:     global_buffer
      - .address_space:  global
        .offset:         24
        .size:           8
        .value_kind:     global_buffer
      - .address_space:  global
        .offset:         32
        .size:           8
        .value_kind:     global_buffer
      - .address_space:  global
        .offset:         40
        .size:           8
        .value_kind:     global_buffer
      - .offset:         48
        .size:           4
        .value_kind:     by_value
      - .offset:         52
        .size:           4
        .value_kind:     by_value
      - .offset:         56
        .size:           4
        .value_kind:     by_value
      - .offset:         60
        .size:           4
        .value_kind:     by_value
      - .offset:         64
        .size:           4
        .value_kind:     by_value
      - .offset:         68
        .size:           4
        .value_kind:     by_value
      - .offset:         72
        .size:           4
        .value_kind:     by_value
    .group_segment_fixed_size: 37072
    .kernarg_segment_align: 8
    .kernarg_segment_size: 76
    .language:       OpenCL C
    .language_version:
      - 2
      - 0
    .max_flat_workgroup_size: 256
    .name:           _ZL8moe_q5_KIN3c104HalfELb1EEvPKvS3_PT_PKiS7_S7_iiiiiii
    .private_segment_fixed_size: 0
    .sgpr_count:     25
    .sgpr_spill_count: 0
    .symbol:         _ZL8moe_q5_KIN3c104HalfELb1EEvPKvS3_PT_PKiS7_S7_iiiiiii.kd
    .uniform_work_group_size: 1
    .uses_dynamic_stack: false
    .vgpr_count:     237
    .vgpr_spill_count: 0
    .wavefront_size: 32
  - .args:
      - .actual_access:  read_only
        .address_space:  global
        .offset:         0
        .size:           8
        .value_kind:     global_buffer
      - .actual_access:  read_only
        .address_space:  global
        .offset:         8
        .size:           8
        .value_kind:     global_buffer
      - .actual_access:  write_only
        .address_space:  global
        .offset:         16
        .size:           8
        .value_kind:     global_buffer
      - .address_space:  global
        .offset:         24
        .size:           8
        .value_kind:     global_buffer
      - .address_space:  global
        .offset:         32
        .size:           8
        .value_kind:     global_buffer
      - .address_space:  global
        .offset:         40
        .size:           8
        .value_kind:     global_buffer
      - .offset:         48
        .size:           4
        .value_kind:     by_value
      - .offset:         52
        .size:           4
        .value_kind:     by_value
      - .offset:         56
        .size:           4
        .value_kind:     by_value
      - .offset:         60
        .size:           4
        .value_kind:     by_value
      - .offset:         64
        .size:           4
        .value_kind:     by_value
      - .offset:         68
        .size:           4
        .value_kind:     by_value
      - .offset:         72
        .size:           4
        .value_kind:     by_value
    .group_segment_fixed_size: 37072
    .kernarg_segment_align: 8
    .kernarg_segment_size: 76
    .language:       OpenCL C
    .language_version:
      - 2
      - 0
    .max_flat_workgroup_size: 256
    .name:           _ZL8moe_q6_KIN3c104HalfELb0EEvPKvS3_PT_PKiS7_S7_iiiiiii
    .private_segment_fixed_size: 0
    .sgpr_count:     26
    .sgpr_spill_count: 0
    .symbol:         _ZL8moe_q6_KIN3c104HalfELb0EEvPKvS3_PT_PKiS7_S7_iiiiiii.kd
    .uniform_work_group_size: 1
    .uses_dynamic_stack: false
    .vgpr_count:     235
    .vgpr_spill_count: 0
    .wavefront_size: 32
  - .args:
      - .actual_access:  read_only
        .address_space:  global
        .offset:         0
        .size:           8
        .value_kind:     global_buffer
      - .actual_access:  read_only
        .address_space:  global
        .offset:         8
        .size:           8
        .value_kind:     global_buffer
      - .actual_access:  write_only
        .address_space:  global
        .offset:         16
        .size:           8
        .value_kind:     global_buffer
      - .address_space:  global
        .offset:         24
        .size:           8
        .value_kind:     global_buffer
      - .address_space:  global
        .offset:         32
        .size:           8
        .value_kind:     global_buffer
      - .address_space:  global
        .offset:         40
        .size:           8
        .value_kind:     global_buffer
      - .offset:         48
        .size:           4
        .value_kind:     by_value
      - .offset:         52
        .size:           4
        .value_kind:     by_value
      - .offset:         56
        .size:           4
        .value_kind:     by_value
      - .offset:         60
        .size:           4
        .value_kind:     by_value
      - .offset:         64
        .size:           4
        .value_kind:     by_value
      - .offset:         68
        .size:           4
        .value_kind:     by_value
      - .offset:         72
        .size:           4
        .value_kind:     by_value
    .group_segment_fixed_size: 37072
    .kernarg_segment_align: 8
    .kernarg_segment_size: 76
    .language:       OpenCL C
    .language_version:
      - 2
      - 0
    .max_flat_workgroup_size: 256
    .name:           _ZL8moe_q6_KIN3c104HalfELb1EEvPKvS3_PT_PKiS7_S7_iiiiiii
    .private_segment_fixed_size: 0
    .sgpr_count:     26
    .sgpr_spill_count: 0
    .symbol:         _ZL8moe_q6_KIN3c104HalfELb1EEvPKvS3_PT_PKiS7_S7_iiiiiii.kd
    .uniform_work_group_size: 1
    .uses_dynamic_stack: false
    .vgpr_count:     235
    .vgpr_spill_count: 0
    .wavefront_size: 32
  - .args:
      - .actual_access:  read_only
        .address_space:  global
        .offset:         0
        .size:           8
        .value_kind:     global_buffer
      - .actual_access:  read_only
        .address_space:  global
        .offset:         8
        .size:           8
        .value_kind:     global_buffer
      - .actual_access:  write_only
        .address_space:  global
        .offset:         16
        .size:           8
        .value_kind:     global_buffer
      - .address_space:  global
        .offset:         24
        .size:           8
        .value_kind:     global_buffer
      - .address_space:  global
        .offset:         32
        .size:           8
        .value_kind:     global_buffer
      - .address_space:  global
        .offset:         40
        .size:           8
        .value_kind:     global_buffer
      - .offset:         48
        .size:           4
        .value_kind:     by_value
      - .offset:         52
        .size:           4
        .value_kind:     by_value
      - .offset:         56
        .size:           4
        .value_kind:     by_value
      - .offset:         60
        .size:           4
        .value_kind:     by_value
      - .offset:         64
        .size:           4
        .value_kind:     by_value
      - .offset:         68
        .size:           4
        .value_kind:     by_value
      - .offset:         72
        .size:           4
        .value_kind:     by_value
    .group_segment_fixed_size: 22272
    .kernarg_segment_align: 8
    .kernarg_segment_size: 76
    .language:       OpenCL C
    .language_version:
      - 2
      - 0
    .max_flat_workgroup_size: 256
    .name:           _ZL8moe_q4_0IN3c108BFloat16ELb0EEvPKvS3_PT_PKiS7_S7_iiiiiii
    .private_segment_fixed_size: 0
    .sgpr_count:     24
    .sgpr_spill_count: 0
    .symbol:         _ZL8moe_q4_0IN3c108BFloat16ELb0EEvPKvS3_PT_PKiS7_S7_iiiiiii.kd
    .uniform_work_group_size: 1
    .uses_dynamic_stack: false
    .vgpr_count:     247
    .vgpr_spill_count: 0
    .wavefront_size: 32
  - .args:
      - .actual_access:  read_only
        .address_space:  global
        .offset:         0
        .size:           8
        .value_kind:     global_buffer
      - .actual_access:  read_only
        .address_space:  global
        .offset:         8
        .size:           8
        .value_kind:     global_buffer
      - .actual_access:  write_only
        .address_space:  global
        .offset:         16
        .size:           8
        .value_kind:     global_buffer
      - .address_space:  global
        .offset:         24
        .size:           8
        .value_kind:     global_buffer
      - .address_space:  global
        .offset:         32
        .size:           8
        .value_kind:     global_buffer
      - .address_space:  global
        .offset:         40
        .size:           8
        .value_kind:     global_buffer
      - .offset:         48
        .size:           4
        .value_kind:     by_value
      - .offset:         52
        .size:           4
        .value_kind:     by_value
      - .offset:         56
        .size:           4
        .value_kind:     by_value
      - .offset:         60
        .size:           4
        .value_kind:     by_value
      - .offset:         64
        .size:           4
        .value_kind:     by_value
      - .offset:         68
        .size:           4
        .value_kind:     by_value
      - .offset:         72
        .size:           4
        .value_kind:     by_value
    .group_segment_fixed_size: 22272
    .kernarg_segment_align: 8
    .kernarg_segment_size: 76
    .language:       OpenCL C
    .language_version:
      - 2
      - 0
    .max_flat_workgroup_size: 256
    .name:           _ZL8moe_q4_0IN3c108BFloat16ELb1EEvPKvS3_PT_PKiS7_S7_iiiiiii
    .private_segment_fixed_size: 0
    .sgpr_count:     23
    .sgpr_spill_count: 0
    .symbol:         _ZL8moe_q4_0IN3c108BFloat16ELb1EEvPKvS3_PT_PKiS7_S7_iiiiiii.kd
    .uniform_work_group_size: 1
    .uses_dynamic_stack: false
    .vgpr_count:     247
    .vgpr_spill_count: 0
    .wavefront_size: 32
  - .args:
      - .actual_access:  read_only
        .address_space:  global
        .offset:         0
        .size:           8
        .value_kind:     global_buffer
      - .actual_access:  read_only
        .address_space:  global
        .offset:         8
        .size:           8
        .value_kind:     global_buffer
      - .actual_access:  write_only
        .address_space:  global
        .offset:         16
        .size:           8
        .value_kind:     global_buffer
      - .address_space:  global
        .offset:         24
        .size:           8
        .value_kind:     global_buffer
      - .address_space:  global
        .offset:         32
        .size:           8
        .value_kind:     global_buffer
      - .address_space:  global
        .offset:         40
        .size:           8
        .value_kind:     global_buffer
      - .offset:         48
        .size:           4
        .value_kind:     by_value
      - .offset:         52
        .size:           4
        .value_kind:     by_value
      - .offset:         56
        .size:           4
        .value_kind:     by_value
      - .offset:         60
        .size:           4
        .value_kind:     by_value
      - .offset:         64
        .size:           4
        .value_kind:     by_value
      - .offset:         68
        .size:           4
        .value_kind:     by_value
      - .offset:         72
        .size:           4
        .value_kind:     by_value
    .group_segment_fixed_size: 22272
    .kernarg_segment_align: 8
    .kernarg_segment_size: 76
    .language:       OpenCL C
    .language_version:
      - 2
      - 0
    .max_flat_workgroup_size: 256
    .name:           _ZL8moe_q4_1IN3c108BFloat16ELb0EEvPKvS3_PT_PKiS7_S7_iiiiiii
    .private_segment_fixed_size: 0
    .sgpr_count:     24
    .sgpr_spill_count: 0
    .symbol:         _ZL8moe_q4_1IN3c108BFloat16ELb0EEvPKvS3_PT_PKiS7_S7_iiiiiii.kd
    .uniform_work_group_size: 1
    .uses_dynamic_stack: false
    .vgpr_count:     246
    .vgpr_spill_count: 0
    .wavefront_size: 32
  - .args:
      - .actual_access:  read_only
        .address_space:  global
        .offset:         0
        .size:           8
        .value_kind:     global_buffer
      - .actual_access:  read_only
        .address_space:  global
        .offset:         8
        .size:           8
        .value_kind:     global_buffer
      - .actual_access:  write_only
        .address_space:  global
        .offset:         16
        .size:           8
        .value_kind:     global_buffer
      - .address_space:  global
        .offset:         24
        .size:           8
        .value_kind:     global_buffer
      - .address_space:  global
        .offset:         32
        .size:           8
        .value_kind:     global_buffer
      - .address_space:  global
        .offset:         40
        .size:           8
        .value_kind:     global_buffer
      - .offset:         48
        .size:           4
        .value_kind:     by_value
      - .offset:         52
        .size:           4
        .value_kind:     by_value
      - .offset:         56
        .size:           4
        .value_kind:     by_value
      - .offset:         60
        .size:           4
        .value_kind:     by_value
      - .offset:         64
        .size:           4
        .value_kind:     by_value
      - .offset:         68
        .size:           4
        .value_kind:     by_value
      - .offset:         72
        .size:           4
        .value_kind:     by_value
    .group_segment_fixed_size: 22272
    .kernarg_segment_align: 8
    .kernarg_segment_size: 76
    .language:       OpenCL C
    .language_version:
      - 2
      - 0
    .max_flat_workgroup_size: 256
    .name:           _ZL8moe_q4_1IN3c108BFloat16ELb1EEvPKvS3_PT_PKiS7_S7_iiiiiii
    .private_segment_fixed_size: 0
    .sgpr_count:     23
    .sgpr_spill_count: 0
    .symbol:         _ZL8moe_q4_1IN3c108BFloat16ELb1EEvPKvS3_PT_PKiS7_S7_iiiiiii.kd
    .uniform_work_group_size: 1
    .uses_dynamic_stack: false
    .vgpr_count:     246
    .vgpr_spill_count: 0
    .wavefront_size: 32
  - .args:
      - .actual_access:  read_only
        .address_space:  global
        .offset:         0
        .size:           8
        .value_kind:     global_buffer
      - .actual_access:  read_only
        .address_space:  global
        .offset:         8
        .size:           8
        .value_kind:     global_buffer
      - .actual_access:  write_only
        .address_space:  global
        .offset:         16
        .size:           8
        .value_kind:     global_buffer
      - .address_space:  global
        .offset:         24
        .size:           8
        .value_kind:     global_buffer
      - .address_space:  global
        .offset:         32
        .size:           8
        .value_kind:     global_buffer
      - .address_space:  global
        .offset:         40
        .size:           8
        .value_kind:     global_buffer
      - .offset:         48
        .size:           4
        .value_kind:     by_value
      - .offset:         52
        .size:           4
        .value_kind:     by_value
      - .offset:         56
        .size:           4
        .value_kind:     by_value
      - .offset:         60
        .size:           4
        .value_kind:     by_value
      - .offset:         64
        .size:           4
        .value_kind:     by_value
      - .offset:         68
        .size:           4
        .value_kind:     by_value
      - .offset:         72
        .size:           4
        .value_kind:     by_value
    .group_segment_fixed_size: 38656
    .kernarg_segment_align: 8
    .kernarg_segment_size: 76
    .language:       OpenCL C
    .language_version:
      - 2
      - 0
    .max_flat_workgroup_size: 256
    .name:           _ZL8moe_q5_0IN3c108BFloat16ELb0EEvPKvS3_PT_PKiS7_S7_iiiiiii
    .private_segment_fixed_size: 0
    .sgpr_count:     23
    .sgpr_spill_count: 0
    .symbol:         _ZL8moe_q5_0IN3c108BFloat16ELb0EEvPKvS3_PT_PKiS7_S7_iiiiiii.kd
    .uniform_work_group_size: 1
    .uses_dynamic_stack: false
    .vgpr_count:     159
    .vgpr_spill_count: 0
    .wavefront_size: 32
  - .args:
      - .actual_access:  read_only
        .address_space:  global
        .offset:         0
        .size:           8
        .value_kind:     global_buffer
      - .actual_access:  read_only
        .address_space:  global
        .offset:         8
        .size:           8
        .value_kind:     global_buffer
      - .actual_access:  write_only
        .address_space:  global
        .offset:         16
        .size:           8
        .value_kind:     global_buffer
      - .address_space:  global
        .offset:         24
        .size:           8
        .value_kind:     global_buffer
      - .address_space:  global
        .offset:         32
        .size:           8
        .value_kind:     global_buffer
      - .address_space:  global
        .offset:         40
        .size:           8
        .value_kind:     global_buffer
      - .offset:         48
        .size:           4
        .value_kind:     by_value
      - .offset:         52
        .size:           4
        .value_kind:     by_value
      - .offset:         56
        .size:           4
        .value_kind:     by_value
      - .offset:         60
        .size:           4
        .value_kind:     by_value
      - .offset:         64
        .size:           4
        .value_kind:     by_value
      - .offset:         68
        .size:           4
        .value_kind:     by_value
      - .offset:         72
        .size:           4
        .value_kind:     by_value
    .group_segment_fixed_size: 38656
    .kernarg_segment_align: 8
    .kernarg_segment_size: 76
    .language:       OpenCL C
    .language_version:
      - 2
      - 0
    .max_flat_workgroup_size: 256
    .name:           _ZL8moe_q5_0IN3c108BFloat16ELb1EEvPKvS3_PT_PKiS7_S7_iiiiiii
    .private_segment_fixed_size: 0
    .sgpr_count:     23
    .sgpr_spill_count: 0
    .symbol:         _ZL8moe_q5_0IN3c108BFloat16ELb1EEvPKvS3_PT_PKiS7_S7_iiiiiii.kd
    .uniform_work_group_size: 1
    .uses_dynamic_stack: false
    .vgpr_count:     158
    .vgpr_spill_count: 0
    .wavefront_size: 32
  - .args:
      - .actual_access:  read_only
        .address_space:  global
        .offset:         0
        .size:           8
        .value_kind:     global_buffer
      - .actual_access:  read_only
        .address_space:  global
        .offset:         8
        .size:           8
        .value_kind:     global_buffer
      - .actual_access:  write_only
        .address_space:  global
        .offset:         16
        .size:           8
        .value_kind:     global_buffer
      - .address_space:  global
        .offset:         24
        .size:           8
        .value_kind:     global_buffer
      - .address_space:  global
        .offset:         32
        .size:           8
        .value_kind:     global_buffer
      - .address_space:  global
        .offset:         40
        .size:           8
        .value_kind:     global_buffer
      - .offset:         48
        .size:           4
        .value_kind:     by_value
      - .offset:         52
        .size:           4
        .value_kind:     by_value
      - .offset:         56
        .size:           4
        .value_kind:     by_value
      - .offset:         60
        .size:           4
        .value_kind:     by_value
      - .offset:         64
        .size:           4
        .value_kind:     by_value
      - .offset:         68
        .size:           4
        .value_kind:     by_value
      - .offset:         72
        .size:           4
        .value_kind:     by_value
    .group_segment_fixed_size: 38656
    .kernarg_segment_align: 8
    .kernarg_segment_size: 76
    .language:       OpenCL C
    .language_version:
      - 2
      - 0
    .max_flat_workgroup_size: 256
    .name:           _ZL8moe_q5_1IN3c108BFloat16ELb0EEvPKvS3_PT_PKiS7_S7_iiiiiii
    .private_segment_fixed_size: 0
    .sgpr_count:     23
    .sgpr_spill_count: 0
    .symbol:         _ZL8moe_q5_1IN3c108BFloat16ELb0EEvPKvS3_PT_PKiS7_S7_iiiiiii.kd
    .uniform_work_group_size: 1
    .uses_dynamic_stack: false
    .vgpr_count:     159
    .vgpr_spill_count: 0
    .wavefront_size: 32
  - .args:
      - .actual_access:  read_only
        .address_space:  global
        .offset:         0
        .size:           8
        .value_kind:     global_buffer
      - .actual_access:  read_only
        .address_space:  global
        .offset:         8
        .size:           8
        .value_kind:     global_buffer
      - .actual_access:  write_only
        .address_space:  global
        .offset:         16
        .size:           8
        .value_kind:     global_buffer
      - .address_space:  global
        .offset:         24
        .size:           8
        .value_kind:     global_buffer
      - .address_space:  global
        .offset:         32
        .size:           8
        .value_kind:     global_buffer
      - .address_space:  global
        .offset:         40
        .size:           8
        .value_kind:     global_buffer
      - .offset:         48
        .size:           4
        .value_kind:     by_value
      - .offset:         52
        .size:           4
        .value_kind:     by_value
      - .offset:         56
        .size:           4
        .value_kind:     by_value
      - .offset:         60
        .size:           4
        .value_kind:     by_value
      - .offset:         64
        .size:           4
        .value_kind:     by_value
      - .offset:         68
        .size:           4
        .value_kind:     by_value
      - .offset:         72
        .size:           4
        .value_kind:     by_value
    .group_segment_fixed_size: 38656
    .kernarg_segment_align: 8
    .kernarg_segment_size: 76
    .language:       OpenCL C
    .language_version:
      - 2
      - 0
    .max_flat_workgroup_size: 256
    .name:           _ZL8moe_q5_1IN3c108BFloat16ELb1EEvPKvS3_PT_PKiS7_S7_iiiiiii
    .private_segment_fixed_size: 0
    .sgpr_count:     23
    .sgpr_spill_count: 0
    .symbol:         _ZL8moe_q5_1IN3c108BFloat16ELb1EEvPKvS3_PT_PKiS7_S7_iiiiiii.kd
    .uniform_work_group_size: 1
    .uses_dynamic_stack: false
    .vgpr_count:     157
    .vgpr_spill_count: 0
    .wavefront_size: 32
  - .args:
      - .actual_access:  read_only
        .address_space:  global
        .offset:         0
        .size:           8
        .value_kind:     global_buffer
      - .actual_access:  read_only
        .address_space:  global
        .offset:         8
        .size:           8
        .value_kind:     global_buffer
      - .actual_access:  write_only
        .address_space:  global
        .offset:         16
        .size:           8
        .value_kind:     global_buffer
      - .address_space:  global
        .offset:         24
        .size:           8
        .value_kind:     global_buffer
      - .address_space:  global
        .offset:         32
        .size:           8
        .value_kind:     global_buffer
      - .address_space:  global
        .offset:         40
        .size:           8
        .value_kind:     global_buffer
      - .offset:         48
        .size:           4
        .value_kind:     by_value
      - .offset:         52
        .size:           4
        .value_kind:     by_value
      - .offset:         56
        .size:           4
        .value_kind:     by_value
      - .offset:         60
        .size:           4
        .value_kind:     by_value
      - .offset:         64
        .size:           4
        .value_kind:     by_value
      - .offset:         68
        .size:           4
        .value_kind:     by_value
      - .offset:         72
        .size:           4
        .value_kind:     by_value
    .group_segment_fixed_size: 20160
    .kernarg_segment_align: 8
    .kernarg_segment_size: 76
    .language:       OpenCL C
    .language_version:
      - 2
      - 0
    .max_flat_workgroup_size: 256
    .name:           _ZL8moe_q8_0IN3c108BFloat16ELb0EEvPKvS3_PT_PKiS7_S7_iiiiiii
    .private_segment_fixed_size: 0
    .sgpr_count:     24
    .sgpr_spill_count: 0
    .symbol:         _ZL8moe_q8_0IN3c108BFloat16ELb0EEvPKvS3_PT_PKiS7_S7_iiiiiii.kd
    .uniform_work_group_size: 1
    .uses_dynamic_stack: false
    .vgpr_count:     111
    .vgpr_spill_count: 0
    .wavefront_size: 32
  - .args:
      - .actual_access:  read_only
        .address_space:  global
        .offset:         0
        .size:           8
        .value_kind:     global_buffer
      - .actual_access:  read_only
        .address_space:  global
        .offset:         8
        .size:           8
        .value_kind:     global_buffer
      - .actual_access:  write_only
        .address_space:  global
        .offset:         16
        .size:           8
        .value_kind:     global_buffer
      - .address_space:  global
        .offset:         24
        .size:           8
        .value_kind:     global_buffer
      - .address_space:  global
        .offset:         32
        .size:           8
        .value_kind:     global_buffer
      - .address_space:  global
        .offset:         40
        .size:           8
        .value_kind:     global_buffer
      - .offset:         48
        .size:           4
        .value_kind:     by_value
      - .offset:         52
        .size:           4
        .value_kind:     by_value
      - .offset:         56
        .size:           4
        .value_kind:     by_value
      - .offset:         60
        .size:           4
        .value_kind:     by_value
      - .offset:         64
        .size:           4
        .value_kind:     by_value
      - .offset:         68
        .size:           4
        .value_kind:     by_value
      - .offset:         72
        .size:           4
        .value_kind:     by_value
    .group_segment_fixed_size: 20160
    .kernarg_segment_align: 8
    .kernarg_segment_size: 76
    .language:       OpenCL C
    .language_version:
      - 2
      - 0
    .max_flat_workgroup_size: 256
    .name:           _ZL8moe_q8_0IN3c108BFloat16ELb1EEvPKvS3_PT_PKiS7_S7_iiiiiii
    .private_segment_fixed_size: 0
    .sgpr_count:     22
    .sgpr_spill_count: 0
    .symbol:         _ZL8moe_q8_0IN3c108BFloat16ELb1EEvPKvS3_PT_PKiS7_S7_iiiiiii.kd
    .uniform_work_group_size: 1
    .uses_dynamic_stack: false
    .vgpr_count:     126
    .vgpr_spill_count: 0
    .wavefront_size: 32
  - .args:
      - .actual_access:  read_only
        .address_space:  global
        .offset:         0
        .size:           8
        .value_kind:     global_buffer
      - .actual_access:  read_only
        .address_space:  global
        .offset:         8
        .size:           8
        .value_kind:     global_buffer
      - .actual_access:  write_only
        .address_space:  global
        .offset:         16
        .size:           8
        .value_kind:     global_buffer
      - .address_space:  global
        .offset:         24
        .size:           8
        .value_kind:     global_buffer
      - .address_space:  global
        .offset:         32
        .size:           8
        .value_kind:     global_buffer
      - .address_space:  global
        .offset:         40
        .size:           8
        .value_kind:     global_buffer
      - .offset:         48
        .size:           4
        .value_kind:     by_value
      - .offset:         52
        .size:           4
        .value_kind:     by_value
      - .offset:         56
        .size:           4
        .value_kind:     by_value
      - .offset:         60
        .size:           4
        .value_kind:     by_value
      - .offset:         64
        .size:           4
        .value_kind:     by_value
      - .offset:         68
        .size:           4
        .value_kind:     by_value
      - .offset:         72
        .size:           4
        .value_kind:     by_value
    .group_segment_fixed_size: 23328
    .kernarg_segment_align: 8
    .kernarg_segment_size: 76
    .language:       OpenCL C
    .language_version:
      - 2
      - 0
    .max_flat_workgroup_size: 256
    .name:           _ZL8moe_q2_KIN3c108BFloat16ELb0EEvPKvS3_PT_PKiS7_S7_iiiiiii
    .private_segment_fixed_size: 0
    .sgpr_count:     26
    .sgpr_spill_count: 0
    .symbol:         _ZL8moe_q2_KIN3c108BFloat16ELb0EEvPKvS3_PT_PKiS7_S7_iiiiiii.kd
    .uniform_work_group_size: 1
    .uses_dynamic_stack: false
    .vgpr_count:     249
    .vgpr_spill_count: 0
    .wavefront_size: 32
  - .args:
      - .actual_access:  read_only
        .address_space:  global
        .offset:         0
        .size:           8
        .value_kind:     global_buffer
      - .actual_access:  read_only
        .address_space:  global
        .offset:         8
        .size:           8
        .value_kind:     global_buffer
      - .actual_access:  write_only
        .address_space:  global
        .offset:         16
        .size:           8
        .value_kind:     global_buffer
      - .address_space:  global
        .offset:         24
        .size:           8
        .value_kind:     global_buffer
      - .address_space:  global
        .offset:         32
        .size:           8
        .value_kind:     global_buffer
      - .address_space:  global
        .offset:         40
        .size:           8
        .value_kind:     global_buffer
      - .offset:         48
        .size:           4
        .value_kind:     by_value
      - .offset:         52
        .size:           4
        .value_kind:     by_value
      - .offset:         56
        .size:           4
        .value_kind:     by_value
      - .offset:         60
        .size:           4
        .value_kind:     by_value
      - .offset:         64
        .size:           4
        .value_kind:     by_value
      - .offset:         68
        .size:           4
        .value_kind:     by_value
      - .offset:         72
        .size:           4
        .value_kind:     by_value
    .group_segment_fixed_size: 23328
    .kernarg_segment_align: 8
    .kernarg_segment_size: 76
    .language:       OpenCL C
    .language_version:
      - 2
      - 0
    .max_flat_workgroup_size: 256
    .name:           _ZL8moe_q2_KIN3c108BFloat16ELb1EEvPKvS3_PT_PKiS7_S7_iiiiiii
    .private_segment_fixed_size: 0
    .sgpr_count:     26
    .sgpr_spill_count: 0
    .symbol:         _ZL8moe_q2_KIN3c108BFloat16ELb1EEvPKvS3_PT_PKiS7_S7_iiiiiii.kd
    .uniform_work_group_size: 1
    .uses_dynamic_stack: false
    .vgpr_count:     249
    .vgpr_spill_count: 0
    .wavefront_size: 32
  - .args:
      - .actual_access:  read_only
        .address_space:  global
        .offset:         0
        .size:           8
        .value_kind:     global_buffer
      - .actual_access:  read_only
        .address_space:  global
        .offset:         8
        .size:           8
        .value_kind:     global_buffer
      - .actual_access:  write_only
        .address_space:  global
        .offset:         16
        .size:           8
        .value_kind:     global_buffer
      - .address_space:  global
        .offset:         24
        .size:           8
        .value_kind:     global_buffer
      - .address_space:  global
        .offset:         32
        .size:           8
        .value_kind:     global_buffer
      - .address_space:  global
        .offset:         40
        .size:           8
        .value_kind:     global_buffer
      - .offset:         48
        .size:           4
        .value_kind:     by_value
      - .offset:         52
        .size:           4
        .value_kind:     by_value
      - .offset:         56
        .size:           4
        .value_kind:     by_value
      - .offset:         60
        .size:           4
        .value_kind:     by_value
      - .offset:         64
        .size:           4
        .value_kind:     by_value
      - .offset:         68
        .size:           4
        .value_kind:     by_value
      - .offset:         72
        .size:           4
        .value_kind:     by_value
    .group_segment_fixed_size: 31776
    .kernarg_segment_align: 8
    .kernarg_segment_size: 76
    .language:       OpenCL C
    .language_version:
      - 2
      - 0
    .max_flat_workgroup_size: 256
    .name:           _ZL8moe_q3_KIN3c108BFloat16ELb0EEvPKvS3_PT_PKiS7_S7_iiiiiii
    .private_segment_fixed_size: 0
    .sgpr_count:     29
    .sgpr_spill_count: 0
    .symbol:         _ZL8moe_q3_KIN3c108BFloat16ELb0EEvPKvS3_PT_PKiS7_S7_iiiiiii.kd
    .uniform_work_group_size: 1
    .uses_dynamic_stack: false
    .vgpr_count:     326
    .vgpr_spill_count: 0
    .wavefront_size: 32
  - .args:
      - .actual_access:  read_only
        .address_space:  global
        .offset:         0
        .size:           8
        .value_kind:     global_buffer
      - .actual_access:  read_only
        .address_space:  global
        .offset:         8
        .size:           8
        .value_kind:     global_buffer
      - .actual_access:  write_only
        .address_space:  global
        .offset:         16
        .size:           8
        .value_kind:     global_buffer
      - .address_space:  global
        .offset:         24
        .size:           8
        .value_kind:     global_buffer
      - .address_space:  global
        .offset:         32
        .size:           8
        .value_kind:     global_buffer
      - .address_space:  global
        .offset:         40
        .size:           8
        .value_kind:     global_buffer
      - .offset:         48
        .size:           4
        .value_kind:     by_value
      - .offset:         52
        .size:           4
        .value_kind:     by_value
      - .offset:         56
        .size:           4
        .value_kind:     by_value
      - .offset:         60
        .size:           4
        .value_kind:     by_value
      - .offset:         64
        .size:           4
        .value_kind:     by_value
      - .offset:         68
        .size:           4
        .value_kind:     by_value
      - .offset:         72
        .size:           4
        .value_kind:     by_value
    .group_segment_fixed_size: 31776
    .kernarg_segment_align: 8
    .kernarg_segment_size: 76
    .language:       OpenCL C
    .language_version:
      - 2
      - 0
    .max_flat_workgroup_size: 256
    .name:           _ZL8moe_q3_KIN3c108BFloat16ELb1EEvPKvS3_PT_PKiS7_S7_iiiiiii
    .private_segment_fixed_size: 0
    .sgpr_count:     29
    .sgpr_spill_count: 0
    .symbol:         _ZL8moe_q3_KIN3c108BFloat16ELb1EEvPKvS3_PT_PKiS7_S7_iiiiiii.kd
    .uniform_work_group_size: 1
    .uses_dynamic_stack: false
    .vgpr_count:     326
    .vgpr_spill_count: 0
    .wavefront_size: 32
  - .args:
      - .actual_access:  read_only
        .address_space:  global
        .offset:         0
        .size:           8
        .value_kind:     global_buffer
      - .actual_access:  read_only
        .address_space:  global
        .offset:         8
        .size:           8
        .value_kind:     global_buffer
      - .actual_access:  write_only
        .address_space:  global
        .offset:         16
        .size:           8
        .value_kind:     global_buffer
      - .address_space:  global
        .offset:         24
        .size:           8
        .value_kind:     global_buffer
      - .address_space:  global
        .offset:         32
        .size:           8
        .value_kind:     global_buffer
      - .address_space:  global
        .offset:         40
        .size:           8
        .value_kind:     global_buffer
      - .offset:         48
        .size:           4
        .value_kind:     by_value
      - .offset:         52
        .size:           4
        .value_kind:     by_value
      - .offset:         56
        .size:           4
        .value_kind:     by_value
      - .offset:         60
        .size:           4
        .value_kind:     by_value
      - .offset:         64
        .size:           4
        .value_kind:     by_value
      - .offset:         68
        .size:           4
        .value_kind:     by_value
      - .offset:         72
        .size:           4
        .value_kind:     by_value
    .group_segment_fixed_size: 20688
    .kernarg_segment_align: 8
    .kernarg_segment_size: 76
    .language:       OpenCL C
    .language_version:
      - 2
      - 0
    .max_flat_workgroup_size: 256
    .name:           _ZL8moe_q4_KIN3c108BFloat16ELb0EEvPKvS3_PT_PKiS7_S7_iiiiiii
    .private_segment_fixed_size: 0
    .sgpr_count:     26
    .sgpr_spill_count: 0
    .symbol:         _ZL8moe_q4_KIN3c108BFloat16ELb0EEvPKvS3_PT_PKiS7_S7_iiiiiii.kd
    .uniform_work_group_size: 1
    .uses_dynamic_stack: false
    .vgpr_count:     299
    .vgpr_spill_count: 0
    .wavefront_size: 32
  - .args:
      - .actual_access:  read_only
        .address_space:  global
        .offset:         0
        .size:           8
        .value_kind:     global_buffer
      - .actual_access:  read_only
        .address_space:  global
        .offset:         8
        .size:           8
        .value_kind:     global_buffer
      - .actual_access:  write_only
        .address_space:  global
        .offset:         16
        .size:           8
        .value_kind:     global_buffer
      - .address_space:  global
        .offset:         24
        .size:           8
        .value_kind:     global_buffer
      - .address_space:  global
        .offset:         32
        .size:           8
        .value_kind:     global_buffer
      - .address_space:  global
        .offset:         40
        .size:           8
        .value_kind:     global_buffer
      - .offset:         48
        .size:           4
        .value_kind:     by_value
      - .offset:         52
        .size:           4
        .value_kind:     by_value
      - .offset:         56
        .size:           4
        .value_kind:     by_value
      - .offset:         60
        .size:           4
        .value_kind:     by_value
      - .offset:         64
        .size:           4
        .value_kind:     by_value
      - .offset:         68
        .size:           4
        .value_kind:     by_value
      - .offset:         72
        .size:           4
        .value_kind:     by_value
    .group_segment_fixed_size: 20688
    .kernarg_segment_align: 8
    .kernarg_segment_size: 76
    .language:       OpenCL C
    .language_version:
      - 2
      - 0
    .max_flat_workgroup_size: 256
    .name:           _ZL8moe_q4_KIN3c108BFloat16ELb1EEvPKvS3_PT_PKiS7_S7_iiiiiii
    .private_segment_fixed_size: 0
    .sgpr_count:     26
    .sgpr_spill_count: 0
    .symbol:         _ZL8moe_q4_KIN3c108BFloat16ELb1EEvPKvS3_PT_PKiS7_S7_iiiiiii.kd
    .uniform_work_group_size: 1
    .uses_dynamic_stack: false
    .vgpr_count:     299
    .vgpr_spill_count: 0
    .wavefront_size: 32
  - .args:
      - .actual_access:  read_only
        .address_space:  global
        .offset:         0
        .size:           8
        .value_kind:     global_buffer
      - .actual_access:  read_only
        .address_space:  global
        .offset:         8
        .size:           8
        .value_kind:     global_buffer
      - .actual_access:  write_only
        .address_space:  global
        .offset:         16
        .size:           8
        .value_kind:     global_buffer
      - .address_space:  global
        .offset:         24
        .size:           8
        .value_kind:     global_buffer
      - .address_space:  global
        .offset:         32
        .size:           8
        .value_kind:     global_buffer
      - .address_space:  global
        .offset:         40
        .size:           8
        .value_kind:     global_buffer
      - .offset:         48
        .size:           4
        .value_kind:     by_value
      - .offset:         52
        .size:           4
        .value_kind:     by_value
      - .offset:         56
        .size:           4
        .value_kind:     by_value
      - .offset:         60
        .size:           4
        .value_kind:     by_value
      - .offset:         64
        .size:           4
        .value_kind:     by_value
      - .offset:         68
        .size:           4
        .value_kind:     by_value
      - .offset:         72
        .size:           4
        .value_kind:     by_value
    .group_segment_fixed_size: 37072
    .kernarg_segment_align: 8
    .kernarg_segment_size: 76
    .language:       OpenCL C
    .language_version:
      - 2
      - 0
    .max_flat_workgroup_size: 256
    .name:           _ZL8moe_q5_KIN3c108BFloat16ELb0EEvPKvS3_PT_PKiS7_S7_iiiiiii
    .private_segment_fixed_size: 0
    .sgpr_count:     25
    .sgpr_spill_count: 0
    .symbol:         _ZL8moe_q5_KIN3c108BFloat16ELb0EEvPKvS3_PT_PKiS7_S7_iiiiiii.kd
    .uniform_work_group_size: 1
    .uses_dynamic_stack: false
    .vgpr_count:     237
    .vgpr_spill_count: 0
    .wavefront_size: 32
  - .args:
      - .actual_access:  read_only
        .address_space:  global
        .offset:         0
        .size:           8
        .value_kind:     global_buffer
      - .actual_access:  read_only
        .address_space:  global
        .offset:         8
        .size:           8
        .value_kind:     global_buffer
      - .actual_access:  write_only
        .address_space:  global
        .offset:         16
        .size:           8
        .value_kind:     global_buffer
      - .address_space:  global
        .offset:         24
        .size:           8
        .value_kind:     global_buffer
      - .address_space:  global
        .offset:         32
        .size:           8
        .value_kind:     global_buffer
      - .address_space:  global
        .offset:         40
        .size:           8
        .value_kind:     global_buffer
      - .offset:         48
        .size:           4
        .value_kind:     by_value
      - .offset:         52
        .size:           4
        .value_kind:     by_value
      - .offset:         56
        .size:           4
        .value_kind:     by_value
      - .offset:         60
        .size:           4
        .value_kind:     by_value
      - .offset:         64
        .size:           4
        .value_kind:     by_value
      - .offset:         68
        .size:           4
        .value_kind:     by_value
      - .offset:         72
        .size:           4
        .value_kind:     by_value
    .group_segment_fixed_size: 37072
    .kernarg_segment_align: 8
    .kernarg_segment_size: 76
    .language:       OpenCL C
    .language_version:
      - 2
      - 0
    .max_flat_workgroup_size: 256
    .name:           _ZL8moe_q5_KIN3c108BFloat16ELb1EEvPKvS3_PT_PKiS7_S7_iiiiiii
    .private_segment_fixed_size: 0
    .sgpr_count:     25
    .sgpr_spill_count: 0
    .symbol:         _ZL8moe_q5_KIN3c108BFloat16ELb1EEvPKvS3_PT_PKiS7_S7_iiiiiii.kd
    .uniform_work_group_size: 1
    .uses_dynamic_stack: false
    .vgpr_count:     237
    .vgpr_spill_count: 0
    .wavefront_size: 32
  - .args:
      - .actual_access:  read_only
        .address_space:  global
        .offset:         0
        .size:           8
        .value_kind:     global_buffer
      - .actual_access:  read_only
        .address_space:  global
        .offset:         8
        .size:           8
        .value_kind:     global_buffer
      - .actual_access:  write_only
        .address_space:  global
        .offset:         16
        .size:           8
        .value_kind:     global_buffer
      - .address_space:  global
        .offset:         24
        .size:           8
        .value_kind:     global_buffer
      - .address_space:  global
        .offset:         32
        .size:           8
        .value_kind:     global_buffer
      - .address_space:  global
        .offset:         40
        .size:           8
        .value_kind:     global_buffer
      - .offset:         48
        .size:           4
        .value_kind:     by_value
      - .offset:         52
        .size:           4
        .value_kind:     by_value
      - .offset:         56
        .size:           4
        .value_kind:     by_value
      - .offset:         60
        .size:           4
        .value_kind:     by_value
      - .offset:         64
        .size:           4
        .value_kind:     by_value
      - .offset:         68
        .size:           4
        .value_kind:     by_value
      - .offset:         72
        .size:           4
        .value_kind:     by_value
    .group_segment_fixed_size: 37072
    .kernarg_segment_align: 8
    .kernarg_segment_size: 76
    .language:       OpenCL C
    .language_version:
      - 2
      - 0
    .max_flat_workgroup_size: 256
    .name:           _ZL8moe_q6_KIN3c108BFloat16ELb0EEvPKvS3_PT_PKiS7_S7_iiiiiii
    .private_segment_fixed_size: 0
    .sgpr_count:     26
    .sgpr_spill_count: 0
    .symbol:         _ZL8moe_q6_KIN3c108BFloat16ELb0EEvPKvS3_PT_PKiS7_S7_iiiiiii.kd
    .uniform_work_group_size: 1
    .uses_dynamic_stack: false
    .vgpr_count:     235
    .vgpr_spill_count: 0
    .wavefront_size: 32
  - .args:
      - .actual_access:  read_only
        .address_space:  global
        .offset:         0
        .size:           8
        .value_kind:     global_buffer
      - .actual_access:  read_only
        .address_space:  global
        .offset:         8
        .size:           8
        .value_kind:     global_buffer
      - .actual_access:  write_only
        .address_space:  global
        .offset:         16
        .size:           8
        .value_kind:     global_buffer
      - .address_space:  global
        .offset:         24
        .size:           8
        .value_kind:     global_buffer
      - .address_space:  global
        .offset:         32
        .size:           8
        .value_kind:     global_buffer
      - .address_space:  global
        .offset:         40
        .size:           8
        .value_kind:     global_buffer
      - .offset:         48
        .size:           4
        .value_kind:     by_value
      - .offset:         52
        .size:           4
        .value_kind:     by_value
      - .offset:         56
        .size:           4
        .value_kind:     by_value
      - .offset:         60
        .size:           4
        .value_kind:     by_value
      - .offset:         64
        .size:           4
        .value_kind:     by_value
      - .offset:         68
        .size:           4
        .value_kind:     by_value
      - .offset:         72
        .size:           4
        .value_kind:     by_value
    .group_segment_fixed_size: 37072
    .kernarg_segment_align: 8
    .kernarg_segment_size: 76
    .language:       OpenCL C
    .language_version:
      - 2
      - 0
    .max_flat_workgroup_size: 256
    .name:           _ZL8moe_q6_KIN3c108BFloat16ELb1EEvPKvS3_PT_PKiS7_S7_iiiiiii
    .private_segment_fixed_size: 0
    .sgpr_count:     26
    .sgpr_spill_count: 0
    .symbol:         _ZL8moe_q6_KIN3c108BFloat16ELb1EEvPKvS3_PT_PKiS7_S7_iiiiiii.kd
    .uniform_work_group_size: 1
    .uses_dynamic_stack: false
    .vgpr_count:     235
    .vgpr_spill_count: 0
    .wavefront_size: 32
  - .args:
      - .actual_access:  read_only
        .address_space:  global
        .offset:         0
        .size:           8
        .value_kind:     global_buffer
      - .actual_access:  read_only
        .address_space:  global
        .offset:         8
        .size:           8
        .value_kind:     global_buffer
      - .actual_access:  write_only
        .address_space:  global
        .offset:         16
        .size:           8
        .value_kind:     global_buffer
      - .address_space:  global
        .offset:         24
        .size:           8
        .value_kind:     global_buffer
      - .offset:         32
        .size:           4
        .value_kind:     by_value
      - .offset:         36
        .size:           4
        .value_kind:     by_value
      - .offset:         40
        .size:           4
        .value_kind:     by_value
      - .offset:         44
        .size:           4
        .value_kind:     by_value
      - .offset:         48
        .size:           4
        .value_kind:     hidden_block_count_x
      - .offset:         52
        .size:           4
        .value_kind:     hidden_block_count_y
      - .offset:         56
        .size:           4
        .value_kind:     hidden_block_count_z
      - .offset:         60
        .size:           2
        .value_kind:     hidden_group_size_x
      - .offset:         62
        .size:           2
        .value_kind:     hidden_group_size_y
      - .offset:         64
        .size:           2
        .value_kind:     hidden_group_size_z
      - .offset:         66
        .size:           2
        .value_kind:     hidden_remainder_x
      - .offset:         68
        .size:           2
        .value_kind:     hidden_remainder_y
      - .offset:         70
        .size:           2
        .value_kind:     hidden_remainder_z
      - .offset:         88
        .size:           8
        .value_kind:     hidden_global_offset_x
      - .offset:         96
        .size:           8
        .value_kind:     hidden_global_offset_y
      - .offset:         104
        .size:           8
        .value_kind:     hidden_global_offset_z
      - .offset:         112
        .size:           2
        .value_kind:     hidden_grid_dims
    .group_segment_fixed_size: 0
    .kernarg_segment_align: 8
    .kernarg_segment_size: 304
    .language:       OpenCL C
    .language_version:
      - 2
      - 0
    .max_flat_workgroup_size: 1024
    .name:           _ZL9moe_vec_qIfLi32ELi4E10block_q4_0Li2EXadL_ZL17vec_dot_q4_0_q8_1PKvPK10block_q8_1RKiEEEvS2_S2_PT_PS6_iiii
    .private_segment_fixed_size: 0
    .sgpr_count:     23
    .sgpr_spill_count: 0
    .symbol:         _ZL9moe_vec_qIfLi32ELi4E10block_q4_0Li2EXadL_ZL17vec_dot_q4_0_q8_1PKvPK10block_q8_1RKiEEEvS2_S2_PT_PS6_iiii.kd
    .uniform_work_group_size: 1
    .uses_dynamic_stack: false
    .vgpr_count:     42
    .vgpr_spill_count: 0
    .wavefront_size: 32
  - .args:
      - .actual_access:  read_only
        .address_space:  global
        .offset:         0
        .size:           8
        .value_kind:     global_buffer
      - .actual_access:  read_only
        .address_space:  global
        .offset:         8
        .size:           8
        .value_kind:     global_buffer
      - .actual_access:  write_only
        .address_space:  global
        .offset:         16
        .size:           8
        .value_kind:     global_buffer
      - .address_space:  global
        .offset:         24
        .size:           8
        .value_kind:     global_buffer
      - .offset:         32
        .size:           4
        .value_kind:     by_value
      - .offset:         36
        .size:           4
        .value_kind:     by_value
      - .offset:         40
        .size:           4
        .value_kind:     by_value
      - .offset:         44
        .size:           4
        .value_kind:     by_value
      - .offset:         48
        .size:           4
        .value_kind:     hidden_block_count_x
      - .offset:         52
        .size:           4
        .value_kind:     hidden_block_count_y
      - .offset:         56
        .size:           4
        .value_kind:     hidden_block_count_z
      - .offset:         60
        .size:           2
        .value_kind:     hidden_group_size_x
      - .offset:         62
        .size:           2
        .value_kind:     hidden_group_size_y
      - .offset:         64
        .size:           2
        .value_kind:     hidden_group_size_z
      - .offset:         66
        .size:           2
        .value_kind:     hidden_remainder_x
      - .offset:         68
        .size:           2
        .value_kind:     hidden_remainder_y
      - .offset:         70
        .size:           2
        .value_kind:     hidden_remainder_z
      - .offset:         88
        .size:           8
        .value_kind:     hidden_global_offset_x
      - .offset:         96
        .size:           8
        .value_kind:     hidden_global_offset_y
      - .offset:         104
        .size:           8
        .value_kind:     hidden_global_offset_z
      - .offset:         112
        .size:           2
        .value_kind:     hidden_grid_dims
    .group_segment_fixed_size: 0
    .kernarg_segment_align: 8
    .kernarg_segment_size: 304
    .language:       OpenCL C
    .language_version:
      - 2
      - 0
    .max_flat_workgroup_size: 1024
    .name:           _ZL9moe_vec_qIfLi32ELi4E10block_q4_1Li2EXadL_ZL17vec_dot_q4_1_q8_1PKvPK10block_q8_1RKiEEEvS2_S2_PT_PS6_iiii
    .private_segment_fixed_size: 0
    .sgpr_count:     23
    .sgpr_spill_count: 0
    .symbol:         _ZL9moe_vec_qIfLi32ELi4E10block_q4_1Li2EXadL_ZL17vec_dot_q4_1_q8_1PKvPK10block_q8_1RKiEEEvS2_S2_PT_PS6_iiii.kd
    .uniform_work_group_size: 1
    .uses_dynamic_stack: false
    .vgpr_count:     42
    .vgpr_spill_count: 0
    .wavefront_size: 32
  - .args:
      - .actual_access:  read_only
        .address_space:  global
        .offset:         0
        .size:           8
        .value_kind:     global_buffer
      - .actual_access:  read_only
        .address_space:  global
        .offset:         8
        .size:           8
        .value_kind:     global_buffer
      - .actual_access:  write_only
        .address_space:  global
        .offset:         16
        .size:           8
        .value_kind:     global_buffer
      - .address_space:  global
        .offset:         24
        .size:           8
        .value_kind:     global_buffer
      - .offset:         32
        .size:           4
        .value_kind:     by_value
      - .offset:         36
        .size:           4
        .value_kind:     by_value
      - .offset:         40
        .size:           4
        .value_kind:     by_value
      - .offset:         44
        .size:           4
        .value_kind:     by_value
      - .offset:         48
        .size:           4
        .value_kind:     hidden_block_count_x
      - .offset:         52
        .size:           4
        .value_kind:     hidden_block_count_y
      - .offset:         56
        .size:           4
        .value_kind:     hidden_block_count_z
      - .offset:         60
        .size:           2
        .value_kind:     hidden_group_size_x
      - .offset:         62
        .size:           2
        .value_kind:     hidden_group_size_y
      - .offset:         64
        .size:           2
        .value_kind:     hidden_group_size_z
      - .offset:         66
        .size:           2
        .value_kind:     hidden_remainder_x
      - .offset:         68
        .size:           2
        .value_kind:     hidden_remainder_y
      - .offset:         70
        .size:           2
        .value_kind:     hidden_remainder_z
      - .offset:         88
        .size:           8
        .value_kind:     hidden_global_offset_x
      - .offset:         96
        .size:           8
        .value_kind:     hidden_global_offset_y
      - .offset:         104
        .size:           8
        .value_kind:     hidden_global_offset_z
      - .offset:         112
        .size:           2
        .value_kind:     hidden_grid_dims
    .group_segment_fixed_size: 0
    .kernarg_segment_align: 8
    .kernarg_segment_size: 304
    .language:       OpenCL C
    .language_version:
      - 2
      - 0
    .max_flat_workgroup_size: 1024
    .name:           _ZL9moe_vec_qIfLi32ELi4E10block_q5_0Li2EXadL_ZL17vec_dot_q5_0_q8_1PKvPK10block_q8_1RKiEEEvS2_S2_PT_PS6_iiii
    .private_segment_fixed_size: 0
    .sgpr_count:     24
    .sgpr_spill_count: 0
    .symbol:         _ZL9moe_vec_qIfLi32ELi4E10block_q5_0Li2EXadL_ZL17vec_dot_q5_0_q8_1PKvPK10block_q8_1RKiEEEvS2_S2_PT_PS6_iiii.kd
    .uniform_work_group_size: 1
    .uses_dynamic_stack: false
    .vgpr_count:     47
    .vgpr_spill_count: 0
    .wavefront_size: 32
  - .args:
      - .actual_access:  read_only
        .address_space:  global
        .offset:         0
        .size:           8
        .value_kind:     global_buffer
      - .actual_access:  read_only
        .address_space:  global
        .offset:         8
        .size:           8
        .value_kind:     global_buffer
      - .actual_access:  write_only
        .address_space:  global
        .offset:         16
        .size:           8
        .value_kind:     global_buffer
      - .address_space:  global
        .offset:         24
        .size:           8
        .value_kind:     global_buffer
      - .offset:         32
        .size:           4
        .value_kind:     by_value
      - .offset:         36
        .size:           4
        .value_kind:     by_value
      - .offset:         40
        .size:           4
        .value_kind:     by_value
      - .offset:         44
        .size:           4
        .value_kind:     by_value
      - .offset:         48
        .size:           4
        .value_kind:     hidden_block_count_x
      - .offset:         52
        .size:           4
        .value_kind:     hidden_block_count_y
      - .offset:         56
        .size:           4
        .value_kind:     hidden_block_count_z
      - .offset:         60
        .size:           2
        .value_kind:     hidden_group_size_x
      - .offset:         62
        .size:           2
        .value_kind:     hidden_group_size_y
      - .offset:         64
        .size:           2
        .value_kind:     hidden_group_size_z
      - .offset:         66
        .size:           2
        .value_kind:     hidden_remainder_x
      - .offset:         68
        .size:           2
        .value_kind:     hidden_remainder_y
      - .offset:         70
        .size:           2
        .value_kind:     hidden_remainder_z
      - .offset:         88
        .size:           8
        .value_kind:     hidden_global_offset_x
      - .offset:         96
        .size:           8
        .value_kind:     hidden_global_offset_y
      - .offset:         104
        .size:           8
        .value_kind:     hidden_global_offset_z
      - .offset:         112
        .size:           2
        .value_kind:     hidden_grid_dims
    .group_segment_fixed_size: 0
    .kernarg_segment_align: 8
    .kernarg_segment_size: 304
    .language:       OpenCL C
    .language_version:
      - 2
      - 0
    .max_flat_workgroup_size: 1024
    .name:           _ZL9moe_vec_qIfLi32ELi4E10block_q5_1Li2EXadL_ZL17vec_dot_q5_1_q8_1PKvPK10block_q8_1RKiEEEvS2_S2_PT_PS6_iiii
    .private_segment_fixed_size: 0
    .sgpr_count:     24
    .sgpr_spill_count: 0
    .symbol:         _ZL9moe_vec_qIfLi32ELi4E10block_q5_1Li2EXadL_ZL17vec_dot_q5_1_q8_1PKvPK10block_q8_1RKiEEEvS2_S2_PT_PS6_iiii.kd
    .uniform_work_group_size: 1
    .uses_dynamic_stack: false
    .vgpr_count:     47
    .vgpr_spill_count: 0
    .wavefront_size: 32
  - .args:
      - .actual_access:  read_only
        .address_space:  global
        .offset:         0
        .size:           8
        .value_kind:     global_buffer
      - .actual_access:  read_only
        .address_space:  global
        .offset:         8
        .size:           8
        .value_kind:     global_buffer
      - .actual_access:  write_only
        .address_space:  global
        .offset:         16
        .size:           8
        .value_kind:     global_buffer
      - .address_space:  global
        .offset:         24
        .size:           8
        .value_kind:     global_buffer
      - .offset:         32
        .size:           4
        .value_kind:     by_value
      - .offset:         36
        .size:           4
        .value_kind:     by_value
      - .offset:         40
        .size:           4
        .value_kind:     by_value
      - .offset:         44
        .size:           4
        .value_kind:     by_value
      - .offset:         48
        .size:           4
        .value_kind:     hidden_block_count_x
      - .offset:         52
        .size:           4
        .value_kind:     hidden_block_count_y
      - .offset:         56
        .size:           4
        .value_kind:     hidden_block_count_z
      - .offset:         60
        .size:           2
        .value_kind:     hidden_group_size_x
      - .offset:         62
        .size:           2
        .value_kind:     hidden_group_size_y
      - .offset:         64
        .size:           2
        .value_kind:     hidden_group_size_z
      - .offset:         66
        .size:           2
        .value_kind:     hidden_remainder_x
      - .offset:         68
        .size:           2
        .value_kind:     hidden_remainder_y
      - .offset:         70
        .size:           2
        .value_kind:     hidden_remainder_z
      - .offset:         88
        .size:           8
        .value_kind:     hidden_global_offset_x
      - .offset:         96
        .size:           8
        .value_kind:     hidden_global_offset_y
      - .offset:         104
        .size:           8
        .value_kind:     hidden_global_offset_z
      - .offset:         112
        .size:           2
        .value_kind:     hidden_grid_dims
    .group_segment_fixed_size: 0
    .kernarg_segment_align: 8
    .kernarg_segment_size: 304
    .language:       OpenCL C
    .language_version:
      - 2
      - 0
    .max_flat_workgroup_size: 1024
    .name:           _ZL9moe_vec_qIfLi32ELi8E10block_q8_0Li2EXadL_ZL17vec_dot_q8_0_q8_1PKvPK10block_q8_1RKiEEEvS2_S2_PT_PS6_iiii
    .private_segment_fixed_size: 0
    .sgpr_count:     23
    .sgpr_spill_count: 0
    .symbol:         _ZL9moe_vec_qIfLi32ELi8E10block_q8_0Li2EXadL_ZL17vec_dot_q8_0_q8_1PKvPK10block_q8_1RKiEEEvS2_S2_PT_PS6_iiii.kd
    .uniform_work_group_size: 1
    .uses_dynamic_stack: false
    .vgpr_count:     25
    .vgpr_spill_count: 0
    .wavefront_size: 32
  - .args:
      - .actual_access:  read_only
        .address_space:  global
        .offset:         0
        .size:           8
        .value_kind:     global_buffer
      - .actual_access:  read_only
        .address_space:  global
        .offset:         8
        .size:           8
        .value_kind:     global_buffer
      - .actual_access:  write_only
        .address_space:  global
        .offset:         16
        .size:           8
        .value_kind:     global_buffer
      - .address_space:  global
        .offset:         24
        .size:           8
        .value_kind:     global_buffer
      - .offset:         32
        .size:           4
        .value_kind:     by_value
      - .offset:         36
        .size:           4
        .value_kind:     by_value
      - .offset:         40
        .size:           4
        .value_kind:     by_value
      - .offset:         44
        .size:           4
        .value_kind:     by_value
      - .offset:         48
        .size:           4
        .value_kind:     hidden_block_count_x
      - .offset:         52
        .size:           4
        .value_kind:     hidden_block_count_y
      - .offset:         56
        .size:           4
        .value_kind:     hidden_block_count_z
      - .offset:         60
        .size:           2
        .value_kind:     hidden_group_size_x
      - .offset:         62
        .size:           2
        .value_kind:     hidden_group_size_y
      - .offset:         64
        .size:           2
        .value_kind:     hidden_group_size_z
      - .offset:         66
        .size:           2
        .value_kind:     hidden_remainder_x
      - .offset:         68
        .size:           2
        .value_kind:     hidden_remainder_y
      - .offset:         70
        .size:           2
        .value_kind:     hidden_remainder_z
      - .offset:         88
        .size:           8
        .value_kind:     hidden_global_offset_x
      - .offset:         96
        .size:           8
        .value_kind:     hidden_global_offset_y
      - .offset:         104
        .size:           8
        .value_kind:     hidden_global_offset_z
      - .offset:         112
        .size:           2
        .value_kind:     hidden_grid_dims
    .group_segment_fixed_size: 0
    .kernarg_segment_align: 8
    .kernarg_segment_size: 304
    .language:       OpenCL C
    .language_version:
      - 2
      - 0
    .max_flat_workgroup_size: 1024
    .name:           _ZL9moe_vec_qIfLi256ELi16E10block_q2_KLi1EXadL_ZL17vec_dot_q2_K_q8_1PKvPK10block_q8_1RKiEEEvS2_S2_PT_PS6_iiii
    .private_segment_fixed_size: 0
    .sgpr_count:     21
    .sgpr_spill_count: 0
    .symbol:         _ZL9moe_vec_qIfLi256ELi16E10block_q2_KLi1EXadL_ZL17vec_dot_q2_K_q8_1PKvPK10block_q8_1RKiEEEvS2_S2_PT_PS6_iiii.kd
    .uniform_work_group_size: 1
    .uses_dynamic_stack: false
    .vgpr_count:     62
    .vgpr_spill_count: 0
    .wavefront_size: 32
  - .args:
      - .actual_access:  read_only
        .address_space:  global
        .offset:         0
        .size:           8
        .value_kind:     global_buffer
      - .actual_access:  read_only
        .address_space:  global
        .offset:         8
        .size:           8
        .value_kind:     global_buffer
      - .actual_access:  write_only
        .address_space:  global
        .offset:         16
        .size:           8
        .value_kind:     global_buffer
      - .address_space:  global
        .offset:         24
        .size:           8
        .value_kind:     global_buffer
      - .offset:         32
        .size:           4
        .value_kind:     by_value
      - .offset:         36
        .size:           4
        .value_kind:     by_value
      - .offset:         40
        .size:           4
        .value_kind:     by_value
      - .offset:         44
        .size:           4
        .value_kind:     by_value
      - .offset:         48
        .size:           4
        .value_kind:     hidden_block_count_x
      - .offset:         52
        .size:           4
        .value_kind:     hidden_block_count_y
      - .offset:         56
        .size:           4
        .value_kind:     hidden_block_count_z
      - .offset:         60
        .size:           2
        .value_kind:     hidden_group_size_x
      - .offset:         62
        .size:           2
        .value_kind:     hidden_group_size_y
      - .offset:         64
        .size:           2
        .value_kind:     hidden_group_size_z
      - .offset:         66
        .size:           2
        .value_kind:     hidden_remainder_x
      - .offset:         68
        .size:           2
        .value_kind:     hidden_remainder_y
      - .offset:         70
        .size:           2
        .value_kind:     hidden_remainder_z
      - .offset:         88
        .size:           8
        .value_kind:     hidden_global_offset_x
      - .offset:         96
        .size:           8
        .value_kind:     hidden_global_offset_y
      - .offset:         104
        .size:           8
        .value_kind:     hidden_global_offset_z
      - .offset:         112
        .size:           2
        .value_kind:     hidden_grid_dims
    .group_segment_fixed_size: 0
    .kernarg_segment_align: 8
    .kernarg_segment_size: 304
    .language:       OpenCL C
    .language_version:
      - 2
      - 0
    .max_flat_workgroup_size: 1024
    .name:           _ZL9moe_vec_qIfLi256ELi16E10block_q3_KLi1EXadL_ZL17vec_dot_q3_K_q8_1PKvPK10block_q8_1RKiEEEvS2_S2_PT_PS6_iiii
    .private_segment_fixed_size: 0
    .sgpr_count:     21
    .sgpr_spill_count: 0
    .symbol:         _ZL9moe_vec_qIfLi256ELi16E10block_q3_KLi1EXadL_ZL17vec_dot_q3_K_q8_1PKvPK10block_q8_1RKiEEEvS2_S2_PT_PS6_iiii.kd
    .uniform_work_group_size: 1
    .uses_dynamic_stack: false
    .vgpr_count:     65
    .vgpr_spill_count: 0
    .wavefront_size: 32
  - .args:
      - .actual_access:  read_only
        .address_space:  global
        .offset:         0
        .size:           8
        .value_kind:     global_buffer
      - .actual_access:  read_only
        .address_space:  global
        .offset:         8
        .size:           8
        .value_kind:     global_buffer
      - .actual_access:  write_only
        .address_space:  global
        .offset:         16
        .size:           8
        .value_kind:     global_buffer
      - .address_space:  global
        .offset:         24
        .size:           8
        .value_kind:     global_buffer
      - .offset:         32
        .size:           4
        .value_kind:     by_value
      - .offset:         36
        .size:           4
        .value_kind:     by_value
      - .offset:         40
        .size:           4
        .value_kind:     by_value
      - .offset:         44
        .size:           4
        .value_kind:     by_value
      - .offset:         48
        .size:           4
        .value_kind:     hidden_block_count_x
      - .offset:         52
        .size:           4
        .value_kind:     hidden_block_count_y
      - .offset:         56
        .size:           4
        .value_kind:     hidden_block_count_z
      - .offset:         60
        .size:           2
        .value_kind:     hidden_group_size_x
      - .offset:         62
        .size:           2
        .value_kind:     hidden_group_size_y
      - .offset:         64
        .size:           2
        .value_kind:     hidden_group_size_z
      - .offset:         66
        .size:           2
        .value_kind:     hidden_remainder_x
      - .offset:         68
        .size:           2
        .value_kind:     hidden_remainder_y
      - .offset:         70
        .size:           2
        .value_kind:     hidden_remainder_z
      - .offset:         88
        .size:           8
        .value_kind:     hidden_global_offset_x
      - .offset:         96
        .size:           8
        .value_kind:     hidden_global_offset_y
      - .offset:         104
        .size:           8
        .value_kind:     hidden_global_offset_z
      - .offset:         112
        .size:           2
        .value_kind:     hidden_grid_dims
    .group_segment_fixed_size: 0
    .kernarg_segment_align: 8
    .kernarg_segment_size: 304
    .language:       OpenCL C
    .language_version:
      - 2
      - 0
    .max_flat_workgroup_size: 1024
    .name:           _ZL9moe_vec_qIfLi256ELi32E10block_q4_KLi2EXadL_ZL17vec_dot_q4_K_q8_1PKvPK10block_q8_1RKiEEEvS2_S2_PT_PS6_iiii
    .private_segment_fixed_size: 0
    .sgpr_count:     21
    .sgpr_spill_count: 0
    .symbol:         _ZL9moe_vec_qIfLi256ELi32E10block_q4_KLi2EXadL_ZL17vec_dot_q4_K_q8_1PKvPK10block_q8_1RKiEEEvS2_S2_PT_PS6_iiii.kd
    .uniform_work_group_size: 1
    .uses_dynamic_stack: false
    .vgpr_count:     55
    .vgpr_spill_count: 0
    .wavefront_size: 32
  - .args:
      - .actual_access:  read_only
        .address_space:  global
        .offset:         0
        .size:           8
        .value_kind:     global_buffer
      - .actual_access:  read_only
        .address_space:  global
        .offset:         8
        .size:           8
        .value_kind:     global_buffer
      - .actual_access:  write_only
        .address_space:  global
        .offset:         16
        .size:           8
        .value_kind:     global_buffer
      - .address_space:  global
        .offset:         24
        .size:           8
        .value_kind:     global_buffer
      - .offset:         32
        .size:           4
        .value_kind:     by_value
      - .offset:         36
        .size:           4
        .value_kind:     by_value
      - .offset:         40
        .size:           4
        .value_kind:     by_value
      - .offset:         44
        .size:           4
        .value_kind:     by_value
      - .offset:         48
        .size:           4
        .value_kind:     hidden_block_count_x
      - .offset:         52
        .size:           4
        .value_kind:     hidden_block_count_y
      - .offset:         56
        .size:           4
        .value_kind:     hidden_block_count_z
      - .offset:         60
        .size:           2
        .value_kind:     hidden_group_size_x
      - .offset:         62
        .size:           2
        .value_kind:     hidden_group_size_y
      - .offset:         64
        .size:           2
        .value_kind:     hidden_group_size_z
      - .offset:         66
        .size:           2
        .value_kind:     hidden_remainder_x
      - .offset:         68
        .size:           2
        .value_kind:     hidden_remainder_y
      - .offset:         70
        .size:           2
        .value_kind:     hidden_remainder_z
      - .offset:         88
        .size:           8
        .value_kind:     hidden_global_offset_x
      - .offset:         96
        .size:           8
        .value_kind:     hidden_global_offset_y
      - .offset:         104
        .size:           8
        .value_kind:     hidden_global_offset_z
      - .offset:         112
        .size:           2
        .value_kind:     hidden_grid_dims
    .group_segment_fixed_size: 0
    .kernarg_segment_align: 8
    .kernarg_segment_size: 304
    .language:       OpenCL C
    .language_version:
      - 2
      - 0
    .max_flat_workgroup_size: 1024
    .name:           _ZL9moe_vec_qIfLi256ELi32E10block_q5_KLi2EXadL_ZL17vec_dot_q5_K_q8_1PKvPK10block_q8_1RKiEEEvS2_S2_PT_PS6_iiii
    .private_segment_fixed_size: 0
    .sgpr_count:     21
    .sgpr_spill_count: 0
    .symbol:         _ZL9moe_vec_qIfLi256ELi32E10block_q5_KLi2EXadL_ZL17vec_dot_q5_K_q8_1PKvPK10block_q8_1RKiEEEvS2_S2_PT_PS6_iiii.kd
    .uniform_work_group_size: 1
    .uses_dynamic_stack: false
    .vgpr_count:     56
    .vgpr_spill_count: 0
    .wavefront_size: 32
  - .args:
      - .actual_access:  read_only
        .address_space:  global
        .offset:         0
        .size:           8
        .value_kind:     global_buffer
      - .actual_access:  read_only
        .address_space:  global
        .offset:         8
        .size:           8
        .value_kind:     global_buffer
      - .actual_access:  write_only
        .address_space:  global
        .offset:         16
        .size:           8
        .value_kind:     global_buffer
      - .address_space:  global
        .offset:         24
        .size:           8
        .value_kind:     global_buffer
      - .offset:         32
        .size:           4
        .value_kind:     by_value
      - .offset:         36
        .size:           4
        .value_kind:     by_value
      - .offset:         40
        .size:           4
        .value_kind:     by_value
      - .offset:         44
        .size:           4
        .value_kind:     by_value
      - .offset:         48
        .size:           4
        .value_kind:     hidden_block_count_x
      - .offset:         52
        .size:           4
        .value_kind:     hidden_block_count_y
      - .offset:         56
        .size:           4
        .value_kind:     hidden_block_count_z
      - .offset:         60
        .size:           2
        .value_kind:     hidden_group_size_x
      - .offset:         62
        .size:           2
        .value_kind:     hidden_group_size_y
      - .offset:         64
        .size:           2
        .value_kind:     hidden_group_size_z
      - .offset:         66
        .size:           2
        .value_kind:     hidden_remainder_x
      - .offset:         68
        .size:           2
        .value_kind:     hidden_remainder_y
      - .offset:         70
        .size:           2
        .value_kind:     hidden_remainder_z
      - .offset:         88
        .size:           8
        .value_kind:     hidden_global_offset_x
      - .offset:         96
        .size:           8
        .value_kind:     hidden_global_offset_y
      - .offset:         104
        .size:           8
        .value_kind:     hidden_global_offset_z
      - .offset:         112
        .size:           2
        .value_kind:     hidden_grid_dims
    .group_segment_fixed_size: 0
    .kernarg_segment_align: 8
    .kernarg_segment_size: 304
    .language:       OpenCL C
    .language_version:
      - 2
      - 0
    .max_flat_workgroup_size: 1024
    .name:           _ZL9moe_vec_qIfLi256ELi32E10block_q6_KLi1EXadL_ZL17vec_dot_q6_K_q8_1PKvPK10block_q8_1RKiEEEvS2_S2_PT_PS6_iiii
    .private_segment_fixed_size: 0
    .sgpr_count:     21
    .sgpr_spill_count: 0
    .symbol:         _ZL9moe_vec_qIfLi256ELi32E10block_q6_KLi1EXadL_ZL17vec_dot_q6_K_q8_1PKvPK10block_q8_1RKiEEEvS2_S2_PT_PS6_iiii.kd
    .uniform_work_group_size: 1
    .uses_dynamic_stack: false
    .vgpr_count:     38
    .vgpr_spill_count: 0
    .wavefront_size: 32
  - .args:
      - .actual_access:  read_only
        .address_space:  global
        .offset:         0
        .size:           8
        .value_kind:     global_buffer
      - .actual_access:  read_only
        .address_space:  global
        .offset:         8
        .size:           8
        .value_kind:     global_buffer
      - .actual_access:  write_only
        .address_space:  global
        .offset:         16
        .size:           8
        .value_kind:     global_buffer
      - .address_space:  global
        .offset:         24
        .size:           8
        .value_kind:     global_buffer
      - .offset:         32
        .size:           4
        .value_kind:     by_value
      - .offset:         36
        .size:           4
        .value_kind:     by_value
      - .offset:         40
        .size:           4
        .value_kind:     by_value
      - .offset:         44
        .size:           4
        .value_kind:     by_value
      - .offset:         48
        .size:           4
        .value_kind:     hidden_block_count_x
      - .offset:         52
        .size:           4
        .value_kind:     hidden_block_count_y
      - .offset:         56
        .size:           4
        .value_kind:     hidden_block_count_z
      - .offset:         60
        .size:           2
        .value_kind:     hidden_group_size_x
      - .offset:         62
        .size:           2
        .value_kind:     hidden_group_size_y
      - .offset:         64
        .size:           2
        .value_kind:     hidden_group_size_z
      - .offset:         66
        .size:           2
        .value_kind:     hidden_remainder_x
      - .offset:         68
        .size:           2
        .value_kind:     hidden_remainder_y
      - .offset:         70
        .size:           2
        .value_kind:     hidden_remainder_z
      - .offset:         88
        .size:           8
        .value_kind:     hidden_global_offset_x
      - .offset:         96
        .size:           8
        .value_kind:     hidden_global_offset_y
      - .offset:         104
        .size:           8
        .value_kind:     hidden_global_offset_z
      - .offset:         112
        .size:           2
        .value_kind:     hidden_grid_dims
    .group_segment_fixed_size: 0
    .kernarg_segment_align: 8
    .kernarg_segment_size: 304
    .language:       OpenCL C
    .language_version:
      - 2
      - 0
    .max_flat_workgroup_size: 1024
    .name:           _ZL9moe_vec_qIfLi256ELi8E13block_iq2_xxsLi1EXadL_ZL20vec_dot_iq2_xxs_q8_1PKvPK10block_q8_1RKiEEEvS2_S2_PT_PS6_iiii
    .private_segment_fixed_size: 0
    .sgpr_count:     25
    .sgpr_spill_count: 0
    .symbol:         _ZL9moe_vec_qIfLi256ELi8E13block_iq2_xxsLi1EXadL_ZL20vec_dot_iq2_xxs_q8_1PKvPK10block_q8_1RKiEEEvS2_S2_PT_PS6_iiii.kd
    .uniform_work_group_size: 1
    .uses_dynamic_stack: false
    .vgpr_count:     64
    .vgpr_spill_count: 0
    .wavefront_size: 32
  - .args:
      - .actual_access:  read_only
        .address_space:  global
        .offset:         0
        .size:           8
        .value_kind:     global_buffer
      - .actual_access:  read_only
        .address_space:  global
        .offset:         8
        .size:           8
        .value_kind:     global_buffer
      - .actual_access:  write_only
        .address_space:  global
        .offset:         16
        .size:           8
        .value_kind:     global_buffer
      - .address_space:  global
        .offset:         24
        .size:           8
        .value_kind:     global_buffer
      - .offset:         32
        .size:           4
        .value_kind:     by_value
      - .offset:         36
        .size:           4
        .value_kind:     by_value
      - .offset:         40
        .size:           4
        .value_kind:     by_value
      - .offset:         44
        .size:           4
        .value_kind:     by_value
      - .offset:         48
        .size:           4
        .value_kind:     hidden_block_count_x
      - .offset:         52
        .size:           4
        .value_kind:     hidden_block_count_y
      - .offset:         56
        .size:           4
        .value_kind:     hidden_block_count_z
      - .offset:         60
        .size:           2
        .value_kind:     hidden_group_size_x
      - .offset:         62
        .size:           2
        .value_kind:     hidden_group_size_y
      - .offset:         64
        .size:           2
        .value_kind:     hidden_group_size_z
      - .offset:         66
        .size:           2
        .value_kind:     hidden_remainder_x
      - .offset:         68
        .size:           2
        .value_kind:     hidden_remainder_y
      - .offset:         70
        .size:           2
        .value_kind:     hidden_remainder_z
      - .offset:         88
        .size:           8
        .value_kind:     hidden_global_offset_x
      - .offset:         96
        .size:           8
        .value_kind:     hidden_global_offset_y
      - .offset:         104
        .size:           8
        .value_kind:     hidden_global_offset_z
      - .offset:         112
        .size:           2
        .value_kind:     hidden_grid_dims
    .group_segment_fixed_size: 0
    .kernarg_segment_align: 8
    .kernarg_segment_size: 304
    .language:       OpenCL C
    .language_version:
      - 2
      - 0
    .max_flat_workgroup_size: 1024
    .name:           _ZL9moe_vec_qIfLi256ELi8E12block_iq2_xsLi1EXadL_ZL19vec_dot_iq2_xs_q8_1PKvPK10block_q8_1RKiEEEvS2_S2_PT_PS6_iiii
    .private_segment_fixed_size: 0
    .sgpr_count:     46
    .sgpr_spill_count: 0
    .symbol:         _ZL9moe_vec_qIfLi256ELi8E12block_iq2_xsLi1EXadL_ZL19vec_dot_iq2_xs_q8_1PKvPK10block_q8_1RKiEEEvS2_S2_PT_PS6_iiii.kd
    .uniform_work_group_size: 1
    .uses_dynamic_stack: false
    .vgpr_count:     84
    .vgpr_spill_count: 0
    .wavefront_size: 32
  - .args:
      - .actual_access:  read_only
        .address_space:  global
        .offset:         0
        .size:           8
        .value_kind:     global_buffer
      - .actual_access:  read_only
        .address_space:  global
        .offset:         8
        .size:           8
        .value_kind:     global_buffer
      - .actual_access:  write_only
        .address_space:  global
        .offset:         16
        .size:           8
        .value_kind:     global_buffer
      - .address_space:  global
        .offset:         24
        .size:           8
        .value_kind:     global_buffer
      - .offset:         32
        .size:           4
        .value_kind:     by_value
      - .offset:         36
        .size:           4
        .value_kind:     by_value
      - .offset:         40
        .size:           4
        .value_kind:     by_value
      - .offset:         44
        .size:           4
        .value_kind:     by_value
      - .offset:         48
        .size:           4
        .value_kind:     hidden_block_count_x
      - .offset:         52
        .size:           4
        .value_kind:     hidden_block_count_y
      - .offset:         56
        .size:           4
        .value_kind:     hidden_block_count_z
      - .offset:         60
        .size:           2
        .value_kind:     hidden_group_size_x
      - .offset:         62
        .size:           2
        .value_kind:     hidden_group_size_y
      - .offset:         64
        .size:           2
        .value_kind:     hidden_group_size_z
      - .offset:         66
        .size:           2
        .value_kind:     hidden_remainder_x
      - .offset:         68
        .size:           2
        .value_kind:     hidden_remainder_y
      - .offset:         70
        .size:           2
        .value_kind:     hidden_remainder_z
      - .offset:         88
        .size:           8
        .value_kind:     hidden_global_offset_x
      - .offset:         96
        .size:           8
        .value_kind:     hidden_global_offset_y
      - .offset:         104
        .size:           8
        .value_kind:     hidden_global_offset_z
      - .offset:         112
        .size:           2
        .value_kind:     hidden_grid_dims
    .group_segment_fixed_size: 0
    .kernarg_segment_align: 8
    .kernarg_segment_size: 304
    .language:       OpenCL C
    .language_version:
      - 2
      - 0
    .max_flat_workgroup_size: 1024
    .name:           _ZL9moe_vec_qIfLi256ELi8E13block_iq3_xxsLi1EXadL_ZL20vec_dot_iq3_xxs_q8_1PKvPK10block_q8_1RKiEEEvS2_S2_PT_PS6_iiii
    .private_segment_fixed_size: 0
    .sgpr_count:     21
    .sgpr_spill_count: 0
    .symbol:         _ZL9moe_vec_qIfLi256ELi8E13block_iq3_xxsLi1EXadL_ZL20vec_dot_iq3_xxs_q8_1PKvPK10block_q8_1RKiEEEvS2_S2_PT_PS6_iiii.kd
    .uniform_work_group_size: 1
    .uses_dynamic_stack: false
    .vgpr_count:     41
    .vgpr_spill_count: 0
    .wavefront_size: 32
  - .args:
      - .actual_access:  read_only
        .address_space:  global
        .offset:         0
        .size:           8
        .value_kind:     global_buffer
      - .actual_access:  read_only
        .address_space:  global
        .offset:         8
        .size:           8
        .value_kind:     global_buffer
      - .actual_access:  write_only
        .address_space:  global
        .offset:         16
        .size:           8
        .value_kind:     global_buffer
      - .address_space:  global
        .offset:         24
        .size:           8
        .value_kind:     global_buffer
      - .offset:         32
        .size:           4
        .value_kind:     by_value
      - .offset:         36
        .size:           4
        .value_kind:     by_value
      - .offset:         40
        .size:           4
        .value_kind:     by_value
      - .offset:         44
        .size:           4
        .value_kind:     by_value
      - .offset:         48
        .size:           4
        .value_kind:     hidden_block_count_x
      - .offset:         52
        .size:           4
        .value_kind:     hidden_block_count_y
      - .offset:         56
        .size:           4
        .value_kind:     hidden_block_count_z
      - .offset:         60
        .size:           2
        .value_kind:     hidden_group_size_x
      - .offset:         62
        .size:           2
        .value_kind:     hidden_group_size_y
      - .offset:         64
        .size:           2
        .value_kind:     hidden_group_size_z
      - .offset:         66
        .size:           2
        .value_kind:     hidden_remainder_x
      - .offset:         68
        .size:           2
        .value_kind:     hidden_remainder_y
      - .offset:         70
        .size:           2
        .value_kind:     hidden_remainder_z
      - .offset:         88
        .size:           8
        .value_kind:     hidden_global_offset_x
      - .offset:         96
        .size:           8
        .value_kind:     hidden_global_offset_y
      - .offset:         104
        .size:           8
        .value_kind:     hidden_global_offset_z
      - .offset:         112
        .size:           2
        .value_kind:     hidden_grid_dims
    .group_segment_fixed_size: 0
    .kernarg_segment_align: 8
    .kernarg_segment_size: 304
    .language:       OpenCL C
    .language_version:
      - 2
      - 0
    .max_flat_workgroup_size: 1024
    .name:           _ZL9moe_vec_qIfLi256ELi8E11block_iq1_sLi1EXadL_ZL18vec_dot_iq1_s_q8_1PKvPK10block_q8_1RKiEEEvS2_S2_PT_PS6_iiii
    .private_segment_fixed_size: 0
    .sgpr_count:     20
    .sgpr_spill_count: 0
    .symbol:         _ZL9moe_vec_qIfLi256ELi8E11block_iq1_sLi1EXadL_ZL18vec_dot_iq1_s_q8_1PKvPK10block_q8_1RKiEEEvS2_S2_PT_PS6_iiii.kd
    .uniform_work_group_size: 1
    .uses_dynamic_stack: false
    .vgpr_count:     62
    .vgpr_spill_count: 0
    .wavefront_size: 32
  - .args:
      - .actual_access:  read_only
        .address_space:  global
        .offset:         0
        .size:           8
        .value_kind:     global_buffer
      - .actual_access:  read_only
        .address_space:  global
        .offset:         8
        .size:           8
        .value_kind:     global_buffer
      - .actual_access:  write_only
        .address_space:  global
        .offset:         16
        .size:           8
        .value_kind:     global_buffer
      - .address_space:  global
        .offset:         24
        .size:           8
        .value_kind:     global_buffer
      - .offset:         32
        .size:           4
        .value_kind:     by_value
      - .offset:         36
        .size:           4
        .value_kind:     by_value
      - .offset:         40
        .size:           4
        .value_kind:     by_value
      - .offset:         44
        .size:           4
        .value_kind:     by_value
      - .offset:         48
        .size:           4
        .value_kind:     hidden_block_count_x
      - .offset:         52
        .size:           4
        .value_kind:     hidden_block_count_y
      - .offset:         56
        .size:           4
        .value_kind:     hidden_block_count_z
      - .offset:         60
        .size:           2
        .value_kind:     hidden_group_size_x
      - .offset:         62
        .size:           2
        .value_kind:     hidden_group_size_y
      - .offset:         64
        .size:           2
        .value_kind:     hidden_group_size_z
      - .offset:         66
        .size:           2
        .value_kind:     hidden_remainder_x
      - .offset:         68
        .size:           2
        .value_kind:     hidden_remainder_y
      - .offset:         70
        .size:           2
        .value_kind:     hidden_remainder_z
      - .offset:         88
        .size:           8
        .value_kind:     hidden_global_offset_x
      - .offset:         96
        .size:           8
        .value_kind:     hidden_global_offset_y
      - .offset:         104
        .size:           8
        .value_kind:     hidden_global_offset_z
      - .offset:         112
        .size:           2
        .value_kind:     hidden_grid_dims
    .group_segment_fixed_size: 0
    .kernarg_segment_align: 8
    .kernarg_segment_size: 304
    .language:       OpenCL C
    .language_version:
      - 2
      - 0
    .max_flat_workgroup_size: 1024
    .name:           _ZL9moe_vec_qIfLi32ELi4E12block_iq4_nlLi2EXadL_ZL19vec_dot_iq4_nl_q8_1PKvPK10block_q8_1RKiEEEvS2_S2_PT_PS6_iiii
    .private_segment_fixed_size: 0
    .sgpr_count:     26
    .sgpr_spill_count: 0
    .symbol:         _ZL9moe_vec_qIfLi32ELi4E12block_iq4_nlLi2EXadL_ZL19vec_dot_iq4_nl_q8_1PKvPK10block_q8_1RKiEEEvS2_S2_PT_PS6_iiii.kd
    .uniform_work_group_size: 1
    .uses_dynamic_stack: false
    .vgpr_count:     45
    .vgpr_spill_count: 0
    .wavefront_size: 32
  - .args:
      - .actual_access:  read_only
        .address_space:  global
        .offset:         0
        .size:           8
        .value_kind:     global_buffer
      - .actual_access:  read_only
        .address_space:  global
        .offset:         8
        .size:           8
        .value_kind:     global_buffer
      - .actual_access:  write_only
        .address_space:  global
        .offset:         16
        .size:           8
        .value_kind:     global_buffer
      - .address_space:  global
        .offset:         24
        .size:           8
        .value_kind:     global_buffer
      - .offset:         32
        .size:           4
        .value_kind:     by_value
      - .offset:         36
        .size:           4
        .value_kind:     by_value
      - .offset:         40
        .size:           4
        .value_kind:     by_value
      - .offset:         44
        .size:           4
        .value_kind:     by_value
      - .offset:         48
        .size:           4
        .value_kind:     hidden_block_count_x
      - .offset:         52
        .size:           4
        .value_kind:     hidden_block_count_y
      - .offset:         56
        .size:           4
        .value_kind:     hidden_block_count_z
      - .offset:         60
        .size:           2
        .value_kind:     hidden_group_size_x
      - .offset:         62
        .size:           2
        .value_kind:     hidden_group_size_y
      - .offset:         64
        .size:           2
        .value_kind:     hidden_group_size_z
      - .offset:         66
        .size:           2
        .value_kind:     hidden_remainder_x
      - .offset:         68
        .size:           2
        .value_kind:     hidden_remainder_y
      - .offset:         70
        .size:           2
        .value_kind:     hidden_remainder_z
      - .offset:         88
        .size:           8
        .value_kind:     hidden_global_offset_x
      - .offset:         96
        .size:           8
        .value_kind:     hidden_global_offset_y
      - .offset:         104
        .size:           8
        .value_kind:     hidden_global_offset_z
      - .offset:         112
        .size:           2
        .value_kind:     hidden_grid_dims
    .group_segment_fixed_size: 0
    .kernarg_segment_align: 8
    .kernarg_segment_size: 304
    .language:       OpenCL C
    .language_version:
      - 2
      - 0
    .max_flat_workgroup_size: 1024
    .name:           _ZL9moe_vec_qIfLi256ELi8E11block_iq3_sLi1EXadL_ZL18vec_dot_iq3_s_q8_1PKvPK10block_q8_1RKiEEEvS2_S2_PT_PS6_iiii
    .private_segment_fixed_size: 0
    .sgpr_count:     21
    .sgpr_spill_count: 0
    .symbol:         _ZL9moe_vec_qIfLi256ELi8E11block_iq3_sLi1EXadL_ZL18vec_dot_iq3_s_q8_1PKvPK10block_q8_1RKiEEEvS2_S2_PT_PS6_iiii.kd
    .uniform_work_group_size: 1
    .uses_dynamic_stack: false
    .vgpr_count:     49
    .vgpr_spill_count: 0
    .wavefront_size: 32
  - .args:
      - .actual_access:  read_only
        .address_space:  global
        .offset:         0
        .size:           8
        .value_kind:     global_buffer
      - .actual_access:  read_only
        .address_space:  global
        .offset:         8
        .size:           8
        .value_kind:     global_buffer
      - .actual_access:  write_only
        .address_space:  global
        .offset:         16
        .size:           8
        .value_kind:     global_buffer
      - .address_space:  global
        .offset:         24
        .size:           8
        .value_kind:     global_buffer
      - .offset:         32
        .size:           4
        .value_kind:     by_value
      - .offset:         36
        .size:           4
        .value_kind:     by_value
      - .offset:         40
        .size:           4
        .value_kind:     by_value
      - .offset:         44
        .size:           4
        .value_kind:     by_value
      - .offset:         48
        .size:           4
        .value_kind:     hidden_block_count_x
      - .offset:         52
        .size:           4
        .value_kind:     hidden_block_count_y
      - .offset:         56
        .size:           4
        .value_kind:     hidden_block_count_z
      - .offset:         60
        .size:           2
        .value_kind:     hidden_group_size_x
      - .offset:         62
        .size:           2
        .value_kind:     hidden_group_size_y
      - .offset:         64
        .size:           2
        .value_kind:     hidden_group_size_z
      - .offset:         66
        .size:           2
        .value_kind:     hidden_remainder_x
      - .offset:         68
        .size:           2
        .value_kind:     hidden_remainder_y
      - .offset:         70
        .size:           2
        .value_kind:     hidden_remainder_z
      - .offset:         88
        .size:           8
        .value_kind:     hidden_global_offset_x
      - .offset:         96
        .size:           8
        .value_kind:     hidden_global_offset_y
      - .offset:         104
        .size:           8
        .value_kind:     hidden_global_offset_z
      - .offset:         112
        .size:           2
        .value_kind:     hidden_grid_dims
    .group_segment_fixed_size: 0
    .kernarg_segment_align: 8
    .kernarg_segment_size: 304
    .language:       OpenCL C
    .language_version:
      - 2
      - 0
    .max_flat_workgroup_size: 1024
    .name:           _ZL9moe_vec_qIfLi256ELi8E11block_iq2_sLi1EXadL_ZL18vec_dot_iq2_s_q8_1PKvPK10block_q8_1RKiEEEvS2_S2_PT_PS6_iiii
    .private_segment_fixed_size: 0
    .sgpr_count:     22
    .sgpr_spill_count: 0
    .symbol:         _ZL9moe_vec_qIfLi256ELi8E11block_iq2_sLi1EXadL_ZL18vec_dot_iq2_s_q8_1PKvPK10block_q8_1RKiEEEvS2_S2_PT_PS6_iiii.kd
    .uniform_work_group_size: 1
    .uses_dynamic_stack: false
    .vgpr_count:     72
    .vgpr_spill_count: 0
    .wavefront_size: 32
  - .args:
      - .actual_access:  read_only
        .address_space:  global
        .offset:         0
        .size:           8
        .value_kind:     global_buffer
      - .actual_access:  read_only
        .address_space:  global
        .offset:         8
        .size:           8
        .value_kind:     global_buffer
      - .actual_access:  write_only
        .address_space:  global
        .offset:         16
        .size:           8
        .value_kind:     global_buffer
      - .address_space:  global
        .offset:         24
        .size:           8
        .value_kind:     global_buffer
      - .offset:         32
        .size:           4
        .value_kind:     by_value
      - .offset:         36
        .size:           4
        .value_kind:     by_value
      - .offset:         40
        .size:           4
        .value_kind:     by_value
      - .offset:         44
        .size:           4
        .value_kind:     by_value
      - .offset:         48
        .size:           4
        .value_kind:     hidden_block_count_x
      - .offset:         52
        .size:           4
        .value_kind:     hidden_block_count_y
      - .offset:         56
        .size:           4
        .value_kind:     hidden_block_count_z
      - .offset:         60
        .size:           2
        .value_kind:     hidden_group_size_x
      - .offset:         62
        .size:           2
        .value_kind:     hidden_group_size_y
      - .offset:         64
        .size:           2
        .value_kind:     hidden_group_size_z
      - .offset:         66
        .size:           2
        .value_kind:     hidden_remainder_x
      - .offset:         68
        .size:           2
        .value_kind:     hidden_remainder_y
      - .offset:         70
        .size:           2
        .value_kind:     hidden_remainder_z
      - .offset:         88
        .size:           8
        .value_kind:     hidden_global_offset_x
      - .offset:         96
        .size:           8
        .value_kind:     hidden_global_offset_y
      - .offset:         104
        .size:           8
        .value_kind:     hidden_global_offset_z
      - .offset:         112
        .size:           2
        .value_kind:     hidden_grid_dims
    .group_segment_fixed_size: 0
    .kernarg_segment_align: 8
    .kernarg_segment_size: 304
    .language:       OpenCL C
    .language_version:
      - 2
      - 0
    .max_flat_workgroup_size: 1024
    .name:           _ZL9moe_vec_qIfLi256ELi8E12block_iq4_xsLi1EXadL_ZL19vec_dot_iq4_xs_q8_1PKvPK10block_q8_1RKiEEEvS2_S2_PT_PS6_iiii
    .private_segment_fixed_size: 0
    .sgpr_count:     21
    .sgpr_spill_count: 0
    .symbol:         _ZL9moe_vec_qIfLi256ELi8E12block_iq4_xsLi1EXadL_ZL19vec_dot_iq4_xs_q8_1PKvPK10block_q8_1RKiEEEvS2_S2_PT_PS6_iiii.kd
    .uniform_work_group_size: 1
    .uses_dynamic_stack: false
    .vgpr_count:     64
    .vgpr_spill_count: 0
    .wavefront_size: 32
  - .args:
      - .actual_access:  read_only
        .address_space:  global
        .offset:         0
        .size:           8
        .value_kind:     global_buffer
      - .actual_access:  read_only
        .address_space:  global
        .offset:         8
        .size:           8
        .value_kind:     global_buffer
      - .actual_access:  write_only
        .address_space:  global
        .offset:         16
        .size:           8
        .value_kind:     global_buffer
      - .address_space:  global
        .offset:         24
        .size:           8
        .value_kind:     global_buffer
      - .offset:         32
        .size:           4
        .value_kind:     by_value
      - .offset:         36
        .size:           4
        .value_kind:     by_value
      - .offset:         40
        .size:           4
        .value_kind:     by_value
      - .offset:         44
        .size:           4
        .value_kind:     by_value
      - .offset:         48
        .size:           4
        .value_kind:     hidden_block_count_x
      - .offset:         52
        .size:           4
        .value_kind:     hidden_block_count_y
      - .offset:         56
        .size:           4
        .value_kind:     hidden_block_count_z
      - .offset:         60
        .size:           2
        .value_kind:     hidden_group_size_x
      - .offset:         62
        .size:           2
        .value_kind:     hidden_group_size_y
      - .offset:         64
        .size:           2
        .value_kind:     hidden_group_size_z
      - .offset:         66
        .size:           2
        .value_kind:     hidden_remainder_x
      - .offset:         68
        .size:           2
        .value_kind:     hidden_remainder_y
      - .offset:         70
        .size:           2
        .value_kind:     hidden_remainder_z
      - .offset:         88
        .size:           8
        .value_kind:     hidden_global_offset_x
      - .offset:         96
        .size:           8
        .value_kind:     hidden_global_offset_y
      - .offset:         104
        .size:           8
        .value_kind:     hidden_global_offset_z
      - .offset:         112
        .size:           2
        .value_kind:     hidden_grid_dims
    .group_segment_fixed_size: 0
    .kernarg_segment_align: 8
    .kernarg_segment_size: 304
    .language:       OpenCL C
    .language_version:
      - 2
      - 0
    .max_flat_workgroup_size: 1024
    .name:           _ZL9moe_vec_qIfLi256ELi8E11block_iq1_mLi1EXadL_ZL18vec_dot_iq1_m_q8_1PKvPK10block_q8_1RKiEEEvS2_S2_PT_PS6_iiii
    .private_segment_fixed_size: 0
    .sgpr_count:     21
    .sgpr_spill_count: 0
    .symbol:         _ZL9moe_vec_qIfLi256ELi8E11block_iq1_mLi1EXadL_ZL18vec_dot_iq1_m_q8_1PKvPK10block_q8_1RKiEEEvS2_S2_PT_PS6_iiii.kd
    .uniform_work_group_size: 1
    .uses_dynamic_stack: false
    .vgpr_count:     63
    .vgpr_spill_count: 0
    .wavefront_size: 32
  - .args:
      - .actual_access:  read_only
        .address_space:  global
        .offset:         0
        .size:           8
        .value_kind:     global_buffer
      - .actual_access:  read_only
        .address_space:  global
        .offset:         8
        .size:           8
        .value_kind:     global_buffer
      - .actual_access:  write_only
        .address_space:  global
        .offset:         16
        .size:           8
        .value_kind:     global_buffer
      - .address_space:  global
        .offset:         24
        .size:           8
        .value_kind:     global_buffer
      - .offset:         32
        .size:           4
        .value_kind:     by_value
      - .offset:         36
        .size:           4
        .value_kind:     by_value
      - .offset:         40
        .size:           4
        .value_kind:     by_value
      - .offset:         44
        .size:           4
        .value_kind:     by_value
      - .offset:         48
        .size:           4
        .value_kind:     hidden_block_count_x
      - .offset:         52
        .size:           4
        .value_kind:     hidden_block_count_y
      - .offset:         56
        .size:           4
        .value_kind:     hidden_block_count_z
      - .offset:         60
        .size:           2
        .value_kind:     hidden_group_size_x
      - .offset:         62
        .size:           2
        .value_kind:     hidden_group_size_y
      - .offset:         64
        .size:           2
        .value_kind:     hidden_group_size_z
      - .offset:         66
        .size:           2
        .value_kind:     hidden_remainder_x
      - .offset:         68
        .size:           2
        .value_kind:     hidden_remainder_y
      - .offset:         70
        .size:           2
        .value_kind:     hidden_remainder_z
      - .offset:         88
        .size:           8
        .value_kind:     hidden_global_offset_x
      - .offset:         96
        .size:           8
        .value_kind:     hidden_global_offset_y
      - .offset:         104
        .size:           8
        .value_kind:     hidden_global_offset_z
      - .offset:         112
        .size:           2
        .value_kind:     hidden_grid_dims
    .group_segment_fixed_size: 0
    .kernarg_segment_align: 8
    .kernarg_segment_size: 304
    .language:       OpenCL C
    .language_version:
      - 2
      - 0
    .max_flat_workgroup_size: 1024
    .name:           _ZL9moe_vec_qIN3c104HalfELi32ELi4E10block_q4_0Li2EXadL_ZL17vec_dot_q4_0_q8_1PKvPK10block_q8_1RKiEEEvS4_S4_PT_PS8_iiii
    .private_segment_fixed_size: 0
    .sgpr_count:     23
    .sgpr_spill_count: 0
    .symbol:         _ZL9moe_vec_qIN3c104HalfELi32ELi4E10block_q4_0Li2EXadL_ZL17vec_dot_q4_0_q8_1PKvPK10block_q8_1RKiEEEvS4_S4_PT_PS8_iiii.kd
    .uniform_work_group_size: 1
    .uses_dynamic_stack: false
    .vgpr_count:     42
    .vgpr_spill_count: 0
    .wavefront_size: 32
  - .args:
      - .actual_access:  read_only
        .address_space:  global
        .offset:         0
        .size:           8
        .value_kind:     global_buffer
      - .actual_access:  read_only
        .address_space:  global
        .offset:         8
        .size:           8
        .value_kind:     global_buffer
      - .actual_access:  write_only
        .address_space:  global
        .offset:         16
        .size:           8
        .value_kind:     global_buffer
      - .address_space:  global
        .offset:         24
        .size:           8
        .value_kind:     global_buffer
      - .offset:         32
        .size:           4
        .value_kind:     by_value
      - .offset:         36
        .size:           4
        .value_kind:     by_value
      - .offset:         40
        .size:           4
        .value_kind:     by_value
      - .offset:         44
        .size:           4
        .value_kind:     by_value
      - .offset:         48
        .size:           4
        .value_kind:     hidden_block_count_x
      - .offset:         52
        .size:           4
        .value_kind:     hidden_block_count_y
      - .offset:         56
        .size:           4
        .value_kind:     hidden_block_count_z
      - .offset:         60
        .size:           2
        .value_kind:     hidden_group_size_x
      - .offset:         62
        .size:           2
        .value_kind:     hidden_group_size_y
      - .offset:         64
        .size:           2
        .value_kind:     hidden_group_size_z
      - .offset:         66
        .size:           2
        .value_kind:     hidden_remainder_x
      - .offset:         68
        .size:           2
        .value_kind:     hidden_remainder_y
      - .offset:         70
        .size:           2
        .value_kind:     hidden_remainder_z
      - .offset:         88
        .size:           8
        .value_kind:     hidden_global_offset_x
      - .offset:         96
        .size:           8
        .value_kind:     hidden_global_offset_y
      - .offset:         104
        .size:           8
        .value_kind:     hidden_global_offset_z
      - .offset:         112
        .size:           2
        .value_kind:     hidden_grid_dims
    .group_segment_fixed_size: 0
    .kernarg_segment_align: 8
    .kernarg_segment_size: 304
    .language:       OpenCL C
    .language_version:
      - 2
      - 0
    .max_flat_workgroup_size: 1024
    .name:           _ZL9moe_vec_qIN3c104HalfELi32ELi4E10block_q4_1Li2EXadL_ZL17vec_dot_q4_1_q8_1PKvPK10block_q8_1RKiEEEvS4_S4_PT_PS8_iiii
    .private_segment_fixed_size: 0
    .sgpr_count:     23
    .sgpr_spill_count: 0
    .symbol:         _ZL9moe_vec_qIN3c104HalfELi32ELi4E10block_q4_1Li2EXadL_ZL17vec_dot_q4_1_q8_1PKvPK10block_q8_1RKiEEEvS4_S4_PT_PS8_iiii.kd
    .uniform_work_group_size: 1
    .uses_dynamic_stack: false
    .vgpr_count:     42
    .vgpr_spill_count: 0
    .wavefront_size: 32
  - .args:
      - .actual_access:  read_only
        .address_space:  global
        .offset:         0
        .size:           8
        .value_kind:     global_buffer
      - .actual_access:  read_only
        .address_space:  global
        .offset:         8
        .size:           8
        .value_kind:     global_buffer
      - .actual_access:  write_only
        .address_space:  global
        .offset:         16
        .size:           8
        .value_kind:     global_buffer
      - .address_space:  global
        .offset:         24
        .size:           8
        .value_kind:     global_buffer
      - .offset:         32
        .size:           4
        .value_kind:     by_value
      - .offset:         36
        .size:           4
        .value_kind:     by_value
      - .offset:         40
        .size:           4
        .value_kind:     by_value
      - .offset:         44
        .size:           4
        .value_kind:     by_value
      - .offset:         48
        .size:           4
        .value_kind:     hidden_block_count_x
      - .offset:         52
        .size:           4
        .value_kind:     hidden_block_count_y
      - .offset:         56
        .size:           4
        .value_kind:     hidden_block_count_z
      - .offset:         60
        .size:           2
        .value_kind:     hidden_group_size_x
      - .offset:         62
        .size:           2
        .value_kind:     hidden_group_size_y
      - .offset:         64
        .size:           2
        .value_kind:     hidden_group_size_z
      - .offset:         66
        .size:           2
        .value_kind:     hidden_remainder_x
      - .offset:         68
        .size:           2
        .value_kind:     hidden_remainder_y
      - .offset:         70
        .size:           2
        .value_kind:     hidden_remainder_z
      - .offset:         88
        .size:           8
        .value_kind:     hidden_global_offset_x
      - .offset:         96
        .size:           8
        .value_kind:     hidden_global_offset_y
      - .offset:         104
        .size:           8
        .value_kind:     hidden_global_offset_z
      - .offset:         112
        .size:           2
        .value_kind:     hidden_grid_dims
    .group_segment_fixed_size: 0
    .kernarg_segment_align: 8
    .kernarg_segment_size: 304
    .language:       OpenCL C
    .language_version:
      - 2
      - 0
    .max_flat_workgroup_size: 1024
    .name:           _ZL9moe_vec_qIN3c104HalfELi32ELi4E10block_q5_0Li2EXadL_ZL17vec_dot_q5_0_q8_1PKvPK10block_q8_1RKiEEEvS4_S4_PT_PS8_iiii
    .private_segment_fixed_size: 0
    .sgpr_count:     24
    .sgpr_spill_count: 0
    .symbol:         _ZL9moe_vec_qIN3c104HalfELi32ELi4E10block_q5_0Li2EXadL_ZL17vec_dot_q5_0_q8_1PKvPK10block_q8_1RKiEEEvS4_S4_PT_PS8_iiii.kd
    .uniform_work_group_size: 1
    .uses_dynamic_stack: false
    .vgpr_count:     47
    .vgpr_spill_count: 0
    .wavefront_size: 32
  - .args:
      - .actual_access:  read_only
        .address_space:  global
        .offset:         0
        .size:           8
        .value_kind:     global_buffer
      - .actual_access:  read_only
        .address_space:  global
        .offset:         8
        .size:           8
        .value_kind:     global_buffer
      - .actual_access:  write_only
        .address_space:  global
        .offset:         16
        .size:           8
        .value_kind:     global_buffer
      - .address_space:  global
        .offset:         24
        .size:           8
        .value_kind:     global_buffer
      - .offset:         32
        .size:           4
        .value_kind:     by_value
      - .offset:         36
        .size:           4
        .value_kind:     by_value
      - .offset:         40
        .size:           4
        .value_kind:     by_value
      - .offset:         44
        .size:           4
        .value_kind:     by_value
      - .offset:         48
        .size:           4
        .value_kind:     hidden_block_count_x
      - .offset:         52
        .size:           4
        .value_kind:     hidden_block_count_y
      - .offset:         56
        .size:           4
        .value_kind:     hidden_block_count_z
      - .offset:         60
        .size:           2
        .value_kind:     hidden_group_size_x
      - .offset:         62
        .size:           2
        .value_kind:     hidden_group_size_y
      - .offset:         64
        .size:           2
        .value_kind:     hidden_group_size_z
      - .offset:         66
        .size:           2
        .value_kind:     hidden_remainder_x
      - .offset:         68
        .size:           2
        .value_kind:     hidden_remainder_y
      - .offset:         70
        .size:           2
        .value_kind:     hidden_remainder_z
      - .offset:         88
        .size:           8
        .value_kind:     hidden_global_offset_x
      - .offset:         96
        .size:           8
        .value_kind:     hidden_global_offset_y
      - .offset:         104
        .size:           8
        .value_kind:     hidden_global_offset_z
      - .offset:         112
        .size:           2
        .value_kind:     hidden_grid_dims
    .group_segment_fixed_size: 0
    .kernarg_segment_align: 8
    .kernarg_segment_size: 304
    .language:       OpenCL C
    .language_version:
      - 2
      - 0
    .max_flat_workgroup_size: 1024
    .name:           _ZL9moe_vec_qIN3c104HalfELi32ELi4E10block_q5_1Li2EXadL_ZL17vec_dot_q5_1_q8_1PKvPK10block_q8_1RKiEEEvS4_S4_PT_PS8_iiii
    .private_segment_fixed_size: 0
    .sgpr_count:     24
    .sgpr_spill_count: 0
    .symbol:         _ZL9moe_vec_qIN3c104HalfELi32ELi4E10block_q5_1Li2EXadL_ZL17vec_dot_q5_1_q8_1PKvPK10block_q8_1RKiEEEvS4_S4_PT_PS8_iiii.kd
    .uniform_work_group_size: 1
    .uses_dynamic_stack: false
    .vgpr_count:     47
    .vgpr_spill_count: 0
    .wavefront_size: 32
  - .args:
      - .actual_access:  read_only
        .address_space:  global
        .offset:         0
        .size:           8
        .value_kind:     global_buffer
      - .actual_access:  read_only
        .address_space:  global
        .offset:         8
        .size:           8
        .value_kind:     global_buffer
      - .actual_access:  write_only
        .address_space:  global
        .offset:         16
        .size:           8
        .value_kind:     global_buffer
      - .address_space:  global
        .offset:         24
        .size:           8
        .value_kind:     global_buffer
      - .offset:         32
        .size:           4
        .value_kind:     by_value
      - .offset:         36
        .size:           4
        .value_kind:     by_value
      - .offset:         40
        .size:           4
        .value_kind:     by_value
      - .offset:         44
        .size:           4
        .value_kind:     by_value
      - .offset:         48
        .size:           4
        .value_kind:     hidden_block_count_x
      - .offset:         52
        .size:           4
        .value_kind:     hidden_block_count_y
      - .offset:         56
        .size:           4
        .value_kind:     hidden_block_count_z
      - .offset:         60
        .size:           2
        .value_kind:     hidden_group_size_x
      - .offset:         62
        .size:           2
        .value_kind:     hidden_group_size_y
      - .offset:         64
        .size:           2
        .value_kind:     hidden_group_size_z
      - .offset:         66
        .size:           2
        .value_kind:     hidden_remainder_x
      - .offset:         68
        .size:           2
        .value_kind:     hidden_remainder_y
      - .offset:         70
        .size:           2
        .value_kind:     hidden_remainder_z
      - .offset:         88
        .size:           8
        .value_kind:     hidden_global_offset_x
      - .offset:         96
        .size:           8
        .value_kind:     hidden_global_offset_y
      - .offset:         104
        .size:           8
        .value_kind:     hidden_global_offset_z
      - .offset:         112
        .size:           2
        .value_kind:     hidden_grid_dims
    .group_segment_fixed_size: 0
    .kernarg_segment_align: 8
    .kernarg_segment_size: 304
    .language:       OpenCL C
    .language_version:
      - 2
      - 0
    .max_flat_workgroup_size: 1024
    .name:           _ZL9moe_vec_qIN3c104HalfELi32ELi8E10block_q8_0Li2EXadL_ZL17vec_dot_q8_0_q8_1PKvPK10block_q8_1RKiEEEvS4_S4_PT_PS8_iiii
    .private_segment_fixed_size: 0
    .sgpr_count:     23
    .sgpr_spill_count: 0
    .symbol:         _ZL9moe_vec_qIN3c104HalfELi32ELi8E10block_q8_0Li2EXadL_ZL17vec_dot_q8_0_q8_1PKvPK10block_q8_1RKiEEEvS4_S4_PT_PS8_iiii.kd
    .uniform_work_group_size: 1
    .uses_dynamic_stack: false
    .vgpr_count:     25
    .vgpr_spill_count: 0
    .wavefront_size: 32
  - .args:
      - .actual_access:  read_only
        .address_space:  global
        .offset:         0
        .size:           8
        .value_kind:     global_buffer
      - .actual_access:  read_only
        .address_space:  global
        .offset:         8
        .size:           8
        .value_kind:     global_buffer
      - .actual_access:  write_only
        .address_space:  global
        .offset:         16
        .size:           8
        .value_kind:     global_buffer
      - .address_space:  global
        .offset:         24
        .size:           8
        .value_kind:     global_buffer
      - .offset:         32
        .size:           4
        .value_kind:     by_value
      - .offset:         36
        .size:           4
        .value_kind:     by_value
      - .offset:         40
        .size:           4
        .value_kind:     by_value
      - .offset:         44
        .size:           4
        .value_kind:     by_value
      - .offset:         48
        .size:           4
        .value_kind:     hidden_block_count_x
      - .offset:         52
        .size:           4
        .value_kind:     hidden_block_count_y
      - .offset:         56
        .size:           4
        .value_kind:     hidden_block_count_z
      - .offset:         60
        .size:           2
        .value_kind:     hidden_group_size_x
      - .offset:         62
        .size:           2
        .value_kind:     hidden_group_size_y
      - .offset:         64
        .size:           2
        .value_kind:     hidden_group_size_z
      - .offset:         66
        .size:           2
        .value_kind:     hidden_remainder_x
      - .offset:         68
        .size:           2
        .value_kind:     hidden_remainder_y
      - .offset:         70
        .size:           2
        .value_kind:     hidden_remainder_z
      - .offset:         88
        .size:           8
        .value_kind:     hidden_global_offset_x
      - .offset:         96
        .size:           8
        .value_kind:     hidden_global_offset_y
      - .offset:         104
        .size:           8
        .value_kind:     hidden_global_offset_z
      - .offset:         112
        .size:           2
        .value_kind:     hidden_grid_dims
    .group_segment_fixed_size: 0
    .kernarg_segment_align: 8
    .kernarg_segment_size: 304
    .language:       OpenCL C
    .language_version:
      - 2
      - 0
    .max_flat_workgroup_size: 1024
    .name:           _ZL9moe_vec_qIN3c104HalfELi256ELi16E10block_q2_KLi1EXadL_ZL17vec_dot_q2_K_q8_1PKvPK10block_q8_1RKiEEEvS4_S4_PT_PS8_iiii
    .private_segment_fixed_size: 0
    .sgpr_count:     21
    .sgpr_spill_count: 0
    .symbol:         _ZL9moe_vec_qIN3c104HalfELi256ELi16E10block_q2_KLi1EXadL_ZL17vec_dot_q2_K_q8_1PKvPK10block_q8_1RKiEEEvS4_S4_PT_PS8_iiii.kd
    .uniform_work_group_size: 1
    .uses_dynamic_stack: false
    .vgpr_count:     62
    .vgpr_spill_count: 0
    .wavefront_size: 32
  - .args:
      - .actual_access:  read_only
        .address_space:  global
        .offset:         0
        .size:           8
        .value_kind:     global_buffer
      - .actual_access:  read_only
        .address_space:  global
        .offset:         8
        .size:           8
        .value_kind:     global_buffer
      - .actual_access:  write_only
        .address_space:  global
        .offset:         16
        .size:           8
        .value_kind:     global_buffer
      - .address_space:  global
        .offset:         24
        .size:           8
        .value_kind:     global_buffer
      - .offset:         32
        .size:           4
        .value_kind:     by_value
      - .offset:         36
        .size:           4
        .value_kind:     by_value
      - .offset:         40
        .size:           4
        .value_kind:     by_value
      - .offset:         44
        .size:           4
        .value_kind:     by_value
      - .offset:         48
        .size:           4
        .value_kind:     hidden_block_count_x
      - .offset:         52
        .size:           4
        .value_kind:     hidden_block_count_y
      - .offset:         56
        .size:           4
        .value_kind:     hidden_block_count_z
      - .offset:         60
        .size:           2
        .value_kind:     hidden_group_size_x
      - .offset:         62
        .size:           2
        .value_kind:     hidden_group_size_y
      - .offset:         64
        .size:           2
        .value_kind:     hidden_group_size_z
      - .offset:         66
        .size:           2
        .value_kind:     hidden_remainder_x
      - .offset:         68
        .size:           2
        .value_kind:     hidden_remainder_y
      - .offset:         70
        .size:           2
        .value_kind:     hidden_remainder_z
      - .offset:         88
        .size:           8
        .value_kind:     hidden_global_offset_x
      - .offset:         96
        .size:           8
        .value_kind:     hidden_global_offset_y
      - .offset:         104
        .size:           8
        .value_kind:     hidden_global_offset_z
      - .offset:         112
        .size:           2
        .value_kind:     hidden_grid_dims
    .group_segment_fixed_size: 0
    .kernarg_segment_align: 8
    .kernarg_segment_size: 304
    .language:       OpenCL C
    .language_version:
      - 2
      - 0
    .max_flat_workgroup_size: 1024
    .name:           _ZL9moe_vec_qIN3c104HalfELi256ELi16E10block_q3_KLi1EXadL_ZL17vec_dot_q3_K_q8_1PKvPK10block_q8_1RKiEEEvS4_S4_PT_PS8_iiii
    .private_segment_fixed_size: 0
    .sgpr_count:     21
    .sgpr_spill_count: 0
    .symbol:         _ZL9moe_vec_qIN3c104HalfELi256ELi16E10block_q3_KLi1EXadL_ZL17vec_dot_q3_K_q8_1PKvPK10block_q8_1RKiEEEvS4_S4_PT_PS8_iiii.kd
    .uniform_work_group_size: 1
    .uses_dynamic_stack: false
    .vgpr_count:     65
    .vgpr_spill_count: 0
    .wavefront_size: 32
  - .args:
      - .actual_access:  read_only
        .address_space:  global
        .offset:         0
        .size:           8
        .value_kind:     global_buffer
      - .actual_access:  read_only
        .address_space:  global
        .offset:         8
        .size:           8
        .value_kind:     global_buffer
      - .actual_access:  write_only
        .address_space:  global
        .offset:         16
        .size:           8
        .value_kind:     global_buffer
      - .address_space:  global
        .offset:         24
        .size:           8
        .value_kind:     global_buffer
      - .offset:         32
        .size:           4
        .value_kind:     by_value
      - .offset:         36
        .size:           4
        .value_kind:     by_value
      - .offset:         40
        .size:           4
        .value_kind:     by_value
      - .offset:         44
        .size:           4
        .value_kind:     by_value
      - .offset:         48
        .size:           4
        .value_kind:     hidden_block_count_x
      - .offset:         52
        .size:           4
        .value_kind:     hidden_block_count_y
      - .offset:         56
        .size:           4
        .value_kind:     hidden_block_count_z
      - .offset:         60
        .size:           2
        .value_kind:     hidden_group_size_x
      - .offset:         62
        .size:           2
        .value_kind:     hidden_group_size_y
      - .offset:         64
        .size:           2
        .value_kind:     hidden_group_size_z
      - .offset:         66
        .size:           2
        .value_kind:     hidden_remainder_x
      - .offset:         68
        .size:           2
        .value_kind:     hidden_remainder_y
      - .offset:         70
        .size:           2
        .value_kind:     hidden_remainder_z
      - .offset:         88
        .size:           8
        .value_kind:     hidden_global_offset_x
      - .offset:         96
        .size:           8
        .value_kind:     hidden_global_offset_y
      - .offset:         104
        .size:           8
        .value_kind:     hidden_global_offset_z
      - .offset:         112
        .size:           2
        .value_kind:     hidden_grid_dims
    .group_segment_fixed_size: 0
    .kernarg_segment_align: 8
    .kernarg_segment_size: 304
    .language:       OpenCL C
    .language_version:
      - 2
      - 0
    .max_flat_workgroup_size: 1024
    .name:           _ZL9moe_vec_qIN3c104HalfELi256ELi32E10block_q4_KLi2EXadL_ZL17vec_dot_q4_K_q8_1PKvPK10block_q8_1RKiEEEvS4_S4_PT_PS8_iiii
    .private_segment_fixed_size: 0
    .sgpr_count:     21
    .sgpr_spill_count: 0
    .symbol:         _ZL9moe_vec_qIN3c104HalfELi256ELi32E10block_q4_KLi2EXadL_ZL17vec_dot_q4_K_q8_1PKvPK10block_q8_1RKiEEEvS4_S4_PT_PS8_iiii.kd
    .uniform_work_group_size: 1
    .uses_dynamic_stack: false
    .vgpr_count:     55
    .vgpr_spill_count: 0
    .wavefront_size: 32
  - .args:
      - .actual_access:  read_only
        .address_space:  global
        .offset:         0
        .size:           8
        .value_kind:     global_buffer
      - .actual_access:  read_only
        .address_space:  global
        .offset:         8
        .size:           8
        .value_kind:     global_buffer
      - .actual_access:  write_only
        .address_space:  global
        .offset:         16
        .size:           8
        .value_kind:     global_buffer
      - .address_space:  global
        .offset:         24
        .size:           8
        .value_kind:     global_buffer
      - .offset:         32
        .size:           4
        .value_kind:     by_value
      - .offset:         36
        .size:           4
        .value_kind:     by_value
      - .offset:         40
        .size:           4
        .value_kind:     by_value
      - .offset:         44
        .size:           4
        .value_kind:     by_value
      - .offset:         48
        .size:           4
        .value_kind:     hidden_block_count_x
      - .offset:         52
        .size:           4
        .value_kind:     hidden_block_count_y
      - .offset:         56
        .size:           4
        .value_kind:     hidden_block_count_z
      - .offset:         60
        .size:           2
        .value_kind:     hidden_group_size_x
      - .offset:         62
        .size:           2
        .value_kind:     hidden_group_size_y
      - .offset:         64
        .size:           2
        .value_kind:     hidden_group_size_z
      - .offset:         66
        .size:           2
        .value_kind:     hidden_remainder_x
      - .offset:         68
        .size:           2
        .value_kind:     hidden_remainder_y
      - .offset:         70
        .size:           2
        .value_kind:     hidden_remainder_z
      - .offset:         88
        .size:           8
        .value_kind:     hidden_global_offset_x
      - .offset:         96
        .size:           8
        .value_kind:     hidden_global_offset_y
      - .offset:         104
        .size:           8
        .value_kind:     hidden_global_offset_z
      - .offset:         112
        .size:           2
        .value_kind:     hidden_grid_dims
    .group_segment_fixed_size: 0
    .kernarg_segment_align: 8
    .kernarg_segment_size: 304
    .language:       OpenCL C
    .language_version:
      - 2
      - 0
    .max_flat_workgroup_size: 1024
    .name:           _ZL9moe_vec_qIN3c104HalfELi256ELi32E10block_q5_KLi2EXadL_ZL17vec_dot_q5_K_q8_1PKvPK10block_q8_1RKiEEEvS4_S4_PT_PS8_iiii
    .private_segment_fixed_size: 0
    .sgpr_count:     21
    .sgpr_spill_count: 0
    .symbol:         _ZL9moe_vec_qIN3c104HalfELi256ELi32E10block_q5_KLi2EXadL_ZL17vec_dot_q5_K_q8_1PKvPK10block_q8_1RKiEEEvS4_S4_PT_PS8_iiii.kd
    .uniform_work_group_size: 1
    .uses_dynamic_stack: false
    .vgpr_count:     56
    .vgpr_spill_count: 0
    .wavefront_size: 32
  - .args:
      - .actual_access:  read_only
        .address_space:  global
        .offset:         0
        .size:           8
        .value_kind:     global_buffer
      - .actual_access:  read_only
        .address_space:  global
        .offset:         8
        .size:           8
        .value_kind:     global_buffer
      - .actual_access:  write_only
        .address_space:  global
        .offset:         16
        .size:           8
        .value_kind:     global_buffer
      - .address_space:  global
        .offset:         24
        .size:           8
        .value_kind:     global_buffer
      - .offset:         32
        .size:           4
        .value_kind:     by_value
      - .offset:         36
        .size:           4
        .value_kind:     by_value
      - .offset:         40
        .size:           4
        .value_kind:     by_value
      - .offset:         44
        .size:           4
        .value_kind:     by_value
      - .offset:         48
        .size:           4
        .value_kind:     hidden_block_count_x
      - .offset:         52
        .size:           4
        .value_kind:     hidden_block_count_y
      - .offset:         56
        .size:           4
        .value_kind:     hidden_block_count_z
      - .offset:         60
        .size:           2
        .value_kind:     hidden_group_size_x
      - .offset:         62
        .size:           2
        .value_kind:     hidden_group_size_y
      - .offset:         64
        .size:           2
        .value_kind:     hidden_group_size_z
      - .offset:         66
        .size:           2
        .value_kind:     hidden_remainder_x
      - .offset:         68
        .size:           2
        .value_kind:     hidden_remainder_y
      - .offset:         70
        .size:           2
        .value_kind:     hidden_remainder_z
      - .offset:         88
        .size:           8
        .value_kind:     hidden_global_offset_x
      - .offset:         96
        .size:           8
        .value_kind:     hidden_global_offset_y
      - .offset:         104
        .size:           8
        .value_kind:     hidden_global_offset_z
      - .offset:         112
        .size:           2
        .value_kind:     hidden_grid_dims
    .group_segment_fixed_size: 0
    .kernarg_segment_align: 8
    .kernarg_segment_size: 304
    .language:       OpenCL C
    .language_version:
      - 2
      - 0
    .max_flat_workgroup_size: 1024
    .name:           _ZL9moe_vec_qIN3c104HalfELi256ELi32E10block_q6_KLi1EXadL_ZL17vec_dot_q6_K_q8_1PKvPK10block_q8_1RKiEEEvS4_S4_PT_PS8_iiii
    .private_segment_fixed_size: 0
    .sgpr_count:     21
    .sgpr_spill_count: 0
    .symbol:         _ZL9moe_vec_qIN3c104HalfELi256ELi32E10block_q6_KLi1EXadL_ZL17vec_dot_q6_K_q8_1PKvPK10block_q8_1RKiEEEvS4_S4_PT_PS8_iiii.kd
    .uniform_work_group_size: 1
    .uses_dynamic_stack: false
    .vgpr_count:     38
    .vgpr_spill_count: 0
    .wavefront_size: 32
  - .args:
      - .actual_access:  read_only
        .address_space:  global
        .offset:         0
        .size:           8
        .value_kind:     global_buffer
      - .actual_access:  read_only
        .address_space:  global
        .offset:         8
        .size:           8
        .value_kind:     global_buffer
      - .actual_access:  write_only
        .address_space:  global
        .offset:         16
        .size:           8
        .value_kind:     global_buffer
      - .address_space:  global
        .offset:         24
        .size:           8
        .value_kind:     global_buffer
      - .offset:         32
        .size:           4
        .value_kind:     by_value
      - .offset:         36
        .size:           4
        .value_kind:     by_value
      - .offset:         40
        .size:           4
        .value_kind:     by_value
      - .offset:         44
        .size:           4
        .value_kind:     by_value
      - .offset:         48
        .size:           4
        .value_kind:     hidden_block_count_x
      - .offset:         52
        .size:           4
        .value_kind:     hidden_block_count_y
      - .offset:         56
        .size:           4
        .value_kind:     hidden_block_count_z
      - .offset:         60
        .size:           2
        .value_kind:     hidden_group_size_x
      - .offset:         62
        .size:           2
        .value_kind:     hidden_group_size_y
      - .offset:         64
        .size:           2
        .value_kind:     hidden_group_size_z
      - .offset:         66
        .size:           2
        .value_kind:     hidden_remainder_x
      - .offset:         68
        .size:           2
        .value_kind:     hidden_remainder_y
      - .offset:         70
        .size:           2
        .value_kind:     hidden_remainder_z
      - .offset:         88
        .size:           8
        .value_kind:     hidden_global_offset_x
      - .offset:         96
        .size:           8
        .value_kind:     hidden_global_offset_y
      - .offset:         104
        .size:           8
        .value_kind:     hidden_global_offset_z
      - .offset:         112
        .size:           2
        .value_kind:     hidden_grid_dims
    .group_segment_fixed_size: 0
    .kernarg_segment_align: 8
    .kernarg_segment_size: 304
    .language:       OpenCL C
    .language_version:
      - 2
      - 0
    .max_flat_workgroup_size: 1024
    .name:           _ZL9moe_vec_qIN3c104HalfELi256ELi8E13block_iq2_xxsLi1EXadL_ZL20vec_dot_iq2_xxs_q8_1PKvPK10block_q8_1RKiEEEvS4_S4_PT_PS8_iiii
    .private_segment_fixed_size: 0
    .sgpr_count:     25
    .sgpr_spill_count: 0
    .symbol:         _ZL9moe_vec_qIN3c104HalfELi256ELi8E13block_iq2_xxsLi1EXadL_ZL20vec_dot_iq2_xxs_q8_1PKvPK10block_q8_1RKiEEEvS4_S4_PT_PS8_iiii.kd
    .uniform_work_group_size: 1
    .uses_dynamic_stack: false
    .vgpr_count:     64
    .vgpr_spill_count: 0
    .wavefront_size: 32
  - .args:
      - .actual_access:  read_only
        .address_space:  global
        .offset:         0
        .size:           8
        .value_kind:     global_buffer
      - .actual_access:  read_only
        .address_space:  global
        .offset:         8
        .size:           8
        .value_kind:     global_buffer
      - .actual_access:  write_only
        .address_space:  global
        .offset:         16
        .size:           8
        .value_kind:     global_buffer
      - .address_space:  global
        .offset:         24
        .size:           8
        .value_kind:     global_buffer
      - .offset:         32
        .size:           4
        .value_kind:     by_value
      - .offset:         36
        .size:           4
        .value_kind:     by_value
      - .offset:         40
        .size:           4
        .value_kind:     by_value
      - .offset:         44
        .size:           4
        .value_kind:     by_value
      - .offset:         48
        .size:           4
        .value_kind:     hidden_block_count_x
      - .offset:         52
        .size:           4
        .value_kind:     hidden_block_count_y
      - .offset:         56
        .size:           4
        .value_kind:     hidden_block_count_z
      - .offset:         60
        .size:           2
        .value_kind:     hidden_group_size_x
      - .offset:         62
        .size:           2
        .value_kind:     hidden_group_size_y
      - .offset:         64
        .size:           2
        .value_kind:     hidden_group_size_z
      - .offset:         66
        .size:           2
        .value_kind:     hidden_remainder_x
      - .offset:         68
        .size:           2
        .value_kind:     hidden_remainder_y
      - .offset:         70
        .size:           2
        .value_kind:     hidden_remainder_z
      - .offset:         88
        .size:           8
        .value_kind:     hidden_global_offset_x
      - .offset:         96
        .size:           8
        .value_kind:     hidden_global_offset_y
      - .offset:         104
        .size:           8
        .value_kind:     hidden_global_offset_z
      - .offset:         112
        .size:           2
        .value_kind:     hidden_grid_dims
    .group_segment_fixed_size: 0
    .kernarg_segment_align: 8
    .kernarg_segment_size: 304
    .language:       OpenCL C
    .language_version:
      - 2
      - 0
    .max_flat_workgroup_size: 1024
    .name:           _ZL9moe_vec_qIN3c104HalfELi256ELi8E12block_iq2_xsLi1EXadL_ZL19vec_dot_iq2_xs_q8_1PKvPK10block_q8_1RKiEEEvS4_S4_PT_PS8_iiii
    .private_segment_fixed_size: 0
    .sgpr_count:     46
    .sgpr_spill_count: 0
    .symbol:         _ZL9moe_vec_qIN3c104HalfELi256ELi8E12block_iq2_xsLi1EXadL_ZL19vec_dot_iq2_xs_q8_1PKvPK10block_q8_1RKiEEEvS4_S4_PT_PS8_iiii.kd
    .uniform_work_group_size: 1
    .uses_dynamic_stack: false
    .vgpr_count:     84
    .vgpr_spill_count: 0
    .wavefront_size: 32
  - .args:
      - .actual_access:  read_only
        .address_space:  global
        .offset:         0
        .size:           8
        .value_kind:     global_buffer
      - .actual_access:  read_only
        .address_space:  global
        .offset:         8
        .size:           8
        .value_kind:     global_buffer
      - .actual_access:  write_only
        .address_space:  global
        .offset:         16
        .size:           8
        .value_kind:     global_buffer
      - .address_space:  global
        .offset:         24
        .size:           8
        .value_kind:     global_buffer
      - .offset:         32
        .size:           4
        .value_kind:     by_value
      - .offset:         36
        .size:           4
        .value_kind:     by_value
      - .offset:         40
        .size:           4
        .value_kind:     by_value
      - .offset:         44
        .size:           4
        .value_kind:     by_value
      - .offset:         48
        .size:           4
        .value_kind:     hidden_block_count_x
      - .offset:         52
        .size:           4
        .value_kind:     hidden_block_count_y
      - .offset:         56
        .size:           4
        .value_kind:     hidden_block_count_z
      - .offset:         60
        .size:           2
        .value_kind:     hidden_group_size_x
      - .offset:         62
        .size:           2
        .value_kind:     hidden_group_size_y
      - .offset:         64
        .size:           2
        .value_kind:     hidden_group_size_z
      - .offset:         66
        .size:           2
        .value_kind:     hidden_remainder_x
      - .offset:         68
        .size:           2
        .value_kind:     hidden_remainder_y
      - .offset:         70
        .size:           2
        .value_kind:     hidden_remainder_z
      - .offset:         88
        .size:           8
        .value_kind:     hidden_global_offset_x
      - .offset:         96
        .size:           8
        .value_kind:     hidden_global_offset_y
      - .offset:         104
        .size:           8
        .value_kind:     hidden_global_offset_z
      - .offset:         112
        .size:           2
        .value_kind:     hidden_grid_dims
    .group_segment_fixed_size: 0
    .kernarg_segment_align: 8
    .kernarg_segment_size: 304
    .language:       OpenCL C
    .language_version:
      - 2
      - 0
    .max_flat_workgroup_size: 1024
    .name:           _ZL9moe_vec_qIN3c104HalfELi256ELi8E13block_iq3_xxsLi1EXadL_ZL20vec_dot_iq3_xxs_q8_1PKvPK10block_q8_1RKiEEEvS4_S4_PT_PS8_iiii
    .private_segment_fixed_size: 0
    .sgpr_count:     21
    .sgpr_spill_count: 0
    .symbol:         _ZL9moe_vec_qIN3c104HalfELi256ELi8E13block_iq3_xxsLi1EXadL_ZL20vec_dot_iq3_xxs_q8_1PKvPK10block_q8_1RKiEEEvS4_S4_PT_PS8_iiii.kd
    .uniform_work_group_size: 1
    .uses_dynamic_stack: false
    .vgpr_count:     41
    .vgpr_spill_count: 0
    .wavefront_size: 32
  - .args:
      - .actual_access:  read_only
        .address_space:  global
        .offset:         0
        .size:           8
        .value_kind:     global_buffer
      - .actual_access:  read_only
        .address_space:  global
        .offset:         8
        .size:           8
        .value_kind:     global_buffer
      - .actual_access:  write_only
        .address_space:  global
        .offset:         16
        .size:           8
        .value_kind:     global_buffer
      - .address_space:  global
        .offset:         24
        .size:           8
        .value_kind:     global_buffer
      - .offset:         32
        .size:           4
        .value_kind:     by_value
      - .offset:         36
        .size:           4
        .value_kind:     by_value
      - .offset:         40
        .size:           4
        .value_kind:     by_value
      - .offset:         44
        .size:           4
        .value_kind:     by_value
      - .offset:         48
        .size:           4
        .value_kind:     hidden_block_count_x
      - .offset:         52
        .size:           4
        .value_kind:     hidden_block_count_y
      - .offset:         56
        .size:           4
        .value_kind:     hidden_block_count_z
      - .offset:         60
        .size:           2
        .value_kind:     hidden_group_size_x
      - .offset:         62
        .size:           2
        .value_kind:     hidden_group_size_y
      - .offset:         64
        .size:           2
        .value_kind:     hidden_group_size_z
      - .offset:         66
        .size:           2
        .value_kind:     hidden_remainder_x
      - .offset:         68
        .size:           2
        .value_kind:     hidden_remainder_y
      - .offset:         70
        .size:           2
        .value_kind:     hidden_remainder_z
      - .offset:         88
        .size:           8
        .value_kind:     hidden_global_offset_x
      - .offset:         96
        .size:           8
        .value_kind:     hidden_global_offset_y
      - .offset:         104
        .size:           8
        .value_kind:     hidden_global_offset_z
      - .offset:         112
        .size:           2
        .value_kind:     hidden_grid_dims
    .group_segment_fixed_size: 0
    .kernarg_segment_align: 8
    .kernarg_segment_size: 304
    .language:       OpenCL C
    .language_version:
      - 2
      - 0
    .max_flat_workgroup_size: 1024
    .name:           _ZL9moe_vec_qIN3c104HalfELi256ELi8E11block_iq1_sLi1EXadL_ZL18vec_dot_iq1_s_q8_1PKvPK10block_q8_1RKiEEEvS4_S4_PT_PS8_iiii
    .private_segment_fixed_size: 0
    .sgpr_count:     20
    .sgpr_spill_count: 0
    .symbol:         _ZL9moe_vec_qIN3c104HalfELi256ELi8E11block_iq1_sLi1EXadL_ZL18vec_dot_iq1_s_q8_1PKvPK10block_q8_1RKiEEEvS4_S4_PT_PS8_iiii.kd
    .uniform_work_group_size: 1
    .uses_dynamic_stack: false
    .vgpr_count:     62
    .vgpr_spill_count: 0
    .wavefront_size: 32
  - .args:
      - .actual_access:  read_only
        .address_space:  global
        .offset:         0
        .size:           8
        .value_kind:     global_buffer
      - .actual_access:  read_only
        .address_space:  global
        .offset:         8
        .size:           8
        .value_kind:     global_buffer
      - .actual_access:  write_only
        .address_space:  global
        .offset:         16
        .size:           8
        .value_kind:     global_buffer
      - .address_space:  global
        .offset:         24
        .size:           8
        .value_kind:     global_buffer
      - .offset:         32
        .size:           4
        .value_kind:     by_value
      - .offset:         36
        .size:           4
        .value_kind:     by_value
      - .offset:         40
        .size:           4
        .value_kind:     by_value
      - .offset:         44
        .size:           4
        .value_kind:     by_value
      - .offset:         48
        .size:           4
        .value_kind:     hidden_block_count_x
      - .offset:         52
        .size:           4
        .value_kind:     hidden_block_count_y
      - .offset:         56
        .size:           4
        .value_kind:     hidden_block_count_z
      - .offset:         60
        .size:           2
        .value_kind:     hidden_group_size_x
      - .offset:         62
        .size:           2
        .value_kind:     hidden_group_size_y
      - .offset:         64
        .size:           2
        .value_kind:     hidden_group_size_z
      - .offset:         66
        .size:           2
        .value_kind:     hidden_remainder_x
      - .offset:         68
        .size:           2
        .value_kind:     hidden_remainder_y
      - .offset:         70
        .size:           2
        .value_kind:     hidden_remainder_z
      - .offset:         88
        .size:           8
        .value_kind:     hidden_global_offset_x
      - .offset:         96
        .size:           8
        .value_kind:     hidden_global_offset_y
      - .offset:         104
        .size:           8
        .value_kind:     hidden_global_offset_z
      - .offset:         112
        .size:           2
        .value_kind:     hidden_grid_dims
    .group_segment_fixed_size: 0
    .kernarg_segment_align: 8
    .kernarg_segment_size: 304
    .language:       OpenCL C
    .language_version:
      - 2
      - 0
    .max_flat_workgroup_size: 1024
    .name:           _ZL9moe_vec_qIN3c104HalfELi32ELi4E12block_iq4_nlLi2EXadL_ZL19vec_dot_iq4_nl_q8_1PKvPK10block_q8_1RKiEEEvS4_S4_PT_PS8_iiii
    .private_segment_fixed_size: 0
    .sgpr_count:     26
    .sgpr_spill_count: 0
    .symbol:         _ZL9moe_vec_qIN3c104HalfELi32ELi4E12block_iq4_nlLi2EXadL_ZL19vec_dot_iq4_nl_q8_1PKvPK10block_q8_1RKiEEEvS4_S4_PT_PS8_iiii.kd
    .uniform_work_group_size: 1
    .uses_dynamic_stack: false
    .vgpr_count:     45
    .vgpr_spill_count: 0
    .wavefront_size: 32
  - .args:
      - .actual_access:  read_only
        .address_space:  global
        .offset:         0
        .size:           8
        .value_kind:     global_buffer
      - .actual_access:  read_only
        .address_space:  global
        .offset:         8
        .size:           8
        .value_kind:     global_buffer
      - .actual_access:  write_only
        .address_space:  global
        .offset:         16
        .size:           8
        .value_kind:     global_buffer
      - .address_space:  global
        .offset:         24
        .size:           8
        .value_kind:     global_buffer
      - .offset:         32
        .size:           4
        .value_kind:     by_value
      - .offset:         36
        .size:           4
        .value_kind:     by_value
      - .offset:         40
        .size:           4
        .value_kind:     by_value
      - .offset:         44
        .size:           4
        .value_kind:     by_value
      - .offset:         48
        .size:           4
        .value_kind:     hidden_block_count_x
      - .offset:         52
        .size:           4
        .value_kind:     hidden_block_count_y
      - .offset:         56
        .size:           4
        .value_kind:     hidden_block_count_z
      - .offset:         60
        .size:           2
        .value_kind:     hidden_group_size_x
      - .offset:         62
        .size:           2
        .value_kind:     hidden_group_size_y
      - .offset:         64
        .size:           2
        .value_kind:     hidden_group_size_z
      - .offset:         66
        .size:           2
        .value_kind:     hidden_remainder_x
      - .offset:         68
        .size:           2
        .value_kind:     hidden_remainder_y
      - .offset:         70
        .size:           2
        .value_kind:     hidden_remainder_z
      - .offset:         88
        .size:           8
        .value_kind:     hidden_global_offset_x
      - .offset:         96
        .size:           8
        .value_kind:     hidden_global_offset_y
      - .offset:         104
        .size:           8
        .value_kind:     hidden_global_offset_z
      - .offset:         112
        .size:           2
        .value_kind:     hidden_grid_dims
    .group_segment_fixed_size: 0
    .kernarg_segment_align: 8
    .kernarg_segment_size: 304
    .language:       OpenCL C
    .language_version:
      - 2
      - 0
    .max_flat_workgroup_size: 1024
    .name:           _ZL9moe_vec_qIN3c104HalfELi256ELi8E11block_iq3_sLi1EXadL_ZL18vec_dot_iq3_s_q8_1PKvPK10block_q8_1RKiEEEvS4_S4_PT_PS8_iiii
    .private_segment_fixed_size: 0
    .sgpr_count:     21
    .sgpr_spill_count: 0
    .symbol:         _ZL9moe_vec_qIN3c104HalfELi256ELi8E11block_iq3_sLi1EXadL_ZL18vec_dot_iq3_s_q8_1PKvPK10block_q8_1RKiEEEvS4_S4_PT_PS8_iiii.kd
    .uniform_work_group_size: 1
    .uses_dynamic_stack: false
    .vgpr_count:     49
    .vgpr_spill_count: 0
    .wavefront_size: 32
  - .args:
      - .actual_access:  read_only
        .address_space:  global
        .offset:         0
        .size:           8
        .value_kind:     global_buffer
      - .actual_access:  read_only
        .address_space:  global
        .offset:         8
        .size:           8
        .value_kind:     global_buffer
      - .actual_access:  write_only
        .address_space:  global
        .offset:         16
        .size:           8
        .value_kind:     global_buffer
      - .address_space:  global
        .offset:         24
        .size:           8
        .value_kind:     global_buffer
      - .offset:         32
        .size:           4
        .value_kind:     by_value
      - .offset:         36
        .size:           4
        .value_kind:     by_value
      - .offset:         40
        .size:           4
        .value_kind:     by_value
      - .offset:         44
        .size:           4
        .value_kind:     by_value
      - .offset:         48
        .size:           4
        .value_kind:     hidden_block_count_x
      - .offset:         52
        .size:           4
        .value_kind:     hidden_block_count_y
      - .offset:         56
        .size:           4
        .value_kind:     hidden_block_count_z
      - .offset:         60
        .size:           2
        .value_kind:     hidden_group_size_x
      - .offset:         62
        .size:           2
        .value_kind:     hidden_group_size_y
      - .offset:         64
        .size:           2
        .value_kind:     hidden_group_size_z
      - .offset:         66
        .size:           2
        .value_kind:     hidden_remainder_x
      - .offset:         68
        .size:           2
        .value_kind:     hidden_remainder_y
      - .offset:         70
        .size:           2
        .value_kind:     hidden_remainder_z
      - .offset:         88
        .size:           8
        .value_kind:     hidden_global_offset_x
      - .offset:         96
        .size:           8
        .value_kind:     hidden_global_offset_y
      - .offset:         104
        .size:           8
        .value_kind:     hidden_global_offset_z
      - .offset:         112
        .size:           2
        .value_kind:     hidden_grid_dims
    .group_segment_fixed_size: 0
    .kernarg_segment_align: 8
    .kernarg_segment_size: 304
    .language:       OpenCL C
    .language_version:
      - 2
      - 0
    .max_flat_workgroup_size: 1024
    .name:           _ZL9moe_vec_qIN3c104HalfELi256ELi8E11block_iq2_sLi1EXadL_ZL18vec_dot_iq2_s_q8_1PKvPK10block_q8_1RKiEEEvS4_S4_PT_PS8_iiii
    .private_segment_fixed_size: 0
    .sgpr_count:     22
    .sgpr_spill_count: 0
    .symbol:         _ZL9moe_vec_qIN3c104HalfELi256ELi8E11block_iq2_sLi1EXadL_ZL18vec_dot_iq2_s_q8_1PKvPK10block_q8_1RKiEEEvS4_S4_PT_PS8_iiii.kd
    .uniform_work_group_size: 1
    .uses_dynamic_stack: false
    .vgpr_count:     72
    .vgpr_spill_count: 0
    .wavefront_size: 32
  - .args:
      - .actual_access:  read_only
        .address_space:  global
        .offset:         0
        .size:           8
        .value_kind:     global_buffer
      - .actual_access:  read_only
        .address_space:  global
        .offset:         8
        .size:           8
        .value_kind:     global_buffer
      - .actual_access:  write_only
        .address_space:  global
        .offset:         16
        .size:           8
        .value_kind:     global_buffer
      - .address_space:  global
        .offset:         24
        .size:           8
        .value_kind:     global_buffer
      - .offset:         32
        .size:           4
        .value_kind:     by_value
      - .offset:         36
        .size:           4
        .value_kind:     by_value
      - .offset:         40
        .size:           4
        .value_kind:     by_value
      - .offset:         44
        .size:           4
        .value_kind:     by_value
      - .offset:         48
        .size:           4
        .value_kind:     hidden_block_count_x
      - .offset:         52
        .size:           4
        .value_kind:     hidden_block_count_y
      - .offset:         56
        .size:           4
        .value_kind:     hidden_block_count_z
      - .offset:         60
        .size:           2
        .value_kind:     hidden_group_size_x
      - .offset:         62
        .size:           2
        .value_kind:     hidden_group_size_y
      - .offset:         64
        .size:           2
        .value_kind:     hidden_group_size_z
      - .offset:         66
        .size:           2
        .value_kind:     hidden_remainder_x
      - .offset:         68
        .size:           2
        .value_kind:     hidden_remainder_y
      - .offset:         70
        .size:           2
        .value_kind:     hidden_remainder_z
      - .offset:         88
        .size:           8
        .value_kind:     hidden_global_offset_x
      - .offset:         96
        .size:           8
        .value_kind:     hidden_global_offset_y
      - .offset:         104
        .size:           8
        .value_kind:     hidden_global_offset_z
      - .offset:         112
        .size:           2
        .value_kind:     hidden_grid_dims
    .group_segment_fixed_size: 0
    .kernarg_segment_align: 8
    .kernarg_segment_size: 304
    .language:       OpenCL C
    .language_version:
      - 2
      - 0
    .max_flat_workgroup_size: 1024
    .name:           _ZL9moe_vec_qIN3c104HalfELi256ELi8E12block_iq4_xsLi1EXadL_ZL19vec_dot_iq4_xs_q8_1PKvPK10block_q8_1RKiEEEvS4_S4_PT_PS8_iiii
    .private_segment_fixed_size: 0
    .sgpr_count:     21
    .sgpr_spill_count: 0
    .symbol:         _ZL9moe_vec_qIN3c104HalfELi256ELi8E12block_iq4_xsLi1EXadL_ZL19vec_dot_iq4_xs_q8_1PKvPK10block_q8_1RKiEEEvS4_S4_PT_PS8_iiii.kd
    .uniform_work_group_size: 1
    .uses_dynamic_stack: false
    .vgpr_count:     64
    .vgpr_spill_count: 0
    .wavefront_size: 32
  - .args:
      - .actual_access:  read_only
        .address_space:  global
        .offset:         0
        .size:           8
        .value_kind:     global_buffer
      - .actual_access:  read_only
        .address_space:  global
        .offset:         8
        .size:           8
        .value_kind:     global_buffer
      - .actual_access:  write_only
        .address_space:  global
        .offset:         16
        .size:           8
        .value_kind:     global_buffer
      - .address_space:  global
        .offset:         24
        .size:           8
        .value_kind:     global_buffer
      - .offset:         32
        .size:           4
        .value_kind:     by_value
      - .offset:         36
        .size:           4
        .value_kind:     by_value
      - .offset:         40
        .size:           4
        .value_kind:     by_value
      - .offset:         44
        .size:           4
        .value_kind:     by_value
      - .offset:         48
        .size:           4
        .value_kind:     hidden_block_count_x
      - .offset:         52
        .size:           4
        .value_kind:     hidden_block_count_y
      - .offset:         56
        .size:           4
        .value_kind:     hidden_block_count_z
      - .offset:         60
        .size:           2
        .value_kind:     hidden_group_size_x
      - .offset:         62
        .size:           2
        .value_kind:     hidden_group_size_y
      - .offset:         64
        .size:           2
        .value_kind:     hidden_group_size_z
      - .offset:         66
        .size:           2
        .value_kind:     hidden_remainder_x
      - .offset:         68
        .size:           2
        .value_kind:     hidden_remainder_y
      - .offset:         70
        .size:           2
        .value_kind:     hidden_remainder_z
      - .offset:         88
        .size:           8
        .value_kind:     hidden_global_offset_x
      - .offset:         96
        .size:           8
        .value_kind:     hidden_global_offset_y
      - .offset:         104
        .size:           8
        .value_kind:     hidden_global_offset_z
      - .offset:         112
        .size:           2
        .value_kind:     hidden_grid_dims
    .group_segment_fixed_size: 0
    .kernarg_segment_align: 8
    .kernarg_segment_size: 304
    .language:       OpenCL C
    .language_version:
      - 2
      - 0
    .max_flat_workgroup_size: 1024
    .name:           _ZL9moe_vec_qIN3c104HalfELi256ELi8E11block_iq1_mLi1EXadL_ZL18vec_dot_iq1_m_q8_1PKvPK10block_q8_1RKiEEEvS4_S4_PT_PS8_iiii
    .private_segment_fixed_size: 0
    .sgpr_count:     21
    .sgpr_spill_count: 0
    .symbol:         _ZL9moe_vec_qIN3c104HalfELi256ELi8E11block_iq1_mLi1EXadL_ZL18vec_dot_iq1_m_q8_1PKvPK10block_q8_1RKiEEEvS4_S4_PT_PS8_iiii.kd
    .uniform_work_group_size: 1
    .uses_dynamic_stack: false
    .vgpr_count:     63
    .vgpr_spill_count: 0
    .wavefront_size: 32
  - .args:
      - .actual_access:  read_only
        .address_space:  global
        .offset:         0
        .size:           8
        .value_kind:     global_buffer
      - .actual_access:  read_only
        .address_space:  global
        .offset:         8
        .size:           8
        .value_kind:     global_buffer
      - .actual_access:  write_only
        .address_space:  global
        .offset:         16
        .size:           8
        .value_kind:     global_buffer
      - .address_space:  global
        .offset:         24
        .size:           8
        .value_kind:     global_buffer
      - .offset:         32
        .size:           4
        .value_kind:     by_value
      - .offset:         36
        .size:           4
        .value_kind:     by_value
      - .offset:         40
        .size:           4
        .value_kind:     by_value
      - .offset:         44
        .size:           4
        .value_kind:     by_value
      - .offset:         48
        .size:           4
        .value_kind:     hidden_block_count_x
      - .offset:         52
        .size:           4
        .value_kind:     hidden_block_count_y
      - .offset:         56
        .size:           4
        .value_kind:     hidden_block_count_z
      - .offset:         60
        .size:           2
        .value_kind:     hidden_group_size_x
      - .offset:         62
        .size:           2
        .value_kind:     hidden_group_size_y
      - .offset:         64
        .size:           2
        .value_kind:     hidden_group_size_z
      - .offset:         66
        .size:           2
        .value_kind:     hidden_remainder_x
      - .offset:         68
        .size:           2
        .value_kind:     hidden_remainder_y
      - .offset:         70
        .size:           2
        .value_kind:     hidden_remainder_z
      - .offset:         88
        .size:           8
        .value_kind:     hidden_global_offset_x
      - .offset:         96
        .size:           8
        .value_kind:     hidden_global_offset_y
      - .offset:         104
        .size:           8
        .value_kind:     hidden_global_offset_z
      - .offset:         112
        .size:           2
        .value_kind:     hidden_grid_dims
    .group_segment_fixed_size: 0
    .kernarg_segment_align: 8
    .kernarg_segment_size: 304
    .language:       OpenCL C
    .language_version:
      - 2
      - 0
    .max_flat_workgroup_size: 1024
    .name:           _ZL9moe_vec_qIN3c108BFloat16ELi32ELi4E10block_q4_0Li2EXadL_ZL17vec_dot_q4_0_q8_1PKvPK10block_q8_1RKiEEEvS4_S4_PT_PS8_iiii
    .private_segment_fixed_size: 0
    .sgpr_count:     23
    .sgpr_spill_count: 0
    .symbol:         _ZL9moe_vec_qIN3c108BFloat16ELi32ELi4E10block_q4_0Li2EXadL_ZL17vec_dot_q4_0_q8_1PKvPK10block_q8_1RKiEEEvS4_S4_PT_PS8_iiii.kd
    .uniform_work_group_size: 1
    .uses_dynamic_stack: false
    .vgpr_count:     42
    .vgpr_spill_count: 0
    .wavefront_size: 32
  - .args:
      - .actual_access:  read_only
        .address_space:  global
        .offset:         0
        .size:           8
        .value_kind:     global_buffer
      - .actual_access:  read_only
        .address_space:  global
        .offset:         8
        .size:           8
        .value_kind:     global_buffer
      - .actual_access:  write_only
        .address_space:  global
        .offset:         16
        .size:           8
        .value_kind:     global_buffer
      - .address_space:  global
        .offset:         24
        .size:           8
        .value_kind:     global_buffer
      - .offset:         32
        .size:           4
        .value_kind:     by_value
      - .offset:         36
        .size:           4
        .value_kind:     by_value
      - .offset:         40
        .size:           4
        .value_kind:     by_value
      - .offset:         44
        .size:           4
        .value_kind:     by_value
      - .offset:         48
        .size:           4
        .value_kind:     hidden_block_count_x
      - .offset:         52
        .size:           4
        .value_kind:     hidden_block_count_y
      - .offset:         56
        .size:           4
        .value_kind:     hidden_block_count_z
      - .offset:         60
        .size:           2
        .value_kind:     hidden_group_size_x
      - .offset:         62
        .size:           2
        .value_kind:     hidden_group_size_y
      - .offset:         64
        .size:           2
        .value_kind:     hidden_group_size_z
      - .offset:         66
        .size:           2
        .value_kind:     hidden_remainder_x
      - .offset:         68
        .size:           2
        .value_kind:     hidden_remainder_y
      - .offset:         70
        .size:           2
        .value_kind:     hidden_remainder_z
      - .offset:         88
        .size:           8
        .value_kind:     hidden_global_offset_x
      - .offset:         96
        .size:           8
        .value_kind:     hidden_global_offset_y
      - .offset:         104
        .size:           8
        .value_kind:     hidden_global_offset_z
      - .offset:         112
        .size:           2
        .value_kind:     hidden_grid_dims
    .group_segment_fixed_size: 0
    .kernarg_segment_align: 8
    .kernarg_segment_size: 304
    .language:       OpenCL C
    .language_version:
      - 2
      - 0
    .max_flat_workgroup_size: 1024
    .name:           _ZL9moe_vec_qIN3c108BFloat16ELi32ELi4E10block_q4_1Li2EXadL_ZL17vec_dot_q4_1_q8_1PKvPK10block_q8_1RKiEEEvS4_S4_PT_PS8_iiii
    .private_segment_fixed_size: 0
    .sgpr_count:     23
    .sgpr_spill_count: 0
    .symbol:         _ZL9moe_vec_qIN3c108BFloat16ELi32ELi4E10block_q4_1Li2EXadL_ZL17vec_dot_q4_1_q8_1PKvPK10block_q8_1RKiEEEvS4_S4_PT_PS8_iiii.kd
    .uniform_work_group_size: 1
    .uses_dynamic_stack: false
    .vgpr_count:     42
    .vgpr_spill_count: 0
    .wavefront_size: 32
  - .args:
      - .actual_access:  read_only
        .address_space:  global
        .offset:         0
        .size:           8
        .value_kind:     global_buffer
      - .actual_access:  read_only
        .address_space:  global
        .offset:         8
        .size:           8
        .value_kind:     global_buffer
      - .actual_access:  write_only
        .address_space:  global
        .offset:         16
        .size:           8
        .value_kind:     global_buffer
      - .address_space:  global
        .offset:         24
        .size:           8
        .value_kind:     global_buffer
      - .offset:         32
        .size:           4
        .value_kind:     by_value
      - .offset:         36
        .size:           4
        .value_kind:     by_value
      - .offset:         40
        .size:           4
        .value_kind:     by_value
      - .offset:         44
        .size:           4
        .value_kind:     by_value
      - .offset:         48
        .size:           4
        .value_kind:     hidden_block_count_x
      - .offset:         52
        .size:           4
        .value_kind:     hidden_block_count_y
      - .offset:         56
        .size:           4
        .value_kind:     hidden_block_count_z
      - .offset:         60
        .size:           2
        .value_kind:     hidden_group_size_x
      - .offset:         62
        .size:           2
        .value_kind:     hidden_group_size_y
      - .offset:         64
        .size:           2
        .value_kind:     hidden_group_size_z
      - .offset:         66
        .size:           2
        .value_kind:     hidden_remainder_x
      - .offset:         68
        .size:           2
        .value_kind:     hidden_remainder_y
      - .offset:         70
        .size:           2
        .value_kind:     hidden_remainder_z
      - .offset:         88
        .size:           8
        .value_kind:     hidden_global_offset_x
      - .offset:         96
        .size:           8
        .value_kind:     hidden_global_offset_y
      - .offset:         104
        .size:           8
        .value_kind:     hidden_global_offset_z
      - .offset:         112
        .size:           2
        .value_kind:     hidden_grid_dims
    .group_segment_fixed_size: 0
    .kernarg_segment_align: 8
    .kernarg_segment_size: 304
    .language:       OpenCL C
    .language_version:
      - 2
      - 0
    .max_flat_workgroup_size: 1024
    .name:           _ZL9moe_vec_qIN3c108BFloat16ELi32ELi4E10block_q5_0Li2EXadL_ZL17vec_dot_q5_0_q8_1PKvPK10block_q8_1RKiEEEvS4_S4_PT_PS8_iiii
    .private_segment_fixed_size: 0
    .sgpr_count:     24
    .sgpr_spill_count: 0
    .symbol:         _ZL9moe_vec_qIN3c108BFloat16ELi32ELi4E10block_q5_0Li2EXadL_ZL17vec_dot_q5_0_q8_1PKvPK10block_q8_1RKiEEEvS4_S4_PT_PS8_iiii.kd
    .uniform_work_group_size: 1
    .uses_dynamic_stack: false
    .vgpr_count:     47
    .vgpr_spill_count: 0
    .wavefront_size: 32
  - .args:
      - .actual_access:  read_only
        .address_space:  global
        .offset:         0
        .size:           8
        .value_kind:     global_buffer
      - .actual_access:  read_only
        .address_space:  global
        .offset:         8
        .size:           8
        .value_kind:     global_buffer
      - .actual_access:  write_only
        .address_space:  global
        .offset:         16
        .size:           8
        .value_kind:     global_buffer
      - .address_space:  global
        .offset:         24
        .size:           8
        .value_kind:     global_buffer
      - .offset:         32
        .size:           4
        .value_kind:     by_value
      - .offset:         36
        .size:           4
        .value_kind:     by_value
      - .offset:         40
        .size:           4
        .value_kind:     by_value
      - .offset:         44
        .size:           4
        .value_kind:     by_value
      - .offset:         48
        .size:           4
        .value_kind:     hidden_block_count_x
      - .offset:         52
        .size:           4
        .value_kind:     hidden_block_count_y
      - .offset:         56
        .size:           4
        .value_kind:     hidden_block_count_z
      - .offset:         60
        .size:           2
        .value_kind:     hidden_group_size_x
      - .offset:         62
        .size:           2
        .value_kind:     hidden_group_size_y
      - .offset:         64
        .size:           2
        .value_kind:     hidden_group_size_z
      - .offset:         66
        .size:           2
        .value_kind:     hidden_remainder_x
      - .offset:         68
        .size:           2
        .value_kind:     hidden_remainder_y
      - .offset:         70
        .size:           2
        .value_kind:     hidden_remainder_z
      - .offset:         88
        .size:           8
        .value_kind:     hidden_global_offset_x
      - .offset:         96
        .size:           8
        .value_kind:     hidden_global_offset_y
      - .offset:         104
        .size:           8
        .value_kind:     hidden_global_offset_z
      - .offset:         112
        .size:           2
        .value_kind:     hidden_grid_dims
    .group_segment_fixed_size: 0
    .kernarg_segment_align: 8
    .kernarg_segment_size: 304
    .language:       OpenCL C
    .language_version:
      - 2
      - 0
    .max_flat_workgroup_size: 1024
    .name:           _ZL9moe_vec_qIN3c108BFloat16ELi32ELi4E10block_q5_1Li2EXadL_ZL17vec_dot_q5_1_q8_1PKvPK10block_q8_1RKiEEEvS4_S4_PT_PS8_iiii
    .private_segment_fixed_size: 0
    .sgpr_count:     24
    .sgpr_spill_count: 0
    .symbol:         _ZL9moe_vec_qIN3c108BFloat16ELi32ELi4E10block_q5_1Li2EXadL_ZL17vec_dot_q5_1_q8_1PKvPK10block_q8_1RKiEEEvS4_S4_PT_PS8_iiii.kd
    .uniform_work_group_size: 1
    .uses_dynamic_stack: false
    .vgpr_count:     47
    .vgpr_spill_count: 0
    .wavefront_size: 32
  - .args:
      - .actual_access:  read_only
        .address_space:  global
        .offset:         0
        .size:           8
        .value_kind:     global_buffer
      - .actual_access:  read_only
        .address_space:  global
        .offset:         8
        .size:           8
        .value_kind:     global_buffer
      - .actual_access:  write_only
        .address_space:  global
        .offset:         16
        .size:           8
        .value_kind:     global_buffer
      - .address_space:  global
        .offset:         24
        .size:           8
        .value_kind:     global_buffer
      - .offset:         32
        .size:           4
        .value_kind:     by_value
      - .offset:         36
        .size:           4
        .value_kind:     by_value
      - .offset:         40
        .size:           4
        .value_kind:     by_value
      - .offset:         44
        .size:           4
        .value_kind:     by_value
      - .offset:         48
        .size:           4
        .value_kind:     hidden_block_count_x
      - .offset:         52
        .size:           4
        .value_kind:     hidden_block_count_y
      - .offset:         56
        .size:           4
        .value_kind:     hidden_block_count_z
      - .offset:         60
        .size:           2
        .value_kind:     hidden_group_size_x
      - .offset:         62
        .size:           2
        .value_kind:     hidden_group_size_y
      - .offset:         64
        .size:           2
        .value_kind:     hidden_group_size_z
      - .offset:         66
        .size:           2
        .value_kind:     hidden_remainder_x
      - .offset:         68
        .size:           2
        .value_kind:     hidden_remainder_y
      - .offset:         70
        .size:           2
        .value_kind:     hidden_remainder_z
      - .offset:         88
        .size:           8
        .value_kind:     hidden_global_offset_x
      - .offset:         96
        .size:           8
        .value_kind:     hidden_global_offset_y
      - .offset:         104
        .size:           8
        .value_kind:     hidden_global_offset_z
      - .offset:         112
        .size:           2
        .value_kind:     hidden_grid_dims
    .group_segment_fixed_size: 0
    .kernarg_segment_align: 8
    .kernarg_segment_size: 304
    .language:       OpenCL C
    .language_version:
      - 2
      - 0
    .max_flat_workgroup_size: 1024
    .name:           _ZL9moe_vec_qIN3c108BFloat16ELi32ELi8E10block_q8_0Li2EXadL_ZL17vec_dot_q8_0_q8_1PKvPK10block_q8_1RKiEEEvS4_S4_PT_PS8_iiii
    .private_segment_fixed_size: 0
    .sgpr_count:     23
    .sgpr_spill_count: 0
    .symbol:         _ZL9moe_vec_qIN3c108BFloat16ELi32ELi8E10block_q8_0Li2EXadL_ZL17vec_dot_q8_0_q8_1PKvPK10block_q8_1RKiEEEvS4_S4_PT_PS8_iiii.kd
    .uniform_work_group_size: 1
    .uses_dynamic_stack: false
    .vgpr_count:     25
    .vgpr_spill_count: 0
    .wavefront_size: 32
  - .args:
      - .actual_access:  read_only
        .address_space:  global
        .offset:         0
        .size:           8
        .value_kind:     global_buffer
      - .actual_access:  read_only
        .address_space:  global
        .offset:         8
        .size:           8
        .value_kind:     global_buffer
      - .actual_access:  write_only
        .address_space:  global
        .offset:         16
        .size:           8
        .value_kind:     global_buffer
      - .address_space:  global
        .offset:         24
        .size:           8
        .value_kind:     global_buffer
      - .offset:         32
        .size:           4
        .value_kind:     by_value
      - .offset:         36
        .size:           4
        .value_kind:     by_value
      - .offset:         40
        .size:           4
        .value_kind:     by_value
      - .offset:         44
        .size:           4
        .value_kind:     by_value
      - .offset:         48
        .size:           4
        .value_kind:     hidden_block_count_x
      - .offset:         52
        .size:           4
        .value_kind:     hidden_block_count_y
      - .offset:         56
        .size:           4
        .value_kind:     hidden_block_count_z
      - .offset:         60
        .size:           2
        .value_kind:     hidden_group_size_x
      - .offset:         62
        .size:           2
        .value_kind:     hidden_group_size_y
      - .offset:         64
        .size:           2
        .value_kind:     hidden_group_size_z
      - .offset:         66
        .size:           2
        .value_kind:     hidden_remainder_x
      - .offset:         68
        .size:           2
        .value_kind:     hidden_remainder_y
      - .offset:         70
        .size:           2
        .value_kind:     hidden_remainder_z
      - .offset:         88
        .size:           8
        .value_kind:     hidden_global_offset_x
      - .offset:         96
        .size:           8
        .value_kind:     hidden_global_offset_y
      - .offset:         104
        .size:           8
        .value_kind:     hidden_global_offset_z
      - .offset:         112
        .size:           2
        .value_kind:     hidden_grid_dims
    .group_segment_fixed_size: 0
    .kernarg_segment_align: 8
    .kernarg_segment_size: 304
    .language:       OpenCL C
    .language_version:
      - 2
      - 0
    .max_flat_workgroup_size: 1024
    .name:           _ZL9moe_vec_qIN3c108BFloat16ELi256ELi16E10block_q2_KLi1EXadL_ZL17vec_dot_q2_K_q8_1PKvPK10block_q8_1RKiEEEvS4_S4_PT_PS8_iiii
    .private_segment_fixed_size: 0
    .sgpr_count:     21
    .sgpr_spill_count: 0
    .symbol:         _ZL9moe_vec_qIN3c108BFloat16ELi256ELi16E10block_q2_KLi1EXadL_ZL17vec_dot_q2_K_q8_1PKvPK10block_q8_1RKiEEEvS4_S4_PT_PS8_iiii.kd
    .uniform_work_group_size: 1
    .uses_dynamic_stack: false
    .vgpr_count:     62
    .vgpr_spill_count: 0
    .wavefront_size: 32
  - .args:
      - .actual_access:  read_only
        .address_space:  global
        .offset:         0
        .size:           8
        .value_kind:     global_buffer
      - .actual_access:  read_only
        .address_space:  global
        .offset:         8
        .size:           8
        .value_kind:     global_buffer
      - .actual_access:  write_only
        .address_space:  global
        .offset:         16
        .size:           8
        .value_kind:     global_buffer
      - .address_space:  global
        .offset:         24
        .size:           8
        .value_kind:     global_buffer
      - .offset:         32
        .size:           4
        .value_kind:     by_value
      - .offset:         36
        .size:           4
        .value_kind:     by_value
      - .offset:         40
        .size:           4
        .value_kind:     by_value
      - .offset:         44
        .size:           4
        .value_kind:     by_value
      - .offset:         48
        .size:           4
        .value_kind:     hidden_block_count_x
      - .offset:         52
        .size:           4
        .value_kind:     hidden_block_count_y
      - .offset:         56
        .size:           4
        .value_kind:     hidden_block_count_z
      - .offset:         60
        .size:           2
        .value_kind:     hidden_group_size_x
      - .offset:         62
        .size:           2
        .value_kind:     hidden_group_size_y
      - .offset:         64
        .size:           2
        .value_kind:     hidden_group_size_z
      - .offset:         66
        .size:           2
        .value_kind:     hidden_remainder_x
      - .offset:         68
        .size:           2
        .value_kind:     hidden_remainder_y
      - .offset:         70
        .size:           2
        .value_kind:     hidden_remainder_z
      - .offset:         88
        .size:           8
        .value_kind:     hidden_global_offset_x
      - .offset:         96
        .size:           8
        .value_kind:     hidden_global_offset_y
      - .offset:         104
        .size:           8
        .value_kind:     hidden_global_offset_z
      - .offset:         112
        .size:           2
        .value_kind:     hidden_grid_dims
    .group_segment_fixed_size: 0
    .kernarg_segment_align: 8
    .kernarg_segment_size: 304
    .language:       OpenCL C
    .language_version:
      - 2
      - 0
    .max_flat_workgroup_size: 1024
    .name:           _ZL9moe_vec_qIN3c108BFloat16ELi256ELi16E10block_q3_KLi1EXadL_ZL17vec_dot_q3_K_q8_1PKvPK10block_q8_1RKiEEEvS4_S4_PT_PS8_iiii
    .private_segment_fixed_size: 0
    .sgpr_count:     21
    .sgpr_spill_count: 0
    .symbol:         _ZL9moe_vec_qIN3c108BFloat16ELi256ELi16E10block_q3_KLi1EXadL_ZL17vec_dot_q3_K_q8_1PKvPK10block_q8_1RKiEEEvS4_S4_PT_PS8_iiii.kd
    .uniform_work_group_size: 1
    .uses_dynamic_stack: false
    .vgpr_count:     65
    .vgpr_spill_count: 0
    .wavefront_size: 32
  - .args:
      - .actual_access:  read_only
        .address_space:  global
        .offset:         0
        .size:           8
        .value_kind:     global_buffer
      - .actual_access:  read_only
        .address_space:  global
        .offset:         8
        .size:           8
        .value_kind:     global_buffer
      - .actual_access:  write_only
        .address_space:  global
        .offset:         16
        .size:           8
        .value_kind:     global_buffer
      - .address_space:  global
        .offset:         24
        .size:           8
        .value_kind:     global_buffer
      - .offset:         32
        .size:           4
        .value_kind:     by_value
      - .offset:         36
        .size:           4
        .value_kind:     by_value
      - .offset:         40
        .size:           4
        .value_kind:     by_value
      - .offset:         44
        .size:           4
        .value_kind:     by_value
      - .offset:         48
        .size:           4
        .value_kind:     hidden_block_count_x
      - .offset:         52
        .size:           4
        .value_kind:     hidden_block_count_y
      - .offset:         56
        .size:           4
        .value_kind:     hidden_block_count_z
      - .offset:         60
        .size:           2
        .value_kind:     hidden_group_size_x
      - .offset:         62
        .size:           2
        .value_kind:     hidden_group_size_y
      - .offset:         64
        .size:           2
        .value_kind:     hidden_group_size_z
      - .offset:         66
        .size:           2
        .value_kind:     hidden_remainder_x
      - .offset:         68
        .size:           2
        .value_kind:     hidden_remainder_y
      - .offset:         70
        .size:           2
        .value_kind:     hidden_remainder_z
      - .offset:         88
        .size:           8
        .value_kind:     hidden_global_offset_x
      - .offset:         96
        .size:           8
        .value_kind:     hidden_global_offset_y
      - .offset:         104
        .size:           8
        .value_kind:     hidden_global_offset_z
      - .offset:         112
        .size:           2
        .value_kind:     hidden_grid_dims
    .group_segment_fixed_size: 0
    .kernarg_segment_align: 8
    .kernarg_segment_size: 304
    .language:       OpenCL C
    .language_version:
      - 2
      - 0
    .max_flat_workgroup_size: 1024
    .name:           _ZL9moe_vec_qIN3c108BFloat16ELi256ELi32E10block_q4_KLi2EXadL_ZL17vec_dot_q4_K_q8_1PKvPK10block_q8_1RKiEEEvS4_S4_PT_PS8_iiii
    .private_segment_fixed_size: 0
    .sgpr_count:     21
    .sgpr_spill_count: 0
    .symbol:         _ZL9moe_vec_qIN3c108BFloat16ELi256ELi32E10block_q4_KLi2EXadL_ZL17vec_dot_q4_K_q8_1PKvPK10block_q8_1RKiEEEvS4_S4_PT_PS8_iiii.kd
    .uniform_work_group_size: 1
    .uses_dynamic_stack: false
    .vgpr_count:     55
    .vgpr_spill_count: 0
    .wavefront_size: 32
  - .args:
      - .actual_access:  read_only
        .address_space:  global
        .offset:         0
        .size:           8
        .value_kind:     global_buffer
      - .actual_access:  read_only
        .address_space:  global
        .offset:         8
        .size:           8
        .value_kind:     global_buffer
      - .actual_access:  write_only
        .address_space:  global
        .offset:         16
        .size:           8
        .value_kind:     global_buffer
      - .address_space:  global
        .offset:         24
        .size:           8
        .value_kind:     global_buffer
      - .offset:         32
        .size:           4
        .value_kind:     by_value
      - .offset:         36
        .size:           4
        .value_kind:     by_value
      - .offset:         40
        .size:           4
        .value_kind:     by_value
      - .offset:         44
        .size:           4
        .value_kind:     by_value
      - .offset:         48
        .size:           4
        .value_kind:     hidden_block_count_x
      - .offset:         52
        .size:           4
        .value_kind:     hidden_block_count_y
      - .offset:         56
        .size:           4
        .value_kind:     hidden_block_count_z
      - .offset:         60
        .size:           2
        .value_kind:     hidden_group_size_x
      - .offset:         62
        .size:           2
        .value_kind:     hidden_group_size_y
      - .offset:         64
        .size:           2
        .value_kind:     hidden_group_size_z
      - .offset:         66
        .size:           2
        .value_kind:     hidden_remainder_x
      - .offset:         68
        .size:           2
        .value_kind:     hidden_remainder_y
      - .offset:         70
        .size:           2
        .value_kind:     hidden_remainder_z
      - .offset:         88
        .size:           8
        .value_kind:     hidden_global_offset_x
      - .offset:         96
        .size:           8
        .value_kind:     hidden_global_offset_y
      - .offset:         104
        .size:           8
        .value_kind:     hidden_global_offset_z
      - .offset:         112
        .size:           2
        .value_kind:     hidden_grid_dims
    .group_segment_fixed_size: 0
    .kernarg_segment_align: 8
    .kernarg_segment_size: 304
    .language:       OpenCL C
    .language_version:
      - 2
      - 0
    .max_flat_workgroup_size: 1024
    .name:           _ZL9moe_vec_qIN3c108BFloat16ELi256ELi32E10block_q5_KLi2EXadL_ZL17vec_dot_q5_K_q8_1PKvPK10block_q8_1RKiEEEvS4_S4_PT_PS8_iiii
    .private_segment_fixed_size: 0
    .sgpr_count:     21
    .sgpr_spill_count: 0
    .symbol:         _ZL9moe_vec_qIN3c108BFloat16ELi256ELi32E10block_q5_KLi2EXadL_ZL17vec_dot_q5_K_q8_1PKvPK10block_q8_1RKiEEEvS4_S4_PT_PS8_iiii.kd
    .uniform_work_group_size: 1
    .uses_dynamic_stack: false
    .vgpr_count:     56
    .vgpr_spill_count: 0
    .wavefront_size: 32
  - .args:
      - .actual_access:  read_only
        .address_space:  global
        .offset:         0
        .size:           8
        .value_kind:     global_buffer
      - .actual_access:  read_only
        .address_space:  global
        .offset:         8
        .size:           8
        .value_kind:     global_buffer
      - .actual_access:  write_only
        .address_space:  global
        .offset:         16
        .size:           8
        .value_kind:     global_buffer
      - .address_space:  global
        .offset:         24
        .size:           8
        .value_kind:     global_buffer
      - .offset:         32
        .size:           4
        .value_kind:     by_value
      - .offset:         36
        .size:           4
        .value_kind:     by_value
      - .offset:         40
        .size:           4
        .value_kind:     by_value
      - .offset:         44
        .size:           4
        .value_kind:     by_value
      - .offset:         48
        .size:           4
        .value_kind:     hidden_block_count_x
      - .offset:         52
        .size:           4
        .value_kind:     hidden_block_count_y
      - .offset:         56
        .size:           4
        .value_kind:     hidden_block_count_z
      - .offset:         60
        .size:           2
        .value_kind:     hidden_group_size_x
      - .offset:         62
        .size:           2
        .value_kind:     hidden_group_size_y
      - .offset:         64
        .size:           2
        .value_kind:     hidden_group_size_z
      - .offset:         66
        .size:           2
        .value_kind:     hidden_remainder_x
      - .offset:         68
        .size:           2
        .value_kind:     hidden_remainder_y
      - .offset:         70
        .size:           2
        .value_kind:     hidden_remainder_z
      - .offset:         88
        .size:           8
        .value_kind:     hidden_global_offset_x
      - .offset:         96
        .size:           8
        .value_kind:     hidden_global_offset_y
      - .offset:         104
        .size:           8
        .value_kind:     hidden_global_offset_z
      - .offset:         112
        .size:           2
        .value_kind:     hidden_grid_dims
    .group_segment_fixed_size: 0
    .kernarg_segment_align: 8
    .kernarg_segment_size: 304
    .language:       OpenCL C
    .language_version:
      - 2
      - 0
    .max_flat_workgroup_size: 1024
    .name:           _ZL9moe_vec_qIN3c108BFloat16ELi256ELi32E10block_q6_KLi1EXadL_ZL17vec_dot_q6_K_q8_1PKvPK10block_q8_1RKiEEEvS4_S4_PT_PS8_iiii
    .private_segment_fixed_size: 0
    .sgpr_count:     21
    .sgpr_spill_count: 0
    .symbol:         _ZL9moe_vec_qIN3c108BFloat16ELi256ELi32E10block_q6_KLi1EXadL_ZL17vec_dot_q6_K_q8_1PKvPK10block_q8_1RKiEEEvS4_S4_PT_PS8_iiii.kd
    .uniform_work_group_size: 1
    .uses_dynamic_stack: false
    .vgpr_count:     38
    .vgpr_spill_count: 0
    .wavefront_size: 32
  - .args:
      - .actual_access:  read_only
        .address_space:  global
        .offset:         0
        .size:           8
        .value_kind:     global_buffer
      - .actual_access:  read_only
        .address_space:  global
        .offset:         8
        .size:           8
        .value_kind:     global_buffer
      - .actual_access:  write_only
        .address_space:  global
        .offset:         16
        .size:           8
        .value_kind:     global_buffer
      - .address_space:  global
        .offset:         24
        .size:           8
        .value_kind:     global_buffer
      - .offset:         32
        .size:           4
        .value_kind:     by_value
      - .offset:         36
        .size:           4
        .value_kind:     by_value
      - .offset:         40
        .size:           4
        .value_kind:     by_value
      - .offset:         44
        .size:           4
        .value_kind:     by_value
      - .offset:         48
        .size:           4
        .value_kind:     hidden_block_count_x
      - .offset:         52
        .size:           4
        .value_kind:     hidden_block_count_y
      - .offset:         56
        .size:           4
        .value_kind:     hidden_block_count_z
      - .offset:         60
        .size:           2
        .value_kind:     hidden_group_size_x
      - .offset:         62
        .size:           2
        .value_kind:     hidden_group_size_y
      - .offset:         64
        .size:           2
        .value_kind:     hidden_group_size_z
      - .offset:         66
        .size:           2
        .value_kind:     hidden_remainder_x
      - .offset:         68
        .size:           2
        .value_kind:     hidden_remainder_y
      - .offset:         70
        .size:           2
        .value_kind:     hidden_remainder_z
      - .offset:         88
        .size:           8
        .value_kind:     hidden_global_offset_x
      - .offset:         96
        .size:           8
        .value_kind:     hidden_global_offset_y
      - .offset:         104
        .size:           8
        .value_kind:     hidden_global_offset_z
      - .offset:         112
        .size:           2
        .value_kind:     hidden_grid_dims
    .group_segment_fixed_size: 0
    .kernarg_segment_align: 8
    .kernarg_segment_size: 304
    .language:       OpenCL C
    .language_version:
      - 2
      - 0
    .max_flat_workgroup_size: 1024
    .name:           _ZL9moe_vec_qIN3c108BFloat16ELi256ELi8E13block_iq2_xxsLi1EXadL_ZL20vec_dot_iq2_xxs_q8_1PKvPK10block_q8_1RKiEEEvS4_S4_PT_PS8_iiii
    .private_segment_fixed_size: 0
    .sgpr_count:     25
    .sgpr_spill_count: 0
    .symbol:         _ZL9moe_vec_qIN3c108BFloat16ELi256ELi8E13block_iq2_xxsLi1EXadL_ZL20vec_dot_iq2_xxs_q8_1PKvPK10block_q8_1RKiEEEvS4_S4_PT_PS8_iiii.kd
    .uniform_work_group_size: 1
    .uses_dynamic_stack: false
    .vgpr_count:     64
    .vgpr_spill_count: 0
    .wavefront_size: 32
  - .args:
      - .actual_access:  read_only
        .address_space:  global
        .offset:         0
        .size:           8
        .value_kind:     global_buffer
      - .actual_access:  read_only
        .address_space:  global
        .offset:         8
        .size:           8
        .value_kind:     global_buffer
      - .actual_access:  write_only
        .address_space:  global
        .offset:         16
        .size:           8
        .value_kind:     global_buffer
      - .address_space:  global
        .offset:         24
        .size:           8
        .value_kind:     global_buffer
      - .offset:         32
        .size:           4
        .value_kind:     by_value
      - .offset:         36
        .size:           4
        .value_kind:     by_value
      - .offset:         40
        .size:           4
        .value_kind:     by_value
      - .offset:         44
        .size:           4
        .value_kind:     by_value
      - .offset:         48
        .size:           4
        .value_kind:     hidden_block_count_x
      - .offset:         52
        .size:           4
        .value_kind:     hidden_block_count_y
      - .offset:         56
        .size:           4
        .value_kind:     hidden_block_count_z
      - .offset:         60
        .size:           2
        .value_kind:     hidden_group_size_x
      - .offset:         62
        .size:           2
        .value_kind:     hidden_group_size_y
      - .offset:         64
        .size:           2
        .value_kind:     hidden_group_size_z
      - .offset:         66
        .size:           2
        .value_kind:     hidden_remainder_x
      - .offset:         68
        .size:           2
        .value_kind:     hidden_remainder_y
      - .offset:         70
        .size:           2
        .value_kind:     hidden_remainder_z
      - .offset:         88
        .size:           8
        .value_kind:     hidden_global_offset_x
      - .offset:         96
        .size:           8
        .value_kind:     hidden_global_offset_y
      - .offset:         104
        .size:           8
        .value_kind:     hidden_global_offset_z
      - .offset:         112
        .size:           2
        .value_kind:     hidden_grid_dims
    .group_segment_fixed_size: 0
    .kernarg_segment_align: 8
    .kernarg_segment_size: 304
    .language:       OpenCL C
    .language_version:
      - 2
      - 0
    .max_flat_workgroup_size: 1024
    .name:           _ZL9moe_vec_qIN3c108BFloat16ELi256ELi8E12block_iq2_xsLi1EXadL_ZL19vec_dot_iq2_xs_q8_1PKvPK10block_q8_1RKiEEEvS4_S4_PT_PS8_iiii
    .private_segment_fixed_size: 0
    .sgpr_count:     46
    .sgpr_spill_count: 0
    .symbol:         _ZL9moe_vec_qIN3c108BFloat16ELi256ELi8E12block_iq2_xsLi1EXadL_ZL19vec_dot_iq2_xs_q8_1PKvPK10block_q8_1RKiEEEvS4_S4_PT_PS8_iiii.kd
    .uniform_work_group_size: 1
    .uses_dynamic_stack: false
    .vgpr_count:     84
    .vgpr_spill_count: 0
    .wavefront_size: 32
  - .args:
      - .actual_access:  read_only
        .address_space:  global
        .offset:         0
        .size:           8
        .value_kind:     global_buffer
      - .actual_access:  read_only
        .address_space:  global
        .offset:         8
        .size:           8
        .value_kind:     global_buffer
      - .actual_access:  write_only
        .address_space:  global
        .offset:         16
        .size:           8
        .value_kind:     global_buffer
      - .address_space:  global
        .offset:         24
        .size:           8
        .value_kind:     global_buffer
      - .offset:         32
        .size:           4
        .value_kind:     by_value
      - .offset:         36
        .size:           4
        .value_kind:     by_value
      - .offset:         40
        .size:           4
        .value_kind:     by_value
      - .offset:         44
        .size:           4
        .value_kind:     by_value
      - .offset:         48
        .size:           4
        .value_kind:     hidden_block_count_x
      - .offset:         52
        .size:           4
        .value_kind:     hidden_block_count_y
      - .offset:         56
        .size:           4
        .value_kind:     hidden_block_count_z
      - .offset:         60
        .size:           2
        .value_kind:     hidden_group_size_x
      - .offset:         62
        .size:           2
        .value_kind:     hidden_group_size_y
      - .offset:         64
        .size:           2
        .value_kind:     hidden_group_size_z
      - .offset:         66
        .size:           2
        .value_kind:     hidden_remainder_x
      - .offset:         68
        .size:           2
        .value_kind:     hidden_remainder_y
      - .offset:         70
        .size:           2
        .value_kind:     hidden_remainder_z
      - .offset:         88
        .size:           8
        .value_kind:     hidden_global_offset_x
      - .offset:         96
        .size:           8
        .value_kind:     hidden_global_offset_y
      - .offset:         104
        .size:           8
        .value_kind:     hidden_global_offset_z
      - .offset:         112
        .size:           2
        .value_kind:     hidden_grid_dims
    .group_segment_fixed_size: 0
    .kernarg_segment_align: 8
    .kernarg_segment_size: 304
    .language:       OpenCL C
    .language_version:
      - 2
      - 0
    .max_flat_workgroup_size: 1024
    .name:           _ZL9moe_vec_qIN3c108BFloat16ELi256ELi8E13block_iq3_xxsLi1EXadL_ZL20vec_dot_iq3_xxs_q8_1PKvPK10block_q8_1RKiEEEvS4_S4_PT_PS8_iiii
    .private_segment_fixed_size: 0
    .sgpr_count:     21
    .sgpr_spill_count: 0
    .symbol:         _ZL9moe_vec_qIN3c108BFloat16ELi256ELi8E13block_iq3_xxsLi1EXadL_ZL20vec_dot_iq3_xxs_q8_1PKvPK10block_q8_1RKiEEEvS4_S4_PT_PS8_iiii.kd
    .uniform_work_group_size: 1
    .uses_dynamic_stack: false
    .vgpr_count:     41
    .vgpr_spill_count: 0
    .wavefront_size: 32
  - .args:
      - .actual_access:  read_only
        .address_space:  global
        .offset:         0
        .size:           8
        .value_kind:     global_buffer
      - .actual_access:  read_only
        .address_space:  global
        .offset:         8
        .size:           8
        .value_kind:     global_buffer
      - .actual_access:  write_only
        .address_space:  global
        .offset:         16
        .size:           8
        .value_kind:     global_buffer
      - .address_space:  global
        .offset:         24
        .size:           8
        .value_kind:     global_buffer
      - .offset:         32
        .size:           4
        .value_kind:     by_value
      - .offset:         36
        .size:           4
        .value_kind:     by_value
      - .offset:         40
        .size:           4
        .value_kind:     by_value
      - .offset:         44
        .size:           4
        .value_kind:     by_value
      - .offset:         48
        .size:           4
        .value_kind:     hidden_block_count_x
      - .offset:         52
        .size:           4
        .value_kind:     hidden_block_count_y
      - .offset:         56
        .size:           4
        .value_kind:     hidden_block_count_z
      - .offset:         60
        .size:           2
        .value_kind:     hidden_group_size_x
      - .offset:         62
        .size:           2
        .value_kind:     hidden_group_size_y
      - .offset:         64
        .size:           2
        .value_kind:     hidden_group_size_z
      - .offset:         66
        .size:           2
        .value_kind:     hidden_remainder_x
      - .offset:         68
        .size:           2
        .value_kind:     hidden_remainder_y
      - .offset:         70
        .size:           2
        .value_kind:     hidden_remainder_z
      - .offset:         88
        .size:           8
        .value_kind:     hidden_global_offset_x
      - .offset:         96
        .size:           8
        .value_kind:     hidden_global_offset_y
      - .offset:         104
        .size:           8
        .value_kind:     hidden_global_offset_z
      - .offset:         112
        .size:           2
        .value_kind:     hidden_grid_dims
    .group_segment_fixed_size: 0
    .kernarg_segment_align: 8
    .kernarg_segment_size: 304
    .language:       OpenCL C
    .language_version:
      - 2
      - 0
    .max_flat_workgroup_size: 1024
    .name:           _ZL9moe_vec_qIN3c108BFloat16ELi256ELi8E11block_iq1_sLi1EXadL_ZL18vec_dot_iq1_s_q8_1PKvPK10block_q8_1RKiEEEvS4_S4_PT_PS8_iiii
    .private_segment_fixed_size: 0
    .sgpr_count:     20
    .sgpr_spill_count: 0
    .symbol:         _ZL9moe_vec_qIN3c108BFloat16ELi256ELi8E11block_iq1_sLi1EXadL_ZL18vec_dot_iq1_s_q8_1PKvPK10block_q8_1RKiEEEvS4_S4_PT_PS8_iiii.kd
    .uniform_work_group_size: 1
    .uses_dynamic_stack: false
    .vgpr_count:     62
    .vgpr_spill_count: 0
    .wavefront_size: 32
  - .args:
      - .actual_access:  read_only
        .address_space:  global
        .offset:         0
        .size:           8
        .value_kind:     global_buffer
      - .actual_access:  read_only
        .address_space:  global
        .offset:         8
        .size:           8
        .value_kind:     global_buffer
      - .actual_access:  write_only
        .address_space:  global
        .offset:         16
        .size:           8
        .value_kind:     global_buffer
      - .address_space:  global
        .offset:         24
        .size:           8
        .value_kind:     global_buffer
      - .offset:         32
        .size:           4
        .value_kind:     by_value
      - .offset:         36
        .size:           4
        .value_kind:     by_value
      - .offset:         40
        .size:           4
        .value_kind:     by_value
      - .offset:         44
        .size:           4
        .value_kind:     by_value
      - .offset:         48
        .size:           4
        .value_kind:     hidden_block_count_x
      - .offset:         52
        .size:           4
        .value_kind:     hidden_block_count_y
      - .offset:         56
        .size:           4
        .value_kind:     hidden_block_count_z
      - .offset:         60
        .size:           2
        .value_kind:     hidden_group_size_x
      - .offset:         62
        .size:           2
        .value_kind:     hidden_group_size_y
      - .offset:         64
        .size:           2
        .value_kind:     hidden_group_size_z
      - .offset:         66
        .size:           2
        .value_kind:     hidden_remainder_x
      - .offset:         68
        .size:           2
        .value_kind:     hidden_remainder_y
      - .offset:         70
        .size:           2
        .value_kind:     hidden_remainder_z
      - .offset:         88
        .size:           8
        .value_kind:     hidden_global_offset_x
      - .offset:         96
        .size:           8
        .value_kind:     hidden_global_offset_y
      - .offset:         104
        .size:           8
        .value_kind:     hidden_global_offset_z
      - .offset:         112
        .size:           2
        .value_kind:     hidden_grid_dims
    .group_segment_fixed_size: 0
    .kernarg_segment_align: 8
    .kernarg_segment_size: 304
    .language:       OpenCL C
    .language_version:
      - 2
      - 0
    .max_flat_workgroup_size: 1024
    .name:           _ZL9moe_vec_qIN3c108BFloat16ELi32ELi4E12block_iq4_nlLi2EXadL_ZL19vec_dot_iq4_nl_q8_1PKvPK10block_q8_1RKiEEEvS4_S4_PT_PS8_iiii
    .private_segment_fixed_size: 0
    .sgpr_count:     26
    .sgpr_spill_count: 0
    .symbol:         _ZL9moe_vec_qIN3c108BFloat16ELi32ELi4E12block_iq4_nlLi2EXadL_ZL19vec_dot_iq4_nl_q8_1PKvPK10block_q8_1RKiEEEvS4_S4_PT_PS8_iiii.kd
    .uniform_work_group_size: 1
    .uses_dynamic_stack: false
    .vgpr_count:     45
    .vgpr_spill_count: 0
    .wavefront_size: 32
  - .args:
      - .actual_access:  read_only
        .address_space:  global
        .offset:         0
        .size:           8
        .value_kind:     global_buffer
      - .actual_access:  read_only
        .address_space:  global
        .offset:         8
        .size:           8
        .value_kind:     global_buffer
      - .actual_access:  write_only
        .address_space:  global
        .offset:         16
        .size:           8
        .value_kind:     global_buffer
      - .address_space:  global
        .offset:         24
        .size:           8
        .value_kind:     global_buffer
      - .offset:         32
        .size:           4
        .value_kind:     by_value
      - .offset:         36
        .size:           4
        .value_kind:     by_value
      - .offset:         40
        .size:           4
        .value_kind:     by_value
      - .offset:         44
        .size:           4
        .value_kind:     by_value
      - .offset:         48
        .size:           4
        .value_kind:     hidden_block_count_x
      - .offset:         52
        .size:           4
        .value_kind:     hidden_block_count_y
      - .offset:         56
        .size:           4
        .value_kind:     hidden_block_count_z
      - .offset:         60
        .size:           2
        .value_kind:     hidden_group_size_x
      - .offset:         62
        .size:           2
        .value_kind:     hidden_group_size_y
      - .offset:         64
        .size:           2
        .value_kind:     hidden_group_size_z
      - .offset:         66
        .size:           2
        .value_kind:     hidden_remainder_x
      - .offset:         68
        .size:           2
        .value_kind:     hidden_remainder_y
      - .offset:         70
        .size:           2
        .value_kind:     hidden_remainder_z
      - .offset:         88
        .size:           8
        .value_kind:     hidden_global_offset_x
      - .offset:         96
        .size:           8
        .value_kind:     hidden_global_offset_y
      - .offset:         104
        .size:           8
        .value_kind:     hidden_global_offset_z
      - .offset:         112
        .size:           2
        .value_kind:     hidden_grid_dims
    .group_segment_fixed_size: 0
    .kernarg_segment_align: 8
    .kernarg_segment_size: 304
    .language:       OpenCL C
    .language_version:
      - 2
      - 0
    .max_flat_workgroup_size: 1024
    .name:           _ZL9moe_vec_qIN3c108BFloat16ELi256ELi8E11block_iq3_sLi1EXadL_ZL18vec_dot_iq3_s_q8_1PKvPK10block_q8_1RKiEEEvS4_S4_PT_PS8_iiii
    .private_segment_fixed_size: 0
    .sgpr_count:     21
    .sgpr_spill_count: 0
    .symbol:         _ZL9moe_vec_qIN3c108BFloat16ELi256ELi8E11block_iq3_sLi1EXadL_ZL18vec_dot_iq3_s_q8_1PKvPK10block_q8_1RKiEEEvS4_S4_PT_PS8_iiii.kd
    .uniform_work_group_size: 1
    .uses_dynamic_stack: false
    .vgpr_count:     49
    .vgpr_spill_count: 0
    .wavefront_size: 32
  - .args:
      - .actual_access:  read_only
        .address_space:  global
        .offset:         0
        .size:           8
        .value_kind:     global_buffer
      - .actual_access:  read_only
        .address_space:  global
        .offset:         8
        .size:           8
        .value_kind:     global_buffer
      - .actual_access:  write_only
        .address_space:  global
        .offset:         16
        .size:           8
        .value_kind:     global_buffer
      - .address_space:  global
        .offset:         24
        .size:           8
        .value_kind:     global_buffer
      - .offset:         32
        .size:           4
        .value_kind:     by_value
      - .offset:         36
        .size:           4
        .value_kind:     by_value
      - .offset:         40
        .size:           4
        .value_kind:     by_value
      - .offset:         44
        .size:           4
        .value_kind:     by_value
      - .offset:         48
        .size:           4
        .value_kind:     hidden_block_count_x
      - .offset:         52
        .size:           4
        .value_kind:     hidden_block_count_y
      - .offset:         56
        .size:           4
        .value_kind:     hidden_block_count_z
      - .offset:         60
        .size:           2
        .value_kind:     hidden_group_size_x
      - .offset:         62
        .size:           2
        .value_kind:     hidden_group_size_y
      - .offset:         64
        .size:           2
        .value_kind:     hidden_group_size_z
      - .offset:         66
        .size:           2
        .value_kind:     hidden_remainder_x
      - .offset:         68
        .size:           2
        .value_kind:     hidden_remainder_y
      - .offset:         70
        .size:           2
        .value_kind:     hidden_remainder_z
      - .offset:         88
        .size:           8
        .value_kind:     hidden_global_offset_x
      - .offset:         96
        .size:           8
        .value_kind:     hidden_global_offset_y
      - .offset:         104
        .size:           8
        .value_kind:     hidden_global_offset_z
      - .offset:         112
        .size:           2
        .value_kind:     hidden_grid_dims
    .group_segment_fixed_size: 0
    .kernarg_segment_align: 8
    .kernarg_segment_size: 304
    .language:       OpenCL C
    .language_version:
      - 2
      - 0
    .max_flat_workgroup_size: 1024
    .name:           _ZL9moe_vec_qIN3c108BFloat16ELi256ELi8E11block_iq2_sLi1EXadL_ZL18vec_dot_iq2_s_q8_1PKvPK10block_q8_1RKiEEEvS4_S4_PT_PS8_iiii
    .private_segment_fixed_size: 0
    .sgpr_count:     22
    .sgpr_spill_count: 0
    .symbol:         _ZL9moe_vec_qIN3c108BFloat16ELi256ELi8E11block_iq2_sLi1EXadL_ZL18vec_dot_iq2_s_q8_1PKvPK10block_q8_1RKiEEEvS4_S4_PT_PS8_iiii.kd
    .uniform_work_group_size: 1
    .uses_dynamic_stack: false
    .vgpr_count:     72
    .vgpr_spill_count: 0
    .wavefront_size: 32
  - .args:
      - .actual_access:  read_only
        .address_space:  global
        .offset:         0
        .size:           8
        .value_kind:     global_buffer
      - .actual_access:  read_only
        .address_space:  global
        .offset:         8
        .size:           8
        .value_kind:     global_buffer
      - .actual_access:  write_only
        .address_space:  global
        .offset:         16
        .size:           8
        .value_kind:     global_buffer
      - .address_space:  global
        .offset:         24
        .size:           8
        .value_kind:     global_buffer
      - .offset:         32
        .size:           4
        .value_kind:     by_value
      - .offset:         36
        .size:           4
        .value_kind:     by_value
      - .offset:         40
        .size:           4
        .value_kind:     by_value
      - .offset:         44
        .size:           4
        .value_kind:     by_value
      - .offset:         48
        .size:           4
        .value_kind:     hidden_block_count_x
      - .offset:         52
        .size:           4
        .value_kind:     hidden_block_count_y
      - .offset:         56
        .size:           4
        .value_kind:     hidden_block_count_z
      - .offset:         60
        .size:           2
        .value_kind:     hidden_group_size_x
      - .offset:         62
        .size:           2
        .value_kind:     hidden_group_size_y
      - .offset:         64
        .size:           2
        .value_kind:     hidden_group_size_z
      - .offset:         66
        .size:           2
        .value_kind:     hidden_remainder_x
      - .offset:         68
        .size:           2
        .value_kind:     hidden_remainder_y
      - .offset:         70
        .size:           2
        .value_kind:     hidden_remainder_z
      - .offset:         88
        .size:           8
        .value_kind:     hidden_global_offset_x
      - .offset:         96
        .size:           8
        .value_kind:     hidden_global_offset_y
      - .offset:         104
        .size:           8
        .value_kind:     hidden_global_offset_z
      - .offset:         112
        .size:           2
        .value_kind:     hidden_grid_dims
    .group_segment_fixed_size: 0
    .kernarg_segment_align: 8
    .kernarg_segment_size: 304
    .language:       OpenCL C
    .language_version:
      - 2
      - 0
    .max_flat_workgroup_size: 1024
    .name:           _ZL9moe_vec_qIN3c108BFloat16ELi256ELi8E12block_iq4_xsLi1EXadL_ZL19vec_dot_iq4_xs_q8_1PKvPK10block_q8_1RKiEEEvS4_S4_PT_PS8_iiii
    .private_segment_fixed_size: 0
    .sgpr_count:     21
    .sgpr_spill_count: 0
    .symbol:         _ZL9moe_vec_qIN3c108BFloat16ELi256ELi8E12block_iq4_xsLi1EXadL_ZL19vec_dot_iq4_xs_q8_1PKvPK10block_q8_1RKiEEEvS4_S4_PT_PS8_iiii.kd
    .uniform_work_group_size: 1
    .uses_dynamic_stack: false
    .vgpr_count:     64
    .vgpr_spill_count: 0
    .wavefront_size: 32
  - .args:
      - .actual_access:  read_only
        .address_space:  global
        .offset:         0
        .size:           8
        .value_kind:     global_buffer
      - .actual_access:  read_only
        .address_space:  global
        .offset:         8
        .size:           8
        .value_kind:     global_buffer
      - .actual_access:  write_only
        .address_space:  global
        .offset:         16
        .size:           8
        .value_kind:     global_buffer
      - .address_space:  global
        .offset:         24
        .size:           8
        .value_kind:     global_buffer
      - .offset:         32
        .size:           4
        .value_kind:     by_value
      - .offset:         36
        .size:           4
        .value_kind:     by_value
      - .offset:         40
        .size:           4
        .value_kind:     by_value
      - .offset:         44
        .size:           4
        .value_kind:     by_value
      - .offset:         48
        .size:           4
        .value_kind:     hidden_block_count_x
      - .offset:         52
        .size:           4
        .value_kind:     hidden_block_count_y
      - .offset:         56
        .size:           4
        .value_kind:     hidden_block_count_z
      - .offset:         60
        .size:           2
        .value_kind:     hidden_group_size_x
      - .offset:         62
        .size:           2
        .value_kind:     hidden_group_size_y
      - .offset:         64
        .size:           2
        .value_kind:     hidden_group_size_z
      - .offset:         66
        .size:           2
        .value_kind:     hidden_remainder_x
      - .offset:         68
        .size:           2
        .value_kind:     hidden_remainder_y
      - .offset:         70
        .size:           2
        .value_kind:     hidden_remainder_z
      - .offset:         88
        .size:           8
        .value_kind:     hidden_global_offset_x
      - .offset:         96
        .size:           8
        .value_kind:     hidden_global_offset_y
      - .offset:         104
        .size:           8
        .value_kind:     hidden_global_offset_z
      - .offset:         112
        .size:           2
        .value_kind:     hidden_grid_dims
    .group_segment_fixed_size: 0
    .kernarg_segment_align: 8
    .kernarg_segment_size: 304
    .language:       OpenCL C
    .language_version:
      - 2
      - 0
    .max_flat_workgroup_size: 1024
    .name:           _ZL9moe_vec_qIN3c108BFloat16ELi256ELi8E11block_iq1_mLi1EXadL_ZL18vec_dot_iq1_m_q8_1PKvPK10block_q8_1RKiEEEvS4_S4_PT_PS8_iiii
    .private_segment_fixed_size: 0
    .sgpr_count:     21
    .sgpr_spill_count: 0
    .symbol:         _ZL9moe_vec_qIN3c108BFloat16ELi256ELi8E11block_iq1_mLi1EXadL_ZL18vec_dot_iq1_m_q8_1PKvPK10block_q8_1RKiEEEvS4_S4_PT_PS8_iiii.kd
    .uniform_work_group_size: 1
    .uses_dynamic_stack: false
    .vgpr_count:     63
    .vgpr_spill_count: 0
    .wavefront_size: 32
amdhsa.target:   amdgcn-amd-amdhsa--gfx1250
amdhsa.version:
  - 1
  - 2
...

	.end_amdgpu_metadata
